;; amdgpu-corpus repo=ROCm/rocSOLVER kind=compiled arch=gfx1250 opt=O3
	.amdgcn_target "amdgcn-amd-amdhsa--gfx1250"
	.amdhsa_code_object_version 6
	.section	.text._ZN9rocsolver6v33100L18getri_kernel_smallILi1E19rocblas_complex_numIfEPS3_EEvT1_iilPiilS6_bb,"axG",@progbits,_ZN9rocsolver6v33100L18getri_kernel_smallILi1E19rocblas_complex_numIfEPS3_EEvT1_iilPiilS6_bb,comdat
	.globl	_ZN9rocsolver6v33100L18getri_kernel_smallILi1E19rocblas_complex_numIfEPS3_EEvT1_iilPiilS6_bb ; -- Begin function _ZN9rocsolver6v33100L18getri_kernel_smallILi1E19rocblas_complex_numIfEPS3_EEvT1_iilPiilS6_bb
	.p2align	8
	.type	_ZN9rocsolver6v33100L18getri_kernel_smallILi1E19rocblas_complex_numIfEPS3_EEvT1_iilPiilS6_bb,@function
_ZN9rocsolver6v33100L18getri_kernel_smallILi1E19rocblas_complex_numIfEPS3_EEvT1_iilPiilS6_bb: ; @_ZN9rocsolver6v33100L18getri_kernel_smallILi1E19rocblas_complex_numIfEPS3_EEvT1_iilPiilS6_bb
; %bb.0:
	s_mov_b32 s10, 0
	s_mov_b32 s2, exec_lo
	v_cmpx_eq_u32_e32 0, v0
	s_cbranch_execz .LBB0_15
; %bb.1:
	s_clause 0x2
	s_load_b96 s[12:14], s[0:1], 0x0
	s_load_b96 s[4:6], s[0:1], 0x30
	s_load_b64 s[2:3], s[0:1], 0x10
	s_getreg_b32 s7, hwreg(HW_REG_IB_STS2, 6, 4)
	s_wait_kmcnt 0x0
	s_ashr_i32 s1, s14, 31
	s_bitcmp1_b32 s6, 0
	s_cselect_b32 s11, -1, 0
	s_bfe_u32 s0, ttmp6, 0x4000c
	s_and_b32 s6, ttmp6, 15
	s_add_co_i32 s0, s0, 1
	s_delay_alu instid0(SALU_CYCLE_1) | instskip(NEXT) | instid1(SALU_CYCLE_1)
	s_mul_i32 s0, ttmp9, s0
	s_add_co_i32 s6, s6, s0
	s_cmp_eq_u32 s7, 0
	s_mov_b32 s0, s14
	s_cselect_b32 s8, ttmp9, s6
	s_lshl_b64 s[0:1], s[0:1], 3
	s_ashr_i32 s9, s8, 31
	s_and_b32 vcc_lo, exec_lo, s11
	s_mul_u64 s[2:3], s[2:3], s[8:9]
	s_delay_alu instid0(SALU_CYCLE_1) | instskip(NEXT) | instid1(SALU_CYCLE_1)
	s_lshl_b64 s[2:3], s[2:3], 3
	s_add_nc_u64 s[2:3], s[12:13], s[2:3]
	s_delay_alu instid0(SALU_CYCLE_1)
	s_add_nc_u64 s[2:3], s[2:3], s[0:1]
	s_load_b64 s[6:7], s[2:3], 0x0
	s_cbranch_vccnz .LBB0_12
; %bb.2:
	s_lshl_b64 s[0:1], s[8:9], 2
	s_delay_alu instid0(SALU_CYCLE_1)
	s_add_nc_u64 s[0:1], s[4:5], s[0:1]
	s_load_b32 s0, s[0:1], 0x0
	s_wait_kmcnt 0x0
	s_cmp_eq_u32 s0, 0
	s_mov_b32 s0, 0
	s_cbranch_scc0 .LBB0_4
; %bb.3:
	s_mov_b32 s10, -1
.LBB0_4:
	s_and_b32 vcc_lo, exec_lo, s0
	s_cbranch_vccz .LBB0_13
.LBB0_5:
	s_wait_kmcnt 0x0
	s_cmp_eq_f32 s6, 0
	v_mov_b32_e32 v0, 0
	s_cselect_b32 s0, -1, 0
	s_cmp_eq_f32 s7, 0
	ds_store_b32 v0, v0
	s_wait_dscnt 0x0
	s_barrier_signal -1
	s_cselect_b32 s1, -1, 0
	s_barrier_wait -1
	s_and_b32 s0, s0, s1
	s_delay_alu instid0(SALU_CYCLE_1)
	s_and_not1_b32 vcc_lo, exec_lo, s0
	s_cbranch_vccnz .LBB0_10
; %bb.6:
	ds_load_b32 v1, v0
	s_wait_dscnt 0x0
	v_cmp_ne_u32_e32 vcc_lo, 0, v1
	v_cmp_gt_i32_e64 s0, 2, v1
	s_and_b32 s0, vcc_lo, s0
	s_delay_alu instid0(SALU_CYCLE_1)
	s_and_b32 vcc_lo, exec_lo, s0
	s_cbranch_vccnz .LBB0_10
; %bb.7:
	v_dual_mov_b32 v2, 1 :: v_dual_mov_b32 v3, 0
	s_mov_b32 s1, 0
.LBB0_8:                                ; =>This Inner Loop Header: Depth=1
	ds_cmpstore_rtn_b32 v1, v3, v2, v1
	s_wait_dscnt 0x0
	v_cmp_ne_u32_e32 vcc_lo, 0, v1
	v_cmp_gt_i32_e64 s0, 2, v1
	s_and_b32 s0, vcc_lo, s0
	s_delay_alu instid0(SALU_CYCLE_1) | instskip(NEXT) | instid1(SALU_CYCLE_1)
	s_and_b32 s0, exec_lo, s0
	s_or_b32 s1, s0, s1
	s_delay_alu instid0(SALU_CYCLE_1)
	s_and_not1_b32 exec_lo, exec_lo, s1
	s_cbranch_execnz .LBB0_8
; %bb.9:
	s_or_b32 exec_lo, exec_lo, s1
.LBB0_10:
	s_barrier_signal -1
	s_barrier_wait -1
	ds_load_b32 v1, v0
	s_lshl_b64 s[0:1], s[8:9], 2
	s_delay_alu instid0(SALU_CYCLE_1)
	s_add_nc_u64 s[0:1], s[4:5], s[0:1]
	s_wait_dscnt 0x0
	v_cmp_ne_u32_e32 vcc_lo, 0, v1
	global_store_b32 v0, v1, s[0:1]
	s_cbranch_vccz .LBB0_16
; %bb.11:
                                        ; implicit-def: $vgpr0_vgpr1
	s_and_b32 vcc_lo, exec_lo, s10
	s_cbranch_vccnz .LBB0_14
	s_branch .LBB0_15
.LBB0_12:
	s_cbranch_execnz .LBB0_5
.LBB0_13:
	s_wait_kmcnt 0x0
	v_mov_b64_e32 v[0:1], s[6:7]
	s_and_b32 vcc_lo, exec_lo, s10
	s_cbranch_vccz .LBB0_15
.LBB0_14:
	v_mov_b32_e32 v2, 0
	global_store_b64 v2, v[0:1], s[2:3]
.LBB0_15:
	s_endpgm
.LBB0_16:
	s_wait_xcnt 0x0
	s_and_b32 s0, s6, 0x7fffffff
	s_and_b32 s1, s7, 0x7fffffff
	s_delay_alu instid0(SALU_CYCLE_1)
	s_cmp_ngt_f32 s0, s1
	s_cbranch_scc0 .LBB0_18
; %bb.17:
	v_div_scale_f32 v0, null, s7, s7, s6
	v_div_scale_f32 v3, vcc_lo, s6, s7, s6
	s_delay_alu instid0(VALU_DEP_2)
	v_rcp_f32_e32 v1, v0
	v_nop
	v_xor_b32_e32 v0, 0x80000000, v0
	s_delay_alu instid0(TRANS32_DEP_1) | instid1(VALU_DEP_1)
	v_fma_f32 v2, v0, v1, 1.0
	s_delay_alu instid0(VALU_DEP_1) | instskip(NEXT) | instid1(VALU_DEP_1)
	v_fmac_f32_e32 v1, v2, v1
	v_mul_f32_e32 v2, v3, v1
	s_delay_alu instid0(VALU_DEP_1) | instskip(NEXT) | instid1(VALU_DEP_1)
	v_fma_f32 v4, v0, v2, v3
	v_fmac_f32_e32 v2, v4, v1
	s_delay_alu instid0(VALU_DEP_1) | instskip(NEXT) | instid1(VALU_DEP_1)
	v_fmac_f32_e32 v3, v0, v2
	v_div_fmas_f32 v0, v3, v1, v2
	s_delay_alu instid0(VALU_DEP_1) | instskip(NEXT) | instid1(VALU_DEP_1)
	v_div_fixup_f32 v0, v0, s7, s6
	v_fma_f32 v1, s6, v0, s7
	s_delay_alu instid0(VALU_DEP_1) | instskip(SKIP_1) | instid1(VALU_DEP_2)
	v_div_scale_f32 v2, null, v1, v1, 1.0
	v_div_scale_f32 v5, vcc_lo, 1.0, v1, 1.0
	v_rcp_f32_e32 v3, v2
	v_nop
	v_xor_b32_e32 v2, 0x80000000, v2
	s_delay_alu instid0(TRANS32_DEP_1) | instid1(VALU_DEP_1)
	v_fma_f32 v4, v2, v3, 1.0
	s_delay_alu instid0(VALU_DEP_1) | instskip(NEXT) | instid1(VALU_DEP_1)
	v_fmac_f32_e32 v3, v4, v3
	v_mul_f32_e32 v4, v5, v3
	s_delay_alu instid0(VALU_DEP_1) | instskip(NEXT) | instid1(VALU_DEP_1)
	v_fma_f32 v6, v2, v4, v5
	v_fmac_f32_e32 v4, v6, v3
	s_delay_alu instid0(VALU_DEP_1) | instskip(NEXT) | instid1(VALU_DEP_1)
	v_fmac_f32_e32 v5, v2, v4
	v_div_fmas_f32 v2, v5, v3, v4
	s_delay_alu instid0(VALU_DEP_1) | instskip(NEXT) | instid1(VALU_DEP_1)
	v_div_fixup_f32 v1, v2, v1, 1.0
	v_mul_f32_e32 v0, v0, v1
	v_xor_b32_e32 v1, 0x80000000, v1
	s_cbranch_execz .LBB0_19
	s_branch .LBB0_20
.LBB0_18:
                                        ; implicit-def: $vgpr0_vgpr1
.LBB0_19:
	v_div_scale_f32 v0, null, s6, s6, s7
	v_div_scale_f32 v3, vcc_lo, s7, s6, s7
	s_delay_alu instid0(VALU_DEP_2)
	v_rcp_f32_e32 v1, v0
	v_nop
	v_xor_b32_e32 v0, 0x80000000, v0
	s_delay_alu instid0(TRANS32_DEP_1) | instid1(VALU_DEP_1)
	v_fma_f32 v2, v0, v1, 1.0
	s_delay_alu instid0(VALU_DEP_1) | instskip(NEXT) | instid1(VALU_DEP_1)
	v_fmac_f32_e32 v1, v2, v1
	v_mul_f32_e32 v2, v3, v1
	s_delay_alu instid0(VALU_DEP_1) | instskip(NEXT) | instid1(VALU_DEP_1)
	v_fma_f32 v4, v0, v2, v3
	v_fmac_f32_e32 v2, v4, v1
	s_delay_alu instid0(VALU_DEP_1) | instskip(NEXT) | instid1(VALU_DEP_1)
	v_fmac_f32_e32 v3, v0, v2
	v_div_fmas_f32 v0, v3, v1, v2
	s_delay_alu instid0(VALU_DEP_1) | instskip(NEXT) | instid1(VALU_DEP_1)
	v_div_fixup_f32 v1, v0, s6, s7
	v_fma_f32 v0, s7, v1, s6
	s_delay_alu instid0(VALU_DEP_1) | instskip(NEXT) | instid1(VALU_DEP_1)
	v_div_scale_f32 v2, null, v0, v0, 1.0
	v_rcp_f32_e32 v3, v2
	v_nop
	v_xor_b32_e32 v2, 0x80000000, v2
	s_delay_alu instid0(TRANS32_DEP_1) | instid1(VALU_DEP_1)
	v_fma_f32 v4, v2, v3, 1.0
	s_delay_alu instid0(VALU_DEP_1) | instskip(SKIP_1) | instid1(VALU_DEP_1)
	v_fmac_f32_e32 v3, v4, v3
	v_div_scale_f32 v4, vcc_lo, 1.0, v0, 1.0
	v_mul_f32_e32 v5, v4, v3
	s_delay_alu instid0(VALU_DEP_1) | instskip(NEXT) | instid1(VALU_DEP_1)
	v_fma_f32 v6, v2, v5, v4
	v_fmac_f32_e32 v5, v6, v3
	s_delay_alu instid0(VALU_DEP_1) | instskip(NEXT) | instid1(VALU_DEP_1)
	v_fmac_f32_e32 v4, v2, v5
	v_div_fmas_f32 v2, v4, v3, v5
	s_delay_alu instid0(VALU_DEP_1) | instskip(NEXT) | instid1(VALU_DEP_1)
	v_div_fixup_f32 v0, v2, v0, 1.0
	v_xor_b32_e32 v2, 0x80000000, v0
	s_delay_alu instid0(VALU_DEP_1)
	v_mul_f32_e32 v1, v1, v2
.LBB0_20:
	s_cbranch_execnz .LBB0_14
	s_branch .LBB0_15
	.section	.rodata,"a",@progbits
	.p2align	6, 0x0
	.amdhsa_kernel _ZN9rocsolver6v33100L18getri_kernel_smallILi1E19rocblas_complex_numIfEPS3_EEvT1_iilPiilS6_bb
		.amdhsa_group_segment_fixed_size 4
		.amdhsa_private_segment_fixed_size 0
		.amdhsa_kernarg_size 60
		.amdhsa_user_sgpr_count 2
		.amdhsa_user_sgpr_dispatch_ptr 0
		.amdhsa_user_sgpr_queue_ptr 0
		.amdhsa_user_sgpr_kernarg_segment_ptr 1
		.amdhsa_user_sgpr_dispatch_id 0
		.amdhsa_user_sgpr_kernarg_preload_length 0
		.amdhsa_user_sgpr_kernarg_preload_offset 0
		.amdhsa_user_sgpr_private_segment_size 0
		.amdhsa_wavefront_size32 1
		.amdhsa_uses_dynamic_stack 0
		.amdhsa_enable_private_segment 0
		.amdhsa_system_sgpr_workgroup_id_x 1
		.amdhsa_system_sgpr_workgroup_id_y 0
		.amdhsa_system_sgpr_workgroup_id_z 0
		.amdhsa_system_sgpr_workgroup_info 0
		.amdhsa_system_vgpr_workitem_id 0
		.amdhsa_next_free_vgpr 7
		.amdhsa_next_free_sgpr 15
		.amdhsa_named_barrier_count 0
		.amdhsa_reserve_vcc 1
		.amdhsa_float_round_mode_32 0
		.amdhsa_float_round_mode_16_64 0
		.amdhsa_float_denorm_mode_32 3
		.amdhsa_float_denorm_mode_16_64 3
		.amdhsa_fp16_overflow 0
		.amdhsa_memory_ordered 1
		.amdhsa_forward_progress 1
		.amdhsa_inst_pref_size 8
		.amdhsa_round_robin_scheduling 0
		.amdhsa_exception_fp_ieee_invalid_op 0
		.amdhsa_exception_fp_denorm_src 0
		.amdhsa_exception_fp_ieee_div_zero 0
		.amdhsa_exception_fp_ieee_overflow 0
		.amdhsa_exception_fp_ieee_underflow 0
		.amdhsa_exception_fp_ieee_inexact 0
		.amdhsa_exception_int_div_zero 0
	.end_amdhsa_kernel
	.section	.text._ZN9rocsolver6v33100L18getri_kernel_smallILi1E19rocblas_complex_numIfEPS3_EEvT1_iilPiilS6_bb,"axG",@progbits,_ZN9rocsolver6v33100L18getri_kernel_smallILi1E19rocblas_complex_numIfEPS3_EEvT1_iilPiilS6_bb,comdat
.Lfunc_end0:
	.size	_ZN9rocsolver6v33100L18getri_kernel_smallILi1E19rocblas_complex_numIfEPS3_EEvT1_iilPiilS6_bb, .Lfunc_end0-_ZN9rocsolver6v33100L18getri_kernel_smallILi1E19rocblas_complex_numIfEPS3_EEvT1_iilPiilS6_bb
                                        ; -- End function
	.set _ZN9rocsolver6v33100L18getri_kernel_smallILi1E19rocblas_complex_numIfEPS3_EEvT1_iilPiilS6_bb.num_vgpr, 7
	.set _ZN9rocsolver6v33100L18getri_kernel_smallILi1E19rocblas_complex_numIfEPS3_EEvT1_iilPiilS6_bb.num_agpr, 0
	.set _ZN9rocsolver6v33100L18getri_kernel_smallILi1E19rocblas_complex_numIfEPS3_EEvT1_iilPiilS6_bb.numbered_sgpr, 15
	.set _ZN9rocsolver6v33100L18getri_kernel_smallILi1E19rocblas_complex_numIfEPS3_EEvT1_iilPiilS6_bb.num_named_barrier, 0
	.set _ZN9rocsolver6v33100L18getri_kernel_smallILi1E19rocblas_complex_numIfEPS3_EEvT1_iilPiilS6_bb.private_seg_size, 0
	.set _ZN9rocsolver6v33100L18getri_kernel_smallILi1E19rocblas_complex_numIfEPS3_EEvT1_iilPiilS6_bb.uses_vcc, 1
	.set _ZN9rocsolver6v33100L18getri_kernel_smallILi1E19rocblas_complex_numIfEPS3_EEvT1_iilPiilS6_bb.uses_flat_scratch, 0
	.set _ZN9rocsolver6v33100L18getri_kernel_smallILi1E19rocblas_complex_numIfEPS3_EEvT1_iilPiilS6_bb.has_dyn_sized_stack, 0
	.set _ZN9rocsolver6v33100L18getri_kernel_smallILi1E19rocblas_complex_numIfEPS3_EEvT1_iilPiilS6_bb.has_recursion, 0
	.set _ZN9rocsolver6v33100L18getri_kernel_smallILi1E19rocblas_complex_numIfEPS3_EEvT1_iilPiilS6_bb.has_indirect_call, 0
	.section	.AMDGPU.csdata,"",@progbits
; Kernel info:
; codeLenInByte = 980
; TotalNumSgprs: 17
; NumVgprs: 7
; ScratchSize: 0
; MemoryBound: 0
; FloatMode: 240
; IeeeMode: 1
; LDSByteSize: 4 bytes/workgroup (compile time only)
; SGPRBlocks: 0
; VGPRBlocks: 0
; NumSGPRsForWavesPerEU: 17
; NumVGPRsForWavesPerEU: 7
; NamedBarCnt: 0
; Occupancy: 16
; WaveLimiterHint : 0
; COMPUTE_PGM_RSRC2:SCRATCH_EN: 0
; COMPUTE_PGM_RSRC2:USER_SGPR: 2
; COMPUTE_PGM_RSRC2:TRAP_HANDLER: 0
; COMPUTE_PGM_RSRC2:TGID_X_EN: 1
; COMPUTE_PGM_RSRC2:TGID_Y_EN: 0
; COMPUTE_PGM_RSRC2:TGID_Z_EN: 0
; COMPUTE_PGM_RSRC2:TIDIG_COMP_CNT: 0
	.section	.text._ZN9rocsolver6v33100L18getri_kernel_smallILi2E19rocblas_complex_numIfEPS3_EEvT1_iilPiilS6_bb,"axG",@progbits,_ZN9rocsolver6v33100L18getri_kernel_smallILi2E19rocblas_complex_numIfEPS3_EEvT1_iilPiilS6_bb,comdat
	.globl	_ZN9rocsolver6v33100L18getri_kernel_smallILi2E19rocblas_complex_numIfEPS3_EEvT1_iilPiilS6_bb ; -- Begin function _ZN9rocsolver6v33100L18getri_kernel_smallILi2E19rocblas_complex_numIfEPS3_EEvT1_iilPiilS6_bb
	.p2align	8
	.type	_ZN9rocsolver6v33100L18getri_kernel_smallILi2E19rocblas_complex_numIfEPS3_EEvT1_iilPiilS6_bb,@function
_ZN9rocsolver6v33100L18getri_kernel_smallILi2E19rocblas_complex_numIfEPS3_EEvT1_iilPiilS6_bb: ; @_ZN9rocsolver6v33100L18getri_kernel_smallILi2E19rocblas_complex_numIfEPS3_EEvT1_iilPiilS6_bb
; %bb.0:
	s_mov_b32 s2, exec_lo
	v_cmpx_gt_u32_e32 2, v0
	s_cbranch_execz .LBB1_22
; %bb.1:
	s_clause 0x2
	s_load_b32 s2, s[0:1], 0x38
	s_load_b128 s[8:11], s[0:1], 0x10
	s_load_b128 s[4:7], s[0:1], 0x28
	s_getreg_b32 s13, hwreg(HW_REG_IB_STS2, 6, 4)
	s_wait_kmcnt 0x0
	s_bitcmp1_b32 s2, 8
	s_cselect_b32 s14, -1, 0
	s_bfe_u32 s3, ttmp6, 0x4000c
	s_and_b32 s12, ttmp6, 15
	s_add_co_i32 s3, s3, 1
	s_delay_alu instid0(SALU_CYCLE_1) | instskip(NEXT) | instid1(SALU_CYCLE_1)
	s_mul_i32 s3, ttmp9, s3
	s_add_co_i32 s12, s12, s3
	s_cmp_eq_u32 s13, 0
	s_cselect_b32 s12, ttmp9, s12
	s_bfe_u32 s2, s2, 0x10008
	s_ashr_i32 s13, s12, 31
	s_cmp_eq_u32 s2, 0
                                        ; implicit-def: $sgpr2_sgpr3
	s_cbranch_scc1 .LBB1_3
; %bb.2:
	s_load_b32 s2, s[0:1], 0x20
	s_mul_u64 s[4:5], s[4:5], s[12:13]
	s_delay_alu instid0(SALU_CYCLE_1) | instskip(NEXT) | instid1(SALU_CYCLE_1)
	s_lshl_b64 s[4:5], s[4:5], 2
	s_add_nc_u64 s[4:5], s[10:11], s[4:5]
	s_wait_kmcnt 0x0
	s_ashr_i32 s3, s2, 31
	s_delay_alu instid0(SALU_CYCLE_1) | instskip(NEXT) | instid1(SALU_CYCLE_1)
	s_lshl_b64 s[2:3], s[2:3], 2
	s_add_nc_u64 s[2:3], s[4:5], s[2:3]
.LBB1_3:
	s_load_b128 s[16:19], s[0:1], 0x0
	s_mul_u64 s[4:5], s[8:9], s[12:13]
	s_load_b32 s8, s[0:1], 0x38
	s_wait_xcnt 0x0
	s_lshl_b64 s[0:1], s[4:5], 3
	v_dual_mov_b32 v3, 0 :: v_dual_lshlrev_b32 v2, 3, v0
	s_wait_kmcnt 0x0
	s_ashr_i32 s5, s18, 31
	s_mov_b32 s4, s18
	s_add_nc_u64 s[0:1], s[16:17], s[0:1]
	s_lshl_b64 s[4:5], s[4:5], 3
	s_delay_alu instid0(SALU_CYCLE_1) | instskip(SKIP_4) | instid1(VALU_DEP_1)
	s_add_nc_u64 s[0:1], s[0:1], s[4:5]
	s_ashr_i32 s5, s19, 31
	v_add_nc_u64_e32 v[4:5], s[0:1], v[2:3]
	s_mov_b32 s4, s19
	s_bitcmp0_b32 s8, 0
	v_lshl_add_u64 v[6:7], s[4:5], 3, v[4:5]
	s_clause 0x1
	global_load_b64 v[8:9], v0, s[0:1] scale_offset
	global_load_b64 v[10:11], v[6:7], off
	s_wait_xcnt 0x1
	s_mov_b32 s1, -1
	s_wait_loadcnt 0x0
	scratch_store_b128 off, v[8:11], off
	s_cbranch_scc1 .LBB1_20
; %bb.4:
	v_cmp_eq_u32_e64 s0, 0, v0
	s_wait_xcnt 0x0
	s_and_saveexec_b32 s1, s0
; %bb.5:
	v_mov_b32_e32 v1, 0
	ds_store_b32 v1, v1 offset:32
; %bb.6:
	s_or_b32 exec_lo, exec_lo, s1
	s_wait_storecnt_dscnt 0x0
	s_barrier_signal -1
	s_barrier_wait -1
	scratch_load_b64 v[8:9], v0, off scale_offset
	s_wait_loadcnt 0x0
	v_cmp_eq_f32_e32 vcc_lo, 0, v8
	v_cmp_eq_f32_e64 s1, 0, v9
	s_and_b32 s1, vcc_lo, s1
	s_delay_alu instid0(SALU_CYCLE_1)
	s_and_saveexec_b32 s4, s1
	s_cbranch_execz .LBB1_10
; %bb.7:
	v_mov_b32_e32 v1, 0
	s_mov_b32 s5, 0
	ds_load_b32 v3, v1 offset:32
	s_wait_dscnt 0x0
	v_readfirstlane_b32 s1, v3
	v_add_nc_u32_e32 v3, 1, v0
	s_cmp_eq_u32 s1, 0
	s_delay_alu instid0(VALU_DEP_1) | instskip(SKIP_1) | instid1(SALU_CYCLE_1)
	v_cmp_gt_i32_e32 vcc_lo, s1, v3
	s_cselect_b32 s8, -1, 0
	s_or_b32 s8, s8, vcc_lo
	s_delay_alu instid0(SALU_CYCLE_1)
	s_and_b32 exec_lo, exec_lo, s8
	s_cbranch_execz .LBB1_10
; %bb.8:
	v_mov_b32_e32 v8, s1
.LBB1_9:                                ; =>This Inner Loop Header: Depth=1
	ds_cmpstore_rtn_b32 v8, v1, v3, v8 offset:32
	s_wait_dscnt 0x0
	v_cmp_ne_u32_e32 vcc_lo, 0, v8
	v_cmp_le_i32_e64 s1, v8, v3
	s_and_b32 s1, vcc_lo, s1
	s_delay_alu instid0(SALU_CYCLE_1) | instskip(NEXT) | instid1(SALU_CYCLE_1)
	s_and_b32 s1, exec_lo, s1
	s_or_b32 s5, s1, s5
	s_delay_alu instid0(SALU_CYCLE_1)
	s_and_not1_b32 exec_lo, exec_lo, s5
	s_cbranch_execnz .LBB1_9
.LBB1_10:
	s_or_b32 exec_lo, exec_lo, s4
	v_mov_b32_e32 v1, 0
	s_barrier_signal -1
	s_barrier_wait -1
	ds_load_b32 v3, v1 offset:32
	s_and_saveexec_b32 s1, s0
	s_cbranch_execz .LBB1_12
; %bb.11:
	s_lshl_b64 s[4:5], s[12:13], 2
	s_delay_alu instid0(SALU_CYCLE_1)
	s_add_nc_u64 s[4:5], s[6:7], s[4:5]
	s_wait_dscnt 0x0
	global_store_b32 v1, v3, s[4:5]
.LBB1_12:
	s_wait_xcnt 0x0
	s_or_b32 exec_lo, exec_lo, s1
	s_wait_dscnt 0x0
	v_cmp_ne_u32_e32 vcc_lo, 0, v3
	s_mov_b32 s1, 0
	s_cbranch_vccnz .LBB1_20
; %bb.13:
	v_lshl_add_u32 v1, v0, 3, 0
                                        ; implicit-def: $vgpr11
                                        ; implicit-def: $vgpr12
	scratch_load_b64 v[8:9], v1, off
	s_wait_loadcnt 0x0
	v_cmp_ngt_f32_e64 s1, |v8|, |v9|
	s_wait_xcnt 0x0
	s_and_saveexec_b32 s4, s1
	s_delay_alu instid0(SALU_CYCLE_1)
	s_xor_b32 s1, exec_lo, s4
	s_cbranch_execz .LBB1_15
; %bb.14:
	v_div_scale_f32 v3, null, v9, v9, v8
	v_div_scale_f32 v12, vcc_lo, v8, v9, v8
	s_delay_alu instid0(VALU_DEP_2) | instskip(SKIP_1) | instid1(TRANS32_DEP_1)
	v_rcp_f32_e32 v10, v3
	v_nop
	v_fma_f32 v11, -v3, v10, 1.0
	s_delay_alu instid0(VALU_DEP_1) | instskip(NEXT) | instid1(VALU_DEP_1)
	v_fmac_f32_e32 v10, v11, v10
	v_mul_f32_e32 v11, v12, v10
	s_delay_alu instid0(VALU_DEP_1) | instskip(NEXT) | instid1(VALU_DEP_1)
	v_fma_f32 v13, -v3, v11, v12
	v_fmac_f32_e32 v11, v13, v10
	s_delay_alu instid0(VALU_DEP_1) | instskip(NEXT) | instid1(VALU_DEP_1)
	v_fma_f32 v3, -v3, v11, v12
	v_div_fmas_f32 v3, v3, v10, v11
	s_delay_alu instid0(VALU_DEP_1) | instskip(NEXT) | instid1(VALU_DEP_1)
	v_div_fixup_f32 v3, v3, v9, v8
	v_fmac_f32_e32 v9, v8, v3
	s_delay_alu instid0(VALU_DEP_1) | instskip(NEXT) | instid1(VALU_DEP_1)
	v_div_scale_f32 v8, null, v9, v9, -1.0
	v_rcp_f32_e32 v10, v8
	v_nop
	s_delay_alu instid0(TRANS32_DEP_1) | instskip(NEXT) | instid1(VALU_DEP_1)
	v_fma_f32 v11, -v8, v10, 1.0
	v_fmac_f32_e32 v10, v11, v10
	v_div_scale_f32 v11, vcc_lo, -1.0, v9, -1.0
	s_delay_alu instid0(VALU_DEP_1) | instskip(NEXT) | instid1(VALU_DEP_1)
	v_mul_f32_e32 v12, v11, v10
	v_fma_f32 v13, -v8, v12, v11
	s_delay_alu instid0(VALU_DEP_1) | instskip(NEXT) | instid1(VALU_DEP_1)
	v_fmac_f32_e32 v12, v13, v10
	v_fma_f32 v8, -v8, v12, v11
	s_delay_alu instid0(VALU_DEP_1) | instskip(NEXT) | instid1(VALU_DEP_1)
	v_div_fmas_f32 v8, v8, v10, v12
	v_div_fixup_f32 v11, v8, v9, -1.0
                                        ; implicit-def: $vgpr8_vgpr9
	s_delay_alu instid0(VALU_DEP_1) | instskip(NEXT) | instid1(VALU_DEP_1)
	v_mul_f32_e32 v12, v3, v11
	v_xor_b32_e32 v10, 0x80000000, v12
.LBB1_15:
	s_and_not1_saveexec_b32 s1, s1
	s_cbranch_execz .LBB1_17
; %bb.16:
	v_div_scale_f32 v3, null, v8, v8, v9
	v_div_scale_f32 v12, vcc_lo, v9, v8, v9
	s_delay_alu instid0(VALU_DEP_2) | instskip(SKIP_1) | instid1(TRANS32_DEP_1)
	v_rcp_f32_e32 v10, v3
	v_nop
	v_fma_f32 v11, -v3, v10, 1.0
	s_delay_alu instid0(VALU_DEP_1) | instskip(NEXT) | instid1(VALU_DEP_1)
	v_fmac_f32_e32 v10, v11, v10
	v_mul_f32_e32 v11, v12, v10
	s_delay_alu instid0(VALU_DEP_1) | instskip(NEXT) | instid1(VALU_DEP_1)
	v_fma_f32 v13, -v3, v11, v12
	v_fmac_f32_e32 v11, v13, v10
	s_delay_alu instid0(VALU_DEP_1) | instskip(NEXT) | instid1(VALU_DEP_1)
	v_fma_f32 v3, -v3, v11, v12
	v_div_fmas_f32 v3, v3, v10, v11
	s_delay_alu instid0(VALU_DEP_1) | instskip(NEXT) | instid1(VALU_DEP_1)
	v_div_fixup_f32 v3, v3, v8, v9
	v_fmac_f32_e32 v8, v9, v3
	s_delay_alu instid0(VALU_DEP_1) | instskip(SKIP_1) | instid1(VALU_DEP_2)
	v_div_scale_f32 v9, null, v8, v8, 1.0
	v_div_scale_f32 v12, vcc_lo, 1.0, v8, 1.0
	v_rcp_f32_e32 v10, v9
	v_nop
	s_delay_alu instid0(TRANS32_DEP_1) | instskip(NEXT) | instid1(VALU_DEP_1)
	v_fma_f32 v11, -v9, v10, 1.0
	v_fmac_f32_e32 v10, v11, v10
	s_delay_alu instid0(VALU_DEP_1) | instskip(NEXT) | instid1(VALU_DEP_1)
	v_mul_f32_e32 v11, v12, v10
	v_fma_f32 v13, -v9, v11, v12
	s_delay_alu instid0(VALU_DEP_1) | instskip(NEXT) | instid1(VALU_DEP_1)
	v_fmac_f32_e32 v11, v13, v10
	v_fma_f32 v9, -v9, v11, v12
	s_delay_alu instid0(VALU_DEP_1) | instskip(NEXT) | instid1(VALU_DEP_1)
	v_div_fmas_f32 v9, v9, v10, v11
	v_div_fixup_f32 v10, v9, v8, 1.0
	s_delay_alu instid0(VALU_DEP_1)
	v_xor_b32_e32 v12, 0x80000000, v10
	v_mul_f32_e64 v11, v3, -v10
.LBB1_17:
	s_or_b32 exec_lo, exec_lo, s1
	scratch_store_b64 v1, v[10:11], off
	scratch_load_b64 v[8:9], off, off offset:8
	v_xor_b32_e32 v13, 0x80000000, v11
	s_wait_loadcnt 0x0
	ds_store_2addr_b64 v2, v[12:13], v[8:9] offset1:2
	s_wait_storecnt_dscnt 0x0
	s_barrier_signal -1
	s_barrier_wait -1
	s_wait_xcnt 0x0
	s_and_saveexec_b32 s1, s0
	s_cbranch_execz .LBB1_19
; %bb.18:
	scratch_load_b64 v[2:3], off, off
	v_mov_b32_e32 v1, 0
	ds_load_2addr_b64 v[8:11], v1 offset0:1 offset1:2
	s_wait_loadcnt_dscnt 0x0
	v_pk_mul_f32 v[12:13], v[10:11], v[2:3] op_sel:[1,1] op_sel_hi:[0,1]
	s_delay_alu instid0(VALU_DEP_1) | instskip(SKIP_1) | instid1(VALU_DEP_2)
	v_pk_fma_f32 v[14:15], v[10:11], v[2:3], v[12:13] op_sel_hi:[1,0,1]
	v_pk_fma_f32 v[2:3], v[10:11], v[2:3], v[12:13] neg_lo:[0,0,1] neg_hi:[0,0,1]
	v_mov_b32_e32 v3, v15
	s_delay_alu instid0(VALU_DEP_1) | instskip(NEXT) | instid1(VALU_DEP_1)
	v_pk_add_f32 v[2:3], v[2:3], 0 op_sel_hi:[1,0]
	v_pk_mul_f32 v[10:11], v[2:3], v[8:9] op_sel:[1,1] op_sel_hi:[0,1]
	s_delay_alu instid0(VALU_DEP_1) | instskip(SKIP_1) | instid1(VALU_DEP_2)
	v_pk_fma_f32 v[12:13], v[2:3], v[8:9], v[10:11] op_sel_hi:[1,0,1]
	v_pk_fma_f32 v[2:3], v[2:3], v[8:9], v[10:11] neg_lo:[0,0,1] neg_hi:[0,0,1]
	v_mov_b32_e32 v3, v13
	scratch_store_b64 off, v[2:3], off offset:8
.LBB1_19:
	s_wait_xcnt 0x0
	s_or_b32 exec_lo, exec_lo, s1
	s_mov_b32 s1, -1
	s_wait_storecnt 0x0
	s_barrier_signal -1
	s_barrier_wait -1
.LBB1_20:
	s_and_b32 vcc_lo, exec_lo, s1
	s_cbranch_vccz .LBB1_22
; %bb.21:
	v_mov_b32_e32 v1, 0
	s_lshl_b64 s[0:1], s[12:13], 2
	s_delay_alu instid0(SALU_CYCLE_1)
	s_add_nc_u64 s[0:1], s[6:7], s[0:1]
	global_load_b32 v1, v1, s[0:1]
	s_wait_loadcnt 0x0
	v_cmp_ne_u32_e32 vcc_lo, 0, v1
	s_cbranch_vccz .LBB1_23
.LBB1_22:
	s_endpgm
.LBB1_23:
	s_wait_xcnt 0x0
	s_mov_b32 s0, exec_lo
	v_cmpx_eq_u32_e32 1, v0
	s_cbranch_execz .LBB1_25
; %bb.24:
	scratch_load_b64 v[0:1], off, off
	v_mov_b64_e32 v[2:3], 0
	v_mov_b32_e32 v8, 0
	scratch_store_b64 off, v[2:3], off
	s_wait_loadcnt 0x0
	ds_store_b64 v8, v[0:1] offset:24
.LBB1_25:
	s_wait_xcnt 0x0
	s_or_b32 exec_lo, exec_lo, s0
	s_wait_storecnt_dscnt 0x0
	s_barrier_signal -1
	s_barrier_wait -1
	s_clause 0x1
	scratch_load_b64 v[2:3], off, off offset:8
	scratch_load_b64 v[0:1], off, off
	v_mov_b32_e32 v8, 0
	s_and_b32 vcc_lo, exec_lo, s14
	ds_load_b64 v[10:11], v8 offset:24
	s_wait_loadcnt_dscnt 0x100
	v_pk_mul_f32 v[12:13], v[10:11], v[2:3] op_sel:[1,1] op_sel_hi:[0,1]
	s_delay_alu instid0(VALU_DEP_1) | instskip(SKIP_1) | instid1(VALU_DEP_2)
	v_pk_fma_f32 v[14:15], v[10:11], v[2:3], v[12:13] op_sel_hi:[1,0,1]
	v_pk_fma_f32 v[10:11], v[10:11], v[2:3], v[12:13] neg_lo:[0,0,1] neg_hi:[0,0,1]
	v_mov_b32_e32 v11, v15
	s_delay_alu instid0(VALU_DEP_1) | instskip(SKIP_1) | instid1(VALU_DEP_1)
	v_pk_add_f32 v[10:11], v[10:11], 0 op_sel_hi:[1,0]
	s_wait_loadcnt 0x0
	v_pk_add_f32 v[0:1], v[0:1], v[10:11] neg_lo:[0,1] neg_hi:[0,1]
	scratch_store_b64 off, v[0:1], off
	s_cbranch_vccz .LBB1_28
; %bb.26:
	global_load_b32 v8, v8, s[2:3]
	s_wait_loadcnt 0x0
	v_cmp_ne_u32_e32 vcc_lo, 1, v8
	s_cbranch_vccz .LBB1_28
; %bb.27:
	v_lshlrev_b32_e32 v2, 3, v8
	s_wait_xcnt 0x0
	s_delay_alu instid0(VALU_DEP_1)
	v_mov_b32_e32 v8, v2
	scratch_load_b64 v[2:3], v8, off offset:-8
	s_wait_loadcnt 0x0
	scratch_store_b64 off, v[2:3], off
	scratch_store_b64 v8, v[0:1], off offset:-8
	scratch_load_b128 v[0:3], off, off
.LBB1_28:
	s_wait_loadcnt 0x0
	s_clause 0x1
	global_store_b64 v[4:5], v[0:1], off
	global_store_b64 v[6:7], v[2:3], off
	s_endpgm
	.section	.rodata,"a",@progbits
	.p2align	6, 0x0
	.amdhsa_kernel _ZN9rocsolver6v33100L18getri_kernel_smallILi2E19rocblas_complex_numIfEPS3_EEvT1_iilPiilS6_bb
		.amdhsa_group_segment_fixed_size 36
		.amdhsa_private_segment_fixed_size 32
		.amdhsa_kernarg_size 60
		.amdhsa_user_sgpr_count 2
		.amdhsa_user_sgpr_dispatch_ptr 0
		.amdhsa_user_sgpr_queue_ptr 0
		.amdhsa_user_sgpr_kernarg_segment_ptr 1
		.amdhsa_user_sgpr_dispatch_id 0
		.amdhsa_user_sgpr_kernarg_preload_length 0
		.amdhsa_user_sgpr_kernarg_preload_offset 0
		.amdhsa_user_sgpr_private_segment_size 0
		.amdhsa_wavefront_size32 1
		.amdhsa_uses_dynamic_stack 0
		.amdhsa_enable_private_segment 1
		.amdhsa_system_sgpr_workgroup_id_x 1
		.amdhsa_system_sgpr_workgroup_id_y 0
		.amdhsa_system_sgpr_workgroup_id_z 0
		.amdhsa_system_sgpr_workgroup_info 0
		.amdhsa_system_vgpr_workitem_id 0
		.amdhsa_next_free_vgpr 16
		.amdhsa_next_free_sgpr 20
		.amdhsa_named_barrier_count 0
		.amdhsa_reserve_vcc 1
		.amdhsa_float_round_mode_32 0
		.amdhsa_float_round_mode_16_64 0
		.amdhsa_float_denorm_mode_32 3
		.amdhsa_float_denorm_mode_16_64 3
		.amdhsa_fp16_overflow 0
		.amdhsa_memory_ordered 1
		.amdhsa_forward_progress 1
		.amdhsa_inst_pref_size 14
		.amdhsa_round_robin_scheduling 0
		.amdhsa_exception_fp_ieee_invalid_op 0
		.amdhsa_exception_fp_denorm_src 0
		.amdhsa_exception_fp_ieee_div_zero 0
		.amdhsa_exception_fp_ieee_overflow 0
		.amdhsa_exception_fp_ieee_underflow 0
		.amdhsa_exception_fp_ieee_inexact 0
		.amdhsa_exception_int_div_zero 0
	.end_amdhsa_kernel
	.section	.text._ZN9rocsolver6v33100L18getri_kernel_smallILi2E19rocblas_complex_numIfEPS3_EEvT1_iilPiilS6_bb,"axG",@progbits,_ZN9rocsolver6v33100L18getri_kernel_smallILi2E19rocblas_complex_numIfEPS3_EEvT1_iilPiilS6_bb,comdat
.Lfunc_end1:
	.size	_ZN9rocsolver6v33100L18getri_kernel_smallILi2E19rocblas_complex_numIfEPS3_EEvT1_iilPiilS6_bb, .Lfunc_end1-_ZN9rocsolver6v33100L18getri_kernel_smallILi2E19rocblas_complex_numIfEPS3_EEvT1_iilPiilS6_bb
                                        ; -- End function
	.set _ZN9rocsolver6v33100L18getri_kernel_smallILi2E19rocblas_complex_numIfEPS3_EEvT1_iilPiilS6_bb.num_vgpr, 16
	.set _ZN9rocsolver6v33100L18getri_kernel_smallILi2E19rocblas_complex_numIfEPS3_EEvT1_iilPiilS6_bb.num_agpr, 0
	.set _ZN9rocsolver6v33100L18getri_kernel_smallILi2E19rocblas_complex_numIfEPS3_EEvT1_iilPiilS6_bb.numbered_sgpr, 20
	.set _ZN9rocsolver6v33100L18getri_kernel_smallILi2E19rocblas_complex_numIfEPS3_EEvT1_iilPiilS6_bb.num_named_barrier, 0
	.set _ZN9rocsolver6v33100L18getri_kernel_smallILi2E19rocblas_complex_numIfEPS3_EEvT1_iilPiilS6_bb.private_seg_size, 32
	.set _ZN9rocsolver6v33100L18getri_kernel_smallILi2E19rocblas_complex_numIfEPS3_EEvT1_iilPiilS6_bb.uses_vcc, 1
	.set _ZN9rocsolver6v33100L18getri_kernel_smallILi2E19rocblas_complex_numIfEPS3_EEvT1_iilPiilS6_bb.uses_flat_scratch, 1
	.set _ZN9rocsolver6v33100L18getri_kernel_smallILi2E19rocblas_complex_numIfEPS3_EEvT1_iilPiilS6_bb.has_dyn_sized_stack, 0
	.set _ZN9rocsolver6v33100L18getri_kernel_smallILi2E19rocblas_complex_numIfEPS3_EEvT1_iilPiilS6_bb.has_recursion, 0
	.set _ZN9rocsolver6v33100L18getri_kernel_smallILi2E19rocblas_complex_numIfEPS3_EEvT1_iilPiilS6_bb.has_indirect_call, 0
	.section	.AMDGPU.csdata,"",@progbits
; Kernel info:
; codeLenInByte = 1668
; TotalNumSgprs: 22
; NumVgprs: 16
; ScratchSize: 32
; MemoryBound: 0
; FloatMode: 240
; IeeeMode: 1
; LDSByteSize: 36 bytes/workgroup (compile time only)
; SGPRBlocks: 0
; VGPRBlocks: 0
; NumSGPRsForWavesPerEU: 22
; NumVGPRsForWavesPerEU: 16
; NamedBarCnt: 0
; Occupancy: 16
; WaveLimiterHint : 0
; COMPUTE_PGM_RSRC2:SCRATCH_EN: 1
; COMPUTE_PGM_RSRC2:USER_SGPR: 2
; COMPUTE_PGM_RSRC2:TRAP_HANDLER: 0
; COMPUTE_PGM_RSRC2:TGID_X_EN: 1
; COMPUTE_PGM_RSRC2:TGID_Y_EN: 0
; COMPUTE_PGM_RSRC2:TGID_Z_EN: 0
; COMPUTE_PGM_RSRC2:TIDIG_COMP_CNT: 0
	.section	.text._ZN9rocsolver6v33100L18getri_kernel_smallILi3E19rocblas_complex_numIfEPS3_EEvT1_iilPiilS6_bb,"axG",@progbits,_ZN9rocsolver6v33100L18getri_kernel_smallILi3E19rocblas_complex_numIfEPS3_EEvT1_iilPiilS6_bb,comdat
	.globl	_ZN9rocsolver6v33100L18getri_kernel_smallILi3E19rocblas_complex_numIfEPS3_EEvT1_iilPiilS6_bb ; -- Begin function _ZN9rocsolver6v33100L18getri_kernel_smallILi3E19rocblas_complex_numIfEPS3_EEvT1_iilPiilS6_bb
	.p2align	8
	.type	_ZN9rocsolver6v33100L18getri_kernel_smallILi3E19rocblas_complex_numIfEPS3_EEvT1_iilPiilS6_bb,@function
_ZN9rocsolver6v33100L18getri_kernel_smallILi3E19rocblas_complex_numIfEPS3_EEvT1_iilPiilS6_bb: ; @_ZN9rocsolver6v33100L18getri_kernel_smallILi3E19rocblas_complex_numIfEPS3_EEvT1_iilPiilS6_bb
; %bb.0:
	s_mov_b32 s2, exec_lo
	v_cmpx_gt_u32_e32 3, v0
	s_cbranch_execz .LBB2_26
; %bb.1:
	s_clause 0x2
	s_load_b32 s2, s[0:1], 0x38
	s_load_b128 s[8:11], s[0:1], 0x10
	s_load_b128 s[4:7], s[0:1], 0x28
	s_getreg_b32 s13, hwreg(HW_REG_IB_STS2, 6, 4)
	s_wait_kmcnt 0x0
	s_bitcmp1_b32 s2, 8
	s_cselect_b32 s14, -1, 0
	s_bfe_u32 s3, ttmp6, 0x4000c
	s_and_b32 s12, ttmp6, 15
	s_add_co_i32 s3, s3, 1
	s_delay_alu instid0(SALU_CYCLE_1) | instskip(NEXT) | instid1(SALU_CYCLE_1)
	s_mul_i32 s3, ttmp9, s3
	s_add_co_i32 s12, s12, s3
	s_cmp_eq_u32 s13, 0
	s_cselect_b32 s12, ttmp9, s12
	s_bfe_u32 s2, s2, 0x10008
	s_ashr_i32 s13, s12, 31
	s_cmp_eq_u32 s2, 0
                                        ; implicit-def: $sgpr2_sgpr3
	s_cbranch_scc1 .LBB2_3
; %bb.2:
	s_load_b32 s2, s[0:1], 0x20
	s_mul_u64 s[4:5], s[4:5], s[12:13]
	s_delay_alu instid0(SALU_CYCLE_1) | instskip(NEXT) | instid1(SALU_CYCLE_1)
	s_lshl_b64 s[4:5], s[4:5], 2
	s_add_nc_u64 s[4:5], s[10:11], s[4:5]
	s_wait_kmcnt 0x0
	s_ashr_i32 s3, s2, 31
	s_delay_alu instid0(SALU_CYCLE_1) | instskip(NEXT) | instid1(SALU_CYCLE_1)
	s_lshl_b64 s[2:3], s[2:3], 2
	s_add_nc_u64 s[2:3], s[4:5], s[2:3]
.LBB2_3:
	s_clause 0x1
	s_load_b128 s[16:19], s[0:1], 0x0
	s_load_b32 s10, s[0:1], 0x38
	s_wait_xcnt 0x0
	s_mul_u64 s[0:1], s[8:9], s[12:13]
	v_dual_mov_b32 v3, 0 :: v_dual_lshlrev_b32 v2, 3, v0
	s_lshl_b64 s[0:1], s[0:1], 3
	s_wait_kmcnt 0x0
	s_ashr_i32 s5, s18, 31
	s_mov_b32 s4, s18
	s_add_nc_u64 s[0:1], s[16:17], s[0:1]
	s_lshl_b64 s[4:5], s[4:5], 3
	v_add3_u32 v8, s19, s19, v0
	s_add_nc_u64 s[4:5], s[0:1], s[4:5]
	s_ashr_i32 s1, s19, 31
	v_add_nc_u64_e32 v[4:5], s[4:5], v[2:3]
	s_mov_b32 s0, s19
	s_bitcmp0_b32 s10, 0
	s_delay_alu instid0(VALU_DEP_1)
	v_lshl_add_u64 v[6:7], s[0:1], 3, v[4:5]
	s_mov_b32 s1, -1
	s_clause 0x2
	global_load_b64 v[10:11], v0, s[4:5] scale_offset
	global_load_b64 v[12:13], v[6:7], off
	global_load_b64 v[14:15], v8, s[4:5] scale_offset
	s_wait_loadcnt 0x1
	scratch_store_b128 off, v[10:13], off
	s_wait_loadcnt 0x0
	scratch_store_b64 off, v[14:15], off offset:16
	s_cbranch_scc1 .LBB2_24
; %bb.4:
	v_cmp_eq_u32_e64 s0, 0, v0
	s_wait_xcnt 0x0
	s_and_saveexec_b32 s1, s0
; %bb.5:
	v_mov_b32_e32 v1, 0
	ds_store_b32 v1, v1 offset:24
; %bb.6:
	s_or_b32 exec_lo, exec_lo, s1
	s_wait_storecnt_dscnt 0x0
	s_barrier_signal -1
	s_barrier_wait -1
	scratch_load_b64 v[10:11], v0, off scale_offset
	s_wait_loadcnt 0x0
	v_cmp_eq_f32_e32 vcc_lo, 0, v10
	v_cmp_eq_f32_e64 s1, 0, v11
	s_and_b32 s1, vcc_lo, s1
	s_delay_alu instid0(SALU_CYCLE_1)
	s_and_saveexec_b32 s8, s1
	s_cbranch_execz .LBB2_10
; %bb.7:
	v_mov_b32_e32 v1, 0
	s_mov_b32 s9, 0
	ds_load_b32 v3, v1 offset:24
	s_wait_dscnt 0x0
	v_readfirstlane_b32 s1, v3
	v_add_nc_u32_e32 v3, 1, v0
	s_cmp_eq_u32 s1, 0
	s_delay_alu instid0(VALU_DEP_1) | instskip(SKIP_1) | instid1(SALU_CYCLE_1)
	v_cmp_gt_i32_e32 vcc_lo, s1, v3
	s_cselect_b32 s10, -1, 0
	s_or_b32 s10, s10, vcc_lo
	s_delay_alu instid0(SALU_CYCLE_1)
	s_and_b32 exec_lo, exec_lo, s10
	s_cbranch_execz .LBB2_10
; %bb.8:
	v_mov_b32_e32 v9, s1
.LBB2_9:                                ; =>This Inner Loop Header: Depth=1
	ds_cmpstore_rtn_b32 v9, v1, v3, v9 offset:24
	s_wait_dscnt 0x0
	v_cmp_ne_u32_e32 vcc_lo, 0, v9
	v_cmp_le_i32_e64 s1, v9, v3
	s_and_b32 s1, vcc_lo, s1
	s_delay_alu instid0(SALU_CYCLE_1) | instskip(NEXT) | instid1(SALU_CYCLE_1)
	s_and_b32 s1, exec_lo, s1
	s_or_b32 s9, s1, s9
	s_delay_alu instid0(SALU_CYCLE_1)
	s_and_not1_b32 exec_lo, exec_lo, s9
	s_cbranch_execnz .LBB2_9
.LBB2_10:
	s_or_b32 exec_lo, exec_lo, s8
	v_mov_b32_e32 v1, 0
	s_barrier_signal -1
	s_barrier_wait -1
	ds_load_b32 v3, v1 offset:24
	s_and_saveexec_b32 s1, s0
	s_cbranch_execz .LBB2_12
; %bb.11:
	s_lshl_b64 s[8:9], s[12:13], 2
	s_delay_alu instid0(SALU_CYCLE_1)
	s_add_nc_u64 s[8:9], s[6:7], s[8:9]
	s_wait_dscnt 0x0
	global_store_b32 v1, v3, s[8:9]
.LBB2_12:
	s_wait_xcnt 0x0
	s_or_b32 exec_lo, exec_lo, s1
	s_wait_dscnt 0x0
	v_cmp_ne_u32_e32 vcc_lo, 0, v3
	s_mov_b32 s1, 0
	s_cbranch_vccnz .LBB2_24
; %bb.13:
	v_lshl_add_u32 v1, v0, 3, 0
                                        ; implicit-def: $vgpr13
                                        ; implicit-def: $vgpr14
	scratch_load_b64 v[10:11], v1, off
	s_wait_loadcnt 0x0
	v_cmp_ngt_f32_e64 s1, |v10|, |v11|
	s_wait_xcnt 0x0
	s_and_saveexec_b32 s8, s1
	s_delay_alu instid0(SALU_CYCLE_1)
	s_xor_b32 s1, exec_lo, s8
	s_cbranch_execz .LBB2_15
; %bb.14:
	v_div_scale_f32 v3, null, v11, v11, v10
	v_div_scale_f32 v13, vcc_lo, v10, v11, v10
	s_delay_alu instid0(VALU_DEP_2) | instskip(SKIP_1) | instid1(TRANS32_DEP_1)
	v_rcp_f32_e32 v9, v3
	v_nop
	v_fma_f32 v12, -v3, v9, 1.0
	s_delay_alu instid0(VALU_DEP_1) | instskip(NEXT) | instid1(VALU_DEP_1)
	v_fmac_f32_e32 v9, v12, v9
	v_mul_f32_e32 v12, v13, v9
	s_delay_alu instid0(VALU_DEP_1) | instskip(NEXT) | instid1(VALU_DEP_1)
	v_fma_f32 v14, -v3, v12, v13
	v_fmac_f32_e32 v12, v14, v9
	s_delay_alu instid0(VALU_DEP_1) | instskip(NEXT) | instid1(VALU_DEP_1)
	v_fma_f32 v3, -v3, v12, v13
	v_div_fmas_f32 v3, v3, v9, v12
	s_delay_alu instid0(VALU_DEP_1) | instskip(NEXT) | instid1(VALU_DEP_1)
	v_div_fixup_f32 v3, v3, v11, v10
	v_fmac_f32_e32 v11, v10, v3
	s_delay_alu instid0(VALU_DEP_1) | instskip(NEXT) | instid1(VALU_DEP_1)
	v_div_scale_f32 v9, null, v11, v11, -1.0
	v_rcp_f32_e32 v10, v9
	v_nop
	s_delay_alu instid0(TRANS32_DEP_1) | instskip(NEXT) | instid1(VALU_DEP_1)
	v_fma_f32 v12, -v9, v10, 1.0
	v_fmac_f32_e32 v10, v12, v10
	v_div_scale_f32 v12, vcc_lo, -1.0, v11, -1.0
	s_delay_alu instid0(VALU_DEP_1) | instskip(NEXT) | instid1(VALU_DEP_1)
	v_mul_f32_e32 v13, v12, v10
	v_fma_f32 v14, -v9, v13, v12
	s_delay_alu instid0(VALU_DEP_1) | instskip(NEXT) | instid1(VALU_DEP_1)
	v_fmac_f32_e32 v13, v14, v10
	v_fma_f32 v9, -v9, v13, v12
	s_delay_alu instid0(VALU_DEP_1) | instskip(NEXT) | instid1(VALU_DEP_1)
	v_div_fmas_f32 v9, v9, v10, v13
	v_div_fixup_f32 v13, v9, v11, -1.0
                                        ; implicit-def: $vgpr10_vgpr11
	s_delay_alu instid0(VALU_DEP_1) | instskip(NEXT) | instid1(VALU_DEP_1)
	v_mul_f32_e32 v14, v3, v13
	v_xor_b32_e32 v12, 0x80000000, v14
.LBB2_15:
	s_and_not1_saveexec_b32 s1, s1
	s_cbranch_execz .LBB2_17
; %bb.16:
	v_div_scale_f32 v3, null, v10, v10, v11
	v_div_scale_f32 v13, vcc_lo, v11, v10, v11
	s_delay_alu instid0(VALU_DEP_2) | instskip(SKIP_1) | instid1(TRANS32_DEP_1)
	v_rcp_f32_e32 v9, v3
	v_nop
	v_fma_f32 v12, -v3, v9, 1.0
	s_delay_alu instid0(VALU_DEP_1) | instskip(NEXT) | instid1(VALU_DEP_1)
	v_fmac_f32_e32 v9, v12, v9
	v_mul_f32_e32 v12, v13, v9
	s_delay_alu instid0(VALU_DEP_1) | instskip(NEXT) | instid1(VALU_DEP_1)
	v_fma_f32 v14, -v3, v12, v13
	v_fmac_f32_e32 v12, v14, v9
	s_delay_alu instid0(VALU_DEP_1) | instskip(NEXT) | instid1(VALU_DEP_1)
	v_fma_f32 v3, -v3, v12, v13
	v_div_fmas_f32 v3, v3, v9, v12
	s_delay_alu instid0(VALU_DEP_1) | instskip(NEXT) | instid1(VALU_DEP_1)
	v_div_fixup_f32 v3, v3, v10, v11
	v_fmac_f32_e32 v10, v11, v3
	s_delay_alu instid0(VALU_DEP_1) | instskip(SKIP_1) | instid1(VALU_DEP_2)
	v_div_scale_f32 v9, null, v10, v10, 1.0
	v_div_scale_f32 v13, vcc_lo, 1.0, v10, 1.0
	v_rcp_f32_e32 v11, v9
	v_nop
	s_delay_alu instid0(TRANS32_DEP_1) | instskip(NEXT) | instid1(VALU_DEP_1)
	v_fma_f32 v12, -v9, v11, 1.0
	v_fmac_f32_e32 v11, v12, v11
	s_delay_alu instid0(VALU_DEP_1) | instskip(NEXT) | instid1(VALU_DEP_1)
	v_mul_f32_e32 v12, v13, v11
	v_fma_f32 v14, -v9, v12, v13
	s_delay_alu instid0(VALU_DEP_1) | instskip(NEXT) | instid1(VALU_DEP_1)
	v_fmac_f32_e32 v12, v14, v11
	v_fma_f32 v9, -v9, v12, v13
	s_delay_alu instid0(VALU_DEP_1) | instskip(NEXT) | instid1(VALU_DEP_1)
	v_div_fmas_f32 v9, v9, v11, v12
	v_div_fixup_f32 v12, v9, v10, 1.0
	s_delay_alu instid0(VALU_DEP_1)
	v_xor_b32_e32 v14, 0x80000000, v12
	v_mul_f32_e64 v13, v3, -v12
.LBB2_17:
	s_or_b32 exec_lo, exec_lo, s1
	scratch_store_b64 v1, v[12:13], off
	scratch_load_b64 v[10:11], off, off offset:8
	v_xor_b32_e32 v15, 0x80000000, v13
	v_add_nc_u32_e32 v3, 32, v2
	s_wait_loadcnt 0x0
	ds_store_2addr_b64 v2, v[14:15], v[10:11] offset1:4
	s_wait_storecnt_dscnt 0x0
	s_barrier_signal -1
	s_barrier_wait -1
	s_wait_xcnt 0x0
	s_and_saveexec_b32 s1, s0
	s_cbranch_execz .LBB2_19
; %bb.18:
	scratch_load_b64 v[10:11], v1, off
	ds_load_b64 v[12:13], v3
	v_mov_b32_e32 v2, 0
	ds_load_b64 v[14:15], v2 offset:8
	s_wait_loadcnt_dscnt 0x1
	v_pk_mul_f32 v[16:17], v[12:13], v[10:11] op_sel:[1,1] op_sel_hi:[0,1]
	s_delay_alu instid0(VALU_DEP_1) | instskip(SKIP_1) | instid1(VALU_DEP_2)
	v_pk_fma_f32 v[18:19], v[12:13], v[10:11], v[16:17] op_sel_hi:[1,0,1]
	v_pk_fma_f32 v[10:11], v[12:13], v[10:11], v[16:17] neg_lo:[0,0,1] neg_hi:[0,0,1]
	v_mov_b32_e32 v11, v19
	s_delay_alu instid0(VALU_DEP_1) | instskip(SKIP_1) | instid1(VALU_DEP_1)
	v_pk_add_f32 v[10:11], v[10:11], 0 op_sel_hi:[1,0]
	s_wait_dscnt 0x0
	v_pk_mul_f32 v[12:13], v[10:11], v[14:15] op_sel:[1,1] op_sel_hi:[0,1]
	s_delay_alu instid0(VALU_DEP_1) | instskip(SKIP_1) | instid1(VALU_DEP_2)
	v_pk_fma_f32 v[16:17], v[10:11], v[14:15], v[12:13] op_sel_hi:[1,0,1]
	v_pk_fma_f32 v[10:11], v[10:11], v[14:15], v[12:13] neg_lo:[0,0,1] neg_hi:[0,0,1]
	v_mov_b32_e32 v11, v17
	scratch_store_b64 off, v[10:11], off offset:8
.LBB2_19:
	s_wait_xcnt 0x0
	s_or_b32 exec_lo, exec_lo, s1
	s_wait_storecnt 0x0
	s_barrier_signal -1
	s_barrier_wait -1
	scratch_load_b64 v[10:11], off, off offset:16
	s_mov_b32 s1, exec_lo
	s_wait_loadcnt 0x0
	ds_store_b64 v3, v[10:11]
	s_wait_dscnt 0x0
	s_barrier_signal -1
	s_barrier_wait -1
	v_cmpx_ne_u32_e32 2, v0
	s_cbranch_execz .LBB2_23
; %bb.20:
	scratch_load_b64 v[10:11], v1, off
	ds_load_b64 v[2:3], v3
	s_wait_loadcnt_dscnt 0x0
	v_pk_mul_f32 v[12:13], v[2:3], v[10:11] op_sel:[1,1] op_sel_hi:[0,1]
	s_delay_alu instid0(VALU_DEP_1) | instskip(SKIP_1) | instid1(VALU_DEP_2)
	v_pk_fma_f32 v[14:15], v[2:3], v[10:11], v[12:13] op_sel_hi:[1,0,1]
	v_pk_fma_f32 v[2:3], v[2:3], v[10:11], v[12:13] neg_lo:[0,0,1] neg_hi:[0,0,1]
	v_mov_b32_e32 v3, v15
	s_delay_alu instid0(VALU_DEP_1)
	v_pk_add_f32 v[2:3], v[2:3], 0 op_sel_hi:[1,0]
	s_and_saveexec_b32 s8, s0
	s_cbranch_execz .LBB2_22
; %bb.21:
	scratch_load_b64 v[10:11], off, off offset:8
	v_mov_b32_e32 v1, 0
	ds_load_b64 v[12:13], v1 offset:40
	s_wait_loadcnt_dscnt 0x0
	v_pk_mul_f32 v[14:15], v[12:13], v[10:11] op_sel:[1,1] op_sel_hi:[0,1]
	s_delay_alu instid0(VALU_DEP_1) | instskip(SKIP_1) | instid1(VALU_DEP_2)
	v_pk_fma_f32 v[16:17], v[12:13], v[10:11], v[14:15] op_sel_hi:[1,0,1]
	v_pk_fma_f32 v[10:11], v[12:13], v[10:11], v[14:15] neg_lo:[0,0,1] neg_hi:[0,0,1]
	v_mov_b32_e32 v11, v17
	s_delay_alu instid0(VALU_DEP_1)
	v_pk_add_f32 v[2:3], v[2:3], v[10:11]
.LBB2_22:
	s_or_b32 exec_lo, exec_lo, s8
	v_mov_b32_e32 v1, 0
	ds_load_b64 v[10:11], v1 offset:16
	s_wait_dscnt 0x0
	v_pk_mul_f32 v[12:13], v[2:3], v[10:11] op_sel:[1,1] op_sel_hi:[0,1]
	s_delay_alu instid0(VALU_DEP_1) | instskip(SKIP_1) | instid1(VALU_DEP_2)
	v_pk_fma_f32 v[14:15], v[2:3], v[10:11], v[12:13] op_sel_hi:[1,0,1]
	v_pk_fma_f32 v[2:3], v[2:3], v[10:11], v[12:13] neg_lo:[0,0,1] neg_hi:[0,0,1]
	v_mov_b32_e32 v3, v15
	scratch_store_b64 off, v[2:3], off offset:16
.LBB2_23:
	s_wait_xcnt 0x0
	s_or_b32 exec_lo, exec_lo, s1
	s_mov_b32 s1, -1
	s_wait_storecnt 0x0
	s_barrier_signal -1
	s_barrier_wait -1
.LBB2_24:
	s_and_b32 vcc_lo, exec_lo, s1
	s_cbranch_vccz .LBB2_26
; %bb.25:
	v_mov_b32_e32 v1, 0
	s_lshl_b64 s[0:1], s[12:13], 2
	s_delay_alu instid0(SALU_CYCLE_1)
	s_add_nc_u64 s[0:1], s[6:7], s[0:1]
	global_load_b32 v1, v1, s[0:1]
	s_wait_loadcnt 0x0
	v_cmp_ne_u32_e32 vcc_lo, 0, v1
	s_cbranch_vccz .LBB2_27
.LBB2_26:
	s_endpgm
.LBB2_27:
	s_wait_xcnt 0x0
	v_lshl_add_u32 v1, v0, 3, 32
	s_mov_b32 s0, exec_lo
	v_cmpx_eq_u32_e32 2, v0
	s_cbranch_execz .LBB2_29
; %bb.28:
	scratch_load_b64 v[2:3], off, off offset:8
	v_mov_b64_e32 v[10:11], 0
	scratch_store_b64 off, v[10:11], off offset:8
	s_wait_loadcnt 0x0
	ds_store_b64 v1, v[2:3]
.LBB2_29:
	s_wait_xcnt 0x0
	s_or_b32 exec_lo, exec_lo, s0
	s_wait_storecnt_dscnt 0x0
	s_barrier_signal -1
	s_barrier_wait -1
	s_clause 0x1
	scratch_load_b64 v[2:3], off, off offset:16
	scratch_load_b64 v[12:13], off, off offset:8
	v_dual_mov_b32 v10, 0 :: v_dual_ashrrev_i32 v9, 31, v8
	s_mov_b32 s0, exec_lo
	ds_load_b64 v[14:15], v10 offset:48
	s_wait_loadcnt_dscnt 0x100
	v_pk_mul_f32 v[16:17], v[14:15], v[2:3] op_sel:[1,1] op_sel_hi:[0,1]
	s_delay_alu instid0(VALU_DEP_1) | instskip(SKIP_1) | instid1(VALU_DEP_2)
	v_pk_fma_f32 v[18:19], v[14:15], v[2:3], v[16:17] op_sel_hi:[1,0,1]
	v_pk_fma_f32 v[2:3], v[14:15], v[2:3], v[16:17] neg_lo:[0,0,1] neg_hi:[0,0,1]
	v_mov_b32_e32 v3, v19
	s_delay_alu instid0(VALU_DEP_1) | instskip(SKIP_1) | instid1(VALU_DEP_1)
	v_pk_add_f32 v[2:3], v[2:3], 0 op_sel_hi:[1,0]
	s_wait_loadcnt 0x0
	v_pk_add_f32 v[2:3], v[12:13], v[2:3] neg_lo:[0,1] neg_hi:[0,1]
	scratch_store_b64 off, v[2:3], off offset:8
	s_wait_xcnt 0x0
	v_cmpx_ne_u32_e32 0, v0
	s_cbranch_execz .LBB2_31
; %bb.30:
	scratch_load_b64 v[2:3], off, off
	v_mov_b64_e32 v[12:13], 0
	scratch_store_b64 off, v[12:13], off
	s_wait_loadcnt 0x0
	ds_store_b64 v1, v[2:3]
.LBB2_31:
	s_wait_xcnt 0x0
	s_or_b32 exec_lo, exec_lo, s0
	s_wait_storecnt_dscnt 0x0
	s_barrier_signal -1
	s_barrier_wait -1
	s_clause 0x1
	scratch_load_b128 v[0:3], off, off offset:8
	scratch_load_b64 v[14:15], off, off
	ds_load_2addr_b64 v[10:13], v10 offset0:5 offset1:6
	s_and_b32 vcc_lo, exec_lo, s14
	s_wait_dscnt 0x0
	v_dual_mov_b32 v16, v13 :: v_dual_mov_b32 v17, v12
	s_wait_loadcnt 0x1
	v_pk_mul_f32 v[18:19], v[10:11], v[0:1] op_sel:[1,1] op_sel_hi:[0,1]
	s_delay_alu instid0(VALU_DEP_1) | instskip(SKIP_2) | instid1(VALU_DEP_3)
	v_pk_fma_f32 v[22:23], v[10:11], v[0:1], v[18:19] op_sel_hi:[1,0,1]
	v_mov_b32_e32 v20, v3
	v_pk_fma_f32 v[10:11], v[10:11], v[0:1], v[18:19] neg_lo:[0,0,1] neg_hi:[0,0,1]
	v_mov_b32_e32 v11, v23
	s_delay_alu instid0(VALU_DEP_3) | instskip(NEXT) | instid1(VALU_DEP_2)
	v_pk_mul_f32 v[16:17], v[16:17], v[20:21] op_sel_hi:[1,0]
	v_pk_add_f32 v[10:11], v[10:11], 0 op_sel_hi:[1,0]
	s_delay_alu instid0(VALU_DEP_2) | instskip(SKIP_1) | instid1(VALU_DEP_2)
	v_pk_fma_f32 v[18:19], v[12:13], v[2:3], v[16:17] op_sel_hi:[1,0,1]
	v_pk_fma_f32 v[2:3], v[12:13], v[2:3], v[16:17] neg_lo:[0,0,1] neg_hi:[0,0,1]
	v_mov_b32_e32 v3, v19
	s_delay_alu instid0(VALU_DEP_1) | instskip(SKIP_1) | instid1(VALU_DEP_1)
	v_pk_add_f32 v[2:3], v[10:11], v[2:3]
	s_wait_loadcnt 0x0
	v_pk_add_f32 v[2:3], v[14:15], v[2:3] neg_lo:[0,1] neg_hi:[0,1]
	scratch_store_b64 off, v[2:3], off
	s_cbranch_vccz .LBB2_36
; %bb.32:
	v_mov_b32_e32 v10, 0
	global_load_b32 v11, v10, s[2:3] offset:4
	s_wait_loadcnt 0x0
	v_cmp_ne_u32_e32 vcc_lo, 2, v11
	s_cbranch_vccz .LBB2_34
; %bb.33:
	s_wait_xcnt 0x1
	v_lshlrev_b32_e32 v2, 3, v11
	s_delay_alu instid0(VALU_DEP_1)
	v_mov_b32_e32 v11, v2
	scratch_load_b64 v[2:3], v11, off offset:-8
	s_wait_loadcnt 0x0
	scratch_store_b64 off, v[2:3], off offset:8
	scratch_store_b64 v11, v[0:1], off offset:-8
	scratch_load_b64 v[2:3], off, off
.LBB2_34:
	global_load_b32 v0, v10, s[2:3]
	s_wait_loadcnt 0x0
	v_cmp_eq_u32_e32 vcc_lo, 1, v0
	s_cbranch_vccnz .LBB2_36
; %bb.35:
	v_lshlrev_b32_e32 v0, 3, v0
	s_wait_xcnt 0x0
	s_delay_alu instid0(VALU_DEP_1)
	v_mov_b32_e32 v10, v0
	scratch_load_b64 v[0:1], v10, off offset:-8
	s_wait_loadcnt 0x0
	scratch_store_b64 off, v[0:1], off
	scratch_store_b64 v10, v[2:3], off offset:-8
	scratch_load_b64 v[2:3], off, off
.LBB2_36:
	v_lshl_add_u64 v[0:1], v[8:9], 3, s[4:5]
	scratch_load_b128 v[8:11], off, off offset:8
	s_wait_loadcnt 0x1
	global_store_b64 v[4:5], v[2:3], off
	s_wait_loadcnt 0x0
	s_clause 0x1
	global_store_b64 v[6:7], v[8:9], off
	global_store_b64 v[0:1], v[10:11], off
	s_endpgm
	.section	.rodata,"a",@progbits
	.p2align	6, 0x0
	.amdhsa_kernel _ZN9rocsolver6v33100L18getri_kernel_smallILi3E19rocblas_complex_numIfEPS3_EEvT1_iilPiilS6_bb
		.amdhsa_group_segment_fixed_size 56
		.amdhsa_private_segment_fixed_size 32
		.amdhsa_kernarg_size 60
		.amdhsa_user_sgpr_count 2
		.amdhsa_user_sgpr_dispatch_ptr 0
		.amdhsa_user_sgpr_queue_ptr 0
		.amdhsa_user_sgpr_kernarg_segment_ptr 1
		.amdhsa_user_sgpr_dispatch_id 0
		.amdhsa_user_sgpr_kernarg_preload_length 0
		.amdhsa_user_sgpr_kernarg_preload_offset 0
		.amdhsa_user_sgpr_private_segment_size 0
		.amdhsa_wavefront_size32 1
		.amdhsa_uses_dynamic_stack 0
		.amdhsa_enable_private_segment 1
		.amdhsa_system_sgpr_workgroup_id_x 1
		.amdhsa_system_sgpr_workgroup_id_y 0
		.amdhsa_system_sgpr_workgroup_id_z 0
		.amdhsa_system_sgpr_workgroup_info 0
		.amdhsa_system_vgpr_workitem_id 0
		.amdhsa_next_free_vgpr 24
		.amdhsa_next_free_sgpr 20
		.amdhsa_named_barrier_count 0
		.amdhsa_reserve_vcc 1
		.amdhsa_float_round_mode_32 0
		.amdhsa_float_round_mode_16_64 0
		.amdhsa_float_denorm_mode_32 3
		.amdhsa_float_denorm_mode_16_64 3
		.amdhsa_fp16_overflow 0
		.amdhsa_memory_ordered 1
		.amdhsa_forward_progress 1
		.amdhsa_inst_pref_size 19
		.amdhsa_round_robin_scheduling 0
		.amdhsa_exception_fp_ieee_invalid_op 0
		.amdhsa_exception_fp_denorm_src 0
		.amdhsa_exception_fp_ieee_div_zero 0
		.amdhsa_exception_fp_ieee_overflow 0
		.amdhsa_exception_fp_ieee_underflow 0
		.amdhsa_exception_fp_ieee_inexact 0
		.amdhsa_exception_int_div_zero 0
	.end_amdhsa_kernel
	.section	.text._ZN9rocsolver6v33100L18getri_kernel_smallILi3E19rocblas_complex_numIfEPS3_EEvT1_iilPiilS6_bb,"axG",@progbits,_ZN9rocsolver6v33100L18getri_kernel_smallILi3E19rocblas_complex_numIfEPS3_EEvT1_iilPiilS6_bb,comdat
.Lfunc_end2:
	.size	_ZN9rocsolver6v33100L18getri_kernel_smallILi3E19rocblas_complex_numIfEPS3_EEvT1_iilPiilS6_bb, .Lfunc_end2-_ZN9rocsolver6v33100L18getri_kernel_smallILi3E19rocblas_complex_numIfEPS3_EEvT1_iilPiilS6_bb
                                        ; -- End function
	.set _ZN9rocsolver6v33100L18getri_kernel_smallILi3E19rocblas_complex_numIfEPS3_EEvT1_iilPiilS6_bb.num_vgpr, 24
	.set _ZN9rocsolver6v33100L18getri_kernel_smallILi3E19rocblas_complex_numIfEPS3_EEvT1_iilPiilS6_bb.num_agpr, 0
	.set _ZN9rocsolver6v33100L18getri_kernel_smallILi3E19rocblas_complex_numIfEPS3_EEvT1_iilPiilS6_bb.numbered_sgpr, 20
	.set _ZN9rocsolver6v33100L18getri_kernel_smallILi3E19rocblas_complex_numIfEPS3_EEvT1_iilPiilS6_bb.num_named_barrier, 0
	.set _ZN9rocsolver6v33100L18getri_kernel_smallILi3E19rocblas_complex_numIfEPS3_EEvT1_iilPiilS6_bb.private_seg_size, 32
	.set _ZN9rocsolver6v33100L18getri_kernel_smallILi3E19rocblas_complex_numIfEPS3_EEvT1_iilPiilS6_bb.uses_vcc, 1
	.set _ZN9rocsolver6v33100L18getri_kernel_smallILi3E19rocblas_complex_numIfEPS3_EEvT1_iilPiilS6_bb.uses_flat_scratch, 1
	.set _ZN9rocsolver6v33100L18getri_kernel_smallILi3E19rocblas_complex_numIfEPS3_EEvT1_iilPiilS6_bb.has_dyn_sized_stack, 0
	.set _ZN9rocsolver6v33100L18getri_kernel_smallILi3E19rocblas_complex_numIfEPS3_EEvT1_iilPiilS6_bb.has_recursion, 0
	.set _ZN9rocsolver6v33100L18getri_kernel_smallILi3E19rocblas_complex_numIfEPS3_EEvT1_iilPiilS6_bb.has_indirect_call, 0
	.section	.AMDGPU.csdata,"",@progbits
; Kernel info:
; codeLenInByte = 2384
; TotalNumSgprs: 22
; NumVgprs: 24
; ScratchSize: 32
; MemoryBound: 0
; FloatMode: 240
; IeeeMode: 1
; LDSByteSize: 56 bytes/workgroup (compile time only)
; SGPRBlocks: 0
; VGPRBlocks: 1
; NumSGPRsForWavesPerEU: 22
; NumVGPRsForWavesPerEU: 24
; NamedBarCnt: 0
; Occupancy: 16
; WaveLimiterHint : 0
; COMPUTE_PGM_RSRC2:SCRATCH_EN: 1
; COMPUTE_PGM_RSRC2:USER_SGPR: 2
; COMPUTE_PGM_RSRC2:TRAP_HANDLER: 0
; COMPUTE_PGM_RSRC2:TGID_X_EN: 1
; COMPUTE_PGM_RSRC2:TGID_Y_EN: 0
; COMPUTE_PGM_RSRC2:TGID_Z_EN: 0
; COMPUTE_PGM_RSRC2:TIDIG_COMP_CNT: 0
	.section	.text._ZN9rocsolver6v33100L18getri_kernel_smallILi4E19rocblas_complex_numIfEPS3_EEvT1_iilPiilS6_bb,"axG",@progbits,_ZN9rocsolver6v33100L18getri_kernel_smallILi4E19rocblas_complex_numIfEPS3_EEvT1_iilPiilS6_bb,comdat
	.globl	_ZN9rocsolver6v33100L18getri_kernel_smallILi4E19rocblas_complex_numIfEPS3_EEvT1_iilPiilS6_bb ; -- Begin function _ZN9rocsolver6v33100L18getri_kernel_smallILi4E19rocblas_complex_numIfEPS3_EEvT1_iilPiilS6_bb
	.p2align	8
	.type	_ZN9rocsolver6v33100L18getri_kernel_smallILi4E19rocblas_complex_numIfEPS3_EEvT1_iilPiilS6_bb,@function
_ZN9rocsolver6v33100L18getri_kernel_smallILi4E19rocblas_complex_numIfEPS3_EEvT1_iilPiilS6_bb: ; @_ZN9rocsolver6v33100L18getri_kernel_smallILi4E19rocblas_complex_numIfEPS3_EEvT1_iilPiilS6_bb
; %bb.0:
	s_mov_b32 s2, exec_lo
	v_cmpx_gt_u32_e32 4, v0
	s_cbranch_execz .LBB3_30
; %bb.1:
	s_clause 0x2
	s_load_b32 s2, s[0:1], 0x38
	s_load_b128 s[8:11], s[0:1], 0x10
	s_load_b128 s[4:7], s[0:1], 0x28
	s_getreg_b32 s13, hwreg(HW_REG_IB_STS2, 6, 4)
	s_wait_kmcnt 0x0
	s_bitcmp1_b32 s2, 8
	s_cselect_b32 s14, -1, 0
	s_bfe_u32 s3, ttmp6, 0x4000c
	s_and_b32 s12, ttmp6, 15
	s_add_co_i32 s3, s3, 1
	s_delay_alu instid0(SALU_CYCLE_1) | instskip(NEXT) | instid1(SALU_CYCLE_1)
	s_mul_i32 s3, ttmp9, s3
	s_add_co_i32 s12, s12, s3
	s_cmp_eq_u32 s13, 0
	s_cselect_b32 s12, ttmp9, s12
	s_bfe_u32 s2, s2, 0x10008
	s_ashr_i32 s13, s12, 31
	s_cmp_eq_u32 s2, 0
                                        ; implicit-def: $sgpr2_sgpr3
	s_cbranch_scc1 .LBB3_3
; %bb.2:
	s_load_b32 s2, s[0:1], 0x20
	s_mul_u64 s[4:5], s[4:5], s[12:13]
	s_delay_alu instid0(SALU_CYCLE_1) | instskip(NEXT) | instid1(SALU_CYCLE_1)
	s_lshl_b64 s[4:5], s[4:5], 2
	s_add_nc_u64 s[4:5], s[10:11], s[4:5]
	s_wait_kmcnt 0x0
	s_ashr_i32 s3, s2, 31
	s_delay_alu instid0(SALU_CYCLE_1) | instskip(NEXT) | instid1(SALU_CYCLE_1)
	s_lshl_b64 s[2:3], s[2:3], 2
	s_add_nc_u64 s[2:3], s[4:5], s[2:3]
.LBB3_3:
	s_clause 0x1
	s_load_b128 s[16:19], s[0:1], 0x0
	s_load_b32 s10, s[0:1], 0x38
	s_wait_xcnt 0x0
	s_mul_u64 s[0:1], s[8:9], s[12:13]
	v_dual_mov_b32 v3, 0 :: v_dual_lshlrev_b32 v2, 3, v0
	s_lshl_b64 s[0:1], s[0:1], 3
	s_wait_kmcnt 0x0
	s_ashr_i32 s5, s18, 31
	s_mov_b32 s4, s18
	s_add_nc_u64 s[0:1], s[16:17], s[0:1]
	s_lshl_b64 s[4:5], s[4:5], 3
	v_add3_u32 v8, s19, s19, v0
	s_add_nc_u64 s[4:5], s[0:1], s[4:5]
	s_ashr_i32 s1, s19, 31
	v_add_nc_u64_e32 v[4:5], s[4:5], v[2:3]
	s_mov_b32 s0, s19
	v_add_nc_u32_e32 v10, s19, v8
	s_bitcmp0_b32 s10, 0
	s_delay_alu instid0(VALU_DEP_2)
	v_lshl_add_u64 v[6:7], s[0:1], 3, v[4:5]
	s_mov_b32 s1, -1
	s_clause 0x3
	global_load_b64 v[12:13], v0, s[4:5] scale_offset
	global_load_b64 v[14:15], v[6:7], off
	global_load_b64 v[16:17], v8, s[4:5] scale_offset
	global_load_b64 v[18:19], v10, s[4:5] scale_offset
	s_wait_loadcnt 0x2
	scratch_store_b128 off, v[12:15], off
	s_wait_loadcnt 0x0
	scratch_store_b128 off, v[16:19], off offset:16
	s_cbranch_scc1 .LBB3_28
; %bb.4:
	v_cmp_eq_u32_e64 s0, 0, v0
	s_wait_xcnt 0x0
	s_and_saveexec_b32 s1, s0
; %bb.5:
	v_mov_b32_e32 v1, 0
	ds_store_b32 v1, v1 offset:64
; %bb.6:
	s_or_b32 exec_lo, exec_lo, s1
	s_wait_storecnt_dscnt 0x0
	s_barrier_signal -1
	s_barrier_wait -1
	scratch_load_b64 v[12:13], v0, off scale_offset
	s_wait_loadcnt 0x0
	v_cmp_eq_f32_e32 vcc_lo, 0, v12
	v_cmp_eq_f32_e64 s1, 0, v13
	s_and_b32 s1, vcc_lo, s1
	s_delay_alu instid0(SALU_CYCLE_1)
	s_and_saveexec_b32 s8, s1
	s_cbranch_execz .LBB3_10
; %bb.7:
	v_mov_b32_e32 v1, 0
	s_mov_b32 s9, 0
	ds_load_b32 v3, v1 offset:64
	s_wait_dscnt 0x0
	v_readfirstlane_b32 s1, v3
	v_add_nc_u32_e32 v3, 1, v0
	s_cmp_eq_u32 s1, 0
	s_delay_alu instid0(VALU_DEP_1) | instskip(SKIP_1) | instid1(SALU_CYCLE_1)
	v_cmp_gt_i32_e32 vcc_lo, s1, v3
	s_cselect_b32 s10, -1, 0
	s_or_b32 s10, s10, vcc_lo
	s_delay_alu instid0(SALU_CYCLE_1)
	s_and_b32 exec_lo, exec_lo, s10
	s_cbranch_execz .LBB3_10
; %bb.8:
	v_mov_b32_e32 v9, s1
.LBB3_9:                                ; =>This Inner Loop Header: Depth=1
	ds_cmpstore_rtn_b32 v9, v1, v3, v9 offset:64
	s_wait_dscnt 0x0
	v_cmp_ne_u32_e32 vcc_lo, 0, v9
	v_cmp_le_i32_e64 s1, v9, v3
	s_and_b32 s1, vcc_lo, s1
	s_delay_alu instid0(SALU_CYCLE_1) | instskip(NEXT) | instid1(SALU_CYCLE_1)
	s_and_b32 s1, exec_lo, s1
	s_or_b32 s9, s1, s9
	s_delay_alu instid0(SALU_CYCLE_1)
	s_and_not1_b32 exec_lo, exec_lo, s9
	s_cbranch_execnz .LBB3_9
.LBB3_10:
	s_or_b32 exec_lo, exec_lo, s8
	v_mov_b32_e32 v1, 0
	s_barrier_signal -1
	s_barrier_wait -1
	ds_load_b32 v3, v1 offset:64
	s_and_saveexec_b32 s1, s0
	s_cbranch_execz .LBB3_12
; %bb.11:
	s_lshl_b64 s[8:9], s[12:13], 2
	s_delay_alu instid0(SALU_CYCLE_1)
	s_add_nc_u64 s[8:9], s[6:7], s[8:9]
	s_wait_dscnt 0x0
	global_store_b32 v1, v3, s[8:9]
.LBB3_12:
	s_wait_xcnt 0x0
	s_or_b32 exec_lo, exec_lo, s1
	s_wait_dscnt 0x0
	v_cmp_ne_u32_e32 vcc_lo, 0, v3
	s_mov_b32 s1, 0
	s_cbranch_vccnz .LBB3_28
; %bb.13:
	v_lshl_add_u32 v1, v0, 3, 0
                                        ; implicit-def: $vgpr15
                                        ; implicit-def: $vgpr16
	scratch_load_b64 v[12:13], v1, off
	s_wait_loadcnt 0x0
	v_cmp_ngt_f32_e64 s1, |v12|, |v13|
	s_wait_xcnt 0x0
	s_and_saveexec_b32 s8, s1
	s_delay_alu instid0(SALU_CYCLE_1)
	s_xor_b32 s1, exec_lo, s8
	s_cbranch_execz .LBB3_15
; %bb.14:
	v_div_scale_f32 v3, null, v13, v13, v12
	v_div_scale_f32 v14, vcc_lo, v12, v13, v12
	s_delay_alu instid0(VALU_DEP_2) | instskip(SKIP_1) | instid1(TRANS32_DEP_1)
	v_rcp_f32_e32 v9, v3
	v_nop
	v_fma_f32 v11, -v3, v9, 1.0
	s_delay_alu instid0(VALU_DEP_1) | instskip(NEXT) | instid1(VALU_DEP_1)
	v_fmac_f32_e32 v9, v11, v9
	v_mul_f32_e32 v11, v14, v9
	s_delay_alu instid0(VALU_DEP_1) | instskip(NEXT) | instid1(VALU_DEP_1)
	v_fma_f32 v15, -v3, v11, v14
	v_fmac_f32_e32 v11, v15, v9
	s_delay_alu instid0(VALU_DEP_1) | instskip(NEXT) | instid1(VALU_DEP_1)
	v_fma_f32 v3, -v3, v11, v14
	v_div_fmas_f32 v3, v3, v9, v11
	s_delay_alu instid0(VALU_DEP_1) | instskip(NEXT) | instid1(VALU_DEP_1)
	v_div_fixup_f32 v3, v3, v13, v12
	v_fmac_f32_e32 v13, v12, v3
	s_delay_alu instid0(VALU_DEP_1) | instskip(NEXT) | instid1(VALU_DEP_1)
	v_div_scale_f32 v9, null, v13, v13, -1.0
	v_rcp_f32_e32 v11, v9
	v_nop
	s_delay_alu instid0(TRANS32_DEP_1) | instskip(NEXT) | instid1(VALU_DEP_1)
	v_fma_f32 v12, -v9, v11, 1.0
	v_fmac_f32_e32 v11, v12, v11
	v_div_scale_f32 v12, vcc_lo, -1.0, v13, -1.0
	s_delay_alu instid0(VALU_DEP_1) | instskip(NEXT) | instid1(VALU_DEP_1)
	v_mul_f32_e32 v14, v12, v11
	v_fma_f32 v15, -v9, v14, v12
	s_delay_alu instid0(VALU_DEP_1) | instskip(NEXT) | instid1(VALU_DEP_1)
	v_fmac_f32_e32 v14, v15, v11
	v_fma_f32 v9, -v9, v14, v12
	s_delay_alu instid0(VALU_DEP_1) | instskip(NEXT) | instid1(VALU_DEP_1)
	v_div_fmas_f32 v9, v9, v11, v14
	v_div_fixup_f32 v15, v9, v13, -1.0
                                        ; implicit-def: $vgpr12_vgpr13
	s_delay_alu instid0(VALU_DEP_1) | instskip(NEXT) | instid1(VALU_DEP_1)
	v_mul_f32_e32 v16, v3, v15
	v_xor_b32_e32 v14, 0x80000000, v16
.LBB3_15:
	s_and_not1_saveexec_b32 s1, s1
	s_cbranch_execz .LBB3_17
; %bb.16:
	v_div_scale_f32 v3, null, v12, v12, v13
	v_div_scale_f32 v14, vcc_lo, v13, v12, v13
	s_delay_alu instid0(VALU_DEP_2) | instskip(SKIP_1) | instid1(TRANS32_DEP_1)
	v_rcp_f32_e32 v9, v3
	v_nop
	v_fma_f32 v11, -v3, v9, 1.0
	s_delay_alu instid0(VALU_DEP_1) | instskip(NEXT) | instid1(VALU_DEP_1)
	v_fmac_f32_e32 v9, v11, v9
	v_mul_f32_e32 v11, v14, v9
	s_delay_alu instid0(VALU_DEP_1) | instskip(NEXT) | instid1(VALU_DEP_1)
	v_fma_f32 v15, -v3, v11, v14
	v_fmac_f32_e32 v11, v15, v9
	s_delay_alu instid0(VALU_DEP_1) | instskip(NEXT) | instid1(VALU_DEP_1)
	v_fma_f32 v3, -v3, v11, v14
	v_div_fmas_f32 v3, v3, v9, v11
	s_delay_alu instid0(VALU_DEP_1) | instskip(NEXT) | instid1(VALU_DEP_1)
	v_div_fixup_f32 v3, v3, v12, v13
	v_fmac_f32_e32 v12, v13, v3
	s_delay_alu instid0(VALU_DEP_1) | instskip(SKIP_1) | instid1(VALU_DEP_2)
	v_div_scale_f32 v9, null, v12, v12, 1.0
	v_div_scale_f32 v14, vcc_lo, 1.0, v12, 1.0
	v_rcp_f32_e32 v11, v9
	v_nop
	s_delay_alu instid0(TRANS32_DEP_1) | instskip(NEXT) | instid1(VALU_DEP_1)
	v_fma_f32 v13, -v9, v11, 1.0
	v_fmac_f32_e32 v11, v13, v11
	s_delay_alu instid0(VALU_DEP_1) | instskip(NEXT) | instid1(VALU_DEP_1)
	v_mul_f32_e32 v13, v14, v11
	v_fma_f32 v15, -v9, v13, v14
	s_delay_alu instid0(VALU_DEP_1) | instskip(NEXT) | instid1(VALU_DEP_1)
	v_fmac_f32_e32 v13, v15, v11
	v_fma_f32 v9, -v9, v13, v14
	s_delay_alu instid0(VALU_DEP_1) | instskip(NEXT) | instid1(VALU_DEP_1)
	v_div_fmas_f32 v9, v9, v11, v13
	v_div_fixup_f32 v14, v9, v12, 1.0
	s_delay_alu instid0(VALU_DEP_1)
	v_xor_b32_e32 v16, 0x80000000, v14
	v_mul_f32_e64 v15, v3, -v14
.LBB3_17:
	s_or_b32 exec_lo, exec_lo, s1
	scratch_store_b64 v1, v[14:15], off
	scratch_load_b64 v[12:13], off, off offset:8
	v_xor_b32_e32 v17, 0x80000000, v15
	v_add_nc_u32_e32 v3, 32, v2
	s_wait_loadcnt 0x0
	ds_store_2addr_b64 v2, v[16:17], v[12:13] offset1:4
	s_wait_storecnt_dscnt 0x0
	s_barrier_signal -1
	s_barrier_wait -1
	s_wait_xcnt 0x0
	s_and_saveexec_b32 s1, s0
	s_cbranch_execz .LBB3_19
; %bb.18:
	scratch_load_b64 v[12:13], v1, off
	ds_load_b64 v[14:15], v3
	v_mov_b32_e32 v9, 0
	ds_load_b64 v[16:17], v9 offset:8
	s_wait_loadcnt_dscnt 0x1
	v_pk_mul_f32 v[18:19], v[14:15], v[12:13] op_sel:[1,1] op_sel_hi:[0,1]
	s_delay_alu instid0(VALU_DEP_1) | instskip(SKIP_1) | instid1(VALU_DEP_2)
	v_pk_fma_f32 v[20:21], v[14:15], v[12:13], v[18:19] op_sel_hi:[1,0,1]
	v_pk_fma_f32 v[12:13], v[14:15], v[12:13], v[18:19] neg_lo:[0,0,1] neg_hi:[0,0,1]
	v_mov_b32_e32 v13, v21
	s_delay_alu instid0(VALU_DEP_1) | instskip(SKIP_1) | instid1(VALU_DEP_1)
	v_pk_add_f32 v[12:13], v[12:13], 0 op_sel_hi:[1,0]
	s_wait_dscnt 0x0
	v_pk_mul_f32 v[14:15], v[12:13], v[16:17] op_sel:[1,1] op_sel_hi:[0,1]
	s_delay_alu instid0(VALU_DEP_1) | instskip(SKIP_1) | instid1(VALU_DEP_2)
	v_pk_fma_f32 v[18:19], v[12:13], v[16:17], v[14:15] op_sel_hi:[1,0,1]
	v_pk_fma_f32 v[12:13], v[12:13], v[16:17], v[14:15] neg_lo:[0,0,1] neg_hi:[0,0,1]
	v_mov_b32_e32 v13, v19
	scratch_store_b64 off, v[12:13], off offset:8
.LBB3_19:
	s_wait_xcnt 0x0
	s_or_b32 exec_lo, exec_lo, s1
	s_wait_storecnt 0x0
	s_barrier_signal -1
	s_barrier_wait -1
	scratch_load_b64 v[12:13], off, off offset:16
	s_mov_b32 s1, exec_lo
	s_wait_loadcnt 0x0
	ds_store_b64 v3, v[12:13]
	s_wait_dscnt 0x0
	s_barrier_signal -1
	s_barrier_wait -1
	v_cmpx_gt_u32_e32 2, v0
	s_cbranch_execz .LBB3_23
; %bb.20:
	scratch_load_b64 v[12:13], v1, off
	ds_load_b64 v[14:15], v3
	s_wait_loadcnt_dscnt 0x0
	v_pk_mul_f32 v[16:17], v[14:15], v[12:13] op_sel:[1,1] op_sel_hi:[0,1]
	s_delay_alu instid0(VALU_DEP_1) | instskip(SKIP_1) | instid1(VALU_DEP_2)
	v_pk_fma_f32 v[18:19], v[14:15], v[12:13], v[16:17] op_sel_hi:[1,0,1]
	v_pk_fma_f32 v[12:13], v[14:15], v[12:13], v[16:17] neg_lo:[0,0,1] neg_hi:[0,0,1]
	v_mov_b32_e32 v13, v19
	s_delay_alu instid0(VALU_DEP_1)
	v_pk_add_f32 v[12:13], v[12:13], 0 op_sel_hi:[1,0]
	s_and_saveexec_b32 s8, s0
	s_cbranch_execz .LBB3_22
; %bb.21:
	scratch_load_b64 v[14:15], off, off offset:8
	v_mov_b32_e32 v1, 0
	ds_load_b64 v[16:17], v1 offset:40
	s_wait_loadcnt_dscnt 0x0
	v_pk_mul_f32 v[18:19], v[16:17], v[14:15] op_sel:[1,1] op_sel_hi:[0,1]
	s_delay_alu instid0(VALU_DEP_1) | instskip(SKIP_1) | instid1(VALU_DEP_2)
	v_pk_fma_f32 v[20:21], v[16:17], v[14:15], v[18:19] op_sel_hi:[1,0,1]
	v_pk_fma_f32 v[14:15], v[16:17], v[14:15], v[18:19] neg_lo:[0,0,1] neg_hi:[0,0,1]
	v_mov_b32_e32 v15, v21
	s_delay_alu instid0(VALU_DEP_1)
	v_pk_add_f32 v[12:13], v[12:13], v[14:15]
.LBB3_22:
	s_or_b32 exec_lo, exec_lo, s8
	v_mov_b32_e32 v1, 0
	ds_load_b64 v[14:15], v1 offset:16
	s_wait_dscnt 0x0
	v_pk_mul_f32 v[16:17], v[12:13], v[14:15] op_sel:[1,1] op_sel_hi:[0,1]
	s_delay_alu instid0(VALU_DEP_1) | instskip(SKIP_1) | instid1(VALU_DEP_2)
	v_pk_fma_f32 v[18:19], v[12:13], v[14:15], v[16:17] op_sel_hi:[1,0,1]
	v_pk_fma_f32 v[12:13], v[12:13], v[14:15], v[16:17] neg_lo:[0,0,1] neg_hi:[0,0,1]
	v_mov_b32_e32 v13, v19
	scratch_store_b64 off, v[12:13], off offset:16
.LBB3_23:
	s_wait_xcnt 0x0
	s_or_b32 exec_lo, exec_lo, s1
	s_wait_storecnt 0x0
	s_barrier_signal -1
	s_barrier_wait -1
	scratch_load_b64 v[12:13], off, off offset:24
	s_mov_b32 s0, exec_lo
	s_wait_loadcnt 0x0
	ds_store_b64 v3, v[12:13]
	s_wait_dscnt 0x0
	s_barrier_signal -1
	s_barrier_wait -1
	v_cmpx_ne_u32_e32 3, v0
	s_cbranch_execz .LBB3_27
; %bb.24:
	v_dual_mov_b32 v12, 0 :: v_dual_add_nc_u32 v1, -1, v0
	s_mov_b32 s1, 0
	s_delay_alu instid0(VALU_DEP_1)
	v_mov_b32_e32 v13, v12
.LBB3_25:                               ; =>This Inner Loop Header: Depth=1
	scratch_load_b64 v[14:15], v2, off
	ds_load_b64 v[16:17], v3
	s_wait_xcnt 0x0
	v_dual_add_nc_u32 v3, 8, v3 :: v_dual_add_nc_u32 v2, 8, v2
	s_wait_loadcnt_dscnt 0x0
	v_pk_mul_f32 v[18:19], v[16:17], v[14:15] op_sel:[1,1] op_sel_hi:[0,1]
	s_delay_alu instid0(VALU_DEP_1) | instskip(SKIP_2) | instid1(VALU_DEP_3)
	v_pk_fma_f32 v[20:21], v[16:17], v[14:15], v[18:19] op_sel_hi:[1,0,1]
	v_add_nc_u32_e32 v1, 1, v1
	v_pk_fma_f32 v[14:15], v[16:17], v[14:15], v[18:19] neg_lo:[0,0,1] neg_hi:[0,0,1]
	v_mov_b32_e32 v15, v21
	s_delay_alu instid0(VALU_DEP_3) | instskip(NEXT) | instid1(VALU_DEP_2)
	v_cmp_lt_u32_e32 vcc_lo, 1, v1
	v_pk_add_f32 v[12:13], v[12:13], v[14:15]
	s_or_b32 s1, vcc_lo, s1
	s_delay_alu instid0(SALU_CYCLE_1)
	s_and_not1_b32 exec_lo, exec_lo, s1
	s_cbranch_execnz .LBB3_25
; %bb.26:
	s_or_b32 exec_lo, exec_lo, s1
	v_mov_b32_e32 v1, 0
	ds_load_b64 v[2:3], v1 offset:24
	s_wait_dscnt 0x0
	v_pk_mul_f32 v[14:15], v[12:13], v[2:3] op_sel:[1,1] op_sel_hi:[0,1]
	s_delay_alu instid0(VALU_DEP_1) | instskip(SKIP_1) | instid1(VALU_DEP_2)
	v_pk_fma_f32 v[16:17], v[12:13], v[2:3], v[14:15] op_sel_hi:[1,0,1]
	v_pk_fma_f32 v[2:3], v[12:13], v[2:3], v[14:15] neg_lo:[0,0,1] neg_hi:[0,0,1]
	v_mov_b32_e32 v3, v17
	scratch_store_b64 off, v[2:3], off offset:24
.LBB3_27:
	s_wait_xcnt 0x0
	s_or_b32 exec_lo, exec_lo, s0
	s_mov_b32 s1, -1
	s_wait_storecnt 0x0
	s_barrier_signal -1
	s_barrier_wait -1
.LBB3_28:
	s_and_b32 vcc_lo, exec_lo, s1
	s_cbranch_vccz .LBB3_30
; %bb.29:
	v_mov_b32_e32 v1, 0
	s_lshl_b64 s[0:1], s[12:13], 2
	s_delay_alu instid0(SALU_CYCLE_1)
	s_add_nc_u64 s[0:1], s[6:7], s[0:1]
	global_load_b32 v1, v1, s[0:1]
	s_wait_loadcnt 0x0
	v_cmp_ne_u32_e32 vcc_lo, 0, v1
	s_cbranch_vccz .LBB3_31
.LBB3_30:
	s_endpgm
.LBB3_31:
	s_wait_xcnt 0x0
	v_lshl_add_u32 v1, v0, 3, 32
	s_mov_b32 s0, exec_lo
	v_cmpx_eq_u32_e32 3, v0
	s_cbranch_execz .LBB3_33
; %bb.32:
	scratch_load_b64 v[2:3], off, off offset:16
	v_mov_b64_e32 v[12:13], 0
	scratch_store_b64 off, v[12:13], off offset:16
	s_wait_loadcnt 0x0
	ds_store_b64 v1, v[2:3]
.LBB3_33:
	s_wait_xcnt 0x0
	s_or_b32 exec_lo, exec_lo, s0
	s_wait_storecnt_dscnt 0x0
	s_barrier_signal -1
	s_barrier_wait -1
	s_clause 0x1
	scratch_load_b64 v[12:13], off, off offset:24
	scratch_load_b64 v[14:15], off, off offset:16
	v_mov_b32_e32 v2, 0
	s_mov_b32 s0, exec_lo
	ds_load_b64 v[16:17], v2 offset:56
	s_wait_loadcnt_dscnt 0x100
	v_pk_mul_f32 v[18:19], v[16:17], v[12:13] op_sel:[1,1] op_sel_hi:[0,1]
	s_delay_alu instid0(VALU_DEP_1) | instskip(SKIP_1) | instid1(VALU_DEP_2)
	v_pk_fma_f32 v[20:21], v[16:17], v[12:13], v[18:19] op_sel_hi:[1,0,1]
	v_pk_fma_f32 v[12:13], v[16:17], v[12:13], v[18:19] neg_lo:[0,0,1] neg_hi:[0,0,1]
	v_mov_b32_e32 v13, v21
	s_delay_alu instid0(VALU_DEP_1) | instskip(SKIP_1) | instid1(VALU_DEP_1)
	v_pk_add_f32 v[12:13], v[12:13], 0 op_sel_hi:[1,0]
	s_wait_loadcnt 0x0
	v_pk_add_f32 v[12:13], v[14:15], v[12:13] neg_lo:[0,1] neg_hi:[0,1]
	scratch_store_b64 off, v[12:13], off offset:16
	s_wait_xcnt 0x0
	v_cmpx_lt_u32_e32 1, v0
	s_cbranch_execz .LBB3_35
; %bb.34:
	scratch_load_b64 v[12:13], off, off offset:8
	v_mov_b64_e32 v[14:15], 0
	scratch_store_b64 off, v[14:15], off offset:8
	s_wait_loadcnt 0x0
	ds_store_b64 v1, v[12:13]
.LBB3_35:
	s_wait_xcnt 0x0
	s_or_b32 exec_lo, exec_lo, s0
	s_wait_storecnt_dscnt 0x0
	s_barrier_signal -1
	s_barrier_wait -1
	s_clause 0x1
	scratch_load_b128 v[12:15], off, off offset:16
	scratch_load_b64 v[20:21], off, off offset:8
	ds_load_b128 v[16:19], v2 offset:48
	v_ashrrev_i32_e32 v11, 31, v10
	s_mov_b32 s0, exec_lo
	s_wait_dscnt 0x0
	v_dual_mov_b32 v2, v19 :: v_dual_ashrrev_i32 v9, 31, v8
	v_mov_b32_e32 v3, v18
	s_wait_loadcnt 0x1
	v_pk_mul_f32 v[22:23], v[16:17], v[12:13] op_sel:[1,1] op_sel_hi:[0,1]
	s_delay_alu instid0(VALU_DEP_1) | instskip(SKIP_2) | instid1(VALU_DEP_3)
	v_pk_fma_f32 v[26:27], v[16:17], v[12:13], v[22:23] op_sel_hi:[1,0,1]
	v_mov_b32_e32 v24, v15
	v_pk_fma_f32 v[12:13], v[16:17], v[12:13], v[22:23] neg_lo:[0,0,1] neg_hi:[0,0,1]
	v_mov_b32_e32 v13, v27
	s_delay_alu instid0(VALU_DEP_3) | instskip(NEXT) | instid1(VALU_DEP_2)
	v_pk_mul_f32 v[2:3], v[2:3], v[24:25] op_sel_hi:[1,0]
	v_pk_add_f32 v[12:13], v[12:13], 0 op_sel_hi:[1,0]
	s_delay_alu instid0(VALU_DEP_2) | instskip(SKIP_1) | instid1(VALU_DEP_2)
	v_pk_fma_f32 v[16:17], v[18:19], v[14:15], v[2:3] op_sel_hi:[1,0,1]
	v_pk_fma_f32 v[2:3], v[18:19], v[14:15], v[2:3] neg_lo:[0,0,1] neg_hi:[0,0,1]
	v_mov_b32_e32 v3, v17
	s_delay_alu instid0(VALU_DEP_1) | instskip(SKIP_1) | instid1(VALU_DEP_1)
	v_pk_add_f32 v[2:3], v[12:13], v[2:3]
	s_wait_loadcnt 0x0
	v_pk_add_f32 v[2:3], v[20:21], v[2:3] neg_lo:[0,1] neg_hi:[0,1]
	scratch_store_b64 off, v[2:3], off offset:8
	s_wait_xcnt 0x0
	v_cmpx_ne_u32_e32 0, v0
	s_cbranch_execz .LBB3_37
; %bb.36:
	scratch_load_b64 v[2:3], off, off
	v_mov_b64_e32 v[12:13], 0
	scratch_store_b64 off, v[12:13], off
	s_wait_loadcnt 0x0
	ds_store_b64 v1, v[2:3]
.LBB3_37:
	s_wait_xcnt 0x0
	s_or_b32 exec_lo, exec_lo, s0
	s_wait_storecnt_dscnt 0x0
	s_barrier_signal -1
	s_barrier_wait -1
	s_clause 0x2
	scratch_load_b128 v[0:3], off, off offset:8
	scratch_load_b64 v[18:19], off, off offset:24
	scratch_load_b64 v[20:21], off, off
	v_mov_b32_e32 v12, 0
	ds_load_2addr_b64 v[14:17], v12 offset0:5 offset1:6
	ds_load_b64 v[22:23], v12 offset:56
	s_and_b32 vcc_lo, exec_lo, s14
	s_wait_dscnt 0x1
	v_dual_mov_b32 v24, v17 :: v_dual_mov_b32 v25, v16
	s_wait_loadcnt 0x2
	v_mov_b32_e32 v28, v3
	v_pk_mul_f32 v[26:27], v[14:15], v[0:1] op_sel:[1,1] op_sel_hi:[0,1]
	s_delay_alu instid0(VALU_DEP_2) | instskip(NEXT) | instid1(VALU_DEP_2)
	v_pk_mul_f32 v[24:25], v[24:25], v[28:29] op_sel_hi:[1,0]
	v_pk_fma_f32 v[30:31], v[14:15], v[0:1], v[26:27] op_sel_hi:[1,0,1]
	v_pk_fma_f32 v[0:1], v[14:15], v[0:1], v[26:27] neg_lo:[0,0,1] neg_hi:[0,0,1]
	s_wait_loadcnt_dscnt 0x100
	v_pk_mul_f32 v[28:29], v[22:23], v[18:19] op_sel:[1,1] op_sel_hi:[0,1]
	v_pk_fma_f32 v[14:15], v[16:17], v[2:3], v[24:25] op_sel_hi:[1,0,1]
	v_mov_b32_e32 v1, v31
	v_pk_fma_f32 v[16:17], v[16:17], v[2:3], v[24:25] neg_lo:[0,0,1] neg_hi:[0,0,1]
	s_delay_alu instid0(VALU_DEP_4) | instskip(NEXT) | instid1(VALU_DEP_4)
	v_pk_fma_f32 v[26:27], v[22:23], v[18:19], v[28:29] op_sel_hi:[1,0,1]
	v_mov_b32_e32 v17, v15
	s_delay_alu instid0(VALU_DEP_4) | instskip(SKIP_1) | instid1(VALU_DEP_4)
	v_pk_add_f32 v[0:1], v[0:1], 0 op_sel_hi:[1,0]
	v_pk_fma_f32 v[14:15], v[22:23], v[18:19], v[28:29] neg_lo:[0,0,1] neg_hi:[0,0,1]
	v_mov_b32_e32 v15, v27
	s_delay_alu instid0(VALU_DEP_3) | instskip(NEXT) | instid1(VALU_DEP_1)
	v_pk_add_f32 v[0:1], v[0:1], v[16:17]
	v_pk_add_f32 v[0:1], v[0:1], v[14:15]
	s_wait_loadcnt 0x0
	s_delay_alu instid0(VALU_DEP_1)
	v_pk_add_f32 v[0:1], v[20:21], v[0:1] neg_lo:[0,1] neg_hi:[0,1]
	scratch_store_b64 off, v[0:1], off
	s_cbranch_vccz .LBB3_44
; %bb.38:
	global_load_b32 v0, v12, s[2:3] offset:8
	s_wait_loadcnt 0x0
	v_cmp_ne_u32_e32 vcc_lo, 3, v0
	s_cbranch_vccz .LBB3_40
; %bb.39:
	v_lshlrev_b32_e32 v0, 3, v0
	s_wait_xcnt 0x0
	s_delay_alu instid0(VALU_DEP_1)
	v_mov_b32_e32 v12, v0
	scratch_load_b64 v[0:1], v12, off offset:-8
	s_wait_loadcnt 0x0
	scratch_store_b64 off, v[0:1], off offset:16
	scratch_store_b64 v12, v[2:3], off offset:-8
.LBB3_40:
	s_wait_xcnt 0x1
	v_mov_b32_e32 v0, 0
	global_load_b32 v1, v0, s[2:3] offset:4
	s_wait_loadcnt 0x0
	v_cmp_eq_u32_e32 vcc_lo, 2, v1
	s_cbranch_vccnz .LBB3_42
; %bb.41:
	v_lshlrev_b32_e32 v1, 3, v1
	scratch_load_b64 v[2:3], v1, off offset:-8
	scratch_load_b64 v[12:13], off, off offset:8
	s_wait_loadcnt 0x1
	scratch_store_b64 off, v[2:3], off offset:8
	s_wait_loadcnt 0x0
	scratch_store_b64 v1, v[12:13], off offset:-8
.LBB3_42:
	global_load_b32 v2, v0, s[2:3]
	scratch_load_b64 v[0:1], off, off
	s_wait_loadcnt 0x1
	v_cmp_eq_u32_e32 vcc_lo, 1, v2
	s_cbranch_vccnz .LBB3_44
; %bb.43:
	v_lshlrev_b32_e32 v2, 3, v2
	s_delay_alu instid0(VALU_DEP_1)
	v_mov_b32_e32 v12, v2
	scratch_load_b64 v[2:3], v12, off offset:-8
	s_wait_loadcnt 0x0
	scratch_store_b64 off, v[2:3], off
	scratch_store_b64 v12, v[0:1], off offset:-8
	scratch_load_b64 v[0:1], off, off
.LBB3_44:
	v_lshl_add_u64 v[2:3], v[8:9], 3, s[4:5]
	v_lshl_add_u64 v[8:9], v[10:11], 3, s[4:5]
	s_clause 0x1
	scratch_load_b128 v[10:13], off, off offset:8
	scratch_load_b64 v[14:15], off, off offset:24
	s_wait_loadcnt 0x2
	global_store_b64 v[4:5], v[0:1], off
	s_wait_loadcnt 0x1
	s_clause 0x1
	global_store_b64 v[6:7], v[10:11], off
	global_store_b64 v[2:3], v[12:13], off
	s_wait_loadcnt 0x0
	global_store_b64 v[8:9], v[14:15], off
	s_endpgm
	.section	.rodata,"a",@progbits
	.p2align	6, 0x0
	.amdhsa_kernel _ZN9rocsolver6v33100L18getri_kernel_smallILi4E19rocblas_complex_numIfEPS3_EEvT1_iilPiilS6_bb
		.amdhsa_group_segment_fixed_size 68
		.amdhsa_private_segment_fixed_size 48
		.amdhsa_kernarg_size 60
		.amdhsa_user_sgpr_count 2
		.amdhsa_user_sgpr_dispatch_ptr 0
		.amdhsa_user_sgpr_queue_ptr 0
		.amdhsa_user_sgpr_kernarg_segment_ptr 1
		.amdhsa_user_sgpr_dispatch_id 0
		.amdhsa_user_sgpr_kernarg_preload_length 0
		.amdhsa_user_sgpr_kernarg_preload_offset 0
		.amdhsa_user_sgpr_private_segment_size 0
		.amdhsa_wavefront_size32 1
		.amdhsa_uses_dynamic_stack 0
		.amdhsa_enable_private_segment 1
		.amdhsa_system_sgpr_workgroup_id_x 1
		.amdhsa_system_sgpr_workgroup_id_y 0
		.amdhsa_system_sgpr_workgroup_id_z 0
		.amdhsa_system_sgpr_workgroup_info 0
		.amdhsa_system_vgpr_workitem_id 0
		.amdhsa_next_free_vgpr 32
		.amdhsa_next_free_sgpr 20
		.amdhsa_named_barrier_count 0
		.amdhsa_reserve_vcc 1
		.amdhsa_float_round_mode_32 0
		.amdhsa_float_round_mode_16_64 0
		.amdhsa_float_denorm_mode_32 3
		.amdhsa_float_denorm_mode_16_64 3
		.amdhsa_fp16_overflow 0
		.amdhsa_memory_ordered 1
		.amdhsa_forward_progress 1
		.amdhsa_inst_pref_size 25
		.amdhsa_round_robin_scheduling 0
		.amdhsa_exception_fp_ieee_invalid_op 0
		.amdhsa_exception_fp_denorm_src 0
		.amdhsa_exception_fp_ieee_div_zero 0
		.amdhsa_exception_fp_ieee_overflow 0
		.amdhsa_exception_fp_ieee_underflow 0
		.amdhsa_exception_fp_ieee_inexact 0
		.amdhsa_exception_int_div_zero 0
	.end_amdhsa_kernel
	.section	.text._ZN9rocsolver6v33100L18getri_kernel_smallILi4E19rocblas_complex_numIfEPS3_EEvT1_iilPiilS6_bb,"axG",@progbits,_ZN9rocsolver6v33100L18getri_kernel_smallILi4E19rocblas_complex_numIfEPS3_EEvT1_iilPiilS6_bb,comdat
.Lfunc_end3:
	.size	_ZN9rocsolver6v33100L18getri_kernel_smallILi4E19rocblas_complex_numIfEPS3_EEvT1_iilPiilS6_bb, .Lfunc_end3-_ZN9rocsolver6v33100L18getri_kernel_smallILi4E19rocblas_complex_numIfEPS3_EEvT1_iilPiilS6_bb
                                        ; -- End function
	.set _ZN9rocsolver6v33100L18getri_kernel_smallILi4E19rocblas_complex_numIfEPS3_EEvT1_iilPiilS6_bb.num_vgpr, 32
	.set _ZN9rocsolver6v33100L18getri_kernel_smallILi4E19rocblas_complex_numIfEPS3_EEvT1_iilPiilS6_bb.num_agpr, 0
	.set _ZN9rocsolver6v33100L18getri_kernel_smallILi4E19rocblas_complex_numIfEPS3_EEvT1_iilPiilS6_bb.numbered_sgpr, 20
	.set _ZN9rocsolver6v33100L18getri_kernel_smallILi4E19rocblas_complex_numIfEPS3_EEvT1_iilPiilS6_bb.num_named_barrier, 0
	.set _ZN9rocsolver6v33100L18getri_kernel_smallILi4E19rocblas_complex_numIfEPS3_EEvT1_iilPiilS6_bb.private_seg_size, 48
	.set _ZN9rocsolver6v33100L18getri_kernel_smallILi4E19rocblas_complex_numIfEPS3_EEvT1_iilPiilS6_bb.uses_vcc, 1
	.set _ZN9rocsolver6v33100L18getri_kernel_smallILi4E19rocblas_complex_numIfEPS3_EEvT1_iilPiilS6_bb.uses_flat_scratch, 1
	.set _ZN9rocsolver6v33100L18getri_kernel_smallILi4E19rocblas_complex_numIfEPS3_EEvT1_iilPiilS6_bb.has_dyn_sized_stack, 0
	.set _ZN9rocsolver6v33100L18getri_kernel_smallILi4E19rocblas_complex_numIfEPS3_EEvT1_iilPiilS6_bb.has_recursion, 0
	.set _ZN9rocsolver6v33100L18getri_kernel_smallILi4E19rocblas_complex_numIfEPS3_EEvT1_iilPiilS6_bb.has_indirect_call, 0
	.section	.AMDGPU.csdata,"",@progbits
; Kernel info:
; codeLenInByte = 3100
; TotalNumSgprs: 22
; NumVgprs: 32
; ScratchSize: 48
; MemoryBound: 0
; FloatMode: 240
; IeeeMode: 1
; LDSByteSize: 68 bytes/workgroup (compile time only)
; SGPRBlocks: 0
; VGPRBlocks: 1
; NumSGPRsForWavesPerEU: 22
; NumVGPRsForWavesPerEU: 32
; NamedBarCnt: 0
; Occupancy: 16
; WaveLimiterHint : 0
; COMPUTE_PGM_RSRC2:SCRATCH_EN: 1
; COMPUTE_PGM_RSRC2:USER_SGPR: 2
; COMPUTE_PGM_RSRC2:TRAP_HANDLER: 0
; COMPUTE_PGM_RSRC2:TGID_X_EN: 1
; COMPUTE_PGM_RSRC2:TGID_Y_EN: 0
; COMPUTE_PGM_RSRC2:TGID_Z_EN: 0
; COMPUTE_PGM_RSRC2:TIDIG_COMP_CNT: 0
	.section	.text._ZN9rocsolver6v33100L18getri_kernel_smallILi5E19rocblas_complex_numIfEPS3_EEvT1_iilPiilS6_bb,"axG",@progbits,_ZN9rocsolver6v33100L18getri_kernel_smallILi5E19rocblas_complex_numIfEPS3_EEvT1_iilPiilS6_bb,comdat
	.globl	_ZN9rocsolver6v33100L18getri_kernel_smallILi5E19rocblas_complex_numIfEPS3_EEvT1_iilPiilS6_bb ; -- Begin function _ZN9rocsolver6v33100L18getri_kernel_smallILi5E19rocblas_complex_numIfEPS3_EEvT1_iilPiilS6_bb
	.p2align	8
	.type	_ZN9rocsolver6v33100L18getri_kernel_smallILi5E19rocblas_complex_numIfEPS3_EEvT1_iilPiilS6_bb,@function
_ZN9rocsolver6v33100L18getri_kernel_smallILi5E19rocblas_complex_numIfEPS3_EEvT1_iilPiilS6_bb: ; @_ZN9rocsolver6v33100L18getri_kernel_smallILi5E19rocblas_complex_numIfEPS3_EEvT1_iilPiilS6_bb
; %bb.0:
	s_mov_b32 s2, exec_lo
	v_cmpx_gt_u32_e32 5, v0
	s_cbranch_execz .LBB4_34
; %bb.1:
	s_clause 0x2
	s_load_b32 s2, s[0:1], 0x38
	s_load_b128 s[12:15], s[0:1], 0x10
	s_load_b128 s[4:7], s[0:1], 0x28
	s_getreg_b32 s9, hwreg(HW_REG_IB_STS2, 6, 4)
	s_wait_kmcnt 0x0
	s_bitcmp1_b32 s2, 8
	s_cselect_b32 s18, -1, 0
	s_bfe_u32 s3, ttmp6, 0x4000c
	s_and_b32 s8, ttmp6, 15
	s_add_co_i32 s3, s3, 1
	s_delay_alu instid0(SALU_CYCLE_1) | instskip(NEXT) | instid1(SALU_CYCLE_1)
	s_mul_i32 s3, ttmp9, s3
	s_add_co_i32 s8, s8, s3
	s_cmp_eq_u32 s9, 0
	s_cselect_b32 s16, ttmp9, s8
	s_bfe_u32 s2, s2, 0x10008
	s_ashr_i32 s17, s16, 31
	s_cmp_eq_u32 s2, 0
                                        ; implicit-def: $sgpr2_sgpr3
	s_cbranch_scc1 .LBB4_3
; %bb.2:
	s_load_b32 s2, s[0:1], 0x20
	s_mul_u64 s[4:5], s[4:5], s[16:17]
	s_delay_alu instid0(SALU_CYCLE_1) | instskip(NEXT) | instid1(SALU_CYCLE_1)
	s_lshl_b64 s[4:5], s[4:5], 2
	s_add_nc_u64 s[4:5], s[14:15], s[4:5]
	s_wait_kmcnt 0x0
	s_ashr_i32 s3, s2, 31
	s_delay_alu instid0(SALU_CYCLE_1) | instskip(NEXT) | instid1(SALU_CYCLE_1)
	s_lshl_b64 s[2:3], s[2:3], 2
	s_add_nc_u64 s[2:3], s[4:5], s[2:3]
.LBB4_3:
	s_clause 0x1
	s_load_b128 s[8:11], s[0:1], 0x0
	s_load_b32 s14, s[0:1], 0x38
	s_wait_xcnt 0x0
	s_mul_u64 s[0:1], s[12:13], s[16:17]
	v_dual_mov_b32 v3, 0 :: v_dual_lshlrev_b32 v2, 3, v0
	s_lshl_b64 s[0:1], s[0:1], 3
	s_wait_kmcnt 0x0
	s_ashr_i32 s5, s10, 31
	s_mov_b32 s4, s10
	s_add_nc_u64 s[0:1], s[8:9], s[0:1]
	s_lshl_b64 s[4:5], s[4:5], 3
	v_add3_u32 v8, s11, s11, v0
	s_add_nc_u64 s[4:5], s[0:1], s[4:5]
	s_ashr_i32 s1, s11, 31
	v_add_nc_u64_e32 v[4:5], s[4:5], v[2:3]
	s_mov_b32 s0, s11
	v_add_nc_u32_e32 v10, s11, v8
	s_bitcmp0_b32 s14, 0
	s_delay_alu instid0(VALU_DEP_1) | instskip(NEXT) | instid1(VALU_DEP_3)
	v_add_nc_u32_e32 v12, s11, v10
	v_lshl_add_u64 v[6:7], s[0:1], 3, v[4:5]
	s_mov_b32 s1, -1
	s_clause 0x4
	global_load_b64 v[14:15], v0, s[4:5] scale_offset
	global_load_b64 v[16:17], v[6:7], off
	global_load_b64 v[18:19], v8, s[4:5] scale_offset
	global_load_b64 v[20:21], v10, s[4:5] scale_offset
	global_load_b64 v[22:23], v12, s[4:5] scale_offset
	s_wait_loadcnt 0x3
	scratch_store_b128 off, v[14:17], off
	s_wait_loadcnt 0x1
	scratch_store_b128 off, v[18:21], off offset:16
	s_wait_loadcnt 0x0
	scratch_store_b64 off, v[22:23], off offset:32
	s_cbranch_scc1 .LBB4_32
; %bb.4:
	v_cmp_eq_u32_e64 s0, 0, v0
	s_wait_xcnt 0x0
	s_and_saveexec_b32 s1, s0
; %bb.5:
	v_mov_b32_e32 v1, 0
	ds_store_b32 v1, v1 offset:40
; %bb.6:
	s_or_b32 exec_lo, exec_lo, s1
	s_wait_storecnt_dscnt 0x0
	s_barrier_signal -1
	s_barrier_wait -1
	scratch_load_b64 v[14:15], v0, off scale_offset
	s_wait_loadcnt 0x0
	v_cmp_eq_f32_e32 vcc_lo, 0, v14
	v_cmp_eq_f32_e64 s1, 0, v15
	s_and_b32 s1, vcc_lo, s1
	s_delay_alu instid0(SALU_CYCLE_1)
	s_and_saveexec_b32 s8, s1
	s_cbranch_execz .LBB4_10
; %bb.7:
	v_mov_b32_e32 v1, 0
	s_mov_b32 s9, 0
	ds_load_b32 v3, v1 offset:40
	s_wait_dscnt 0x0
	v_readfirstlane_b32 s1, v3
	v_add_nc_u32_e32 v3, 1, v0
	s_cmp_eq_u32 s1, 0
	s_delay_alu instid0(VALU_DEP_1) | instskip(SKIP_1) | instid1(SALU_CYCLE_1)
	v_cmp_gt_i32_e32 vcc_lo, s1, v3
	s_cselect_b32 s10, -1, 0
	s_or_b32 s10, s10, vcc_lo
	s_delay_alu instid0(SALU_CYCLE_1)
	s_and_b32 exec_lo, exec_lo, s10
	s_cbranch_execz .LBB4_10
; %bb.8:
	v_mov_b32_e32 v9, s1
.LBB4_9:                                ; =>This Inner Loop Header: Depth=1
	ds_cmpstore_rtn_b32 v9, v1, v3, v9 offset:40
	s_wait_dscnt 0x0
	v_cmp_ne_u32_e32 vcc_lo, 0, v9
	v_cmp_le_i32_e64 s1, v9, v3
	s_and_b32 s1, vcc_lo, s1
	s_delay_alu instid0(SALU_CYCLE_1) | instskip(NEXT) | instid1(SALU_CYCLE_1)
	s_and_b32 s1, exec_lo, s1
	s_or_b32 s9, s1, s9
	s_delay_alu instid0(SALU_CYCLE_1)
	s_and_not1_b32 exec_lo, exec_lo, s9
	s_cbranch_execnz .LBB4_9
.LBB4_10:
	s_or_b32 exec_lo, exec_lo, s8
	v_mov_b32_e32 v1, 0
	s_barrier_signal -1
	s_barrier_wait -1
	ds_load_b32 v3, v1 offset:40
	s_and_saveexec_b32 s1, s0
	s_cbranch_execz .LBB4_12
; %bb.11:
	s_lshl_b64 s[8:9], s[16:17], 2
	s_delay_alu instid0(SALU_CYCLE_1)
	s_add_nc_u64 s[8:9], s[6:7], s[8:9]
	s_wait_dscnt 0x0
	global_store_b32 v1, v3, s[8:9]
.LBB4_12:
	s_wait_xcnt 0x0
	s_or_b32 exec_lo, exec_lo, s1
	s_wait_dscnt 0x0
	v_cmp_ne_u32_e32 vcc_lo, 0, v3
	s_mov_b32 s1, 0
	s_cbranch_vccnz .LBB4_32
; %bb.13:
	v_lshl_add_u32 v3, v0, 3, 0
                                        ; implicit-def: $vgpr17
                                        ; implicit-def: $vgpr18
	scratch_load_b64 v[14:15], v3, off
	s_wait_loadcnt 0x0
	v_cmp_ngt_f32_e64 s1, |v14|, |v15|
	s_wait_xcnt 0x0
	s_and_saveexec_b32 s8, s1
	s_delay_alu instid0(SALU_CYCLE_1)
	s_xor_b32 s1, exec_lo, s8
	s_cbranch_execz .LBB4_15
; %bb.14:
	v_div_scale_f32 v1, null, v15, v15, v14
	v_div_scale_f32 v13, vcc_lo, v14, v15, v14
	s_delay_alu instid0(VALU_DEP_2) | instskip(SKIP_1) | instid1(TRANS32_DEP_1)
	v_rcp_f32_e32 v9, v1
	v_nop
	v_fma_f32 v11, -v1, v9, 1.0
	s_delay_alu instid0(VALU_DEP_1) | instskip(NEXT) | instid1(VALU_DEP_1)
	v_fmac_f32_e32 v9, v11, v9
	v_mul_f32_e32 v11, v13, v9
	s_delay_alu instid0(VALU_DEP_1) | instskip(NEXT) | instid1(VALU_DEP_1)
	v_fma_f32 v16, -v1, v11, v13
	v_fmac_f32_e32 v11, v16, v9
	s_delay_alu instid0(VALU_DEP_1) | instskip(NEXT) | instid1(VALU_DEP_1)
	v_fma_f32 v1, -v1, v11, v13
	v_div_fmas_f32 v1, v1, v9, v11
	s_delay_alu instid0(VALU_DEP_1) | instskip(NEXT) | instid1(VALU_DEP_1)
	v_div_fixup_f32 v1, v1, v15, v14
	v_fmac_f32_e32 v15, v14, v1
	s_delay_alu instid0(VALU_DEP_1) | instskip(NEXT) | instid1(VALU_DEP_1)
	v_div_scale_f32 v9, null, v15, v15, -1.0
	v_rcp_f32_e32 v11, v9
	v_nop
	s_delay_alu instid0(TRANS32_DEP_1) | instskip(NEXT) | instid1(VALU_DEP_1)
	v_fma_f32 v13, -v9, v11, 1.0
	v_fmac_f32_e32 v11, v13, v11
	v_div_scale_f32 v13, vcc_lo, -1.0, v15, -1.0
	s_delay_alu instid0(VALU_DEP_1) | instskip(NEXT) | instid1(VALU_DEP_1)
	v_mul_f32_e32 v14, v13, v11
	v_fma_f32 v16, -v9, v14, v13
	s_delay_alu instid0(VALU_DEP_1) | instskip(NEXT) | instid1(VALU_DEP_1)
	v_fmac_f32_e32 v14, v16, v11
	v_fma_f32 v9, -v9, v14, v13
	s_delay_alu instid0(VALU_DEP_1) | instskip(NEXT) | instid1(VALU_DEP_1)
	v_div_fmas_f32 v9, v9, v11, v14
	v_div_fixup_f32 v17, v9, v15, -1.0
                                        ; implicit-def: $vgpr14_vgpr15
	s_delay_alu instid0(VALU_DEP_1) | instskip(NEXT) | instid1(VALU_DEP_1)
	v_mul_f32_e32 v18, v1, v17
	v_xor_b32_e32 v16, 0x80000000, v18
.LBB4_15:
	s_and_not1_saveexec_b32 s1, s1
	s_cbranch_execz .LBB4_17
; %bb.16:
	v_div_scale_f32 v1, null, v14, v14, v15
	v_div_scale_f32 v13, vcc_lo, v15, v14, v15
	s_delay_alu instid0(VALU_DEP_2) | instskip(SKIP_1) | instid1(TRANS32_DEP_1)
	v_rcp_f32_e32 v9, v1
	v_nop
	v_fma_f32 v11, -v1, v9, 1.0
	s_delay_alu instid0(VALU_DEP_1) | instskip(NEXT) | instid1(VALU_DEP_1)
	v_fmac_f32_e32 v9, v11, v9
	v_mul_f32_e32 v11, v13, v9
	s_delay_alu instid0(VALU_DEP_1) | instskip(NEXT) | instid1(VALU_DEP_1)
	v_fma_f32 v16, -v1, v11, v13
	v_fmac_f32_e32 v11, v16, v9
	s_delay_alu instid0(VALU_DEP_1) | instskip(NEXT) | instid1(VALU_DEP_1)
	v_fma_f32 v1, -v1, v11, v13
	v_div_fmas_f32 v1, v1, v9, v11
	s_delay_alu instid0(VALU_DEP_1) | instskip(NEXT) | instid1(VALU_DEP_1)
	v_div_fixup_f32 v1, v1, v14, v15
	v_fmac_f32_e32 v14, v15, v1
	s_delay_alu instid0(VALU_DEP_1) | instskip(SKIP_1) | instid1(VALU_DEP_2)
	v_div_scale_f32 v9, null, v14, v14, 1.0
	v_div_scale_f32 v15, vcc_lo, 1.0, v14, 1.0
	v_rcp_f32_e32 v11, v9
	v_nop
	s_delay_alu instid0(TRANS32_DEP_1) | instskip(NEXT) | instid1(VALU_DEP_1)
	v_fma_f32 v13, -v9, v11, 1.0
	v_fmac_f32_e32 v11, v13, v11
	s_delay_alu instid0(VALU_DEP_1) | instskip(NEXT) | instid1(VALU_DEP_1)
	v_mul_f32_e32 v13, v15, v11
	v_fma_f32 v16, -v9, v13, v15
	s_delay_alu instid0(VALU_DEP_1) | instskip(NEXT) | instid1(VALU_DEP_1)
	v_fmac_f32_e32 v13, v16, v11
	v_fma_f32 v9, -v9, v13, v15
	s_delay_alu instid0(VALU_DEP_1) | instskip(NEXT) | instid1(VALU_DEP_1)
	v_div_fmas_f32 v9, v9, v11, v13
	v_div_fixup_f32 v16, v9, v14, 1.0
	s_delay_alu instid0(VALU_DEP_1)
	v_xor_b32_e32 v18, 0x80000000, v16
	v_mul_f32_e64 v17, v1, -v16
.LBB4_17:
	s_or_b32 exec_lo, exec_lo, s1
	scratch_store_b64 v3, v[16:17], off
	scratch_load_b64 v[14:15], off, off offset:8
	v_xor_b32_e32 v19, 0x80000000, v17
	v_add_nc_u32_e32 v1, 48, v2
	s_wait_loadcnt 0x0
	ds_store_2addr_b64 v2, v[18:19], v[14:15] offset1:6
	s_wait_storecnt_dscnt 0x0
	s_barrier_signal -1
	s_barrier_wait -1
	s_wait_xcnt 0x0
	s_and_saveexec_b32 s1, s0
	s_cbranch_execz .LBB4_19
; %bb.18:
	scratch_load_b64 v[14:15], v3, off
	ds_load_b64 v[16:17], v1
	s_wait_loadcnt_dscnt 0x0
	v_pk_mul_f32 v[20:21], v[16:17], v[14:15] op_sel:[1,1] op_sel_hi:[0,1]
	s_delay_alu instid0(VALU_DEP_1) | instskip(SKIP_2) | instid1(VALU_DEP_3)
	v_pk_fma_f32 v[22:23], v[16:17], v[14:15], v[20:21] op_sel_hi:[1,0,1]
	v_mov_b32_e32 v9, 0
	v_pk_fma_f32 v[14:15], v[16:17], v[14:15], v[20:21] neg_lo:[0,0,1] neg_hi:[0,0,1]
	v_mov_b32_e32 v15, v23
	ds_load_b64 v[18:19], v9 offset:8
	v_pk_add_f32 v[14:15], v[14:15], 0 op_sel_hi:[1,0]
	s_wait_dscnt 0x0
	s_delay_alu instid0(VALU_DEP_1) | instskip(NEXT) | instid1(VALU_DEP_1)
	v_pk_mul_f32 v[16:17], v[14:15], v[18:19] op_sel:[1,1] op_sel_hi:[0,1]
	v_pk_fma_f32 v[20:21], v[14:15], v[18:19], v[16:17] op_sel_hi:[1,0,1]
	v_pk_fma_f32 v[14:15], v[14:15], v[18:19], v[16:17] neg_lo:[0,0,1] neg_hi:[0,0,1]
	s_delay_alu instid0(VALU_DEP_2)
	v_mov_b32_e32 v15, v21
	scratch_store_b64 off, v[14:15], off offset:8
.LBB4_19:
	s_wait_xcnt 0x0
	s_or_b32 exec_lo, exec_lo, s1
	s_wait_storecnt 0x0
	s_barrier_signal -1
	s_barrier_wait -1
	scratch_load_b64 v[14:15], off, off offset:16
	s_mov_b32 s1, exec_lo
	s_wait_loadcnt 0x0
	ds_store_b64 v1, v[14:15]
	s_wait_dscnt 0x0
	s_barrier_signal -1
	s_barrier_wait -1
	v_cmpx_gt_u32_e32 2, v0
	s_cbranch_execz .LBB4_23
; %bb.20:
	scratch_load_b64 v[14:15], v3, off
	ds_load_b64 v[16:17], v1
	s_wait_loadcnt_dscnt 0x0
	v_pk_mul_f32 v[18:19], v[16:17], v[14:15] op_sel:[1,1] op_sel_hi:[0,1]
	s_delay_alu instid0(VALU_DEP_1) | instskip(SKIP_1) | instid1(VALU_DEP_2)
	v_pk_fma_f32 v[20:21], v[16:17], v[14:15], v[18:19] op_sel_hi:[1,0,1]
	v_pk_fma_f32 v[14:15], v[16:17], v[14:15], v[18:19] neg_lo:[0,0,1] neg_hi:[0,0,1]
	v_mov_b32_e32 v15, v21
	s_delay_alu instid0(VALU_DEP_1)
	v_pk_add_f32 v[14:15], v[14:15], 0 op_sel_hi:[1,0]
	s_and_saveexec_b32 s8, s0
	s_cbranch_execz .LBB4_22
; %bb.21:
	scratch_load_b64 v[16:17], off, off offset:8
	v_mov_b32_e32 v3, 0
	ds_load_b64 v[18:19], v3 offset:56
	s_wait_loadcnt_dscnt 0x0
	v_pk_mul_f32 v[20:21], v[18:19], v[16:17] op_sel:[1,1] op_sel_hi:[0,1]
	s_delay_alu instid0(VALU_DEP_1) | instskip(SKIP_1) | instid1(VALU_DEP_2)
	v_pk_fma_f32 v[22:23], v[18:19], v[16:17], v[20:21] op_sel_hi:[1,0,1]
	v_pk_fma_f32 v[16:17], v[18:19], v[16:17], v[20:21] neg_lo:[0,0,1] neg_hi:[0,0,1]
	v_mov_b32_e32 v17, v23
	s_delay_alu instid0(VALU_DEP_1)
	v_pk_add_f32 v[14:15], v[14:15], v[16:17]
.LBB4_22:
	s_or_b32 exec_lo, exec_lo, s8
	v_mov_b32_e32 v3, 0
	ds_load_b64 v[16:17], v3 offset:16
	s_wait_dscnt 0x0
	v_pk_mul_f32 v[18:19], v[14:15], v[16:17] op_sel:[1,1] op_sel_hi:[0,1]
	s_delay_alu instid0(VALU_DEP_1) | instskip(SKIP_1) | instid1(VALU_DEP_2)
	v_pk_fma_f32 v[20:21], v[14:15], v[16:17], v[18:19] op_sel_hi:[1,0,1]
	v_pk_fma_f32 v[14:15], v[14:15], v[16:17], v[18:19] neg_lo:[0,0,1] neg_hi:[0,0,1]
	v_mov_b32_e32 v15, v21
	scratch_store_b64 off, v[14:15], off offset:16
.LBB4_23:
	s_wait_xcnt 0x0
	s_or_b32 exec_lo, exec_lo, s1
	s_wait_storecnt 0x0
	s_barrier_signal -1
	s_barrier_wait -1
	scratch_load_b64 v[14:15], off, off offset:24
	v_add_nc_u32_e32 v3, -1, v0
	s_mov_b32 s0, exec_lo
	s_wait_loadcnt 0x0
	ds_store_b64 v1, v[14:15]
	s_wait_dscnt 0x0
	s_barrier_signal -1
	s_barrier_wait -1
	v_cmpx_gt_u32_e32 3, v0
	s_cbranch_execz .LBB4_27
; %bb.24:
	v_dual_mov_b32 v14, 0 :: v_dual_add_nc_u32 v9, -1, v0
	v_dual_add_nc_u32 v11, 48, v2 :: v_dual_mov_b32 v13, v2
	s_mov_b32 s1, 0
	s_delay_alu instid0(VALU_DEP_2)
	v_mov_b32_e32 v15, v14
.LBB4_25:                               ; =>This Inner Loop Header: Depth=1
	scratch_load_b64 v[16:17], v13, off
	ds_load_b64 v[18:19], v11
	s_wait_xcnt 0x0
	v_dual_add_nc_u32 v11, 8, v11 :: v_dual_add_nc_u32 v13, 8, v13
	s_wait_loadcnt_dscnt 0x0
	v_pk_mul_f32 v[20:21], v[18:19], v[16:17] op_sel:[1,1] op_sel_hi:[0,1]
	s_delay_alu instid0(VALU_DEP_1) | instskip(SKIP_2) | instid1(VALU_DEP_3)
	v_pk_fma_f32 v[22:23], v[18:19], v[16:17], v[20:21] op_sel_hi:[1,0,1]
	v_add_nc_u32_e32 v9, 1, v9
	v_pk_fma_f32 v[16:17], v[18:19], v[16:17], v[20:21] neg_lo:[0,0,1] neg_hi:[0,0,1]
	v_mov_b32_e32 v17, v23
	s_delay_alu instid0(VALU_DEP_3) | instskip(NEXT) | instid1(VALU_DEP_2)
	v_cmp_lt_u32_e32 vcc_lo, 1, v9
	v_pk_add_f32 v[14:15], v[14:15], v[16:17]
	s_or_b32 s1, vcc_lo, s1
	s_delay_alu instid0(SALU_CYCLE_1)
	s_and_not1_b32 exec_lo, exec_lo, s1
	s_cbranch_execnz .LBB4_25
; %bb.26:
	s_or_b32 exec_lo, exec_lo, s1
	v_mov_b32_e32 v9, 0
	ds_load_b64 v[16:17], v9 offset:24
	s_wait_dscnt 0x0
	v_pk_mul_f32 v[18:19], v[14:15], v[16:17] op_sel:[1,1] op_sel_hi:[0,1]
	s_delay_alu instid0(VALU_DEP_1) | instskip(SKIP_1) | instid1(VALU_DEP_2)
	v_pk_fma_f32 v[20:21], v[14:15], v[16:17], v[18:19] op_sel_hi:[1,0,1]
	v_pk_fma_f32 v[14:15], v[14:15], v[16:17], v[18:19] neg_lo:[0,0,1] neg_hi:[0,0,1]
	v_mov_b32_e32 v15, v21
	scratch_store_b64 off, v[14:15], off offset:24
.LBB4_27:
	s_wait_xcnt 0x0
	s_or_b32 exec_lo, exec_lo, s0
	s_wait_storecnt 0x0
	s_barrier_signal -1
	s_barrier_wait -1
	scratch_load_b64 v[14:15], off, off offset:32
	s_mov_b32 s0, exec_lo
	s_wait_loadcnt 0x0
	ds_store_b64 v1, v[14:15]
	s_wait_dscnt 0x0
	s_barrier_signal -1
	s_barrier_wait -1
	v_cmpx_ne_u32_e32 4, v0
	s_cbranch_execz .LBB4_31
; %bb.28:
	v_mov_b32_e32 v14, 0
	s_mov_b32 s1, 0
	s_delay_alu instid0(VALU_DEP_1)
	v_mov_b32_e32 v15, v14
.LBB4_29:                               ; =>This Inner Loop Header: Depth=1
	scratch_load_b64 v[16:17], v2, off
	ds_load_b64 v[18:19], v1
	s_wait_xcnt 0x0
	v_dual_add_nc_u32 v1, 8, v1 :: v_dual_add_nc_u32 v2, 8, v2
	s_wait_loadcnt_dscnt 0x0
	v_pk_mul_f32 v[20:21], v[18:19], v[16:17] op_sel:[1,1] op_sel_hi:[0,1]
	s_delay_alu instid0(VALU_DEP_1) | instskip(SKIP_2) | instid1(VALU_DEP_3)
	v_pk_fma_f32 v[22:23], v[18:19], v[16:17], v[20:21] op_sel_hi:[1,0,1]
	v_add_nc_u32_e32 v3, 1, v3
	v_pk_fma_f32 v[16:17], v[18:19], v[16:17], v[20:21] neg_lo:[0,0,1] neg_hi:[0,0,1]
	v_mov_b32_e32 v17, v23
	s_delay_alu instid0(VALU_DEP_3) | instskip(NEXT) | instid1(VALU_DEP_2)
	v_cmp_lt_u32_e32 vcc_lo, 2, v3
	v_pk_add_f32 v[14:15], v[14:15], v[16:17]
	s_or_b32 s1, vcc_lo, s1
	s_delay_alu instid0(SALU_CYCLE_1)
	s_and_not1_b32 exec_lo, exec_lo, s1
	s_cbranch_execnz .LBB4_29
; %bb.30:
	s_or_b32 exec_lo, exec_lo, s1
	v_mov_b32_e32 v1, 0
	ds_load_b64 v[2:3], v1 offset:32
	s_wait_dscnt 0x0
	v_pk_mul_f32 v[16:17], v[14:15], v[2:3] op_sel:[1,1] op_sel_hi:[0,1]
	s_delay_alu instid0(VALU_DEP_1) | instskip(SKIP_1) | instid1(VALU_DEP_2)
	v_pk_fma_f32 v[18:19], v[14:15], v[2:3], v[16:17] op_sel_hi:[1,0,1]
	v_pk_fma_f32 v[2:3], v[14:15], v[2:3], v[16:17] neg_lo:[0,0,1] neg_hi:[0,0,1]
	v_mov_b32_e32 v3, v19
	scratch_store_b64 off, v[2:3], off offset:32
.LBB4_31:
	s_wait_xcnt 0x0
	s_or_b32 exec_lo, exec_lo, s0
	s_mov_b32 s1, -1
	s_wait_storecnt 0x0
	s_barrier_signal -1
	s_barrier_wait -1
.LBB4_32:
	s_and_b32 vcc_lo, exec_lo, s1
	s_cbranch_vccz .LBB4_34
; %bb.33:
	v_mov_b32_e32 v1, 0
	s_lshl_b64 s[0:1], s[16:17], 2
	s_delay_alu instid0(SALU_CYCLE_1)
	s_add_nc_u64 s[0:1], s[6:7], s[0:1]
	global_load_b32 v1, v1, s[0:1]
	s_wait_loadcnt 0x0
	v_cmp_ne_u32_e32 vcc_lo, 0, v1
	s_cbranch_vccz .LBB4_35
.LBB4_34:
	s_endpgm
.LBB4_35:
	s_wait_xcnt 0x0
	v_lshl_add_u32 v1, v0, 3, 48
	s_mov_b32 s0, exec_lo
	v_cmpx_eq_u32_e32 4, v0
	s_cbranch_execz .LBB4_37
; %bb.36:
	scratch_load_b64 v[2:3], off, off offset:24
	v_mov_b64_e32 v[14:15], 0
	scratch_store_b64 off, v[14:15], off offset:24
	s_wait_loadcnt 0x0
	ds_store_b64 v1, v[2:3]
.LBB4_37:
	s_wait_xcnt 0x0
	s_or_b32 exec_lo, exec_lo, s0
	s_wait_storecnt_dscnt 0x0
	s_barrier_signal -1
	s_barrier_wait -1
	s_clause 0x1
	scratch_load_b64 v[14:15], off, off offset:32
	scratch_load_b64 v[16:17], off, off offset:24
	v_mov_b32_e32 v2, 0
	s_mov_b32 s0, exec_lo
	ds_load_b64 v[18:19], v2 offset:80
	s_wait_loadcnt_dscnt 0x100
	v_pk_mul_f32 v[20:21], v[18:19], v[14:15] op_sel:[1,1] op_sel_hi:[0,1]
	s_delay_alu instid0(VALU_DEP_1) | instskip(SKIP_1) | instid1(VALU_DEP_2)
	v_pk_fma_f32 v[22:23], v[18:19], v[14:15], v[20:21] op_sel_hi:[1,0,1]
	v_pk_fma_f32 v[14:15], v[18:19], v[14:15], v[20:21] neg_lo:[0,0,1] neg_hi:[0,0,1]
	v_mov_b32_e32 v15, v23
	s_delay_alu instid0(VALU_DEP_1) | instskip(SKIP_1) | instid1(VALU_DEP_1)
	v_pk_add_f32 v[14:15], v[14:15], 0 op_sel_hi:[1,0]
	s_wait_loadcnt 0x0
	v_pk_add_f32 v[14:15], v[16:17], v[14:15] neg_lo:[0,1] neg_hi:[0,1]
	scratch_store_b64 off, v[14:15], off offset:24
	s_wait_xcnt 0x0
	v_cmpx_lt_u32_e32 2, v0
	s_cbranch_execz .LBB4_39
; %bb.38:
	scratch_load_b64 v[14:15], off, off offset:16
	v_mov_b64_e32 v[16:17], 0
	scratch_store_b64 off, v[16:17], off offset:16
	s_wait_loadcnt 0x0
	ds_store_b64 v1, v[14:15]
.LBB4_39:
	s_wait_xcnt 0x0
	s_or_b32 exec_lo, exec_lo, s0
	s_wait_storecnt_dscnt 0x0
	s_barrier_signal -1
	s_barrier_wait -1
	s_clause 0x1
	scratch_load_b128 v[14:17], off, off offset:24
	scratch_load_b64 v[22:23], off, off offset:16
	ds_load_2addr_b64 v[18:21], v2 offset0:9 offset1:10
	s_mov_b32 s0, exec_lo
	s_wait_dscnt 0x0
	v_dual_mov_b32 v2, v21 :: v_dual_mov_b32 v3, v20
	s_wait_loadcnt 0x1
	v_pk_mul_f32 v[24:25], v[18:19], v[14:15] op_sel:[1,1] op_sel_hi:[0,1]
	s_delay_alu instid0(VALU_DEP_1) | instskip(SKIP_2) | instid1(VALU_DEP_3)
	v_pk_fma_f32 v[28:29], v[18:19], v[14:15], v[24:25] op_sel_hi:[1,0,1]
	v_mov_b32_e32 v26, v17
	v_pk_fma_f32 v[14:15], v[18:19], v[14:15], v[24:25] neg_lo:[0,0,1] neg_hi:[0,0,1]
	v_mov_b32_e32 v15, v29
	s_delay_alu instid0(VALU_DEP_3) | instskip(NEXT) | instid1(VALU_DEP_2)
	v_pk_mul_f32 v[2:3], v[2:3], v[26:27] op_sel_hi:[1,0]
	v_pk_add_f32 v[14:15], v[14:15], 0 op_sel_hi:[1,0]
	s_delay_alu instid0(VALU_DEP_2) | instskip(SKIP_1) | instid1(VALU_DEP_2)
	v_pk_fma_f32 v[18:19], v[20:21], v[16:17], v[2:3] op_sel_hi:[1,0,1]
	v_pk_fma_f32 v[2:3], v[20:21], v[16:17], v[2:3] neg_lo:[0,0,1] neg_hi:[0,0,1]
	v_mov_b32_e32 v3, v19
	s_delay_alu instid0(VALU_DEP_1) | instskip(SKIP_1) | instid1(VALU_DEP_1)
	v_pk_add_f32 v[2:3], v[14:15], v[2:3]
	s_wait_loadcnt 0x0
	v_pk_add_f32 v[2:3], v[22:23], v[2:3] neg_lo:[0,1] neg_hi:[0,1]
	scratch_store_b64 off, v[2:3], off offset:16
	s_wait_xcnt 0x0
	v_cmpx_lt_u32_e32 1, v0
	s_cbranch_execz .LBB4_41
; %bb.40:
	scratch_load_b64 v[2:3], off, off offset:8
	v_mov_b64_e32 v[14:15], 0
	scratch_store_b64 off, v[14:15], off offset:8
	s_wait_loadcnt 0x0
	ds_store_b64 v1, v[2:3]
.LBB4_41:
	s_wait_xcnt 0x0
	s_or_b32 exec_lo, exec_lo, s0
	s_wait_storecnt_dscnt 0x0
	s_barrier_signal -1
	s_barrier_wait -1
	s_clause 0x2
	scratch_load_b128 v[16:19], off, off offset:16
	scratch_load_b64 v[2:3], off, off offset:32
	scratch_load_b64 v[24:25], off, off offset:8
	v_mov_b32_e32 v14, 0
	ds_load_b128 v[20:23], v14 offset:64
	ds_load_b64 v[26:27], v14 offset:80
	v_dual_ashrrev_i32 v11, 31, v10 :: v_dual_ashrrev_i32 v13, 31, v12
	s_mov_b32 s0, exec_lo
	s_wait_dscnt 0x1
	v_dual_mov_b32 v28, v23 :: v_dual_ashrrev_i32 v9, 31, v8
	s_wait_loadcnt 0x2
	v_dual_mov_b32 v29, v22 :: v_dual_mov_b32 v32, v19
	v_pk_mul_f32 v[30:31], v[20:21], v[16:17] op_sel:[1,1] op_sel_hi:[0,1]
	s_delay_alu instid0(VALU_DEP_2) | instskip(NEXT) | instid1(VALU_DEP_2)
	v_pk_mul_f32 v[28:29], v[28:29], v[32:33] op_sel_hi:[1,0]
	v_pk_fma_f32 v[34:35], v[20:21], v[16:17], v[30:31] op_sel_hi:[1,0,1]
	v_pk_fma_f32 v[16:17], v[20:21], v[16:17], v[30:31] neg_lo:[0,0,1] neg_hi:[0,0,1]
	s_wait_loadcnt_dscnt 0x100
	v_pk_mul_f32 v[30:31], v[26:27], v[2:3] op_sel:[1,1] op_sel_hi:[0,1]
	v_pk_fma_f32 v[20:21], v[22:23], v[18:19], v[28:29] op_sel_hi:[1,0,1]
	v_mov_b32_e32 v17, v35
	v_pk_fma_f32 v[18:19], v[22:23], v[18:19], v[28:29] neg_lo:[0,0,1] neg_hi:[0,0,1]
	s_delay_alu instid0(VALU_DEP_3) | instskip(NEXT) | instid1(VALU_DEP_3)
	v_mov_b32_e32 v19, v21
	v_pk_add_f32 v[16:17], v[16:17], 0 op_sel_hi:[1,0]
	v_pk_fma_f32 v[20:21], v[26:27], v[2:3], v[30:31] op_sel_hi:[1,0,1]
	v_pk_fma_f32 v[2:3], v[26:27], v[2:3], v[30:31] neg_lo:[0,0,1] neg_hi:[0,0,1]
	s_delay_alu instid0(VALU_DEP_3) | instskip(NEXT) | instid1(VALU_DEP_3)
	v_pk_add_f32 v[16:17], v[16:17], v[18:19]
	v_mov_b32_e32 v3, v21
	s_delay_alu instid0(VALU_DEP_1) | instskip(SKIP_1) | instid1(VALU_DEP_1)
	v_pk_add_f32 v[2:3], v[16:17], v[2:3]
	s_wait_loadcnt 0x0
	v_pk_add_f32 v[2:3], v[24:25], v[2:3] neg_lo:[0,1] neg_hi:[0,1]
	scratch_store_b64 off, v[2:3], off offset:8
	s_wait_xcnt 0x0
	v_cmpx_ne_u32_e32 0, v0
	s_cbranch_execz .LBB4_43
; %bb.42:
	scratch_load_b64 v[2:3], off, off
	v_mov_b64_e32 v[16:17], 0
	scratch_store_b64 off, v[16:17], off
	s_wait_loadcnt 0x0
	ds_store_b64 v1, v[2:3]
.LBB4_43:
	s_wait_xcnt 0x0
	s_or_b32 exec_lo, exec_lo, s0
	s_wait_storecnt_dscnt 0x0
	s_barrier_signal -1
	s_barrier_wait -1
	s_clause 0x2
	scratch_load_b128 v[16:19], off, off offset:8
	scratch_load_b128 v[0:3], off, off offset:24
	scratch_load_b64 v[28:29], off, off
	ds_load_2addr_b64 v[20:23], v14 offset0:7 offset1:8
	ds_load_2addr_b64 v[24:27], v14 offset0:9 offset1:10
	s_and_b32 vcc_lo, exec_lo, s18
	s_wait_dscnt 0x1
	v_dual_mov_b32 v14, v23 :: v_dual_mov_b32 v15, v22
	s_wait_dscnt 0x0
	v_dual_mov_b32 v35, v26 :: v_dual_mov_b32 v34, v27
	s_wait_loadcnt 0x2
	v_mov_b32_e32 v32, v19
	v_pk_mul_f32 v[30:31], v[20:21], v[16:17] op_sel:[1,1] op_sel_hi:[0,1]
	s_delay_alu instid0(VALU_DEP_2) | instskip(NEXT) | instid1(VALU_DEP_2)
	v_pk_mul_f32 v[14:15], v[14:15], v[32:33] op_sel_hi:[1,0]
	v_pk_fma_f32 v[36:37], v[20:21], v[16:17], v[30:31] op_sel_hi:[1,0,1]
	v_pk_fma_f32 v[16:17], v[20:21], v[16:17], v[30:31] neg_lo:[0,0,1] neg_hi:[0,0,1]
	s_wait_loadcnt 0x1
	v_pk_mul_f32 v[32:33], v[24:25], v[0:1] op_sel:[1,1] op_sel_hi:[0,1]
	v_mov_b32_e32 v36, v3
	v_pk_fma_f32 v[20:21], v[22:23], v[18:19], v[14:15] op_sel_hi:[1,0,1]
	v_mov_b32_e32 v17, v37
	v_pk_fma_f32 v[14:15], v[22:23], v[18:19], v[14:15] neg_lo:[0,0,1] neg_hi:[0,0,1]
	v_pk_fma_f32 v[30:31], v[24:25], v[0:1], v[32:33] op_sel_hi:[1,0,1]
	v_pk_mul_f32 v[34:35], v[34:35], v[36:37] op_sel_hi:[1,0]
	v_mov_b32_e32 v15, v21
	v_pk_add_f32 v[16:17], v[16:17], 0 op_sel_hi:[1,0]
	v_pk_fma_f32 v[18:19], v[24:25], v[0:1], v[32:33] neg_lo:[0,0,1] neg_hi:[0,0,1]
	s_delay_alu instid0(VALU_DEP_4) | instskip(SKIP_1) | instid1(VALU_DEP_4)
	v_pk_fma_f32 v[20:21], v[26:27], v[2:3], v[34:35] op_sel_hi:[1,0,1]
	v_mov_b32_e32 v19, v31
	v_pk_add_f32 v[14:15], v[16:17], v[14:15]
	v_pk_fma_f32 v[2:3], v[26:27], v[2:3], v[34:35] neg_lo:[0,0,1] neg_hi:[0,0,1]
	s_delay_alu instid0(VALU_DEP_4) | instskip(NEXT) | instid1(VALU_DEP_3)
	v_mov_b32_e32 v3, v21
	v_pk_add_f32 v[14:15], v[14:15], v[18:19]
	s_delay_alu instid0(VALU_DEP_1) | instskip(SKIP_1) | instid1(VALU_DEP_1)
	v_pk_add_f32 v[2:3], v[14:15], v[2:3]
	s_wait_loadcnt 0x0
	v_pk_add_f32 v[2:3], v[28:29], v[2:3] neg_lo:[0,1] neg_hi:[0,1]
	scratch_store_b64 off, v[2:3], off
	s_cbranch_vccz .LBB4_52
; %bb.44:
	s_wait_xcnt 0x0
	v_mov_b32_e32 v2, 0
	global_load_b32 v3, v2, s[2:3] offset:12
	s_wait_loadcnt 0x0
	v_cmp_ne_u32_e32 vcc_lo, 4, v3
	s_cbranch_vccz .LBB4_46
; %bb.45:
	v_lshlrev_b32_e32 v3, 3, v3
	scratch_load_b64 v[14:15], v3, off offset:-8
	s_wait_loadcnt 0x0
	scratch_store_b64 off, v[14:15], off offset:24
	scratch_store_b64 v3, v[0:1], off offset:-8
.LBB4_46:
	global_load_b32 v0, v2, s[2:3] offset:8
	s_wait_loadcnt 0x0
	v_cmp_eq_u32_e32 vcc_lo, 3, v0
	s_cbranch_vccnz .LBB4_48
; %bb.47:
	v_lshlrev_b32_e32 v0, 3, v0
	s_delay_alu instid0(VALU_DEP_1)
	v_mov_b32_e32 v14, v0
	scratch_load_b64 v[0:1], v14, off offset:-8
	scratch_load_b64 v[2:3], off, off offset:16
	s_wait_loadcnt 0x1
	scratch_store_b64 off, v[0:1], off offset:16
	s_wait_loadcnt 0x0
	scratch_store_b64 v14, v[2:3], off offset:-8
.LBB4_48:
	s_wait_xcnt 0x1
	v_mov_b32_e32 v0, 0
	global_load_b32 v1, v0, s[2:3] offset:4
	s_wait_loadcnt 0x0
	v_cmp_eq_u32_e32 vcc_lo, 2, v1
	s_cbranch_vccnz .LBB4_50
; %bb.49:
	v_lshlrev_b32_e32 v1, 3, v1
	scratch_load_b64 v[2:3], v1, off offset:-8
	scratch_load_b64 v[14:15], off, off offset:8
	s_wait_loadcnt 0x1
	scratch_store_b64 off, v[2:3], off offset:8
	s_wait_loadcnt 0x0
	scratch_store_b64 v1, v[14:15], off offset:-8
.LBB4_50:
	global_load_b32 v0, v0, s[2:3]
	scratch_load_b64 v[2:3], off, off
	s_wait_loadcnt 0x1
	v_cmp_eq_u32_e32 vcc_lo, 1, v0
	s_cbranch_vccnz .LBB4_52
; %bb.51:
	s_wait_xcnt 0x1
	v_lshlrev_b32_e32 v0, 3, v0
	s_delay_alu instid0(VALU_DEP_1)
	v_mov_b32_e32 v14, v0
	scratch_load_b64 v[0:1], v14, off offset:-8
	s_wait_loadcnt 0x0
	scratch_store_b64 off, v[0:1], off
	scratch_store_b64 v14, v[2:3], off offset:-8
	scratch_load_b64 v[2:3], off, off
.LBB4_52:
	v_lshl_add_u64 v[14:15], v[8:9], 3, s[4:5]
	s_wait_xcnt 0x1
	v_lshl_add_u64 v[0:1], v[10:11], 3, s[4:5]
	v_lshl_add_u64 v[8:9], v[12:13], 3, s[4:5]
	s_clause 0x1
	scratch_load_b128 v[10:13], off, off offset:8
	scratch_load_b128 v[16:19], off, off offset:24
	s_wait_loadcnt 0x2
	global_store_b64 v[4:5], v[2:3], off
	s_wait_loadcnt 0x1
	s_clause 0x1
	global_store_b64 v[6:7], v[10:11], off
	global_store_b64 v[14:15], v[12:13], off
	s_wait_loadcnt 0x0
	s_clause 0x1
	global_store_b64 v[0:1], v[16:17], off
	global_store_b64 v[8:9], v[18:19], off
	s_endpgm
	.section	.rodata,"a",@progbits
	.p2align	6, 0x0
	.amdhsa_kernel _ZN9rocsolver6v33100L18getri_kernel_smallILi5E19rocblas_complex_numIfEPS3_EEvT1_iilPiilS6_bb
		.amdhsa_group_segment_fixed_size 88
		.amdhsa_private_segment_fixed_size 48
		.amdhsa_kernarg_size 60
		.amdhsa_user_sgpr_count 2
		.amdhsa_user_sgpr_dispatch_ptr 0
		.amdhsa_user_sgpr_queue_ptr 0
		.amdhsa_user_sgpr_kernarg_segment_ptr 1
		.amdhsa_user_sgpr_dispatch_id 0
		.amdhsa_user_sgpr_kernarg_preload_length 0
		.amdhsa_user_sgpr_kernarg_preload_offset 0
		.amdhsa_user_sgpr_private_segment_size 0
		.amdhsa_wavefront_size32 1
		.amdhsa_uses_dynamic_stack 0
		.amdhsa_enable_private_segment 1
		.amdhsa_system_sgpr_workgroup_id_x 1
		.amdhsa_system_sgpr_workgroup_id_y 0
		.amdhsa_system_sgpr_workgroup_id_z 0
		.amdhsa_system_sgpr_workgroup_info 0
		.amdhsa_system_vgpr_workitem_id 0
		.amdhsa_next_free_vgpr 38
		.amdhsa_next_free_sgpr 19
		.amdhsa_named_barrier_count 0
		.amdhsa_reserve_vcc 1
		.amdhsa_float_round_mode_32 0
		.amdhsa_float_round_mode_16_64 0
		.amdhsa_float_denorm_mode_32 3
		.amdhsa_float_denorm_mode_16_64 3
		.amdhsa_fp16_overflow 0
		.amdhsa_memory_ordered 1
		.amdhsa_forward_progress 1
		.amdhsa_inst_pref_size 31
		.amdhsa_round_robin_scheduling 0
		.amdhsa_exception_fp_ieee_invalid_op 0
		.amdhsa_exception_fp_denorm_src 0
		.amdhsa_exception_fp_ieee_div_zero 0
		.amdhsa_exception_fp_ieee_overflow 0
		.amdhsa_exception_fp_ieee_underflow 0
		.amdhsa_exception_fp_ieee_inexact 0
		.amdhsa_exception_int_div_zero 0
	.end_amdhsa_kernel
	.section	.text._ZN9rocsolver6v33100L18getri_kernel_smallILi5E19rocblas_complex_numIfEPS3_EEvT1_iilPiilS6_bb,"axG",@progbits,_ZN9rocsolver6v33100L18getri_kernel_smallILi5E19rocblas_complex_numIfEPS3_EEvT1_iilPiilS6_bb,comdat
.Lfunc_end4:
	.size	_ZN9rocsolver6v33100L18getri_kernel_smallILi5E19rocblas_complex_numIfEPS3_EEvT1_iilPiilS6_bb, .Lfunc_end4-_ZN9rocsolver6v33100L18getri_kernel_smallILi5E19rocblas_complex_numIfEPS3_EEvT1_iilPiilS6_bb
                                        ; -- End function
	.set _ZN9rocsolver6v33100L18getri_kernel_smallILi5E19rocblas_complex_numIfEPS3_EEvT1_iilPiilS6_bb.num_vgpr, 38
	.set _ZN9rocsolver6v33100L18getri_kernel_smallILi5E19rocblas_complex_numIfEPS3_EEvT1_iilPiilS6_bb.num_agpr, 0
	.set _ZN9rocsolver6v33100L18getri_kernel_smallILi5E19rocblas_complex_numIfEPS3_EEvT1_iilPiilS6_bb.numbered_sgpr, 19
	.set _ZN9rocsolver6v33100L18getri_kernel_smallILi5E19rocblas_complex_numIfEPS3_EEvT1_iilPiilS6_bb.num_named_barrier, 0
	.set _ZN9rocsolver6v33100L18getri_kernel_smallILi5E19rocblas_complex_numIfEPS3_EEvT1_iilPiilS6_bb.private_seg_size, 48
	.set _ZN9rocsolver6v33100L18getri_kernel_smallILi5E19rocblas_complex_numIfEPS3_EEvT1_iilPiilS6_bb.uses_vcc, 1
	.set _ZN9rocsolver6v33100L18getri_kernel_smallILi5E19rocblas_complex_numIfEPS3_EEvT1_iilPiilS6_bb.uses_flat_scratch, 1
	.set _ZN9rocsolver6v33100L18getri_kernel_smallILi5E19rocblas_complex_numIfEPS3_EEvT1_iilPiilS6_bb.has_dyn_sized_stack, 0
	.set _ZN9rocsolver6v33100L18getri_kernel_smallILi5E19rocblas_complex_numIfEPS3_EEvT1_iilPiilS6_bb.has_recursion, 0
	.set _ZN9rocsolver6v33100L18getri_kernel_smallILi5E19rocblas_complex_numIfEPS3_EEvT1_iilPiilS6_bb.has_indirect_call, 0
	.section	.AMDGPU.csdata,"",@progbits
; Kernel info:
; codeLenInByte = 3884
; TotalNumSgprs: 21
; NumVgprs: 38
; ScratchSize: 48
; MemoryBound: 0
; FloatMode: 240
; IeeeMode: 1
; LDSByteSize: 88 bytes/workgroup (compile time only)
; SGPRBlocks: 0
; VGPRBlocks: 2
; NumSGPRsForWavesPerEU: 21
; NumVGPRsForWavesPerEU: 38
; NamedBarCnt: 0
; Occupancy: 16
; WaveLimiterHint : 0
; COMPUTE_PGM_RSRC2:SCRATCH_EN: 1
; COMPUTE_PGM_RSRC2:USER_SGPR: 2
; COMPUTE_PGM_RSRC2:TRAP_HANDLER: 0
; COMPUTE_PGM_RSRC2:TGID_X_EN: 1
; COMPUTE_PGM_RSRC2:TGID_Y_EN: 0
; COMPUTE_PGM_RSRC2:TGID_Z_EN: 0
; COMPUTE_PGM_RSRC2:TIDIG_COMP_CNT: 0
	.section	.text._ZN9rocsolver6v33100L18getri_kernel_smallILi6E19rocblas_complex_numIfEPS3_EEvT1_iilPiilS6_bb,"axG",@progbits,_ZN9rocsolver6v33100L18getri_kernel_smallILi6E19rocblas_complex_numIfEPS3_EEvT1_iilPiilS6_bb,comdat
	.globl	_ZN9rocsolver6v33100L18getri_kernel_smallILi6E19rocblas_complex_numIfEPS3_EEvT1_iilPiilS6_bb ; -- Begin function _ZN9rocsolver6v33100L18getri_kernel_smallILi6E19rocblas_complex_numIfEPS3_EEvT1_iilPiilS6_bb
	.p2align	8
	.type	_ZN9rocsolver6v33100L18getri_kernel_smallILi6E19rocblas_complex_numIfEPS3_EEvT1_iilPiilS6_bb,@function
_ZN9rocsolver6v33100L18getri_kernel_smallILi6E19rocblas_complex_numIfEPS3_EEvT1_iilPiilS6_bb: ; @_ZN9rocsolver6v33100L18getri_kernel_smallILi6E19rocblas_complex_numIfEPS3_EEvT1_iilPiilS6_bb
; %bb.0:
	s_mov_b32 s2, exec_lo
	v_cmpx_gt_u32_e32 6, v0
	s_cbranch_execz .LBB5_38
; %bb.1:
	s_clause 0x2
	s_load_b32 s2, s[0:1], 0x38
	s_load_b128 s[12:15], s[0:1], 0x10
	s_load_b128 s[4:7], s[0:1], 0x28
	s_getreg_b32 s9, hwreg(HW_REG_IB_STS2, 6, 4)
	s_wait_kmcnt 0x0
	s_bitcmp1_b32 s2, 8
	s_cselect_b32 s18, -1, 0
	s_bfe_u32 s3, ttmp6, 0x4000c
	s_and_b32 s8, ttmp6, 15
	s_add_co_i32 s3, s3, 1
	s_delay_alu instid0(SALU_CYCLE_1) | instskip(NEXT) | instid1(SALU_CYCLE_1)
	s_mul_i32 s3, ttmp9, s3
	s_add_co_i32 s8, s8, s3
	s_cmp_eq_u32 s9, 0
	s_cselect_b32 s16, ttmp9, s8
	s_bfe_u32 s2, s2, 0x10008
	s_ashr_i32 s17, s16, 31
	s_cmp_eq_u32 s2, 0
                                        ; implicit-def: $sgpr2_sgpr3
	s_cbranch_scc1 .LBB5_3
; %bb.2:
	s_load_b32 s2, s[0:1], 0x20
	s_mul_u64 s[4:5], s[4:5], s[16:17]
	s_delay_alu instid0(SALU_CYCLE_1) | instskip(NEXT) | instid1(SALU_CYCLE_1)
	s_lshl_b64 s[4:5], s[4:5], 2
	s_add_nc_u64 s[4:5], s[14:15], s[4:5]
	s_wait_kmcnt 0x0
	s_ashr_i32 s3, s2, 31
	s_delay_alu instid0(SALU_CYCLE_1) | instskip(NEXT) | instid1(SALU_CYCLE_1)
	s_lshl_b64 s[2:3], s[2:3], 2
	s_add_nc_u64 s[2:3], s[4:5], s[2:3]
.LBB5_3:
	s_clause 0x1
	s_load_b128 s[8:11], s[0:1], 0x0
	s_load_b32 s14, s[0:1], 0x38
	s_wait_xcnt 0x0
	s_mul_u64 s[0:1], s[12:13], s[16:17]
	v_dual_mov_b32 v3, 0 :: v_dual_lshlrev_b32 v2, 3, v0
	s_lshl_b64 s[0:1], s[0:1], 3
	s_wait_kmcnt 0x0
	s_ashr_i32 s5, s10, 31
	s_mov_b32 s4, s10
	v_add3_u32 v8, s11, s11, v0
	s_add_nc_u64 s[0:1], s[8:9], s[0:1]
	s_lshl_b64 s[4:5], s[4:5], 3
	s_delay_alu instid0(SALU_CYCLE_1) | instskip(NEXT) | instid1(VALU_DEP_1)
	s_add_nc_u64 s[4:5], s[0:1], s[4:5]
	v_add_nc_u32_e32 v10, s11, v8
	v_add_nc_u64_e32 v[4:5], s[4:5], v[2:3]
	s_ashr_i32 s1, s11, 31
	s_mov_b32 s0, s11
	s_bitcmp0_b32 s14, 0
	v_add_nc_u32_e32 v12, s11, v10
	s_delay_alu instid0(VALU_DEP_2) | instskip(SKIP_1) | instid1(VALU_DEP_2)
	v_lshl_add_u64 v[6:7], s[0:1], 3, v[4:5]
	s_mov_b32 s1, -1
	v_add_nc_u32_e32 v14, s11, v12
	s_clause 0x5
	global_load_b64 v[16:17], v0, s[4:5] scale_offset
	global_load_b64 v[18:19], v[6:7], off
	global_load_b64 v[20:21], v8, s[4:5] scale_offset
	global_load_b64 v[22:23], v10, s[4:5] scale_offset
	;; [unrolled: 1-line block ×4, first 2 shown]
	s_wait_loadcnt 0x4
	scratch_store_b128 off, v[16:19], off
	s_wait_loadcnt 0x2
	scratch_store_b128 off, v[20:23], off offset:16
	s_wait_loadcnt 0x0
	scratch_store_b128 off, v[24:27], off offset:32
	s_cbranch_scc1 .LBB5_36
; %bb.4:
	v_cmp_eq_u32_e64 s0, 0, v0
	s_wait_xcnt 0x0
	s_and_saveexec_b32 s1, s0
; %bb.5:
	v_mov_b32_e32 v1, 0
	ds_store_b32 v1, v1 offset:96
; %bb.6:
	s_or_b32 exec_lo, exec_lo, s1
	s_wait_storecnt_dscnt 0x0
	s_barrier_signal -1
	s_barrier_wait -1
	scratch_load_b64 v[16:17], v0, off scale_offset
	s_wait_loadcnt 0x0
	v_cmp_eq_f32_e32 vcc_lo, 0, v16
	v_cmp_eq_f32_e64 s1, 0, v17
	s_and_b32 s1, vcc_lo, s1
	s_delay_alu instid0(SALU_CYCLE_1)
	s_and_saveexec_b32 s8, s1
	s_cbranch_execz .LBB5_10
; %bb.7:
	v_mov_b32_e32 v1, 0
	s_mov_b32 s9, 0
	ds_load_b32 v3, v1 offset:96
	s_wait_dscnt 0x0
	v_readfirstlane_b32 s1, v3
	v_add_nc_u32_e32 v3, 1, v0
	s_cmp_eq_u32 s1, 0
	s_delay_alu instid0(VALU_DEP_1) | instskip(SKIP_1) | instid1(SALU_CYCLE_1)
	v_cmp_gt_i32_e32 vcc_lo, s1, v3
	s_cselect_b32 s10, -1, 0
	s_or_b32 s10, s10, vcc_lo
	s_delay_alu instid0(SALU_CYCLE_1)
	s_and_b32 exec_lo, exec_lo, s10
	s_cbranch_execz .LBB5_10
; %bb.8:
	v_mov_b32_e32 v9, s1
.LBB5_9:                                ; =>This Inner Loop Header: Depth=1
	ds_cmpstore_rtn_b32 v9, v1, v3, v9 offset:96
	s_wait_dscnt 0x0
	v_cmp_ne_u32_e32 vcc_lo, 0, v9
	v_cmp_le_i32_e64 s1, v9, v3
	s_and_b32 s1, vcc_lo, s1
	s_delay_alu instid0(SALU_CYCLE_1) | instskip(NEXT) | instid1(SALU_CYCLE_1)
	s_and_b32 s1, exec_lo, s1
	s_or_b32 s9, s1, s9
	s_delay_alu instid0(SALU_CYCLE_1)
	s_and_not1_b32 exec_lo, exec_lo, s9
	s_cbranch_execnz .LBB5_9
.LBB5_10:
	s_or_b32 exec_lo, exec_lo, s8
	v_mov_b32_e32 v1, 0
	s_barrier_signal -1
	s_barrier_wait -1
	ds_load_b32 v3, v1 offset:96
	s_and_saveexec_b32 s1, s0
	s_cbranch_execz .LBB5_12
; %bb.11:
	s_lshl_b64 s[8:9], s[16:17], 2
	s_delay_alu instid0(SALU_CYCLE_1)
	s_add_nc_u64 s[8:9], s[6:7], s[8:9]
	s_wait_dscnt 0x0
	global_store_b32 v1, v3, s[8:9]
.LBB5_12:
	s_wait_xcnt 0x0
	s_or_b32 exec_lo, exec_lo, s1
	s_wait_dscnt 0x0
	v_cmp_ne_u32_e32 vcc_lo, 0, v3
	s_mov_b32 s1, 0
	s_cbranch_vccnz .LBB5_36
; %bb.13:
	v_lshl_add_u32 v3, v0, 3, 0
                                        ; implicit-def: $vgpr19
                                        ; implicit-def: $vgpr20
	scratch_load_b64 v[16:17], v3, off
	s_wait_loadcnt 0x0
	v_cmp_ngt_f32_e64 s1, |v16|, |v17|
	s_wait_xcnt 0x0
	s_and_saveexec_b32 s8, s1
	s_delay_alu instid0(SALU_CYCLE_1)
	s_xor_b32 s1, exec_lo, s8
	s_cbranch_execz .LBB5_15
; %bb.14:
	v_div_scale_f32 v1, null, v17, v17, v16
	v_div_scale_f32 v13, vcc_lo, v16, v17, v16
	s_delay_alu instid0(VALU_DEP_2) | instskip(SKIP_1) | instid1(TRANS32_DEP_1)
	v_rcp_f32_e32 v9, v1
	v_nop
	v_fma_f32 v11, -v1, v9, 1.0
	s_delay_alu instid0(VALU_DEP_1) | instskip(NEXT) | instid1(VALU_DEP_1)
	v_fmac_f32_e32 v9, v11, v9
	v_mul_f32_e32 v11, v13, v9
	s_delay_alu instid0(VALU_DEP_1) | instskip(NEXT) | instid1(VALU_DEP_1)
	v_fma_f32 v15, -v1, v11, v13
	v_fmac_f32_e32 v11, v15, v9
	s_delay_alu instid0(VALU_DEP_1) | instskip(NEXT) | instid1(VALU_DEP_1)
	v_fma_f32 v1, -v1, v11, v13
	v_div_fmas_f32 v1, v1, v9, v11
	s_delay_alu instid0(VALU_DEP_1) | instskip(NEXT) | instid1(VALU_DEP_1)
	v_div_fixup_f32 v1, v1, v17, v16
	v_fmac_f32_e32 v17, v16, v1
	s_delay_alu instid0(VALU_DEP_1) | instskip(NEXT) | instid1(VALU_DEP_1)
	v_div_scale_f32 v9, null, v17, v17, -1.0
	v_rcp_f32_e32 v11, v9
	v_nop
	s_delay_alu instid0(TRANS32_DEP_1) | instskip(NEXT) | instid1(VALU_DEP_1)
	v_fma_f32 v13, -v9, v11, 1.0
	v_fmac_f32_e32 v11, v13, v11
	v_div_scale_f32 v13, vcc_lo, -1.0, v17, -1.0
	s_delay_alu instid0(VALU_DEP_1) | instskip(NEXT) | instid1(VALU_DEP_1)
	v_mul_f32_e32 v15, v13, v11
	v_fma_f32 v16, -v9, v15, v13
	s_delay_alu instid0(VALU_DEP_1) | instskip(NEXT) | instid1(VALU_DEP_1)
	v_fmac_f32_e32 v15, v16, v11
	v_fma_f32 v9, -v9, v15, v13
	s_delay_alu instid0(VALU_DEP_1) | instskip(NEXT) | instid1(VALU_DEP_1)
	v_div_fmas_f32 v9, v9, v11, v15
	v_div_fixup_f32 v19, v9, v17, -1.0
                                        ; implicit-def: $vgpr16_vgpr17
	s_delay_alu instid0(VALU_DEP_1) | instskip(NEXT) | instid1(VALU_DEP_1)
	v_mul_f32_e32 v20, v1, v19
	v_xor_b32_e32 v18, 0x80000000, v20
.LBB5_15:
	s_and_not1_saveexec_b32 s1, s1
	s_cbranch_execz .LBB5_17
; %bb.16:
	v_div_scale_f32 v1, null, v16, v16, v17
	v_div_scale_f32 v13, vcc_lo, v17, v16, v17
	s_delay_alu instid0(VALU_DEP_2) | instskip(SKIP_1) | instid1(TRANS32_DEP_1)
	v_rcp_f32_e32 v9, v1
	v_nop
	v_fma_f32 v11, -v1, v9, 1.0
	s_delay_alu instid0(VALU_DEP_1) | instskip(NEXT) | instid1(VALU_DEP_1)
	v_fmac_f32_e32 v9, v11, v9
	v_mul_f32_e32 v11, v13, v9
	s_delay_alu instid0(VALU_DEP_1) | instskip(NEXT) | instid1(VALU_DEP_1)
	v_fma_f32 v15, -v1, v11, v13
	v_fmac_f32_e32 v11, v15, v9
	s_delay_alu instid0(VALU_DEP_1) | instskip(NEXT) | instid1(VALU_DEP_1)
	v_fma_f32 v1, -v1, v11, v13
	v_div_fmas_f32 v1, v1, v9, v11
	s_delay_alu instid0(VALU_DEP_1) | instskip(NEXT) | instid1(VALU_DEP_1)
	v_div_fixup_f32 v1, v1, v16, v17
	v_fmac_f32_e32 v16, v17, v1
	s_delay_alu instid0(VALU_DEP_1) | instskip(SKIP_1) | instid1(VALU_DEP_2)
	v_div_scale_f32 v9, null, v16, v16, 1.0
	v_div_scale_f32 v15, vcc_lo, 1.0, v16, 1.0
	v_rcp_f32_e32 v11, v9
	v_nop
	s_delay_alu instid0(TRANS32_DEP_1) | instskip(NEXT) | instid1(VALU_DEP_1)
	v_fma_f32 v13, -v9, v11, 1.0
	v_fmac_f32_e32 v11, v13, v11
	s_delay_alu instid0(VALU_DEP_1) | instskip(NEXT) | instid1(VALU_DEP_1)
	v_mul_f32_e32 v13, v15, v11
	v_fma_f32 v17, -v9, v13, v15
	s_delay_alu instid0(VALU_DEP_1) | instskip(NEXT) | instid1(VALU_DEP_1)
	v_fmac_f32_e32 v13, v17, v11
	v_fma_f32 v9, -v9, v13, v15
	s_delay_alu instid0(VALU_DEP_1) | instskip(NEXT) | instid1(VALU_DEP_1)
	v_div_fmas_f32 v9, v9, v11, v13
	v_div_fixup_f32 v18, v9, v16, 1.0
	s_delay_alu instid0(VALU_DEP_1)
	v_xor_b32_e32 v20, 0x80000000, v18
	v_mul_f32_e64 v19, v1, -v18
.LBB5_17:
	s_or_b32 exec_lo, exec_lo, s1
	scratch_store_b64 v3, v[18:19], off
	scratch_load_b64 v[16:17], off, off offset:8
	v_xor_b32_e32 v21, 0x80000000, v19
	v_add_nc_u32_e32 v1, 48, v2
	s_wait_loadcnt 0x0
	ds_store_2addr_b64 v2, v[20:21], v[16:17] offset1:6
	s_wait_storecnt_dscnt 0x0
	s_barrier_signal -1
	s_barrier_wait -1
	s_wait_xcnt 0x0
	s_and_saveexec_b32 s1, s0
	s_cbranch_execz .LBB5_19
; %bb.18:
	scratch_load_b64 v[16:17], v3, off
	ds_load_b64 v[18:19], v1
	s_wait_loadcnt_dscnt 0x0
	v_pk_mul_f32 v[22:23], v[18:19], v[16:17] op_sel:[1,1] op_sel_hi:[0,1]
	s_delay_alu instid0(VALU_DEP_1) | instskip(SKIP_2) | instid1(VALU_DEP_3)
	v_pk_fma_f32 v[24:25], v[18:19], v[16:17], v[22:23] op_sel_hi:[1,0,1]
	v_mov_b32_e32 v9, 0
	v_pk_fma_f32 v[16:17], v[18:19], v[16:17], v[22:23] neg_lo:[0,0,1] neg_hi:[0,0,1]
	v_mov_b32_e32 v17, v25
	ds_load_b64 v[20:21], v9 offset:8
	v_pk_add_f32 v[16:17], v[16:17], 0 op_sel_hi:[1,0]
	s_wait_dscnt 0x0
	s_delay_alu instid0(VALU_DEP_1) | instskip(NEXT) | instid1(VALU_DEP_1)
	v_pk_mul_f32 v[18:19], v[16:17], v[20:21] op_sel:[1,1] op_sel_hi:[0,1]
	v_pk_fma_f32 v[22:23], v[16:17], v[20:21], v[18:19] op_sel_hi:[1,0,1]
	v_pk_fma_f32 v[16:17], v[16:17], v[20:21], v[18:19] neg_lo:[0,0,1] neg_hi:[0,0,1]
	s_delay_alu instid0(VALU_DEP_2)
	v_mov_b32_e32 v17, v23
	scratch_store_b64 off, v[16:17], off offset:8
.LBB5_19:
	s_wait_xcnt 0x0
	s_or_b32 exec_lo, exec_lo, s1
	s_wait_storecnt 0x0
	s_barrier_signal -1
	s_barrier_wait -1
	scratch_load_b64 v[16:17], off, off offset:16
	s_mov_b32 s1, exec_lo
	s_wait_loadcnt 0x0
	ds_store_b64 v1, v[16:17]
	s_wait_dscnt 0x0
	s_barrier_signal -1
	s_barrier_wait -1
	v_cmpx_gt_u32_e32 2, v0
	s_cbranch_execz .LBB5_23
; %bb.20:
	scratch_load_b64 v[16:17], v3, off
	ds_load_b64 v[18:19], v1
	s_wait_loadcnt_dscnt 0x0
	v_pk_mul_f32 v[20:21], v[18:19], v[16:17] op_sel:[1,1] op_sel_hi:[0,1]
	s_delay_alu instid0(VALU_DEP_1) | instskip(SKIP_1) | instid1(VALU_DEP_2)
	v_pk_fma_f32 v[22:23], v[18:19], v[16:17], v[20:21] op_sel_hi:[1,0,1]
	v_pk_fma_f32 v[16:17], v[18:19], v[16:17], v[20:21] neg_lo:[0,0,1] neg_hi:[0,0,1]
	v_mov_b32_e32 v17, v23
	s_delay_alu instid0(VALU_DEP_1)
	v_pk_add_f32 v[16:17], v[16:17], 0 op_sel_hi:[1,0]
	s_and_saveexec_b32 s8, s0
	s_cbranch_execz .LBB5_22
; %bb.21:
	scratch_load_b64 v[18:19], off, off offset:8
	v_mov_b32_e32 v3, 0
	ds_load_b64 v[20:21], v3 offset:56
	s_wait_loadcnt_dscnt 0x0
	v_pk_mul_f32 v[22:23], v[20:21], v[18:19] op_sel:[1,1] op_sel_hi:[0,1]
	s_delay_alu instid0(VALU_DEP_1) | instskip(SKIP_1) | instid1(VALU_DEP_2)
	v_pk_fma_f32 v[24:25], v[20:21], v[18:19], v[22:23] op_sel_hi:[1,0,1]
	v_pk_fma_f32 v[18:19], v[20:21], v[18:19], v[22:23] neg_lo:[0,0,1] neg_hi:[0,0,1]
	v_mov_b32_e32 v19, v25
	s_delay_alu instid0(VALU_DEP_1)
	v_pk_add_f32 v[16:17], v[16:17], v[18:19]
.LBB5_22:
	s_or_b32 exec_lo, exec_lo, s8
	v_mov_b32_e32 v3, 0
	ds_load_b64 v[18:19], v3 offset:16
	s_wait_dscnt 0x0
	v_pk_mul_f32 v[20:21], v[16:17], v[18:19] op_sel:[1,1] op_sel_hi:[0,1]
	s_delay_alu instid0(VALU_DEP_1) | instskip(SKIP_1) | instid1(VALU_DEP_2)
	v_pk_fma_f32 v[22:23], v[16:17], v[18:19], v[20:21] op_sel_hi:[1,0,1]
	v_pk_fma_f32 v[16:17], v[16:17], v[18:19], v[20:21] neg_lo:[0,0,1] neg_hi:[0,0,1]
	v_mov_b32_e32 v17, v23
	scratch_store_b64 off, v[16:17], off offset:16
.LBB5_23:
	s_wait_xcnt 0x0
	s_or_b32 exec_lo, exec_lo, s1
	s_wait_storecnt 0x0
	s_barrier_signal -1
	s_barrier_wait -1
	scratch_load_b64 v[16:17], off, off offset:24
	v_add_nc_u32_e32 v3, -1, v0
	s_mov_b32 s0, exec_lo
	s_wait_loadcnt 0x0
	ds_store_b64 v1, v[16:17]
	s_wait_dscnt 0x0
	s_barrier_signal -1
	s_barrier_wait -1
	v_cmpx_gt_u32_e32 3, v0
	s_cbranch_execz .LBB5_27
; %bb.24:
	v_dual_mov_b32 v16, 0 :: v_dual_add_nc_u32 v9, -1, v0
	v_dual_add_nc_u32 v11, 48, v2 :: v_dual_mov_b32 v13, v2
	s_mov_b32 s1, 0
	s_delay_alu instid0(VALU_DEP_2)
	v_mov_b32_e32 v17, v16
.LBB5_25:                               ; =>This Inner Loop Header: Depth=1
	scratch_load_b64 v[18:19], v13, off
	ds_load_b64 v[20:21], v11
	s_wait_xcnt 0x0
	v_dual_add_nc_u32 v11, 8, v11 :: v_dual_add_nc_u32 v13, 8, v13
	s_wait_loadcnt_dscnt 0x0
	v_pk_mul_f32 v[22:23], v[20:21], v[18:19] op_sel:[1,1] op_sel_hi:[0,1]
	s_delay_alu instid0(VALU_DEP_1) | instskip(SKIP_2) | instid1(VALU_DEP_3)
	v_pk_fma_f32 v[24:25], v[20:21], v[18:19], v[22:23] op_sel_hi:[1,0,1]
	v_add_nc_u32_e32 v9, 1, v9
	v_pk_fma_f32 v[18:19], v[20:21], v[18:19], v[22:23] neg_lo:[0,0,1] neg_hi:[0,0,1]
	v_mov_b32_e32 v19, v25
	s_delay_alu instid0(VALU_DEP_3) | instskip(NEXT) | instid1(VALU_DEP_2)
	v_cmp_lt_u32_e32 vcc_lo, 1, v9
	v_pk_add_f32 v[16:17], v[16:17], v[18:19]
	s_or_b32 s1, vcc_lo, s1
	s_delay_alu instid0(SALU_CYCLE_1)
	s_and_not1_b32 exec_lo, exec_lo, s1
	s_cbranch_execnz .LBB5_25
; %bb.26:
	s_or_b32 exec_lo, exec_lo, s1
	v_mov_b32_e32 v9, 0
	ds_load_b64 v[18:19], v9 offset:24
	s_wait_dscnt 0x0
	v_pk_mul_f32 v[20:21], v[16:17], v[18:19] op_sel:[1,1] op_sel_hi:[0,1]
	s_delay_alu instid0(VALU_DEP_1) | instskip(SKIP_1) | instid1(VALU_DEP_2)
	v_pk_fma_f32 v[22:23], v[16:17], v[18:19], v[20:21] op_sel_hi:[1,0,1]
	v_pk_fma_f32 v[16:17], v[16:17], v[18:19], v[20:21] neg_lo:[0,0,1] neg_hi:[0,0,1]
	v_mov_b32_e32 v17, v23
	scratch_store_b64 off, v[16:17], off offset:24
.LBB5_27:
	s_wait_xcnt 0x0
	s_or_b32 exec_lo, exec_lo, s0
	s_wait_storecnt 0x0
	s_barrier_signal -1
	s_barrier_wait -1
	scratch_load_b64 v[16:17], off, off offset:32
	s_mov_b32 s0, exec_lo
	s_wait_loadcnt 0x0
	ds_store_b64 v1, v[16:17]
	s_wait_dscnt 0x0
	s_barrier_signal -1
	s_barrier_wait -1
	v_cmpx_gt_u32_e32 4, v0
	s_cbranch_execz .LBB5_31
; %bb.28:
	v_dual_mov_b32 v16, 0 :: v_dual_add_nc_u32 v9, -1, v0
	v_dual_add_nc_u32 v11, 48, v2 :: v_dual_mov_b32 v13, v2
	s_mov_b32 s1, 0
	s_delay_alu instid0(VALU_DEP_2)
	v_mov_b32_e32 v17, v16
.LBB5_29:                               ; =>This Inner Loop Header: Depth=1
	scratch_load_b64 v[18:19], v13, off
	ds_load_b64 v[20:21], v11
	s_wait_xcnt 0x0
	v_dual_add_nc_u32 v11, 8, v11 :: v_dual_add_nc_u32 v13, 8, v13
	s_wait_loadcnt_dscnt 0x0
	v_pk_mul_f32 v[22:23], v[20:21], v[18:19] op_sel:[1,1] op_sel_hi:[0,1]
	s_delay_alu instid0(VALU_DEP_1) | instskip(SKIP_2) | instid1(VALU_DEP_3)
	v_pk_fma_f32 v[24:25], v[20:21], v[18:19], v[22:23] op_sel_hi:[1,0,1]
	v_add_nc_u32_e32 v9, 1, v9
	v_pk_fma_f32 v[18:19], v[20:21], v[18:19], v[22:23] neg_lo:[0,0,1] neg_hi:[0,0,1]
	v_mov_b32_e32 v19, v25
	s_delay_alu instid0(VALU_DEP_3) | instskip(NEXT) | instid1(VALU_DEP_2)
	v_cmp_lt_u32_e32 vcc_lo, 2, v9
	v_pk_add_f32 v[16:17], v[16:17], v[18:19]
	s_or_b32 s1, vcc_lo, s1
	s_delay_alu instid0(SALU_CYCLE_1)
	s_and_not1_b32 exec_lo, exec_lo, s1
	s_cbranch_execnz .LBB5_29
; %bb.30:
	s_or_b32 exec_lo, exec_lo, s1
	v_mov_b32_e32 v9, 0
	ds_load_b64 v[18:19], v9 offset:32
	s_wait_dscnt 0x0
	v_pk_mul_f32 v[20:21], v[16:17], v[18:19] op_sel:[1,1] op_sel_hi:[0,1]
	s_delay_alu instid0(VALU_DEP_1) | instskip(SKIP_1) | instid1(VALU_DEP_2)
	v_pk_fma_f32 v[22:23], v[16:17], v[18:19], v[20:21] op_sel_hi:[1,0,1]
	v_pk_fma_f32 v[16:17], v[16:17], v[18:19], v[20:21] neg_lo:[0,0,1] neg_hi:[0,0,1]
	v_mov_b32_e32 v17, v23
	scratch_store_b64 off, v[16:17], off offset:32
.LBB5_31:
	s_wait_xcnt 0x0
	s_or_b32 exec_lo, exec_lo, s0
	s_wait_storecnt 0x0
	s_barrier_signal -1
	s_barrier_wait -1
	scratch_load_b64 v[16:17], off, off offset:40
	s_mov_b32 s0, exec_lo
	s_wait_loadcnt 0x0
	ds_store_b64 v1, v[16:17]
	s_wait_dscnt 0x0
	s_barrier_signal -1
	s_barrier_wait -1
	v_cmpx_ne_u32_e32 5, v0
	s_cbranch_execz .LBB5_35
; %bb.32:
	v_mov_b32_e32 v16, 0
	s_mov_b32 s1, 0
	s_delay_alu instid0(VALU_DEP_1)
	v_mov_b32_e32 v17, v16
.LBB5_33:                               ; =>This Inner Loop Header: Depth=1
	scratch_load_b64 v[18:19], v2, off
	ds_load_b64 v[20:21], v1
	s_wait_xcnt 0x0
	v_dual_add_nc_u32 v1, 8, v1 :: v_dual_add_nc_u32 v2, 8, v2
	s_wait_loadcnt_dscnt 0x0
	v_pk_mul_f32 v[22:23], v[20:21], v[18:19] op_sel:[1,1] op_sel_hi:[0,1]
	s_delay_alu instid0(VALU_DEP_1) | instskip(SKIP_2) | instid1(VALU_DEP_3)
	v_pk_fma_f32 v[24:25], v[20:21], v[18:19], v[22:23] op_sel_hi:[1,0,1]
	v_add_nc_u32_e32 v3, 1, v3
	v_pk_fma_f32 v[18:19], v[20:21], v[18:19], v[22:23] neg_lo:[0,0,1] neg_hi:[0,0,1]
	v_mov_b32_e32 v19, v25
	s_delay_alu instid0(VALU_DEP_3) | instskip(NEXT) | instid1(VALU_DEP_2)
	v_cmp_lt_u32_e32 vcc_lo, 3, v3
	v_pk_add_f32 v[16:17], v[16:17], v[18:19]
	s_or_b32 s1, vcc_lo, s1
	s_delay_alu instid0(SALU_CYCLE_1)
	s_and_not1_b32 exec_lo, exec_lo, s1
	s_cbranch_execnz .LBB5_33
; %bb.34:
	s_or_b32 exec_lo, exec_lo, s1
	v_mov_b32_e32 v1, 0
	ds_load_b64 v[2:3], v1 offset:40
	s_wait_dscnt 0x0
	v_pk_mul_f32 v[18:19], v[16:17], v[2:3] op_sel:[1,1] op_sel_hi:[0,1]
	s_delay_alu instid0(VALU_DEP_1) | instskip(SKIP_1) | instid1(VALU_DEP_2)
	v_pk_fma_f32 v[20:21], v[16:17], v[2:3], v[18:19] op_sel_hi:[1,0,1]
	v_pk_fma_f32 v[2:3], v[16:17], v[2:3], v[18:19] neg_lo:[0,0,1] neg_hi:[0,0,1]
	v_mov_b32_e32 v3, v21
	scratch_store_b64 off, v[2:3], off offset:40
.LBB5_35:
	s_wait_xcnt 0x0
	s_or_b32 exec_lo, exec_lo, s0
	s_mov_b32 s1, -1
	s_wait_storecnt 0x0
	s_barrier_signal -1
	s_barrier_wait -1
.LBB5_36:
	s_and_b32 vcc_lo, exec_lo, s1
	s_cbranch_vccz .LBB5_38
; %bb.37:
	v_mov_b32_e32 v1, 0
	s_lshl_b64 s[0:1], s[16:17], 2
	s_delay_alu instid0(SALU_CYCLE_1)
	s_add_nc_u64 s[0:1], s[6:7], s[0:1]
	global_load_b32 v1, v1, s[0:1]
	s_wait_loadcnt 0x0
	v_cmp_ne_u32_e32 vcc_lo, 0, v1
	s_cbranch_vccz .LBB5_39
.LBB5_38:
	s_endpgm
.LBB5_39:
	s_wait_xcnt 0x0
	v_lshl_add_u32 v1, v0, 3, 48
	s_mov_b32 s0, exec_lo
	v_cmpx_eq_u32_e32 5, v0
	s_cbranch_execz .LBB5_41
; %bb.40:
	scratch_load_b64 v[2:3], off, off offset:32
	v_mov_b64_e32 v[16:17], 0
	scratch_store_b64 off, v[16:17], off offset:32
	s_wait_loadcnt 0x0
	ds_store_b64 v1, v[2:3]
.LBB5_41:
	s_wait_xcnt 0x0
	s_or_b32 exec_lo, exec_lo, s0
	s_wait_storecnt_dscnt 0x0
	s_barrier_signal -1
	s_barrier_wait -1
	s_clause 0x1
	scratch_load_b64 v[16:17], off, off offset:40
	scratch_load_b64 v[18:19], off, off offset:32
	v_mov_b32_e32 v2, 0
	s_mov_b32 s0, exec_lo
	ds_load_b64 v[20:21], v2 offset:88
	s_wait_loadcnt_dscnt 0x100
	v_pk_mul_f32 v[22:23], v[20:21], v[16:17] op_sel:[1,1] op_sel_hi:[0,1]
	s_delay_alu instid0(VALU_DEP_1) | instskip(SKIP_1) | instid1(VALU_DEP_2)
	v_pk_fma_f32 v[24:25], v[20:21], v[16:17], v[22:23] op_sel_hi:[1,0,1]
	v_pk_fma_f32 v[16:17], v[20:21], v[16:17], v[22:23] neg_lo:[0,0,1] neg_hi:[0,0,1]
	v_mov_b32_e32 v17, v25
	s_delay_alu instid0(VALU_DEP_1) | instskip(SKIP_1) | instid1(VALU_DEP_1)
	v_pk_add_f32 v[16:17], v[16:17], 0 op_sel_hi:[1,0]
	s_wait_loadcnt 0x0
	v_pk_add_f32 v[16:17], v[18:19], v[16:17] neg_lo:[0,1] neg_hi:[0,1]
	scratch_store_b64 off, v[16:17], off offset:32
	s_wait_xcnt 0x0
	v_cmpx_lt_u32_e32 3, v0
	s_cbranch_execz .LBB5_43
; %bb.42:
	scratch_load_b64 v[16:17], off, off offset:24
	v_mov_b64_e32 v[18:19], 0
	scratch_store_b64 off, v[18:19], off offset:24
	s_wait_loadcnt 0x0
	ds_store_b64 v1, v[16:17]
.LBB5_43:
	s_wait_xcnt 0x0
	s_or_b32 exec_lo, exec_lo, s0
	s_wait_storecnt_dscnt 0x0
	s_barrier_signal -1
	s_barrier_wait -1
	s_clause 0x1
	scratch_load_b128 v[16:19], off, off offset:32
	scratch_load_b64 v[24:25], off, off offset:24
	ds_load_b128 v[20:23], v2 offset:80
	s_mov_b32 s0, exec_lo
	s_wait_dscnt 0x0
	v_dual_mov_b32 v2, v23 :: v_dual_mov_b32 v3, v22
	s_wait_loadcnt 0x1
	v_pk_mul_f32 v[26:27], v[20:21], v[16:17] op_sel:[1,1] op_sel_hi:[0,1]
	s_delay_alu instid0(VALU_DEP_1) | instskip(SKIP_2) | instid1(VALU_DEP_3)
	v_pk_fma_f32 v[30:31], v[20:21], v[16:17], v[26:27] op_sel_hi:[1,0,1]
	v_mov_b32_e32 v28, v19
	v_pk_fma_f32 v[16:17], v[20:21], v[16:17], v[26:27] neg_lo:[0,0,1] neg_hi:[0,0,1]
	v_mov_b32_e32 v17, v31
	s_delay_alu instid0(VALU_DEP_3) | instskip(NEXT) | instid1(VALU_DEP_2)
	v_pk_mul_f32 v[2:3], v[2:3], v[28:29] op_sel_hi:[1,0]
	v_pk_add_f32 v[16:17], v[16:17], 0 op_sel_hi:[1,0]
	s_delay_alu instid0(VALU_DEP_2) | instskip(SKIP_1) | instid1(VALU_DEP_2)
	v_pk_fma_f32 v[20:21], v[22:23], v[18:19], v[2:3] op_sel_hi:[1,0,1]
	v_pk_fma_f32 v[2:3], v[22:23], v[18:19], v[2:3] neg_lo:[0,0,1] neg_hi:[0,0,1]
	v_mov_b32_e32 v3, v21
	s_delay_alu instid0(VALU_DEP_1) | instskip(SKIP_1) | instid1(VALU_DEP_1)
	v_pk_add_f32 v[2:3], v[16:17], v[2:3]
	s_wait_loadcnt 0x0
	v_pk_add_f32 v[2:3], v[24:25], v[2:3] neg_lo:[0,1] neg_hi:[0,1]
	scratch_store_b64 off, v[2:3], off offset:24
	s_wait_xcnt 0x0
	v_cmpx_lt_u32_e32 2, v0
	s_cbranch_execz .LBB5_45
; %bb.44:
	scratch_load_b64 v[2:3], off, off offset:16
	v_mov_b64_e32 v[16:17], 0
	scratch_store_b64 off, v[16:17], off offset:16
	s_wait_loadcnt 0x0
	ds_store_b64 v1, v[2:3]
.LBB5_45:
	s_wait_xcnt 0x0
	s_or_b32 exec_lo, exec_lo, s0
	s_wait_storecnt_dscnt 0x0
	s_barrier_signal -1
	s_barrier_wait -1
	s_clause 0x2
	scratch_load_b128 v[16:19], off, off offset:24
	scratch_load_b64 v[24:25], off, off offset:40
	scratch_load_b64 v[26:27], off, off offset:16
	v_mov_b32_e32 v2, 0
	ds_load_2addr_b64 v[20:23], v2 offset0:9 offset1:10
	ds_load_b64 v[28:29], v2 offset:88
	s_mov_b32 s0, exec_lo
	s_wait_dscnt 0x1
	v_dual_mov_b32 v30, v23 :: v_dual_mov_b32 v31, v22
	s_wait_loadcnt 0x2
	v_mov_b32_e32 v34, v19
	v_pk_mul_f32 v[32:33], v[20:21], v[16:17] op_sel:[1,1] op_sel_hi:[0,1]
	s_delay_alu instid0(VALU_DEP_2) | instskip(NEXT) | instid1(VALU_DEP_2)
	v_pk_mul_f32 v[30:31], v[30:31], v[34:35] op_sel_hi:[1,0]
	v_pk_fma_f32 v[36:37], v[20:21], v[16:17], v[32:33] op_sel_hi:[1,0,1]
	v_pk_fma_f32 v[16:17], v[20:21], v[16:17], v[32:33] neg_lo:[0,0,1] neg_hi:[0,0,1]
	s_wait_loadcnt_dscnt 0x100
	v_pk_mul_f32 v[32:33], v[28:29], v[24:25] op_sel:[1,1] op_sel_hi:[0,1]
	v_pk_fma_f32 v[20:21], v[22:23], v[18:19], v[30:31] op_sel_hi:[1,0,1]
	v_mov_b32_e32 v17, v37
	v_pk_fma_f32 v[18:19], v[22:23], v[18:19], v[30:31] neg_lo:[0,0,1] neg_hi:[0,0,1]
	s_delay_alu instid0(VALU_DEP_4) | instskip(NEXT) | instid1(VALU_DEP_4)
	v_pk_fma_f32 v[22:23], v[28:29], v[24:25], v[32:33] neg_lo:[0,0,1] neg_hi:[0,0,1]
	v_mov_b32_e32 v19, v21
	s_delay_alu instid0(VALU_DEP_4) | instskip(SKIP_1) | instid1(VALU_DEP_2)
	v_pk_add_f32 v[16:17], v[16:17], 0 op_sel_hi:[1,0]
	v_pk_fma_f32 v[20:21], v[28:29], v[24:25], v[32:33] op_sel_hi:[1,0,1]
	v_pk_add_f32 v[16:17], v[16:17], v[18:19]
	s_delay_alu instid0(VALU_DEP_2) | instskip(NEXT) | instid1(VALU_DEP_1)
	v_mov_b32_e32 v23, v21
	v_pk_add_f32 v[16:17], v[16:17], v[22:23]
	s_wait_loadcnt 0x0
	s_delay_alu instid0(VALU_DEP_1)
	v_pk_add_f32 v[16:17], v[26:27], v[16:17] neg_lo:[0,1] neg_hi:[0,1]
	scratch_store_b64 off, v[16:17], off offset:16
	s_wait_xcnt 0x0
	v_cmpx_lt_u32_e32 1, v0
	s_cbranch_execz .LBB5_47
; %bb.46:
	scratch_load_b64 v[16:17], off, off offset:8
	v_mov_b64_e32 v[18:19], 0
	scratch_store_b64 off, v[18:19], off offset:8
	s_wait_loadcnt 0x0
	ds_store_b64 v1, v[16:17]
.LBB5_47:
	s_wait_xcnt 0x0
	s_or_b32 exec_lo, exec_lo, s0
	s_wait_storecnt_dscnt 0x0
	s_barrier_signal -1
	s_barrier_wait -1
	s_clause 0x2
	scratch_load_b128 v[16:19], off, off offset:16
	scratch_load_b128 v[20:23], off, off offset:32
	scratch_load_b64 v[32:33], off, off offset:8
	ds_load_b128 v[24:27], v2 offset:64
	ds_load_b128 v[28:31], v2 offset:80
	v_dual_ashrrev_i32 v9, 31, v8 :: v_dual_ashrrev_i32 v11, 31, v10
	v_dual_ashrrev_i32 v13, 31, v12 :: v_dual_ashrrev_i32 v15, 31, v14
	s_mov_b32 s0, exec_lo
	s_wait_dscnt 0x1
	v_dual_mov_b32 v2, v27 :: v_dual_mov_b32 v3, v26
	s_wait_loadcnt_dscnt 0x200
	v_dual_mov_b32 v38, v31 :: v_dual_mov_b32 v36, v19
	v_pk_mul_f32 v[34:35], v[24:25], v[16:17] op_sel:[1,1] op_sel_hi:[0,1]
	s_delay_alu instid0(VALU_DEP_2) | instskip(NEXT) | instid1(VALU_DEP_2)
	v_pk_mul_f32 v[2:3], v[2:3], v[36:37] op_sel_hi:[1,0]
	v_pk_fma_f32 v[40:41], v[24:25], v[16:17], v[34:35] op_sel_hi:[1,0,1]
	v_pk_fma_f32 v[16:17], v[24:25], v[16:17], v[34:35] neg_lo:[0,0,1] neg_hi:[0,0,1]
	v_mov_b32_e32 v39, v30
	s_wait_loadcnt 0x1
	v_pk_mul_f32 v[36:37], v[28:29], v[20:21] op_sel:[1,1] op_sel_hi:[0,1]
	v_pk_fma_f32 v[24:25], v[26:27], v[18:19], v[2:3] op_sel_hi:[1,0,1]
	v_dual_mov_b32 v17, v41 :: v_dual_mov_b32 v24, v23
	v_pk_fma_f32 v[2:3], v[26:27], v[18:19], v[2:3] neg_lo:[0,0,1] neg_hi:[0,0,1]
	s_delay_alu instid0(VALU_DEP_4) | instskip(NEXT) | instid1(VALU_DEP_4)
	v_pk_fma_f32 v[34:35], v[28:29], v[20:21], v[36:37] op_sel_hi:[1,0,1]
	v_mov_b32_e32 v3, v25
	s_delay_alu instid0(VALU_DEP_4) | instskip(SKIP_2) | instid1(VALU_DEP_3)
	v_pk_add_f32 v[16:17], v[16:17], 0 op_sel_hi:[1,0]
	v_pk_mul_f32 v[18:19], v[38:39], v[24:25] op_sel_hi:[1,0]
	v_pk_fma_f32 v[20:21], v[28:29], v[20:21], v[36:37] neg_lo:[0,0,1] neg_hi:[0,0,1]
	v_pk_add_f32 v[2:3], v[16:17], v[2:3]
	s_delay_alu instid0(VALU_DEP_3) | instskip(SKIP_2) | instid1(VALU_DEP_3)
	v_pk_fma_f32 v[16:17], v[30:31], v[22:23], v[18:19] op_sel_hi:[1,0,1]
	v_mov_b32_e32 v21, v35
	v_pk_fma_f32 v[18:19], v[30:31], v[22:23], v[18:19] neg_lo:[0,0,1] neg_hi:[0,0,1]
	v_mov_b32_e32 v19, v17
	s_delay_alu instid0(VALU_DEP_3) | instskip(NEXT) | instid1(VALU_DEP_1)
	v_pk_add_f32 v[2:3], v[2:3], v[20:21]
	v_pk_add_f32 v[2:3], v[2:3], v[18:19]
	s_wait_loadcnt 0x0
	s_delay_alu instid0(VALU_DEP_1)
	v_pk_add_f32 v[2:3], v[32:33], v[2:3] neg_lo:[0,1] neg_hi:[0,1]
	scratch_store_b64 off, v[2:3], off offset:8
	s_wait_xcnt 0x0
	v_cmpx_ne_u32_e32 0, v0
	s_cbranch_execz .LBB5_49
; %bb.48:
	scratch_load_b64 v[2:3], off, off
	v_mov_b64_e32 v[16:17], 0
	scratch_store_b64 off, v[16:17], off
	s_wait_loadcnt 0x0
	ds_store_b64 v1, v[2:3]
.LBB5_49:
	s_wait_xcnt 0x0
	s_or_b32 exec_lo, exec_lo, s0
	s_wait_storecnt_dscnt 0x0
	s_barrier_signal -1
	s_barrier_wait -1
	s_clause 0x3
	scratch_load_b128 v[18:21], off, off offset:8
	scratch_load_b128 v[0:3], off, off offset:24
	scratch_load_b64 v[30:31], off, off offset:40
	scratch_load_b64 v[32:33], off, off
	v_mov_b32_e32 v16, 0
	ds_load_2addr_b64 v[22:25], v16 offset0:7 offset1:8
	ds_load_2addr_b64 v[26:29], v16 offset0:9 offset1:10
	ds_load_b64 v[34:35], v16 offset:88
	s_and_b32 vcc_lo, exec_lo, s18
	s_wait_dscnt 0x2
	v_dual_mov_b32 v36, v25 :: v_dual_mov_b32 v37, v24
	s_wait_dscnt 0x1
	v_dual_mov_b32 v42, v29 :: v_dual_mov_b32 v43, v28
	s_wait_loadcnt 0x3
	v_pk_mul_f32 v[38:39], v[22:23], v[18:19] op_sel:[1,1] op_sel_hi:[0,1]
	v_mov_b32_e32 v40, v21
	s_delay_alu instid0(VALU_DEP_2) | instskip(NEXT) | instid1(VALU_DEP_2)
	v_pk_fma_f32 v[44:45], v[22:23], v[18:19], v[38:39] op_sel_hi:[1,0,1]
	v_pk_mul_f32 v[36:37], v[36:37], v[40:41] op_sel_hi:[1,0]
	v_pk_fma_f32 v[18:19], v[22:23], v[18:19], v[38:39] neg_lo:[0,0,1] neg_hi:[0,0,1]
	s_wait_loadcnt 0x2
	v_pk_mul_f32 v[40:41], v[26:27], v[0:1] op_sel:[1,1] op_sel_hi:[0,1]
	v_dual_mov_b32 v44, v3 :: v_dual_mov_b32 v19, v45
	v_pk_fma_f32 v[22:23], v[24:25], v[20:21], v[36:37] op_sel_hi:[1,0,1]
	v_pk_fma_f32 v[20:21], v[24:25], v[20:21], v[36:37] neg_lo:[0,0,1] neg_hi:[0,0,1]
	s_delay_alu instid0(VALU_DEP_4) | instskip(NEXT) | instid1(VALU_DEP_4)
	v_pk_fma_f32 v[38:39], v[26:27], v[0:1], v[40:41] op_sel_hi:[1,0,1]
	v_pk_mul_f32 v[42:43], v[42:43], v[44:45] op_sel_hi:[1,0]
	v_pk_add_f32 v[18:19], v[18:19], 0 op_sel_hi:[1,0]
	v_mov_b32_e32 v21, v23
	v_pk_fma_f32 v[0:1], v[26:27], v[0:1], v[40:41] neg_lo:[0,0,1] neg_hi:[0,0,1]
	s_wait_loadcnt_dscnt 0x100
	v_pk_mul_f32 v[22:23], v[34:35], v[30:31] op_sel:[1,1] op_sel_hi:[0,1]
	v_mov_b32_e32 v1, v39
	v_pk_fma_f32 v[24:25], v[28:29], v[2:3], v[42:43] op_sel_hi:[1,0,1]
	v_pk_add_f32 v[18:19], v[18:19], v[20:21]
	v_pk_fma_f32 v[26:27], v[28:29], v[2:3], v[42:43] neg_lo:[0,0,1] neg_hi:[0,0,1]
	v_pk_fma_f32 v[20:21], v[34:35], v[30:31], v[22:23] op_sel_hi:[1,0,1]
	s_delay_alu instid0(VALU_DEP_4) | instskip(NEXT) | instid1(VALU_DEP_4)
	v_mov_b32_e32 v27, v25
	v_pk_add_f32 v[0:1], v[18:19], v[0:1]
	v_pk_fma_f32 v[18:19], v[34:35], v[30:31], v[22:23] neg_lo:[0,0,1] neg_hi:[0,0,1]
	s_delay_alu instid0(VALU_DEP_4) | instskip(NEXT) | instid1(VALU_DEP_3)
	v_mov_b32_e32 v19, v21
	v_pk_add_f32 v[0:1], v[0:1], v[26:27]
	s_delay_alu instid0(VALU_DEP_1) | instskip(SKIP_1) | instid1(VALU_DEP_1)
	v_pk_add_f32 v[0:1], v[0:1], v[18:19]
	s_wait_loadcnt 0x0
	v_pk_add_f32 v[0:1], v[32:33], v[0:1] neg_lo:[0,1] neg_hi:[0,1]
	scratch_store_b64 off, v[0:1], off
	s_cbranch_vccz .LBB5_60
; %bb.50:
	global_load_b32 v0, v16, s[2:3] offset:16
	s_wait_loadcnt 0x0
	v_cmp_ne_u32_e32 vcc_lo, 5, v0
	s_cbranch_vccz .LBB5_52
; %bb.51:
	v_lshlrev_b32_e32 v0, 3, v0
	s_wait_xcnt 0x0
	s_delay_alu instid0(VALU_DEP_1)
	v_mov_b32_e32 v16, v0
	scratch_load_b64 v[0:1], v16, off offset:-8
	s_wait_loadcnt 0x0
	scratch_store_b64 off, v[0:1], off offset:32
	scratch_store_b64 v16, v[2:3], off offset:-8
.LBB5_52:
	s_wait_xcnt 0x1
	v_mov_b32_e32 v0, 0
	global_load_b32 v1, v0, s[2:3] offset:12
	s_wait_loadcnt 0x0
	v_cmp_eq_u32_e32 vcc_lo, 4, v1
	s_cbranch_vccnz .LBB5_54
; %bb.53:
	v_lshlrev_b32_e32 v1, 3, v1
	scratch_load_b64 v[2:3], v1, off offset:-8
	scratch_load_b64 v[16:17], off, off offset:24
	s_wait_loadcnt 0x1
	scratch_store_b64 off, v[2:3], off offset:24
	s_wait_loadcnt 0x0
	scratch_store_b64 v1, v[16:17], off offset:-8
.LBB5_54:
	global_load_b32 v0, v0, s[2:3] offset:8
	s_wait_loadcnt 0x0
	v_cmp_eq_u32_e32 vcc_lo, 3, v0
	s_cbranch_vccnz .LBB5_56
; %bb.55:
	s_wait_xcnt 0x0
	v_lshlrev_b32_e32 v0, 3, v0
	s_delay_alu instid0(VALU_DEP_1)
	v_mov_b32_e32 v16, v0
	scratch_load_b64 v[0:1], v16, off offset:-8
	scratch_load_b64 v[2:3], off, off offset:16
	s_wait_loadcnt 0x1
	scratch_store_b64 off, v[0:1], off offset:16
	s_wait_loadcnt 0x0
	scratch_store_b64 v16, v[2:3], off offset:-8
.LBB5_56:
	s_wait_xcnt 0x0
	v_mov_b32_e32 v0, 0
	global_load_b32 v1, v0, s[2:3] offset:4
	s_wait_loadcnt 0x0
	v_cmp_eq_u32_e32 vcc_lo, 2, v1
	s_cbranch_vccnz .LBB5_58
; %bb.57:
	v_lshlrev_b32_e32 v1, 3, v1
	scratch_load_b64 v[2:3], v1, off offset:-8
	scratch_load_b64 v[16:17], off, off offset:8
	s_wait_loadcnt 0x1
	scratch_store_b64 off, v[2:3], off offset:8
	s_wait_loadcnt 0x0
	scratch_store_b64 v1, v[16:17], off offset:-8
.LBB5_58:
	global_load_b32 v2, v0, s[2:3]
	scratch_load_b64 v[0:1], off, off
	s_wait_loadcnt 0x1
	v_cmp_eq_u32_e32 vcc_lo, 1, v2
	s_cbranch_vccnz .LBB5_60
; %bb.59:
	v_lshlrev_b32_e32 v2, 3, v2
	s_delay_alu instid0(VALU_DEP_1)
	v_mov_b32_e32 v16, v2
	scratch_load_b64 v[2:3], v16, off offset:-8
	s_wait_loadcnt 0x0
	scratch_store_b64 off, v[2:3], off
	scratch_store_b64 v16, v[0:1], off offset:-8
	scratch_load_b64 v[0:1], off, off
.LBB5_60:
	v_lshl_add_u64 v[2:3], v[8:9], 3, s[4:5]
	v_lshl_add_u64 v[8:9], v[10:11], 3, s[4:5]
	;; [unrolled: 1-line block ×4, first 2 shown]
	s_clause 0x2
	scratch_load_b128 v[14:17], off, off offset:8
	scratch_load_b128 v[18:21], off, off offset:24
	scratch_load_b64 v[22:23], off, off offset:40
	s_wait_loadcnt 0x3
	global_store_b64 v[4:5], v[0:1], off
	s_wait_loadcnt 0x2
	s_clause 0x1
	global_store_b64 v[6:7], v[14:15], off
	global_store_b64 v[2:3], v[16:17], off
	s_wait_loadcnt 0x1
	s_clause 0x1
	global_store_b64 v[8:9], v[18:19], off
	global_store_b64 v[10:11], v[20:21], off
	s_wait_loadcnt 0x0
	global_store_b64 v[12:13], v[22:23], off
	s_endpgm
	.section	.rodata,"a",@progbits
	.p2align	6, 0x0
	.amdhsa_kernel _ZN9rocsolver6v33100L18getri_kernel_smallILi6E19rocblas_complex_numIfEPS3_EEvT1_iilPiilS6_bb
		.amdhsa_group_segment_fixed_size 100
		.amdhsa_private_segment_fixed_size 64
		.amdhsa_kernarg_size 60
		.amdhsa_user_sgpr_count 2
		.amdhsa_user_sgpr_dispatch_ptr 0
		.amdhsa_user_sgpr_queue_ptr 0
		.amdhsa_user_sgpr_kernarg_segment_ptr 1
		.amdhsa_user_sgpr_dispatch_id 0
		.amdhsa_user_sgpr_kernarg_preload_length 0
		.amdhsa_user_sgpr_kernarg_preload_offset 0
		.amdhsa_user_sgpr_private_segment_size 0
		.amdhsa_wavefront_size32 1
		.amdhsa_uses_dynamic_stack 0
		.amdhsa_enable_private_segment 1
		.amdhsa_system_sgpr_workgroup_id_x 1
		.amdhsa_system_sgpr_workgroup_id_y 0
		.amdhsa_system_sgpr_workgroup_id_z 0
		.amdhsa_system_sgpr_workgroup_info 0
		.amdhsa_system_vgpr_workitem_id 0
		.amdhsa_next_free_vgpr 46
		.amdhsa_next_free_sgpr 19
		.amdhsa_named_barrier_count 0
		.amdhsa_reserve_vcc 1
		.amdhsa_float_round_mode_32 0
		.amdhsa_float_round_mode_16_64 0
		.amdhsa_float_denorm_mode_32 3
		.amdhsa_float_denorm_mode_16_64 3
		.amdhsa_fp16_overflow 0
		.amdhsa_memory_ordered 1
		.amdhsa_forward_progress 1
		.amdhsa_inst_pref_size 38
		.amdhsa_round_robin_scheduling 0
		.amdhsa_exception_fp_ieee_invalid_op 0
		.amdhsa_exception_fp_denorm_src 0
		.amdhsa_exception_fp_ieee_div_zero 0
		.amdhsa_exception_fp_ieee_overflow 0
		.amdhsa_exception_fp_ieee_underflow 0
		.amdhsa_exception_fp_ieee_inexact 0
		.amdhsa_exception_int_div_zero 0
	.end_amdhsa_kernel
	.section	.text._ZN9rocsolver6v33100L18getri_kernel_smallILi6E19rocblas_complex_numIfEPS3_EEvT1_iilPiilS6_bb,"axG",@progbits,_ZN9rocsolver6v33100L18getri_kernel_smallILi6E19rocblas_complex_numIfEPS3_EEvT1_iilPiilS6_bb,comdat
.Lfunc_end5:
	.size	_ZN9rocsolver6v33100L18getri_kernel_smallILi6E19rocblas_complex_numIfEPS3_EEvT1_iilPiilS6_bb, .Lfunc_end5-_ZN9rocsolver6v33100L18getri_kernel_smallILi6E19rocblas_complex_numIfEPS3_EEvT1_iilPiilS6_bb
                                        ; -- End function
	.set _ZN9rocsolver6v33100L18getri_kernel_smallILi6E19rocblas_complex_numIfEPS3_EEvT1_iilPiilS6_bb.num_vgpr, 46
	.set _ZN9rocsolver6v33100L18getri_kernel_smallILi6E19rocblas_complex_numIfEPS3_EEvT1_iilPiilS6_bb.num_agpr, 0
	.set _ZN9rocsolver6v33100L18getri_kernel_smallILi6E19rocblas_complex_numIfEPS3_EEvT1_iilPiilS6_bb.numbered_sgpr, 19
	.set _ZN9rocsolver6v33100L18getri_kernel_smallILi6E19rocblas_complex_numIfEPS3_EEvT1_iilPiilS6_bb.num_named_barrier, 0
	.set _ZN9rocsolver6v33100L18getri_kernel_smallILi6E19rocblas_complex_numIfEPS3_EEvT1_iilPiilS6_bb.private_seg_size, 64
	.set _ZN9rocsolver6v33100L18getri_kernel_smallILi6E19rocblas_complex_numIfEPS3_EEvT1_iilPiilS6_bb.uses_vcc, 1
	.set _ZN9rocsolver6v33100L18getri_kernel_smallILi6E19rocblas_complex_numIfEPS3_EEvT1_iilPiilS6_bb.uses_flat_scratch, 1
	.set _ZN9rocsolver6v33100L18getri_kernel_smallILi6E19rocblas_complex_numIfEPS3_EEvT1_iilPiilS6_bb.has_dyn_sized_stack, 0
	.set _ZN9rocsolver6v33100L18getri_kernel_smallILi6E19rocblas_complex_numIfEPS3_EEvT1_iilPiilS6_bb.has_recursion, 0
	.set _ZN9rocsolver6v33100L18getri_kernel_smallILi6E19rocblas_complex_numIfEPS3_EEvT1_iilPiilS6_bb.has_indirect_call, 0
	.section	.AMDGPU.csdata,"",@progbits
; Kernel info:
; codeLenInByte = 4748
; TotalNumSgprs: 21
; NumVgprs: 46
; ScratchSize: 64
; MemoryBound: 0
; FloatMode: 240
; IeeeMode: 1
; LDSByteSize: 100 bytes/workgroup (compile time only)
; SGPRBlocks: 0
; VGPRBlocks: 2
; NumSGPRsForWavesPerEU: 21
; NumVGPRsForWavesPerEU: 46
; NamedBarCnt: 0
; Occupancy: 16
; WaveLimiterHint : 0
; COMPUTE_PGM_RSRC2:SCRATCH_EN: 1
; COMPUTE_PGM_RSRC2:USER_SGPR: 2
; COMPUTE_PGM_RSRC2:TRAP_HANDLER: 0
; COMPUTE_PGM_RSRC2:TGID_X_EN: 1
; COMPUTE_PGM_RSRC2:TGID_Y_EN: 0
; COMPUTE_PGM_RSRC2:TGID_Z_EN: 0
; COMPUTE_PGM_RSRC2:TIDIG_COMP_CNT: 0
	.section	.text._ZN9rocsolver6v33100L18getri_kernel_smallILi7E19rocblas_complex_numIfEPS3_EEvT1_iilPiilS6_bb,"axG",@progbits,_ZN9rocsolver6v33100L18getri_kernel_smallILi7E19rocblas_complex_numIfEPS3_EEvT1_iilPiilS6_bb,comdat
	.globl	_ZN9rocsolver6v33100L18getri_kernel_smallILi7E19rocblas_complex_numIfEPS3_EEvT1_iilPiilS6_bb ; -- Begin function _ZN9rocsolver6v33100L18getri_kernel_smallILi7E19rocblas_complex_numIfEPS3_EEvT1_iilPiilS6_bb
	.p2align	8
	.type	_ZN9rocsolver6v33100L18getri_kernel_smallILi7E19rocblas_complex_numIfEPS3_EEvT1_iilPiilS6_bb,@function
_ZN9rocsolver6v33100L18getri_kernel_smallILi7E19rocblas_complex_numIfEPS3_EEvT1_iilPiilS6_bb: ; @_ZN9rocsolver6v33100L18getri_kernel_smallILi7E19rocblas_complex_numIfEPS3_EEvT1_iilPiilS6_bb
; %bb.0:
	s_mov_b32 s2, exec_lo
	v_cmpx_gt_u32_e32 7, v0
	s_cbranch_execz .LBB6_42
; %bb.1:
	s_clause 0x2
	s_load_b32 s2, s[0:1], 0x38
	s_load_b128 s[12:15], s[0:1], 0x10
	s_load_b128 s[4:7], s[0:1], 0x28
	s_getreg_b32 s9, hwreg(HW_REG_IB_STS2, 6, 4)
	s_wait_kmcnt 0x0
	s_bitcmp1_b32 s2, 8
	s_cselect_b32 s18, -1, 0
	s_bfe_u32 s3, ttmp6, 0x4000c
	s_and_b32 s8, ttmp6, 15
	s_add_co_i32 s3, s3, 1
	s_delay_alu instid0(SALU_CYCLE_1) | instskip(NEXT) | instid1(SALU_CYCLE_1)
	s_mul_i32 s3, ttmp9, s3
	s_add_co_i32 s8, s8, s3
	s_cmp_eq_u32 s9, 0
	s_cselect_b32 s16, ttmp9, s8
	s_bfe_u32 s2, s2, 0x10008
	s_ashr_i32 s17, s16, 31
	s_cmp_eq_u32 s2, 0
                                        ; implicit-def: $sgpr2_sgpr3
	s_cbranch_scc1 .LBB6_3
; %bb.2:
	s_load_b32 s2, s[0:1], 0x20
	s_mul_u64 s[4:5], s[4:5], s[16:17]
	s_delay_alu instid0(SALU_CYCLE_1) | instskip(NEXT) | instid1(SALU_CYCLE_1)
	s_lshl_b64 s[4:5], s[4:5], 2
	s_add_nc_u64 s[4:5], s[14:15], s[4:5]
	s_wait_kmcnt 0x0
	s_ashr_i32 s3, s2, 31
	s_delay_alu instid0(SALU_CYCLE_1) | instskip(NEXT) | instid1(SALU_CYCLE_1)
	s_lshl_b64 s[2:3], s[2:3], 2
	s_add_nc_u64 s[2:3], s[4:5], s[2:3]
.LBB6_3:
	s_clause 0x1
	s_load_b128 s[8:11], s[0:1], 0x0
	s_load_b32 s14, s[0:1], 0x38
	s_wait_xcnt 0x0
	s_mul_u64 s[0:1], s[12:13], s[16:17]
	v_dual_mov_b32 v3, 0 :: v_dual_lshlrev_b32 v2, 3, v0
	s_lshl_b64 s[0:1], s[0:1], 3
	s_wait_kmcnt 0x0
	v_add3_u32 v8, s11, s11, v0
	s_ashr_i32 s5, s10, 31
	s_mov_b32 s4, s10
	s_add_nc_u64 s[0:1], s[8:9], s[0:1]
	s_lshl_b64 s[4:5], s[4:5], 3
	v_add_nc_u32_e32 v10, s11, v8
	s_add_nc_u64 s[4:5], s[0:1], s[4:5]
	s_ashr_i32 s1, s11, 31
	v_add_nc_u64_e32 v[4:5], s[4:5], v[2:3]
	s_mov_b32 s0, s11
	v_add_nc_u32_e32 v12, s11, v10
	s_bitcmp0_b32 s14, 0
	s_delay_alu instid0(VALU_DEP_2) | instskip(NEXT) | instid1(VALU_DEP_2)
	v_lshl_add_u64 v[6:7], s[0:1], 3, v[4:5]
	v_add_nc_u32_e32 v14, s11, v12
	s_clause 0x1
	global_load_b64 v[18:19], v0, s[4:5] scale_offset
	global_load_b64 v[20:21], v[6:7], off
	s_mov_b32 s1, -1
	v_add_nc_u32_e32 v16, s11, v14
	s_clause 0x4
	global_load_b64 v[22:23], v8, s[4:5] scale_offset
	global_load_b64 v[24:25], v10, s[4:5] scale_offset
	;; [unrolled: 1-line block ×5, first 2 shown]
	s_wait_loadcnt 0x5
	scratch_store_b128 off, v[18:21], off
	s_wait_loadcnt 0x3
	scratch_store_b128 off, v[22:25], off offset:16
	s_wait_loadcnt 0x1
	scratch_store_b128 off, v[26:29], off offset:32
	s_wait_loadcnt 0x0
	scratch_store_b64 off, v[30:31], off offset:48
	s_cbranch_scc1 .LBB6_40
; %bb.4:
	v_cmp_eq_u32_e64 s0, 0, v0
	s_wait_xcnt 0x0
	s_and_saveexec_b32 s1, s0
; %bb.5:
	v_mov_b32_e32 v1, 0
	ds_store_b32 v1, v1 offset:56
; %bb.6:
	s_or_b32 exec_lo, exec_lo, s1
	s_wait_storecnt_dscnt 0x0
	s_barrier_signal -1
	s_barrier_wait -1
	scratch_load_b64 v[18:19], v0, off scale_offset
	s_wait_loadcnt 0x0
	v_cmp_eq_f32_e32 vcc_lo, 0, v18
	v_cmp_eq_f32_e64 s1, 0, v19
	s_and_b32 s1, vcc_lo, s1
	s_delay_alu instid0(SALU_CYCLE_1)
	s_and_saveexec_b32 s8, s1
	s_cbranch_execz .LBB6_10
; %bb.7:
	v_mov_b32_e32 v1, 0
	s_mov_b32 s9, 0
	ds_load_b32 v3, v1 offset:56
	s_wait_dscnt 0x0
	v_readfirstlane_b32 s1, v3
	v_add_nc_u32_e32 v3, 1, v0
	s_cmp_eq_u32 s1, 0
	s_delay_alu instid0(VALU_DEP_1) | instskip(SKIP_1) | instid1(SALU_CYCLE_1)
	v_cmp_gt_i32_e32 vcc_lo, s1, v3
	s_cselect_b32 s10, -1, 0
	s_or_b32 s10, s10, vcc_lo
	s_delay_alu instid0(SALU_CYCLE_1)
	s_and_b32 exec_lo, exec_lo, s10
	s_cbranch_execz .LBB6_10
; %bb.8:
	v_mov_b32_e32 v9, s1
.LBB6_9:                                ; =>This Inner Loop Header: Depth=1
	ds_cmpstore_rtn_b32 v9, v1, v3, v9 offset:56
	s_wait_dscnt 0x0
	v_cmp_ne_u32_e32 vcc_lo, 0, v9
	v_cmp_le_i32_e64 s1, v9, v3
	s_and_b32 s1, vcc_lo, s1
	s_delay_alu instid0(SALU_CYCLE_1) | instskip(NEXT) | instid1(SALU_CYCLE_1)
	s_and_b32 s1, exec_lo, s1
	s_or_b32 s9, s1, s9
	s_delay_alu instid0(SALU_CYCLE_1)
	s_and_not1_b32 exec_lo, exec_lo, s9
	s_cbranch_execnz .LBB6_9
.LBB6_10:
	s_or_b32 exec_lo, exec_lo, s8
	v_mov_b32_e32 v1, 0
	s_barrier_signal -1
	s_barrier_wait -1
	ds_load_b32 v3, v1 offset:56
	s_and_saveexec_b32 s1, s0
	s_cbranch_execz .LBB6_12
; %bb.11:
	s_lshl_b64 s[8:9], s[16:17], 2
	s_delay_alu instid0(SALU_CYCLE_1)
	s_add_nc_u64 s[8:9], s[6:7], s[8:9]
	s_wait_dscnt 0x0
	global_store_b32 v1, v3, s[8:9]
.LBB6_12:
	s_wait_xcnt 0x0
	s_or_b32 exec_lo, exec_lo, s1
	s_wait_dscnt 0x0
	v_cmp_ne_u32_e32 vcc_lo, 0, v3
	s_mov_b32 s1, 0
	s_cbranch_vccnz .LBB6_40
; %bb.13:
	v_lshl_add_u32 v3, v0, 3, 0
                                        ; implicit-def: $vgpr21
                                        ; implicit-def: $vgpr22
	scratch_load_b64 v[18:19], v3, off
	s_wait_loadcnt 0x0
	v_cmp_ngt_f32_e64 s1, |v18|, |v19|
	s_wait_xcnt 0x0
	s_and_saveexec_b32 s8, s1
	s_delay_alu instid0(SALU_CYCLE_1)
	s_xor_b32 s1, exec_lo, s8
	s_cbranch_execz .LBB6_15
; %bb.14:
	v_div_scale_f32 v1, null, v19, v19, v18
	v_div_scale_f32 v13, vcc_lo, v18, v19, v18
	s_delay_alu instid0(VALU_DEP_2) | instskip(SKIP_1) | instid1(TRANS32_DEP_1)
	v_rcp_f32_e32 v9, v1
	v_nop
	v_fma_f32 v11, -v1, v9, 1.0
	s_delay_alu instid0(VALU_DEP_1) | instskip(NEXT) | instid1(VALU_DEP_1)
	v_fmac_f32_e32 v9, v11, v9
	v_mul_f32_e32 v11, v13, v9
	s_delay_alu instid0(VALU_DEP_1) | instskip(NEXT) | instid1(VALU_DEP_1)
	v_fma_f32 v15, -v1, v11, v13
	v_fmac_f32_e32 v11, v15, v9
	s_delay_alu instid0(VALU_DEP_1) | instskip(NEXT) | instid1(VALU_DEP_1)
	v_fma_f32 v1, -v1, v11, v13
	v_div_fmas_f32 v1, v1, v9, v11
	s_delay_alu instid0(VALU_DEP_1) | instskip(NEXT) | instid1(VALU_DEP_1)
	v_div_fixup_f32 v1, v1, v19, v18
	v_fmac_f32_e32 v19, v18, v1
	s_delay_alu instid0(VALU_DEP_1) | instskip(NEXT) | instid1(VALU_DEP_1)
	v_div_scale_f32 v9, null, v19, v19, -1.0
	v_rcp_f32_e32 v11, v9
	v_nop
	s_delay_alu instid0(TRANS32_DEP_1) | instskip(NEXT) | instid1(VALU_DEP_1)
	v_fma_f32 v13, -v9, v11, 1.0
	v_fmac_f32_e32 v11, v13, v11
	v_div_scale_f32 v13, vcc_lo, -1.0, v19, -1.0
	s_delay_alu instid0(VALU_DEP_1) | instskip(NEXT) | instid1(VALU_DEP_1)
	v_mul_f32_e32 v15, v13, v11
	v_fma_f32 v17, -v9, v15, v13
	s_delay_alu instid0(VALU_DEP_1) | instskip(NEXT) | instid1(VALU_DEP_1)
	v_fmac_f32_e32 v15, v17, v11
	v_fma_f32 v9, -v9, v15, v13
	s_delay_alu instid0(VALU_DEP_1) | instskip(NEXT) | instid1(VALU_DEP_1)
	v_div_fmas_f32 v9, v9, v11, v15
	v_div_fixup_f32 v21, v9, v19, -1.0
                                        ; implicit-def: $vgpr18_vgpr19
	s_delay_alu instid0(VALU_DEP_1) | instskip(NEXT) | instid1(VALU_DEP_1)
	v_mul_f32_e32 v22, v1, v21
	v_xor_b32_e32 v20, 0x80000000, v22
.LBB6_15:
	s_and_not1_saveexec_b32 s1, s1
	s_cbranch_execz .LBB6_17
; %bb.16:
	v_div_scale_f32 v1, null, v18, v18, v19
	v_div_scale_f32 v13, vcc_lo, v19, v18, v19
	s_delay_alu instid0(VALU_DEP_2) | instskip(SKIP_1) | instid1(TRANS32_DEP_1)
	v_rcp_f32_e32 v9, v1
	v_nop
	v_fma_f32 v11, -v1, v9, 1.0
	s_delay_alu instid0(VALU_DEP_1) | instskip(NEXT) | instid1(VALU_DEP_1)
	v_fmac_f32_e32 v9, v11, v9
	v_mul_f32_e32 v11, v13, v9
	s_delay_alu instid0(VALU_DEP_1) | instskip(NEXT) | instid1(VALU_DEP_1)
	v_fma_f32 v15, -v1, v11, v13
	v_fmac_f32_e32 v11, v15, v9
	s_delay_alu instid0(VALU_DEP_1) | instskip(NEXT) | instid1(VALU_DEP_1)
	v_fma_f32 v1, -v1, v11, v13
	v_div_fmas_f32 v1, v1, v9, v11
	s_delay_alu instid0(VALU_DEP_1) | instskip(NEXT) | instid1(VALU_DEP_1)
	v_div_fixup_f32 v1, v1, v18, v19
	v_fmac_f32_e32 v18, v19, v1
	s_delay_alu instid0(VALU_DEP_1) | instskip(SKIP_1) | instid1(VALU_DEP_2)
	v_div_scale_f32 v9, null, v18, v18, 1.0
	v_div_scale_f32 v15, vcc_lo, 1.0, v18, 1.0
	v_rcp_f32_e32 v11, v9
	v_nop
	s_delay_alu instid0(TRANS32_DEP_1) | instskip(NEXT) | instid1(VALU_DEP_1)
	v_fma_f32 v13, -v9, v11, 1.0
	v_fmac_f32_e32 v11, v13, v11
	s_delay_alu instid0(VALU_DEP_1) | instskip(NEXT) | instid1(VALU_DEP_1)
	v_mul_f32_e32 v13, v15, v11
	v_fma_f32 v17, -v9, v13, v15
	s_delay_alu instid0(VALU_DEP_1) | instskip(NEXT) | instid1(VALU_DEP_1)
	v_fmac_f32_e32 v13, v17, v11
	v_fma_f32 v9, -v9, v13, v15
	s_delay_alu instid0(VALU_DEP_1) | instskip(NEXT) | instid1(VALU_DEP_1)
	v_div_fmas_f32 v9, v9, v11, v13
	v_div_fixup_f32 v20, v9, v18, 1.0
	s_delay_alu instid0(VALU_DEP_1)
	v_xor_b32_e32 v22, 0x80000000, v20
	v_mul_f32_e64 v21, v1, -v20
.LBB6_17:
	s_or_b32 exec_lo, exec_lo, s1
	scratch_store_b64 v3, v[20:21], off
	scratch_load_b64 v[18:19], off, off offset:8
	v_xor_b32_e32 v23, 0x80000000, v21
	v_add_nc_u32_e32 v1, 64, v2
	s_wait_loadcnt 0x0
	ds_store_2addr_b64 v2, v[22:23], v[18:19] offset1:8
	s_wait_storecnt_dscnt 0x0
	s_barrier_signal -1
	s_barrier_wait -1
	s_wait_xcnt 0x0
	s_and_saveexec_b32 s1, s0
	s_cbranch_execz .LBB6_19
; %bb.18:
	scratch_load_b64 v[18:19], v3, off
	ds_load_b64 v[20:21], v1
	s_wait_loadcnt_dscnt 0x0
	v_pk_mul_f32 v[24:25], v[20:21], v[18:19] op_sel:[1,1] op_sel_hi:[0,1]
	s_delay_alu instid0(VALU_DEP_1) | instskip(SKIP_2) | instid1(VALU_DEP_3)
	v_pk_fma_f32 v[26:27], v[20:21], v[18:19], v[24:25] op_sel_hi:[1,0,1]
	v_mov_b32_e32 v9, 0
	v_pk_fma_f32 v[18:19], v[20:21], v[18:19], v[24:25] neg_lo:[0,0,1] neg_hi:[0,0,1]
	v_mov_b32_e32 v19, v27
	ds_load_b64 v[22:23], v9 offset:8
	v_pk_add_f32 v[18:19], v[18:19], 0 op_sel_hi:[1,0]
	s_wait_dscnt 0x0
	s_delay_alu instid0(VALU_DEP_1) | instskip(NEXT) | instid1(VALU_DEP_1)
	v_pk_mul_f32 v[20:21], v[18:19], v[22:23] op_sel:[1,1] op_sel_hi:[0,1]
	v_pk_fma_f32 v[24:25], v[18:19], v[22:23], v[20:21] op_sel_hi:[1,0,1]
	v_pk_fma_f32 v[18:19], v[18:19], v[22:23], v[20:21] neg_lo:[0,0,1] neg_hi:[0,0,1]
	s_delay_alu instid0(VALU_DEP_2)
	v_mov_b32_e32 v19, v25
	scratch_store_b64 off, v[18:19], off offset:8
.LBB6_19:
	s_wait_xcnt 0x0
	s_or_b32 exec_lo, exec_lo, s1
	s_wait_storecnt 0x0
	s_barrier_signal -1
	s_barrier_wait -1
	scratch_load_b64 v[18:19], off, off offset:16
	s_mov_b32 s1, exec_lo
	s_wait_loadcnt 0x0
	ds_store_b64 v1, v[18:19]
	s_wait_dscnt 0x0
	s_barrier_signal -1
	s_barrier_wait -1
	v_cmpx_gt_u32_e32 2, v0
	s_cbranch_execz .LBB6_23
; %bb.20:
	scratch_load_b64 v[18:19], v3, off
	ds_load_b64 v[20:21], v1
	s_wait_loadcnt_dscnt 0x0
	v_pk_mul_f32 v[22:23], v[20:21], v[18:19] op_sel:[1,1] op_sel_hi:[0,1]
	s_delay_alu instid0(VALU_DEP_1) | instskip(SKIP_1) | instid1(VALU_DEP_2)
	v_pk_fma_f32 v[24:25], v[20:21], v[18:19], v[22:23] op_sel_hi:[1,0,1]
	v_pk_fma_f32 v[18:19], v[20:21], v[18:19], v[22:23] neg_lo:[0,0,1] neg_hi:[0,0,1]
	v_mov_b32_e32 v19, v25
	s_delay_alu instid0(VALU_DEP_1)
	v_pk_add_f32 v[18:19], v[18:19], 0 op_sel_hi:[1,0]
	s_and_saveexec_b32 s8, s0
	s_cbranch_execz .LBB6_22
; %bb.21:
	scratch_load_b64 v[20:21], off, off offset:8
	v_mov_b32_e32 v3, 0
	ds_load_b64 v[22:23], v3 offset:72
	s_wait_loadcnt_dscnt 0x0
	v_pk_mul_f32 v[24:25], v[22:23], v[20:21] op_sel:[1,1] op_sel_hi:[0,1]
	s_delay_alu instid0(VALU_DEP_1) | instskip(SKIP_1) | instid1(VALU_DEP_2)
	v_pk_fma_f32 v[26:27], v[22:23], v[20:21], v[24:25] op_sel_hi:[1,0,1]
	v_pk_fma_f32 v[20:21], v[22:23], v[20:21], v[24:25] neg_lo:[0,0,1] neg_hi:[0,0,1]
	v_mov_b32_e32 v21, v27
	s_delay_alu instid0(VALU_DEP_1)
	v_pk_add_f32 v[18:19], v[18:19], v[20:21]
.LBB6_22:
	s_or_b32 exec_lo, exec_lo, s8
	v_mov_b32_e32 v3, 0
	ds_load_b64 v[20:21], v3 offset:16
	s_wait_dscnt 0x0
	v_pk_mul_f32 v[22:23], v[18:19], v[20:21] op_sel:[1,1] op_sel_hi:[0,1]
	s_delay_alu instid0(VALU_DEP_1) | instskip(SKIP_1) | instid1(VALU_DEP_2)
	v_pk_fma_f32 v[24:25], v[18:19], v[20:21], v[22:23] op_sel_hi:[1,0,1]
	v_pk_fma_f32 v[18:19], v[18:19], v[20:21], v[22:23] neg_lo:[0,0,1] neg_hi:[0,0,1]
	v_mov_b32_e32 v19, v25
	scratch_store_b64 off, v[18:19], off offset:16
.LBB6_23:
	s_wait_xcnt 0x0
	s_or_b32 exec_lo, exec_lo, s1
	s_wait_storecnt 0x0
	s_barrier_signal -1
	s_barrier_wait -1
	scratch_load_b64 v[18:19], off, off offset:24
	v_add_nc_u32_e32 v3, -1, v0
	s_mov_b32 s0, exec_lo
	s_wait_loadcnt 0x0
	ds_store_b64 v1, v[18:19]
	s_wait_dscnt 0x0
	s_barrier_signal -1
	s_barrier_wait -1
	v_cmpx_gt_u32_e32 3, v0
	s_cbranch_execz .LBB6_27
; %bb.24:
	v_dual_mov_b32 v18, 0 :: v_dual_add_nc_u32 v9, -1, v0
	v_dual_add_nc_u32 v11, 64, v2 :: v_dual_mov_b32 v13, v2
	s_mov_b32 s1, 0
	s_delay_alu instid0(VALU_DEP_2)
	v_mov_b32_e32 v19, v18
.LBB6_25:                               ; =>This Inner Loop Header: Depth=1
	scratch_load_b64 v[20:21], v13, off
	ds_load_b64 v[22:23], v11
	s_wait_xcnt 0x0
	v_dual_add_nc_u32 v11, 8, v11 :: v_dual_add_nc_u32 v13, 8, v13
	s_wait_loadcnt_dscnt 0x0
	v_pk_mul_f32 v[24:25], v[22:23], v[20:21] op_sel:[1,1] op_sel_hi:[0,1]
	s_delay_alu instid0(VALU_DEP_1) | instskip(SKIP_2) | instid1(VALU_DEP_3)
	v_pk_fma_f32 v[26:27], v[22:23], v[20:21], v[24:25] op_sel_hi:[1,0,1]
	v_add_nc_u32_e32 v9, 1, v9
	v_pk_fma_f32 v[20:21], v[22:23], v[20:21], v[24:25] neg_lo:[0,0,1] neg_hi:[0,0,1]
	v_mov_b32_e32 v21, v27
	s_delay_alu instid0(VALU_DEP_3) | instskip(NEXT) | instid1(VALU_DEP_2)
	v_cmp_lt_u32_e32 vcc_lo, 1, v9
	v_pk_add_f32 v[18:19], v[18:19], v[20:21]
	s_or_b32 s1, vcc_lo, s1
	s_delay_alu instid0(SALU_CYCLE_1)
	s_and_not1_b32 exec_lo, exec_lo, s1
	s_cbranch_execnz .LBB6_25
; %bb.26:
	s_or_b32 exec_lo, exec_lo, s1
	v_mov_b32_e32 v9, 0
	ds_load_b64 v[20:21], v9 offset:24
	s_wait_dscnt 0x0
	v_pk_mul_f32 v[22:23], v[18:19], v[20:21] op_sel:[1,1] op_sel_hi:[0,1]
	s_delay_alu instid0(VALU_DEP_1) | instskip(SKIP_1) | instid1(VALU_DEP_2)
	v_pk_fma_f32 v[24:25], v[18:19], v[20:21], v[22:23] op_sel_hi:[1,0,1]
	v_pk_fma_f32 v[18:19], v[18:19], v[20:21], v[22:23] neg_lo:[0,0,1] neg_hi:[0,0,1]
	v_mov_b32_e32 v19, v25
	scratch_store_b64 off, v[18:19], off offset:24
.LBB6_27:
	s_wait_xcnt 0x0
	s_or_b32 exec_lo, exec_lo, s0
	s_wait_storecnt 0x0
	s_barrier_signal -1
	s_barrier_wait -1
	scratch_load_b64 v[18:19], off, off offset:32
	s_mov_b32 s0, exec_lo
	s_wait_loadcnt 0x0
	ds_store_b64 v1, v[18:19]
	s_wait_dscnt 0x0
	s_barrier_signal -1
	s_barrier_wait -1
	v_cmpx_gt_u32_e32 4, v0
	s_cbranch_execz .LBB6_31
; %bb.28:
	v_dual_mov_b32 v18, 0 :: v_dual_add_nc_u32 v9, -1, v0
	v_dual_add_nc_u32 v11, 64, v2 :: v_dual_mov_b32 v13, v2
	s_mov_b32 s1, 0
	s_delay_alu instid0(VALU_DEP_2)
	v_mov_b32_e32 v19, v18
.LBB6_29:                               ; =>This Inner Loop Header: Depth=1
	scratch_load_b64 v[20:21], v13, off
	ds_load_b64 v[22:23], v11
	s_wait_xcnt 0x0
	v_dual_add_nc_u32 v11, 8, v11 :: v_dual_add_nc_u32 v13, 8, v13
	s_wait_loadcnt_dscnt 0x0
	v_pk_mul_f32 v[24:25], v[22:23], v[20:21] op_sel:[1,1] op_sel_hi:[0,1]
	s_delay_alu instid0(VALU_DEP_1) | instskip(SKIP_2) | instid1(VALU_DEP_3)
	v_pk_fma_f32 v[26:27], v[22:23], v[20:21], v[24:25] op_sel_hi:[1,0,1]
	v_add_nc_u32_e32 v9, 1, v9
	v_pk_fma_f32 v[20:21], v[22:23], v[20:21], v[24:25] neg_lo:[0,0,1] neg_hi:[0,0,1]
	v_mov_b32_e32 v21, v27
	s_delay_alu instid0(VALU_DEP_3) | instskip(NEXT) | instid1(VALU_DEP_2)
	v_cmp_lt_u32_e32 vcc_lo, 2, v9
	v_pk_add_f32 v[18:19], v[18:19], v[20:21]
	s_or_b32 s1, vcc_lo, s1
	s_delay_alu instid0(SALU_CYCLE_1)
	s_and_not1_b32 exec_lo, exec_lo, s1
	s_cbranch_execnz .LBB6_29
; %bb.30:
	s_or_b32 exec_lo, exec_lo, s1
	v_mov_b32_e32 v9, 0
	ds_load_b64 v[20:21], v9 offset:32
	s_wait_dscnt 0x0
	v_pk_mul_f32 v[22:23], v[18:19], v[20:21] op_sel:[1,1] op_sel_hi:[0,1]
	s_delay_alu instid0(VALU_DEP_1) | instskip(SKIP_1) | instid1(VALU_DEP_2)
	v_pk_fma_f32 v[24:25], v[18:19], v[20:21], v[22:23] op_sel_hi:[1,0,1]
	v_pk_fma_f32 v[18:19], v[18:19], v[20:21], v[22:23] neg_lo:[0,0,1] neg_hi:[0,0,1]
	v_mov_b32_e32 v19, v25
	scratch_store_b64 off, v[18:19], off offset:32
.LBB6_31:
	s_wait_xcnt 0x0
	s_or_b32 exec_lo, exec_lo, s0
	s_wait_storecnt 0x0
	s_barrier_signal -1
	s_barrier_wait -1
	scratch_load_b64 v[18:19], off, off offset:40
	;; [unrolled: 51-line block ×3, first 2 shown]
	s_mov_b32 s0, exec_lo
	s_wait_loadcnt 0x0
	ds_store_b64 v1, v[18:19]
	s_wait_dscnt 0x0
	s_barrier_signal -1
	s_barrier_wait -1
	v_cmpx_ne_u32_e32 6, v0
	s_cbranch_execz .LBB6_39
; %bb.36:
	v_mov_b32_e32 v18, 0
	s_mov_b32 s1, 0
	s_delay_alu instid0(VALU_DEP_1)
	v_mov_b32_e32 v19, v18
.LBB6_37:                               ; =>This Inner Loop Header: Depth=1
	scratch_load_b64 v[20:21], v2, off
	ds_load_b64 v[22:23], v1
	s_wait_xcnt 0x0
	v_dual_add_nc_u32 v1, 8, v1 :: v_dual_add_nc_u32 v2, 8, v2
	s_wait_loadcnt_dscnt 0x0
	v_pk_mul_f32 v[24:25], v[22:23], v[20:21] op_sel:[1,1] op_sel_hi:[0,1]
	s_delay_alu instid0(VALU_DEP_1) | instskip(SKIP_2) | instid1(VALU_DEP_3)
	v_pk_fma_f32 v[26:27], v[22:23], v[20:21], v[24:25] op_sel_hi:[1,0,1]
	v_add_nc_u32_e32 v3, 1, v3
	v_pk_fma_f32 v[20:21], v[22:23], v[20:21], v[24:25] neg_lo:[0,0,1] neg_hi:[0,0,1]
	v_mov_b32_e32 v21, v27
	s_delay_alu instid0(VALU_DEP_3) | instskip(NEXT) | instid1(VALU_DEP_2)
	v_cmp_lt_u32_e32 vcc_lo, 4, v3
	v_pk_add_f32 v[18:19], v[18:19], v[20:21]
	s_or_b32 s1, vcc_lo, s1
	s_delay_alu instid0(SALU_CYCLE_1)
	s_and_not1_b32 exec_lo, exec_lo, s1
	s_cbranch_execnz .LBB6_37
; %bb.38:
	s_or_b32 exec_lo, exec_lo, s1
	v_mov_b32_e32 v1, 0
	ds_load_b64 v[2:3], v1 offset:48
	s_wait_dscnt 0x0
	v_pk_mul_f32 v[20:21], v[18:19], v[2:3] op_sel:[1,1] op_sel_hi:[0,1]
	s_delay_alu instid0(VALU_DEP_1) | instskip(SKIP_1) | instid1(VALU_DEP_2)
	v_pk_fma_f32 v[22:23], v[18:19], v[2:3], v[20:21] op_sel_hi:[1,0,1]
	v_pk_fma_f32 v[2:3], v[18:19], v[2:3], v[20:21] neg_lo:[0,0,1] neg_hi:[0,0,1]
	v_mov_b32_e32 v3, v23
	scratch_store_b64 off, v[2:3], off offset:48
.LBB6_39:
	s_wait_xcnt 0x0
	s_or_b32 exec_lo, exec_lo, s0
	s_mov_b32 s1, -1
	s_wait_storecnt 0x0
	s_barrier_signal -1
	s_barrier_wait -1
.LBB6_40:
	s_and_b32 vcc_lo, exec_lo, s1
	s_cbranch_vccz .LBB6_42
; %bb.41:
	v_mov_b32_e32 v1, 0
	s_lshl_b64 s[0:1], s[16:17], 2
	s_delay_alu instid0(SALU_CYCLE_1)
	s_add_nc_u64 s[0:1], s[6:7], s[0:1]
	global_load_b32 v1, v1, s[0:1]
	s_wait_loadcnt 0x0
	v_cmp_ne_u32_e32 vcc_lo, 0, v1
	s_cbranch_vccz .LBB6_43
.LBB6_42:
	s_endpgm
.LBB6_43:
	s_wait_xcnt 0x0
	v_lshl_add_u32 v1, v0, 3, 64
	s_mov_b32 s0, exec_lo
	v_cmpx_eq_u32_e32 6, v0
	s_cbranch_execz .LBB6_45
; %bb.44:
	scratch_load_b64 v[2:3], off, off offset:40
	v_mov_b64_e32 v[18:19], 0
	scratch_store_b64 off, v[18:19], off offset:40
	s_wait_loadcnt 0x0
	ds_store_b64 v1, v[2:3]
.LBB6_45:
	s_wait_xcnt 0x0
	s_or_b32 exec_lo, exec_lo, s0
	s_wait_storecnt_dscnt 0x0
	s_barrier_signal -1
	s_barrier_wait -1
	s_clause 0x1
	scratch_load_b64 v[18:19], off, off offset:48
	scratch_load_b64 v[20:21], off, off offset:40
	v_mov_b32_e32 v2, 0
	s_mov_b32 s0, exec_lo
	ds_load_b64 v[22:23], v2 offset:112
	s_wait_loadcnt_dscnt 0x100
	v_pk_mul_f32 v[24:25], v[22:23], v[18:19] op_sel:[1,1] op_sel_hi:[0,1]
	s_delay_alu instid0(VALU_DEP_1) | instskip(SKIP_1) | instid1(VALU_DEP_2)
	v_pk_fma_f32 v[26:27], v[22:23], v[18:19], v[24:25] op_sel_hi:[1,0,1]
	v_pk_fma_f32 v[18:19], v[22:23], v[18:19], v[24:25] neg_lo:[0,0,1] neg_hi:[0,0,1]
	v_mov_b32_e32 v19, v27
	s_delay_alu instid0(VALU_DEP_1) | instskip(SKIP_1) | instid1(VALU_DEP_1)
	v_pk_add_f32 v[18:19], v[18:19], 0 op_sel_hi:[1,0]
	s_wait_loadcnt 0x0
	v_pk_add_f32 v[18:19], v[20:21], v[18:19] neg_lo:[0,1] neg_hi:[0,1]
	scratch_store_b64 off, v[18:19], off offset:40
	s_wait_xcnt 0x0
	v_cmpx_lt_u32_e32 4, v0
	s_cbranch_execz .LBB6_47
; %bb.46:
	scratch_load_b64 v[18:19], off, off offset:32
	v_mov_b64_e32 v[20:21], 0
	scratch_store_b64 off, v[20:21], off offset:32
	s_wait_loadcnt 0x0
	ds_store_b64 v1, v[18:19]
.LBB6_47:
	s_wait_xcnt 0x0
	s_or_b32 exec_lo, exec_lo, s0
	s_wait_storecnt_dscnt 0x0
	s_barrier_signal -1
	s_barrier_wait -1
	s_clause 0x1
	scratch_load_b128 v[18:21], off, off offset:40
	scratch_load_b64 v[26:27], off, off offset:32
	ds_load_2addr_b64 v[22:25], v2 offset0:13 offset1:14
	s_mov_b32 s0, exec_lo
	s_wait_dscnt 0x0
	v_dual_mov_b32 v2, v25 :: v_dual_mov_b32 v3, v24
	s_wait_loadcnt 0x1
	v_pk_mul_f32 v[28:29], v[22:23], v[18:19] op_sel:[1,1] op_sel_hi:[0,1]
	s_delay_alu instid0(VALU_DEP_1) | instskip(SKIP_2) | instid1(VALU_DEP_3)
	v_pk_fma_f32 v[32:33], v[22:23], v[18:19], v[28:29] op_sel_hi:[1,0,1]
	v_mov_b32_e32 v30, v21
	v_pk_fma_f32 v[18:19], v[22:23], v[18:19], v[28:29] neg_lo:[0,0,1] neg_hi:[0,0,1]
	v_mov_b32_e32 v19, v33
	s_delay_alu instid0(VALU_DEP_3) | instskip(NEXT) | instid1(VALU_DEP_2)
	v_pk_mul_f32 v[2:3], v[2:3], v[30:31] op_sel_hi:[1,0]
	v_pk_add_f32 v[18:19], v[18:19], 0 op_sel_hi:[1,0]
	s_delay_alu instid0(VALU_DEP_2) | instskip(SKIP_1) | instid1(VALU_DEP_2)
	v_pk_fma_f32 v[22:23], v[24:25], v[20:21], v[2:3] op_sel_hi:[1,0,1]
	v_pk_fma_f32 v[2:3], v[24:25], v[20:21], v[2:3] neg_lo:[0,0,1] neg_hi:[0,0,1]
	v_mov_b32_e32 v3, v23
	s_delay_alu instid0(VALU_DEP_1) | instskip(SKIP_1) | instid1(VALU_DEP_1)
	v_pk_add_f32 v[2:3], v[18:19], v[2:3]
	s_wait_loadcnt 0x0
	v_pk_add_f32 v[2:3], v[26:27], v[2:3] neg_lo:[0,1] neg_hi:[0,1]
	scratch_store_b64 off, v[2:3], off offset:32
	s_wait_xcnt 0x0
	v_cmpx_lt_u32_e32 3, v0
	s_cbranch_execz .LBB6_49
; %bb.48:
	scratch_load_b64 v[2:3], off, off offset:24
	v_mov_b64_e32 v[18:19], 0
	scratch_store_b64 off, v[18:19], off offset:24
	s_wait_loadcnt 0x0
	ds_store_b64 v1, v[2:3]
.LBB6_49:
	s_wait_xcnt 0x0
	s_or_b32 exec_lo, exec_lo, s0
	s_wait_storecnt_dscnt 0x0
	s_barrier_signal -1
	s_barrier_wait -1
	s_clause 0x2
	scratch_load_b128 v[18:21], off, off offset:32
	scratch_load_b64 v[26:27], off, off offset:48
	scratch_load_b64 v[28:29], off, off offset:24
	v_mov_b32_e32 v2, 0
	ds_load_b128 v[22:25], v2 offset:96
	ds_load_b64 v[30:31], v2 offset:112
	s_mov_b32 s0, exec_lo
	s_wait_dscnt 0x1
	v_dual_mov_b32 v32, v25 :: v_dual_mov_b32 v33, v24
	s_wait_loadcnt 0x2
	v_mov_b32_e32 v36, v21
	v_pk_mul_f32 v[34:35], v[22:23], v[18:19] op_sel:[1,1] op_sel_hi:[0,1]
	s_delay_alu instid0(VALU_DEP_2) | instskip(NEXT) | instid1(VALU_DEP_2)
	v_pk_mul_f32 v[32:33], v[32:33], v[36:37] op_sel_hi:[1,0]
	v_pk_fma_f32 v[38:39], v[22:23], v[18:19], v[34:35] op_sel_hi:[1,0,1]
	v_pk_fma_f32 v[18:19], v[22:23], v[18:19], v[34:35] neg_lo:[0,0,1] neg_hi:[0,0,1]
	s_wait_loadcnt_dscnt 0x100
	v_pk_mul_f32 v[34:35], v[30:31], v[26:27] op_sel:[1,1] op_sel_hi:[0,1]
	v_pk_fma_f32 v[22:23], v[24:25], v[20:21], v[32:33] op_sel_hi:[1,0,1]
	v_mov_b32_e32 v19, v39
	v_pk_fma_f32 v[20:21], v[24:25], v[20:21], v[32:33] neg_lo:[0,0,1] neg_hi:[0,0,1]
	s_delay_alu instid0(VALU_DEP_4) | instskip(NEXT) | instid1(VALU_DEP_4)
	v_pk_fma_f32 v[24:25], v[30:31], v[26:27], v[34:35] neg_lo:[0,0,1] neg_hi:[0,0,1]
	v_mov_b32_e32 v21, v23
	s_delay_alu instid0(VALU_DEP_4) | instskip(SKIP_1) | instid1(VALU_DEP_2)
	v_pk_add_f32 v[18:19], v[18:19], 0 op_sel_hi:[1,0]
	v_pk_fma_f32 v[22:23], v[30:31], v[26:27], v[34:35] op_sel_hi:[1,0,1]
	v_pk_add_f32 v[18:19], v[18:19], v[20:21]
	s_delay_alu instid0(VALU_DEP_2) | instskip(NEXT) | instid1(VALU_DEP_1)
	v_mov_b32_e32 v25, v23
	v_pk_add_f32 v[18:19], v[18:19], v[24:25]
	s_wait_loadcnt 0x0
	s_delay_alu instid0(VALU_DEP_1)
	v_pk_add_f32 v[18:19], v[28:29], v[18:19] neg_lo:[0,1] neg_hi:[0,1]
	scratch_store_b64 off, v[18:19], off offset:24
	s_wait_xcnt 0x0
	v_cmpx_lt_u32_e32 2, v0
	s_cbranch_execz .LBB6_51
; %bb.50:
	scratch_load_b64 v[18:19], off, off offset:16
	v_mov_b64_e32 v[20:21], 0
	scratch_store_b64 off, v[20:21], off offset:16
	s_wait_loadcnt 0x0
	ds_store_b64 v1, v[18:19]
.LBB6_51:
	s_wait_xcnt 0x0
	s_or_b32 exec_lo, exec_lo, s0
	s_wait_storecnt_dscnt 0x0
	s_barrier_signal -1
	s_barrier_wait -1
	s_clause 0x2
	scratch_load_b128 v[18:21], off, off offset:24
	scratch_load_b128 v[22:25], off, off offset:40
	scratch_load_b64 v[34:35], off, off offset:16
	ds_load_2addr_b64 v[26:29], v2 offset0:11 offset1:12
	ds_load_2addr_b64 v[30:33], v2 offset0:13 offset1:14
	s_mov_b32 s0, exec_lo
	s_wait_dscnt 0x1
	v_dual_mov_b32 v2, v29 :: v_dual_mov_b32 v3, v28
	s_wait_loadcnt_dscnt 0x200
	v_dual_mov_b32 v40, v33 :: v_dual_mov_b32 v38, v21
	v_pk_mul_f32 v[36:37], v[26:27], v[18:19] op_sel:[1,1] op_sel_hi:[0,1]
	s_delay_alu instid0(VALU_DEP_2) | instskip(NEXT) | instid1(VALU_DEP_2)
	v_pk_mul_f32 v[2:3], v[2:3], v[38:39] op_sel_hi:[1,0]
	v_pk_fma_f32 v[42:43], v[26:27], v[18:19], v[36:37] op_sel_hi:[1,0,1]
	v_pk_fma_f32 v[18:19], v[26:27], v[18:19], v[36:37] neg_lo:[0,0,1] neg_hi:[0,0,1]
	v_mov_b32_e32 v41, v32
	s_wait_loadcnt 0x1
	v_pk_mul_f32 v[38:39], v[30:31], v[22:23] op_sel:[1,1] op_sel_hi:[0,1]
	v_pk_fma_f32 v[26:27], v[28:29], v[20:21], v[2:3] op_sel_hi:[1,0,1]
	v_dual_mov_b32 v19, v43 :: v_dual_mov_b32 v26, v25
	v_pk_fma_f32 v[2:3], v[28:29], v[20:21], v[2:3] neg_lo:[0,0,1] neg_hi:[0,0,1]
	s_delay_alu instid0(VALU_DEP_4) | instskip(NEXT) | instid1(VALU_DEP_4)
	v_pk_fma_f32 v[36:37], v[30:31], v[22:23], v[38:39] op_sel_hi:[1,0,1]
	v_mov_b32_e32 v3, v27
	s_delay_alu instid0(VALU_DEP_4) | instskip(SKIP_2) | instid1(VALU_DEP_3)
	v_pk_add_f32 v[18:19], v[18:19], 0 op_sel_hi:[1,0]
	v_pk_mul_f32 v[20:21], v[40:41], v[26:27] op_sel_hi:[1,0]
	v_pk_fma_f32 v[22:23], v[30:31], v[22:23], v[38:39] neg_lo:[0,0,1] neg_hi:[0,0,1]
	v_pk_add_f32 v[2:3], v[18:19], v[2:3]
	s_delay_alu instid0(VALU_DEP_3) | instskip(SKIP_2) | instid1(VALU_DEP_3)
	v_pk_fma_f32 v[18:19], v[32:33], v[24:25], v[20:21] op_sel_hi:[1,0,1]
	v_mov_b32_e32 v23, v37
	v_pk_fma_f32 v[20:21], v[32:33], v[24:25], v[20:21] neg_lo:[0,0,1] neg_hi:[0,0,1]
	v_mov_b32_e32 v21, v19
	s_delay_alu instid0(VALU_DEP_3) | instskip(NEXT) | instid1(VALU_DEP_1)
	v_pk_add_f32 v[2:3], v[2:3], v[22:23]
	v_pk_add_f32 v[2:3], v[2:3], v[20:21]
	s_wait_loadcnt 0x0
	s_delay_alu instid0(VALU_DEP_1)
	v_pk_add_f32 v[2:3], v[34:35], v[2:3] neg_lo:[0,1] neg_hi:[0,1]
	scratch_store_b64 off, v[2:3], off offset:16
	s_wait_xcnt 0x0
	v_cmpx_lt_u32_e32 1, v0
	s_cbranch_execz .LBB6_53
; %bb.52:
	scratch_load_b64 v[2:3], off, off offset:8
	v_mov_b64_e32 v[18:19], 0
	scratch_store_b64 off, v[18:19], off offset:8
	s_wait_loadcnt 0x0
	ds_store_b64 v1, v[2:3]
.LBB6_53:
	s_wait_xcnt 0x0
	s_or_b32 exec_lo, exec_lo, s0
	s_wait_storecnt_dscnt 0x0
	s_barrier_signal -1
	s_barrier_wait -1
	s_clause 0x3
	scratch_load_b128 v[20:23], off, off offset:16
	scratch_load_b128 v[24:27], off, off offset:32
	scratch_load_b64 v[2:3], off, off offset:48
	scratch_load_b64 v[36:37], off, off offset:8
	v_mov_b32_e32 v18, 0
	ds_load_b128 v[28:31], v18 offset:80
	ds_load_b128 v[32:35], v18 offset:96
	v_dual_ashrrev_i32 v9, 31, v8 :: v_dual_ashrrev_i32 v11, 31, v10
	v_dual_ashrrev_i32 v13, 31, v12 :: v_dual_ashrrev_i32 v15, 31, v14
	v_ashrrev_i32_e32 v17, 31, v16
	s_mov_b32 s0, exec_lo
	s_wait_dscnt 0x1
	v_dual_mov_b32 v38, v31 :: v_dual_mov_b32 v39, v30
	ds_load_b64 v[44:45], v18 offset:112
	s_wait_dscnt 0x1
	v_dual_mov_b32 v46, v35 :: v_dual_mov_b32 v47, v34
	s_wait_loadcnt 0x3
	v_pk_mul_f32 v[40:41], v[28:29], v[20:21] op_sel:[1,1] op_sel_hi:[0,1]
	v_mov_b32_e32 v42, v23
	s_delay_alu instid0(VALU_DEP_2) | instskip(NEXT) | instid1(VALU_DEP_2)
	v_pk_fma_f32 v[48:49], v[28:29], v[20:21], v[40:41] op_sel_hi:[1,0,1]
	v_pk_mul_f32 v[38:39], v[38:39], v[42:43] op_sel_hi:[1,0]
	v_pk_fma_f32 v[20:21], v[28:29], v[20:21], v[40:41] neg_lo:[0,0,1] neg_hi:[0,0,1]
	s_wait_loadcnt 0x2
	v_pk_mul_f32 v[42:43], v[32:33], v[24:25] op_sel:[1,1] op_sel_hi:[0,1]
	v_dual_mov_b32 v48, v27 :: v_dual_mov_b32 v21, v49
	v_pk_fma_f32 v[28:29], v[30:31], v[22:23], v[38:39] op_sel_hi:[1,0,1]
	v_pk_fma_f32 v[22:23], v[30:31], v[22:23], v[38:39] neg_lo:[0,0,1] neg_hi:[0,0,1]
	s_delay_alu instid0(VALU_DEP_4) | instskip(NEXT) | instid1(VALU_DEP_4)
	v_pk_fma_f32 v[40:41], v[32:33], v[24:25], v[42:43] op_sel_hi:[1,0,1]
	v_pk_mul_f32 v[46:47], v[46:47], v[48:49] op_sel_hi:[1,0]
	v_pk_add_f32 v[20:21], v[20:21], 0 op_sel_hi:[1,0]
	v_mov_b32_e32 v23, v29
	v_pk_fma_f32 v[24:25], v[32:33], v[24:25], v[42:43] neg_lo:[0,0,1] neg_hi:[0,0,1]
	v_mov_b32_e32 v25, v41
	v_pk_fma_f32 v[28:29], v[34:35], v[26:27], v[46:47] op_sel_hi:[1,0,1]
	v_pk_fma_f32 v[26:27], v[34:35], v[26:27], v[46:47] neg_lo:[0,0,1] neg_hi:[0,0,1]
	v_pk_add_f32 v[20:21], v[20:21], v[22:23]
	s_wait_loadcnt_dscnt 0x100
	v_pk_mul_f32 v[22:23], v[44:45], v[2:3] op_sel:[1,1] op_sel_hi:[0,1]
	s_delay_alu instid0(VALU_DEP_2) | instskip(NEXT) | instid1(VALU_DEP_2)
	v_pk_add_f32 v[20:21], v[20:21], v[24:25]
	v_pk_fma_f32 v[24:25], v[44:45], v[2:3], v[22:23] op_sel_hi:[1,0,1]
	v_mov_b32_e32 v27, v29
	v_pk_fma_f32 v[2:3], v[44:45], v[2:3], v[22:23] neg_lo:[0,0,1] neg_hi:[0,0,1]
	s_delay_alu instid0(VALU_DEP_3) | instskip(NEXT) | instid1(VALU_DEP_3)
	v_mov_b32_e32 v3, v25
	v_pk_add_f32 v[20:21], v[20:21], v[26:27]
	s_delay_alu instid0(VALU_DEP_1) | instskip(SKIP_1) | instid1(VALU_DEP_1)
	v_pk_add_f32 v[2:3], v[20:21], v[2:3]
	s_wait_loadcnt 0x0
	v_pk_add_f32 v[2:3], v[36:37], v[2:3] neg_lo:[0,1] neg_hi:[0,1]
	scratch_store_b64 off, v[2:3], off offset:8
	s_wait_xcnt 0x0
	v_cmpx_ne_u32_e32 0, v0
	s_cbranch_execz .LBB6_55
; %bb.54:
	scratch_load_b64 v[2:3], off, off
	v_mov_b64_e32 v[20:21], 0
	scratch_store_b64 off, v[20:21], off
	s_wait_loadcnt 0x0
	ds_store_b64 v1, v[2:3]
.LBB6_55:
	s_wait_xcnt 0x0
	s_or_b32 exec_lo, exec_lo, s0
	s_wait_storecnt_dscnt 0x0
	s_barrier_signal -1
	s_barrier_wait -1
	s_clause 0x3
	scratch_load_b128 v[20:23], off, off offset:8
	scratch_load_b128 v[24:27], off, off offset:24
	;; [unrolled: 1-line block ×3, first 2 shown]
	scratch_load_b64 v[40:41], off, off
	ds_load_2addr_b64 v[28:31], v18 offset0:9 offset1:10
	ds_load_2addr_b64 v[32:35], v18 offset0:11 offset1:12
	;; [unrolled: 1-line block ×3, first 2 shown]
	s_and_b32 vcc_lo, exec_lo, s18
	s_wait_dscnt 0x2
	v_dual_mov_b32 v18, v31 :: v_dual_mov_b32 v19, v30
	s_wait_dscnt 0x1
	v_dual_mov_b32 v42, v35 :: v_dual_mov_b32 v43, v34
	;; [unrolled: 2-line block ×3, first 2 shown]
	s_wait_loadcnt 0x3
	v_mov_b32_e32 v46, v23
	v_pk_mul_f32 v[44:45], v[28:29], v[20:21] op_sel:[1,1] op_sel_hi:[0,1]
	s_wait_loadcnt 0x2
	v_pk_mul_f32 v[50:51], v[32:33], v[24:25] op_sel:[1,1] op_sel_hi:[0,1]
	s_wait_loadcnt 0x1
	v_pk_mul_f32 v[54:55], v[36:37], v[0:1] op_sel:[1,1] op_sel_hi:[0,1]
	v_pk_mul_f32 v[18:19], v[18:19], v[46:47] op_sel_hi:[1,0]
	v_pk_fma_f32 v[52:53], v[28:29], v[20:21], v[44:45] op_sel_hi:[1,0,1]
	v_pk_fma_f32 v[20:21], v[28:29], v[20:21], v[44:45] neg_lo:[0,0,1] neg_hi:[0,0,1]
	v_mov_b32_e32 v46, v27
	v_pk_fma_f32 v[44:45], v[32:33], v[24:25], v[50:51] op_sel_hi:[1,0,1]
	v_pk_fma_f32 v[28:29], v[30:31], v[22:23], v[18:19] op_sel_hi:[1,0,1]
	v_mov_b32_e32 v21, v53
	v_pk_fma_f32 v[18:19], v[30:31], v[22:23], v[18:19] neg_lo:[0,0,1] neg_hi:[0,0,1]
	v_pk_mul_f32 v[42:43], v[42:43], v[46:47] op_sel_hi:[1,0]
	v_pk_fma_f32 v[24:25], v[32:33], v[24:25], v[50:51] neg_lo:[0,0,1] neg_hi:[0,0,1]
	v_mov_b32_e32 v19, v29
	v_pk_add_f32 v[20:21], v[20:21], 0 op_sel_hi:[1,0]
	v_dual_mov_b32 v22, v3 :: v_dual_mov_b32 v25, v45
	v_pk_fma_f32 v[28:29], v[34:35], v[26:27], v[42:43] op_sel_hi:[1,0,1]
	v_pk_fma_f32 v[26:27], v[34:35], v[26:27], v[42:43] neg_lo:[0,0,1] neg_hi:[0,0,1]
	s_delay_alu instid0(VALU_DEP_4) | instskip(SKIP_3) | instid1(VALU_DEP_4)
	v_pk_add_f32 v[18:19], v[20:21], v[18:19]
	v_pk_fma_f32 v[20:21], v[36:37], v[0:1], v[54:55] op_sel_hi:[1,0,1]
	v_pk_mul_f32 v[22:23], v[48:49], v[22:23] op_sel_hi:[1,0]
	v_mov_b32_e32 v27, v29
	v_pk_add_f32 v[18:19], v[18:19], v[24:25]
	v_pk_fma_f32 v[24:25], v[36:37], v[0:1], v[54:55] neg_lo:[0,0,1] neg_hi:[0,0,1]
	v_mov_b32_e32 v25, v21
	v_pk_fma_f32 v[20:21], v[38:39], v[2:3], v[22:23] op_sel_hi:[1,0,1]
	v_pk_fma_f32 v[2:3], v[38:39], v[2:3], v[22:23] neg_lo:[0,0,1] neg_hi:[0,0,1]
	v_pk_add_f32 v[18:19], v[18:19], v[26:27]
	s_delay_alu instid0(VALU_DEP_3) | instskip(NEXT) | instid1(VALU_DEP_2)
	v_mov_b32_e32 v3, v21
	v_pk_add_f32 v[18:19], v[18:19], v[24:25]
	s_delay_alu instid0(VALU_DEP_1) | instskip(SKIP_1) | instid1(VALU_DEP_1)
	v_pk_add_f32 v[2:3], v[18:19], v[2:3]
	s_wait_loadcnt 0x0
	v_pk_add_f32 v[2:3], v[40:41], v[2:3] neg_lo:[0,1] neg_hi:[0,1]
	scratch_store_b64 off, v[2:3], off
	s_cbranch_vccz .LBB6_68
; %bb.56:
	s_wait_xcnt 0x0
	v_mov_b32_e32 v2, 0
	global_load_b32 v3, v2, s[2:3] offset:20
	s_wait_loadcnt 0x0
	v_cmp_ne_u32_e32 vcc_lo, 6, v3
	s_cbranch_vccz .LBB6_58
; %bb.57:
	v_lshlrev_b32_e32 v3, 3, v3
	scratch_load_b64 v[18:19], v3, off offset:-8
	s_wait_loadcnt 0x0
	scratch_store_b64 off, v[18:19], off offset:40
	scratch_store_b64 v3, v[0:1], off offset:-8
.LBB6_58:
	global_load_b32 v0, v2, s[2:3] offset:16
	s_wait_loadcnt 0x0
	v_cmp_eq_u32_e32 vcc_lo, 5, v0
	s_cbranch_vccnz .LBB6_60
; %bb.59:
	v_lshlrev_b32_e32 v0, 3, v0
	s_delay_alu instid0(VALU_DEP_1)
	v_mov_b32_e32 v18, v0
	scratch_load_b64 v[0:1], v18, off offset:-8
	scratch_load_b64 v[2:3], off, off offset:32
	s_wait_loadcnt 0x1
	scratch_store_b64 off, v[0:1], off offset:32
	s_wait_loadcnt 0x0
	scratch_store_b64 v18, v[2:3], off offset:-8
.LBB6_60:
	s_wait_xcnt 0x1
	v_mov_b32_e32 v0, 0
	global_load_b32 v1, v0, s[2:3] offset:12
	s_wait_loadcnt 0x0
	v_cmp_eq_u32_e32 vcc_lo, 4, v1
	s_cbranch_vccnz .LBB6_62
; %bb.61:
	v_lshlrev_b32_e32 v1, 3, v1
	scratch_load_b64 v[2:3], v1, off offset:-8
	scratch_load_b64 v[18:19], off, off offset:24
	s_wait_loadcnt 0x1
	scratch_store_b64 off, v[2:3], off offset:24
	s_wait_loadcnt 0x0
	scratch_store_b64 v1, v[18:19], off offset:-8
.LBB6_62:
	global_load_b32 v0, v0, s[2:3] offset:8
	s_wait_loadcnt 0x0
	v_cmp_eq_u32_e32 vcc_lo, 3, v0
	s_cbranch_vccnz .LBB6_64
; %bb.63:
	s_wait_xcnt 0x0
	v_lshlrev_b32_e32 v0, 3, v0
	s_delay_alu instid0(VALU_DEP_1)
	v_mov_b32_e32 v18, v0
	scratch_load_b64 v[0:1], v18, off offset:-8
	scratch_load_b64 v[2:3], off, off offset:16
	s_wait_loadcnt 0x1
	scratch_store_b64 off, v[0:1], off offset:16
	s_wait_loadcnt 0x0
	scratch_store_b64 v18, v[2:3], off offset:-8
.LBB6_64:
	s_wait_xcnt 0x0
	v_mov_b32_e32 v0, 0
	global_load_b32 v1, v0, s[2:3] offset:4
	s_wait_loadcnt 0x0
	v_cmp_eq_u32_e32 vcc_lo, 2, v1
	s_cbranch_vccnz .LBB6_66
; %bb.65:
	v_lshlrev_b32_e32 v1, 3, v1
	scratch_load_b64 v[2:3], v1, off offset:-8
	scratch_load_b64 v[18:19], off, off offset:8
	s_wait_loadcnt 0x1
	scratch_store_b64 off, v[2:3], off offset:8
	s_wait_loadcnt 0x0
	scratch_store_b64 v1, v[18:19], off offset:-8
.LBB6_66:
	global_load_b32 v0, v0, s[2:3]
	scratch_load_b64 v[2:3], off, off
	s_wait_loadcnt 0x1
	v_cmp_eq_u32_e32 vcc_lo, 1, v0
	s_cbranch_vccnz .LBB6_68
; %bb.67:
	s_wait_xcnt 0x1
	v_lshlrev_b32_e32 v0, 3, v0
	s_delay_alu instid0(VALU_DEP_1)
	v_mov_b32_e32 v18, v0
	scratch_load_b64 v[0:1], v18, off offset:-8
	s_wait_loadcnt 0x0
	scratch_store_b64 off, v[0:1], off
	scratch_store_b64 v18, v[2:3], off offset:-8
	scratch_load_b64 v[2:3], off, off
.LBB6_68:
	v_lshl_add_u64 v[18:19], v[8:9], 3, s[4:5]
	s_wait_xcnt 0x1
	v_lshl_add_u64 v[0:1], v[14:15], 3, s[4:5]
	v_lshl_add_u64 v[8:9], v[16:17], 3, s[4:5]
	s_clause 0x2
	scratch_load_b128 v[14:17], off, off offset:8
	scratch_load_b128 v[20:23], off, off offset:24
	;; [unrolled: 1-line block ×3, first 2 shown]
	v_lshl_add_u64 v[10:11], v[10:11], 3, s[4:5]
	v_lshl_add_u64 v[12:13], v[12:13], 3, s[4:5]
	s_wait_loadcnt 0x3
	global_store_b64 v[4:5], v[2:3], off
	s_wait_loadcnt 0x2
	s_clause 0x1
	global_store_b64 v[6:7], v[14:15], off
	global_store_b64 v[18:19], v[16:17], off
	s_wait_loadcnt 0x1
	s_clause 0x1
	global_store_b64 v[10:11], v[20:21], off
	;; [unrolled: 4-line block ×3, first 2 shown]
	global_store_b64 v[8:9], v[26:27], off
	s_endpgm
	.section	.rodata,"a",@progbits
	.p2align	6, 0x0
	.amdhsa_kernel _ZN9rocsolver6v33100L18getri_kernel_smallILi7E19rocblas_complex_numIfEPS3_EEvT1_iilPiilS6_bb
		.amdhsa_group_segment_fixed_size 120
		.amdhsa_private_segment_fixed_size 64
		.amdhsa_kernarg_size 60
		.amdhsa_user_sgpr_count 2
		.amdhsa_user_sgpr_dispatch_ptr 0
		.amdhsa_user_sgpr_queue_ptr 0
		.amdhsa_user_sgpr_kernarg_segment_ptr 1
		.amdhsa_user_sgpr_dispatch_id 0
		.amdhsa_user_sgpr_kernarg_preload_length 0
		.amdhsa_user_sgpr_kernarg_preload_offset 0
		.amdhsa_user_sgpr_private_segment_size 0
		.amdhsa_wavefront_size32 1
		.amdhsa_uses_dynamic_stack 0
		.amdhsa_enable_private_segment 1
		.amdhsa_system_sgpr_workgroup_id_x 1
		.amdhsa_system_sgpr_workgroup_id_y 0
		.amdhsa_system_sgpr_workgroup_id_z 0
		.amdhsa_system_sgpr_workgroup_info 0
		.amdhsa_system_vgpr_workitem_id 0
		.amdhsa_next_free_vgpr 56
		.amdhsa_next_free_sgpr 19
		.amdhsa_named_barrier_count 0
		.amdhsa_reserve_vcc 1
		.amdhsa_float_round_mode_32 0
		.amdhsa_float_round_mode_16_64 0
		.amdhsa_float_denorm_mode_32 3
		.amdhsa_float_denorm_mode_16_64 3
		.amdhsa_fp16_overflow 0
		.amdhsa_memory_ordered 1
		.amdhsa_forward_progress 1
		.amdhsa_inst_pref_size 45
		.amdhsa_round_robin_scheduling 0
		.amdhsa_exception_fp_ieee_invalid_op 0
		.amdhsa_exception_fp_denorm_src 0
		.amdhsa_exception_fp_ieee_div_zero 0
		.amdhsa_exception_fp_ieee_overflow 0
		.amdhsa_exception_fp_ieee_underflow 0
		.amdhsa_exception_fp_ieee_inexact 0
		.amdhsa_exception_int_div_zero 0
	.end_amdhsa_kernel
	.section	.text._ZN9rocsolver6v33100L18getri_kernel_smallILi7E19rocblas_complex_numIfEPS3_EEvT1_iilPiilS6_bb,"axG",@progbits,_ZN9rocsolver6v33100L18getri_kernel_smallILi7E19rocblas_complex_numIfEPS3_EEvT1_iilPiilS6_bb,comdat
.Lfunc_end6:
	.size	_ZN9rocsolver6v33100L18getri_kernel_smallILi7E19rocblas_complex_numIfEPS3_EEvT1_iilPiilS6_bb, .Lfunc_end6-_ZN9rocsolver6v33100L18getri_kernel_smallILi7E19rocblas_complex_numIfEPS3_EEvT1_iilPiilS6_bb
                                        ; -- End function
	.set _ZN9rocsolver6v33100L18getri_kernel_smallILi7E19rocblas_complex_numIfEPS3_EEvT1_iilPiilS6_bb.num_vgpr, 56
	.set _ZN9rocsolver6v33100L18getri_kernel_smallILi7E19rocblas_complex_numIfEPS3_EEvT1_iilPiilS6_bb.num_agpr, 0
	.set _ZN9rocsolver6v33100L18getri_kernel_smallILi7E19rocblas_complex_numIfEPS3_EEvT1_iilPiilS6_bb.numbered_sgpr, 19
	.set _ZN9rocsolver6v33100L18getri_kernel_smallILi7E19rocblas_complex_numIfEPS3_EEvT1_iilPiilS6_bb.num_named_barrier, 0
	.set _ZN9rocsolver6v33100L18getri_kernel_smallILi7E19rocblas_complex_numIfEPS3_EEvT1_iilPiilS6_bb.private_seg_size, 64
	.set _ZN9rocsolver6v33100L18getri_kernel_smallILi7E19rocblas_complex_numIfEPS3_EEvT1_iilPiilS6_bb.uses_vcc, 1
	.set _ZN9rocsolver6v33100L18getri_kernel_smallILi7E19rocblas_complex_numIfEPS3_EEvT1_iilPiilS6_bb.uses_flat_scratch, 1
	.set _ZN9rocsolver6v33100L18getri_kernel_smallILi7E19rocblas_complex_numIfEPS3_EEvT1_iilPiilS6_bb.has_dyn_sized_stack, 0
	.set _ZN9rocsolver6v33100L18getri_kernel_smallILi7E19rocblas_complex_numIfEPS3_EEvT1_iilPiilS6_bb.has_recursion, 0
	.set _ZN9rocsolver6v33100L18getri_kernel_smallILi7E19rocblas_complex_numIfEPS3_EEvT1_iilPiilS6_bb.has_indirect_call, 0
	.section	.AMDGPU.csdata,"",@progbits
; Kernel info:
; codeLenInByte = 5640
; TotalNumSgprs: 21
; NumVgprs: 56
; ScratchSize: 64
; MemoryBound: 0
; FloatMode: 240
; IeeeMode: 1
; LDSByteSize: 120 bytes/workgroup (compile time only)
; SGPRBlocks: 0
; VGPRBlocks: 3
; NumSGPRsForWavesPerEU: 21
; NumVGPRsForWavesPerEU: 56
; NamedBarCnt: 0
; Occupancy: 16
; WaveLimiterHint : 0
; COMPUTE_PGM_RSRC2:SCRATCH_EN: 1
; COMPUTE_PGM_RSRC2:USER_SGPR: 2
; COMPUTE_PGM_RSRC2:TRAP_HANDLER: 0
; COMPUTE_PGM_RSRC2:TGID_X_EN: 1
; COMPUTE_PGM_RSRC2:TGID_Y_EN: 0
; COMPUTE_PGM_RSRC2:TGID_Z_EN: 0
; COMPUTE_PGM_RSRC2:TIDIG_COMP_CNT: 0
	.section	.text._ZN9rocsolver6v33100L18getri_kernel_smallILi8E19rocblas_complex_numIfEPS3_EEvT1_iilPiilS6_bb,"axG",@progbits,_ZN9rocsolver6v33100L18getri_kernel_smallILi8E19rocblas_complex_numIfEPS3_EEvT1_iilPiilS6_bb,comdat
	.globl	_ZN9rocsolver6v33100L18getri_kernel_smallILi8E19rocblas_complex_numIfEPS3_EEvT1_iilPiilS6_bb ; -- Begin function _ZN9rocsolver6v33100L18getri_kernel_smallILi8E19rocblas_complex_numIfEPS3_EEvT1_iilPiilS6_bb
	.p2align	8
	.type	_ZN9rocsolver6v33100L18getri_kernel_smallILi8E19rocblas_complex_numIfEPS3_EEvT1_iilPiilS6_bb,@function
_ZN9rocsolver6v33100L18getri_kernel_smallILi8E19rocblas_complex_numIfEPS3_EEvT1_iilPiilS6_bb: ; @_ZN9rocsolver6v33100L18getri_kernel_smallILi8E19rocblas_complex_numIfEPS3_EEvT1_iilPiilS6_bb
; %bb.0:
	s_mov_b32 s2, exec_lo
	v_cmpx_gt_u32_e32 8, v0
	s_cbranch_execz .LBB7_46
; %bb.1:
	s_clause 0x2
	s_load_b32 s2, s[0:1], 0x38
	s_load_b128 s[12:15], s[0:1], 0x10
	s_load_b128 s[4:7], s[0:1], 0x28
	s_getreg_b32 s9, hwreg(HW_REG_IB_STS2, 6, 4)
	s_wait_kmcnt 0x0
	s_bitcmp1_b32 s2, 8
	s_cselect_b32 s18, -1, 0
	s_bfe_u32 s3, ttmp6, 0x4000c
	s_and_b32 s8, ttmp6, 15
	s_add_co_i32 s3, s3, 1
	s_delay_alu instid0(SALU_CYCLE_1) | instskip(NEXT) | instid1(SALU_CYCLE_1)
	s_mul_i32 s3, ttmp9, s3
	s_add_co_i32 s8, s8, s3
	s_cmp_eq_u32 s9, 0
	s_cselect_b32 s16, ttmp9, s8
	s_bfe_u32 s2, s2, 0x10008
	s_ashr_i32 s17, s16, 31
	s_cmp_eq_u32 s2, 0
                                        ; implicit-def: $sgpr2_sgpr3
	s_cbranch_scc1 .LBB7_3
; %bb.2:
	s_load_b32 s2, s[0:1], 0x20
	s_mul_u64 s[4:5], s[4:5], s[16:17]
	s_delay_alu instid0(SALU_CYCLE_1) | instskip(NEXT) | instid1(SALU_CYCLE_1)
	s_lshl_b64 s[4:5], s[4:5], 2
	s_add_nc_u64 s[4:5], s[14:15], s[4:5]
	s_wait_kmcnt 0x0
	s_ashr_i32 s3, s2, 31
	s_delay_alu instid0(SALU_CYCLE_1) | instskip(NEXT) | instid1(SALU_CYCLE_1)
	s_lshl_b64 s[2:3], s[2:3], 2
	s_add_nc_u64 s[2:3], s[4:5], s[2:3]
.LBB7_3:
	s_clause 0x1
	s_load_b128 s[8:11], s[0:1], 0x0
	s_load_b32 s14, s[0:1], 0x38
	s_wait_xcnt 0x0
	s_mul_u64 s[0:1], s[12:13], s[16:17]
	v_dual_mov_b32 v19, 0 :: v_dual_lshlrev_b32 v18, 3, v0
	s_lshl_b64 s[0:1], s[0:1], 3
	s_wait_kmcnt 0x0
	v_add3_u32 v6, s11, s11, v0
	s_ashr_i32 s5, s10, 31
	s_mov_b32 s4, s10
	s_add_nc_u64 s[0:1], s[8:9], s[0:1]
	s_lshl_b64 s[4:5], s[4:5], 3
	v_add_nc_u32_e32 v8, s11, v6
	s_add_nc_u64 s[4:5], s[0:1], s[4:5]
	s_ashr_i32 s1, s11, 31
	v_add_nc_u64_e32 v[2:3], s[4:5], v[18:19]
	s_mov_b32 s0, s11
	v_add_nc_u32_e32 v10, s11, v8
	s_bitcmp0_b32 s14, 0
	s_delay_alu instid0(VALU_DEP_2) | instskip(NEXT) | instid1(VALU_DEP_2)
	v_lshl_add_u64 v[4:5], s[0:1], 3, v[2:3]
	v_add_nc_u32_e32 v12, s11, v10
	s_clause 0x1
	global_load_b64 v[20:21], v0, s[4:5] scale_offset
	global_load_b64 v[22:23], v[4:5], off
	s_mov_b32 s1, -1
	v_add_nc_u32_e32 v14, s11, v12
	s_delay_alu instid0(VALU_DEP_1)
	v_add_nc_u32_e32 v16, s11, v14
	s_clause 0x5
	global_load_b64 v[24:25], v6, s[4:5] scale_offset
	global_load_b64 v[26:27], v8, s[4:5] scale_offset
	;; [unrolled: 1-line block ×6, first 2 shown]
	s_wait_loadcnt 0x6
	scratch_store_b128 off, v[20:23], off
	s_wait_loadcnt 0x4
	scratch_store_b128 off, v[24:27], off offset:16
	s_wait_loadcnt 0x2
	scratch_store_b128 off, v[28:31], off offset:32
	;; [unrolled: 2-line block ×3, first 2 shown]
	s_cbranch_scc1 .LBB7_44
; %bb.4:
	v_cmp_eq_u32_e64 s0, 0, v0
	s_wait_xcnt 0x0
	s_and_saveexec_b32 s1, s0
; %bb.5:
	v_mov_b32_e32 v1, 0
	ds_store_b32 v1, v1 offset:128
; %bb.6:
	s_or_b32 exec_lo, exec_lo, s1
	s_wait_storecnt_dscnt 0x0
	s_barrier_signal -1
	s_barrier_wait -1
	scratch_load_b64 v[20:21], v0, off scale_offset
	s_wait_loadcnt 0x0
	v_cmp_eq_f32_e32 vcc_lo, 0, v20
	v_cmp_eq_f32_e64 s1, 0, v21
	s_and_b32 s1, vcc_lo, s1
	s_delay_alu instid0(SALU_CYCLE_1)
	s_and_saveexec_b32 s8, s1
	s_cbranch_execz .LBB7_10
; %bb.7:
	v_mov_b32_e32 v1, 0
	s_mov_b32 s9, 0
	ds_load_b32 v7, v1 offset:128
	s_wait_dscnt 0x0
	v_readfirstlane_b32 s1, v7
	v_add_nc_u32_e32 v7, 1, v0
	s_cmp_eq_u32 s1, 0
	s_delay_alu instid0(VALU_DEP_1) | instskip(SKIP_1) | instid1(SALU_CYCLE_1)
	v_cmp_gt_i32_e32 vcc_lo, s1, v7
	s_cselect_b32 s10, -1, 0
	s_or_b32 s10, s10, vcc_lo
	s_delay_alu instid0(SALU_CYCLE_1)
	s_and_b32 exec_lo, exec_lo, s10
	s_cbranch_execz .LBB7_10
; %bb.8:
	v_mov_b32_e32 v9, s1
.LBB7_9:                                ; =>This Inner Loop Header: Depth=1
	ds_cmpstore_rtn_b32 v9, v1, v7, v9 offset:128
	s_wait_dscnt 0x0
	v_cmp_ne_u32_e32 vcc_lo, 0, v9
	v_cmp_le_i32_e64 s1, v9, v7
	s_and_b32 s1, vcc_lo, s1
	s_delay_alu instid0(SALU_CYCLE_1) | instskip(NEXT) | instid1(SALU_CYCLE_1)
	s_and_b32 s1, exec_lo, s1
	s_or_b32 s9, s1, s9
	s_delay_alu instid0(SALU_CYCLE_1)
	s_and_not1_b32 exec_lo, exec_lo, s9
	s_cbranch_execnz .LBB7_9
.LBB7_10:
	s_or_b32 exec_lo, exec_lo, s8
	v_mov_b32_e32 v1, 0
	s_barrier_signal -1
	s_barrier_wait -1
	ds_load_b32 v7, v1 offset:128
	s_and_saveexec_b32 s1, s0
	s_cbranch_execz .LBB7_12
; %bb.11:
	s_lshl_b64 s[8:9], s[16:17], 2
	s_delay_alu instid0(SALU_CYCLE_1)
	s_add_nc_u64 s[8:9], s[6:7], s[8:9]
	s_wait_dscnt 0x0
	global_store_b32 v1, v7, s[8:9]
.LBB7_12:
	s_wait_xcnt 0x0
	s_or_b32 exec_lo, exec_lo, s1
	s_wait_dscnt 0x0
	v_cmp_ne_u32_e32 vcc_lo, 0, v7
	s_mov_b32 s1, 0
	s_cbranch_vccnz .LBB7_44
; %bb.13:
	v_lshl_add_u32 v7, v0, 3, 0
                                        ; implicit-def: $vgpr23
                                        ; implicit-def: $vgpr24
	scratch_load_b64 v[20:21], v7, off
	s_wait_loadcnt 0x0
	v_cmp_ngt_f32_e64 s1, |v20|, |v21|
	s_wait_xcnt 0x0
	s_and_saveexec_b32 s8, s1
	s_delay_alu instid0(SALU_CYCLE_1)
	s_xor_b32 s1, exec_lo, s8
	s_cbranch_execz .LBB7_15
; %bb.14:
	v_div_scale_f32 v1, null, v21, v21, v20
	v_div_scale_f32 v13, vcc_lo, v20, v21, v20
	s_delay_alu instid0(VALU_DEP_2) | instskip(SKIP_1) | instid1(TRANS32_DEP_1)
	v_rcp_f32_e32 v9, v1
	v_nop
	v_fma_f32 v11, -v1, v9, 1.0
	s_delay_alu instid0(VALU_DEP_1) | instskip(NEXT) | instid1(VALU_DEP_1)
	v_fmac_f32_e32 v9, v11, v9
	v_mul_f32_e32 v11, v13, v9
	s_delay_alu instid0(VALU_DEP_1) | instskip(NEXT) | instid1(VALU_DEP_1)
	v_fma_f32 v15, -v1, v11, v13
	v_fmac_f32_e32 v11, v15, v9
	s_delay_alu instid0(VALU_DEP_1) | instskip(NEXT) | instid1(VALU_DEP_1)
	v_fma_f32 v1, -v1, v11, v13
	v_div_fmas_f32 v1, v1, v9, v11
	s_delay_alu instid0(VALU_DEP_1) | instskip(NEXT) | instid1(VALU_DEP_1)
	v_div_fixup_f32 v1, v1, v21, v20
	v_fmac_f32_e32 v21, v20, v1
	s_delay_alu instid0(VALU_DEP_1) | instskip(NEXT) | instid1(VALU_DEP_1)
	v_div_scale_f32 v9, null, v21, v21, -1.0
	v_rcp_f32_e32 v11, v9
	v_nop
	s_delay_alu instid0(TRANS32_DEP_1) | instskip(NEXT) | instid1(VALU_DEP_1)
	v_fma_f32 v13, -v9, v11, 1.0
	v_fmac_f32_e32 v11, v13, v11
	v_div_scale_f32 v13, vcc_lo, -1.0, v21, -1.0
	s_delay_alu instid0(VALU_DEP_1) | instskip(NEXT) | instid1(VALU_DEP_1)
	v_mul_f32_e32 v15, v13, v11
	v_fma_f32 v17, -v9, v15, v13
	s_delay_alu instid0(VALU_DEP_1) | instskip(NEXT) | instid1(VALU_DEP_1)
	v_fmac_f32_e32 v15, v17, v11
	v_fma_f32 v9, -v9, v15, v13
	s_delay_alu instid0(VALU_DEP_1) | instskip(NEXT) | instid1(VALU_DEP_1)
	v_div_fmas_f32 v9, v9, v11, v15
	v_div_fixup_f32 v23, v9, v21, -1.0
                                        ; implicit-def: $vgpr20_vgpr21
	s_delay_alu instid0(VALU_DEP_1) | instskip(NEXT) | instid1(VALU_DEP_1)
	v_mul_f32_e32 v24, v1, v23
	v_xor_b32_e32 v22, 0x80000000, v24
.LBB7_15:
	s_and_not1_saveexec_b32 s1, s1
	s_cbranch_execz .LBB7_17
; %bb.16:
	v_div_scale_f32 v1, null, v20, v20, v21
	v_div_scale_f32 v13, vcc_lo, v21, v20, v21
	s_delay_alu instid0(VALU_DEP_2) | instskip(SKIP_1) | instid1(TRANS32_DEP_1)
	v_rcp_f32_e32 v9, v1
	v_nop
	v_fma_f32 v11, -v1, v9, 1.0
	s_delay_alu instid0(VALU_DEP_1) | instskip(NEXT) | instid1(VALU_DEP_1)
	v_fmac_f32_e32 v9, v11, v9
	v_mul_f32_e32 v11, v13, v9
	s_delay_alu instid0(VALU_DEP_1) | instskip(NEXT) | instid1(VALU_DEP_1)
	v_fma_f32 v15, -v1, v11, v13
	v_fmac_f32_e32 v11, v15, v9
	s_delay_alu instid0(VALU_DEP_1) | instskip(NEXT) | instid1(VALU_DEP_1)
	v_fma_f32 v1, -v1, v11, v13
	v_div_fmas_f32 v1, v1, v9, v11
	s_delay_alu instid0(VALU_DEP_1) | instskip(NEXT) | instid1(VALU_DEP_1)
	v_div_fixup_f32 v1, v1, v20, v21
	v_fmac_f32_e32 v20, v21, v1
	s_delay_alu instid0(VALU_DEP_1) | instskip(SKIP_1) | instid1(VALU_DEP_2)
	v_div_scale_f32 v9, null, v20, v20, 1.0
	v_div_scale_f32 v15, vcc_lo, 1.0, v20, 1.0
	v_rcp_f32_e32 v11, v9
	v_nop
	s_delay_alu instid0(TRANS32_DEP_1) | instskip(NEXT) | instid1(VALU_DEP_1)
	v_fma_f32 v13, -v9, v11, 1.0
	v_fmac_f32_e32 v11, v13, v11
	s_delay_alu instid0(VALU_DEP_1) | instskip(NEXT) | instid1(VALU_DEP_1)
	v_mul_f32_e32 v13, v15, v11
	v_fma_f32 v17, -v9, v13, v15
	s_delay_alu instid0(VALU_DEP_1) | instskip(NEXT) | instid1(VALU_DEP_1)
	v_fmac_f32_e32 v13, v17, v11
	v_fma_f32 v9, -v9, v13, v15
	s_delay_alu instid0(VALU_DEP_1) | instskip(NEXT) | instid1(VALU_DEP_1)
	v_div_fmas_f32 v9, v9, v11, v13
	v_div_fixup_f32 v22, v9, v20, 1.0
	s_delay_alu instid0(VALU_DEP_1)
	v_xor_b32_e32 v24, 0x80000000, v22
	v_mul_f32_e64 v23, v1, -v22
.LBB7_17:
	s_or_b32 exec_lo, exec_lo, s1
	scratch_store_b64 v7, v[22:23], off
	scratch_load_b64 v[20:21], off, off offset:8
	v_xor_b32_e32 v25, 0x80000000, v23
	v_add_nc_u32_e32 v1, 64, v18
	s_wait_loadcnt 0x0
	ds_store_2addr_b64 v18, v[24:25], v[20:21] offset1:8
	s_wait_storecnt_dscnt 0x0
	s_barrier_signal -1
	s_barrier_wait -1
	s_wait_xcnt 0x0
	s_and_saveexec_b32 s1, s0
	s_cbranch_execz .LBB7_19
; %bb.18:
	scratch_load_b64 v[20:21], v7, off
	ds_load_b64 v[22:23], v1
	s_wait_loadcnt_dscnt 0x0
	v_pk_mul_f32 v[26:27], v[22:23], v[20:21] op_sel:[1,1] op_sel_hi:[0,1]
	s_delay_alu instid0(VALU_DEP_1) | instskip(SKIP_2) | instid1(VALU_DEP_3)
	v_pk_fma_f32 v[28:29], v[22:23], v[20:21], v[26:27] op_sel_hi:[1,0,1]
	v_mov_b32_e32 v9, 0
	v_pk_fma_f32 v[20:21], v[22:23], v[20:21], v[26:27] neg_lo:[0,0,1] neg_hi:[0,0,1]
	v_mov_b32_e32 v21, v29
	ds_load_b64 v[24:25], v9 offset:8
	v_pk_add_f32 v[20:21], v[20:21], 0 op_sel_hi:[1,0]
	s_wait_dscnt 0x0
	s_delay_alu instid0(VALU_DEP_1) | instskip(NEXT) | instid1(VALU_DEP_1)
	v_pk_mul_f32 v[22:23], v[20:21], v[24:25] op_sel:[1,1] op_sel_hi:[0,1]
	v_pk_fma_f32 v[26:27], v[20:21], v[24:25], v[22:23] op_sel_hi:[1,0,1]
	v_pk_fma_f32 v[20:21], v[20:21], v[24:25], v[22:23] neg_lo:[0,0,1] neg_hi:[0,0,1]
	s_delay_alu instid0(VALU_DEP_2)
	v_mov_b32_e32 v21, v27
	scratch_store_b64 off, v[20:21], off offset:8
.LBB7_19:
	s_wait_xcnt 0x0
	s_or_b32 exec_lo, exec_lo, s1
	s_wait_storecnt 0x0
	s_barrier_signal -1
	s_barrier_wait -1
	scratch_load_b64 v[20:21], off, off offset:16
	s_mov_b32 s1, exec_lo
	s_wait_loadcnt 0x0
	ds_store_b64 v1, v[20:21]
	s_wait_dscnt 0x0
	s_barrier_signal -1
	s_barrier_wait -1
	v_cmpx_gt_u32_e32 2, v0
	s_cbranch_execz .LBB7_23
; %bb.20:
	scratch_load_b64 v[20:21], v7, off
	ds_load_b64 v[22:23], v1
	s_wait_loadcnt_dscnt 0x0
	v_pk_mul_f32 v[24:25], v[22:23], v[20:21] op_sel:[1,1] op_sel_hi:[0,1]
	s_delay_alu instid0(VALU_DEP_1) | instskip(SKIP_1) | instid1(VALU_DEP_2)
	v_pk_fma_f32 v[26:27], v[22:23], v[20:21], v[24:25] op_sel_hi:[1,0,1]
	v_pk_fma_f32 v[20:21], v[22:23], v[20:21], v[24:25] neg_lo:[0,0,1] neg_hi:[0,0,1]
	v_mov_b32_e32 v21, v27
	s_delay_alu instid0(VALU_DEP_1)
	v_pk_add_f32 v[20:21], v[20:21], 0 op_sel_hi:[1,0]
	s_and_saveexec_b32 s8, s0
	s_cbranch_execz .LBB7_22
; %bb.21:
	scratch_load_b64 v[22:23], off, off offset:8
	v_mov_b32_e32 v7, 0
	ds_load_b64 v[24:25], v7 offset:72
	s_wait_loadcnt_dscnt 0x0
	v_pk_mul_f32 v[26:27], v[24:25], v[22:23] op_sel:[1,1] op_sel_hi:[0,1]
	s_delay_alu instid0(VALU_DEP_1) | instskip(SKIP_1) | instid1(VALU_DEP_2)
	v_pk_fma_f32 v[28:29], v[24:25], v[22:23], v[26:27] op_sel_hi:[1,0,1]
	v_pk_fma_f32 v[22:23], v[24:25], v[22:23], v[26:27] neg_lo:[0,0,1] neg_hi:[0,0,1]
	v_mov_b32_e32 v23, v29
	s_delay_alu instid0(VALU_DEP_1)
	v_pk_add_f32 v[20:21], v[20:21], v[22:23]
.LBB7_22:
	s_or_b32 exec_lo, exec_lo, s8
	v_mov_b32_e32 v7, 0
	ds_load_b64 v[22:23], v7 offset:16
	s_wait_dscnt 0x0
	v_pk_mul_f32 v[24:25], v[20:21], v[22:23] op_sel:[1,1] op_sel_hi:[0,1]
	s_delay_alu instid0(VALU_DEP_1) | instskip(SKIP_1) | instid1(VALU_DEP_2)
	v_pk_fma_f32 v[26:27], v[20:21], v[22:23], v[24:25] op_sel_hi:[1,0,1]
	v_pk_fma_f32 v[20:21], v[20:21], v[22:23], v[24:25] neg_lo:[0,0,1] neg_hi:[0,0,1]
	v_mov_b32_e32 v21, v27
	scratch_store_b64 off, v[20:21], off offset:16
.LBB7_23:
	s_wait_xcnt 0x0
	s_or_b32 exec_lo, exec_lo, s1
	s_wait_storecnt 0x0
	s_barrier_signal -1
	s_barrier_wait -1
	scratch_load_b64 v[20:21], off, off offset:24
	v_add_nc_u32_e32 v7, -1, v0
	s_mov_b32 s0, exec_lo
	s_wait_loadcnt 0x0
	ds_store_b64 v1, v[20:21]
	s_wait_dscnt 0x0
	s_barrier_signal -1
	s_barrier_wait -1
	v_cmpx_gt_u32_e32 3, v0
	s_cbranch_execz .LBB7_27
; %bb.24:
	v_dual_mov_b32 v20, 0 :: v_dual_add_nc_u32 v9, -1, v0
	v_dual_add_nc_u32 v11, 64, v18 :: v_dual_mov_b32 v13, v18
	s_mov_b32 s1, 0
	s_delay_alu instid0(VALU_DEP_2)
	v_mov_b32_e32 v21, v20
.LBB7_25:                               ; =>This Inner Loop Header: Depth=1
	scratch_load_b64 v[22:23], v13, off
	ds_load_b64 v[24:25], v11
	s_wait_xcnt 0x0
	v_dual_add_nc_u32 v11, 8, v11 :: v_dual_add_nc_u32 v13, 8, v13
	s_wait_loadcnt_dscnt 0x0
	v_pk_mul_f32 v[26:27], v[24:25], v[22:23] op_sel:[1,1] op_sel_hi:[0,1]
	s_delay_alu instid0(VALU_DEP_1) | instskip(SKIP_2) | instid1(VALU_DEP_3)
	v_pk_fma_f32 v[28:29], v[24:25], v[22:23], v[26:27] op_sel_hi:[1,0,1]
	v_add_nc_u32_e32 v9, 1, v9
	v_pk_fma_f32 v[22:23], v[24:25], v[22:23], v[26:27] neg_lo:[0,0,1] neg_hi:[0,0,1]
	v_mov_b32_e32 v23, v29
	s_delay_alu instid0(VALU_DEP_3) | instskip(NEXT) | instid1(VALU_DEP_2)
	v_cmp_lt_u32_e32 vcc_lo, 1, v9
	v_pk_add_f32 v[20:21], v[20:21], v[22:23]
	s_or_b32 s1, vcc_lo, s1
	s_delay_alu instid0(SALU_CYCLE_1)
	s_and_not1_b32 exec_lo, exec_lo, s1
	s_cbranch_execnz .LBB7_25
; %bb.26:
	s_or_b32 exec_lo, exec_lo, s1
	v_mov_b32_e32 v9, 0
	ds_load_b64 v[22:23], v9 offset:24
	s_wait_dscnt 0x0
	v_pk_mul_f32 v[24:25], v[20:21], v[22:23] op_sel:[1,1] op_sel_hi:[0,1]
	s_delay_alu instid0(VALU_DEP_1) | instskip(SKIP_1) | instid1(VALU_DEP_2)
	v_pk_fma_f32 v[26:27], v[20:21], v[22:23], v[24:25] op_sel_hi:[1,0,1]
	v_pk_fma_f32 v[20:21], v[20:21], v[22:23], v[24:25] neg_lo:[0,0,1] neg_hi:[0,0,1]
	v_mov_b32_e32 v21, v27
	scratch_store_b64 off, v[20:21], off offset:24
.LBB7_27:
	s_wait_xcnt 0x0
	s_or_b32 exec_lo, exec_lo, s0
	s_wait_storecnt 0x0
	s_barrier_signal -1
	s_barrier_wait -1
	scratch_load_b64 v[20:21], off, off offset:32
	s_mov_b32 s0, exec_lo
	s_wait_loadcnt 0x0
	ds_store_b64 v1, v[20:21]
	s_wait_dscnt 0x0
	s_barrier_signal -1
	s_barrier_wait -1
	v_cmpx_gt_u32_e32 4, v0
	s_cbranch_execz .LBB7_31
; %bb.28:
	v_dual_mov_b32 v20, 0 :: v_dual_add_nc_u32 v9, -1, v0
	v_dual_add_nc_u32 v11, 64, v18 :: v_dual_mov_b32 v13, v18
	s_mov_b32 s1, 0
	s_delay_alu instid0(VALU_DEP_2)
	v_mov_b32_e32 v21, v20
.LBB7_29:                               ; =>This Inner Loop Header: Depth=1
	scratch_load_b64 v[22:23], v13, off
	ds_load_b64 v[24:25], v11
	s_wait_xcnt 0x0
	v_dual_add_nc_u32 v11, 8, v11 :: v_dual_add_nc_u32 v13, 8, v13
	s_wait_loadcnt_dscnt 0x0
	v_pk_mul_f32 v[26:27], v[24:25], v[22:23] op_sel:[1,1] op_sel_hi:[0,1]
	s_delay_alu instid0(VALU_DEP_1) | instskip(SKIP_2) | instid1(VALU_DEP_3)
	v_pk_fma_f32 v[28:29], v[24:25], v[22:23], v[26:27] op_sel_hi:[1,0,1]
	v_add_nc_u32_e32 v9, 1, v9
	v_pk_fma_f32 v[22:23], v[24:25], v[22:23], v[26:27] neg_lo:[0,0,1] neg_hi:[0,0,1]
	v_mov_b32_e32 v23, v29
	s_delay_alu instid0(VALU_DEP_3) | instskip(NEXT) | instid1(VALU_DEP_2)
	v_cmp_lt_u32_e32 vcc_lo, 2, v9
	v_pk_add_f32 v[20:21], v[20:21], v[22:23]
	s_or_b32 s1, vcc_lo, s1
	s_delay_alu instid0(SALU_CYCLE_1)
	s_and_not1_b32 exec_lo, exec_lo, s1
	s_cbranch_execnz .LBB7_29
; %bb.30:
	s_or_b32 exec_lo, exec_lo, s1
	v_mov_b32_e32 v9, 0
	ds_load_b64 v[22:23], v9 offset:32
	s_wait_dscnt 0x0
	v_pk_mul_f32 v[24:25], v[20:21], v[22:23] op_sel:[1,1] op_sel_hi:[0,1]
	s_delay_alu instid0(VALU_DEP_1) | instskip(SKIP_1) | instid1(VALU_DEP_2)
	v_pk_fma_f32 v[26:27], v[20:21], v[22:23], v[24:25] op_sel_hi:[1,0,1]
	v_pk_fma_f32 v[20:21], v[20:21], v[22:23], v[24:25] neg_lo:[0,0,1] neg_hi:[0,0,1]
	v_mov_b32_e32 v21, v27
	scratch_store_b64 off, v[20:21], off offset:32
.LBB7_31:
	s_wait_xcnt 0x0
	s_or_b32 exec_lo, exec_lo, s0
	s_wait_storecnt 0x0
	s_barrier_signal -1
	s_barrier_wait -1
	scratch_load_b64 v[20:21], off, off offset:40
	;; [unrolled: 51-line block ×4, first 2 shown]
	s_mov_b32 s0, exec_lo
	s_wait_loadcnt 0x0
	ds_store_b64 v1, v[20:21]
	s_wait_dscnt 0x0
	s_barrier_signal -1
	s_barrier_wait -1
	v_cmpx_ne_u32_e32 7, v0
	s_cbranch_execz .LBB7_43
; %bb.40:
	v_dual_mov_b32 v20, 0 :: v_dual_mov_b32 v9, v18
	s_mov_b32 s1, 0
	s_delay_alu instid0(VALU_DEP_1)
	v_mov_b32_e32 v21, v20
.LBB7_41:                               ; =>This Inner Loop Header: Depth=1
	scratch_load_b64 v[18:19], v9, off
	ds_load_b64 v[22:23], v1
	v_add_nc_u32_e32 v1, 8, v1
	s_wait_xcnt 0x0
	v_add_nc_u32_e32 v9, 8, v9
	s_wait_loadcnt_dscnt 0x0
	v_pk_mul_f32 v[24:25], v[22:23], v[18:19] op_sel:[1,1] op_sel_hi:[0,1]
	s_delay_alu instid0(VALU_DEP_1) | instskip(SKIP_2) | instid1(VALU_DEP_3)
	v_pk_fma_f32 v[26:27], v[22:23], v[18:19], v[24:25] op_sel_hi:[1,0,1]
	v_add_nc_u32_e32 v7, 1, v7
	v_pk_fma_f32 v[18:19], v[22:23], v[18:19], v[24:25] neg_lo:[0,0,1] neg_hi:[0,0,1]
	v_mov_b32_e32 v19, v27
	s_delay_alu instid0(VALU_DEP_3) | instskip(NEXT) | instid1(VALU_DEP_2)
	v_cmp_lt_u32_e32 vcc_lo, 5, v7
	v_pk_add_f32 v[20:21], v[20:21], v[18:19]
	s_or_b32 s1, vcc_lo, s1
	s_delay_alu instid0(SALU_CYCLE_1)
	s_and_not1_b32 exec_lo, exec_lo, s1
	s_cbranch_execnz .LBB7_41
; %bb.42:
	s_or_b32 exec_lo, exec_lo, s1
	v_mov_b32_e32 v1, 0
	ds_load_b64 v[18:19], v1 offset:56
	s_wait_dscnt 0x0
	v_pk_mul_f32 v[22:23], v[20:21], v[18:19] op_sel:[1,1] op_sel_hi:[0,1]
	s_delay_alu instid0(VALU_DEP_1) | instskip(SKIP_1) | instid1(VALU_DEP_2)
	v_pk_fma_f32 v[24:25], v[20:21], v[18:19], v[22:23] op_sel_hi:[1,0,1]
	v_pk_fma_f32 v[18:19], v[20:21], v[18:19], v[22:23] neg_lo:[0,0,1] neg_hi:[0,0,1]
	v_mov_b32_e32 v19, v25
	scratch_store_b64 off, v[18:19], off offset:56
.LBB7_43:
	s_wait_xcnt 0x0
	s_or_b32 exec_lo, exec_lo, s0
	s_mov_b32 s1, -1
	s_wait_storecnt 0x0
	s_barrier_signal -1
	s_barrier_wait -1
.LBB7_44:
	s_and_b32 vcc_lo, exec_lo, s1
	s_cbranch_vccz .LBB7_46
; %bb.45:
	v_mov_b32_e32 v1, 0
	s_lshl_b64 s[0:1], s[16:17], 2
	s_delay_alu instid0(SALU_CYCLE_1)
	s_add_nc_u64 s[0:1], s[6:7], s[0:1]
	global_load_b32 v1, v1, s[0:1]
	s_wait_loadcnt 0x0
	v_cmp_ne_u32_e32 vcc_lo, 0, v1
	s_cbranch_vccz .LBB7_47
.LBB7_46:
	s_endpgm
.LBB7_47:
	s_wait_xcnt 0x0
	v_lshl_add_u32 v1, v0, 3, 64
	s_mov_b32 s0, exec_lo
	v_cmpx_eq_u32_e32 7, v0
	s_cbranch_execz .LBB7_49
; %bb.48:
	scratch_load_b64 v[18:19], off, off offset:48
	v_mov_b64_e32 v[20:21], 0
	scratch_store_b64 off, v[20:21], off offset:48
	s_wait_loadcnt 0x0
	ds_store_b64 v1, v[18:19]
.LBB7_49:
	s_wait_xcnt 0x0
	s_or_b32 exec_lo, exec_lo, s0
	s_wait_storecnt_dscnt 0x0
	s_barrier_signal -1
	s_barrier_wait -1
	s_clause 0x1
	scratch_load_b64 v[18:19], off, off offset:56
	scratch_load_b64 v[20:21], off, off offset:48
	v_mov_b32_e32 v7, 0
	s_mov_b32 s0, exec_lo
	ds_load_b64 v[22:23], v7 offset:120
	s_wait_loadcnt_dscnt 0x100
	v_pk_mul_f32 v[24:25], v[22:23], v[18:19] op_sel:[1,1] op_sel_hi:[0,1]
	s_delay_alu instid0(VALU_DEP_1) | instskip(SKIP_1) | instid1(VALU_DEP_2)
	v_pk_fma_f32 v[26:27], v[22:23], v[18:19], v[24:25] op_sel_hi:[1,0,1]
	v_pk_fma_f32 v[18:19], v[22:23], v[18:19], v[24:25] neg_lo:[0,0,1] neg_hi:[0,0,1]
	v_mov_b32_e32 v19, v27
	s_delay_alu instid0(VALU_DEP_1) | instskip(SKIP_1) | instid1(VALU_DEP_1)
	v_pk_add_f32 v[18:19], v[18:19], 0 op_sel_hi:[1,0]
	s_wait_loadcnt 0x0
	v_pk_add_f32 v[18:19], v[20:21], v[18:19] neg_lo:[0,1] neg_hi:[0,1]
	scratch_store_b64 off, v[18:19], off offset:48
	s_wait_xcnt 0x0
	v_cmpx_lt_u32_e32 5, v0
	s_cbranch_execz .LBB7_51
; %bb.50:
	scratch_load_b64 v[18:19], off, off offset:40
	v_mov_b64_e32 v[20:21], 0
	scratch_store_b64 off, v[20:21], off offset:40
	s_wait_loadcnt 0x0
	ds_store_b64 v1, v[18:19]
.LBB7_51:
	s_wait_xcnt 0x0
	s_or_b32 exec_lo, exec_lo, s0
	s_wait_storecnt_dscnt 0x0
	s_barrier_signal -1
	s_barrier_wait -1
	s_clause 0x1
	scratch_load_b128 v[18:21], off, off offset:48
	scratch_load_b64 v[26:27], off, off offset:40
	ds_load_b128 v[22:25], v7 offset:112
	s_mov_b32 s0, exec_lo
	s_wait_dscnt 0x0
	v_dual_mov_b32 v28, v25 :: v_dual_mov_b32 v29, v24
	s_wait_loadcnt 0x1
	v_pk_mul_f32 v[30:31], v[22:23], v[18:19] op_sel:[1,1] op_sel_hi:[0,1]
	s_delay_alu instid0(VALU_DEP_1) | instskip(SKIP_2) | instid1(VALU_DEP_3)
	v_pk_fma_f32 v[34:35], v[22:23], v[18:19], v[30:31] op_sel_hi:[1,0,1]
	v_mov_b32_e32 v32, v21
	v_pk_fma_f32 v[18:19], v[22:23], v[18:19], v[30:31] neg_lo:[0,0,1] neg_hi:[0,0,1]
	v_mov_b32_e32 v19, v35
	s_delay_alu instid0(VALU_DEP_3) | instskip(NEXT) | instid1(VALU_DEP_2)
	v_pk_mul_f32 v[28:29], v[28:29], v[32:33] op_sel_hi:[1,0]
	v_pk_add_f32 v[18:19], v[18:19], 0 op_sel_hi:[1,0]
	s_delay_alu instid0(VALU_DEP_2) | instskip(SKIP_1) | instid1(VALU_DEP_2)
	v_pk_fma_f32 v[22:23], v[24:25], v[20:21], v[28:29] op_sel_hi:[1,0,1]
	v_pk_fma_f32 v[20:21], v[24:25], v[20:21], v[28:29] neg_lo:[0,0,1] neg_hi:[0,0,1]
	v_mov_b32_e32 v21, v23
	s_delay_alu instid0(VALU_DEP_1) | instskip(SKIP_1) | instid1(VALU_DEP_1)
	v_pk_add_f32 v[18:19], v[18:19], v[20:21]
	s_wait_loadcnt 0x0
	v_pk_add_f32 v[18:19], v[26:27], v[18:19] neg_lo:[0,1] neg_hi:[0,1]
	scratch_store_b64 off, v[18:19], off offset:40
	s_wait_xcnt 0x0
	v_cmpx_lt_u32_e32 4, v0
	s_cbranch_execz .LBB7_53
; %bb.52:
	scratch_load_b64 v[18:19], off, off offset:32
	v_mov_b64_e32 v[20:21], 0
	scratch_store_b64 off, v[20:21], off offset:32
	s_wait_loadcnt 0x0
	ds_store_b64 v1, v[18:19]
.LBB7_53:
	s_wait_xcnt 0x0
	s_or_b32 exec_lo, exec_lo, s0
	s_wait_storecnt_dscnt 0x0
	s_barrier_signal -1
	s_barrier_wait -1
	s_clause 0x2
	scratch_load_b128 v[18:21], off, off offset:40
	scratch_load_b64 v[26:27], off, off offset:56
	scratch_load_b64 v[28:29], off, off offset:32
	v_mov_b32_e32 v7, 0
	ds_load_2addr_b64 v[22:25], v7 offset0:13 offset1:14
	ds_load_b64 v[30:31], v7 offset:120
	s_mov_b32 s0, exec_lo
	s_wait_dscnt 0x1
	v_dual_mov_b32 v32, v25 :: v_dual_mov_b32 v33, v24
	s_wait_loadcnt 0x2
	v_mov_b32_e32 v36, v21
	v_pk_mul_f32 v[34:35], v[22:23], v[18:19] op_sel:[1,1] op_sel_hi:[0,1]
	s_delay_alu instid0(VALU_DEP_2) | instskip(NEXT) | instid1(VALU_DEP_2)
	v_pk_mul_f32 v[32:33], v[32:33], v[36:37] op_sel_hi:[1,0]
	v_pk_fma_f32 v[38:39], v[22:23], v[18:19], v[34:35] op_sel_hi:[1,0,1]
	v_pk_fma_f32 v[18:19], v[22:23], v[18:19], v[34:35] neg_lo:[0,0,1] neg_hi:[0,0,1]
	s_wait_loadcnt_dscnt 0x100
	v_pk_mul_f32 v[34:35], v[30:31], v[26:27] op_sel:[1,1] op_sel_hi:[0,1]
	v_pk_fma_f32 v[22:23], v[24:25], v[20:21], v[32:33] op_sel_hi:[1,0,1]
	v_mov_b32_e32 v19, v39
	v_pk_fma_f32 v[20:21], v[24:25], v[20:21], v[32:33] neg_lo:[0,0,1] neg_hi:[0,0,1]
	s_delay_alu instid0(VALU_DEP_4) | instskip(NEXT) | instid1(VALU_DEP_4)
	v_pk_fma_f32 v[24:25], v[30:31], v[26:27], v[34:35] neg_lo:[0,0,1] neg_hi:[0,0,1]
	v_mov_b32_e32 v21, v23
	s_delay_alu instid0(VALU_DEP_4) | instskip(SKIP_1) | instid1(VALU_DEP_2)
	v_pk_add_f32 v[18:19], v[18:19], 0 op_sel_hi:[1,0]
	v_pk_fma_f32 v[22:23], v[30:31], v[26:27], v[34:35] op_sel_hi:[1,0,1]
	v_pk_add_f32 v[18:19], v[18:19], v[20:21]
	s_delay_alu instid0(VALU_DEP_2) | instskip(NEXT) | instid1(VALU_DEP_1)
	v_mov_b32_e32 v25, v23
	v_pk_add_f32 v[18:19], v[18:19], v[24:25]
	s_wait_loadcnt 0x0
	s_delay_alu instid0(VALU_DEP_1)
	v_pk_add_f32 v[18:19], v[28:29], v[18:19] neg_lo:[0,1] neg_hi:[0,1]
	scratch_store_b64 off, v[18:19], off offset:32
	s_wait_xcnt 0x0
	v_cmpx_lt_u32_e32 3, v0
	s_cbranch_execz .LBB7_55
; %bb.54:
	scratch_load_b64 v[18:19], off, off offset:24
	v_mov_b64_e32 v[20:21], 0
	scratch_store_b64 off, v[20:21], off offset:24
	s_wait_loadcnt 0x0
	ds_store_b64 v1, v[18:19]
.LBB7_55:
	s_wait_xcnt 0x0
	s_or_b32 exec_lo, exec_lo, s0
	s_wait_storecnt_dscnt 0x0
	s_barrier_signal -1
	s_barrier_wait -1
	s_clause 0x2
	scratch_load_b128 v[18:21], off, off offset:32
	scratch_load_b128 v[22:25], off, off offset:48
	scratch_load_b64 v[34:35], off, off offset:24
	ds_load_b128 v[26:29], v7 offset:96
	ds_load_b128 v[30:33], v7 offset:112
	s_mov_b32 s0, exec_lo
	s_wait_dscnt 0x1
	v_dual_mov_b32 v36, v29 :: v_dual_mov_b32 v37, v28
	s_wait_loadcnt_dscnt 0x200
	v_dual_mov_b32 v42, v33 :: v_dual_mov_b32 v40, v21
	v_pk_mul_f32 v[38:39], v[26:27], v[18:19] op_sel:[1,1] op_sel_hi:[0,1]
	s_delay_alu instid0(VALU_DEP_2) | instskip(NEXT) | instid1(VALU_DEP_2)
	v_pk_mul_f32 v[36:37], v[36:37], v[40:41] op_sel_hi:[1,0]
	v_pk_fma_f32 v[44:45], v[26:27], v[18:19], v[38:39] op_sel_hi:[1,0,1]
	v_pk_fma_f32 v[18:19], v[26:27], v[18:19], v[38:39] neg_lo:[0,0,1] neg_hi:[0,0,1]
	v_mov_b32_e32 v43, v32
	s_wait_loadcnt 0x1
	v_pk_mul_f32 v[40:41], v[30:31], v[22:23] op_sel:[1,1] op_sel_hi:[0,1]
	v_pk_fma_f32 v[26:27], v[28:29], v[20:21], v[36:37] op_sel_hi:[1,0,1]
	v_dual_mov_b32 v19, v45 :: v_dual_mov_b32 v26, v25
	v_pk_fma_f32 v[20:21], v[28:29], v[20:21], v[36:37] neg_lo:[0,0,1] neg_hi:[0,0,1]
	s_delay_alu instid0(VALU_DEP_4) | instskip(NEXT) | instid1(VALU_DEP_4)
	v_pk_fma_f32 v[38:39], v[30:31], v[22:23], v[40:41] op_sel_hi:[1,0,1]
	v_mov_b32_e32 v21, v27
	s_delay_alu instid0(VALU_DEP_4) | instskip(SKIP_2) | instid1(VALU_DEP_3)
	v_pk_add_f32 v[18:19], v[18:19], 0 op_sel_hi:[1,0]
	v_pk_mul_f32 v[26:27], v[42:43], v[26:27] op_sel_hi:[1,0]
	v_pk_fma_f32 v[22:23], v[30:31], v[22:23], v[40:41] neg_lo:[0,0,1] neg_hi:[0,0,1]
	v_pk_add_f32 v[18:19], v[18:19], v[20:21]
	s_delay_alu instid0(VALU_DEP_3) | instskip(SKIP_2) | instid1(VALU_DEP_3)
	v_pk_fma_f32 v[20:21], v[32:33], v[24:25], v[26:27] op_sel_hi:[1,0,1]
	v_mov_b32_e32 v23, v39
	v_pk_fma_f32 v[24:25], v[32:33], v[24:25], v[26:27] neg_lo:[0,0,1] neg_hi:[0,0,1]
	v_mov_b32_e32 v25, v21
	s_delay_alu instid0(VALU_DEP_3) | instskip(NEXT) | instid1(VALU_DEP_1)
	v_pk_add_f32 v[18:19], v[18:19], v[22:23]
	v_pk_add_f32 v[18:19], v[18:19], v[24:25]
	s_wait_loadcnt 0x0
	s_delay_alu instid0(VALU_DEP_1)
	v_pk_add_f32 v[18:19], v[34:35], v[18:19] neg_lo:[0,1] neg_hi:[0,1]
	scratch_store_b64 off, v[18:19], off offset:24
	s_wait_xcnt 0x0
	v_cmpx_lt_u32_e32 2, v0
	s_cbranch_execz .LBB7_57
; %bb.56:
	scratch_load_b64 v[18:19], off, off offset:16
	v_mov_b64_e32 v[20:21], 0
	scratch_store_b64 off, v[20:21], off offset:16
	s_wait_loadcnt 0x0
	ds_store_b64 v1, v[18:19]
.LBB7_57:
	s_wait_xcnt 0x0
	s_or_b32 exec_lo, exec_lo, s0
	s_wait_storecnt_dscnt 0x0
	s_barrier_signal -1
	s_barrier_wait -1
	s_clause 0x3
	scratch_load_b128 v[18:21], off, off offset:24
	scratch_load_b128 v[22:25], off, off offset:40
	scratch_load_b64 v[34:35], off, off offset:56
	scratch_load_b64 v[36:37], off, off offset:16
	v_mov_b32_e32 v7, 0
	ds_load_2addr_b64 v[26:29], v7 offset0:11 offset1:12
	ds_load_2addr_b64 v[30:33], v7 offset0:13 offset1:14
	s_mov_b32 s0, exec_lo
	s_wait_dscnt 0x1
	v_dual_mov_b32 v38, v29 :: v_dual_mov_b32 v39, v28
	ds_load_b64 v[44:45], v7 offset:120
	s_wait_dscnt 0x1
	v_dual_mov_b32 v46, v33 :: v_dual_mov_b32 v47, v32
	s_wait_loadcnt 0x3
	v_pk_mul_f32 v[40:41], v[26:27], v[18:19] op_sel:[1,1] op_sel_hi:[0,1]
	v_mov_b32_e32 v42, v21
	s_delay_alu instid0(VALU_DEP_2) | instskip(NEXT) | instid1(VALU_DEP_2)
	v_pk_fma_f32 v[48:49], v[26:27], v[18:19], v[40:41] op_sel_hi:[1,0,1]
	v_pk_mul_f32 v[38:39], v[38:39], v[42:43] op_sel_hi:[1,0]
	v_pk_fma_f32 v[18:19], v[26:27], v[18:19], v[40:41] neg_lo:[0,0,1] neg_hi:[0,0,1]
	s_wait_loadcnt 0x2
	v_pk_mul_f32 v[42:43], v[30:31], v[22:23] op_sel:[1,1] op_sel_hi:[0,1]
	v_dual_mov_b32 v48, v25 :: v_dual_mov_b32 v19, v49
	v_pk_fma_f32 v[26:27], v[28:29], v[20:21], v[38:39] op_sel_hi:[1,0,1]
	v_pk_fma_f32 v[20:21], v[28:29], v[20:21], v[38:39] neg_lo:[0,0,1] neg_hi:[0,0,1]
	s_delay_alu instid0(VALU_DEP_4) | instskip(NEXT) | instid1(VALU_DEP_4)
	v_pk_fma_f32 v[40:41], v[30:31], v[22:23], v[42:43] op_sel_hi:[1,0,1]
	v_pk_mul_f32 v[46:47], v[46:47], v[48:49] op_sel_hi:[1,0]
	v_pk_add_f32 v[18:19], v[18:19], 0 op_sel_hi:[1,0]
	v_mov_b32_e32 v21, v27
	v_pk_fma_f32 v[22:23], v[30:31], v[22:23], v[42:43] neg_lo:[0,0,1] neg_hi:[0,0,1]
	v_mov_b32_e32 v23, v41
	v_pk_fma_f32 v[26:27], v[32:33], v[24:25], v[46:47] op_sel_hi:[1,0,1]
	v_pk_fma_f32 v[24:25], v[32:33], v[24:25], v[46:47] neg_lo:[0,0,1] neg_hi:[0,0,1]
	v_pk_add_f32 v[18:19], v[18:19], v[20:21]
	s_wait_loadcnt_dscnt 0x100
	v_pk_mul_f32 v[20:21], v[44:45], v[34:35] op_sel:[1,1] op_sel_hi:[0,1]
	s_delay_alu instid0(VALU_DEP_2) | instskip(NEXT) | instid1(VALU_DEP_2)
	v_pk_add_f32 v[18:19], v[18:19], v[22:23]
	v_pk_fma_f32 v[22:23], v[44:45], v[34:35], v[20:21] op_sel_hi:[1,0,1]
	v_mov_b32_e32 v25, v27
	v_pk_fma_f32 v[20:21], v[44:45], v[34:35], v[20:21] neg_lo:[0,0,1] neg_hi:[0,0,1]
	s_delay_alu instid0(VALU_DEP_3) | instskip(NEXT) | instid1(VALU_DEP_3)
	v_mov_b32_e32 v21, v23
	v_pk_add_f32 v[18:19], v[18:19], v[24:25]
	s_delay_alu instid0(VALU_DEP_1) | instskip(SKIP_1) | instid1(VALU_DEP_1)
	v_pk_add_f32 v[18:19], v[18:19], v[20:21]
	s_wait_loadcnt 0x0
	v_pk_add_f32 v[18:19], v[36:37], v[18:19] neg_lo:[0,1] neg_hi:[0,1]
	scratch_store_b64 off, v[18:19], off offset:16
	s_wait_xcnt 0x0
	v_cmpx_lt_u32_e32 1, v0
	s_cbranch_execz .LBB7_59
; %bb.58:
	scratch_load_b64 v[18:19], off, off offset:8
	v_mov_b64_e32 v[20:21], 0
	scratch_store_b64 off, v[20:21], off offset:8
	s_wait_loadcnt 0x0
	ds_store_b64 v1, v[18:19]
.LBB7_59:
	s_wait_xcnt 0x0
	s_or_b32 exec_lo, exec_lo, s0
	s_wait_storecnt_dscnt 0x0
	s_barrier_signal -1
	s_barrier_wait -1
	s_clause 0x3
	scratch_load_b128 v[18:21], off, off offset:16
	scratch_load_b128 v[22:25], off, off offset:32
	;; [unrolled: 1-line block ×3, first 2 shown]
	scratch_load_b64 v[42:43], off, off offset:8
	ds_load_b128 v[30:33], v7 offset:80
	ds_load_b128 v[34:37], v7 offset:96
	;; [unrolled: 1-line block ×3, first 2 shown]
	v_dual_ashrrev_i32 v9, 31, v8 :: v_dual_ashrrev_i32 v11, 31, v10
	v_dual_ashrrev_i32 v13, 31, v12 :: v_dual_ashrrev_i32 v15, 31, v14
	v_ashrrev_i32_e32 v17, 31, v16
	s_mov_b32 s0, exec_lo
	s_wait_dscnt 0x2
	v_dual_mov_b32 v44, v33 :: v_dual_ashrrev_i32 v7, 31, v6
	s_wait_dscnt 0x1
	v_dual_mov_b32 v45, v32 :: v_dual_mov_b32 v46, v37
	s_wait_dscnt 0x0
	v_dual_mov_b32 v47, v36 :: v_dual_mov_b32 v52, v41
	v_mov_b32_e32 v53, v40
	s_wait_loadcnt 0x3
	v_pk_mul_f32 v[48:49], v[30:31], v[18:19] op_sel:[1,1] op_sel_hi:[0,1]
	v_mov_b32_e32 v50, v21
	s_delay_alu instid0(VALU_DEP_2) | instskip(NEXT) | instid1(VALU_DEP_2)
	v_pk_fma_f32 v[54:55], v[30:31], v[18:19], v[48:49] op_sel_hi:[1,0,1]
	v_pk_mul_f32 v[44:45], v[44:45], v[50:51] op_sel_hi:[1,0]
	v_pk_fma_f32 v[18:19], v[30:31], v[18:19], v[48:49] neg_lo:[0,0,1] neg_hi:[0,0,1]
	s_wait_loadcnt 0x2
	v_pk_mul_f32 v[50:51], v[34:35], v[22:23] op_sel:[1,1] op_sel_hi:[0,1]
	v_mov_b32_e32 v54, v25
	v_pk_fma_f32 v[30:31], v[32:33], v[20:21], v[44:45] op_sel_hi:[1,0,1]
	v_mov_b32_e32 v19, v55
	v_pk_fma_f32 v[20:21], v[32:33], v[20:21], v[44:45] neg_lo:[0,0,1] neg_hi:[0,0,1]
	v_pk_fma_f32 v[48:49], v[34:35], v[22:23], v[50:51] op_sel_hi:[1,0,1]
	v_pk_mul_f32 v[46:47], v[46:47], v[54:55] op_sel_hi:[1,0]
	v_mov_b32_e32 v21, v31
	v_pk_add_f32 v[18:19], v[18:19], 0 op_sel_hi:[1,0]
	v_pk_fma_f32 v[22:23], v[34:35], v[22:23], v[50:51] neg_lo:[0,0,1] neg_hi:[0,0,1]
	s_wait_loadcnt 0x1
	v_pk_mul_f32 v[30:31], v[38:39], v[26:27] op_sel:[1,1] op_sel_hi:[0,1]
	v_mov_b32_e32 v23, v49
	v_pk_fma_f32 v[32:33], v[36:37], v[24:25], v[46:47] op_sel_hi:[1,0,1]
	v_pk_add_f32 v[18:19], v[18:19], v[20:21]
	v_mov_b32_e32 v20, v29
	v_pk_fma_f32 v[24:25], v[36:37], v[24:25], v[46:47] neg_lo:[0,0,1] neg_hi:[0,0,1]
	v_pk_fma_f32 v[34:35], v[38:39], v[26:27], v[30:31] op_sel_hi:[1,0,1]
	v_mov_b32_e32 v25, v33
	v_pk_add_f32 v[18:19], v[18:19], v[22:23]
	v_pk_mul_f32 v[20:21], v[52:53], v[20:21] op_sel_hi:[1,0]
	v_pk_fma_f32 v[22:23], v[38:39], v[26:27], v[30:31] neg_lo:[0,0,1] neg_hi:[0,0,1]
	v_mov_b32_e32 v23, v35
	s_delay_alu instid0(VALU_DEP_4) | instskip(NEXT) | instid1(VALU_DEP_4)
	v_pk_add_f32 v[18:19], v[18:19], v[24:25]
	v_pk_fma_f32 v[24:25], v[40:41], v[28:29], v[20:21] op_sel_hi:[1,0,1]
	v_pk_fma_f32 v[20:21], v[40:41], v[28:29], v[20:21] neg_lo:[0,0,1] neg_hi:[0,0,1]
	s_delay_alu instid0(VALU_DEP_3) | instskip(NEXT) | instid1(VALU_DEP_3)
	v_pk_add_f32 v[18:19], v[18:19], v[22:23]
	v_mov_b32_e32 v21, v25
	s_delay_alu instid0(VALU_DEP_1) | instskip(SKIP_1) | instid1(VALU_DEP_1)
	v_pk_add_f32 v[18:19], v[18:19], v[20:21]
	s_wait_loadcnt 0x0
	v_pk_add_f32 v[18:19], v[42:43], v[18:19] neg_lo:[0,1] neg_hi:[0,1]
	scratch_store_b64 off, v[18:19], off offset:8
	s_wait_xcnt 0x0
	v_cmpx_ne_u32_e32 0, v0
	s_cbranch_execz .LBB7_61
; %bb.60:
	scratch_load_b64 v[18:19], off, off
	v_mov_b64_e32 v[20:21], 0
	scratch_store_b64 off, v[20:21], off
	s_wait_loadcnt 0x0
	ds_store_b64 v1, v[18:19]
.LBB7_61:
	s_wait_xcnt 0x0
	s_or_b32 exec_lo, exec_lo, s0
	s_wait_storecnt_dscnt 0x0
	s_barrier_signal -1
	s_barrier_wait -1
	s_clause 0x4
	scratch_load_b128 v[20:23], off, off offset:8
	scratch_load_b128 v[24:27], off, off offset:24
	;; [unrolled: 1-line block ×3, first 2 shown]
	scratch_load_b64 v[0:1], off, off offset:56
	scratch_load_b64 v[44:45], off, off
	v_mov_b32_e32 v18, 0
	ds_load_2addr_b64 v[32:35], v18 offset0:9 offset1:10
	ds_load_2addr_b64 v[36:39], v18 offset0:11 offset1:12
	;; [unrolled: 1-line block ×3, first 2 shown]
	ds_load_b64 v[46:47], v18 offset:120
	s_and_b32 vcc_lo, exec_lo, s18
	s_wait_dscnt 0x3
	v_dual_mov_b32 v48, v35 :: v_dual_mov_b32 v49, v34
	s_wait_dscnt 0x2
	v_dual_mov_b32 v50, v39 :: v_dual_mov_b32 v51, v38
	;; [unrolled: 2-line block ×3, first 2 shown]
	s_wait_loadcnt 0x4
	v_pk_mul_f32 v[52:53], v[32:33], v[20:21] op_sel:[1,1] op_sel_hi:[0,1]
	v_mov_b32_e32 v54, v23
	s_wait_loadcnt 0x3
	v_pk_mul_f32 v[58:59], v[36:37], v[24:25] op_sel:[1,1] op_sel_hi:[0,1]
	s_wait_loadcnt 0x2
	v_pk_mul_f32 v[62:63], v[40:41], v[28:29] op_sel:[1,1] op_sel_hi:[0,1]
	v_pk_fma_f32 v[60:61], v[32:33], v[20:21], v[52:53] op_sel_hi:[1,0,1]
	v_pk_mul_f32 v[48:49], v[48:49], v[54:55] op_sel_hi:[1,0]
	v_pk_fma_f32 v[20:21], v[32:33], v[20:21], v[52:53] neg_lo:[0,0,1] neg_hi:[0,0,1]
	v_mov_b32_e32 v54, v27
	v_pk_fma_f32 v[52:53], v[36:37], v[24:25], v[58:59] op_sel_hi:[1,0,1]
	v_mov_b32_e32 v21, v61
	v_pk_fma_f32 v[32:33], v[34:35], v[22:23], v[48:49] op_sel_hi:[1,0,1]
	v_pk_fma_f32 v[22:23], v[34:35], v[22:23], v[48:49] neg_lo:[0,0,1] neg_hi:[0,0,1]
	v_pk_mul_f32 v[50:51], v[50:51], v[54:55] op_sel_hi:[1,0]
	v_pk_fma_f32 v[24:25], v[36:37], v[24:25], v[58:59] neg_lo:[0,0,1] neg_hi:[0,0,1]
	v_pk_add_f32 v[20:21], v[20:21], 0 op_sel_hi:[1,0]
	v_dual_mov_b32 v23, v33 :: v_dual_mov_b32 v32, v31
	s_delay_alu instid0(VALU_DEP_4) | instskip(SKIP_2) | instid1(VALU_DEP_4)
	v_pk_fma_f32 v[34:35], v[38:39], v[26:27], v[50:51] op_sel_hi:[1,0,1]
	v_mov_b32_e32 v25, v53
	v_pk_fma_f32 v[26:27], v[38:39], v[26:27], v[50:51] neg_lo:[0,0,1] neg_hi:[0,0,1]
	v_pk_add_f32 v[20:21], v[20:21], v[22:23]
	v_pk_fma_f32 v[22:23], v[40:41], v[28:29], v[62:63] op_sel_hi:[1,0,1]
	v_pk_mul_f32 v[32:33], v[56:57], v[32:33] op_sel_hi:[1,0]
	v_mov_b32_e32 v27, v35
	v_pk_fma_f32 v[28:29], v[40:41], v[28:29], v[62:63] neg_lo:[0,0,1] neg_hi:[0,0,1]
	v_pk_add_f32 v[20:21], v[20:21], v[24:25]
	s_wait_loadcnt_dscnt 0x100
	v_pk_mul_f32 v[24:25], v[46:47], v[0:1] op_sel:[1,1] op_sel_hi:[0,1]
	v_mov_b32_e32 v29, v23
	v_pk_fma_f32 v[22:23], v[42:43], v[30:31], v[32:33] op_sel_hi:[1,0,1]
	v_pk_fma_f32 v[30:31], v[42:43], v[30:31], v[32:33] neg_lo:[0,0,1] neg_hi:[0,0,1]
	v_pk_add_f32 v[20:21], v[20:21], v[26:27]
	v_pk_fma_f32 v[26:27], v[46:47], v[0:1], v[24:25] op_sel_hi:[1,0,1]
	v_pk_fma_f32 v[0:1], v[46:47], v[0:1], v[24:25] neg_lo:[0,0,1] neg_hi:[0,0,1]
	v_mov_b32_e32 v31, v23
	s_delay_alu instid0(VALU_DEP_4) | instskip(NEXT) | instid1(VALU_DEP_4)
	v_pk_add_f32 v[20:21], v[20:21], v[28:29]
	v_mov_b32_e32 v1, v27
	s_delay_alu instid0(VALU_DEP_2) | instskip(NEXT) | instid1(VALU_DEP_1)
	v_pk_add_f32 v[20:21], v[20:21], v[30:31]
	v_pk_add_f32 v[0:1], v[20:21], v[0:1]
	s_wait_loadcnt 0x0
	s_delay_alu instid0(VALU_DEP_1)
	v_pk_add_f32 v[0:1], v[44:45], v[0:1] neg_lo:[0,1] neg_hi:[0,1]
	scratch_store_b64 off, v[0:1], off
	s_cbranch_vccz .LBB7_76
; %bb.62:
	global_load_b32 v0, v18, s[2:3] offset:24
	s_wait_loadcnt 0x0
	v_cmp_ne_u32_e32 vcc_lo, 7, v0
	s_cbranch_vccz .LBB7_64
; %bb.63:
	v_lshlrev_b32_e32 v0, 3, v0
	s_delay_alu instid0(VALU_DEP_1)
	v_mov_b32_e32 v20, v0
	scratch_load_b64 v[0:1], v20, off offset:-8
	scratch_load_b64 v[18:19], off, off offset:48
	s_wait_loadcnt 0x1
	scratch_store_b64 off, v[0:1], off offset:48
	s_wait_loadcnt 0x0
	scratch_store_b64 v20, v[18:19], off offset:-8
.LBB7_64:
	s_wait_xcnt 0x1
	v_mov_b32_e32 v0, 0
	global_load_b32 v1, v0, s[2:3] offset:20
	s_wait_loadcnt 0x0
	v_cmp_eq_u32_e32 vcc_lo, 6, v1
	s_cbranch_vccnz .LBB7_66
; %bb.65:
	v_lshlrev_b32_e32 v1, 3, v1
	scratch_load_b64 v[18:19], v1, off offset:-8
	scratch_load_b64 v[20:21], off, off offset:40
	s_wait_loadcnt 0x1
	scratch_store_b64 off, v[18:19], off offset:40
	s_wait_loadcnt 0x0
	scratch_store_b64 v1, v[20:21], off offset:-8
.LBB7_66:
	global_load_b32 v0, v0, s[2:3] offset:16
	s_wait_loadcnt 0x0
	v_cmp_eq_u32_e32 vcc_lo, 5, v0
	s_cbranch_vccnz .LBB7_68
; %bb.67:
	s_wait_xcnt 0x0
	v_lshlrev_b32_e32 v0, 3, v0
	s_delay_alu instid0(VALU_DEP_1)
	v_mov_b32_e32 v20, v0
	scratch_load_b64 v[0:1], v20, off offset:-8
	scratch_load_b64 v[18:19], off, off offset:32
	s_wait_loadcnt 0x1
	scratch_store_b64 off, v[0:1], off offset:32
	s_wait_loadcnt 0x0
	scratch_store_b64 v20, v[18:19], off offset:-8
.LBB7_68:
	s_wait_xcnt 0x0
	v_mov_b32_e32 v0, 0
	global_load_b32 v1, v0, s[2:3] offset:12
	s_wait_loadcnt 0x0
	v_cmp_eq_u32_e32 vcc_lo, 4, v1
	s_cbranch_vccnz .LBB7_70
; %bb.69:
	v_lshlrev_b32_e32 v1, 3, v1
	scratch_load_b64 v[18:19], v1, off offset:-8
	scratch_load_b64 v[20:21], off, off offset:24
	s_wait_loadcnt 0x1
	scratch_store_b64 off, v[18:19], off offset:24
	s_wait_loadcnt 0x0
	scratch_store_b64 v1, v[20:21], off offset:-8
.LBB7_70:
	global_load_b32 v0, v0, s[2:3] offset:8
	s_wait_loadcnt 0x0
	v_cmp_eq_u32_e32 vcc_lo, 3, v0
	s_cbranch_vccnz .LBB7_72
; %bb.71:
	s_wait_xcnt 0x0
	v_lshlrev_b32_e32 v0, 3, v0
	s_delay_alu instid0(VALU_DEP_1)
	v_mov_b32_e32 v20, v0
	scratch_load_b64 v[0:1], v20, off offset:-8
	scratch_load_b64 v[18:19], off, off offset:16
	s_wait_loadcnt 0x1
	scratch_store_b64 off, v[0:1], off offset:16
	s_wait_loadcnt 0x0
	scratch_store_b64 v20, v[18:19], off offset:-8
.LBB7_72:
	s_wait_xcnt 0x0
	v_mov_b32_e32 v0, 0
	global_load_b32 v1, v0, s[2:3] offset:4
	s_wait_loadcnt 0x0
	v_cmp_eq_u32_e32 vcc_lo, 2, v1
	s_cbranch_vccnz .LBB7_74
; %bb.73:
	v_lshlrev_b32_e32 v1, 3, v1
	scratch_load_b64 v[18:19], v1, off offset:-8
	scratch_load_b64 v[20:21], off, off offset:8
	s_wait_loadcnt 0x1
	scratch_store_b64 off, v[18:19], off offset:8
	s_wait_loadcnt 0x0
	scratch_store_b64 v1, v[20:21], off offset:-8
.LBB7_74:
	global_load_b32 v18, v0, s[2:3]
	scratch_load_b64 v[0:1], off, off
	s_wait_loadcnt 0x1
	v_cmp_eq_u32_e32 vcc_lo, 1, v18
	s_cbranch_vccnz .LBB7_76
; %bb.75:
	v_lshlrev_b32_e32 v18, 3, v18
	s_delay_alu instid0(VALU_DEP_1)
	v_mov_b32_e32 v20, v18
	scratch_load_b64 v[18:19], v20, off offset:-8
	s_wait_loadcnt 0x0
	scratch_store_b64 off, v[18:19], off
	scratch_store_b64 v20, v[0:1], off offset:-8
	scratch_load_b64 v[0:1], off, off
.LBB7_76:
	s_clause 0x3
	scratch_load_b128 v[18:21], off, off offset:8
	scratch_load_b128 v[22:25], off, off offset:24
	;; [unrolled: 1-line block ×3, first 2 shown]
	scratch_load_b64 v[30:31], off, off offset:56
	v_lshl_add_u64 v[6:7], v[6:7], 3, s[4:5]
	v_lshl_add_u64 v[8:9], v[8:9], 3, s[4:5]
	;; [unrolled: 1-line block ×6, first 2 shown]
	s_wait_loadcnt 0x4
	global_store_b64 v[2:3], v[0:1], off
	s_wait_loadcnt 0x3
	s_clause 0x1
	global_store_b64 v[4:5], v[18:19], off
	global_store_b64 v[6:7], v[20:21], off
	s_wait_loadcnt 0x2
	s_clause 0x1
	global_store_b64 v[8:9], v[22:23], off
	;; [unrolled: 4-line block ×3, first 2 shown]
	global_store_b64 v[14:15], v[28:29], off
	s_wait_loadcnt 0x0
	global_store_b64 v[16:17], v[30:31], off
	s_endpgm
	.section	.rodata,"a",@progbits
	.p2align	6, 0x0
	.amdhsa_kernel _ZN9rocsolver6v33100L18getri_kernel_smallILi8E19rocblas_complex_numIfEPS3_EEvT1_iilPiilS6_bb
		.amdhsa_group_segment_fixed_size 132
		.amdhsa_private_segment_fixed_size 80
		.amdhsa_kernarg_size 60
		.amdhsa_user_sgpr_count 2
		.amdhsa_user_sgpr_dispatch_ptr 0
		.amdhsa_user_sgpr_queue_ptr 0
		.amdhsa_user_sgpr_kernarg_segment_ptr 1
		.amdhsa_user_sgpr_dispatch_id 0
		.amdhsa_user_sgpr_kernarg_preload_length 0
		.amdhsa_user_sgpr_kernarg_preload_offset 0
		.amdhsa_user_sgpr_private_segment_size 0
		.amdhsa_wavefront_size32 1
		.amdhsa_uses_dynamic_stack 0
		.amdhsa_enable_private_segment 1
		.amdhsa_system_sgpr_workgroup_id_x 1
		.amdhsa_system_sgpr_workgroup_id_y 0
		.amdhsa_system_sgpr_workgroup_id_z 0
		.amdhsa_system_sgpr_workgroup_info 0
		.amdhsa_system_vgpr_workitem_id 0
		.amdhsa_next_free_vgpr 64
		.amdhsa_next_free_sgpr 19
		.amdhsa_named_barrier_count 0
		.amdhsa_reserve_vcc 1
		.amdhsa_float_round_mode_32 0
		.amdhsa_float_round_mode_16_64 0
		.amdhsa_float_denorm_mode_32 3
		.amdhsa_float_denorm_mode_16_64 3
		.amdhsa_fp16_overflow 0
		.amdhsa_memory_ordered 1
		.amdhsa_forward_progress 1
		.amdhsa_inst_pref_size 52
		.amdhsa_round_robin_scheduling 0
		.amdhsa_exception_fp_ieee_invalid_op 0
		.amdhsa_exception_fp_denorm_src 0
		.amdhsa_exception_fp_ieee_div_zero 0
		.amdhsa_exception_fp_ieee_overflow 0
		.amdhsa_exception_fp_ieee_underflow 0
		.amdhsa_exception_fp_ieee_inexact 0
		.amdhsa_exception_int_div_zero 0
	.end_amdhsa_kernel
	.section	.text._ZN9rocsolver6v33100L18getri_kernel_smallILi8E19rocblas_complex_numIfEPS3_EEvT1_iilPiilS6_bb,"axG",@progbits,_ZN9rocsolver6v33100L18getri_kernel_smallILi8E19rocblas_complex_numIfEPS3_EEvT1_iilPiilS6_bb,comdat
.Lfunc_end7:
	.size	_ZN9rocsolver6v33100L18getri_kernel_smallILi8E19rocblas_complex_numIfEPS3_EEvT1_iilPiilS6_bb, .Lfunc_end7-_ZN9rocsolver6v33100L18getri_kernel_smallILi8E19rocblas_complex_numIfEPS3_EEvT1_iilPiilS6_bb
                                        ; -- End function
	.set _ZN9rocsolver6v33100L18getri_kernel_smallILi8E19rocblas_complex_numIfEPS3_EEvT1_iilPiilS6_bb.num_vgpr, 64
	.set _ZN9rocsolver6v33100L18getri_kernel_smallILi8E19rocblas_complex_numIfEPS3_EEvT1_iilPiilS6_bb.num_agpr, 0
	.set _ZN9rocsolver6v33100L18getri_kernel_smallILi8E19rocblas_complex_numIfEPS3_EEvT1_iilPiilS6_bb.numbered_sgpr, 19
	.set _ZN9rocsolver6v33100L18getri_kernel_smallILi8E19rocblas_complex_numIfEPS3_EEvT1_iilPiilS6_bb.num_named_barrier, 0
	.set _ZN9rocsolver6v33100L18getri_kernel_smallILi8E19rocblas_complex_numIfEPS3_EEvT1_iilPiilS6_bb.private_seg_size, 80
	.set _ZN9rocsolver6v33100L18getri_kernel_smallILi8E19rocblas_complex_numIfEPS3_EEvT1_iilPiilS6_bb.uses_vcc, 1
	.set _ZN9rocsolver6v33100L18getri_kernel_smallILi8E19rocblas_complex_numIfEPS3_EEvT1_iilPiilS6_bb.uses_flat_scratch, 1
	.set _ZN9rocsolver6v33100L18getri_kernel_smallILi8E19rocblas_complex_numIfEPS3_EEvT1_iilPiilS6_bb.has_dyn_sized_stack, 0
	.set _ZN9rocsolver6v33100L18getri_kernel_smallILi8E19rocblas_complex_numIfEPS3_EEvT1_iilPiilS6_bb.has_recursion, 0
	.set _ZN9rocsolver6v33100L18getri_kernel_smallILi8E19rocblas_complex_numIfEPS3_EEvT1_iilPiilS6_bb.has_indirect_call, 0
	.section	.AMDGPU.csdata,"",@progbits
; Kernel info:
; codeLenInByte = 6612
; TotalNumSgprs: 21
; NumVgprs: 64
; ScratchSize: 80
; MemoryBound: 0
; FloatMode: 240
; IeeeMode: 1
; LDSByteSize: 132 bytes/workgroup (compile time only)
; SGPRBlocks: 0
; VGPRBlocks: 3
; NumSGPRsForWavesPerEU: 21
; NumVGPRsForWavesPerEU: 64
; NamedBarCnt: 0
; Occupancy: 16
; WaveLimiterHint : 0
; COMPUTE_PGM_RSRC2:SCRATCH_EN: 1
; COMPUTE_PGM_RSRC2:USER_SGPR: 2
; COMPUTE_PGM_RSRC2:TRAP_HANDLER: 0
; COMPUTE_PGM_RSRC2:TGID_X_EN: 1
; COMPUTE_PGM_RSRC2:TGID_Y_EN: 0
; COMPUTE_PGM_RSRC2:TGID_Z_EN: 0
; COMPUTE_PGM_RSRC2:TIDIG_COMP_CNT: 0
	.section	.text._ZN9rocsolver6v33100L18getri_kernel_smallILi9E19rocblas_complex_numIfEPS3_EEvT1_iilPiilS6_bb,"axG",@progbits,_ZN9rocsolver6v33100L18getri_kernel_smallILi9E19rocblas_complex_numIfEPS3_EEvT1_iilPiilS6_bb,comdat
	.globl	_ZN9rocsolver6v33100L18getri_kernel_smallILi9E19rocblas_complex_numIfEPS3_EEvT1_iilPiilS6_bb ; -- Begin function _ZN9rocsolver6v33100L18getri_kernel_smallILi9E19rocblas_complex_numIfEPS3_EEvT1_iilPiilS6_bb
	.p2align	8
	.type	_ZN9rocsolver6v33100L18getri_kernel_smallILi9E19rocblas_complex_numIfEPS3_EEvT1_iilPiilS6_bb,@function
_ZN9rocsolver6v33100L18getri_kernel_smallILi9E19rocblas_complex_numIfEPS3_EEvT1_iilPiilS6_bb: ; @_ZN9rocsolver6v33100L18getri_kernel_smallILi9E19rocblas_complex_numIfEPS3_EEvT1_iilPiilS6_bb
; %bb.0:
	s_mov_b32 s2, exec_lo
	v_cmpx_gt_u32_e32 9, v0
	s_cbranch_execz .LBB8_50
; %bb.1:
	s_clause 0x2
	s_load_b32 s2, s[0:1], 0x38
	s_load_b128 s[12:15], s[0:1], 0x10
	s_load_b128 s[4:7], s[0:1], 0x28
	s_getreg_b32 s9, hwreg(HW_REG_IB_STS2, 6, 4)
	s_wait_kmcnt 0x0
	s_bitcmp1_b32 s2, 8
	s_cselect_b32 s18, -1, 0
	s_bfe_u32 s3, ttmp6, 0x4000c
	s_and_b32 s8, ttmp6, 15
	s_add_co_i32 s3, s3, 1
	s_delay_alu instid0(SALU_CYCLE_1) | instskip(NEXT) | instid1(SALU_CYCLE_1)
	s_mul_i32 s3, ttmp9, s3
	s_add_co_i32 s8, s8, s3
	s_cmp_eq_u32 s9, 0
	s_cselect_b32 s16, ttmp9, s8
	s_bfe_u32 s2, s2, 0x10008
	s_ashr_i32 s17, s16, 31
	s_cmp_eq_u32 s2, 0
                                        ; implicit-def: $sgpr2_sgpr3
	s_cbranch_scc1 .LBB8_3
; %bb.2:
	s_load_b32 s2, s[0:1], 0x20
	s_mul_u64 s[4:5], s[4:5], s[16:17]
	s_delay_alu instid0(SALU_CYCLE_1) | instskip(NEXT) | instid1(SALU_CYCLE_1)
	s_lshl_b64 s[4:5], s[4:5], 2
	s_add_nc_u64 s[4:5], s[14:15], s[4:5]
	s_wait_kmcnt 0x0
	s_ashr_i32 s3, s2, 31
	s_delay_alu instid0(SALU_CYCLE_1) | instskip(NEXT) | instid1(SALU_CYCLE_1)
	s_lshl_b64 s[2:3], s[2:3], 2
	s_add_nc_u64 s[2:3], s[4:5], s[2:3]
.LBB8_3:
	s_clause 0x1
	s_load_b128 s[8:11], s[0:1], 0x0
	s_load_b32 s14, s[0:1], 0x38
	s_wait_xcnt 0x0
	s_mul_u64 s[0:1], s[12:13], s[16:17]
	v_lshlrev_b32_e32 v20, 3, v0
	s_lshl_b64 s[0:1], s[0:1], 3
	s_wait_kmcnt 0x0
	v_add3_u32 v6, s11, s11, v0
	s_ashr_i32 s5, s10, 31
	s_mov_b32 s4, s10
	s_add_nc_u64 s[0:1], s[8:9], s[0:1]
	s_lshl_b64 s[4:5], s[4:5], 3
	v_dual_mov_b32 v21, 0 :: v_dual_add_nc_u32 v8, s11, v6
	s_add_nc_u64 s[4:5], s[0:1], s[4:5]
	s_ashr_i32 s1, s11, 31
	s_mov_b32 s0, s11
	s_delay_alu instid0(VALU_DEP_1) | instskip(SKIP_2) | instid1(VALU_DEP_2)
	v_add_nc_u32_e32 v10, s11, v8
	v_add_nc_u64_e32 v[2:3], s[4:5], v[20:21]
	s_bitcmp0_b32 s14, 0
	v_add_nc_u32_e32 v12, s11, v10
	s_delay_alu instid0(VALU_DEP_2) | instskip(SKIP_1) | instid1(VALU_DEP_2)
	v_lshl_add_u64 v[4:5], s[0:1], 3, v[2:3]
	s_mov_b32 s1, -1
	v_add_nc_u32_e32 v14, s11, v12
	s_clause 0x1
	global_load_b64 v[22:23], v0, s[4:5] scale_offset
	global_load_b64 v[24:25], v[4:5], off
	v_add_nc_u32_e32 v16, s11, v14
	s_delay_alu instid0(VALU_DEP_1)
	v_add_nc_u32_e32 v18, s11, v16
	s_clause 0x6
	global_load_b64 v[26:27], v6, s[4:5] scale_offset
	global_load_b64 v[28:29], v8, s[4:5] scale_offset
	;; [unrolled: 1-line block ×7, first 2 shown]
	s_wait_loadcnt 0x7
	scratch_store_b128 off, v[22:25], off
	s_wait_loadcnt 0x5
	scratch_store_b128 off, v[26:29], off offset:16
	s_wait_loadcnt 0x3
	scratch_store_b128 off, v[30:33], off offset:32
	;; [unrolled: 2-line block ×3, first 2 shown]
	s_wait_loadcnt 0x0
	scratch_store_b64 off, v[38:39], off offset:64
	s_cbranch_scc1 .LBB8_48
; %bb.4:
	v_cmp_eq_u32_e64 s0, 0, v0
	s_wait_xcnt 0x0
	s_and_saveexec_b32 s1, s0
; %bb.5:
	v_mov_b32_e32 v1, 0
	ds_store_b32 v1, v1 offset:72
; %bb.6:
	s_or_b32 exec_lo, exec_lo, s1
	s_wait_storecnt_dscnt 0x0
	s_barrier_signal -1
	s_barrier_wait -1
	scratch_load_b64 v[22:23], v0, off scale_offset
	s_wait_loadcnt 0x0
	v_cmp_eq_f32_e32 vcc_lo, 0, v22
	v_cmp_eq_f32_e64 s1, 0, v23
	s_and_b32 s1, vcc_lo, s1
	s_delay_alu instid0(SALU_CYCLE_1)
	s_and_saveexec_b32 s8, s1
	s_cbranch_execz .LBB8_10
; %bb.7:
	v_mov_b32_e32 v1, 0
	s_mov_b32 s9, 0
	ds_load_b32 v7, v1 offset:72
	s_wait_dscnt 0x0
	v_readfirstlane_b32 s1, v7
	v_add_nc_u32_e32 v7, 1, v0
	s_cmp_eq_u32 s1, 0
	s_delay_alu instid0(VALU_DEP_1) | instskip(SKIP_1) | instid1(SALU_CYCLE_1)
	v_cmp_gt_i32_e32 vcc_lo, s1, v7
	s_cselect_b32 s10, -1, 0
	s_or_b32 s10, s10, vcc_lo
	s_delay_alu instid0(SALU_CYCLE_1)
	s_and_b32 exec_lo, exec_lo, s10
	s_cbranch_execz .LBB8_10
; %bb.8:
	v_mov_b32_e32 v9, s1
.LBB8_9:                                ; =>This Inner Loop Header: Depth=1
	ds_cmpstore_rtn_b32 v9, v1, v7, v9 offset:72
	s_wait_dscnt 0x0
	v_cmp_ne_u32_e32 vcc_lo, 0, v9
	v_cmp_le_i32_e64 s1, v9, v7
	s_and_b32 s1, vcc_lo, s1
	s_delay_alu instid0(SALU_CYCLE_1) | instskip(NEXT) | instid1(SALU_CYCLE_1)
	s_and_b32 s1, exec_lo, s1
	s_or_b32 s9, s1, s9
	s_delay_alu instid0(SALU_CYCLE_1)
	s_and_not1_b32 exec_lo, exec_lo, s9
	s_cbranch_execnz .LBB8_9
.LBB8_10:
	s_or_b32 exec_lo, exec_lo, s8
	v_mov_b32_e32 v1, 0
	s_barrier_signal -1
	s_barrier_wait -1
	ds_load_b32 v7, v1 offset:72
	s_and_saveexec_b32 s1, s0
	s_cbranch_execz .LBB8_12
; %bb.11:
	s_lshl_b64 s[8:9], s[16:17], 2
	s_delay_alu instid0(SALU_CYCLE_1)
	s_add_nc_u64 s[8:9], s[6:7], s[8:9]
	s_wait_dscnt 0x0
	global_store_b32 v1, v7, s[8:9]
.LBB8_12:
	s_wait_xcnt 0x0
	s_or_b32 exec_lo, exec_lo, s1
	s_wait_dscnt 0x0
	v_cmp_ne_u32_e32 vcc_lo, 0, v7
	s_mov_b32 s1, 0
	s_cbranch_vccnz .LBB8_48
; %bb.13:
	v_lshl_add_u32 v7, v0, 3, 0
                                        ; implicit-def: $vgpr25
                                        ; implicit-def: $vgpr26
	scratch_load_b64 v[22:23], v7, off
	s_wait_loadcnt 0x0
	v_cmp_ngt_f32_e64 s1, |v22|, |v23|
	s_wait_xcnt 0x0
	s_and_saveexec_b32 s8, s1
	s_delay_alu instid0(SALU_CYCLE_1)
	s_xor_b32 s1, exec_lo, s8
	s_cbranch_execz .LBB8_15
; %bb.14:
	v_div_scale_f32 v1, null, v23, v23, v22
	v_div_scale_f32 v13, vcc_lo, v22, v23, v22
	s_delay_alu instid0(VALU_DEP_2) | instskip(SKIP_1) | instid1(TRANS32_DEP_1)
	v_rcp_f32_e32 v9, v1
	v_nop
	v_fma_f32 v11, -v1, v9, 1.0
	s_delay_alu instid0(VALU_DEP_1) | instskip(NEXT) | instid1(VALU_DEP_1)
	v_fmac_f32_e32 v9, v11, v9
	v_mul_f32_e32 v11, v13, v9
	s_delay_alu instid0(VALU_DEP_1) | instskip(NEXT) | instid1(VALU_DEP_1)
	v_fma_f32 v15, -v1, v11, v13
	v_fmac_f32_e32 v11, v15, v9
	s_delay_alu instid0(VALU_DEP_1) | instskip(NEXT) | instid1(VALU_DEP_1)
	v_fma_f32 v1, -v1, v11, v13
	v_div_fmas_f32 v1, v1, v9, v11
	s_delay_alu instid0(VALU_DEP_1) | instskip(NEXT) | instid1(VALU_DEP_1)
	v_div_fixup_f32 v1, v1, v23, v22
	v_fmac_f32_e32 v23, v22, v1
	s_delay_alu instid0(VALU_DEP_1) | instskip(NEXT) | instid1(VALU_DEP_1)
	v_div_scale_f32 v9, null, v23, v23, -1.0
	v_rcp_f32_e32 v11, v9
	v_nop
	s_delay_alu instid0(TRANS32_DEP_1) | instskip(NEXT) | instid1(VALU_DEP_1)
	v_fma_f32 v13, -v9, v11, 1.0
	v_fmac_f32_e32 v11, v13, v11
	v_div_scale_f32 v13, vcc_lo, -1.0, v23, -1.0
	s_delay_alu instid0(VALU_DEP_1) | instskip(NEXT) | instid1(VALU_DEP_1)
	v_mul_f32_e32 v15, v13, v11
	v_fma_f32 v17, -v9, v15, v13
	s_delay_alu instid0(VALU_DEP_1) | instskip(NEXT) | instid1(VALU_DEP_1)
	v_fmac_f32_e32 v15, v17, v11
	v_fma_f32 v9, -v9, v15, v13
	s_delay_alu instid0(VALU_DEP_1) | instskip(NEXT) | instid1(VALU_DEP_1)
	v_div_fmas_f32 v9, v9, v11, v15
	v_div_fixup_f32 v25, v9, v23, -1.0
                                        ; implicit-def: $vgpr22_vgpr23
	s_delay_alu instid0(VALU_DEP_1) | instskip(NEXT) | instid1(VALU_DEP_1)
	v_mul_f32_e32 v26, v1, v25
	v_xor_b32_e32 v24, 0x80000000, v26
.LBB8_15:
	s_and_not1_saveexec_b32 s1, s1
	s_cbranch_execz .LBB8_17
; %bb.16:
	v_div_scale_f32 v1, null, v22, v22, v23
	v_div_scale_f32 v13, vcc_lo, v23, v22, v23
	s_delay_alu instid0(VALU_DEP_2) | instskip(SKIP_1) | instid1(TRANS32_DEP_1)
	v_rcp_f32_e32 v9, v1
	v_nop
	v_fma_f32 v11, -v1, v9, 1.0
	s_delay_alu instid0(VALU_DEP_1) | instskip(NEXT) | instid1(VALU_DEP_1)
	v_fmac_f32_e32 v9, v11, v9
	v_mul_f32_e32 v11, v13, v9
	s_delay_alu instid0(VALU_DEP_1) | instskip(NEXT) | instid1(VALU_DEP_1)
	v_fma_f32 v15, -v1, v11, v13
	v_fmac_f32_e32 v11, v15, v9
	s_delay_alu instid0(VALU_DEP_1) | instskip(NEXT) | instid1(VALU_DEP_1)
	v_fma_f32 v1, -v1, v11, v13
	v_div_fmas_f32 v1, v1, v9, v11
	s_delay_alu instid0(VALU_DEP_1) | instskip(NEXT) | instid1(VALU_DEP_1)
	v_div_fixup_f32 v1, v1, v22, v23
	v_fmac_f32_e32 v22, v23, v1
	s_delay_alu instid0(VALU_DEP_1) | instskip(SKIP_1) | instid1(VALU_DEP_2)
	v_div_scale_f32 v9, null, v22, v22, 1.0
	v_div_scale_f32 v15, vcc_lo, 1.0, v22, 1.0
	v_rcp_f32_e32 v11, v9
	v_nop
	s_delay_alu instid0(TRANS32_DEP_1) | instskip(NEXT) | instid1(VALU_DEP_1)
	v_fma_f32 v13, -v9, v11, 1.0
	v_fmac_f32_e32 v11, v13, v11
	s_delay_alu instid0(VALU_DEP_1) | instskip(NEXT) | instid1(VALU_DEP_1)
	v_mul_f32_e32 v13, v15, v11
	v_fma_f32 v17, -v9, v13, v15
	s_delay_alu instid0(VALU_DEP_1) | instskip(NEXT) | instid1(VALU_DEP_1)
	v_fmac_f32_e32 v13, v17, v11
	v_fma_f32 v9, -v9, v13, v15
	s_delay_alu instid0(VALU_DEP_1) | instskip(NEXT) | instid1(VALU_DEP_1)
	v_div_fmas_f32 v9, v9, v11, v13
	v_div_fixup_f32 v24, v9, v22, 1.0
	s_delay_alu instid0(VALU_DEP_1)
	v_xor_b32_e32 v26, 0x80000000, v24
	v_mul_f32_e64 v25, v1, -v24
.LBB8_17:
	s_or_b32 exec_lo, exec_lo, s1
	scratch_store_b64 v7, v[24:25], off
	scratch_load_b64 v[22:23], off, off offset:8
	v_xor_b32_e32 v27, 0x80000000, v25
	v_add_nc_u32_e32 v1, 0x50, v20
	s_wait_loadcnt 0x0
	ds_store_2addr_b64 v20, v[26:27], v[22:23] offset1:10
	s_wait_storecnt_dscnt 0x0
	s_barrier_signal -1
	s_barrier_wait -1
	s_wait_xcnt 0x0
	s_and_saveexec_b32 s1, s0
	s_cbranch_execz .LBB8_19
; %bb.18:
	scratch_load_b64 v[22:23], v7, off
	ds_load_b64 v[24:25], v1
	s_wait_loadcnt_dscnt 0x0
	v_pk_mul_f32 v[28:29], v[24:25], v[22:23] op_sel:[1,1] op_sel_hi:[0,1]
	s_delay_alu instid0(VALU_DEP_1) | instskip(SKIP_2) | instid1(VALU_DEP_3)
	v_pk_fma_f32 v[30:31], v[24:25], v[22:23], v[28:29] op_sel_hi:[1,0,1]
	v_mov_b32_e32 v9, 0
	v_pk_fma_f32 v[22:23], v[24:25], v[22:23], v[28:29] neg_lo:[0,0,1] neg_hi:[0,0,1]
	v_mov_b32_e32 v23, v31
	ds_load_b64 v[26:27], v9 offset:8
	v_pk_add_f32 v[22:23], v[22:23], 0 op_sel_hi:[1,0]
	s_wait_dscnt 0x0
	s_delay_alu instid0(VALU_DEP_1) | instskip(NEXT) | instid1(VALU_DEP_1)
	v_pk_mul_f32 v[24:25], v[22:23], v[26:27] op_sel:[1,1] op_sel_hi:[0,1]
	v_pk_fma_f32 v[28:29], v[22:23], v[26:27], v[24:25] op_sel_hi:[1,0,1]
	v_pk_fma_f32 v[22:23], v[22:23], v[26:27], v[24:25] neg_lo:[0,0,1] neg_hi:[0,0,1]
	s_delay_alu instid0(VALU_DEP_2)
	v_mov_b32_e32 v23, v29
	scratch_store_b64 off, v[22:23], off offset:8
.LBB8_19:
	s_wait_xcnt 0x0
	s_or_b32 exec_lo, exec_lo, s1
	s_wait_storecnt 0x0
	s_barrier_signal -1
	s_barrier_wait -1
	scratch_load_b64 v[22:23], off, off offset:16
	s_mov_b32 s1, exec_lo
	s_wait_loadcnt 0x0
	ds_store_b64 v1, v[22:23]
	s_wait_dscnt 0x0
	s_barrier_signal -1
	s_barrier_wait -1
	v_cmpx_gt_u32_e32 2, v0
	s_cbranch_execz .LBB8_23
; %bb.20:
	scratch_load_b64 v[22:23], v7, off
	ds_load_b64 v[24:25], v1
	s_wait_loadcnt_dscnt 0x0
	v_pk_mul_f32 v[26:27], v[24:25], v[22:23] op_sel:[1,1] op_sel_hi:[0,1]
	s_delay_alu instid0(VALU_DEP_1) | instskip(SKIP_1) | instid1(VALU_DEP_2)
	v_pk_fma_f32 v[28:29], v[24:25], v[22:23], v[26:27] op_sel_hi:[1,0,1]
	v_pk_fma_f32 v[22:23], v[24:25], v[22:23], v[26:27] neg_lo:[0,0,1] neg_hi:[0,0,1]
	v_mov_b32_e32 v23, v29
	s_delay_alu instid0(VALU_DEP_1)
	v_pk_add_f32 v[22:23], v[22:23], 0 op_sel_hi:[1,0]
	s_and_saveexec_b32 s8, s0
	s_cbranch_execz .LBB8_22
; %bb.21:
	scratch_load_b64 v[24:25], off, off offset:8
	v_mov_b32_e32 v7, 0
	ds_load_b64 v[26:27], v7 offset:88
	s_wait_loadcnt_dscnt 0x0
	v_pk_mul_f32 v[28:29], v[26:27], v[24:25] op_sel:[1,1] op_sel_hi:[0,1]
	s_delay_alu instid0(VALU_DEP_1) | instskip(SKIP_1) | instid1(VALU_DEP_2)
	v_pk_fma_f32 v[30:31], v[26:27], v[24:25], v[28:29] op_sel_hi:[1,0,1]
	v_pk_fma_f32 v[24:25], v[26:27], v[24:25], v[28:29] neg_lo:[0,0,1] neg_hi:[0,0,1]
	v_mov_b32_e32 v25, v31
	s_delay_alu instid0(VALU_DEP_1)
	v_pk_add_f32 v[22:23], v[22:23], v[24:25]
.LBB8_22:
	s_or_b32 exec_lo, exec_lo, s8
	v_mov_b32_e32 v7, 0
	ds_load_b64 v[24:25], v7 offset:16
	s_wait_dscnt 0x0
	v_pk_mul_f32 v[26:27], v[22:23], v[24:25] op_sel:[1,1] op_sel_hi:[0,1]
	s_delay_alu instid0(VALU_DEP_1) | instskip(SKIP_1) | instid1(VALU_DEP_2)
	v_pk_fma_f32 v[28:29], v[22:23], v[24:25], v[26:27] op_sel_hi:[1,0,1]
	v_pk_fma_f32 v[22:23], v[22:23], v[24:25], v[26:27] neg_lo:[0,0,1] neg_hi:[0,0,1]
	v_mov_b32_e32 v23, v29
	scratch_store_b64 off, v[22:23], off offset:16
.LBB8_23:
	s_wait_xcnt 0x0
	s_or_b32 exec_lo, exec_lo, s1
	s_wait_storecnt 0x0
	s_barrier_signal -1
	s_barrier_wait -1
	scratch_load_b64 v[22:23], off, off offset:24
	v_add_nc_u32_e32 v7, -1, v0
	s_mov_b32 s0, exec_lo
	s_wait_loadcnt 0x0
	ds_store_b64 v1, v[22:23]
	s_wait_dscnt 0x0
	s_barrier_signal -1
	s_barrier_wait -1
	v_cmpx_gt_u32_e32 3, v0
	s_cbranch_execz .LBB8_27
; %bb.24:
	v_dual_mov_b32 v22, 0 :: v_dual_add_nc_u32 v9, -1, v0
	v_add_nc_u32_e32 v11, 0x50, v20
	v_mov_b32_e32 v13, v20
	s_mov_b32 s1, 0
	s_delay_alu instid0(VALU_DEP_3)
	v_mov_b32_e32 v23, v22
.LBB8_25:                               ; =>This Inner Loop Header: Depth=1
	scratch_load_b64 v[24:25], v13, off
	ds_load_b64 v[26:27], v11
	s_wait_xcnt 0x0
	v_dual_add_nc_u32 v11, 8, v11 :: v_dual_add_nc_u32 v13, 8, v13
	s_wait_loadcnt_dscnt 0x0
	v_pk_mul_f32 v[28:29], v[26:27], v[24:25] op_sel:[1,1] op_sel_hi:[0,1]
	s_delay_alu instid0(VALU_DEP_1) | instskip(SKIP_2) | instid1(VALU_DEP_3)
	v_pk_fma_f32 v[30:31], v[26:27], v[24:25], v[28:29] op_sel_hi:[1,0,1]
	v_add_nc_u32_e32 v9, 1, v9
	v_pk_fma_f32 v[24:25], v[26:27], v[24:25], v[28:29] neg_lo:[0,0,1] neg_hi:[0,0,1]
	v_mov_b32_e32 v25, v31
	s_delay_alu instid0(VALU_DEP_3) | instskip(NEXT) | instid1(VALU_DEP_2)
	v_cmp_lt_u32_e32 vcc_lo, 1, v9
	v_pk_add_f32 v[22:23], v[22:23], v[24:25]
	s_or_b32 s1, vcc_lo, s1
	s_delay_alu instid0(SALU_CYCLE_1)
	s_and_not1_b32 exec_lo, exec_lo, s1
	s_cbranch_execnz .LBB8_25
; %bb.26:
	s_or_b32 exec_lo, exec_lo, s1
	v_mov_b32_e32 v9, 0
	ds_load_b64 v[24:25], v9 offset:24
	s_wait_dscnt 0x0
	v_pk_mul_f32 v[26:27], v[22:23], v[24:25] op_sel:[1,1] op_sel_hi:[0,1]
	s_delay_alu instid0(VALU_DEP_1) | instskip(SKIP_1) | instid1(VALU_DEP_2)
	v_pk_fma_f32 v[28:29], v[22:23], v[24:25], v[26:27] op_sel_hi:[1,0,1]
	v_pk_fma_f32 v[22:23], v[22:23], v[24:25], v[26:27] neg_lo:[0,0,1] neg_hi:[0,0,1]
	v_mov_b32_e32 v23, v29
	scratch_store_b64 off, v[22:23], off offset:24
.LBB8_27:
	s_wait_xcnt 0x0
	s_or_b32 exec_lo, exec_lo, s0
	s_wait_storecnt 0x0
	s_barrier_signal -1
	s_barrier_wait -1
	scratch_load_b64 v[22:23], off, off offset:32
	s_mov_b32 s0, exec_lo
	s_wait_loadcnt 0x0
	ds_store_b64 v1, v[22:23]
	s_wait_dscnt 0x0
	s_barrier_signal -1
	s_barrier_wait -1
	v_cmpx_gt_u32_e32 4, v0
	s_cbranch_execz .LBB8_31
; %bb.28:
	v_dual_mov_b32 v22, 0 :: v_dual_add_nc_u32 v9, -1, v0
	v_add_nc_u32_e32 v11, 0x50, v20
	v_mov_b32_e32 v13, v20
	s_mov_b32 s1, 0
	s_delay_alu instid0(VALU_DEP_3)
	v_mov_b32_e32 v23, v22
.LBB8_29:                               ; =>This Inner Loop Header: Depth=1
	scratch_load_b64 v[24:25], v13, off
	ds_load_b64 v[26:27], v11
	s_wait_xcnt 0x0
	v_dual_add_nc_u32 v11, 8, v11 :: v_dual_add_nc_u32 v13, 8, v13
	s_wait_loadcnt_dscnt 0x0
	v_pk_mul_f32 v[28:29], v[26:27], v[24:25] op_sel:[1,1] op_sel_hi:[0,1]
	s_delay_alu instid0(VALU_DEP_1) | instskip(SKIP_2) | instid1(VALU_DEP_3)
	v_pk_fma_f32 v[30:31], v[26:27], v[24:25], v[28:29] op_sel_hi:[1,0,1]
	v_add_nc_u32_e32 v9, 1, v9
	v_pk_fma_f32 v[24:25], v[26:27], v[24:25], v[28:29] neg_lo:[0,0,1] neg_hi:[0,0,1]
	v_mov_b32_e32 v25, v31
	s_delay_alu instid0(VALU_DEP_3) | instskip(NEXT) | instid1(VALU_DEP_2)
	v_cmp_lt_u32_e32 vcc_lo, 2, v9
	v_pk_add_f32 v[22:23], v[22:23], v[24:25]
	s_or_b32 s1, vcc_lo, s1
	s_delay_alu instid0(SALU_CYCLE_1)
	s_and_not1_b32 exec_lo, exec_lo, s1
	s_cbranch_execnz .LBB8_29
; %bb.30:
	s_or_b32 exec_lo, exec_lo, s1
	v_mov_b32_e32 v9, 0
	ds_load_b64 v[24:25], v9 offset:32
	s_wait_dscnt 0x0
	v_pk_mul_f32 v[26:27], v[22:23], v[24:25] op_sel:[1,1] op_sel_hi:[0,1]
	s_delay_alu instid0(VALU_DEP_1) | instskip(SKIP_1) | instid1(VALU_DEP_2)
	v_pk_fma_f32 v[28:29], v[22:23], v[24:25], v[26:27] op_sel_hi:[1,0,1]
	v_pk_fma_f32 v[22:23], v[22:23], v[24:25], v[26:27] neg_lo:[0,0,1] neg_hi:[0,0,1]
	v_mov_b32_e32 v23, v29
	scratch_store_b64 off, v[22:23], off offset:32
.LBB8_31:
	s_wait_xcnt 0x0
	s_or_b32 exec_lo, exec_lo, s0
	s_wait_storecnt 0x0
	s_barrier_signal -1
	s_barrier_wait -1
	scratch_load_b64 v[22:23], off, off offset:40
	;; [unrolled: 52-line block ×5, first 2 shown]
	s_mov_b32 s0, exec_lo
	s_wait_loadcnt 0x0
	ds_store_b64 v1, v[22:23]
	s_wait_dscnt 0x0
	s_barrier_signal -1
	s_barrier_wait -1
	v_cmpx_ne_u32_e32 8, v0
	s_cbranch_execz .LBB8_47
; %bb.44:
	v_dual_mov_b32 v22, 0 :: v_dual_mov_b32 v9, v20
	s_mov_b32 s1, 0
	s_delay_alu instid0(VALU_DEP_1)
	v_mov_b32_e32 v23, v22
.LBB8_45:                               ; =>This Inner Loop Header: Depth=1
	scratch_load_b64 v[20:21], v9, off
	ds_load_b64 v[24:25], v1
	v_add_nc_u32_e32 v1, 8, v1
	s_wait_xcnt 0x0
	v_add_nc_u32_e32 v9, 8, v9
	s_wait_loadcnt_dscnt 0x0
	v_pk_mul_f32 v[26:27], v[24:25], v[20:21] op_sel:[1,1] op_sel_hi:[0,1]
	s_delay_alu instid0(VALU_DEP_1) | instskip(SKIP_2) | instid1(VALU_DEP_3)
	v_pk_fma_f32 v[28:29], v[24:25], v[20:21], v[26:27] op_sel_hi:[1,0,1]
	v_add_nc_u32_e32 v7, 1, v7
	v_pk_fma_f32 v[20:21], v[24:25], v[20:21], v[26:27] neg_lo:[0,0,1] neg_hi:[0,0,1]
	v_mov_b32_e32 v21, v29
	s_delay_alu instid0(VALU_DEP_3) | instskip(NEXT) | instid1(VALU_DEP_2)
	v_cmp_lt_u32_e32 vcc_lo, 6, v7
	v_pk_add_f32 v[22:23], v[22:23], v[20:21]
	s_or_b32 s1, vcc_lo, s1
	s_delay_alu instid0(SALU_CYCLE_1)
	s_and_not1_b32 exec_lo, exec_lo, s1
	s_cbranch_execnz .LBB8_45
; %bb.46:
	s_or_b32 exec_lo, exec_lo, s1
	v_mov_b32_e32 v1, 0
	ds_load_b64 v[20:21], v1 offset:64
	s_wait_dscnt 0x0
	v_pk_mul_f32 v[24:25], v[22:23], v[20:21] op_sel:[1,1] op_sel_hi:[0,1]
	s_delay_alu instid0(VALU_DEP_1) | instskip(SKIP_1) | instid1(VALU_DEP_2)
	v_pk_fma_f32 v[26:27], v[22:23], v[20:21], v[24:25] op_sel_hi:[1,0,1]
	v_pk_fma_f32 v[20:21], v[22:23], v[20:21], v[24:25] neg_lo:[0,0,1] neg_hi:[0,0,1]
	v_mov_b32_e32 v21, v27
	scratch_store_b64 off, v[20:21], off offset:64
.LBB8_47:
	s_wait_xcnt 0x0
	s_or_b32 exec_lo, exec_lo, s0
	s_mov_b32 s1, -1
	s_wait_storecnt 0x0
	s_barrier_signal -1
	s_barrier_wait -1
.LBB8_48:
	s_and_b32 vcc_lo, exec_lo, s1
	s_cbranch_vccz .LBB8_50
; %bb.49:
	v_mov_b32_e32 v1, 0
	s_lshl_b64 s[0:1], s[16:17], 2
	s_delay_alu instid0(SALU_CYCLE_1)
	s_add_nc_u64 s[0:1], s[6:7], s[0:1]
	global_load_b32 v1, v1, s[0:1]
	s_wait_loadcnt 0x0
	v_cmp_ne_u32_e32 vcc_lo, 0, v1
	s_cbranch_vccz .LBB8_51
.LBB8_50:
	s_endpgm
.LBB8_51:
	s_wait_xcnt 0x0
	v_lshl_add_u32 v1, v0, 3, 0x50
	s_mov_b32 s0, exec_lo
	v_cmpx_eq_u32_e32 8, v0
	s_cbranch_execz .LBB8_53
; %bb.52:
	scratch_load_b64 v[20:21], off, off offset:56
	v_mov_b64_e32 v[22:23], 0
	scratch_store_b64 off, v[22:23], off offset:56
	s_wait_loadcnt 0x0
	ds_store_b64 v1, v[20:21]
.LBB8_53:
	s_wait_xcnt 0x0
	s_or_b32 exec_lo, exec_lo, s0
	s_wait_storecnt_dscnt 0x0
	s_barrier_signal -1
	s_barrier_wait -1
	s_clause 0x1
	scratch_load_b64 v[20:21], off, off offset:64
	scratch_load_b64 v[22:23], off, off offset:56
	v_mov_b32_e32 v7, 0
	s_mov_b32 s0, exec_lo
	ds_load_b64 v[24:25], v7 offset:144
	s_wait_loadcnt_dscnt 0x100
	v_pk_mul_f32 v[26:27], v[24:25], v[20:21] op_sel:[1,1] op_sel_hi:[0,1]
	s_delay_alu instid0(VALU_DEP_1) | instskip(SKIP_1) | instid1(VALU_DEP_2)
	v_pk_fma_f32 v[28:29], v[24:25], v[20:21], v[26:27] op_sel_hi:[1,0,1]
	v_pk_fma_f32 v[20:21], v[24:25], v[20:21], v[26:27] neg_lo:[0,0,1] neg_hi:[0,0,1]
	v_mov_b32_e32 v21, v29
	s_delay_alu instid0(VALU_DEP_1) | instskip(SKIP_1) | instid1(VALU_DEP_1)
	v_pk_add_f32 v[20:21], v[20:21], 0 op_sel_hi:[1,0]
	s_wait_loadcnt 0x0
	v_pk_add_f32 v[20:21], v[22:23], v[20:21] neg_lo:[0,1] neg_hi:[0,1]
	scratch_store_b64 off, v[20:21], off offset:56
	s_wait_xcnt 0x0
	v_cmpx_lt_u32_e32 6, v0
	s_cbranch_execz .LBB8_55
; %bb.54:
	scratch_load_b64 v[20:21], off, off offset:48
	v_mov_b64_e32 v[22:23], 0
	scratch_store_b64 off, v[22:23], off offset:48
	s_wait_loadcnt 0x0
	ds_store_b64 v1, v[20:21]
.LBB8_55:
	s_wait_xcnt 0x0
	s_or_b32 exec_lo, exec_lo, s0
	s_wait_storecnt_dscnt 0x0
	s_barrier_signal -1
	s_barrier_wait -1
	s_clause 0x1
	scratch_load_b128 v[20:23], off, off offset:56
	scratch_load_b64 v[28:29], off, off offset:48
	ds_load_2addr_b64 v[24:27], v7 offset0:17 offset1:18
	s_mov_b32 s0, exec_lo
	s_wait_dscnt 0x0
	v_dual_mov_b32 v30, v27 :: v_dual_mov_b32 v31, v26
	s_wait_loadcnt 0x1
	v_pk_mul_f32 v[32:33], v[24:25], v[20:21] op_sel:[1,1] op_sel_hi:[0,1]
	s_delay_alu instid0(VALU_DEP_1) | instskip(SKIP_2) | instid1(VALU_DEP_3)
	v_pk_fma_f32 v[36:37], v[24:25], v[20:21], v[32:33] op_sel_hi:[1,0,1]
	v_mov_b32_e32 v34, v23
	v_pk_fma_f32 v[20:21], v[24:25], v[20:21], v[32:33] neg_lo:[0,0,1] neg_hi:[0,0,1]
	v_mov_b32_e32 v21, v37
	s_delay_alu instid0(VALU_DEP_3) | instskip(NEXT) | instid1(VALU_DEP_2)
	v_pk_mul_f32 v[30:31], v[30:31], v[34:35] op_sel_hi:[1,0]
	v_pk_add_f32 v[20:21], v[20:21], 0 op_sel_hi:[1,0]
	s_delay_alu instid0(VALU_DEP_2) | instskip(SKIP_1) | instid1(VALU_DEP_2)
	v_pk_fma_f32 v[24:25], v[26:27], v[22:23], v[30:31] op_sel_hi:[1,0,1]
	v_pk_fma_f32 v[22:23], v[26:27], v[22:23], v[30:31] neg_lo:[0,0,1] neg_hi:[0,0,1]
	v_mov_b32_e32 v23, v25
	s_delay_alu instid0(VALU_DEP_1) | instskip(SKIP_1) | instid1(VALU_DEP_1)
	v_pk_add_f32 v[20:21], v[20:21], v[22:23]
	s_wait_loadcnt 0x0
	v_pk_add_f32 v[20:21], v[28:29], v[20:21] neg_lo:[0,1] neg_hi:[0,1]
	scratch_store_b64 off, v[20:21], off offset:48
	s_wait_xcnt 0x0
	v_cmpx_lt_u32_e32 5, v0
	s_cbranch_execz .LBB8_57
; %bb.56:
	scratch_load_b64 v[20:21], off, off offset:40
	v_mov_b64_e32 v[22:23], 0
	scratch_store_b64 off, v[22:23], off offset:40
	s_wait_loadcnt 0x0
	ds_store_b64 v1, v[20:21]
.LBB8_57:
	s_wait_xcnt 0x0
	s_or_b32 exec_lo, exec_lo, s0
	s_wait_storecnt_dscnt 0x0
	s_barrier_signal -1
	s_barrier_wait -1
	s_clause 0x2
	scratch_load_b128 v[20:23], off, off offset:48
	scratch_load_b64 v[28:29], off, off offset:64
	scratch_load_b64 v[30:31], off, off offset:40
	v_mov_b32_e32 v7, 0
	ds_load_b128 v[24:27], v7 offset:128
	ds_load_b64 v[32:33], v7 offset:144
	s_mov_b32 s0, exec_lo
	s_wait_dscnt 0x1
	v_dual_mov_b32 v34, v27 :: v_dual_mov_b32 v35, v26
	s_wait_loadcnt 0x2
	v_mov_b32_e32 v38, v23
	v_pk_mul_f32 v[36:37], v[24:25], v[20:21] op_sel:[1,1] op_sel_hi:[0,1]
	s_delay_alu instid0(VALU_DEP_2) | instskip(NEXT) | instid1(VALU_DEP_2)
	v_pk_mul_f32 v[34:35], v[34:35], v[38:39] op_sel_hi:[1,0]
	v_pk_fma_f32 v[40:41], v[24:25], v[20:21], v[36:37] op_sel_hi:[1,0,1]
	v_pk_fma_f32 v[20:21], v[24:25], v[20:21], v[36:37] neg_lo:[0,0,1] neg_hi:[0,0,1]
	s_wait_loadcnt_dscnt 0x100
	v_pk_mul_f32 v[36:37], v[32:33], v[28:29] op_sel:[1,1] op_sel_hi:[0,1]
	v_pk_fma_f32 v[24:25], v[26:27], v[22:23], v[34:35] op_sel_hi:[1,0,1]
	v_mov_b32_e32 v21, v41
	v_pk_fma_f32 v[22:23], v[26:27], v[22:23], v[34:35] neg_lo:[0,0,1] neg_hi:[0,0,1]
	s_delay_alu instid0(VALU_DEP_4) | instskip(NEXT) | instid1(VALU_DEP_4)
	v_pk_fma_f32 v[26:27], v[32:33], v[28:29], v[36:37] neg_lo:[0,0,1] neg_hi:[0,0,1]
	v_mov_b32_e32 v23, v25
	s_delay_alu instid0(VALU_DEP_4) | instskip(SKIP_1) | instid1(VALU_DEP_2)
	v_pk_add_f32 v[20:21], v[20:21], 0 op_sel_hi:[1,0]
	v_pk_fma_f32 v[24:25], v[32:33], v[28:29], v[36:37] op_sel_hi:[1,0,1]
	v_pk_add_f32 v[20:21], v[20:21], v[22:23]
	s_delay_alu instid0(VALU_DEP_2) | instskip(NEXT) | instid1(VALU_DEP_1)
	v_mov_b32_e32 v27, v25
	v_pk_add_f32 v[20:21], v[20:21], v[26:27]
	s_wait_loadcnt 0x0
	s_delay_alu instid0(VALU_DEP_1)
	v_pk_add_f32 v[20:21], v[30:31], v[20:21] neg_lo:[0,1] neg_hi:[0,1]
	scratch_store_b64 off, v[20:21], off offset:40
	s_wait_xcnt 0x0
	v_cmpx_lt_u32_e32 4, v0
	s_cbranch_execz .LBB8_59
; %bb.58:
	scratch_load_b64 v[20:21], off, off offset:32
	v_mov_b64_e32 v[22:23], 0
	scratch_store_b64 off, v[22:23], off offset:32
	s_wait_loadcnt 0x0
	ds_store_b64 v1, v[20:21]
.LBB8_59:
	s_wait_xcnt 0x0
	s_or_b32 exec_lo, exec_lo, s0
	s_wait_storecnt_dscnt 0x0
	s_barrier_signal -1
	s_barrier_wait -1
	s_clause 0x2
	scratch_load_b128 v[20:23], off, off offset:40
	scratch_load_b128 v[24:27], off, off offset:56
	scratch_load_b64 v[36:37], off, off offset:32
	ds_load_2addr_b64 v[28:31], v7 offset0:15 offset1:16
	ds_load_2addr_b64 v[32:35], v7 offset0:17 offset1:18
	s_mov_b32 s0, exec_lo
	s_wait_dscnt 0x1
	v_dual_mov_b32 v38, v31 :: v_dual_mov_b32 v39, v30
	s_wait_loadcnt_dscnt 0x200
	v_dual_mov_b32 v44, v35 :: v_dual_mov_b32 v42, v23
	v_pk_mul_f32 v[40:41], v[28:29], v[20:21] op_sel:[1,1] op_sel_hi:[0,1]
	s_delay_alu instid0(VALU_DEP_2) | instskip(NEXT) | instid1(VALU_DEP_2)
	v_pk_mul_f32 v[38:39], v[38:39], v[42:43] op_sel_hi:[1,0]
	v_pk_fma_f32 v[46:47], v[28:29], v[20:21], v[40:41] op_sel_hi:[1,0,1]
	v_pk_fma_f32 v[20:21], v[28:29], v[20:21], v[40:41] neg_lo:[0,0,1] neg_hi:[0,0,1]
	v_mov_b32_e32 v45, v34
	s_wait_loadcnt 0x1
	v_pk_mul_f32 v[42:43], v[32:33], v[24:25] op_sel:[1,1] op_sel_hi:[0,1]
	v_pk_fma_f32 v[28:29], v[30:31], v[22:23], v[38:39] op_sel_hi:[1,0,1]
	v_dual_mov_b32 v21, v47 :: v_dual_mov_b32 v28, v27
	v_pk_fma_f32 v[22:23], v[30:31], v[22:23], v[38:39] neg_lo:[0,0,1] neg_hi:[0,0,1]
	s_delay_alu instid0(VALU_DEP_4) | instskip(NEXT) | instid1(VALU_DEP_4)
	v_pk_fma_f32 v[40:41], v[32:33], v[24:25], v[42:43] op_sel_hi:[1,0,1]
	v_mov_b32_e32 v23, v29
	s_delay_alu instid0(VALU_DEP_4) | instskip(SKIP_2) | instid1(VALU_DEP_3)
	v_pk_add_f32 v[20:21], v[20:21], 0 op_sel_hi:[1,0]
	v_pk_mul_f32 v[28:29], v[44:45], v[28:29] op_sel_hi:[1,0]
	v_pk_fma_f32 v[24:25], v[32:33], v[24:25], v[42:43] neg_lo:[0,0,1] neg_hi:[0,0,1]
	v_pk_add_f32 v[20:21], v[20:21], v[22:23]
	s_delay_alu instid0(VALU_DEP_3) | instskip(SKIP_2) | instid1(VALU_DEP_3)
	v_pk_fma_f32 v[22:23], v[34:35], v[26:27], v[28:29] op_sel_hi:[1,0,1]
	v_mov_b32_e32 v25, v41
	v_pk_fma_f32 v[26:27], v[34:35], v[26:27], v[28:29] neg_lo:[0,0,1] neg_hi:[0,0,1]
	v_mov_b32_e32 v27, v23
	s_delay_alu instid0(VALU_DEP_3) | instskip(NEXT) | instid1(VALU_DEP_1)
	v_pk_add_f32 v[20:21], v[20:21], v[24:25]
	v_pk_add_f32 v[20:21], v[20:21], v[26:27]
	s_wait_loadcnt 0x0
	s_delay_alu instid0(VALU_DEP_1)
	v_pk_add_f32 v[20:21], v[36:37], v[20:21] neg_lo:[0,1] neg_hi:[0,1]
	scratch_store_b64 off, v[20:21], off offset:32
	s_wait_xcnt 0x0
	v_cmpx_lt_u32_e32 3, v0
	s_cbranch_execz .LBB8_61
; %bb.60:
	scratch_load_b64 v[20:21], off, off offset:24
	v_mov_b64_e32 v[22:23], 0
	scratch_store_b64 off, v[22:23], off offset:24
	s_wait_loadcnt 0x0
	ds_store_b64 v1, v[20:21]
.LBB8_61:
	s_wait_xcnt 0x0
	s_or_b32 exec_lo, exec_lo, s0
	s_wait_storecnt_dscnt 0x0
	s_barrier_signal -1
	s_barrier_wait -1
	s_clause 0x3
	scratch_load_b128 v[20:23], off, off offset:32
	scratch_load_b128 v[24:27], off, off offset:48
	scratch_load_b64 v[36:37], off, off offset:64
	scratch_load_b64 v[38:39], off, off offset:24
	v_mov_b32_e32 v7, 0
	ds_load_b128 v[28:31], v7 offset:112
	ds_load_b128 v[32:35], v7 offset:128
	s_mov_b32 s0, exec_lo
	s_wait_dscnt 0x1
	v_dual_mov_b32 v40, v31 :: v_dual_mov_b32 v41, v30
	ds_load_b64 v[46:47], v7 offset:144
	s_wait_dscnt 0x1
	v_dual_mov_b32 v48, v35 :: v_dual_mov_b32 v49, v34
	s_wait_loadcnt 0x3
	v_pk_mul_f32 v[42:43], v[28:29], v[20:21] op_sel:[1,1] op_sel_hi:[0,1]
	v_mov_b32_e32 v44, v23
	s_delay_alu instid0(VALU_DEP_2) | instskip(NEXT) | instid1(VALU_DEP_2)
	v_pk_fma_f32 v[50:51], v[28:29], v[20:21], v[42:43] op_sel_hi:[1,0,1]
	v_pk_mul_f32 v[40:41], v[40:41], v[44:45] op_sel_hi:[1,0]
	v_pk_fma_f32 v[20:21], v[28:29], v[20:21], v[42:43] neg_lo:[0,0,1] neg_hi:[0,0,1]
	s_wait_loadcnt 0x2
	v_pk_mul_f32 v[44:45], v[32:33], v[24:25] op_sel:[1,1] op_sel_hi:[0,1]
	v_dual_mov_b32 v50, v27 :: v_dual_mov_b32 v21, v51
	v_pk_fma_f32 v[28:29], v[30:31], v[22:23], v[40:41] op_sel_hi:[1,0,1]
	v_pk_fma_f32 v[22:23], v[30:31], v[22:23], v[40:41] neg_lo:[0,0,1] neg_hi:[0,0,1]
	s_delay_alu instid0(VALU_DEP_4) | instskip(NEXT) | instid1(VALU_DEP_4)
	v_pk_fma_f32 v[42:43], v[32:33], v[24:25], v[44:45] op_sel_hi:[1,0,1]
	v_pk_mul_f32 v[48:49], v[48:49], v[50:51] op_sel_hi:[1,0]
	v_pk_add_f32 v[20:21], v[20:21], 0 op_sel_hi:[1,0]
	v_mov_b32_e32 v23, v29
	v_pk_fma_f32 v[24:25], v[32:33], v[24:25], v[44:45] neg_lo:[0,0,1] neg_hi:[0,0,1]
	v_mov_b32_e32 v25, v43
	v_pk_fma_f32 v[28:29], v[34:35], v[26:27], v[48:49] op_sel_hi:[1,0,1]
	v_pk_fma_f32 v[26:27], v[34:35], v[26:27], v[48:49] neg_lo:[0,0,1] neg_hi:[0,0,1]
	v_pk_add_f32 v[20:21], v[20:21], v[22:23]
	s_wait_loadcnt_dscnt 0x100
	v_pk_mul_f32 v[22:23], v[46:47], v[36:37] op_sel:[1,1] op_sel_hi:[0,1]
	s_delay_alu instid0(VALU_DEP_2) | instskip(NEXT) | instid1(VALU_DEP_2)
	v_pk_add_f32 v[20:21], v[20:21], v[24:25]
	v_pk_fma_f32 v[24:25], v[46:47], v[36:37], v[22:23] op_sel_hi:[1,0,1]
	v_mov_b32_e32 v27, v29
	v_pk_fma_f32 v[22:23], v[46:47], v[36:37], v[22:23] neg_lo:[0,0,1] neg_hi:[0,0,1]
	s_delay_alu instid0(VALU_DEP_3) | instskip(NEXT) | instid1(VALU_DEP_3)
	v_mov_b32_e32 v23, v25
	v_pk_add_f32 v[20:21], v[20:21], v[26:27]
	s_delay_alu instid0(VALU_DEP_1) | instskip(SKIP_1) | instid1(VALU_DEP_1)
	v_pk_add_f32 v[20:21], v[20:21], v[22:23]
	s_wait_loadcnt 0x0
	v_pk_add_f32 v[20:21], v[38:39], v[20:21] neg_lo:[0,1] neg_hi:[0,1]
	scratch_store_b64 off, v[20:21], off offset:24
	s_wait_xcnt 0x0
	v_cmpx_lt_u32_e32 2, v0
	s_cbranch_execz .LBB8_63
; %bb.62:
	scratch_load_b64 v[20:21], off, off offset:16
	v_mov_b64_e32 v[22:23], 0
	scratch_store_b64 off, v[22:23], off offset:16
	s_wait_loadcnt 0x0
	ds_store_b64 v1, v[20:21]
.LBB8_63:
	s_wait_xcnt 0x0
	s_or_b32 exec_lo, exec_lo, s0
	s_wait_storecnt_dscnt 0x0
	s_barrier_signal -1
	s_barrier_wait -1
	s_clause 0x3
	scratch_load_b128 v[20:23], off, off offset:24
	scratch_load_b128 v[24:27], off, off offset:40
	;; [unrolled: 1-line block ×3, first 2 shown]
	scratch_load_b64 v[44:45], off, off offset:16
	ds_load_2addr_b64 v[32:35], v7 offset0:13 offset1:14
	ds_load_2addr_b64 v[36:39], v7 offset0:15 offset1:16
	ds_load_2addr_b64 v[40:43], v7 offset0:17 offset1:18
	s_mov_b32 s0, exec_lo
	s_wait_dscnt 0x2
	v_dual_mov_b32 v46, v35 :: v_dual_mov_b32 v47, v34
	s_wait_dscnt 0x1
	v_dual_mov_b32 v48, v39 :: v_dual_mov_b32 v49, v38
	;; [unrolled: 2-line block ×3, first 2 shown]
	s_wait_loadcnt 0x3
	v_pk_mul_f32 v[50:51], v[32:33], v[20:21] op_sel:[1,1] op_sel_hi:[0,1]
	v_mov_b32_e32 v52, v23
	s_delay_alu instid0(VALU_DEP_2) | instskip(NEXT) | instid1(VALU_DEP_2)
	v_pk_fma_f32 v[56:57], v[32:33], v[20:21], v[50:51] op_sel_hi:[1,0,1]
	v_pk_mul_f32 v[46:47], v[46:47], v[52:53] op_sel_hi:[1,0]
	v_pk_fma_f32 v[20:21], v[32:33], v[20:21], v[50:51] neg_lo:[0,0,1] neg_hi:[0,0,1]
	s_wait_loadcnt 0x2
	v_pk_mul_f32 v[52:53], v[36:37], v[24:25] op_sel:[1,1] op_sel_hi:[0,1]
	v_mov_b32_e32 v56, v27
	v_pk_fma_f32 v[32:33], v[34:35], v[22:23], v[46:47] op_sel_hi:[1,0,1]
	v_mov_b32_e32 v21, v57
	v_pk_fma_f32 v[22:23], v[34:35], v[22:23], v[46:47] neg_lo:[0,0,1] neg_hi:[0,0,1]
	v_pk_fma_f32 v[50:51], v[36:37], v[24:25], v[52:53] op_sel_hi:[1,0,1]
	v_pk_mul_f32 v[48:49], v[48:49], v[56:57] op_sel_hi:[1,0]
	v_mov_b32_e32 v23, v33
	v_pk_add_f32 v[20:21], v[20:21], 0 op_sel_hi:[1,0]
	v_pk_fma_f32 v[24:25], v[36:37], v[24:25], v[52:53] neg_lo:[0,0,1] neg_hi:[0,0,1]
	s_wait_loadcnt 0x1
	v_pk_mul_f32 v[32:33], v[40:41], v[28:29] op_sel:[1,1] op_sel_hi:[0,1]
	v_mov_b32_e32 v25, v51
	v_pk_fma_f32 v[34:35], v[38:39], v[26:27], v[48:49] op_sel_hi:[1,0,1]
	v_pk_add_f32 v[20:21], v[20:21], v[22:23]
	v_mov_b32_e32 v22, v31
	v_pk_fma_f32 v[26:27], v[38:39], v[26:27], v[48:49] neg_lo:[0,0,1] neg_hi:[0,0,1]
	v_pk_fma_f32 v[36:37], v[40:41], v[28:29], v[32:33] op_sel_hi:[1,0,1]
	v_mov_b32_e32 v27, v35
	v_pk_add_f32 v[20:21], v[20:21], v[24:25]
	v_pk_mul_f32 v[22:23], v[54:55], v[22:23] op_sel_hi:[1,0]
	v_pk_fma_f32 v[24:25], v[40:41], v[28:29], v[32:33] neg_lo:[0,0,1] neg_hi:[0,0,1]
	v_mov_b32_e32 v25, v37
	s_delay_alu instid0(VALU_DEP_4) | instskip(NEXT) | instid1(VALU_DEP_4)
	v_pk_add_f32 v[20:21], v[20:21], v[26:27]
	v_pk_fma_f32 v[26:27], v[42:43], v[30:31], v[22:23] op_sel_hi:[1,0,1]
	v_pk_fma_f32 v[22:23], v[42:43], v[30:31], v[22:23] neg_lo:[0,0,1] neg_hi:[0,0,1]
	s_delay_alu instid0(VALU_DEP_3) | instskip(NEXT) | instid1(VALU_DEP_3)
	v_pk_add_f32 v[20:21], v[20:21], v[24:25]
	v_mov_b32_e32 v23, v27
	s_delay_alu instid0(VALU_DEP_1) | instskip(SKIP_1) | instid1(VALU_DEP_1)
	v_pk_add_f32 v[20:21], v[20:21], v[22:23]
	s_wait_loadcnt 0x0
	v_pk_add_f32 v[20:21], v[44:45], v[20:21] neg_lo:[0,1] neg_hi:[0,1]
	scratch_store_b64 off, v[20:21], off offset:16
	s_wait_xcnt 0x0
	v_cmpx_lt_u32_e32 1, v0
	s_cbranch_execz .LBB8_65
; %bb.64:
	scratch_load_b64 v[20:21], off, off offset:8
	v_mov_b64_e32 v[22:23], 0
	scratch_store_b64 off, v[22:23], off offset:8
	s_wait_loadcnt 0x0
	ds_store_b64 v1, v[20:21]
.LBB8_65:
	s_wait_xcnt 0x0
	s_or_b32 exec_lo, exec_lo, s0
	s_wait_storecnt_dscnt 0x0
	s_barrier_signal -1
	s_barrier_wait -1
	s_clause 0x4
	scratch_load_b128 v[22:25], off, off offset:16
	scratch_load_b128 v[26:29], off, off offset:32
	;; [unrolled: 1-line block ×3, first 2 shown]
	scratch_load_b64 v[46:47], off, off offset:64
	scratch_load_b64 v[48:49], off, off offset:8
	v_mov_b32_e32 v20, 0
	ds_load_b128 v[34:37], v20 offset:96
	ds_load_b128 v[38:41], v20 offset:112
	;; [unrolled: 1-line block ×3, first 2 shown]
	ds_load_b64 v[50:51], v20 offset:144
	v_dual_ashrrev_i32 v9, 31, v8 :: v_dual_ashrrev_i32 v11, 31, v10
	v_dual_ashrrev_i32 v13, 31, v12 :: v_dual_ashrrev_i32 v15, 31, v14
	;; [unrolled: 1-line block ×3, first 2 shown]
	s_mov_b32 s0, exec_lo
	s_wait_dscnt 0x3
	v_dual_mov_b32 v52, v37 :: v_dual_ashrrev_i32 v7, 31, v6
	s_wait_dscnt 0x2
	v_dual_mov_b32 v53, v36 :: v_dual_mov_b32 v54, v41
	s_wait_dscnt 0x1
	v_dual_mov_b32 v55, v40 :: v_dual_mov_b32 v60, v45
	v_mov_b32_e32 v61, v44
	s_wait_loadcnt 0x4
	v_pk_mul_f32 v[56:57], v[34:35], v[22:23] op_sel:[1,1] op_sel_hi:[0,1]
	v_mov_b32_e32 v58, v25
	s_delay_alu instid0(VALU_DEP_2) | instskip(NEXT) | instid1(VALU_DEP_2)
	v_pk_fma_f32 v[62:63], v[34:35], v[22:23], v[56:57] op_sel_hi:[1,0,1]
	v_pk_mul_f32 v[52:53], v[52:53], v[58:59] op_sel_hi:[1,0]
	v_pk_fma_f32 v[22:23], v[34:35], v[22:23], v[56:57] neg_lo:[0,0,1] neg_hi:[0,0,1]
	s_wait_loadcnt 0x3
	v_pk_mul_f32 v[58:59], v[38:39], v[26:27] op_sel:[1,1] op_sel_hi:[0,1]
	v_dual_mov_b32 v62, v29 :: v_dual_mov_b32 v23, v63
	v_pk_fma_f32 v[34:35], v[36:37], v[24:25], v[52:53] neg_lo:[0,0,1] neg_hi:[0,0,1]
	v_pk_fma_f32 v[24:25], v[36:37], v[24:25], v[52:53] op_sel_hi:[1,0,1]
	s_delay_alu instid0(VALU_DEP_4) | instskip(NEXT) | instid1(VALU_DEP_4)
	v_pk_fma_f32 v[52:53], v[38:39], v[26:27], v[58:59] op_sel_hi:[1,0,1]
	v_pk_mul_f32 v[54:55], v[54:55], v[62:63] op_sel_hi:[1,0]
	v_pk_add_f32 v[22:23], v[22:23], 0 op_sel_hi:[1,0]
	v_pk_fma_f32 v[26:27], v[38:39], v[26:27], v[58:59] neg_lo:[0,0,1] neg_hi:[0,0,1]
	s_wait_loadcnt 0x2
	v_dual_mov_b32 v35, v25 :: v_dual_mov_b32 v24, v33
	v_pk_mul_f32 v[36:37], v[42:43], v[30:31] op_sel:[1,1] op_sel_hi:[0,1]
	v_pk_fma_f32 v[38:39], v[40:41], v[28:29], v[54:55] op_sel_hi:[1,0,1]
	v_mov_b32_e32 v27, v53
	s_delay_alu instid0(VALU_DEP_4)
	v_pk_add_f32 v[22:23], v[22:23], v[34:35]
	v_pk_fma_f32 v[28:29], v[40:41], v[28:29], v[54:55] neg_lo:[0,0,1] neg_hi:[0,0,1]
	v_pk_fma_f32 v[34:35], v[42:43], v[30:31], v[36:37] op_sel_hi:[1,0,1]
	v_pk_mul_f32 v[24:25], v[60:61], v[24:25] op_sel_hi:[1,0]
	v_mov_b32_e32 v29, v39
	v_pk_add_f32 v[22:23], v[22:23], v[26:27]
	v_pk_fma_f32 v[26:27], v[42:43], v[30:31], v[36:37] neg_lo:[0,0,1] neg_hi:[0,0,1]
	s_delay_alu instid0(VALU_DEP_4) | instskip(SKIP_1) | instid1(VALU_DEP_4)
	v_pk_fma_f32 v[30:31], v[44:45], v[32:33], v[24:25] op_sel_hi:[1,0,1]
	v_mov_b32_e32 v27, v35
	v_pk_add_f32 v[22:23], v[22:23], v[28:29]
	s_wait_loadcnt_dscnt 0x100
	v_pk_mul_f32 v[28:29], v[50:51], v[46:47] op_sel:[1,1] op_sel_hi:[0,1]
	v_pk_fma_f32 v[24:25], v[44:45], v[32:33], v[24:25] neg_lo:[0,0,1] neg_hi:[0,0,1]
	v_mov_b32_e32 v25, v31
	v_pk_add_f32 v[22:23], v[22:23], v[26:27]
	s_delay_alu instid0(VALU_DEP_4) | instskip(SKIP_1) | instid1(VALU_DEP_3)
	v_pk_fma_f32 v[26:27], v[50:51], v[46:47], v[28:29] op_sel_hi:[1,0,1]
	v_pk_fma_f32 v[28:29], v[50:51], v[46:47], v[28:29] neg_lo:[0,0,1] neg_hi:[0,0,1]
	v_pk_add_f32 v[22:23], v[22:23], v[24:25]
	s_delay_alu instid0(VALU_DEP_3) | instskip(NEXT) | instid1(VALU_DEP_1)
	v_mov_b32_e32 v29, v27
	v_pk_add_f32 v[22:23], v[22:23], v[28:29]
	s_wait_loadcnt 0x0
	s_delay_alu instid0(VALU_DEP_1)
	v_pk_add_f32 v[22:23], v[48:49], v[22:23] neg_lo:[0,1] neg_hi:[0,1]
	scratch_store_b64 off, v[22:23], off offset:8
	s_wait_xcnt 0x0
	v_cmpx_ne_u32_e32 0, v0
	s_cbranch_execz .LBB8_67
; %bb.66:
	scratch_load_b64 v[22:23], off, off
	v_mov_b64_e32 v[24:25], 0
	scratch_store_b64 off, v[24:25], off
	s_wait_loadcnt 0x0
	ds_store_b64 v1, v[22:23]
.LBB8_67:
	s_wait_xcnt 0x0
	s_or_b32 exec_lo, exec_lo, s0
	s_wait_storecnt_dscnt 0x0
	s_barrier_signal -1
	s_barrier_wait -1
	s_clause 0x3
	scratch_load_b128 v[22:25], off, off offset:8
	scratch_load_b128 v[26:29], off, off offset:24
	;; [unrolled: 1-line block ×4, first 2 shown]
	ds_load_2addr_b64 v[38:41], v20 offset0:11 offset1:12
	ds_load_2addr_b64 v[42:45], v20 offset0:13 offset1:14
	ds_load_2addr_b64 v[46:49], v20 offset0:15 offset1:16
	ds_load_2addr_b64 v[50:53], v20 offset0:17 offset1:18
	s_and_b32 vcc_lo, exec_lo, s18
	s_wait_loadcnt_dscnt 0x303
	v_pk_mul_f32 v[0:1], v[38:39], v[22:23] op_sel:[1,1] op_sel_hi:[0,1]
	s_delay_alu instid0(VALU_DEP_1) | instskip(SKIP_1) | instid1(VALU_DEP_1)
	v_pk_fma_f32 v[20:21], v[38:39], v[22:23], v[0:1] neg_lo:[0,0,1] neg_hi:[0,0,1]
	v_pk_fma_f32 v[0:1], v[38:39], v[22:23], v[0:1] op_sel_hi:[1,0,1]
	v_dual_mov_b32 v22, v25 :: v_dual_mov_b32 v21, v1
	s_delay_alu instid0(VALU_DEP_1) | instskip(SKIP_1) | instid1(VALU_DEP_1)
	v_pk_add_f32 v[0:1], v[20:21], 0 op_sel_hi:[1,0]
	v_dual_mov_b32 v20, v41 :: v_dual_mov_b32 v21, v40
	v_pk_mul_f32 v[20:21], v[20:21], v[22:23] op_sel_hi:[1,0]
	s_delay_alu instid0(VALU_DEP_1) | instskip(SKIP_1) | instid1(VALU_DEP_1)
	v_pk_fma_f32 v[22:23], v[40:41], v[24:25], v[20:21] neg_lo:[0,0,1] neg_hi:[0,0,1]
	v_pk_fma_f32 v[20:21], v[40:41], v[24:25], v[20:21] op_sel_hi:[1,0,1]
	v_mov_b32_e32 v23, v21
	s_wait_loadcnt_dscnt 0x202
	v_pk_mul_f32 v[20:21], v[42:43], v[26:27] op_sel:[1,1] op_sel_hi:[0,1]
	s_delay_alu instid0(VALU_DEP_2) | instskip(NEXT) | instid1(VALU_DEP_2)
	v_pk_add_f32 v[0:1], v[0:1], v[22:23]
	v_pk_fma_f32 v[22:23], v[42:43], v[26:27], v[20:21] neg_lo:[0,0,1] neg_hi:[0,0,1]
	v_pk_fma_f32 v[20:21], v[42:43], v[26:27], v[20:21] op_sel_hi:[1,0,1]
	s_delay_alu instid0(VALU_DEP_1) | instskip(SKIP_1) | instid1(VALU_DEP_2)
	v_dual_mov_b32 v20, v45 :: v_dual_mov_b32 v23, v21
	v_mov_b32_e32 v21, v44
	v_pk_add_f32 v[0:1], v[0:1], v[22:23]
	v_mov_b32_e32 v22, v29
	s_delay_alu instid0(VALU_DEP_1) | instskip(NEXT) | instid1(VALU_DEP_1)
	v_pk_mul_f32 v[20:21], v[20:21], v[22:23] op_sel_hi:[1,0]
	v_pk_fma_f32 v[22:23], v[44:45], v[28:29], v[20:21] neg_lo:[0,0,1] neg_hi:[0,0,1]
	v_pk_fma_f32 v[20:21], v[44:45], v[28:29], v[20:21] op_sel_hi:[1,0,1]
	s_delay_alu instid0(VALU_DEP_1) | instskip(SKIP_2) | instid1(VALU_DEP_2)
	v_mov_b32_e32 v23, v21
	s_wait_loadcnt_dscnt 0x101
	v_pk_mul_f32 v[20:21], v[46:47], v[30:31] op_sel:[1,1] op_sel_hi:[0,1]
	v_pk_add_f32 v[0:1], v[0:1], v[22:23]
	s_delay_alu instid0(VALU_DEP_2) | instskip(SKIP_1) | instid1(VALU_DEP_1)
	v_pk_fma_f32 v[22:23], v[46:47], v[30:31], v[20:21] neg_lo:[0,0,1] neg_hi:[0,0,1]
	v_pk_fma_f32 v[20:21], v[46:47], v[30:31], v[20:21] op_sel_hi:[1,0,1]
	v_dual_mov_b32 v20, v49 :: v_dual_mov_b32 v23, v21
	v_mov_b32_e32 v21, v48
	s_delay_alu instid0(VALU_DEP_2) | instskip(SKIP_1) | instid1(VALU_DEP_1)
	v_pk_add_f32 v[0:1], v[0:1], v[22:23]
	v_mov_b32_e32 v22, v33
	v_pk_mul_f32 v[20:21], v[20:21], v[22:23] op_sel_hi:[1,0]
	s_delay_alu instid0(VALU_DEP_1) | instskip(SKIP_1) | instid1(VALU_DEP_1)
	v_pk_fma_f32 v[22:23], v[48:49], v[32:33], v[20:21] neg_lo:[0,0,1] neg_hi:[0,0,1]
	v_pk_fma_f32 v[20:21], v[48:49], v[32:33], v[20:21] op_sel_hi:[1,0,1]
	v_mov_b32_e32 v23, v21
	s_wait_loadcnt_dscnt 0x0
	v_pk_mul_f32 v[20:21], v[50:51], v[34:35] op_sel:[1,1] op_sel_hi:[0,1]
	s_delay_alu instid0(VALU_DEP_2) | instskip(NEXT) | instid1(VALU_DEP_2)
	v_pk_add_f32 v[0:1], v[0:1], v[22:23]
	v_pk_fma_f32 v[22:23], v[50:51], v[34:35], v[20:21] neg_lo:[0,0,1] neg_hi:[0,0,1]
	v_pk_fma_f32 v[20:21], v[50:51], v[34:35], v[20:21] op_sel_hi:[1,0,1]
	s_delay_alu instid0(VALU_DEP_1) | instskip(SKIP_1) | instid1(VALU_DEP_2)
	v_dual_mov_b32 v20, v53 :: v_dual_mov_b32 v23, v21
	v_mov_b32_e32 v21, v52
	v_pk_add_f32 v[0:1], v[0:1], v[22:23]
	v_mov_b32_e32 v22, v37
	s_delay_alu instid0(VALU_DEP_1) | instskip(NEXT) | instid1(VALU_DEP_1)
	v_pk_mul_f32 v[20:21], v[20:21], v[22:23] op_sel_hi:[1,0]
	v_pk_fma_f32 v[22:23], v[52:53], v[36:37], v[20:21] neg_lo:[0,0,1] neg_hi:[0,0,1]
	v_pk_fma_f32 v[20:21], v[52:53], v[36:37], v[20:21] op_sel_hi:[1,0,1]
	s_delay_alu instid0(VALU_DEP_1) | instskip(SKIP_3) | instid1(VALU_DEP_1)
	v_mov_b32_e32 v23, v21
	scratch_load_b64 v[20:21], off, off
	v_pk_add_f32 v[0:1], v[0:1], v[22:23]
	s_wait_loadcnt 0x0
	v_pk_add_f32 v[0:1], v[20:21], v[0:1] neg_lo:[0,1] neg_hi:[0,1]
	scratch_store_b64 off, v[0:1], off
	s_cbranch_vccz .LBB8_84
; %bb.68:
	s_wait_xcnt 0x0
	v_mov_b32_e32 v0, 0
	global_load_b32 v1, v0, s[2:3] offset:28
	s_wait_loadcnt 0x0
	v_cmp_ne_u32_e32 vcc_lo, 8, v1
	s_cbranch_vccz .LBB8_70
; %bb.69:
	v_lshlrev_b32_e32 v1, 3, v1
	scratch_load_b64 v[20:21], v1, off offset:-8
	scratch_load_b64 v[22:23], off, off offset:56
	s_wait_loadcnt 0x1
	scratch_store_b64 off, v[20:21], off offset:56
	s_wait_loadcnt 0x0
	scratch_store_b64 v1, v[22:23], off offset:-8
.LBB8_70:
	global_load_b32 v0, v0, s[2:3] offset:24
	s_wait_loadcnt 0x0
	v_cmp_eq_u32_e32 vcc_lo, 7, v0
	s_cbranch_vccnz .LBB8_72
; %bb.71:
	s_wait_xcnt 0x0
	v_lshlrev_b32_e32 v0, 3, v0
	s_delay_alu instid0(VALU_DEP_1)
	v_mov_b32_e32 v22, v0
	scratch_load_b64 v[0:1], v22, off offset:-8
	scratch_load_b64 v[20:21], off, off offset:48
	s_wait_loadcnt 0x1
	scratch_store_b64 off, v[0:1], off offset:48
	s_wait_loadcnt 0x0
	scratch_store_b64 v22, v[20:21], off offset:-8
.LBB8_72:
	s_wait_xcnt 0x0
	v_mov_b32_e32 v0, 0
	global_load_b32 v1, v0, s[2:3] offset:20
	s_wait_loadcnt 0x0
	v_cmp_eq_u32_e32 vcc_lo, 6, v1
	s_cbranch_vccnz .LBB8_74
; %bb.73:
	v_lshlrev_b32_e32 v1, 3, v1
	scratch_load_b64 v[20:21], v1, off offset:-8
	scratch_load_b64 v[22:23], off, off offset:40
	s_wait_loadcnt 0x1
	scratch_store_b64 off, v[20:21], off offset:40
	s_wait_loadcnt 0x0
	scratch_store_b64 v1, v[22:23], off offset:-8
.LBB8_74:
	global_load_b32 v0, v0, s[2:3] offset:16
	s_wait_loadcnt 0x0
	v_cmp_eq_u32_e32 vcc_lo, 5, v0
	s_cbranch_vccnz .LBB8_76
; %bb.75:
	s_wait_xcnt 0x0
	v_lshlrev_b32_e32 v0, 3, v0
	s_delay_alu instid0(VALU_DEP_1)
	v_mov_b32_e32 v22, v0
	scratch_load_b64 v[0:1], v22, off offset:-8
	scratch_load_b64 v[20:21], off, off offset:32
	s_wait_loadcnt 0x1
	scratch_store_b64 off, v[0:1], off offset:32
	s_wait_loadcnt 0x0
	scratch_store_b64 v22, v[20:21], off offset:-8
.LBB8_76:
	s_wait_xcnt 0x0
	v_mov_b32_e32 v0, 0
	global_load_b32 v1, v0, s[2:3] offset:12
	s_wait_loadcnt 0x0
	v_cmp_eq_u32_e32 vcc_lo, 4, v1
	s_cbranch_vccnz .LBB8_78
; %bb.77:
	v_lshlrev_b32_e32 v1, 3, v1
	scratch_load_b64 v[20:21], v1, off offset:-8
	scratch_load_b64 v[22:23], off, off offset:24
	s_wait_loadcnt 0x1
	scratch_store_b64 off, v[20:21], off offset:24
	s_wait_loadcnt 0x0
	scratch_store_b64 v1, v[22:23], off offset:-8
.LBB8_78:
	;; [unrolled: 31-line block ×3, first 2 shown]
	global_load_b32 v20, v0, s[2:3]
	scratch_load_b64 v[0:1], off, off
	s_wait_loadcnt 0x1
	v_cmp_eq_u32_e32 vcc_lo, 1, v20
	s_cbranch_vccnz .LBB8_84
; %bb.83:
	v_lshlrev_b32_e32 v20, 3, v20
	s_delay_alu instid0(VALU_DEP_1)
	v_mov_b32_e32 v22, v20
	scratch_load_b64 v[20:21], v22, off offset:-8
	s_wait_loadcnt 0x0
	scratch_store_b64 off, v[20:21], off
	scratch_store_b64 v22, v[0:1], off offset:-8
	scratch_load_b64 v[0:1], off, off
.LBB8_84:
	v_lshl_add_u64 v[20:21], v[6:7], 3, s[4:5]
	v_lshl_add_u64 v[22:23], v[8:9], 3, s[4:5]
	v_lshl_add_u64 v[6:7], v[16:17], 3, s[4:5]
	v_lshl_add_u64 v[8:9], v[18:19], 3, s[4:5]
	s_clause 0x3
	scratch_load_b128 v[16:19], off, off offset:8
	scratch_load_b128 v[24:27], off, off offset:24
	;; [unrolled: 1-line block ×4, first 2 shown]
	v_lshl_add_u64 v[10:11], v[10:11], 3, s[4:5]
	v_lshl_add_u64 v[12:13], v[12:13], 3, s[4:5]
	;; [unrolled: 1-line block ×3, first 2 shown]
	s_wait_loadcnt 0x4
	global_store_b64 v[2:3], v[0:1], off
	s_wait_loadcnt 0x3
	s_clause 0x1
	global_store_b64 v[4:5], v[16:17], off
	global_store_b64 v[20:21], v[18:19], off
	s_wait_loadcnt 0x2
	s_clause 0x1
	global_store_b64 v[22:23], v[24:25], off
	;; [unrolled: 4-line block ×4, first 2 shown]
	global_store_b64 v[8:9], v[34:35], off
	s_endpgm
	.section	.rodata,"a",@progbits
	.p2align	6, 0x0
	.amdhsa_kernel _ZN9rocsolver6v33100L18getri_kernel_smallILi9E19rocblas_complex_numIfEPS3_EEvT1_iilPiilS6_bb
		.amdhsa_group_segment_fixed_size 152
		.amdhsa_private_segment_fixed_size 80
		.amdhsa_kernarg_size 60
		.amdhsa_user_sgpr_count 2
		.amdhsa_user_sgpr_dispatch_ptr 0
		.amdhsa_user_sgpr_queue_ptr 0
		.amdhsa_user_sgpr_kernarg_segment_ptr 1
		.amdhsa_user_sgpr_dispatch_id 0
		.amdhsa_user_sgpr_kernarg_preload_length 0
		.amdhsa_user_sgpr_kernarg_preload_offset 0
		.amdhsa_user_sgpr_private_segment_size 0
		.amdhsa_wavefront_size32 1
		.amdhsa_uses_dynamic_stack 0
		.amdhsa_enable_private_segment 1
		.amdhsa_system_sgpr_workgroup_id_x 1
		.amdhsa_system_sgpr_workgroup_id_y 0
		.amdhsa_system_sgpr_workgroup_id_z 0
		.amdhsa_system_sgpr_workgroup_info 0
		.amdhsa_system_vgpr_workitem_id 0
		.amdhsa_next_free_vgpr 64
		.amdhsa_next_free_sgpr 19
		.amdhsa_named_barrier_count 0
		.amdhsa_reserve_vcc 1
		.amdhsa_float_round_mode_32 0
		.amdhsa_float_round_mode_16_64 0
		.amdhsa_float_denorm_mode_32 3
		.amdhsa_float_denorm_mode_16_64 3
		.amdhsa_fp16_overflow 0
		.amdhsa_memory_ordered 1
		.amdhsa_forward_progress 1
		.amdhsa_inst_pref_size 60
		.amdhsa_round_robin_scheduling 0
		.amdhsa_exception_fp_ieee_invalid_op 0
		.amdhsa_exception_fp_denorm_src 0
		.amdhsa_exception_fp_ieee_div_zero 0
		.amdhsa_exception_fp_ieee_overflow 0
		.amdhsa_exception_fp_ieee_underflow 0
		.amdhsa_exception_fp_ieee_inexact 0
		.amdhsa_exception_int_div_zero 0
	.end_amdhsa_kernel
	.section	.text._ZN9rocsolver6v33100L18getri_kernel_smallILi9E19rocblas_complex_numIfEPS3_EEvT1_iilPiilS6_bb,"axG",@progbits,_ZN9rocsolver6v33100L18getri_kernel_smallILi9E19rocblas_complex_numIfEPS3_EEvT1_iilPiilS6_bb,comdat
.Lfunc_end8:
	.size	_ZN9rocsolver6v33100L18getri_kernel_smallILi9E19rocblas_complex_numIfEPS3_EEvT1_iilPiilS6_bb, .Lfunc_end8-_ZN9rocsolver6v33100L18getri_kernel_smallILi9E19rocblas_complex_numIfEPS3_EEvT1_iilPiilS6_bb
                                        ; -- End function
	.set _ZN9rocsolver6v33100L18getri_kernel_smallILi9E19rocblas_complex_numIfEPS3_EEvT1_iilPiilS6_bb.num_vgpr, 64
	.set _ZN9rocsolver6v33100L18getri_kernel_smallILi9E19rocblas_complex_numIfEPS3_EEvT1_iilPiilS6_bb.num_agpr, 0
	.set _ZN9rocsolver6v33100L18getri_kernel_smallILi9E19rocblas_complex_numIfEPS3_EEvT1_iilPiilS6_bb.numbered_sgpr, 19
	.set _ZN9rocsolver6v33100L18getri_kernel_smallILi9E19rocblas_complex_numIfEPS3_EEvT1_iilPiilS6_bb.num_named_barrier, 0
	.set _ZN9rocsolver6v33100L18getri_kernel_smallILi9E19rocblas_complex_numIfEPS3_EEvT1_iilPiilS6_bb.private_seg_size, 80
	.set _ZN9rocsolver6v33100L18getri_kernel_smallILi9E19rocblas_complex_numIfEPS3_EEvT1_iilPiilS6_bb.uses_vcc, 1
	.set _ZN9rocsolver6v33100L18getri_kernel_smallILi9E19rocblas_complex_numIfEPS3_EEvT1_iilPiilS6_bb.uses_flat_scratch, 1
	.set _ZN9rocsolver6v33100L18getri_kernel_smallILi9E19rocblas_complex_numIfEPS3_EEvT1_iilPiilS6_bb.has_dyn_sized_stack, 0
	.set _ZN9rocsolver6v33100L18getri_kernel_smallILi9E19rocblas_complex_numIfEPS3_EEvT1_iilPiilS6_bb.has_recursion, 0
	.set _ZN9rocsolver6v33100L18getri_kernel_smallILi9E19rocblas_complex_numIfEPS3_EEvT1_iilPiilS6_bb.has_indirect_call, 0
	.section	.AMDGPU.csdata,"",@progbits
; Kernel info:
; codeLenInByte = 7672
; TotalNumSgprs: 21
; NumVgprs: 64
; ScratchSize: 80
; MemoryBound: 0
; FloatMode: 240
; IeeeMode: 1
; LDSByteSize: 152 bytes/workgroup (compile time only)
; SGPRBlocks: 0
; VGPRBlocks: 3
; NumSGPRsForWavesPerEU: 21
; NumVGPRsForWavesPerEU: 64
; NamedBarCnt: 0
; Occupancy: 16
; WaveLimiterHint : 0
; COMPUTE_PGM_RSRC2:SCRATCH_EN: 1
; COMPUTE_PGM_RSRC2:USER_SGPR: 2
; COMPUTE_PGM_RSRC2:TRAP_HANDLER: 0
; COMPUTE_PGM_RSRC2:TGID_X_EN: 1
; COMPUTE_PGM_RSRC2:TGID_Y_EN: 0
; COMPUTE_PGM_RSRC2:TGID_Z_EN: 0
; COMPUTE_PGM_RSRC2:TIDIG_COMP_CNT: 0
	.section	.text._ZN9rocsolver6v33100L18getri_kernel_smallILi10E19rocblas_complex_numIfEPS3_EEvT1_iilPiilS6_bb,"axG",@progbits,_ZN9rocsolver6v33100L18getri_kernel_smallILi10E19rocblas_complex_numIfEPS3_EEvT1_iilPiilS6_bb,comdat
	.globl	_ZN9rocsolver6v33100L18getri_kernel_smallILi10E19rocblas_complex_numIfEPS3_EEvT1_iilPiilS6_bb ; -- Begin function _ZN9rocsolver6v33100L18getri_kernel_smallILi10E19rocblas_complex_numIfEPS3_EEvT1_iilPiilS6_bb
	.p2align	8
	.type	_ZN9rocsolver6v33100L18getri_kernel_smallILi10E19rocblas_complex_numIfEPS3_EEvT1_iilPiilS6_bb,@function
_ZN9rocsolver6v33100L18getri_kernel_smallILi10E19rocblas_complex_numIfEPS3_EEvT1_iilPiilS6_bb: ; @_ZN9rocsolver6v33100L18getri_kernel_smallILi10E19rocblas_complex_numIfEPS3_EEvT1_iilPiilS6_bb
; %bb.0:
	s_mov_b32 s2, exec_lo
	v_cmpx_gt_u32_e32 10, v0
	s_cbranch_execz .LBB9_54
; %bb.1:
	s_clause 0x2
	s_load_b32 s2, s[0:1], 0x38
	s_load_b128 s[12:15], s[0:1], 0x10
	s_load_b128 s[4:7], s[0:1], 0x28
	s_getreg_b32 s9, hwreg(HW_REG_IB_STS2, 6, 4)
	s_wait_kmcnt 0x0
	s_bitcmp1_b32 s2, 8
	s_cselect_b32 s18, -1, 0
	s_bfe_u32 s3, ttmp6, 0x4000c
	s_and_b32 s8, ttmp6, 15
	s_add_co_i32 s3, s3, 1
	s_delay_alu instid0(SALU_CYCLE_1) | instskip(NEXT) | instid1(SALU_CYCLE_1)
	s_mul_i32 s3, ttmp9, s3
	s_add_co_i32 s8, s8, s3
	s_cmp_eq_u32 s9, 0
	s_cselect_b32 s16, ttmp9, s8
	s_bfe_u32 s2, s2, 0x10008
	s_ashr_i32 s17, s16, 31
	s_cmp_eq_u32 s2, 0
                                        ; implicit-def: $sgpr2_sgpr3
	s_cbranch_scc1 .LBB9_3
; %bb.2:
	s_load_b32 s2, s[0:1], 0x20
	s_mul_u64 s[4:5], s[4:5], s[16:17]
	s_delay_alu instid0(SALU_CYCLE_1) | instskip(NEXT) | instid1(SALU_CYCLE_1)
	s_lshl_b64 s[4:5], s[4:5], 2
	s_add_nc_u64 s[4:5], s[14:15], s[4:5]
	s_wait_kmcnt 0x0
	s_ashr_i32 s3, s2, 31
	s_delay_alu instid0(SALU_CYCLE_1) | instskip(NEXT) | instid1(SALU_CYCLE_1)
	s_lshl_b64 s[2:3], s[2:3], 2
	s_add_nc_u64 s[2:3], s[4:5], s[2:3]
.LBB9_3:
	s_clause 0x1
	s_load_b128 s[8:11], s[0:1], 0x0
	s_load_b32 s14, s[0:1], 0x38
	s_mul_u64 s[4:5], s[12:13], s[16:17]
	v_lshlrev_b32_e32 v22, 3, v0
	s_lshl_b64 s[4:5], s[4:5], 3
	v_mov_b32_e32 v23, 0
	s_wait_kmcnt 0x0
	v_add3_u32 v6, s11, s11, v0
	s_ashr_i32 s1, s10, 31
	s_mov_b32 s0, s10
	s_add_nc_u64 s[4:5], s[8:9], s[4:5]
	s_lshl_b64 s[0:1], s[0:1], 3
	v_add_nc_u32_e32 v8, s11, v6
	s_add_nc_u64 s[4:5], s[4:5], s[0:1]
	s_ashr_i32 s1, s11, 31
	s_mov_b32 s0, s11
	s_bitcmp0_b32 s14, 0
	v_add_nc_u32_e32 v10, s11, v8
	v_add_nc_u64_e32 v[2:3], s[4:5], v[22:23]
	s_delay_alu instid0(VALU_DEP_2) | instskip(NEXT) | instid1(VALU_DEP_2)
	v_add_nc_u32_e32 v12, s11, v10
	v_lshl_add_u64 v[4:5], s[0:1], 3, v[2:3]
	s_mov_b32 s1, -1
	s_delay_alu instid0(VALU_DEP_2) | instskip(SKIP_4) | instid1(VALU_DEP_1)
	v_add_nc_u32_e32 v14, s11, v12
	s_clause 0x1
	global_load_b64 v[24:25], v0, s[4:5] scale_offset
	global_load_b64 v[26:27], v[4:5], off
	v_add_nc_u32_e32 v16, s11, v14
	v_add_nc_u32_e32 v18, s11, v16
	s_clause 0x3
	global_load_b64 v[28:29], v6, s[4:5] scale_offset
	global_load_b64 v[30:31], v8, s[4:5] scale_offset
	global_load_b64 v[32:33], v10, s[4:5] scale_offset
	global_load_b64 v[34:35], v12, s[4:5] scale_offset
	v_add_nc_u32_e32 v20, s11, v18
	s_clause 0x3
	global_load_b64 v[36:37], v14, s[4:5] scale_offset
	global_load_b64 v[38:39], v16, s[4:5] scale_offset
	;; [unrolled: 1-line block ×4, first 2 shown]
	s_wait_loadcnt 0x8
	scratch_store_b128 off, v[24:27], off
	s_wait_loadcnt 0x6
	scratch_store_b128 off, v[28:31], off offset:16
	s_wait_loadcnt 0x4
	scratch_store_b128 off, v[32:35], off offset:32
	;; [unrolled: 2-line block ×4, first 2 shown]
	s_cbranch_scc1 .LBB9_52
; %bb.4:
	v_cmp_eq_u32_e64 s0, 0, v0
	s_wait_xcnt 0x0
	s_and_saveexec_b32 s1, s0
; %bb.5:
	v_mov_b32_e32 v1, 0
	ds_store_b32 v1, v1 offset:160
; %bb.6:
	s_or_b32 exec_lo, exec_lo, s1
	s_wait_storecnt_dscnt 0x0
	s_barrier_signal -1
	s_barrier_wait -1
	scratch_load_b64 v[24:25], v0, off scale_offset
	s_wait_loadcnt 0x0
	v_cmp_eq_f32_e32 vcc_lo, 0, v24
	v_cmp_eq_f32_e64 s1, 0, v25
	s_and_b32 s1, vcc_lo, s1
	s_delay_alu instid0(SALU_CYCLE_1)
	s_and_saveexec_b32 s8, s1
	s_cbranch_execz .LBB9_10
; %bb.7:
	v_mov_b32_e32 v1, 0
	s_mov_b32 s9, 0
	ds_load_b32 v7, v1 offset:160
	s_wait_dscnt 0x0
	v_readfirstlane_b32 s1, v7
	v_add_nc_u32_e32 v7, 1, v0
	s_cmp_eq_u32 s1, 0
	s_delay_alu instid0(VALU_DEP_1) | instskip(SKIP_1) | instid1(SALU_CYCLE_1)
	v_cmp_gt_i32_e32 vcc_lo, s1, v7
	s_cselect_b32 s10, -1, 0
	s_or_b32 s10, s10, vcc_lo
	s_delay_alu instid0(SALU_CYCLE_1)
	s_and_b32 exec_lo, exec_lo, s10
	s_cbranch_execz .LBB9_10
; %bb.8:
	v_mov_b32_e32 v9, s1
.LBB9_9:                                ; =>This Inner Loop Header: Depth=1
	ds_cmpstore_rtn_b32 v9, v1, v7, v9 offset:160
	s_wait_dscnt 0x0
	v_cmp_ne_u32_e32 vcc_lo, 0, v9
	v_cmp_le_i32_e64 s1, v9, v7
	s_and_b32 s1, vcc_lo, s1
	s_delay_alu instid0(SALU_CYCLE_1) | instskip(NEXT) | instid1(SALU_CYCLE_1)
	s_and_b32 s1, exec_lo, s1
	s_or_b32 s9, s1, s9
	s_delay_alu instid0(SALU_CYCLE_1)
	s_and_not1_b32 exec_lo, exec_lo, s9
	s_cbranch_execnz .LBB9_9
.LBB9_10:
	s_or_b32 exec_lo, exec_lo, s8
	v_mov_b32_e32 v1, 0
	s_barrier_signal -1
	s_barrier_wait -1
	ds_load_b32 v7, v1 offset:160
	s_and_saveexec_b32 s1, s0
	s_cbranch_execz .LBB9_12
; %bb.11:
	s_lshl_b64 s[8:9], s[16:17], 2
	s_delay_alu instid0(SALU_CYCLE_1)
	s_add_nc_u64 s[8:9], s[6:7], s[8:9]
	s_wait_dscnt 0x0
	global_store_b32 v1, v7, s[8:9]
.LBB9_12:
	s_wait_xcnt 0x0
	s_or_b32 exec_lo, exec_lo, s1
	s_wait_dscnt 0x0
	v_cmp_ne_u32_e32 vcc_lo, 0, v7
	s_mov_b32 s1, 0
	s_cbranch_vccnz .LBB9_52
; %bb.13:
	v_lshl_add_u32 v7, v0, 3, 0
                                        ; implicit-def: $vgpr27
                                        ; implicit-def: $vgpr28
	scratch_load_b64 v[24:25], v7, off
	s_wait_loadcnt 0x0
	v_cmp_ngt_f32_e64 s1, |v24|, |v25|
	s_wait_xcnt 0x0
	s_and_saveexec_b32 s8, s1
	s_delay_alu instid0(SALU_CYCLE_1)
	s_xor_b32 s1, exec_lo, s8
	s_cbranch_execz .LBB9_15
; %bb.14:
	v_div_scale_f32 v1, null, v25, v25, v24
	v_div_scale_f32 v13, vcc_lo, v24, v25, v24
	s_delay_alu instid0(VALU_DEP_2) | instskip(SKIP_1) | instid1(TRANS32_DEP_1)
	v_rcp_f32_e32 v9, v1
	v_nop
	v_fma_f32 v11, -v1, v9, 1.0
	s_delay_alu instid0(VALU_DEP_1) | instskip(NEXT) | instid1(VALU_DEP_1)
	v_fmac_f32_e32 v9, v11, v9
	v_mul_f32_e32 v11, v13, v9
	s_delay_alu instid0(VALU_DEP_1) | instskip(NEXT) | instid1(VALU_DEP_1)
	v_fma_f32 v15, -v1, v11, v13
	v_fmac_f32_e32 v11, v15, v9
	s_delay_alu instid0(VALU_DEP_1) | instskip(NEXT) | instid1(VALU_DEP_1)
	v_fma_f32 v1, -v1, v11, v13
	v_div_fmas_f32 v1, v1, v9, v11
	s_delay_alu instid0(VALU_DEP_1) | instskip(NEXT) | instid1(VALU_DEP_1)
	v_div_fixup_f32 v1, v1, v25, v24
	v_fmac_f32_e32 v25, v24, v1
	s_delay_alu instid0(VALU_DEP_1) | instskip(NEXT) | instid1(VALU_DEP_1)
	v_div_scale_f32 v9, null, v25, v25, -1.0
	v_rcp_f32_e32 v11, v9
	v_nop
	s_delay_alu instid0(TRANS32_DEP_1) | instskip(NEXT) | instid1(VALU_DEP_1)
	v_fma_f32 v13, -v9, v11, 1.0
	v_fmac_f32_e32 v11, v13, v11
	v_div_scale_f32 v13, vcc_lo, -1.0, v25, -1.0
	s_delay_alu instid0(VALU_DEP_1) | instskip(NEXT) | instid1(VALU_DEP_1)
	v_mul_f32_e32 v15, v13, v11
	v_fma_f32 v17, -v9, v15, v13
	s_delay_alu instid0(VALU_DEP_1) | instskip(NEXT) | instid1(VALU_DEP_1)
	v_fmac_f32_e32 v15, v17, v11
	v_fma_f32 v9, -v9, v15, v13
	s_delay_alu instid0(VALU_DEP_1) | instskip(NEXT) | instid1(VALU_DEP_1)
	v_div_fmas_f32 v9, v9, v11, v15
	v_div_fixup_f32 v27, v9, v25, -1.0
                                        ; implicit-def: $vgpr24_vgpr25
	s_delay_alu instid0(VALU_DEP_1) | instskip(NEXT) | instid1(VALU_DEP_1)
	v_mul_f32_e32 v28, v1, v27
	v_xor_b32_e32 v26, 0x80000000, v28
.LBB9_15:
	s_and_not1_saveexec_b32 s1, s1
	s_cbranch_execz .LBB9_17
; %bb.16:
	v_div_scale_f32 v1, null, v24, v24, v25
	v_div_scale_f32 v13, vcc_lo, v25, v24, v25
	s_delay_alu instid0(VALU_DEP_2) | instskip(SKIP_1) | instid1(TRANS32_DEP_1)
	v_rcp_f32_e32 v9, v1
	v_nop
	v_fma_f32 v11, -v1, v9, 1.0
	s_delay_alu instid0(VALU_DEP_1) | instskip(NEXT) | instid1(VALU_DEP_1)
	v_fmac_f32_e32 v9, v11, v9
	v_mul_f32_e32 v11, v13, v9
	s_delay_alu instid0(VALU_DEP_1) | instskip(NEXT) | instid1(VALU_DEP_1)
	v_fma_f32 v15, -v1, v11, v13
	v_fmac_f32_e32 v11, v15, v9
	s_delay_alu instid0(VALU_DEP_1) | instskip(NEXT) | instid1(VALU_DEP_1)
	v_fma_f32 v1, -v1, v11, v13
	v_div_fmas_f32 v1, v1, v9, v11
	s_delay_alu instid0(VALU_DEP_1) | instskip(NEXT) | instid1(VALU_DEP_1)
	v_div_fixup_f32 v1, v1, v24, v25
	v_fmac_f32_e32 v24, v25, v1
	s_delay_alu instid0(VALU_DEP_1) | instskip(SKIP_1) | instid1(VALU_DEP_2)
	v_div_scale_f32 v9, null, v24, v24, 1.0
	v_div_scale_f32 v15, vcc_lo, 1.0, v24, 1.0
	v_rcp_f32_e32 v11, v9
	v_nop
	s_delay_alu instid0(TRANS32_DEP_1) | instskip(NEXT) | instid1(VALU_DEP_1)
	v_fma_f32 v13, -v9, v11, 1.0
	v_fmac_f32_e32 v11, v13, v11
	s_delay_alu instid0(VALU_DEP_1) | instskip(NEXT) | instid1(VALU_DEP_1)
	v_mul_f32_e32 v13, v15, v11
	v_fma_f32 v17, -v9, v13, v15
	s_delay_alu instid0(VALU_DEP_1) | instskip(NEXT) | instid1(VALU_DEP_1)
	v_fmac_f32_e32 v13, v17, v11
	v_fma_f32 v9, -v9, v13, v15
	s_delay_alu instid0(VALU_DEP_1) | instskip(NEXT) | instid1(VALU_DEP_1)
	v_div_fmas_f32 v9, v9, v11, v13
	v_div_fixup_f32 v26, v9, v24, 1.0
	s_delay_alu instid0(VALU_DEP_1)
	v_xor_b32_e32 v28, 0x80000000, v26
	v_mul_f32_e64 v27, v1, -v26
.LBB9_17:
	s_or_b32 exec_lo, exec_lo, s1
	scratch_store_b64 v7, v[26:27], off
	scratch_load_b64 v[24:25], off, off offset:8
	v_xor_b32_e32 v29, 0x80000000, v27
	v_add_nc_u32_e32 v1, 0x50, v22
	s_wait_loadcnt 0x0
	ds_store_2addr_b64 v22, v[28:29], v[24:25] offset1:10
	s_wait_storecnt_dscnt 0x0
	s_barrier_signal -1
	s_barrier_wait -1
	s_wait_xcnt 0x0
	s_and_saveexec_b32 s1, s0
	s_cbranch_execz .LBB9_19
; %bb.18:
	scratch_load_b64 v[24:25], v7, off
	ds_load_b64 v[26:27], v1
	s_wait_loadcnt_dscnt 0x0
	v_pk_mul_f32 v[30:31], v[26:27], v[24:25] op_sel:[1,1] op_sel_hi:[0,1]
	s_delay_alu instid0(VALU_DEP_1) | instskip(SKIP_2) | instid1(VALU_DEP_3)
	v_pk_fma_f32 v[32:33], v[26:27], v[24:25], v[30:31] op_sel_hi:[1,0,1]
	v_mov_b32_e32 v9, 0
	v_pk_fma_f32 v[24:25], v[26:27], v[24:25], v[30:31] neg_lo:[0,0,1] neg_hi:[0,0,1]
	v_mov_b32_e32 v25, v33
	ds_load_b64 v[28:29], v9 offset:8
	v_pk_add_f32 v[24:25], v[24:25], 0 op_sel_hi:[1,0]
	s_wait_dscnt 0x0
	s_delay_alu instid0(VALU_DEP_1) | instskip(NEXT) | instid1(VALU_DEP_1)
	v_pk_mul_f32 v[26:27], v[24:25], v[28:29] op_sel:[1,1] op_sel_hi:[0,1]
	v_pk_fma_f32 v[30:31], v[24:25], v[28:29], v[26:27] op_sel_hi:[1,0,1]
	v_pk_fma_f32 v[24:25], v[24:25], v[28:29], v[26:27] neg_lo:[0,0,1] neg_hi:[0,0,1]
	s_delay_alu instid0(VALU_DEP_2)
	v_mov_b32_e32 v25, v31
	scratch_store_b64 off, v[24:25], off offset:8
.LBB9_19:
	s_wait_xcnt 0x0
	s_or_b32 exec_lo, exec_lo, s1
	s_wait_storecnt 0x0
	s_barrier_signal -1
	s_barrier_wait -1
	scratch_load_b64 v[24:25], off, off offset:16
	s_mov_b32 s1, exec_lo
	s_wait_loadcnt 0x0
	ds_store_b64 v1, v[24:25]
	s_wait_dscnt 0x0
	s_barrier_signal -1
	s_barrier_wait -1
	v_cmpx_gt_u32_e32 2, v0
	s_cbranch_execz .LBB9_23
; %bb.20:
	scratch_load_b64 v[24:25], v7, off
	ds_load_b64 v[26:27], v1
	s_wait_loadcnt_dscnt 0x0
	v_pk_mul_f32 v[28:29], v[26:27], v[24:25] op_sel:[1,1] op_sel_hi:[0,1]
	s_delay_alu instid0(VALU_DEP_1) | instskip(SKIP_1) | instid1(VALU_DEP_2)
	v_pk_fma_f32 v[30:31], v[26:27], v[24:25], v[28:29] op_sel_hi:[1,0,1]
	v_pk_fma_f32 v[24:25], v[26:27], v[24:25], v[28:29] neg_lo:[0,0,1] neg_hi:[0,0,1]
	v_mov_b32_e32 v25, v31
	s_delay_alu instid0(VALU_DEP_1)
	v_pk_add_f32 v[24:25], v[24:25], 0 op_sel_hi:[1,0]
	s_and_saveexec_b32 s8, s0
	s_cbranch_execz .LBB9_22
; %bb.21:
	scratch_load_b64 v[26:27], off, off offset:8
	v_mov_b32_e32 v7, 0
	ds_load_b64 v[28:29], v7 offset:88
	s_wait_loadcnt_dscnt 0x0
	v_pk_mul_f32 v[30:31], v[28:29], v[26:27] op_sel:[1,1] op_sel_hi:[0,1]
	s_delay_alu instid0(VALU_DEP_1) | instskip(SKIP_1) | instid1(VALU_DEP_2)
	v_pk_fma_f32 v[32:33], v[28:29], v[26:27], v[30:31] op_sel_hi:[1,0,1]
	v_pk_fma_f32 v[26:27], v[28:29], v[26:27], v[30:31] neg_lo:[0,0,1] neg_hi:[0,0,1]
	v_mov_b32_e32 v27, v33
	s_delay_alu instid0(VALU_DEP_1)
	v_pk_add_f32 v[24:25], v[24:25], v[26:27]
.LBB9_22:
	s_or_b32 exec_lo, exec_lo, s8
	v_mov_b32_e32 v7, 0
	ds_load_b64 v[26:27], v7 offset:16
	s_wait_dscnt 0x0
	v_pk_mul_f32 v[28:29], v[24:25], v[26:27] op_sel:[1,1] op_sel_hi:[0,1]
	s_delay_alu instid0(VALU_DEP_1) | instskip(SKIP_1) | instid1(VALU_DEP_2)
	v_pk_fma_f32 v[30:31], v[24:25], v[26:27], v[28:29] op_sel_hi:[1,0,1]
	v_pk_fma_f32 v[24:25], v[24:25], v[26:27], v[28:29] neg_lo:[0,0,1] neg_hi:[0,0,1]
	v_mov_b32_e32 v25, v31
	scratch_store_b64 off, v[24:25], off offset:16
.LBB9_23:
	s_wait_xcnt 0x0
	s_or_b32 exec_lo, exec_lo, s1
	s_wait_storecnt 0x0
	s_barrier_signal -1
	s_barrier_wait -1
	scratch_load_b64 v[24:25], off, off offset:24
	v_add_nc_u32_e32 v7, -1, v0
	s_mov_b32 s0, exec_lo
	s_wait_loadcnt 0x0
	ds_store_b64 v1, v[24:25]
	s_wait_dscnt 0x0
	s_barrier_signal -1
	s_barrier_wait -1
	v_cmpx_gt_u32_e32 3, v0
	s_cbranch_execz .LBB9_27
; %bb.24:
	v_dual_mov_b32 v24, 0 :: v_dual_add_nc_u32 v9, -1, v0
	v_add_nc_u32_e32 v11, 0x50, v22
	v_mov_b32_e32 v13, v22
	s_mov_b32 s1, 0
	s_delay_alu instid0(VALU_DEP_3)
	v_mov_b32_e32 v25, v24
.LBB9_25:                               ; =>This Inner Loop Header: Depth=1
	scratch_load_b64 v[26:27], v13, off
	ds_load_b64 v[28:29], v11
	s_wait_xcnt 0x0
	v_dual_add_nc_u32 v11, 8, v11 :: v_dual_add_nc_u32 v13, 8, v13
	s_wait_loadcnt_dscnt 0x0
	v_pk_mul_f32 v[30:31], v[28:29], v[26:27] op_sel:[1,1] op_sel_hi:[0,1]
	s_delay_alu instid0(VALU_DEP_1) | instskip(SKIP_2) | instid1(VALU_DEP_3)
	v_pk_fma_f32 v[32:33], v[28:29], v[26:27], v[30:31] op_sel_hi:[1,0,1]
	v_add_nc_u32_e32 v9, 1, v9
	v_pk_fma_f32 v[26:27], v[28:29], v[26:27], v[30:31] neg_lo:[0,0,1] neg_hi:[0,0,1]
	v_mov_b32_e32 v27, v33
	s_delay_alu instid0(VALU_DEP_3) | instskip(NEXT) | instid1(VALU_DEP_2)
	v_cmp_lt_u32_e32 vcc_lo, 1, v9
	v_pk_add_f32 v[24:25], v[24:25], v[26:27]
	s_or_b32 s1, vcc_lo, s1
	s_delay_alu instid0(SALU_CYCLE_1)
	s_and_not1_b32 exec_lo, exec_lo, s1
	s_cbranch_execnz .LBB9_25
; %bb.26:
	s_or_b32 exec_lo, exec_lo, s1
	v_mov_b32_e32 v9, 0
	ds_load_b64 v[26:27], v9 offset:24
	s_wait_dscnt 0x0
	v_pk_mul_f32 v[28:29], v[24:25], v[26:27] op_sel:[1,1] op_sel_hi:[0,1]
	s_delay_alu instid0(VALU_DEP_1) | instskip(SKIP_1) | instid1(VALU_DEP_2)
	v_pk_fma_f32 v[30:31], v[24:25], v[26:27], v[28:29] op_sel_hi:[1,0,1]
	v_pk_fma_f32 v[24:25], v[24:25], v[26:27], v[28:29] neg_lo:[0,0,1] neg_hi:[0,0,1]
	v_mov_b32_e32 v25, v31
	scratch_store_b64 off, v[24:25], off offset:24
.LBB9_27:
	s_wait_xcnt 0x0
	s_or_b32 exec_lo, exec_lo, s0
	s_wait_storecnt 0x0
	s_barrier_signal -1
	s_barrier_wait -1
	scratch_load_b64 v[24:25], off, off offset:32
	s_mov_b32 s0, exec_lo
	s_wait_loadcnt 0x0
	ds_store_b64 v1, v[24:25]
	s_wait_dscnt 0x0
	s_barrier_signal -1
	s_barrier_wait -1
	v_cmpx_gt_u32_e32 4, v0
	s_cbranch_execz .LBB9_31
; %bb.28:
	v_dual_mov_b32 v24, 0 :: v_dual_add_nc_u32 v9, -1, v0
	v_add_nc_u32_e32 v11, 0x50, v22
	v_mov_b32_e32 v13, v22
	s_mov_b32 s1, 0
	s_delay_alu instid0(VALU_DEP_3)
	v_mov_b32_e32 v25, v24
.LBB9_29:                               ; =>This Inner Loop Header: Depth=1
	scratch_load_b64 v[26:27], v13, off
	ds_load_b64 v[28:29], v11
	s_wait_xcnt 0x0
	v_dual_add_nc_u32 v11, 8, v11 :: v_dual_add_nc_u32 v13, 8, v13
	s_wait_loadcnt_dscnt 0x0
	v_pk_mul_f32 v[30:31], v[28:29], v[26:27] op_sel:[1,1] op_sel_hi:[0,1]
	s_delay_alu instid0(VALU_DEP_1) | instskip(SKIP_2) | instid1(VALU_DEP_3)
	v_pk_fma_f32 v[32:33], v[28:29], v[26:27], v[30:31] op_sel_hi:[1,0,1]
	v_add_nc_u32_e32 v9, 1, v9
	v_pk_fma_f32 v[26:27], v[28:29], v[26:27], v[30:31] neg_lo:[0,0,1] neg_hi:[0,0,1]
	v_mov_b32_e32 v27, v33
	s_delay_alu instid0(VALU_DEP_3) | instskip(NEXT) | instid1(VALU_DEP_2)
	v_cmp_lt_u32_e32 vcc_lo, 2, v9
	v_pk_add_f32 v[24:25], v[24:25], v[26:27]
	s_or_b32 s1, vcc_lo, s1
	s_delay_alu instid0(SALU_CYCLE_1)
	s_and_not1_b32 exec_lo, exec_lo, s1
	s_cbranch_execnz .LBB9_29
; %bb.30:
	s_or_b32 exec_lo, exec_lo, s1
	v_mov_b32_e32 v9, 0
	ds_load_b64 v[26:27], v9 offset:32
	s_wait_dscnt 0x0
	v_pk_mul_f32 v[28:29], v[24:25], v[26:27] op_sel:[1,1] op_sel_hi:[0,1]
	s_delay_alu instid0(VALU_DEP_1) | instskip(SKIP_1) | instid1(VALU_DEP_2)
	v_pk_fma_f32 v[30:31], v[24:25], v[26:27], v[28:29] op_sel_hi:[1,0,1]
	v_pk_fma_f32 v[24:25], v[24:25], v[26:27], v[28:29] neg_lo:[0,0,1] neg_hi:[0,0,1]
	v_mov_b32_e32 v25, v31
	scratch_store_b64 off, v[24:25], off offset:32
.LBB9_31:
	s_wait_xcnt 0x0
	s_or_b32 exec_lo, exec_lo, s0
	s_wait_storecnt 0x0
	s_barrier_signal -1
	s_barrier_wait -1
	scratch_load_b64 v[24:25], off, off offset:40
	;; [unrolled: 52-line block ×6, first 2 shown]
	s_mov_b32 s0, exec_lo
	s_wait_loadcnt 0x0
	ds_store_b64 v1, v[24:25]
	s_wait_dscnt 0x0
	s_barrier_signal -1
	s_barrier_wait -1
	v_cmpx_ne_u32_e32 9, v0
	s_cbranch_execz .LBB9_51
; %bb.48:
	v_dual_mov_b32 v24, 0 :: v_dual_mov_b32 v9, v22
	s_mov_b32 s1, 0
	s_delay_alu instid0(VALU_DEP_1)
	v_mov_b32_e32 v25, v24
.LBB9_49:                               ; =>This Inner Loop Header: Depth=1
	scratch_load_b64 v[22:23], v9, off
	ds_load_b64 v[26:27], v1
	v_add_nc_u32_e32 v1, 8, v1
	s_wait_xcnt 0x0
	v_add_nc_u32_e32 v9, 8, v9
	s_wait_loadcnt_dscnt 0x0
	v_pk_mul_f32 v[28:29], v[26:27], v[22:23] op_sel:[1,1] op_sel_hi:[0,1]
	s_delay_alu instid0(VALU_DEP_1) | instskip(SKIP_2) | instid1(VALU_DEP_3)
	v_pk_fma_f32 v[30:31], v[26:27], v[22:23], v[28:29] op_sel_hi:[1,0,1]
	v_add_nc_u32_e32 v7, 1, v7
	v_pk_fma_f32 v[22:23], v[26:27], v[22:23], v[28:29] neg_lo:[0,0,1] neg_hi:[0,0,1]
	v_mov_b32_e32 v23, v31
	s_delay_alu instid0(VALU_DEP_3) | instskip(NEXT) | instid1(VALU_DEP_2)
	v_cmp_lt_u32_e32 vcc_lo, 7, v7
	v_pk_add_f32 v[24:25], v[24:25], v[22:23]
	s_or_b32 s1, vcc_lo, s1
	s_delay_alu instid0(SALU_CYCLE_1)
	s_and_not1_b32 exec_lo, exec_lo, s1
	s_cbranch_execnz .LBB9_49
; %bb.50:
	s_or_b32 exec_lo, exec_lo, s1
	v_mov_b32_e32 v1, 0
	ds_load_b64 v[22:23], v1 offset:72
	s_wait_dscnt 0x0
	v_pk_mul_f32 v[26:27], v[24:25], v[22:23] op_sel:[1,1] op_sel_hi:[0,1]
	s_delay_alu instid0(VALU_DEP_1) | instskip(SKIP_1) | instid1(VALU_DEP_2)
	v_pk_fma_f32 v[28:29], v[24:25], v[22:23], v[26:27] op_sel_hi:[1,0,1]
	v_pk_fma_f32 v[22:23], v[24:25], v[22:23], v[26:27] neg_lo:[0,0,1] neg_hi:[0,0,1]
	v_mov_b32_e32 v23, v29
	scratch_store_b64 off, v[22:23], off offset:72
.LBB9_51:
	s_wait_xcnt 0x0
	s_or_b32 exec_lo, exec_lo, s0
	s_mov_b32 s1, -1
	s_wait_storecnt 0x0
	s_barrier_signal -1
	s_barrier_wait -1
.LBB9_52:
	s_and_b32 vcc_lo, exec_lo, s1
	s_cbranch_vccz .LBB9_54
; %bb.53:
	v_mov_b32_e32 v1, 0
	s_lshl_b64 s[0:1], s[16:17], 2
	s_delay_alu instid0(SALU_CYCLE_1)
	s_add_nc_u64 s[0:1], s[6:7], s[0:1]
	global_load_b32 v1, v1, s[0:1]
	s_wait_loadcnt 0x0
	v_cmp_ne_u32_e32 vcc_lo, 0, v1
	s_cbranch_vccz .LBB9_55
.LBB9_54:
	s_sendmsg sendmsg(MSG_DEALLOC_VGPRS)
	s_endpgm
.LBB9_55:
	s_wait_xcnt 0x0
	v_lshl_add_u32 v1, v0, 3, 0x50
	s_mov_b32 s0, exec_lo
	v_cmpx_eq_u32_e32 9, v0
	s_cbranch_execz .LBB9_57
; %bb.56:
	scratch_load_b64 v[22:23], off, off offset:64
	v_mov_b64_e32 v[24:25], 0
	scratch_store_b64 off, v[24:25], off offset:64
	s_wait_loadcnt 0x0
	ds_store_b64 v1, v[22:23]
.LBB9_57:
	s_wait_xcnt 0x0
	s_or_b32 exec_lo, exec_lo, s0
	s_wait_storecnt_dscnt 0x0
	s_barrier_signal -1
	s_barrier_wait -1
	s_clause 0x1
	scratch_load_b64 v[22:23], off, off offset:72
	scratch_load_b64 v[24:25], off, off offset:64
	v_mov_b32_e32 v7, 0
	s_mov_b32 s0, exec_lo
	ds_load_b64 v[26:27], v7 offset:152
	s_wait_loadcnt_dscnt 0x100
	v_pk_mul_f32 v[28:29], v[26:27], v[22:23] op_sel:[1,1] op_sel_hi:[0,1]
	s_delay_alu instid0(VALU_DEP_1) | instskip(SKIP_1) | instid1(VALU_DEP_2)
	v_pk_fma_f32 v[30:31], v[26:27], v[22:23], v[28:29] op_sel_hi:[1,0,1]
	v_pk_fma_f32 v[22:23], v[26:27], v[22:23], v[28:29] neg_lo:[0,0,1] neg_hi:[0,0,1]
	v_mov_b32_e32 v23, v31
	s_delay_alu instid0(VALU_DEP_1) | instskip(SKIP_1) | instid1(VALU_DEP_1)
	v_pk_add_f32 v[22:23], v[22:23], 0 op_sel_hi:[1,0]
	s_wait_loadcnt 0x0
	v_pk_add_f32 v[22:23], v[24:25], v[22:23] neg_lo:[0,1] neg_hi:[0,1]
	scratch_store_b64 off, v[22:23], off offset:64
	s_wait_xcnt 0x0
	v_cmpx_lt_u32_e32 7, v0
	s_cbranch_execz .LBB9_59
; %bb.58:
	scratch_load_b64 v[22:23], off, off offset:56
	v_mov_b64_e32 v[24:25], 0
	scratch_store_b64 off, v[24:25], off offset:56
	s_wait_loadcnt 0x0
	ds_store_b64 v1, v[22:23]
.LBB9_59:
	s_wait_xcnt 0x0
	s_or_b32 exec_lo, exec_lo, s0
	s_wait_storecnt_dscnt 0x0
	s_barrier_signal -1
	s_barrier_wait -1
	s_clause 0x1
	scratch_load_b128 v[22:25], off, off offset:64
	scratch_load_b64 v[30:31], off, off offset:56
	ds_load_b128 v[26:29], v7 offset:144
	s_mov_b32 s0, exec_lo
	s_wait_dscnt 0x0
	v_dual_mov_b32 v32, v29 :: v_dual_mov_b32 v33, v28
	s_wait_loadcnt 0x1
	v_pk_mul_f32 v[34:35], v[26:27], v[22:23] op_sel:[1,1] op_sel_hi:[0,1]
	s_delay_alu instid0(VALU_DEP_1) | instskip(SKIP_2) | instid1(VALU_DEP_3)
	v_pk_fma_f32 v[38:39], v[26:27], v[22:23], v[34:35] op_sel_hi:[1,0,1]
	v_mov_b32_e32 v36, v25
	v_pk_fma_f32 v[22:23], v[26:27], v[22:23], v[34:35] neg_lo:[0,0,1] neg_hi:[0,0,1]
	v_mov_b32_e32 v23, v39
	s_delay_alu instid0(VALU_DEP_3) | instskip(NEXT) | instid1(VALU_DEP_2)
	v_pk_mul_f32 v[32:33], v[32:33], v[36:37] op_sel_hi:[1,0]
	v_pk_add_f32 v[22:23], v[22:23], 0 op_sel_hi:[1,0]
	s_delay_alu instid0(VALU_DEP_2) | instskip(SKIP_1) | instid1(VALU_DEP_2)
	v_pk_fma_f32 v[26:27], v[28:29], v[24:25], v[32:33] op_sel_hi:[1,0,1]
	v_pk_fma_f32 v[24:25], v[28:29], v[24:25], v[32:33] neg_lo:[0,0,1] neg_hi:[0,0,1]
	v_mov_b32_e32 v25, v27
	s_delay_alu instid0(VALU_DEP_1) | instskip(SKIP_1) | instid1(VALU_DEP_1)
	v_pk_add_f32 v[22:23], v[22:23], v[24:25]
	s_wait_loadcnt 0x0
	v_pk_add_f32 v[22:23], v[30:31], v[22:23] neg_lo:[0,1] neg_hi:[0,1]
	scratch_store_b64 off, v[22:23], off offset:56
	s_wait_xcnt 0x0
	v_cmpx_lt_u32_e32 6, v0
	s_cbranch_execz .LBB9_61
; %bb.60:
	scratch_load_b64 v[22:23], off, off offset:48
	v_mov_b64_e32 v[24:25], 0
	scratch_store_b64 off, v[24:25], off offset:48
	s_wait_loadcnt 0x0
	ds_store_b64 v1, v[22:23]
.LBB9_61:
	s_wait_xcnt 0x0
	s_or_b32 exec_lo, exec_lo, s0
	s_wait_storecnt_dscnt 0x0
	s_barrier_signal -1
	s_barrier_wait -1
	s_clause 0x2
	scratch_load_b128 v[22:25], off, off offset:56
	scratch_load_b64 v[30:31], off, off offset:72
	scratch_load_b64 v[32:33], off, off offset:48
	v_mov_b32_e32 v7, 0
	ds_load_2addr_b64 v[26:29], v7 offset0:17 offset1:18
	ds_load_b64 v[34:35], v7 offset:152
	s_mov_b32 s0, exec_lo
	s_wait_dscnt 0x1
	v_dual_mov_b32 v36, v29 :: v_dual_mov_b32 v37, v28
	s_wait_loadcnt 0x2
	v_mov_b32_e32 v40, v25
	v_pk_mul_f32 v[38:39], v[26:27], v[22:23] op_sel:[1,1] op_sel_hi:[0,1]
	s_delay_alu instid0(VALU_DEP_2) | instskip(NEXT) | instid1(VALU_DEP_2)
	v_pk_mul_f32 v[36:37], v[36:37], v[40:41] op_sel_hi:[1,0]
	v_pk_fma_f32 v[42:43], v[26:27], v[22:23], v[38:39] op_sel_hi:[1,0,1]
	v_pk_fma_f32 v[22:23], v[26:27], v[22:23], v[38:39] neg_lo:[0,0,1] neg_hi:[0,0,1]
	s_wait_loadcnt_dscnt 0x100
	v_pk_mul_f32 v[38:39], v[34:35], v[30:31] op_sel:[1,1] op_sel_hi:[0,1]
	v_pk_fma_f32 v[26:27], v[28:29], v[24:25], v[36:37] op_sel_hi:[1,0,1]
	v_mov_b32_e32 v23, v43
	v_pk_fma_f32 v[24:25], v[28:29], v[24:25], v[36:37] neg_lo:[0,0,1] neg_hi:[0,0,1]
	s_delay_alu instid0(VALU_DEP_4) | instskip(NEXT) | instid1(VALU_DEP_4)
	v_pk_fma_f32 v[28:29], v[34:35], v[30:31], v[38:39] neg_lo:[0,0,1] neg_hi:[0,0,1]
	v_mov_b32_e32 v25, v27
	s_delay_alu instid0(VALU_DEP_4) | instskip(SKIP_1) | instid1(VALU_DEP_2)
	v_pk_add_f32 v[22:23], v[22:23], 0 op_sel_hi:[1,0]
	v_pk_fma_f32 v[26:27], v[34:35], v[30:31], v[38:39] op_sel_hi:[1,0,1]
	v_pk_add_f32 v[22:23], v[22:23], v[24:25]
	s_delay_alu instid0(VALU_DEP_2) | instskip(NEXT) | instid1(VALU_DEP_1)
	v_mov_b32_e32 v29, v27
	v_pk_add_f32 v[22:23], v[22:23], v[28:29]
	s_wait_loadcnt 0x0
	s_delay_alu instid0(VALU_DEP_1)
	v_pk_add_f32 v[22:23], v[32:33], v[22:23] neg_lo:[0,1] neg_hi:[0,1]
	scratch_store_b64 off, v[22:23], off offset:48
	s_wait_xcnt 0x0
	v_cmpx_lt_u32_e32 5, v0
	s_cbranch_execz .LBB9_63
; %bb.62:
	scratch_load_b64 v[22:23], off, off offset:40
	v_mov_b64_e32 v[24:25], 0
	scratch_store_b64 off, v[24:25], off offset:40
	s_wait_loadcnt 0x0
	ds_store_b64 v1, v[22:23]
.LBB9_63:
	s_wait_xcnt 0x0
	s_or_b32 exec_lo, exec_lo, s0
	s_wait_storecnt_dscnt 0x0
	s_barrier_signal -1
	s_barrier_wait -1
	s_clause 0x2
	scratch_load_b128 v[22:25], off, off offset:48
	scratch_load_b128 v[26:29], off, off offset:64
	scratch_load_b64 v[38:39], off, off offset:40
	ds_load_b128 v[30:33], v7 offset:128
	ds_load_b128 v[34:37], v7 offset:144
	s_mov_b32 s0, exec_lo
	s_wait_dscnt 0x1
	v_dual_mov_b32 v40, v33 :: v_dual_mov_b32 v41, v32
	s_wait_loadcnt_dscnt 0x200
	v_dual_mov_b32 v46, v37 :: v_dual_mov_b32 v44, v25
	v_pk_mul_f32 v[42:43], v[30:31], v[22:23] op_sel:[1,1] op_sel_hi:[0,1]
	s_delay_alu instid0(VALU_DEP_2) | instskip(NEXT) | instid1(VALU_DEP_2)
	v_pk_mul_f32 v[40:41], v[40:41], v[44:45] op_sel_hi:[1,0]
	v_pk_fma_f32 v[48:49], v[30:31], v[22:23], v[42:43] op_sel_hi:[1,0,1]
	v_pk_fma_f32 v[22:23], v[30:31], v[22:23], v[42:43] neg_lo:[0,0,1] neg_hi:[0,0,1]
	v_mov_b32_e32 v47, v36
	s_wait_loadcnt 0x1
	v_pk_mul_f32 v[44:45], v[34:35], v[26:27] op_sel:[1,1] op_sel_hi:[0,1]
	v_pk_fma_f32 v[30:31], v[32:33], v[24:25], v[40:41] op_sel_hi:[1,0,1]
	v_dual_mov_b32 v23, v49 :: v_dual_mov_b32 v30, v29
	v_pk_fma_f32 v[24:25], v[32:33], v[24:25], v[40:41] neg_lo:[0,0,1] neg_hi:[0,0,1]
	s_delay_alu instid0(VALU_DEP_4) | instskip(NEXT) | instid1(VALU_DEP_4)
	v_pk_fma_f32 v[42:43], v[34:35], v[26:27], v[44:45] op_sel_hi:[1,0,1]
	v_mov_b32_e32 v25, v31
	s_delay_alu instid0(VALU_DEP_4) | instskip(SKIP_2) | instid1(VALU_DEP_3)
	v_pk_add_f32 v[22:23], v[22:23], 0 op_sel_hi:[1,0]
	v_pk_mul_f32 v[30:31], v[46:47], v[30:31] op_sel_hi:[1,0]
	v_pk_fma_f32 v[26:27], v[34:35], v[26:27], v[44:45] neg_lo:[0,0,1] neg_hi:[0,0,1]
	v_pk_add_f32 v[22:23], v[22:23], v[24:25]
	s_delay_alu instid0(VALU_DEP_3) | instskip(SKIP_2) | instid1(VALU_DEP_3)
	v_pk_fma_f32 v[24:25], v[36:37], v[28:29], v[30:31] op_sel_hi:[1,0,1]
	v_mov_b32_e32 v27, v43
	v_pk_fma_f32 v[28:29], v[36:37], v[28:29], v[30:31] neg_lo:[0,0,1] neg_hi:[0,0,1]
	v_mov_b32_e32 v29, v25
	s_delay_alu instid0(VALU_DEP_3) | instskip(NEXT) | instid1(VALU_DEP_1)
	v_pk_add_f32 v[22:23], v[22:23], v[26:27]
	v_pk_add_f32 v[22:23], v[22:23], v[28:29]
	s_wait_loadcnt 0x0
	s_delay_alu instid0(VALU_DEP_1)
	v_pk_add_f32 v[22:23], v[38:39], v[22:23] neg_lo:[0,1] neg_hi:[0,1]
	scratch_store_b64 off, v[22:23], off offset:40
	s_wait_xcnt 0x0
	v_cmpx_lt_u32_e32 4, v0
	s_cbranch_execz .LBB9_65
; %bb.64:
	scratch_load_b64 v[22:23], off, off offset:32
	v_mov_b64_e32 v[24:25], 0
	scratch_store_b64 off, v[24:25], off offset:32
	s_wait_loadcnt 0x0
	ds_store_b64 v1, v[22:23]
.LBB9_65:
	s_wait_xcnt 0x0
	s_or_b32 exec_lo, exec_lo, s0
	s_wait_storecnt_dscnt 0x0
	s_barrier_signal -1
	s_barrier_wait -1
	s_clause 0x3
	scratch_load_b128 v[22:25], off, off offset:40
	scratch_load_b128 v[26:29], off, off offset:56
	scratch_load_b64 v[38:39], off, off offset:72
	scratch_load_b64 v[40:41], off, off offset:32
	v_mov_b32_e32 v7, 0
	ds_load_2addr_b64 v[30:33], v7 offset0:15 offset1:16
	ds_load_2addr_b64 v[34:37], v7 offset0:17 offset1:18
	s_mov_b32 s0, exec_lo
	s_wait_dscnt 0x1
	v_dual_mov_b32 v42, v33 :: v_dual_mov_b32 v43, v32
	ds_load_b64 v[48:49], v7 offset:152
	s_wait_dscnt 0x1
	v_dual_mov_b32 v50, v37 :: v_dual_mov_b32 v51, v36
	s_wait_loadcnt 0x3
	v_pk_mul_f32 v[44:45], v[30:31], v[22:23] op_sel:[1,1] op_sel_hi:[0,1]
	v_mov_b32_e32 v46, v25
	s_delay_alu instid0(VALU_DEP_2) | instskip(NEXT) | instid1(VALU_DEP_2)
	v_pk_fma_f32 v[52:53], v[30:31], v[22:23], v[44:45] op_sel_hi:[1,0,1]
	v_pk_mul_f32 v[42:43], v[42:43], v[46:47] op_sel_hi:[1,0]
	v_pk_fma_f32 v[22:23], v[30:31], v[22:23], v[44:45] neg_lo:[0,0,1] neg_hi:[0,0,1]
	s_wait_loadcnt 0x2
	v_pk_mul_f32 v[46:47], v[34:35], v[26:27] op_sel:[1,1] op_sel_hi:[0,1]
	v_dual_mov_b32 v52, v29 :: v_dual_mov_b32 v23, v53
	v_pk_fma_f32 v[30:31], v[32:33], v[24:25], v[42:43] op_sel_hi:[1,0,1]
	v_pk_fma_f32 v[24:25], v[32:33], v[24:25], v[42:43] neg_lo:[0,0,1] neg_hi:[0,0,1]
	s_delay_alu instid0(VALU_DEP_4) | instskip(NEXT) | instid1(VALU_DEP_4)
	v_pk_fma_f32 v[44:45], v[34:35], v[26:27], v[46:47] op_sel_hi:[1,0,1]
	v_pk_mul_f32 v[50:51], v[50:51], v[52:53] op_sel_hi:[1,0]
	v_pk_add_f32 v[22:23], v[22:23], 0 op_sel_hi:[1,0]
	v_mov_b32_e32 v25, v31
	v_pk_fma_f32 v[26:27], v[34:35], v[26:27], v[46:47] neg_lo:[0,0,1] neg_hi:[0,0,1]
	v_mov_b32_e32 v27, v45
	v_pk_fma_f32 v[30:31], v[36:37], v[28:29], v[50:51] op_sel_hi:[1,0,1]
	v_pk_fma_f32 v[28:29], v[36:37], v[28:29], v[50:51] neg_lo:[0,0,1] neg_hi:[0,0,1]
	v_pk_add_f32 v[22:23], v[22:23], v[24:25]
	s_wait_loadcnt_dscnt 0x100
	v_pk_mul_f32 v[24:25], v[48:49], v[38:39] op_sel:[1,1] op_sel_hi:[0,1]
	s_delay_alu instid0(VALU_DEP_2) | instskip(NEXT) | instid1(VALU_DEP_2)
	v_pk_add_f32 v[22:23], v[22:23], v[26:27]
	v_pk_fma_f32 v[26:27], v[48:49], v[38:39], v[24:25] op_sel_hi:[1,0,1]
	v_mov_b32_e32 v29, v31
	v_pk_fma_f32 v[24:25], v[48:49], v[38:39], v[24:25] neg_lo:[0,0,1] neg_hi:[0,0,1]
	s_delay_alu instid0(VALU_DEP_3) | instskip(NEXT) | instid1(VALU_DEP_3)
	v_mov_b32_e32 v25, v27
	v_pk_add_f32 v[22:23], v[22:23], v[28:29]
	s_delay_alu instid0(VALU_DEP_1) | instskip(SKIP_1) | instid1(VALU_DEP_1)
	v_pk_add_f32 v[22:23], v[22:23], v[24:25]
	s_wait_loadcnt 0x0
	v_pk_add_f32 v[22:23], v[40:41], v[22:23] neg_lo:[0,1] neg_hi:[0,1]
	scratch_store_b64 off, v[22:23], off offset:32
	s_wait_xcnt 0x0
	v_cmpx_lt_u32_e32 3, v0
	s_cbranch_execz .LBB9_67
; %bb.66:
	scratch_load_b64 v[22:23], off, off offset:24
	v_mov_b64_e32 v[24:25], 0
	scratch_store_b64 off, v[24:25], off offset:24
	s_wait_loadcnt 0x0
	ds_store_b64 v1, v[22:23]
.LBB9_67:
	s_wait_xcnt 0x0
	s_or_b32 exec_lo, exec_lo, s0
	s_wait_storecnt_dscnt 0x0
	s_barrier_signal -1
	s_barrier_wait -1
	s_clause 0x3
	scratch_load_b128 v[22:25], off, off offset:32
	scratch_load_b128 v[26:29], off, off offset:48
	;; [unrolled: 1-line block ×3, first 2 shown]
	scratch_load_b64 v[46:47], off, off offset:24
	ds_load_b128 v[34:37], v7 offset:112
	ds_load_b128 v[38:41], v7 offset:128
	;; [unrolled: 1-line block ×3, first 2 shown]
	s_mov_b32 s0, exec_lo
	s_wait_dscnt 0x2
	v_dual_mov_b32 v48, v37 :: v_dual_mov_b32 v49, v36
	s_wait_dscnt 0x1
	v_dual_mov_b32 v50, v41 :: v_dual_mov_b32 v51, v40
	;; [unrolled: 2-line block ×3, first 2 shown]
	s_wait_loadcnt 0x3
	v_pk_mul_f32 v[52:53], v[34:35], v[22:23] op_sel:[1,1] op_sel_hi:[0,1]
	v_mov_b32_e32 v54, v25
	s_delay_alu instid0(VALU_DEP_2) | instskip(NEXT) | instid1(VALU_DEP_2)
	v_pk_fma_f32 v[58:59], v[34:35], v[22:23], v[52:53] op_sel_hi:[1,0,1]
	v_pk_mul_f32 v[48:49], v[48:49], v[54:55] op_sel_hi:[1,0]
	v_pk_fma_f32 v[22:23], v[34:35], v[22:23], v[52:53] neg_lo:[0,0,1] neg_hi:[0,0,1]
	s_wait_loadcnt 0x2
	v_pk_mul_f32 v[54:55], v[38:39], v[26:27] op_sel:[1,1] op_sel_hi:[0,1]
	v_mov_b32_e32 v58, v29
	v_pk_fma_f32 v[34:35], v[36:37], v[24:25], v[48:49] op_sel_hi:[1,0,1]
	v_mov_b32_e32 v23, v59
	v_pk_fma_f32 v[24:25], v[36:37], v[24:25], v[48:49] neg_lo:[0,0,1] neg_hi:[0,0,1]
	v_pk_fma_f32 v[52:53], v[38:39], v[26:27], v[54:55] op_sel_hi:[1,0,1]
	v_pk_mul_f32 v[50:51], v[50:51], v[58:59] op_sel_hi:[1,0]
	v_mov_b32_e32 v25, v35
	v_pk_add_f32 v[22:23], v[22:23], 0 op_sel_hi:[1,0]
	v_pk_fma_f32 v[26:27], v[38:39], v[26:27], v[54:55] neg_lo:[0,0,1] neg_hi:[0,0,1]
	s_wait_loadcnt 0x1
	v_pk_mul_f32 v[34:35], v[42:43], v[30:31] op_sel:[1,1] op_sel_hi:[0,1]
	v_mov_b32_e32 v27, v53
	v_pk_fma_f32 v[36:37], v[40:41], v[28:29], v[50:51] op_sel_hi:[1,0,1]
	v_pk_add_f32 v[22:23], v[22:23], v[24:25]
	v_mov_b32_e32 v24, v33
	v_pk_fma_f32 v[28:29], v[40:41], v[28:29], v[50:51] neg_lo:[0,0,1] neg_hi:[0,0,1]
	v_pk_fma_f32 v[38:39], v[42:43], v[30:31], v[34:35] op_sel_hi:[1,0,1]
	v_mov_b32_e32 v29, v37
	v_pk_add_f32 v[22:23], v[22:23], v[26:27]
	v_pk_mul_f32 v[24:25], v[56:57], v[24:25] op_sel_hi:[1,0]
	v_pk_fma_f32 v[26:27], v[42:43], v[30:31], v[34:35] neg_lo:[0,0,1] neg_hi:[0,0,1]
	v_mov_b32_e32 v27, v39
	s_delay_alu instid0(VALU_DEP_4) | instskip(NEXT) | instid1(VALU_DEP_4)
	v_pk_add_f32 v[22:23], v[22:23], v[28:29]
	v_pk_fma_f32 v[28:29], v[44:45], v[32:33], v[24:25] op_sel_hi:[1,0,1]
	v_pk_fma_f32 v[24:25], v[44:45], v[32:33], v[24:25] neg_lo:[0,0,1] neg_hi:[0,0,1]
	s_delay_alu instid0(VALU_DEP_3) | instskip(NEXT) | instid1(VALU_DEP_3)
	v_pk_add_f32 v[22:23], v[22:23], v[26:27]
	v_mov_b32_e32 v25, v29
	s_delay_alu instid0(VALU_DEP_1) | instskip(SKIP_1) | instid1(VALU_DEP_1)
	v_pk_add_f32 v[22:23], v[22:23], v[24:25]
	s_wait_loadcnt 0x0
	v_pk_add_f32 v[22:23], v[46:47], v[22:23] neg_lo:[0,1] neg_hi:[0,1]
	scratch_store_b64 off, v[22:23], off offset:24
	s_wait_xcnt 0x0
	v_cmpx_lt_u32_e32 2, v0
	s_cbranch_execz .LBB9_69
; %bb.68:
	scratch_load_b64 v[22:23], off, off offset:16
	v_mov_b64_e32 v[24:25], 0
	scratch_store_b64 off, v[24:25], off offset:16
	s_wait_loadcnt 0x0
	ds_store_b64 v1, v[22:23]
.LBB9_69:
	s_wait_xcnt 0x0
	s_or_b32 exec_lo, exec_lo, s0
	s_wait_storecnt_dscnt 0x0
	s_barrier_signal -1
	s_barrier_wait -1
	s_clause 0x4
	scratch_load_b128 v[22:25], off, off offset:24
	scratch_load_b128 v[26:29], off, off offset:40
	;; [unrolled: 1-line block ×3, first 2 shown]
	scratch_load_b64 v[46:47], off, off offset:72
	scratch_load_b64 v[48:49], off, off offset:16
	v_mov_b32_e32 v7, 0
	ds_load_2addr_b64 v[34:37], v7 offset0:13 offset1:14
	ds_load_2addr_b64 v[38:41], v7 offset0:15 offset1:16
	ds_load_2addr_b64 v[42:45], v7 offset0:17 offset1:18
	ds_load_b64 v[50:51], v7 offset:152
	s_mov_b32 s0, exec_lo
	s_wait_dscnt 0x3
	v_dual_mov_b32 v52, v37 :: v_dual_mov_b32 v53, v36
	s_wait_dscnt 0x2
	v_dual_mov_b32 v54, v41 :: v_dual_mov_b32 v55, v40
	;; [unrolled: 2-line block ×3, first 2 shown]
	s_wait_loadcnt 0x4
	v_pk_mul_f32 v[56:57], v[34:35], v[22:23] op_sel:[1,1] op_sel_hi:[0,1]
	v_mov_b32_e32 v58, v25
	s_wait_loadcnt 0x3
	v_pk_mul_f32 v[62:63], v[38:39], v[26:27] op_sel:[1,1] op_sel_hi:[0,1]
	s_wait_loadcnt 0x2
	v_pk_mul_f32 v[66:67], v[42:43], v[30:31] op_sel:[1,1] op_sel_hi:[0,1]
	v_pk_fma_f32 v[64:65], v[34:35], v[22:23], v[56:57] op_sel_hi:[1,0,1]
	v_pk_mul_f32 v[52:53], v[52:53], v[58:59] op_sel_hi:[1,0]
	v_pk_fma_f32 v[22:23], v[34:35], v[22:23], v[56:57] neg_lo:[0,0,1] neg_hi:[0,0,1]
	v_mov_b32_e32 v58, v29
	v_pk_fma_f32 v[56:57], v[38:39], v[26:27], v[62:63] op_sel_hi:[1,0,1]
	v_mov_b32_e32 v23, v65
	v_pk_fma_f32 v[34:35], v[36:37], v[24:25], v[52:53] op_sel_hi:[1,0,1]
	v_pk_fma_f32 v[24:25], v[36:37], v[24:25], v[52:53] neg_lo:[0,0,1] neg_hi:[0,0,1]
	v_pk_mul_f32 v[54:55], v[54:55], v[58:59] op_sel_hi:[1,0]
	v_pk_fma_f32 v[26:27], v[38:39], v[26:27], v[62:63] neg_lo:[0,0,1] neg_hi:[0,0,1]
	v_pk_add_f32 v[22:23], v[22:23], 0 op_sel_hi:[1,0]
	v_dual_mov_b32 v25, v35 :: v_dual_mov_b32 v34, v33
	s_delay_alu instid0(VALU_DEP_4) | instskip(SKIP_2) | instid1(VALU_DEP_4)
	v_pk_fma_f32 v[36:37], v[40:41], v[28:29], v[54:55] op_sel_hi:[1,0,1]
	v_mov_b32_e32 v27, v57
	v_pk_fma_f32 v[28:29], v[40:41], v[28:29], v[54:55] neg_lo:[0,0,1] neg_hi:[0,0,1]
	v_pk_add_f32 v[22:23], v[22:23], v[24:25]
	v_pk_fma_f32 v[24:25], v[42:43], v[30:31], v[66:67] op_sel_hi:[1,0,1]
	v_pk_mul_f32 v[34:35], v[60:61], v[34:35] op_sel_hi:[1,0]
	v_mov_b32_e32 v29, v37
	s_delay_alu instid0(VALU_DEP_4)
	v_pk_add_f32 v[22:23], v[22:23], v[26:27]
	v_pk_fma_f32 v[26:27], v[42:43], v[30:31], v[66:67] neg_lo:[0,0,1] neg_hi:[0,0,1]
	v_mov_b32_e32 v27, v25
	v_pk_fma_f32 v[24:25], v[44:45], v[32:33], v[34:35] op_sel_hi:[1,0,1]
	v_pk_fma_f32 v[30:31], v[44:45], v[32:33], v[34:35] neg_lo:[0,0,1] neg_hi:[0,0,1]
	v_pk_add_f32 v[22:23], v[22:23], v[28:29]
	s_wait_loadcnt_dscnt 0x100
	v_pk_mul_f32 v[28:29], v[50:51], v[46:47] op_sel:[1,1] op_sel_hi:[0,1]
	v_mov_b32_e32 v31, v25
	s_delay_alu instid0(VALU_DEP_3) | instskip(NEXT) | instid1(VALU_DEP_3)
	v_pk_add_f32 v[22:23], v[22:23], v[26:27]
	v_pk_fma_f32 v[24:25], v[50:51], v[46:47], v[28:29] op_sel_hi:[1,0,1]
	v_pk_fma_f32 v[26:27], v[50:51], v[46:47], v[28:29] neg_lo:[0,0,1] neg_hi:[0,0,1]
	s_delay_alu instid0(VALU_DEP_3) | instskip(NEXT) | instid1(VALU_DEP_3)
	v_pk_add_f32 v[22:23], v[22:23], v[30:31]
	v_mov_b32_e32 v27, v25
	s_delay_alu instid0(VALU_DEP_1) | instskip(SKIP_1) | instid1(VALU_DEP_1)
	v_pk_add_f32 v[22:23], v[22:23], v[26:27]
	s_wait_loadcnt 0x0
	v_pk_add_f32 v[22:23], v[48:49], v[22:23] neg_lo:[0,1] neg_hi:[0,1]
	scratch_store_b64 off, v[22:23], off offset:16
	s_wait_xcnt 0x0
	v_cmpx_lt_u32_e32 1, v0
	s_cbranch_execz .LBB9_71
; %bb.70:
	scratch_load_b64 v[22:23], off, off offset:8
	v_mov_b64_e32 v[24:25], 0
	scratch_store_b64 off, v[24:25], off offset:8
	s_wait_loadcnt 0x0
	ds_store_b64 v1, v[22:23]
.LBB9_71:
	s_wait_xcnt 0x0
	s_or_b32 exec_lo, exec_lo, s0
	s_wait_storecnt_dscnt 0x0
	s_barrier_signal -1
	s_barrier_wait -1
	s_clause 0x4
	scratch_load_b128 v[22:25], off, off offset:16
	scratch_load_b128 v[26:29], off, off offset:32
	;; [unrolled: 1-line block ×4, first 2 shown]
	scratch_load_b64 v[54:55], off, off offset:8
	ds_load_b128 v[38:41], v7 offset:96
	ds_load_b128 v[42:45], v7 offset:112
	;; [unrolled: 1-line block ×4, first 2 shown]
	v_dual_ashrrev_i32 v7, 31, v6 :: v_dual_ashrrev_i32 v9, 31, v8
	v_dual_ashrrev_i32 v11, 31, v10 :: v_dual_ashrrev_i32 v13, 31, v12
	;; [unrolled: 1-line block ×4, first 2 shown]
	s_mov_b32 s0, exec_lo
	s_wait_dscnt 0x3
	v_dual_mov_b32 v56, v41 :: v_dual_mov_b32 v57, v40
	s_wait_dscnt 0x2
	v_dual_mov_b32 v58, v45 :: v_dual_mov_b32 v59, v44
	;; [unrolled: 2-line block ×3, first 2 shown]
	v_dual_mov_b32 v61, v48 :: v_dual_mov_b32 v66, v53
	s_wait_loadcnt 0x4
	v_mov_b32_e32 v64, v25
	v_pk_mul_f32 v[62:63], v[38:39], v[22:23] op_sel:[1,1] op_sel_hi:[0,1]
	s_wait_loadcnt 0x3
	v_mov_b32_e32 v68, v29
	s_delay_alu instid0(VALU_DEP_3) | instskip(NEXT) | instid1(VALU_DEP_3)
	v_pk_mul_f32 v[56:57], v[56:57], v[64:65] op_sel_hi:[1,0]
	v_pk_fma_f32 v[70:71], v[38:39], v[22:23], v[62:63] op_sel_hi:[1,0,1]
	v_pk_fma_f32 v[22:23], v[38:39], v[22:23], v[62:63] neg_lo:[0,0,1] neg_hi:[0,0,1]
	v_pk_mul_f32 v[64:65], v[42:43], v[26:27] op_sel:[1,1] op_sel_hi:[0,1]
	s_wait_loadcnt 0x2
	v_mov_b32_e32 v70, v33
	v_pk_fma_f32 v[38:39], v[40:41], v[24:25], v[56:57] op_sel_hi:[1,0,1]
	v_mov_b32_e32 v23, v71
	v_pk_fma_f32 v[24:25], v[40:41], v[24:25], v[56:57] neg_lo:[0,0,1] neg_hi:[0,0,1]
	v_pk_mul_f32 v[58:59], v[58:59], v[68:69] op_sel_hi:[1,0]
	v_pk_fma_f32 v[62:63], v[42:43], v[26:27], v[64:65] op_sel_hi:[1,0,1]
	v_mov_b32_e32 v25, v39
	v_pk_add_f32 v[22:23], v[22:23], 0 op_sel_hi:[1,0]
	v_pk_fma_f32 v[26:27], v[42:43], v[26:27], v[64:65] neg_lo:[0,0,1] neg_hi:[0,0,1]
	v_pk_mul_f32 v[38:39], v[46:47], v[30:31] op_sel:[1,1] op_sel_hi:[0,1]
	v_mov_b32_e32 v27, v63
	v_pk_fma_f32 v[40:41], v[44:45], v[28:29], v[58:59] op_sel_hi:[1,0,1]
	v_pk_add_f32 v[22:23], v[22:23], v[24:25]
	v_pk_fma_f32 v[28:29], v[44:45], v[28:29], v[58:59] neg_lo:[0,0,1] neg_hi:[0,0,1]
	v_pk_mul_f32 v[24:25], v[60:61], v[70:71] op_sel_hi:[1,0]
	v_pk_fma_f32 v[42:43], v[46:47], v[30:31], v[38:39] op_sel_hi:[1,0,1]
	v_mov_b32_e32 v29, v41
	v_pk_add_f32 v[22:23], v[22:23], v[26:27]
	v_pk_fma_f32 v[30:31], v[46:47], v[30:31], v[38:39] neg_lo:[0,0,1] neg_hi:[0,0,1]
	s_wait_loadcnt 0x1
	v_pk_mul_f32 v[26:27], v[50:51], v[34:35] op_sel:[1,1] op_sel_hi:[0,1]
	v_mov_b32_e32 v31, v43
	v_pk_fma_f32 v[38:39], v[48:49], v[32:33], v[24:25] op_sel_hi:[1,0,1]
	v_pk_add_f32 v[22:23], v[22:23], v[28:29]
	v_mov_b32_e32 v28, v37
	v_pk_fma_f32 v[24:25], v[48:49], v[32:33], v[24:25] neg_lo:[0,0,1] neg_hi:[0,0,1]
	v_pk_fma_f32 v[40:41], v[50:51], v[34:35], v[26:27] op_sel_hi:[1,0,1]
	v_mov_b32_e32 v25, v39
	v_pk_add_f32 v[22:23], v[22:23], v[30:31]
	v_pk_mul_f32 v[28:29], v[66:67], v[28:29] op_sel_hi:[1,0]
	v_pk_fma_f32 v[26:27], v[50:51], v[34:35], v[26:27] neg_lo:[0,0,1] neg_hi:[0,0,1]
	s_delay_alu instid0(VALU_DEP_3) | instskip(NEXT) | instid1(VALU_DEP_3)
	v_pk_add_f32 v[22:23], v[22:23], v[24:25]
	v_pk_fma_f32 v[24:25], v[52:53], v[36:37], v[28:29] op_sel_hi:[1,0,1]
	v_mov_b32_e32 v27, v41
	v_pk_fma_f32 v[28:29], v[52:53], v[36:37], v[28:29] neg_lo:[0,0,1] neg_hi:[0,0,1]
	s_delay_alu instid0(VALU_DEP_3) | instskip(NEXT) | instid1(VALU_DEP_3)
	v_mov_b32_e32 v29, v25
	v_pk_add_f32 v[22:23], v[22:23], v[26:27]
	s_delay_alu instid0(VALU_DEP_1) | instskip(SKIP_1) | instid1(VALU_DEP_1)
	v_pk_add_f32 v[22:23], v[22:23], v[28:29]
	s_wait_loadcnt 0x0
	v_pk_add_f32 v[22:23], v[54:55], v[22:23] neg_lo:[0,1] neg_hi:[0,1]
	scratch_store_b64 off, v[22:23], off offset:8
	s_wait_xcnt 0x0
	v_cmpx_ne_u32_e32 0, v0
	s_cbranch_execz .LBB9_73
; %bb.72:
	scratch_load_b64 v[22:23], off, off
	v_mov_b64_e32 v[24:25], 0
	scratch_store_b64 off, v[24:25], off
	s_wait_loadcnt 0x0
	ds_store_b64 v1, v[22:23]
.LBB9_73:
	s_wait_xcnt 0x0
	s_or_b32 exec_lo, exec_lo, s0
	s_wait_storecnt_dscnt 0x0
	s_barrier_signal -1
	s_barrier_wait -1
	s_clause 0x5
	scratch_load_b128 v[24:27], off, off offset:8
	scratch_load_b128 v[28:31], off, off offset:24
	;; [unrolled: 1-line block ×4, first 2 shown]
	scratch_load_b64 v[0:1], off, off offset:72
	scratch_load_b64 v[56:57], off, off
	v_mov_b32_e32 v22, 0
	ds_load_2addr_b64 v[40:43], v22 offset0:11 offset1:12
	ds_load_2addr_b64 v[44:47], v22 offset0:13 offset1:14
	;; [unrolled: 1-line block ×4, first 2 shown]
	ds_load_b64 v[58:59], v22 offset:152
	s_and_b32 vcc_lo, exec_lo, s18
	s_wait_dscnt 0x4
	v_dual_mov_b32 v60, v43 :: v_dual_mov_b32 v61, v42
	s_wait_dscnt 0x1
	v_dual_mov_b32 v62, v47 :: v_dual_mov_b32 v67, v54
	v_dual_mov_b32 v63, v46 :: v_dual_mov_b32 v64, v51
	;; [unrolled: 1-line block ×3, first 2 shown]
	s_wait_loadcnt 0x5
	v_dual_mov_b32 v68, v27 :: v_dual_mul_f32 v69, v40, v25
	s_wait_loadcnt 0x4
	v_dual_mul_f32 v23, v41, v25 :: v_dual_mov_b32 v70, v31
	s_wait_loadcnt 0x3
	v_mov_b32_e32 v76, v35
	v_pk_mul_f32 v[72:73], v[44:45], v[28:29] op_sel:[1,1] op_sel_hi:[0,1]
	v_pk_mul_f32 v[60:61], v[60:61], v[68:69] op_sel_hi:[1,0]
	v_dual_fmac_f32 v69, v41, v24 :: v_dual_fma_f32 v68, v40, v24, -v23
	v_pk_mul_f32 v[40:41], v[62:63], v[70:71] op_sel_hi:[1,0]
	s_delay_alu instid0(VALU_DEP_4) | instskip(NEXT) | instid1(VALU_DEP_4)
	v_pk_fma_f32 v[62:63], v[44:45], v[28:29], v[72:73] op_sel_hi:[1,0,1]
	v_pk_fma_f32 v[24:25], v[42:43], v[26:27], v[60:61] op_sel_hi:[1,0,1]
	v_pk_fma_f32 v[26:27], v[42:43], v[26:27], v[60:61] neg_lo:[0,0,1] neg_hi:[0,0,1]
	v_pk_add_f32 v[42:43], v[68:69], 0 op_sel_hi:[1,0]
	v_pk_fma_f32 v[28:29], v[44:45], v[28:29], v[72:73] neg_lo:[0,0,1] neg_hi:[0,0,1]
	v_pk_mul_f32 v[74:75], v[48:49], v[32:33] op_sel:[1,1] op_sel_hi:[0,1]
	v_dual_mov_b32 v27, v25 :: v_dual_mov_b32 v29, v63
	v_pk_fma_f32 v[44:45], v[46:47], v[30:31], v[40:41] op_sel_hi:[1,0,1]
	v_pk_fma_f32 v[30:31], v[46:47], v[30:31], v[40:41] neg_lo:[0,0,1] neg_hi:[0,0,1]
	v_pk_mul_f32 v[60:61], v[64:65], v[76:77] op_sel_hi:[1,0]
	s_delay_alu instid0(VALU_DEP_4)
	v_pk_add_f32 v[26:27], v[42:43], v[26:27]
	v_pk_fma_f32 v[42:43], v[48:49], v[32:33], v[74:75] op_sel_hi:[1,0,1]
	v_mov_b32_e32 v31, v45
	v_pk_fma_f32 v[32:33], v[48:49], v[32:33], v[74:75] neg_lo:[0,0,1] neg_hi:[0,0,1]
	s_wait_loadcnt 0x2
	v_pk_mul_f32 v[24:25], v[52:53], v[36:37] op_sel:[1,1] op_sel_hi:[0,1]
	v_pk_add_f32 v[26:27], v[26:27], v[28:29]
	v_mov_b32_e32 v28, v39
	v_pk_fma_f32 v[40:41], v[50:51], v[34:35], v[60:61] op_sel_hi:[1,0,1]
	v_mov_b32_e32 v33, v43
	v_pk_fma_f32 v[34:35], v[50:51], v[34:35], v[60:61] neg_lo:[0,0,1] neg_hi:[0,0,1]
	v_pk_add_f32 v[26:27], v[26:27], v[30:31]
	v_pk_fma_f32 v[30:31], v[52:53], v[36:37], v[24:25] op_sel_hi:[1,0,1]
	v_pk_mul_f32 v[28:29], v[66:67], v[28:29] op_sel_hi:[1,0]
	v_mov_b32_e32 v35, v41
	v_pk_fma_f32 v[24:25], v[52:53], v[36:37], v[24:25] neg_lo:[0,0,1] neg_hi:[0,0,1]
	v_pk_add_f32 v[26:27], v[26:27], v[32:33]
	s_wait_loadcnt_dscnt 0x100
	v_pk_mul_f32 v[32:33], v[58:59], v[0:1] op_sel:[1,1] op_sel_hi:[0,1]
	v_mov_b32_e32 v25, v31
	v_pk_fma_f32 v[30:31], v[54:55], v[38:39], v[28:29] op_sel_hi:[1,0,1]
	v_pk_fma_f32 v[28:29], v[54:55], v[38:39], v[28:29] neg_lo:[0,0,1] neg_hi:[0,0,1]
	v_pk_add_f32 v[26:27], v[26:27], v[34:35]
	v_pk_fma_f32 v[34:35], v[58:59], v[0:1], v[32:33] op_sel_hi:[1,0,1]
	v_pk_fma_f32 v[0:1], v[58:59], v[0:1], v[32:33] neg_lo:[0,0,1] neg_hi:[0,0,1]
	v_mov_b32_e32 v29, v31
	s_delay_alu instid0(VALU_DEP_4) | instskip(NEXT) | instid1(VALU_DEP_4)
	v_pk_add_f32 v[24:25], v[26:27], v[24:25]
	v_mov_b32_e32 v1, v35
	s_delay_alu instid0(VALU_DEP_2) | instskip(NEXT) | instid1(VALU_DEP_1)
	v_pk_add_f32 v[24:25], v[24:25], v[28:29]
	v_pk_add_f32 v[0:1], v[24:25], v[0:1]
	s_wait_loadcnt 0x0
	s_delay_alu instid0(VALU_DEP_1)
	v_pk_add_f32 v[0:1], v[56:57], v[0:1] neg_lo:[0,1] neg_hi:[0,1]
	scratch_store_b64 off, v[0:1], off
	s_cbranch_vccz .LBB9_92
; %bb.74:
	global_load_b32 v0, v22, s[2:3] offset:32
	s_wait_loadcnt 0x0
	v_cmp_ne_u32_e32 vcc_lo, 9, v0
	s_cbranch_vccz .LBB9_76
; %bb.75:
	v_lshlrev_b32_e32 v0, 3, v0
	s_delay_alu instid0(VALU_DEP_1)
	v_mov_b32_e32 v24, v0
	scratch_load_b64 v[0:1], v24, off offset:-8
	scratch_load_b64 v[22:23], off, off offset:64
	s_wait_loadcnt 0x1
	scratch_store_b64 off, v[0:1], off offset:64
	s_wait_loadcnt 0x0
	scratch_store_b64 v24, v[22:23], off offset:-8
.LBB9_76:
	s_wait_xcnt 0x1
	v_mov_b32_e32 v0, 0
	global_load_b32 v1, v0, s[2:3] offset:28
	s_wait_loadcnt 0x0
	v_cmp_eq_u32_e32 vcc_lo, 8, v1
	s_cbranch_vccnz .LBB9_78
; %bb.77:
	v_lshlrev_b32_e32 v1, 3, v1
	scratch_load_b64 v[22:23], v1, off offset:-8
	scratch_load_b64 v[24:25], off, off offset:56
	s_wait_loadcnt 0x1
	scratch_store_b64 off, v[22:23], off offset:56
	s_wait_loadcnt 0x0
	scratch_store_b64 v1, v[24:25], off offset:-8
.LBB9_78:
	global_load_b32 v0, v0, s[2:3] offset:24
	s_wait_loadcnt 0x0
	v_cmp_eq_u32_e32 vcc_lo, 7, v0
	s_cbranch_vccnz .LBB9_80
; %bb.79:
	s_wait_xcnt 0x0
	v_lshlrev_b32_e32 v0, 3, v0
	s_delay_alu instid0(VALU_DEP_1)
	v_mov_b32_e32 v24, v0
	scratch_load_b64 v[0:1], v24, off offset:-8
	scratch_load_b64 v[22:23], off, off offset:48
	s_wait_loadcnt 0x1
	scratch_store_b64 off, v[0:1], off offset:48
	s_wait_loadcnt 0x0
	scratch_store_b64 v24, v[22:23], off offset:-8
.LBB9_80:
	s_wait_xcnt 0x0
	v_mov_b32_e32 v0, 0
	global_load_b32 v1, v0, s[2:3] offset:20
	s_wait_loadcnt 0x0
	v_cmp_eq_u32_e32 vcc_lo, 6, v1
	s_cbranch_vccnz .LBB9_82
; %bb.81:
	v_lshlrev_b32_e32 v1, 3, v1
	scratch_load_b64 v[22:23], v1, off offset:-8
	scratch_load_b64 v[24:25], off, off offset:40
	s_wait_loadcnt 0x1
	scratch_store_b64 off, v[22:23], off offset:40
	s_wait_loadcnt 0x0
	scratch_store_b64 v1, v[24:25], off offset:-8
.LBB9_82:
	global_load_b32 v0, v0, s[2:3] offset:16
	s_wait_loadcnt 0x0
	v_cmp_eq_u32_e32 vcc_lo, 5, v0
	s_cbranch_vccnz .LBB9_84
; %bb.83:
	s_wait_xcnt 0x0
	v_lshlrev_b32_e32 v0, 3, v0
	s_delay_alu instid0(VALU_DEP_1)
	v_mov_b32_e32 v24, v0
	scratch_load_b64 v[0:1], v24, off offset:-8
	scratch_load_b64 v[22:23], off, off offset:32
	s_wait_loadcnt 0x1
	scratch_store_b64 off, v[0:1], off offset:32
	s_wait_loadcnt 0x0
	scratch_store_b64 v24, v[22:23], off offset:-8
.LBB9_84:
	;; [unrolled: 31-line block ×3, first 2 shown]
	s_wait_xcnt 0x0
	v_mov_b32_e32 v0, 0
	global_load_b32 v1, v0, s[2:3] offset:4
	s_wait_loadcnt 0x0
	v_cmp_eq_u32_e32 vcc_lo, 2, v1
	s_cbranch_vccnz .LBB9_90
; %bb.89:
	v_lshlrev_b32_e32 v1, 3, v1
	scratch_load_b64 v[22:23], v1, off offset:-8
	scratch_load_b64 v[24:25], off, off offset:8
	s_wait_loadcnt 0x1
	scratch_store_b64 off, v[22:23], off offset:8
	s_wait_loadcnt 0x0
	scratch_store_b64 v1, v[24:25], off offset:-8
.LBB9_90:
	global_load_b32 v22, v0, s[2:3]
	scratch_load_b64 v[0:1], off, off
	s_wait_loadcnt 0x1
	v_cmp_eq_u32_e32 vcc_lo, 1, v22
	s_cbranch_vccnz .LBB9_92
; %bb.91:
	v_lshlrev_b32_e32 v22, 3, v22
	s_delay_alu instid0(VALU_DEP_1)
	v_mov_b32_e32 v24, v22
	scratch_load_b64 v[22:23], v24, off offset:-8
	s_wait_loadcnt 0x0
	scratch_store_b64 off, v[22:23], off
	scratch_store_b64 v24, v[0:1], off offset:-8
	scratch_load_b64 v[0:1], off, off
.LBB9_92:
	s_clause 0x4
	scratch_load_b128 v[22:25], off, off offset:8
	scratch_load_b128 v[26:29], off, off offset:24
	;; [unrolled: 1-line block ×4, first 2 shown]
	scratch_load_b64 v[38:39], off, off offset:72
	v_lshl_add_u64 v[6:7], v[6:7], 3, s[4:5]
	v_lshl_add_u64 v[8:9], v[8:9], 3, s[4:5]
	;; [unrolled: 1-line block ×8, first 2 shown]
	s_wait_loadcnt 0x5
	global_store_b64 v[2:3], v[0:1], off
	s_wait_loadcnt 0x4
	s_clause 0x1
	global_store_b64 v[4:5], v[22:23], off
	global_store_b64 v[6:7], v[24:25], off
	s_wait_loadcnt 0x3
	s_clause 0x1
	global_store_b64 v[8:9], v[26:27], off
	global_store_b64 v[10:11], v[28:29], off
	s_wait_loadcnt 0x2
	s_clause 0x1
	global_store_b64 v[12:13], v[30:31], off
	global_store_b64 v[14:15], v[32:33], off
	s_wait_loadcnt 0x1
	s_clause 0x1
	global_store_b64 v[16:17], v[34:35], off
	global_store_b64 v[18:19], v[36:37], off
	s_wait_loadcnt 0x0
	global_store_b64 v[20:21], v[38:39], off
	s_sendmsg sendmsg(MSG_DEALLOC_VGPRS)
	s_endpgm
	.section	.rodata,"a",@progbits
	.p2align	6, 0x0
	.amdhsa_kernel _ZN9rocsolver6v33100L18getri_kernel_smallILi10E19rocblas_complex_numIfEPS3_EEvT1_iilPiilS6_bb
		.amdhsa_group_segment_fixed_size 164
		.amdhsa_private_segment_fixed_size 96
		.amdhsa_kernarg_size 60
		.amdhsa_user_sgpr_count 2
		.amdhsa_user_sgpr_dispatch_ptr 0
		.amdhsa_user_sgpr_queue_ptr 0
		.amdhsa_user_sgpr_kernarg_segment_ptr 1
		.amdhsa_user_sgpr_dispatch_id 0
		.amdhsa_user_sgpr_kernarg_preload_length 0
		.amdhsa_user_sgpr_kernarg_preload_offset 0
		.amdhsa_user_sgpr_private_segment_size 0
		.amdhsa_wavefront_size32 1
		.amdhsa_uses_dynamic_stack 0
		.amdhsa_enable_private_segment 1
		.amdhsa_system_sgpr_workgroup_id_x 1
		.amdhsa_system_sgpr_workgroup_id_y 0
		.amdhsa_system_sgpr_workgroup_id_z 0
		.amdhsa_system_sgpr_workgroup_info 0
		.amdhsa_system_vgpr_workitem_id 0
		.amdhsa_next_free_vgpr 78
		.amdhsa_next_free_sgpr 19
		.amdhsa_named_barrier_count 0
		.amdhsa_reserve_vcc 1
		.amdhsa_float_round_mode_32 0
		.amdhsa_float_round_mode_16_64 0
		.amdhsa_float_denorm_mode_32 3
		.amdhsa_float_denorm_mode_16_64 3
		.amdhsa_fp16_overflow 0
		.amdhsa_memory_ordered 1
		.amdhsa_forward_progress 1
		.amdhsa_inst_pref_size 68
		.amdhsa_round_robin_scheduling 0
		.amdhsa_exception_fp_ieee_invalid_op 0
		.amdhsa_exception_fp_denorm_src 0
		.amdhsa_exception_fp_ieee_div_zero 0
		.amdhsa_exception_fp_ieee_overflow 0
		.amdhsa_exception_fp_ieee_underflow 0
		.amdhsa_exception_fp_ieee_inexact 0
		.amdhsa_exception_int_div_zero 0
	.end_amdhsa_kernel
	.section	.text._ZN9rocsolver6v33100L18getri_kernel_smallILi10E19rocblas_complex_numIfEPS3_EEvT1_iilPiilS6_bb,"axG",@progbits,_ZN9rocsolver6v33100L18getri_kernel_smallILi10E19rocblas_complex_numIfEPS3_EEvT1_iilPiilS6_bb,comdat
.Lfunc_end9:
	.size	_ZN9rocsolver6v33100L18getri_kernel_smallILi10E19rocblas_complex_numIfEPS3_EEvT1_iilPiilS6_bb, .Lfunc_end9-_ZN9rocsolver6v33100L18getri_kernel_smallILi10E19rocblas_complex_numIfEPS3_EEvT1_iilPiilS6_bb
                                        ; -- End function
	.set _ZN9rocsolver6v33100L18getri_kernel_smallILi10E19rocblas_complex_numIfEPS3_EEvT1_iilPiilS6_bb.num_vgpr, 78
	.set _ZN9rocsolver6v33100L18getri_kernel_smallILi10E19rocblas_complex_numIfEPS3_EEvT1_iilPiilS6_bb.num_agpr, 0
	.set _ZN9rocsolver6v33100L18getri_kernel_smallILi10E19rocblas_complex_numIfEPS3_EEvT1_iilPiilS6_bb.numbered_sgpr, 19
	.set _ZN9rocsolver6v33100L18getri_kernel_smallILi10E19rocblas_complex_numIfEPS3_EEvT1_iilPiilS6_bb.num_named_barrier, 0
	.set _ZN9rocsolver6v33100L18getri_kernel_smallILi10E19rocblas_complex_numIfEPS3_EEvT1_iilPiilS6_bb.private_seg_size, 96
	.set _ZN9rocsolver6v33100L18getri_kernel_smallILi10E19rocblas_complex_numIfEPS3_EEvT1_iilPiilS6_bb.uses_vcc, 1
	.set _ZN9rocsolver6v33100L18getri_kernel_smallILi10E19rocblas_complex_numIfEPS3_EEvT1_iilPiilS6_bb.uses_flat_scratch, 1
	.set _ZN9rocsolver6v33100L18getri_kernel_smallILi10E19rocblas_complex_numIfEPS3_EEvT1_iilPiilS6_bb.has_dyn_sized_stack, 0
	.set _ZN9rocsolver6v33100L18getri_kernel_smallILi10E19rocblas_complex_numIfEPS3_EEvT1_iilPiilS6_bb.has_recursion, 0
	.set _ZN9rocsolver6v33100L18getri_kernel_smallILi10E19rocblas_complex_numIfEPS3_EEvT1_iilPiilS6_bb.has_indirect_call, 0
	.section	.AMDGPU.csdata,"",@progbits
; Kernel info:
; codeLenInByte = 8700
; TotalNumSgprs: 21
; NumVgprs: 78
; ScratchSize: 96
; MemoryBound: 0
; FloatMode: 240
; IeeeMode: 1
; LDSByteSize: 164 bytes/workgroup (compile time only)
; SGPRBlocks: 0
; VGPRBlocks: 4
; NumSGPRsForWavesPerEU: 21
; NumVGPRsForWavesPerEU: 78
; NamedBarCnt: 0
; Occupancy: 12
; WaveLimiterHint : 1
; COMPUTE_PGM_RSRC2:SCRATCH_EN: 1
; COMPUTE_PGM_RSRC2:USER_SGPR: 2
; COMPUTE_PGM_RSRC2:TRAP_HANDLER: 0
; COMPUTE_PGM_RSRC2:TGID_X_EN: 1
; COMPUTE_PGM_RSRC2:TGID_Y_EN: 0
; COMPUTE_PGM_RSRC2:TGID_Z_EN: 0
; COMPUTE_PGM_RSRC2:TIDIG_COMP_CNT: 0
	.section	.text._ZN9rocsolver6v33100L18getri_kernel_smallILi11E19rocblas_complex_numIfEPS3_EEvT1_iilPiilS6_bb,"axG",@progbits,_ZN9rocsolver6v33100L18getri_kernel_smallILi11E19rocblas_complex_numIfEPS3_EEvT1_iilPiilS6_bb,comdat
	.globl	_ZN9rocsolver6v33100L18getri_kernel_smallILi11E19rocblas_complex_numIfEPS3_EEvT1_iilPiilS6_bb ; -- Begin function _ZN9rocsolver6v33100L18getri_kernel_smallILi11E19rocblas_complex_numIfEPS3_EEvT1_iilPiilS6_bb
	.p2align	8
	.type	_ZN9rocsolver6v33100L18getri_kernel_smallILi11E19rocblas_complex_numIfEPS3_EEvT1_iilPiilS6_bb,@function
_ZN9rocsolver6v33100L18getri_kernel_smallILi11E19rocblas_complex_numIfEPS3_EEvT1_iilPiilS6_bb: ; @_ZN9rocsolver6v33100L18getri_kernel_smallILi11E19rocblas_complex_numIfEPS3_EEvT1_iilPiilS6_bb
; %bb.0:
	s_mov_b32 s2, exec_lo
	v_cmpx_gt_u32_e32 11, v0
	s_cbranch_execz .LBB10_58
; %bb.1:
	s_clause 0x2
	s_load_b32 s2, s[0:1], 0x38
	s_load_b128 s[12:15], s[0:1], 0x10
	s_load_b128 s[4:7], s[0:1], 0x28
	s_getreg_b32 s9, hwreg(HW_REG_IB_STS2, 6, 4)
	s_wait_kmcnt 0x0
	s_bitcmp1_b32 s2, 8
	s_cselect_b32 s18, -1, 0
	s_bfe_u32 s3, ttmp6, 0x4000c
	s_and_b32 s8, ttmp6, 15
	s_add_co_i32 s3, s3, 1
	s_delay_alu instid0(SALU_CYCLE_1) | instskip(NEXT) | instid1(SALU_CYCLE_1)
	s_mul_i32 s3, ttmp9, s3
	s_add_co_i32 s8, s8, s3
	s_cmp_eq_u32 s9, 0
	s_cselect_b32 s16, ttmp9, s8
	s_bfe_u32 s2, s2, 0x10008
	s_ashr_i32 s17, s16, 31
	s_cmp_eq_u32 s2, 0
                                        ; implicit-def: $sgpr2_sgpr3
	s_cbranch_scc1 .LBB10_3
; %bb.2:
	s_load_b32 s2, s[0:1], 0x20
	s_mul_u64 s[4:5], s[4:5], s[16:17]
	s_delay_alu instid0(SALU_CYCLE_1) | instskip(NEXT) | instid1(SALU_CYCLE_1)
	s_lshl_b64 s[4:5], s[4:5], 2
	s_add_nc_u64 s[4:5], s[14:15], s[4:5]
	s_wait_kmcnt 0x0
	s_ashr_i32 s3, s2, 31
	s_delay_alu instid0(SALU_CYCLE_1) | instskip(NEXT) | instid1(SALU_CYCLE_1)
	s_lshl_b64 s[2:3], s[2:3], 2
	s_add_nc_u64 s[2:3], s[4:5], s[2:3]
.LBB10_3:
	s_clause 0x1
	s_load_b128 s[8:11], s[0:1], 0x0
	s_load_b32 s14, s[0:1], 0x38
	s_wait_xcnt 0x0
	s_mul_u64 s[0:1], s[12:13], s[16:17]
	v_lshlrev_b32_e32 v24, 3, v0
	s_lshl_b64 s[0:1], s[0:1], 3
	v_mov_b32_e32 v25, 0
	s_wait_kmcnt 0x0
	v_add3_u32 v6, s11, s11, v0
	s_ashr_i32 s5, s10, 31
	s_mov_b32 s4, s10
	s_add_nc_u64 s[0:1], s[8:9], s[0:1]
	s_lshl_b64 s[4:5], s[4:5], 3
	v_add_nc_u32_e32 v8, s11, v6
	s_add_nc_u64 s[4:5], s[0:1], s[4:5]
	s_ashr_i32 s1, s11, 31
	s_mov_b32 s0, s11
	s_bitcmp0_b32 s14, 0
	v_add_nc_u32_e32 v10, s11, v8
	v_add_nc_u64_e32 v[2:3], s[4:5], v[24:25]
	s_delay_alu instid0(VALU_DEP_2) | instskip(NEXT) | instid1(VALU_DEP_2)
	v_add_nc_u32_e32 v12, s11, v10
	v_lshl_add_u64 v[4:5], s[0:1], 3, v[2:3]
	s_mov_b32 s1, -1
	s_delay_alu instid0(VALU_DEP_2) | instskip(SKIP_4) | instid1(VALU_DEP_1)
	v_add_nc_u32_e32 v14, s11, v12
	s_clause 0x1
	global_load_b64 v[26:27], v0, s[4:5] scale_offset
	global_load_b64 v[28:29], v[4:5], off
	v_add_nc_u32_e32 v16, s11, v14
	v_add_nc_u32_e32 v18, s11, v16
	s_clause 0x3
	global_load_b64 v[30:31], v6, s[4:5] scale_offset
	global_load_b64 v[32:33], v8, s[4:5] scale_offset
	;; [unrolled: 1-line block ×4, first 2 shown]
	v_add_nc_u32_e32 v20, s11, v18
	s_delay_alu instid0(VALU_DEP_1)
	v_add_nc_u32_e32 v22, s11, v20
	s_clause 0x4
	global_load_b64 v[38:39], v14, s[4:5] scale_offset
	global_load_b64 v[40:41], v16, s[4:5] scale_offset
	;; [unrolled: 1-line block ×5, first 2 shown]
	s_wait_loadcnt 0x9
	scratch_store_b128 off, v[26:29], off
	s_wait_loadcnt 0x7
	scratch_store_b128 off, v[30:33], off offset:16
	s_wait_loadcnt 0x5
	scratch_store_b128 off, v[34:37], off offset:32
	;; [unrolled: 2-line block ×4, first 2 shown]
	s_wait_loadcnt 0x0
	scratch_store_b64 off, v[46:47], off offset:80
	s_cbranch_scc1 .LBB10_56
; %bb.4:
	v_cmp_eq_u32_e64 s0, 0, v0
	s_wait_xcnt 0x0
	s_and_saveexec_b32 s1, s0
; %bb.5:
	v_mov_b32_e32 v1, 0
	ds_store_b32 v1, v1 offset:88
; %bb.6:
	s_or_b32 exec_lo, exec_lo, s1
	s_wait_storecnt_dscnt 0x0
	s_barrier_signal -1
	s_barrier_wait -1
	scratch_load_b64 v[26:27], v0, off scale_offset
	s_wait_loadcnt 0x0
	v_cmp_eq_f32_e32 vcc_lo, 0, v26
	v_cmp_eq_f32_e64 s1, 0, v27
	s_and_b32 s1, vcc_lo, s1
	s_delay_alu instid0(SALU_CYCLE_1)
	s_and_saveexec_b32 s8, s1
	s_cbranch_execz .LBB10_10
; %bb.7:
	v_mov_b32_e32 v1, 0
	s_mov_b32 s9, 0
	ds_load_b32 v7, v1 offset:88
	s_wait_dscnt 0x0
	v_readfirstlane_b32 s1, v7
	v_add_nc_u32_e32 v7, 1, v0
	s_cmp_eq_u32 s1, 0
	s_delay_alu instid0(VALU_DEP_1) | instskip(SKIP_1) | instid1(SALU_CYCLE_1)
	v_cmp_gt_i32_e32 vcc_lo, s1, v7
	s_cselect_b32 s10, -1, 0
	s_or_b32 s10, s10, vcc_lo
	s_delay_alu instid0(SALU_CYCLE_1)
	s_and_b32 exec_lo, exec_lo, s10
	s_cbranch_execz .LBB10_10
; %bb.8:
	v_mov_b32_e32 v9, s1
.LBB10_9:                               ; =>This Inner Loop Header: Depth=1
	ds_cmpstore_rtn_b32 v9, v1, v7, v9 offset:88
	s_wait_dscnt 0x0
	v_cmp_ne_u32_e32 vcc_lo, 0, v9
	v_cmp_le_i32_e64 s1, v9, v7
	s_and_b32 s1, vcc_lo, s1
	s_delay_alu instid0(SALU_CYCLE_1) | instskip(NEXT) | instid1(SALU_CYCLE_1)
	s_and_b32 s1, exec_lo, s1
	s_or_b32 s9, s1, s9
	s_delay_alu instid0(SALU_CYCLE_1)
	s_and_not1_b32 exec_lo, exec_lo, s9
	s_cbranch_execnz .LBB10_9
.LBB10_10:
	s_or_b32 exec_lo, exec_lo, s8
	v_mov_b32_e32 v1, 0
	s_barrier_signal -1
	s_barrier_wait -1
	ds_load_b32 v7, v1 offset:88
	s_and_saveexec_b32 s1, s0
	s_cbranch_execz .LBB10_12
; %bb.11:
	s_lshl_b64 s[8:9], s[16:17], 2
	s_delay_alu instid0(SALU_CYCLE_1)
	s_add_nc_u64 s[8:9], s[6:7], s[8:9]
	s_wait_dscnt 0x0
	global_store_b32 v1, v7, s[8:9]
.LBB10_12:
	s_wait_xcnt 0x0
	s_or_b32 exec_lo, exec_lo, s1
	s_wait_dscnt 0x0
	v_cmp_ne_u32_e32 vcc_lo, 0, v7
	s_mov_b32 s1, 0
	s_cbranch_vccnz .LBB10_56
; %bb.13:
	v_lshl_add_u32 v7, v0, 3, 0
                                        ; implicit-def: $vgpr29
                                        ; implicit-def: $vgpr30
	scratch_load_b64 v[26:27], v7, off
	s_wait_loadcnt 0x0
	v_cmp_ngt_f32_e64 s1, |v26|, |v27|
	s_wait_xcnt 0x0
	s_and_saveexec_b32 s8, s1
	s_delay_alu instid0(SALU_CYCLE_1)
	s_xor_b32 s1, exec_lo, s8
	s_cbranch_execz .LBB10_15
; %bb.14:
	v_div_scale_f32 v1, null, v27, v27, v26
	v_div_scale_f32 v13, vcc_lo, v26, v27, v26
	s_delay_alu instid0(VALU_DEP_2) | instskip(SKIP_1) | instid1(TRANS32_DEP_1)
	v_rcp_f32_e32 v9, v1
	v_nop
	v_fma_f32 v11, -v1, v9, 1.0
	s_delay_alu instid0(VALU_DEP_1) | instskip(NEXT) | instid1(VALU_DEP_1)
	v_fmac_f32_e32 v9, v11, v9
	v_mul_f32_e32 v11, v13, v9
	s_delay_alu instid0(VALU_DEP_1) | instskip(NEXT) | instid1(VALU_DEP_1)
	v_fma_f32 v15, -v1, v11, v13
	v_fmac_f32_e32 v11, v15, v9
	s_delay_alu instid0(VALU_DEP_1) | instskip(NEXT) | instid1(VALU_DEP_1)
	v_fma_f32 v1, -v1, v11, v13
	v_div_fmas_f32 v1, v1, v9, v11
	s_delay_alu instid0(VALU_DEP_1) | instskip(NEXT) | instid1(VALU_DEP_1)
	v_div_fixup_f32 v1, v1, v27, v26
	v_fmac_f32_e32 v27, v26, v1
	s_delay_alu instid0(VALU_DEP_1) | instskip(NEXT) | instid1(VALU_DEP_1)
	v_div_scale_f32 v9, null, v27, v27, -1.0
	v_rcp_f32_e32 v11, v9
	v_nop
	s_delay_alu instid0(TRANS32_DEP_1) | instskip(NEXT) | instid1(VALU_DEP_1)
	v_fma_f32 v13, -v9, v11, 1.0
	v_fmac_f32_e32 v11, v13, v11
	v_div_scale_f32 v13, vcc_lo, -1.0, v27, -1.0
	s_delay_alu instid0(VALU_DEP_1) | instskip(NEXT) | instid1(VALU_DEP_1)
	v_mul_f32_e32 v15, v13, v11
	v_fma_f32 v17, -v9, v15, v13
	s_delay_alu instid0(VALU_DEP_1) | instskip(NEXT) | instid1(VALU_DEP_1)
	v_fmac_f32_e32 v15, v17, v11
	v_fma_f32 v9, -v9, v15, v13
	s_delay_alu instid0(VALU_DEP_1) | instskip(NEXT) | instid1(VALU_DEP_1)
	v_div_fmas_f32 v9, v9, v11, v15
	v_div_fixup_f32 v29, v9, v27, -1.0
                                        ; implicit-def: $vgpr26_vgpr27
	s_delay_alu instid0(VALU_DEP_1) | instskip(NEXT) | instid1(VALU_DEP_1)
	v_mul_f32_e32 v30, v1, v29
	v_xor_b32_e32 v28, 0x80000000, v30
.LBB10_15:
	s_and_not1_saveexec_b32 s1, s1
	s_cbranch_execz .LBB10_17
; %bb.16:
	v_div_scale_f32 v1, null, v26, v26, v27
	v_div_scale_f32 v13, vcc_lo, v27, v26, v27
	s_delay_alu instid0(VALU_DEP_2) | instskip(SKIP_1) | instid1(TRANS32_DEP_1)
	v_rcp_f32_e32 v9, v1
	v_nop
	v_fma_f32 v11, -v1, v9, 1.0
	s_delay_alu instid0(VALU_DEP_1) | instskip(NEXT) | instid1(VALU_DEP_1)
	v_fmac_f32_e32 v9, v11, v9
	v_mul_f32_e32 v11, v13, v9
	s_delay_alu instid0(VALU_DEP_1) | instskip(NEXT) | instid1(VALU_DEP_1)
	v_fma_f32 v15, -v1, v11, v13
	v_fmac_f32_e32 v11, v15, v9
	s_delay_alu instid0(VALU_DEP_1) | instskip(NEXT) | instid1(VALU_DEP_1)
	v_fma_f32 v1, -v1, v11, v13
	v_div_fmas_f32 v1, v1, v9, v11
	s_delay_alu instid0(VALU_DEP_1) | instskip(NEXT) | instid1(VALU_DEP_1)
	v_div_fixup_f32 v1, v1, v26, v27
	v_fmac_f32_e32 v26, v27, v1
	s_delay_alu instid0(VALU_DEP_1) | instskip(SKIP_1) | instid1(VALU_DEP_2)
	v_div_scale_f32 v9, null, v26, v26, 1.0
	v_div_scale_f32 v15, vcc_lo, 1.0, v26, 1.0
	v_rcp_f32_e32 v11, v9
	v_nop
	s_delay_alu instid0(TRANS32_DEP_1) | instskip(NEXT) | instid1(VALU_DEP_1)
	v_fma_f32 v13, -v9, v11, 1.0
	v_fmac_f32_e32 v11, v13, v11
	s_delay_alu instid0(VALU_DEP_1) | instskip(NEXT) | instid1(VALU_DEP_1)
	v_mul_f32_e32 v13, v15, v11
	v_fma_f32 v17, -v9, v13, v15
	s_delay_alu instid0(VALU_DEP_1) | instskip(NEXT) | instid1(VALU_DEP_1)
	v_fmac_f32_e32 v13, v17, v11
	v_fma_f32 v9, -v9, v13, v15
	s_delay_alu instid0(VALU_DEP_1) | instskip(NEXT) | instid1(VALU_DEP_1)
	v_div_fmas_f32 v9, v9, v11, v13
	v_div_fixup_f32 v28, v9, v26, 1.0
	s_delay_alu instid0(VALU_DEP_1)
	v_xor_b32_e32 v30, 0x80000000, v28
	v_mul_f32_e64 v29, v1, -v28
.LBB10_17:
	s_or_b32 exec_lo, exec_lo, s1
	scratch_store_b64 v7, v[28:29], off
	scratch_load_b64 v[26:27], off, off offset:8
	v_xor_b32_e32 v31, 0x80000000, v29
	v_add_nc_u32_e32 v1, 0x60, v24
	s_wait_loadcnt 0x0
	ds_store_2addr_b64 v24, v[30:31], v[26:27] offset1:12
	s_wait_storecnt_dscnt 0x0
	s_barrier_signal -1
	s_barrier_wait -1
	s_wait_xcnt 0x0
	s_and_saveexec_b32 s1, s0
	s_cbranch_execz .LBB10_19
; %bb.18:
	scratch_load_b64 v[26:27], v7, off
	ds_load_b64 v[28:29], v1
	s_wait_loadcnt_dscnt 0x0
	v_pk_mul_f32 v[32:33], v[28:29], v[26:27] op_sel:[1,1] op_sel_hi:[0,1]
	s_delay_alu instid0(VALU_DEP_1) | instskip(SKIP_2) | instid1(VALU_DEP_3)
	v_pk_fma_f32 v[34:35], v[28:29], v[26:27], v[32:33] op_sel_hi:[1,0,1]
	v_mov_b32_e32 v9, 0
	v_pk_fma_f32 v[26:27], v[28:29], v[26:27], v[32:33] neg_lo:[0,0,1] neg_hi:[0,0,1]
	v_mov_b32_e32 v27, v35
	ds_load_b64 v[30:31], v9 offset:8
	v_pk_add_f32 v[26:27], v[26:27], 0 op_sel_hi:[1,0]
	s_wait_dscnt 0x0
	s_delay_alu instid0(VALU_DEP_1) | instskip(NEXT) | instid1(VALU_DEP_1)
	v_pk_mul_f32 v[28:29], v[26:27], v[30:31] op_sel:[1,1] op_sel_hi:[0,1]
	v_pk_fma_f32 v[32:33], v[26:27], v[30:31], v[28:29] op_sel_hi:[1,0,1]
	v_pk_fma_f32 v[26:27], v[26:27], v[30:31], v[28:29] neg_lo:[0,0,1] neg_hi:[0,0,1]
	s_delay_alu instid0(VALU_DEP_2)
	v_mov_b32_e32 v27, v33
	scratch_store_b64 off, v[26:27], off offset:8
.LBB10_19:
	s_wait_xcnt 0x0
	s_or_b32 exec_lo, exec_lo, s1
	s_wait_storecnt 0x0
	s_barrier_signal -1
	s_barrier_wait -1
	scratch_load_b64 v[26:27], off, off offset:16
	s_mov_b32 s1, exec_lo
	s_wait_loadcnt 0x0
	ds_store_b64 v1, v[26:27]
	s_wait_dscnt 0x0
	s_barrier_signal -1
	s_barrier_wait -1
	v_cmpx_gt_u32_e32 2, v0
	s_cbranch_execz .LBB10_23
; %bb.20:
	scratch_load_b64 v[26:27], v7, off
	ds_load_b64 v[28:29], v1
	s_wait_loadcnt_dscnt 0x0
	v_pk_mul_f32 v[30:31], v[28:29], v[26:27] op_sel:[1,1] op_sel_hi:[0,1]
	s_delay_alu instid0(VALU_DEP_1) | instskip(SKIP_1) | instid1(VALU_DEP_2)
	v_pk_fma_f32 v[32:33], v[28:29], v[26:27], v[30:31] op_sel_hi:[1,0,1]
	v_pk_fma_f32 v[26:27], v[28:29], v[26:27], v[30:31] neg_lo:[0,0,1] neg_hi:[0,0,1]
	v_mov_b32_e32 v27, v33
	s_delay_alu instid0(VALU_DEP_1)
	v_pk_add_f32 v[26:27], v[26:27], 0 op_sel_hi:[1,0]
	s_and_saveexec_b32 s8, s0
	s_cbranch_execz .LBB10_22
; %bb.21:
	scratch_load_b64 v[28:29], off, off offset:8
	v_mov_b32_e32 v7, 0
	ds_load_b64 v[30:31], v7 offset:104
	s_wait_loadcnt_dscnt 0x0
	v_pk_mul_f32 v[32:33], v[30:31], v[28:29] op_sel:[1,1] op_sel_hi:[0,1]
	s_delay_alu instid0(VALU_DEP_1) | instskip(SKIP_1) | instid1(VALU_DEP_2)
	v_pk_fma_f32 v[34:35], v[30:31], v[28:29], v[32:33] op_sel_hi:[1,0,1]
	v_pk_fma_f32 v[28:29], v[30:31], v[28:29], v[32:33] neg_lo:[0,0,1] neg_hi:[0,0,1]
	v_mov_b32_e32 v29, v35
	s_delay_alu instid0(VALU_DEP_1)
	v_pk_add_f32 v[26:27], v[26:27], v[28:29]
.LBB10_22:
	s_or_b32 exec_lo, exec_lo, s8
	v_mov_b32_e32 v7, 0
	ds_load_b64 v[28:29], v7 offset:16
	s_wait_dscnt 0x0
	v_pk_mul_f32 v[30:31], v[26:27], v[28:29] op_sel:[1,1] op_sel_hi:[0,1]
	s_delay_alu instid0(VALU_DEP_1) | instskip(SKIP_1) | instid1(VALU_DEP_2)
	v_pk_fma_f32 v[32:33], v[26:27], v[28:29], v[30:31] op_sel_hi:[1,0,1]
	v_pk_fma_f32 v[26:27], v[26:27], v[28:29], v[30:31] neg_lo:[0,0,1] neg_hi:[0,0,1]
	v_mov_b32_e32 v27, v33
	scratch_store_b64 off, v[26:27], off offset:16
.LBB10_23:
	s_wait_xcnt 0x0
	s_or_b32 exec_lo, exec_lo, s1
	s_wait_storecnt 0x0
	s_barrier_signal -1
	s_barrier_wait -1
	scratch_load_b64 v[26:27], off, off offset:24
	v_add_nc_u32_e32 v7, -1, v0
	s_mov_b32 s0, exec_lo
	s_wait_loadcnt 0x0
	ds_store_b64 v1, v[26:27]
	s_wait_dscnt 0x0
	s_barrier_signal -1
	s_barrier_wait -1
	v_cmpx_gt_u32_e32 3, v0
	s_cbranch_execz .LBB10_27
; %bb.24:
	v_dual_mov_b32 v26, 0 :: v_dual_add_nc_u32 v9, -1, v0
	v_add_nc_u32_e32 v11, 0x60, v24
	v_mov_b32_e32 v13, v24
	s_mov_b32 s1, 0
	s_delay_alu instid0(VALU_DEP_3)
	v_mov_b32_e32 v27, v26
.LBB10_25:                              ; =>This Inner Loop Header: Depth=1
	scratch_load_b64 v[28:29], v13, off
	ds_load_b64 v[30:31], v11
	s_wait_xcnt 0x0
	v_dual_add_nc_u32 v11, 8, v11 :: v_dual_add_nc_u32 v13, 8, v13
	s_wait_loadcnt_dscnt 0x0
	v_pk_mul_f32 v[32:33], v[30:31], v[28:29] op_sel:[1,1] op_sel_hi:[0,1]
	s_delay_alu instid0(VALU_DEP_1) | instskip(SKIP_2) | instid1(VALU_DEP_3)
	v_pk_fma_f32 v[34:35], v[30:31], v[28:29], v[32:33] op_sel_hi:[1,0,1]
	v_add_nc_u32_e32 v9, 1, v9
	v_pk_fma_f32 v[28:29], v[30:31], v[28:29], v[32:33] neg_lo:[0,0,1] neg_hi:[0,0,1]
	v_mov_b32_e32 v29, v35
	s_delay_alu instid0(VALU_DEP_3) | instskip(NEXT) | instid1(VALU_DEP_2)
	v_cmp_lt_u32_e32 vcc_lo, 1, v9
	v_pk_add_f32 v[26:27], v[26:27], v[28:29]
	s_or_b32 s1, vcc_lo, s1
	s_delay_alu instid0(SALU_CYCLE_1)
	s_and_not1_b32 exec_lo, exec_lo, s1
	s_cbranch_execnz .LBB10_25
; %bb.26:
	s_or_b32 exec_lo, exec_lo, s1
	v_mov_b32_e32 v9, 0
	ds_load_b64 v[28:29], v9 offset:24
	s_wait_dscnt 0x0
	v_pk_mul_f32 v[30:31], v[26:27], v[28:29] op_sel:[1,1] op_sel_hi:[0,1]
	s_delay_alu instid0(VALU_DEP_1) | instskip(SKIP_1) | instid1(VALU_DEP_2)
	v_pk_fma_f32 v[32:33], v[26:27], v[28:29], v[30:31] op_sel_hi:[1,0,1]
	v_pk_fma_f32 v[26:27], v[26:27], v[28:29], v[30:31] neg_lo:[0,0,1] neg_hi:[0,0,1]
	v_mov_b32_e32 v27, v33
	scratch_store_b64 off, v[26:27], off offset:24
.LBB10_27:
	s_wait_xcnt 0x0
	s_or_b32 exec_lo, exec_lo, s0
	s_wait_storecnt 0x0
	s_barrier_signal -1
	s_barrier_wait -1
	scratch_load_b64 v[26:27], off, off offset:32
	s_mov_b32 s0, exec_lo
	s_wait_loadcnt 0x0
	ds_store_b64 v1, v[26:27]
	s_wait_dscnt 0x0
	s_barrier_signal -1
	s_barrier_wait -1
	v_cmpx_gt_u32_e32 4, v0
	s_cbranch_execz .LBB10_31
; %bb.28:
	v_dual_mov_b32 v26, 0 :: v_dual_add_nc_u32 v9, -1, v0
	v_add_nc_u32_e32 v11, 0x60, v24
	v_mov_b32_e32 v13, v24
	s_mov_b32 s1, 0
	s_delay_alu instid0(VALU_DEP_3)
	v_mov_b32_e32 v27, v26
.LBB10_29:                              ; =>This Inner Loop Header: Depth=1
	scratch_load_b64 v[28:29], v13, off
	ds_load_b64 v[30:31], v11
	s_wait_xcnt 0x0
	v_dual_add_nc_u32 v11, 8, v11 :: v_dual_add_nc_u32 v13, 8, v13
	s_wait_loadcnt_dscnt 0x0
	v_pk_mul_f32 v[32:33], v[30:31], v[28:29] op_sel:[1,1] op_sel_hi:[0,1]
	s_delay_alu instid0(VALU_DEP_1) | instskip(SKIP_2) | instid1(VALU_DEP_3)
	v_pk_fma_f32 v[34:35], v[30:31], v[28:29], v[32:33] op_sel_hi:[1,0,1]
	v_add_nc_u32_e32 v9, 1, v9
	v_pk_fma_f32 v[28:29], v[30:31], v[28:29], v[32:33] neg_lo:[0,0,1] neg_hi:[0,0,1]
	v_mov_b32_e32 v29, v35
	s_delay_alu instid0(VALU_DEP_3) | instskip(NEXT) | instid1(VALU_DEP_2)
	v_cmp_lt_u32_e32 vcc_lo, 2, v9
	v_pk_add_f32 v[26:27], v[26:27], v[28:29]
	s_or_b32 s1, vcc_lo, s1
	s_delay_alu instid0(SALU_CYCLE_1)
	s_and_not1_b32 exec_lo, exec_lo, s1
	s_cbranch_execnz .LBB10_29
; %bb.30:
	s_or_b32 exec_lo, exec_lo, s1
	v_mov_b32_e32 v9, 0
	ds_load_b64 v[28:29], v9 offset:32
	s_wait_dscnt 0x0
	v_pk_mul_f32 v[30:31], v[26:27], v[28:29] op_sel:[1,1] op_sel_hi:[0,1]
	s_delay_alu instid0(VALU_DEP_1) | instskip(SKIP_1) | instid1(VALU_DEP_2)
	v_pk_fma_f32 v[32:33], v[26:27], v[28:29], v[30:31] op_sel_hi:[1,0,1]
	v_pk_fma_f32 v[26:27], v[26:27], v[28:29], v[30:31] neg_lo:[0,0,1] neg_hi:[0,0,1]
	v_mov_b32_e32 v27, v33
	scratch_store_b64 off, v[26:27], off offset:32
.LBB10_31:
	s_wait_xcnt 0x0
	s_or_b32 exec_lo, exec_lo, s0
	s_wait_storecnt 0x0
	s_barrier_signal -1
	s_barrier_wait -1
	scratch_load_b64 v[26:27], off, off offset:40
	;; [unrolled: 52-line block ×7, first 2 shown]
	s_mov_b32 s0, exec_lo
	s_wait_loadcnt 0x0
	ds_store_b64 v1, v[26:27]
	s_wait_dscnt 0x0
	s_barrier_signal -1
	s_barrier_wait -1
	v_cmpx_ne_u32_e32 10, v0
	s_cbranch_execz .LBB10_55
; %bb.52:
	v_dual_mov_b32 v26, 0 :: v_dual_mov_b32 v9, v24
	s_mov_b32 s1, 0
	s_delay_alu instid0(VALU_DEP_1)
	v_mov_b32_e32 v27, v26
.LBB10_53:                              ; =>This Inner Loop Header: Depth=1
	scratch_load_b64 v[24:25], v9, off
	ds_load_b64 v[28:29], v1
	v_add_nc_u32_e32 v1, 8, v1
	s_wait_xcnt 0x0
	v_add_nc_u32_e32 v9, 8, v9
	s_wait_loadcnt_dscnt 0x0
	v_pk_mul_f32 v[30:31], v[28:29], v[24:25] op_sel:[1,1] op_sel_hi:[0,1]
	s_delay_alu instid0(VALU_DEP_1) | instskip(SKIP_2) | instid1(VALU_DEP_3)
	v_pk_fma_f32 v[32:33], v[28:29], v[24:25], v[30:31] op_sel_hi:[1,0,1]
	v_add_nc_u32_e32 v7, 1, v7
	v_pk_fma_f32 v[24:25], v[28:29], v[24:25], v[30:31] neg_lo:[0,0,1] neg_hi:[0,0,1]
	v_mov_b32_e32 v25, v33
	s_delay_alu instid0(VALU_DEP_3) | instskip(NEXT) | instid1(VALU_DEP_2)
	v_cmp_lt_u32_e32 vcc_lo, 8, v7
	v_pk_add_f32 v[26:27], v[26:27], v[24:25]
	s_or_b32 s1, vcc_lo, s1
	s_delay_alu instid0(SALU_CYCLE_1)
	s_and_not1_b32 exec_lo, exec_lo, s1
	s_cbranch_execnz .LBB10_53
; %bb.54:
	s_or_b32 exec_lo, exec_lo, s1
	v_mov_b32_e32 v1, 0
	ds_load_b64 v[24:25], v1 offset:80
	s_wait_dscnt 0x0
	v_pk_mul_f32 v[28:29], v[26:27], v[24:25] op_sel:[1,1] op_sel_hi:[0,1]
	s_delay_alu instid0(VALU_DEP_1) | instskip(SKIP_1) | instid1(VALU_DEP_2)
	v_pk_fma_f32 v[30:31], v[26:27], v[24:25], v[28:29] op_sel_hi:[1,0,1]
	v_pk_fma_f32 v[24:25], v[26:27], v[24:25], v[28:29] neg_lo:[0,0,1] neg_hi:[0,0,1]
	v_mov_b32_e32 v25, v31
	scratch_store_b64 off, v[24:25], off offset:80
.LBB10_55:
	s_wait_xcnt 0x0
	s_or_b32 exec_lo, exec_lo, s0
	s_mov_b32 s1, -1
	s_wait_storecnt 0x0
	s_barrier_signal -1
	s_barrier_wait -1
.LBB10_56:
	s_and_b32 vcc_lo, exec_lo, s1
	s_cbranch_vccz .LBB10_58
; %bb.57:
	v_mov_b32_e32 v1, 0
	s_lshl_b64 s[0:1], s[16:17], 2
	s_delay_alu instid0(SALU_CYCLE_1)
	s_add_nc_u64 s[0:1], s[6:7], s[0:1]
	global_load_b32 v1, v1, s[0:1]
	s_wait_loadcnt 0x0
	v_cmp_ne_u32_e32 vcc_lo, 0, v1
	s_cbranch_vccz .LBB10_59
.LBB10_58:
	s_sendmsg sendmsg(MSG_DEALLOC_VGPRS)
	s_endpgm
.LBB10_59:
	s_wait_xcnt 0x0
	v_lshl_add_u32 v1, v0, 3, 0x60
	s_mov_b32 s0, exec_lo
	v_cmpx_eq_u32_e32 10, v0
	s_cbranch_execz .LBB10_61
; %bb.60:
	scratch_load_b64 v[24:25], off, off offset:72
	v_mov_b64_e32 v[26:27], 0
	scratch_store_b64 off, v[26:27], off offset:72
	s_wait_loadcnt 0x0
	ds_store_b64 v1, v[24:25]
.LBB10_61:
	s_wait_xcnt 0x0
	s_or_b32 exec_lo, exec_lo, s0
	s_wait_storecnt_dscnt 0x0
	s_barrier_signal -1
	s_barrier_wait -1
	s_clause 0x1
	scratch_load_b64 v[24:25], off, off offset:80
	scratch_load_b64 v[26:27], off, off offset:72
	v_mov_b32_e32 v7, 0
	s_mov_b32 s0, exec_lo
	ds_load_b64 v[28:29], v7 offset:176
	s_wait_loadcnt_dscnt 0x100
	v_pk_mul_f32 v[30:31], v[28:29], v[24:25] op_sel:[1,1] op_sel_hi:[0,1]
	s_delay_alu instid0(VALU_DEP_1) | instskip(SKIP_1) | instid1(VALU_DEP_2)
	v_pk_fma_f32 v[32:33], v[28:29], v[24:25], v[30:31] op_sel_hi:[1,0,1]
	v_pk_fma_f32 v[24:25], v[28:29], v[24:25], v[30:31] neg_lo:[0,0,1] neg_hi:[0,0,1]
	v_mov_b32_e32 v25, v33
	s_delay_alu instid0(VALU_DEP_1) | instskip(SKIP_1) | instid1(VALU_DEP_1)
	v_pk_add_f32 v[24:25], v[24:25], 0 op_sel_hi:[1,0]
	s_wait_loadcnt 0x0
	v_pk_add_f32 v[24:25], v[26:27], v[24:25] neg_lo:[0,1] neg_hi:[0,1]
	scratch_store_b64 off, v[24:25], off offset:72
	s_wait_xcnt 0x0
	v_cmpx_lt_u32_e32 8, v0
	s_cbranch_execz .LBB10_63
; %bb.62:
	scratch_load_b64 v[24:25], off, off offset:64
	v_mov_b64_e32 v[26:27], 0
	scratch_store_b64 off, v[26:27], off offset:64
	s_wait_loadcnt 0x0
	ds_store_b64 v1, v[24:25]
.LBB10_63:
	s_wait_xcnt 0x0
	s_or_b32 exec_lo, exec_lo, s0
	s_wait_storecnt_dscnt 0x0
	s_barrier_signal -1
	s_barrier_wait -1
	s_clause 0x1
	scratch_load_b128 v[24:27], off, off offset:72
	scratch_load_b64 v[32:33], off, off offset:64
	ds_load_2addr_b64 v[28:31], v7 offset0:21 offset1:22
	s_mov_b32 s0, exec_lo
	s_wait_dscnt 0x0
	v_dual_mov_b32 v34, v31 :: v_dual_mov_b32 v35, v30
	s_wait_loadcnt 0x1
	v_pk_mul_f32 v[36:37], v[28:29], v[24:25] op_sel:[1,1] op_sel_hi:[0,1]
	s_delay_alu instid0(VALU_DEP_1) | instskip(SKIP_2) | instid1(VALU_DEP_3)
	v_pk_fma_f32 v[40:41], v[28:29], v[24:25], v[36:37] op_sel_hi:[1,0,1]
	v_mov_b32_e32 v38, v27
	v_pk_fma_f32 v[24:25], v[28:29], v[24:25], v[36:37] neg_lo:[0,0,1] neg_hi:[0,0,1]
	v_mov_b32_e32 v25, v41
	s_delay_alu instid0(VALU_DEP_3) | instskip(NEXT) | instid1(VALU_DEP_2)
	v_pk_mul_f32 v[34:35], v[34:35], v[38:39] op_sel_hi:[1,0]
	v_pk_add_f32 v[24:25], v[24:25], 0 op_sel_hi:[1,0]
	s_delay_alu instid0(VALU_DEP_2) | instskip(SKIP_1) | instid1(VALU_DEP_2)
	v_pk_fma_f32 v[28:29], v[30:31], v[26:27], v[34:35] op_sel_hi:[1,0,1]
	v_pk_fma_f32 v[26:27], v[30:31], v[26:27], v[34:35] neg_lo:[0,0,1] neg_hi:[0,0,1]
	v_mov_b32_e32 v27, v29
	s_delay_alu instid0(VALU_DEP_1) | instskip(SKIP_1) | instid1(VALU_DEP_1)
	v_pk_add_f32 v[24:25], v[24:25], v[26:27]
	s_wait_loadcnt 0x0
	v_pk_add_f32 v[24:25], v[32:33], v[24:25] neg_lo:[0,1] neg_hi:[0,1]
	scratch_store_b64 off, v[24:25], off offset:64
	s_wait_xcnt 0x0
	v_cmpx_lt_u32_e32 7, v0
	s_cbranch_execz .LBB10_65
; %bb.64:
	scratch_load_b64 v[24:25], off, off offset:56
	v_mov_b64_e32 v[26:27], 0
	scratch_store_b64 off, v[26:27], off offset:56
	s_wait_loadcnt 0x0
	ds_store_b64 v1, v[24:25]
.LBB10_65:
	s_wait_xcnt 0x0
	s_or_b32 exec_lo, exec_lo, s0
	s_wait_storecnt_dscnt 0x0
	s_barrier_signal -1
	s_barrier_wait -1
	s_clause 0x2
	scratch_load_b128 v[24:27], off, off offset:64
	scratch_load_b64 v[32:33], off, off offset:80
	scratch_load_b64 v[34:35], off, off offset:56
	v_mov_b32_e32 v7, 0
	ds_load_b128 v[28:31], v7 offset:160
	ds_load_b64 v[36:37], v7 offset:176
	s_mov_b32 s0, exec_lo
	s_wait_dscnt 0x1
	v_dual_mov_b32 v38, v31 :: v_dual_mov_b32 v39, v30
	s_wait_loadcnt 0x2
	v_mov_b32_e32 v42, v27
	v_pk_mul_f32 v[40:41], v[28:29], v[24:25] op_sel:[1,1] op_sel_hi:[0,1]
	s_delay_alu instid0(VALU_DEP_2) | instskip(NEXT) | instid1(VALU_DEP_2)
	v_pk_mul_f32 v[38:39], v[38:39], v[42:43] op_sel_hi:[1,0]
	v_pk_fma_f32 v[44:45], v[28:29], v[24:25], v[40:41] op_sel_hi:[1,0,1]
	v_pk_fma_f32 v[24:25], v[28:29], v[24:25], v[40:41] neg_lo:[0,0,1] neg_hi:[0,0,1]
	s_wait_loadcnt_dscnt 0x100
	v_pk_mul_f32 v[40:41], v[36:37], v[32:33] op_sel:[1,1] op_sel_hi:[0,1]
	v_pk_fma_f32 v[28:29], v[30:31], v[26:27], v[38:39] op_sel_hi:[1,0,1]
	v_mov_b32_e32 v25, v45
	v_pk_fma_f32 v[26:27], v[30:31], v[26:27], v[38:39] neg_lo:[0,0,1] neg_hi:[0,0,1]
	s_delay_alu instid0(VALU_DEP_4) | instskip(NEXT) | instid1(VALU_DEP_4)
	v_pk_fma_f32 v[30:31], v[36:37], v[32:33], v[40:41] neg_lo:[0,0,1] neg_hi:[0,0,1]
	v_mov_b32_e32 v27, v29
	s_delay_alu instid0(VALU_DEP_4) | instskip(SKIP_1) | instid1(VALU_DEP_2)
	v_pk_add_f32 v[24:25], v[24:25], 0 op_sel_hi:[1,0]
	v_pk_fma_f32 v[28:29], v[36:37], v[32:33], v[40:41] op_sel_hi:[1,0,1]
	v_pk_add_f32 v[24:25], v[24:25], v[26:27]
	s_delay_alu instid0(VALU_DEP_2) | instskip(NEXT) | instid1(VALU_DEP_1)
	v_mov_b32_e32 v31, v29
	v_pk_add_f32 v[24:25], v[24:25], v[30:31]
	s_wait_loadcnt 0x0
	s_delay_alu instid0(VALU_DEP_1)
	v_pk_add_f32 v[24:25], v[34:35], v[24:25] neg_lo:[0,1] neg_hi:[0,1]
	scratch_store_b64 off, v[24:25], off offset:56
	s_wait_xcnt 0x0
	v_cmpx_lt_u32_e32 6, v0
	s_cbranch_execz .LBB10_67
; %bb.66:
	scratch_load_b64 v[24:25], off, off offset:48
	v_mov_b64_e32 v[26:27], 0
	scratch_store_b64 off, v[26:27], off offset:48
	s_wait_loadcnt 0x0
	ds_store_b64 v1, v[24:25]
.LBB10_67:
	s_wait_xcnt 0x0
	s_or_b32 exec_lo, exec_lo, s0
	s_wait_storecnt_dscnt 0x0
	s_barrier_signal -1
	s_barrier_wait -1
	s_clause 0x2
	scratch_load_b128 v[24:27], off, off offset:56
	scratch_load_b128 v[28:31], off, off offset:72
	scratch_load_b64 v[40:41], off, off offset:48
	ds_load_2addr_b64 v[32:35], v7 offset0:19 offset1:20
	ds_load_2addr_b64 v[36:39], v7 offset0:21 offset1:22
	s_mov_b32 s0, exec_lo
	s_wait_dscnt 0x1
	v_dual_mov_b32 v42, v35 :: v_dual_mov_b32 v43, v34
	s_wait_loadcnt_dscnt 0x200
	v_dual_mov_b32 v48, v39 :: v_dual_mov_b32 v46, v27
	v_pk_mul_f32 v[44:45], v[32:33], v[24:25] op_sel:[1,1] op_sel_hi:[0,1]
	s_delay_alu instid0(VALU_DEP_2) | instskip(NEXT) | instid1(VALU_DEP_2)
	v_pk_mul_f32 v[42:43], v[42:43], v[46:47] op_sel_hi:[1,0]
	v_pk_fma_f32 v[50:51], v[32:33], v[24:25], v[44:45] op_sel_hi:[1,0,1]
	v_pk_fma_f32 v[24:25], v[32:33], v[24:25], v[44:45] neg_lo:[0,0,1] neg_hi:[0,0,1]
	v_mov_b32_e32 v49, v38
	s_wait_loadcnt 0x1
	v_pk_mul_f32 v[46:47], v[36:37], v[28:29] op_sel:[1,1] op_sel_hi:[0,1]
	v_pk_fma_f32 v[32:33], v[34:35], v[26:27], v[42:43] op_sel_hi:[1,0,1]
	v_dual_mov_b32 v25, v51 :: v_dual_mov_b32 v32, v31
	v_pk_fma_f32 v[26:27], v[34:35], v[26:27], v[42:43] neg_lo:[0,0,1] neg_hi:[0,0,1]
	s_delay_alu instid0(VALU_DEP_4) | instskip(NEXT) | instid1(VALU_DEP_4)
	v_pk_fma_f32 v[44:45], v[36:37], v[28:29], v[46:47] op_sel_hi:[1,0,1]
	v_mov_b32_e32 v27, v33
	s_delay_alu instid0(VALU_DEP_4) | instskip(SKIP_2) | instid1(VALU_DEP_3)
	v_pk_add_f32 v[24:25], v[24:25], 0 op_sel_hi:[1,0]
	v_pk_mul_f32 v[32:33], v[48:49], v[32:33] op_sel_hi:[1,0]
	v_pk_fma_f32 v[28:29], v[36:37], v[28:29], v[46:47] neg_lo:[0,0,1] neg_hi:[0,0,1]
	v_pk_add_f32 v[24:25], v[24:25], v[26:27]
	s_delay_alu instid0(VALU_DEP_3) | instskip(SKIP_2) | instid1(VALU_DEP_3)
	v_pk_fma_f32 v[26:27], v[38:39], v[30:31], v[32:33] op_sel_hi:[1,0,1]
	v_mov_b32_e32 v29, v45
	v_pk_fma_f32 v[30:31], v[38:39], v[30:31], v[32:33] neg_lo:[0,0,1] neg_hi:[0,0,1]
	v_mov_b32_e32 v31, v27
	s_delay_alu instid0(VALU_DEP_3) | instskip(NEXT) | instid1(VALU_DEP_1)
	v_pk_add_f32 v[24:25], v[24:25], v[28:29]
	v_pk_add_f32 v[24:25], v[24:25], v[30:31]
	s_wait_loadcnt 0x0
	s_delay_alu instid0(VALU_DEP_1)
	v_pk_add_f32 v[24:25], v[40:41], v[24:25] neg_lo:[0,1] neg_hi:[0,1]
	scratch_store_b64 off, v[24:25], off offset:48
	s_wait_xcnt 0x0
	v_cmpx_lt_u32_e32 5, v0
	s_cbranch_execz .LBB10_69
; %bb.68:
	scratch_load_b64 v[24:25], off, off offset:40
	v_mov_b64_e32 v[26:27], 0
	scratch_store_b64 off, v[26:27], off offset:40
	s_wait_loadcnt 0x0
	ds_store_b64 v1, v[24:25]
.LBB10_69:
	s_wait_xcnt 0x0
	s_or_b32 exec_lo, exec_lo, s0
	s_wait_storecnt_dscnt 0x0
	s_barrier_signal -1
	s_barrier_wait -1
	s_clause 0x3
	scratch_load_b128 v[24:27], off, off offset:48
	scratch_load_b128 v[28:31], off, off offset:64
	scratch_load_b64 v[40:41], off, off offset:80
	scratch_load_b64 v[42:43], off, off offset:40
	v_mov_b32_e32 v7, 0
	ds_load_b128 v[32:35], v7 offset:144
	ds_load_b128 v[36:39], v7 offset:160
	s_mov_b32 s0, exec_lo
	s_wait_dscnt 0x1
	v_dual_mov_b32 v44, v35 :: v_dual_mov_b32 v45, v34
	ds_load_b64 v[50:51], v7 offset:176
	s_wait_dscnt 0x1
	v_dual_mov_b32 v52, v39 :: v_dual_mov_b32 v53, v38
	s_wait_loadcnt 0x3
	v_pk_mul_f32 v[46:47], v[32:33], v[24:25] op_sel:[1,1] op_sel_hi:[0,1]
	v_mov_b32_e32 v48, v27
	s_delay_alu instid0(VALU_DEP_2) | instskip(NEXT) | instid1(VALU_DEP_2)
	v_pk_fma_f32 v[54:55], v[32:33], v[24:25], v[46:47] op_sel_hi:[1,0,1]
	v_pk_mul_f32 v[44:45], v[44:45], v[48:49] op_sel_hi:[1,0]
	v_pk_fma_f32 v[24:25], v[32:33], v[24:25], v[46:47] neg_lo:[0,0,1] neg_hi:[0,0,1]
	s_wait_loadcnt 0x2
	v_pk_mul_f32 v[48:49], v[36:37], v[28:29] op_sel:[1,1] op_sel_hi:[0,1]
	v_dual_mov_b32 v54, v31 :: v_dual_mov_b32 v25, v55
	v_pk_fma_f32 v[32:33], v[34:35], v[26:27], v[44:45] op_sel_hi:[1,0,1]
	v_pk_fma_f32 v[26:27], v[34:35], v[26:27], v[44:45] neg_lo:[0,0,1] neg_hi:[0,0,1]
	s_delay_alu instid0(VALU_DEP_4) | instskip(NEXT) | instid1(VALU_DEP_4)
	v_pk_fma_f32 v[46:47], v[36:37], v[28:29], v[48:49] op_sel_hi:[1,0,1]
	v_pk_mul_f32 v[52:53], v[52:53], v[54:55] op_sel_hi:[1,0]
	v_pk_add_f32 v[24:25], v[24:25], 0 op_sel_hi:[1,0]
	v_mov_b32_e32 v27, v33
	v_pk_fma_f32 v[28:29], v[36:37], v[28:29], v[48:49] neg_lo:[0,0,1] neg_hi:[0,0,1]
	v_mov_b32_e32 v29, v47
	v_pk_fma_f32 v[32:33], v[38:39], v[30:31], v[52:53] op_sel_hi:[1,0,1]
	v_pk_fma_f32 v[30:31], v[38:39], v[30:31], v[52:53] neg_lo:[0,0,1] neg_hi:[0,0,1]
	v_pk_add_f32 v[24:25], v[24:25], v[26:27]
	s_wait_loadcnt_dscnt 0x100
	v_pk_mul_f32 v[26:27], v[50:51], v[40:41] op_sel:[1,1] op_sel_hi:[0,1]
	s_delay_alu instid0(VALU_DEP_2) | instskip(NEXT) | instid1(VALU_DEP_2)
	v_pk_add_f32 v[24:25], v[24:25], v[28:29]
	v_pk_fma_f32 v[28:29], v[50:51], v[40:41], v[26:27] op_sel_hi:[1,0,1]
	v_mov_b32_e32 v31, v33
	v_pk_fma_f32 v[26:27], v[50:51], v[40:41], v[26:27] neg_lo:[0,0,1] neg_hi:[0,0,1]
	s_delay_alu instid0(VALU_DEP_3) | instskip(NEXT) | instid1(VALU_DEP_3)
	v_mov_b32_e32 v27, v29
	v_pk_add_f32 v[24:25], v[24:25], v[30:31]
	s_delay_alu instid0(VALU_DEP_1) | instskip(SKIP_1) | instid1(VALU_DEP_1)
	v_pk_add_f32 v[24:25], v[24:25], v[26:27]
	s_wait_loadcnt 0x0
	v_pk_add_f32 v[24:25], v[42:43], v[24:25] neg_lo:[0,1] neg_hi:[0,1]
	scratch_store_b64 off, v[24:25], off offset:40
	s_wait_xcnt 0x0
	v_cmpx_lt_u32_e32 4, v0
	s_cbranch_execz .LBB10_71
; %bb.70:
	scratch_load_b64 v[24:25], off, off offset:32
	v_mov_b64_e32 v[26:27], 0
	scratch_store_b64 off, v[26:27], off offset:32
	s_wait_loadcnt 0x0
	ds_store_b64 v1, v[24:25]
.LBB10_71:
	s_wait_xcnt 0x0
	s_or_b32 exec_lo, exec_lo, s0
	s_wait_storecnt_dscnt 0x0
	s_barrier_signal -1
	s_barrier_wait -1
	s_clause 0x3
	scratch_load_b128 v[24:27], off, off offset:40
	scratch_load_b128 v[28:31], off, off offset:56
	;; [unrolled: 1-line block ×3, first 2 shown]
	scratch_load_b64 v[48:49], off, off offset:32
	ds_load_2addr_b64 v[36:39], v7 offset0:17 offset1:18
	ds_load_2addr_b64 v[40:43], v7 offset0:19 offset1:20
	;; [unrolled: 1-line block ×3, first 2 shown]
	s_mov_b32 s0, exec_lo
	s_wait_dscnt 0x2
	v_dual_mov_b32 v50, v39 :: v_dual_mov_b32 v51, v38
	s_wait_dscnt 0x1
	v_dual_mov_b32 v52, v43 :: v_dual_mov_b32 v53, v42
	;; [unrolled: 2-line block ×3, first 2 shown]
	s_wait_loadcnt 0x3
	v_pk_mul_f32 v[54:55], v[36:37], v[24:25] op_sel:[1,1] op_sel_hi:[0,1]
	v_mov_b32_e32 v56, v27
	s_delay_alu instid0(VALU_DEP_2) | instskip(NEXT) | instid1(VALU_DEP_2)
	v_pk_fma_f32 v[60:61], v[36:37], v[24:25], v[54:55] op_sel_hi:[1,0,1]
	v_pk_mul_f32 v[50:51], v[50:51], v[56:57] op_sel_hi:[1,0]
	v_pk_fma_f32 v[24:25], v[36:37], v[24:25], v[54:55] neg_lo:[0,0,1] neg_hi:[0,0,1]
	s_wait_loadcnt 0x2
	v_pk_mul_f32 v[56:57], v[40:41], v[28:29] op_sel:[1,1] op_sel_hi:[0,1]
	v_mov_b32_e32 v60, v31
	v_pk_fma_f32 v[36:37], v[38:39], v[26:27], v[50:51] op_sel_hi:[1,0,1]
	v_mov_b32_e32 v25, v61
	v_pk_fma_f32 v[26:27], v[38:39], v[26:27], v[50:51] neg_lo:[0,0,1] neg_hi:[0,0,1]
	v_pk_fma_f32 v[54:55], v[40:41], v[28:29], v[56:57] op_sel_hi:[1,0,1]
	v_pk_mul_f32 v[52:53], v[52:53], v[60:61] op_sel_hi:[1,0]
	v_mov_b32_e32 v27, v37
	v_pk_add_f32 v[24:25], v[24:25], 0 op_sel_hi:[1,0]
	v_pk_fma_f32 v[28:29], v[40:41], v[28:29], v[56:57] neg_lo:[0,0,1] neg_hi:[0,0,1]
	s_wait_loadcnt 0x1
	v_pk_mul_f32 v[36:37], v[44:45], v[32:33] op_sel:[1,1] op_sel_hi:[0,1]
	v_mov_b32_e32 v29, v55
	v_pk_fma_f32 v[38:39], v[42:43], v[30:31], v[52:53] op_sel_hi:[1,0,1]
	v_pk_add_f32 v[24:25], v[24:25], v[26:27]
	v_mov_b32_e32 v26, v35
	v_pk_fma_f32 v[30:31], v[42:43], v[30:31], v[52:53] neg_lo:[0,0,1] neg_hi:[0,0,1]
	v_pk_fma_f32 v[40:41], v[44:45], v[32:33], v[36:37] op_sel_hi:[1,0,1]
	v_mov_b32_e32 v31, v39
	v_pk_add_f32 v[24:25], v[24:25], v[28:29]
	v_pk_mul_f32 v[26:27], v[58:59], v[26:27] op_sel_hi:[1,0]
	v_pk_fma_f32 v[28:29], v[44:45], v[32:33], v[36:37] neg_lo:[0,0,1] neg_hi:[0,0,1]
	v_mov_b32_e32 v29, v41
	s_delay_alu instid0(VALU_DEP_4) | instskip(NEXT) | instid1(VALU_DEP_4)
	v_pk_add_f32 v[24:25], v[24:25], v[30:31]
	v_pk_fma_f32 v[30:31], v[46:47], v[34:35], v[26:27] op_sel_hi:[1,0,1]
	v_pk_fma_f32 v[26:27], v[46:47], v[34:35], v[26:27] neg_lo:[0,0,1] neg_hi:[0,0,1]
	s_delay_alu instid0(VALU_DEP_3) | instskip(NEXT) | instid1(VALU_DEP_3)
	v_pk_add_f32 v[24:25], v[24:25], v[28:29]
	v_mov_b32_e32 v27, v31
	s_delay_alu instid0(VALU_DEP_1) | instskip(SKIP_1) | instid1(VALU_DEP_1)
	v_pk_add_f32 v[24:25], v[24:25], v[26:27]
	s_wait_loadcnt 0x0
	v_pk_add_f32 v[24:25], v[48:49], v[24:25] neg_lo:[0,1] neg_hi:[0,1]
	scratch_store_b64 off, v[24:25], off offset:32
	s_wait_xcnt 0x0
	v_cmpx_lt_u32_e32 3, v0
	s_cbranch_execz .LBB10_73
; %bb.72:
	scratch_load_b64 v[24:25], off, off offset:24
	v_mov_b64_e32 v[26:27], 0
	scratch_store_b64 off, v[26:27], off offset:24
	s_wait_loadcnt 0x0
	ds_store_b64 v1, v[24:25]
.LBB10_73:
	s_wait_xcnt 0x0
	s_or_b32 exec_lo, exec_lo, s0
	s_wait_storecnt_dscnt 0x0
	s_barrier_signal -1
	s_barrier_wait -1
	s_clause 0x4
	scratch_load_b128 v[24:27], off, off offset:32
	scratch_load_b128 v[28:31], off, off offset:48
	;; [unrolled: 1-line block ×3, first 2 shown]
	scratch_load_b64 v[48:49], off, off offset:80
	scratch_load_b64 v[50:51], off, off offset:24
	v_mov_b32_e32 v7, 0
	ds_load_b128 v[36:39], v7 offset:128
	ds_load_b128 v[40:43], v7 offset:144
	;; [unrolled: 1-line block ×3, first 2 shown]
	ds_load_b64 v[52:53], v7 offset:176
	s_mov_b32 s0, exec_lo
	s_wait_dscnt 0x3
	v_dual_mov_b32 v54, v39 :: v_dual_mov_b32 v55, v38
	s_wait_dscnt 0x2
	v_dual_mov_b32 v56, v43 :: v_dual_mov_b32 v57, v42
	;; [unrolled: 2-line block ×3, first 2 shown]
	s_wait_loadcnt 0x4
	v_pk_mul_f32 v[58:59], v[36:37], v[24:25] op_sel:[1,1] op_sel_hi:[0,1]
	v_mov_b32_e32 v60, v27
	s_wait_loadcnt 0x3
	v_pk_mul_f32 v[64:65], v[40:41], v[28:29] op_sel:[1,1] op_sel_hi:[0,1]
	s_wait_loadcnt 0x2
	v_pk_mul_f32 v[68:69], v[44:45], v[32:33] op_sel:[1,1] op_sel_hi:[0,1]
	v_pk_fma_f32 v[66:67], v[36:37], v[24:25], v[58:59] op_sel_hi:[1,0,1]
	v_pk_mul_f32 v[54:55], v[54:55], v[60:61] op_sel_hi:[1,0]
	v_pk_fma_f32 v[24:25], v[36:37], v[24:25], v[58:59] neg_lo:[0,0,1] neg_hi:[0,0,1]
	v_mov_b32_e32 v60, v31
	v_pk_fma_f32 v[58:59], v[40:41], v[28:29], v[64:65] op_sel_hi:[1,0,1]
	v_mov_b32_e32 v25, v67
	v_pk_fma_f32 v[36:37], v[38:39], v[26:27], v[54:55] op_sel_hi:[1,0,1]
	v_pk_fma_f32 v[26:27], v[38:39], v[26:27], v[54:55] neg_lo:[0,0,1] neg_hi:[0,0,1]
	v_pk_mul_f32 v[56:57], v[56:57], v[60:61] op_sel_hi:[1,0]
	v_pk_fma_f32 v[28:29], v[40:41], v[28:29], v[64:65] neg_lo:[0,0,1] neg_hi:[0,0,1]
	v_pk_add_f32 v[24:25], v[24:25], 0 op_sel_hi:[1,0]
	v_dual_mov_b32 v27, v37 :: v_dual_mov_b32 v36, v35
	s_delay_alu instid0(VALU_DEP_4) | instskip(SKIP_2) | instid1(VALU_DEP_4)
	v_pk_fma_f32 v[38:39], v[42:43], v[30:31], v[56:57] op_sel_hi:[1,0,1]
	v_mov_b32_e32 v29, v59
	v_pk_fma_f32 v[30:31], v[42:43], v[30:31], v[56:57] neg_lo:[0,0,1] neg_hi:[0,0,1]
	v_pk_add_f32 v[24:25], v[24:25], v[26:27]
	v_pk_fma_f32 v[26:27], v[44:45], v[32:33], v[68:69] op_sel_hi:[1,0,1]
	v_pk_mul_f32 v[36:37], v[62:63], v[36:37] op_sel_hi:[1,0]
	v_mov_b32_e32 v31, v39
	s_delay_alu instid0(VALU_DEP_4)
	v_pk_add_f32 v[24:25], v[24:25], v[28:29]
	v_pk_fma_f32 v[28:29], v[44:45], v[32:33], v[68:69] neg_lo:[0,0,1] neg_hi:[0,0,1]
	v_mov_b32_e32 v29, v27
	v_pk_fma_f32 v[26:27], v[46:47], v[34:35], v[36:37] op_sel_hi:[1,0,1]
	v_pk_fma_f32 v[32:33], v[46:47], v[34:35], v[36:37] neg_lo:[0,0,1] neg_hi:[0,0,1]
	v_pk_add_f32 v[24:25], v[24:25], v[30:31]
	s_wait_loadcnt_dscnt 0x100
	v_pk_mul_f32 v[30:31], v[52:53], v[48:49] op_sel:[1,1] op_sel_hi:[0,1]
	v_mov_b32_e32 v33, v27
	s_delay_alu instid0(VALU_DEP_3) | instskip(NEXT) | instid1(VALU_DEP_3)
	v_pk_add_f32 v[24:25], v[24:25], v[28:29]
	v_pk_fma_f32 v[26:27], v[52:53], v[48:49], v[30:31] op_sel_hi:[1,0,1]
	v_pk_fma_f32 v[28:29], v[52:53], v[48:49], v[30:31] neg_lo:[0,0,1] neg_hi:[0,0,1]
	s_delay_alu instid0(VALU_DEP_3) | instskip(NEXT) | instid1(VALU_DEP_3)
	v_pk_add_f32 v[24:25], v[24:25], v[32:33]
	v_mov_b32_e32 v29, v27
	s_delay_alu instid0(VALU_DEP_1) | instskip(SKIP_1) | instid1(VALU_DEP_1)
	v_pk_add_f32 v[24:25], v[24:25], v[28:29]
	s_wait_loadcnt 0x0
	v_pk_add_f32 v[24:25], v[50:51], v[24:25] neg_lo:[0,1] neg_hi:[0,1]
	scratch_store_b64 off, v[24:25], off offset:24
	s_wait_xcnt 0x0
	v_cmpx_lt_u32_e32 2, v0
	s_cbranch_execz .LBB10_75
; %bb.74:
	scratch_load_b64 v[24:25], off, off offset:16
	v_mov_b64_e32 v[26:27], 0
	scratch_store_b64 off, v[26:27], off offset:16
	s_wait_loadcnt 0x0
	ds_store_b64 v1, v[24:25]
.LBB10_75:
	s_wait_xcnt 0x0
	s_or_b32 exec_lo, exec_lo, s0
	s_wait_storecnt_dscnt 0x0
	s_barrier_signal -1
	s_barrier_wait -1
	s_clause 0x4
	scratch_load_b128 v[24:27], off, off offset:24
	scratch_load_b128 v[28:31], off, off offset:40
	;; [unrolled: 1-line block ×4, first 2 shown]
	scratch_load_b64 v[56:57], off, off offset:16
	ds_load_2addr_b64 v[40:43], v7 offset0:15 offset1:16
	ds_load_2addr_b64 v[44:47], v7 offset0:17 offset1:18
	;; [unrolled: 1-line block ×4, first 2 shown]
	s_mov_b32 s0, exec_lo
	s_wait_dscnt 0x3
	v_dual_mov_b32 v58, v43 :: v_dual_mov_b32 v59, v42
	s_wait_dscnt 0x2
	v_dual_mov_b32 v60, v47 :: v_dual_mov_b32 v61, v46
	;; [unrolled: 2-line block ×3, first 2 shown]
	v_dual_mov_b32 v63, v50 :: v_dual_mov_b32 v68, v55
	s_wait_loadcnt 0x4
	v_mov_b32_e32 v66, v27
	v_pk_mul_f32 v[64:65], v[40:41], v[24:25] op_sel:[1,1] op_sel_hi:[0,1]
	s_wait_loadcnt 0x3
	v_pk_mul_f32 v[70:71], v[44:45], v[28:29] op_sel:[1,1] op_sel_hi:[0,1]
	s_wait_loadcnt 0x2
	v_pk_mul_f32 v[74:75], v[48:49], v[32:33] op_sel:[1,1] op_sel_hi:[0,1]
	v_pk_mul_f32 v[58:59], v[58:59], v[66:67] op_sel_hi:[1,0]
	v_pk_fma_f32 v[72:73], v[40:41], v[24:25], v[64:65] op_sel_hi:[1,0,1]
	v_pk_fma_f32 v[24:25], v[40:41], v[24:25], v[64:65] neg_lo:[0,0,1] neg_hi:[0,0,1]
	v_mov_b32_e32 v66, v31
	v_pk_fma_f32 v[64:65], v[44:45], v[28:29], v[70:71] op_sel_hi:[1,0,1]
	v_pk_fma_f32 v[40:41], v[42:43], v[26:27], v[58:59] op_sel_hi:[1,0,1]
	v_mov_b32_e32 v25, v73
	v_pk_fma_f32 v[26:27], v[42:43], v[26:27], v[58:59] neg_lo:[0,0,1] neg_hi:[0,0,1]
	v_pk_mul_f32 v[60:61], v[60:61], v[66:67] op_sel_hi:[1,0]
	s_delay_alu instid0(VALU_DEP_4) | instskip(NEXT) | instid1(VALU_DEP_4)
	v_dual_mov_b32 v40, v35 :: v_dual_mov_b32 v27, v41
	v_pk_add_f32 v[24:25], v[24:25], 0 op_sel_hi:[1,0]
	v_pk_fma_f32 v[28:29], v[44:45], v[28:29], v[70:71] neg_lo:[0,0,1] neg_hi:[0,0,1]
	v_mov_b32_e32 v29, v65
	v_pk_fma_f32 v[42:43], v[46:47], v[30:31], v[60:61] op_sel_hi:[1,0,1]
	v_pk_mul_f32 v[40:41], v[62:63], v[40:41] op_sel_hi:[1,0]
	v_pk_add_f32 v[24:25], v[24:25], v[26:27]
	v_pk_fma_f32 v[26:27], v[48:49], v[32:33], v[74:75] op_sel_hi:[1,0,1]
	v_pk_fma_f32 v[30:31], v[46:47], v[30:31], v[60:61] neg_lo:[0,0,1] neg_hi:[0,0,1]
	v_mov_b32_e32 v31, v43
	v_pk_fma_f32 v[32:33], v[48:49], v[32:33], v[74:75] neg_lo:[0,0,1] neg_hi:[0,0,1]
	v_pk_add_f32 v[24:25], v[24:25], v[28:29]
	v_mov_b32_e32 v33, v27
	v_pk_fma_f32 v[26:27], v[50:51], v[34:35], v[40:41] op_sel_hi:[1,0,1]
	s_wait_loadcnt 0x1
	v_pk_mul_f32 v[28:29], v[52:53], v[36:37] op_sel:[1,1] op_sel_hi:[0,1]
	v_mov_b32_e32 v26, v39
	v_pk_add_f32 v[24:25], v[24:25], v[30:31]
	v_pk_fma_f32 v[34:35], v[50:51], v[34:35], v[40:41] neg_lo:[0,0,1] neg_hi:[0,0,1]
	v_mov_b32_e32 v35, v27
	v_pk_fma_f32 v[30:31], v[52:53], v[36:37], v[28:29] op_sel_hi:[1,0,1]
	v_pk_mul_f32 v[26:27], v[68:69], v[26:27] op_sel_hi:[1,0]
	v_pk_add_f32 v[24:25], v[24:25], v[32:33]
	v_pk_fma_f32 v[28:29], v[52:53], v[36:37], v[28:29] neg_lo:[0,0,1] neg_hi:[0,0,1]
	s_delay_alu instid0(VALU_DEP_4) | instskip(NEXT) | instid1(VALU_DEP_4)
	v_mov_b32_e32 v29, v31
	v_pk_fma_f32 v[30:31], v[54:55], v[38:39], v[26:27] op_sel_hi:[1,0,1]
	s_delay_alu instid0(VALU_DEP_4) | instskip(SKIP_1) | instid1(VALU_DEP_3)
	v_pk_add_f32 v[24:25], v[24:25], v[34:35]
	v_pk_fma_f32 v[26:27], v[54:55], v[38:39], v[26:27] neg_lo:[0,0,1] neg_hi:[0,0,1]
	v_mov_b32_e32 v27, v31
	s_delay_alu instid0(VALU_DEP_3) | instskip(NEXT) | instid1(VALU_DEP_1)
	v_pk_add_f32 v[24:25], v[24:25], v[28:29]
	v_pk_add_f32 v[24:25], v[24:25], v[26:27]
	s_wait_loadcnt 0x0
	s_delay_alu instid0(VALU_DEP_1)
	v_pk_add_f32 v[24:25], v[56:57], v[24:25] neg_lo:[0,1] neg_hi:[0,1]
	scratch_store_b64 off, v[24:25], off offset:16
	s_wait_xcnt 0x0
	v_cmpx_lt_u32_e32 1, v0
	s_cbranch_execz .LBB10_77
; %bb.76:
	scratch_load_b64 v[24:25], off, off offset:8
	v_mov_b64_e32 v[26:27], 0
	scratch_store_b64 off, v[26:27], off offset:8
	s_wait_loadcnt 0x0
	ds_store_b64 v1, v[24:25]
.LBB10_77:
	s_wait_xcnt 0x0
	s_or_b32 exec_lo, exec_lo, s0
	s_wait_storecnt_dscnt 0x0
	s_barrier_signal -1
	s_barrier_wait -1
	s_clause 0x5
	scratch_load_b128 v[26:29], off, off offset:16
	scratch_load_b128 v[30:33], off, off offset:32
	;; [unrolled: 1-line block ×4, first 2 shown]
	scratch_load_b64 v[58:59], off, off offset:80
	scratch_load_b64 v[60:61], off, off offset:8
	v_mov_b32_e32 v24, 0
	ds_load_b128 v[42:45], v24 offset:112
	ds_load_b128 v[46:49], v24 offset:128
	;; [unrolled: 1-line block ×4, first 2 shown]
	ds_load_b64 v[62:63], v24 offset:176
	v_dual_ashrrev_i32 v9, 31, v8 :: v_dual_ashrrev_i32 v11, 31, v10
	v_dual_ashrrev_i32 v13, 31, v12 :: v_dual_ashrrev_i32 v15, 31, v14
	;; [unrolled: 1-line block ×4, first 2 shown]
	s_mov_b32 s0, exec_lo
	s_wait_dscnt 0x4
	v_dual_mov_b32 v64, v45 :: v_dual_mov_b32 v65, v44
	s_wait_dscnt 0x1
	v_dual_mov_b32 v66, v49 :: v_dual_mov_b32 v71, v56
	v_dual_mov_b32 v67, v48 :: v_dual_mov_b32 v68, v53
	;; [unrolled: 1-line block ×3, first 2 shown]
	s_wait_loadcnt 0x5
	v_dual_mov_b32 v72, v29 :: v_dual_mul_f32 v73, v42, v27
	v_mul_f32_e32 v7, v43, v27
	s_wait_loadcnt 0x4
	v_pk_mul_f32 v[74:75], v[46:47], v[30:31] op_sel:[1,1] op_sel_hi:[0,1]
	s_wait_loadcnt 0x3
	v_dual_mov_b32 v76, v33 :: v_dual_mov_b32 v80, v37
	v_pk_mul_f32 v[64:65], v[64:65], v[72:73] op_sel_hi:[1,0]
	v_dual_fmac_f32 v73, v43, v26 :: v_dual_fma_f32 v72, v42, v26, -v7
	v_pk_fma_f32 v[42:43], v[46:47], v[30:31], v[74:75] op_sel_hi:[1,0,1]
	s_delay_alu instid0(VALU_DEP_4) | instskip(NEXT) | instid1(VALU_DEP_4)
	v_pk_mul_f32 v[66:67], v[66:67], v[76:77] op_sel_hi:[1,0]
	v_pk_fma_f32 v[26:27], v[44:45], v[28:29], v[64:65] op_sel_hi:[1,0,1]
	v_pk_fma_f32 v[28:29], v[44:45], v[28:29], v[64:65] neg_lo:[0,0,1] neg_hi:[0,0,1]
	v_pk_add_f32 v[44:45], v[72:73], 0 op_sel_hi:[1,0]
	v_pk_fma_f32 v[30:31], v[46:47], v[30:31], v[74:75] neg_lo:[0,0,1] neg_hi:[0,0,1]
	v_pk_mul_f32 v[78:79], v[50:51], v[34:35] op_sel:[1,1] op_sel_hi:[0,1]
	v_dual_mov_b32 v29, v27 :: v_dual_mov_b32 v31, v43
	v_pk_fma_f32 v[42:43], v[48:49], v[32:33], v[66:67] op_sel_hi:[1,0,1]
	v_pk_fma_f32 v[32:33], v[48:49], v[32:33], v[66:67] neg_lo:[0,0,1] neg_hi:[0,0,1]
	v_pk_mul_f32 v[46:47], v[68:69], v[80:81] op_sel_hi:[1,0]
	s_delay_alu instid0(VALU_DEP_4)
	v_pk_add_f32 v[28:29], v[44:45], v[28:29]
	v_pk_fma_f32 v[44:45], v[50:51], v[34:35], v[78:79] op_sel_hi:[1,0,1]
	v_mov_b32_e32 v33, v43
	v_pk_fma_f32 v[34:35], v[50:51], v[34:35], v[78:79] neg_lo:[0,0,1] neg_hi:[0,0,1]
	s_wait_loadcnt 0x2
	v_pk_mul_f32 v[26:27], v[54:55], v[38:39] op_sel:[1,1] op_sel_hi:[0,1]
	v_pk_add_f32 v[28:29], v[28:29], v[30:31]
	v_mov_b32_e32 v30, v41
	v_pk_fma_f32 v[42:43], v[52:53], v[36:37], v[46:47] op_sel_hi:[1,0,1]
	v_mov_b32_e32 v35, v45
	v_pk_fma_f32 v[36:37], v[52:53], v[36:37], v[46:47] neg_lo:[0,0,1] neg_hi:[0,0,1]
	v_pk_add_f32 v[28:29], v[28:29], v[32:33]
	v_pk_fma_f32 v[32:33], v[54:55], v[38:39], v[26:27] op_sel_hi:[1,0,1]
	v_pk_mul_f32 v[30:31], v[70:71], v[30:31] op_sel_hi:[1,0]
	v_mov_b32_e32 v37, v43
	v_pk_fma_f32 v[26:27], v[54:55], v[38:39], v[26:27] neg_lo:[0,0,1] neg_hi:[0,0,1]
	v_pk_add_f32 v[28:29], v[28:29], v[34:35]
	v_mov_b32_e32 v27, v33
	v_pk_fma_f32 v[32:33], v[56:57], v[40:41], v[30:31] op_sel_hi:[1,0,1]
	s_wait_loadcnt_dscnt 0x100
	v_pk_mul_f32 v[34:35], v[62:63], v[58:59] op_sel:[1,1] op_sel_hi:[0,1]
	v_pk_fma_f32 v[30:31], v[56:57], v[40:41], v[30:31] neg_lo:[0,0,1] neg_hi:[0,0,1]
	v_pk_add_f32 v[28:29], v[28:29], v[36:37]
	v_mov_b32_e32 v31, v33
	s_delay_alu instid0(VALU_DEP_4) | instskip(NEXT) | instid1(VALU_DEP_3)
	v_pk_fma_f32 v[32:33], v[62:63], v[58:59], v[34:35] neg_lo:[0,0,1] neg_hi:[0,0,1]
	v_pk_add_f32 v[26:27], v[28:29], v[26:27]
	v_pk_fma_f32 v[28:29], v[62:63], v[58:59], v[34:35] op_sel_hi:[1,0,1]
	v_ashrrev_i32_e32 v7, 31, v6
	s_delay_alu instid0(VALU_DEP_3) | instskip(NEXT) | instid1(VALU_DEP_3)
	v_pk_add_f32 v[26:27], v[26:27], v[30:31]
	v_mov_b32_e32 v33, v29
	s_delay_alu instid0(VALU_DEP_1) | instskip(SKIP_1) | instid1(VALU_DEP_1)
	v_pk_add_f32 v[26:27], v[26:27], v[32:33]
	s_wait_loadcnt 0x0
	v_pk_add_f32 v[26:27], v[60:61], v[26:27] neg_lo:[0,1] neg_hi:[0,1]
	scratch_store_b64 off, v[26:27], off offset:8
	s_wait_xcnt 0x0
	v_cmpx_ne_u32_e32 0, v0
	s_cbranch_execz .LBB10_79
; %bb.78:
	scratch_load_b64 v[26:27], off, off
	v_mov_b64_e32 v[28:29], 0
	scratch_store_b64 off, v[28:29], off
	s_wait_loadcnt 0x0
	ds_store_b64 v1, v[26:27]
.LBB10_79:
	s_wait_xcnt 0x0
	s_or_b32 exec_lo, exec_lo, s0
	s_wait_storecnt_dscnt 0x0
	s_barrier_signal -1
	s_barrier_wait -1
	s_clause 0x5
	scratch_load_b128 v[26:29], off, off offset:8
	scratch_load_b128 v[30:33], off, off offset:24
	scratch_load_b128 v[34:37], off, off offset:40
	scratch_load_b128 v[38:41], off, off offset:56
	scratch_load_b128 v[42:45], off, off offset:72
	scratch_load_b64 v[0:1], off, off
	ds_load_2addr_b64 v[46:49], v24 offset0:15 offset1:16
	ds_load_2addr_b64 v[50:53], v24 offset0:17 offset1:18
	;; [unrolled: 1-line block ×5, first 2 shown]
	s_and_b32 vcc_lo, exec_lo, s18
	s_wait_dscnt 0x4
	v_dual_mov_b32 v24, v49 :: v_dual_mov_b32 v25, v48
	s_wait_dscnt 0x3
	v_dual_mov_b32 v66, v53 :: v_dual_mov_b32 v67, v52
	;; [unrolled: 2-line block ×4, first 2 shown]
	s_wait_loadcnt_dscnt 0x500
	v_dual_mul_f32 v73, v62, v27 :: v_dual_mul_f32 v75, v64, v29
	v_dual_mul_f32 v27, v63, v27 :: v_dual_mul_f32 v29, v65, v29
	s_wait_loadcnt 0x4
	v_pk_mul_f32 v[76:77], v[46:47], v[30:31] op_sel:[1,1] op_sel_hi:[0,1]
	s_wait_loadcnt 0x3
	v_dual_mov_b32 v78, v33 :: v_dual_mov_b32 v82, v37
	v_dual_fmac_f32 v73, v63, v26 :: v_dual_fma_f32 v72, v62, v26, -v27
	v_dual_fmac_f32 v75, v65, v28 :: v_dual_fma_f32 v74, v64, v28, -v29
	v_pk_fma_f32 v[26:27], v[46:47], v[30:31], v[76:77] op_sel_hi:[1,0,1]
	s_delay_alu instid0(VALU_DEP_4) | instskip(NEXT) | instid1(VALU_DEP_4)
	v_pk_mul_f32 v[24:25], v[24:25], v[78:79] op_sel_hi:[1,0]
	v_pk_add_f32 v[28:29], v[72:73], 0 op_sel_hi:[1,0]
	v_pk_fma_f32 v[30:31], v[46:47], v[30:31], v[76:77] neg_lo:[0,0,1] neg_hi:[0,0,1]
	v_pk_mul_f32 v[80:81], v[50:51], v[34:35] op_sel:[1,1] op_sel_hi:[0,1]
	s_wait_loadcnt 0x2
	v_dual_mov_b32 v26, v41 :: v_dual_mov_b32 v31, v27
	v_pk_fma_f32 v[46:47], v[48:49], v[32:33], v[24:25] op_sel_hi:[1,0,1]
	v_pk_add_f32 v[28:29], v[28:29], v[74:75]
	v_pk_fma_f32 v[24:25], v[48:49], v[32:33], v[24:25] neg_lo:[0,0,1] neg_hi:[0,0,1]
	v_pk_fma_f32 v[62:63], v[50:51], v[34:35], v[80:81] op_sel_hi:[1,0,1]
	v_pk_mul_f32 v[64:65], v[66:67], v[82:83] op_sel_hi:[1,0]
	v_mov_b32_e32 v25, v47
	v_pk_add_f32 v[28:29], v[28:29], v[30:31]
	v_pk_fma_f32 v[32:33], v[50:51], v[34:35], v[80:81] neg_lo:[0,0,1] neg_hi:[0,0,1]
	v_pk_mul_f32 v[84:85], v[54:55], v[38:39] op_sel:[1,1] op_sel_hi:[0,1]
	v_mov_b32_e32 v33, v63
	v_pk_fma_f32 v[34:35], v[52:53], v[36:37], v[64:65] op_sel_hi:[1,0,1]
	v_pk_add_f32 v[24:25], v[28:29], v[24:25]
	v_pk_fma_f32 v[36:37], v[52:53], v[36:37], v[64:65] neg_lo:[0,0,1] neg_hi:[0,0,1]
	v_pk_fma_f32 v[28:29], v[54:55], v[38:39], v[84:85] op_sel_hi:[1,0,1]
	v_pk_mul_f32 v[26:27], v[68:69], v[26:27] op_sel_hi:[1,0]
	s_wait_loadcnt 0x1
	v_dual_mov_b32 v37, v35 :: v_dual_mov_b32 v28, v45
	v_pk_add_f32 v[24:25], v[24:25], v[32:33]
	v_pk_fma_f32 v[32:33], v[54:55], v[38:39], v[84:85] neg_lo:[0,0,1] neg_hi:[0,0,1]
	v_pk_mul_f32 v[30:31], v[58:59], v[42:43] op_sel:[1,1] op_sel_hi:[0,1]
	v_pk_fma_f32 v[34:35], v[56:57], v[40:41], v[26:27] op_sel_hi:[1,0,1]
	v_mov_b32_e32 v33, v29
	v_pk_add_f32 v[24:25], v[24:25], v[36:37]
	v_pk_fma_f32 v[26:27], v[56:57], v[40:41], v[26:27] neg_lo:[0,0,1] neg_hi:[0,0,1]
	v_pk_fma_f32 v[36:37], v[58:59], v[42:43], v[30:31] op_sel_hi:[1,0,1]
	v_pk_mul_f32 v[28:29], v[70:71], v[28:29] op_sel_hi:[1,0]
	v_mov_b32_e32 v27, v35
	v_pk_add_f32 v[24:25], v[24:25], v[32:33]
	v_pk_fma_f32 v[30:31], v[58:59], v[42:43], v[30:31] neg_lo:[0,0,1] neg_hi:[0,0,1]
	s_delay_alu instid0(VALU_DEP_4) | instskip(SKIP_1) | instid1(VALU_DEP_4)
	v_pk_fma_f32 v[32:33], v[60:61], v[44:45], v[28:29] op_sel_hi:[1,0,1]
	v_mov_b32_e32 v31, v37
	v_pk_add_f32 v[24:25], v[24:25], v[26:27]
	v_pk_fma_f32 v[26:27], v[60:61], v[44:45], v[28:29] neg_lo:[0,0,1] neg_hi:[0,0,1]
	s_delay_alu instid0(VALU_DEP_4) | instskip(NEXT) | instid1(VALU_DEP_3)
	v_mov_b32_e32 v27, v33
	v_pk_add_f32 v[24:25], v[24:25], v[30:31]
	s_delay_alu instid0(VALU_DEP_1) | instskip(SKIP_1) | instid1(VALU_DEP_1)
	v_pk_add_f32 v[24:25], v[24:25], v[26:27]
	s_wait_loadcnt 0x0
	v_pk_add_f32 v[0:1], v[0:1], v[24:25] neg_lo:[0,1] neg_hi:[0,1]
	scratch_store_b64 off, v[0:1], off
	s_cbranch_vccz .LBB10_100
; %bb.80:
	s_wait_xcnt 0x0
	v_mov_b32_e32 v0, 0
	global_load_b32 v1, v0, s[2:3] offset:36
	s_wait_loadcnt 0x0
	v_cmp_ne_u32_e32 vcc_lo, 10, v1
	s_cbranch_vccz .LBB10_82
; %bb.81:
	v_lshlrev_b32_e32 v1, 3, v1
	scratch_load_b64 v[24:25], v1, off offset:-8
	scratch_load_b64 v[26:27], off, off offset:72
	s_wait_loadcnt 0x1
	scratch_store_b64 off, v[24:25], off offset:72
	s_wait_loadcnt 0x0
	scratch_store_b64 v1, v[26:27], off offset:-8
.LBB10_82:
	global_load_b32 v0, v0, s[2:3] offset:32
	s_wait_loadcnt 0x0
	v_cmp_eq_u32_e32 vcc_lo, 9, v0
	s_cbranch_vccnz .LBB10_84
; %bb.83:
	s_wait_xcnt 0x0
	v_lshlrev_b32_e32 v0, 3, v0
	s_delay_alu instid0(VALU_DEP_1)
	v_mov_b32_e32 v26, v0
	scratch_load_b64 v[0:1], v26, off offset:-8
	scratch_load_b64 v[24:25], off, off offset:64
	s_wait_loadcnt 0x1
	scratch_store_b64 off, v[0:1], off offset:64
	s_wait_loadcnt 0x0
	scratch_store_b64 v26, v[24:25], off offset:-8
.LBB10_84:
	s_wait_xcnt 0x0
	v_mov_b32_e32 v0, 0
	global_load_b32 v1, v0, s[2:3] offset:28
	s_wait_loadcnt 0x0
	v_cmp_eq_u32_e32 vcc_lo, 8, v1
	s_cbranch_vccnz .LBB10_86
; %bb.85:
	v_lshlrev_b32_e32 v1, 3, v1
	scratch_load_b64 v[24:25], v1, off offset:-8
	scratch_load_b64 v[26:27], off, off offset:56
	s_wait_loadcnt 0x1
	scratch_store_b64 off, v[24:25], off offset:56
	s_wait_loadcnt 0x0
	scratch_store_b64 v1, v[26:27], off offset:-8
.LBB10_86:
	global_load_b32 v0, v0, s[2:3] offset:24
	s_wait_loadcnt 0x0
	v_cmp_eq_u32_e32 vcc_lo, 7, v0
	s_cbranch_vccnz .LBB10_88
; %bb.87:
	s_wait_xcnt 0x0
	v_lshlrev_b32_e32 v0, 3, v0
	s_delay_alu instid0(VALU_DEP_1)
	v_mov_b32_e32 v26, v0
	scratch_load_b64 v[0:1], v26, off offset:-8
	scratch_load_b64 v[24:25], off, off offset:48
	s_wait_loadcnt 0x1
	scratch_store_b64 off, v[0:1], off offset:48
	s_wait_loadcnt 0x0
	scratch_store_b64 v26, v[24:25], off offset:-8
.LBB10_88:
	s_wait_xcnt 0x0
	v_mov_b32_e32 v0, 0
	global_load_b32 v1, v0, s[2:3] offset:20
	s_wait_loadcnt 0x0
	v_cmp_eq_u32_e32 vcc_lo, 6, v1
	s_cbranch_vccnz .LBB10_90
; %bb.89:
	v_lshlrev_b32_e32 v1, 3, v1
	scratch_load_b64 v[24:25], v1, off offset:-8
	scratch_load_b64 v[26:27], off, off offset:40
	s_wait_loadcnt 0x1
	scratch_store_b64 off, v[24:25], off offset:40
	s_wait_loadcnt 0x0
	scratch_store_b64 v1, v[26:27], off offset:-8
.LBB10_90:
	;; [unrolled: 31-line block ×4, first 2 shown]
	global_load_b32 v24, v0, s[2:3]
	scratch_load_b64 v[0:1], off, off
	s_wait_loadcnt 0x1
	v_cmp_eq_u32_e32 vcc_lo, 1, v24
	s_cbranch_vccnz .LBB10_100
; %bb.99:
	v_lshlrev_b32_e32 v24, 3, v24
	s_delay_alu instid0(VALU_DEP_1)
	v_mov_b32_e32 v26, v24
	scratch_load_b64 v[24:25], v26, off offset:-8
	s_wait_loadcnt 0x0
	scratch_store_b64 off, v[24:25], off
	scratch_store_b64 v26, v[0:1], off offset:-8
	scratch_load_b64 v[0:1], off, off
.LBB10_100:
	v_lshl_add_u64 v[24:25], v[6:7], 3, s[4:5]
	v_lshl_add_u64 v[26:27], v[8:9], 3, s[4:5]
	v_lshl_add_u64 v[6:7], v[20:21], 3, s[4:5]
	v_lshl_add_u64 v[8:9], v[22:23], 3, s[4:5]
	s_clause 0x4
	scratch_load_b128 v[20:23], off, off offset:8
	scratch_load_b128 v[28:31], off, off offset:24
	;; [unrolled: 1-line block ×5, first 2 shown]
	v_lshl_add_u64 v[10:11], v[10:11], 3, s[4:5]
	v_lshl_add_u64 v[12:13], v[12:13], 3, s[4:5]
	;; [unrolled: 1-line block ×5, first 2 shown]
	s_wait_loadcnt 0x5
	global_store_b64 v[2:3], v[0:1], off
	s_wait_loadcnt 0x4
	s_clause 0x1
	global_store_b64 v[4:5], v[20:21], off
	global_store_b64 v[24:25], v[22:23], off
	s_wait_loadcnt 0x3
	s_clause 0x1
	global_store_b64 v[26:27], v[28:29], off
	global_store_b64 v[10:11], v[30:31], off
	s_wait_loadcnt 0x2
	s_clause 0x1
	global_store_b64 v[12:13], v[32:33], off
	global_store_b64 v[14:15], v[34:35], off
	s_wait_loadcnt 0x1
	s_clause 0x1
	global_store_b64 v[16:17], v[36:37], off
	global_store_b64 v[18:19], v[38:39], off
	s_wait_loadcnt 0x0
	s_clause 0x1
	global_store_b64 v[6:7], v[40:41], off
	global_store_b64 v[8:9], v[42:43], off
	s_sendmsg sendmsg(MSG_DEALLOC_VGPRS)
	s_endpgm
	.section	.rodata,"a",@progbits
	.p2align	6, 0x0
	.amdhsa_kernel _ZN9rocsolver6v33100L18getri_kernel_smallILi11E19rocblas_complex_numIfEPS3_EEvT1_iilPiilS6_bb
		.amdhsa_group_segment_fixed_size 184
		.amdhsa_private_segment_fixed_size 96
		.amdhsa_kernarg_size 60
		.amdhsa_user_sgpr_count 2
		.amdhsa_user_sgpr_dispatch_ptr 0
		.amdhsa_user_sgpr_queue_ptr 0
		.amdhsa_user_sgpr_kernarg_segment_ptr 1
		.amdhsa_user_sgpr_dispatch_id 0
		.amdhsa_user_sgpr_kernarg_preload_length 0
		.amdhsa_user_sgpr_kernarg_preload_offset 0
		.amdhsa_user_sgpr_private_segment_size 0
		.amdhsa_wavefront_size32 1
		.amdhsa_uses_dynamic_stack 0
		.amdhsa_enable_private_segment 1
		.amdhsa_system_sgpr_workgroup_id_x 1
		.amdhsa_system_sgpr_workgroup_id_y 0
		.amdhsa_system_sgpr_workgroup_id_z 0
		.amdhsa_system_sgpr_workgroup_info 0
		.amdhsa_system_vgpr_workitem_id 0
		.amdhsa_next_free_vgpr 86
		.amdhsa_next_free_sgpr 19
		.amdhsa_named_barrier_count 0
		.amdhsa_reserve_vcc 1
		.amdhsa_float_round_mode_32 0
		.amdhsa_float_round_mode_16_64 0
		.amdhsa_float_denorm_mode_32 3
		.amdhsa_float_denorm_mode_16_64 3
		.amdhsa_fp16_overflow 0
		.amdhsa_memory_ordered 1
		.amdhsa_forward_progress 1
		.amdhsa_inst_pref_size 77
		.amdhsa_round_robin_scheduling 0
		.amdhsa_exception_fp_ieee_invalid_op 0
		.amdhsa_exception_fp_denorm_src 0
		.amdhsa_exception_fp_ieee_div_zero 0
		.amdhsa_exception_fp_ieee_overflow 0
		.amdhsa_exception_fp_ieee_underflow 0
		.amdhsa_exception_fp_ieee_inexact 0
		.amdhsa_exception_int_div_zero 0
	.end_amdhsa_kernel
	.section	.text._ZN9rocsolver6v33100L18getri_kernel_smallILi11E19rocblas_complex_numIfEPS3_EEvT1_iilPiilS6_bb,"axG",@progbits,_ZN9rocsolver6v33100L18getri_kernel_smallILi11E19rocblas_complex_numIfEPS3_EEvT1_iilPiilS6_bb,comdat
.Lfunc_end10:
	.size	_ZN9rocsolver6v33100L18getri_kernel_smallILi11E19rocblas_complex_numIfEPS3_EEvT1_iilPiilS6_bb, .Lfunc_end10-_ZN9rocsolver6v33100L18getri_kernel_smallILi11E19rocblas_complex_numIfEPS3_EEvT1_iilPiilS6_bb
                                        ; -- End function
	.set _ZN9rocsolver6v33100L18getri_kernel_smallILi11E19rocblas_complex_numIfEPS3_EEvT1_iilPiilS6_bb.num_vgpr, 86
	.set _ZN9rocsolver6v33100L18getri_kernel_smallILi11E19rocblas_complex_numIfEPS3_EEvT1_iilPiilS6_bb.num_agpr, 0
	.set _ZN9rocsolver6v33100L18getri_kernel_smallILi11E19rocblas_complex_numIfEPS3_EEvT1_iilPiilS6_bb.numbered_sgpr, 19
	.set _ZN9rocsolver6v33100L18getri_kernel_smallILi11E19rocblas_complex_numIfEPS3_EEvT1_iilPiilS6_bb.num_named_barrier, 0
	.set _ZN9rocsolver6v33100L18getri_kernel_smallILi11E19rocblas_complex_numIfEPS3_EEvT1_iilPiilS6_bb.private_seg_size, 96
	.set _ZN9rocsolver6v33100L18getri_kernel_smallILi11E19rocblas_complex_numIfEPS3_EEvT1_iilPiilS6_bb.uses_vcc, 1
	.set _ZN9rocsolver6v33100L18getri_kernel_smallILi11E19rocblas_complex_numIfEPS3_EEvT1_iilPiilS6_bb.uses_flat_scratch, 1
	.set _ZN9rocsolver6v33100L18getri_kernel_smallILi11E19rocblas_complex_numIfEPS3_EEvT1_iilPiilS6_bb.has_dyn_sized_stack, 0
	.set _ZN9rocsolver6v33100L18getri_kernel_smallILi11E19rocblas_complex_numIfEPS3_EEvT1_iilPiilS6_bb.has_recursion, 0
	.set _ZN9rocsolver6v33100L18getri_kernel_smallILi11E19rocblas_complex_numIfEPS3_EEvT1_iilPiilS6_bb.has_indirect_call, 0
	.section	.AMDGPU.csdata,"",@progbits
; Kernel info:
; codeLenInByte = 9816
; TotalNumSgprs: 21
; NumVgprs: 86
; ScratchSize: 96
; MemoryBound: 0
; FloatMode: 240
; IeeeMode: 1
; LDSByteSize: 184 bytes/workgroup (compile time only)
; SGPRBlocks: 0
; VGPRBlocks: 5
; NumSGPRsForWavesPerEU: 21
; NumVGPRsForWavesPerEU: 86
; NamedBarCnt: 0
; Occupancy: 10
; WaveLimiterHint : 1
; COMPUTE_PGM_RSRC2:SCRATCH_EN: 1
; COMPUTE_PGM_RSRC2:USER_SGPR: 2
; COMPUTE_PGM_RSRC2:TRAP_HANDLER: 0
; COMPUTE_PGM_RSRC2:TGID_X_EN: 1
; COMPUTE_PGM_RSRC2:TGID_Y_EN: 0
; COMPUTE_PGM_RSRC2:TGID_Z_EN: 0
; COMPUTE_PGM_RSRC2:TIDIG_COMP_CNT: 0
	.section	.text._ZN9rocsolver6v33100L18getri_kernel_smallILi12E19rocblas_complex_numIfEPS3_EEvT1_iilPiilS6_bb,"axG",@progbits,_ZN9rocsolver6v33100L18getri_kernel_smallILi12E19rocblas_complex_numIfEPS3_EEvT1_iilPiilS6_bb,comdat
	.globl	_ZN9rocsolver6v33100L18getri_kernel_smallILi12E19rocblas_complex_numIfEPS3_EEvT1_iilPiilS6_bb ; -- Begin function _ZN9rocsolver6v33100L18getri_kernel_smallILi12E19rocblas_complex_numIfEPS3_EEvT1_iilPiilS6_bb
	.p2align	8
	.type	_ZN9rocsolver6v33100L18getri_kernel_smallILi12E19rocblas_complex_numIfEPS3_EEvT1_iilPiilS6_bb,@function
_ZN9rocsolver6v33100L18getri_kernel_smallILi12E19rocblas_complex_numIfEPS3_EEvT1_iilPiilS6_bb: ; @_ZN9rocsolver6v33100L18getri_kernel_smallILi12E19rocblas_complex_numIfEPS3_EEvT1_iilPiilS6_bb
; %bb.0:
	s_mov_b32 s2, exec_lo
	v_cmpx_gt_u32_e32 12, v0
	s_cbranch_execz .LBB11_62
; %bb.1:
	s_clause 0x2
	s_load_b32 s2, s[0:1], 0x38
	s_load_b128 s[12:15], s[0:1], 0x10
	s_load_b128 s[4:7], s[0:1], 0x28
	s_getreg_b32 s9, hwreg(HW_REG_IB_STS2, 6, 4)
	s_wait_kmcnt 0x0
	s_bitcmp1_b32 s2, 8
	s_cselect_b32 s18, -1, 0
	s_bfe_u32 s3, ttmp6, 0x4000c
	s_and_b32 s8, ttmp6, 15
	s_add_co_i32 s3, s3, 1
	s_delay_alu instid0(SALU_CYCLE_1) | instskip(NEXT) | instid1(SALU_CYCLE_1)
	s_mul_i32 s3, ttmp9, s3
	s_add_co_i32 s8, s8, s3
	s_cmp_eq_u32 s9, 0
	s_cselect_b32 s16, ttmp9, s8
	s_bfe_u32 s2, s2, 0x10008
	s_ashr_i32 s17, s16, 31
	s_cmp_eq_u32 s2, 0
                                        ; implicit-def: $sgpr2_sgpr3
	s_cbranch_scc1 .LBB11_3
; %bb.2:
	s_load_b32 s2, s[0:1], 0x20
	s_mul_u64 s[4:5], s[4:5], s[16:17]
	s_delay_alu instid0(SALU_CYCLE_1) | instskip(NEXT) | instid1(SALU_CYCLE_1)
	s_lshl_b64 s[4:5], s[4:5], 2
	s_add_nc_u64 s[4:5], s[14:15], s[4:5]
	s_wait_kmcnt 0x0
	s_ashr_i32 s3, s2, 31
	s_delay_alu instid0(SALU_CYCLE_1) | instskip(NEXT) | instid1(SALU_CYCLE_1)
	s_lshl_b64 s[2:3], s[2:3], 2
	s_add_nc_u64 s[2:3], s[4:5], s[2:3]
.LBB11_3:
	s_clause 0x1
	s_load_b128 s[8:11], s[0:1], 0x0
	s_load_b32 s14, s[0:1], 0x38
	s_wait_xcnt 0x0
	s_mul_u64 s[0:1], s[12:13], s[16:17]
	v_lshlrev_b32_e32 v26, 3, v0
	s_lshl_b64 s[0:1], s[0:1], 3
	v_mov_b32_e32 v27, 0
	s_wait_kmcnt 0x0
	v_add3_u32 v6, s11, s11, v0
	s_ashr_i32 s5, s10, 31
	s_mov_b32 s4, s10
	s_add_nc_u64 s[0:1], s[8:9], s[0:1]
	s_lshl_b64 s[4:5], s[4:5], 3
	v_add_nc_u32_e32 v8, s11, v6
	s_add_nc_u64 s[4:5], s[0:1], s[4:5]
	s_ashr_i32 s1, s11, 31
	s_mov_b32 s0, s11
	s_bitcmp0_b32 s14, 0
	v_add_nc_u32_e32 v10, s11, v8
	v_add_nc_u64_e32 v[2:3], s[4:5], v[26:27]
	s_delay_alu instid0(VALU_DEP_2) | instskip(NEXT) | instid1(VALU_DEP_2)
	v_add_nc_u32_e32 v12, s11, v10
	v_lshl_add_u64 v[4:5], s[0:1], 3, v[2:3]
	s_mov_b32 s1, -1
	s_delay_alu instid0(VALU_DEP_2) | instskip(SKIP_4) | instid1(VALU_DEP_1)
	v_add_nc_u32_e32 v14, s11, v12
	s_clause 0x1
	global_load_b64 v[28:29], v0, s[4:5] scale_offset
	global_load_b64 v[30:31], v[4:5], off
	v_add_nc_u32_e32 v16, s11, v14
	v_add_nc_u32_e32 v18, s11, v16
	s_clause 0x3
	global_load_b64 v[32:33], v6, s[4:5] scale_offset
	global_load_b64 v[34:35], v8, s[4:5] scale_offset
	;; [unrolled: 1-line block ×4, first 2 shown]
	v_add_nc_u32_e32 v20, s11, v18
	s_delay_alu instid0(VALU_DEP_1) | instskip(NEXT) | instid1(VALU_DEP_1)
	v_add_nc_u32_e32 v22, s11, v20
	v_add_nc_u32_e32 v24, s11, v22
	s_clause 0x5
	global_load_b64 v[40:41], v14, s[4:5] scale_offset
	global_load_b64 v[42:43], v16, s[4:5] scale_offset
	;; [unrolled: 1-line block ×6, first 2 shown]
	s_wait_loadcnt 0xa
	scratch_store_b128 off, v[28:31], off
	s_wait_loadcnt 0x8
	scratch_store_b128 off, v[32:35], off offset:16
	s_wait_loadcnt 0x6
	scratch_store_b128 off, v[36:39], off offset:32
	;; [unrolled: 2-line block ×5, first 2 shown]
	s_cbranch_scc1 .LBB11_60
; %bb.4:
	v_cmp_eq_u32_e64 s0, 0, v0
	s_wait_xcnt 0x0
	s_and_saveexec_b32 s1, s0
; %bb.5:
	v_mov_b32_e32 v1, 0
	ds_store_b32 v1, v1 offset:192
; %bb.6:
	s_or_b32 exec_lo, exec_lo, s1
	s_wait_storecnt_dscnt 0x0
	s_barrier_signal -1
	s_barrier_wait -1
	scratch_load_b64 v[28:29], v0, off scale_offset
	s_wait_loadcnt 0x0
	v_cmp_eq_f32_e32 vcc_lo, 0, v28
	v_cmp_eq_f32_e64 s1, 0, v29
	s_and_b32 s1, vcc_lo, s1
	s_delay_alu instid0(SALU_CYCLE_1)
	s_and_saveexec_b32 s8, s1
	s_cbranch_execz .LBB11_10
; %bb.7:
	v_mov_b32_e32 v1, 0
	s_mov_b32 s9, 0
	ds_load_b32 v7, v1 offset:192
	s_wait_dscnt 0x0
	v_readfirstlane_b32 s1, v7
	v_add_nc_u32_e32 v7, 1, v0
	s_cmp_eq_u32 s1, 0
	s_delay_alu instid0(VALU_DEP_1) | instskip(SKIP_1) | instid1(SALU_CYCLE_1)
	v_cmp_gt_i32_e32 vcc_lo, s1, v7
	s_cselect_b32 s10, -1, 0
	s_or_b32 s10, s10, vcc_lo
	s_delay_alu instid0(SALU_CYCLE_1)
	s_and_b32 exec_lo, exec_lo, s10
	s_cbranch_execz .LBB11_10
; %bb.8:
	v_mov_b32_e32 v9, s1
.LBB11_9:                               ; =>This Inner Loop Header: Depth=1
	ds_cmpstore_rtn_b32 v9, v1, v7, v9 offset:192
	s_wait_dscnt 0x0
	v_cmp_ne_u32_e32 vcc_lo, 0, v9
	v_cmp_le_i32_e64 s1, v9, v7
	s_and_b32 s1, vcc_lo, s1
	s_delay_alu instid0(SALU_CYCLE_1) | instskip(NEXT) | instid1(SALU_CYCLE_1)
	s_and_b32 s1, exec_lo, s1
	s_or_b32 s9, s1, s9
	s_delay_alu instid0(SALU_CYCLE_1)
	s_and_not1_b32 exec_lo, exec_lo, s9
	s_cbranch_execnz .LBB11_9
.LBB11_10:
	s_or_b32 exec_lo, exec_lo, s8
	v_mov_b32_e32 v1, 0
	s_barrier_signal -1
	s_barrier_wait -1
	ds_load_b32 v7, v1 offset:192
	s_and_saveexec_b32 s1, s0
	s_cbranch_execz .LBB11_12
; %bb.11:
	s_lshl_b64 s[8:9], s[16:17], 2
	s_delay_alu instid0(SALU_CYCLE_1)
	s_add_nc_u64 s[8:9], s[6:7], s[8:9]
	s_wait_dscnt 0x0
	global_store_b32 v1, v7, s[8:9]
.LBB11_12:
	s_wait_xcnt 0x0
	s_or_b32 exec_lo, exec_lo, s1
	s_wait_dscnt 0x0
	v_cmp_ne_u32_e32 vcc_lo, 0, v7
	s_mov_b32 s1, 0
	s_cbranch_vccnz .LBB11_60
; %bb.13:
	v_lshl_add_u32 v7, v0, 3, 0
                                        ; implicit-def: $vgpr31
                                        ; implicit-def: $vgpr32
	scratch_load_b64 v[28:29], v7, off
	s_wait_loadcnt 0x0
	v_cmp_ngt_f32_e64 s1, |v28|, |v29|
	s_wait_xcnt 0x0
	s_and_saveexec_b32 s8, s1
	s_delay_alu instid0(SALU_CYCLE_1)
	s_xor_b32 s1, exec_lo, s8
	s_cbranch_execz .LBB11_15
; %bb.14:
	v_div_scale_f32 v1, null, v29, v29, v28
	v_div_scale_f32 v13, vcc_lo, v28, v29, v28
	s_delay_alu instid0(VALU_DEP_2) | instskip(SKIP_1) | instid1(TRANS32_DEP_1)
	v_rcp_f32_e32 v9, v1
	v_nop
	v_fma_f32 v11, -v1, v9, 1.0
	s_delay_alu instid0(VALU_DEP_1) | instskip(NEXT) | instid1(VALU_DEP_1)
	v_fmac_f32_e32 v9, v11, v9
	v_mul_f32_e32 v11, v13, v9
	s_delay_alu instid0(VALU_DEP_1) | instskip(NEXT) | instid1(VALU_DEP_1)
	v_fma_f32 v15, -v1, v11, v13
	v_fmac_f32_e32 v11, v15, v9
	s_delay_alu instid0(VALU_DEP_1) | instskip(NEXT) | instid1(VALU_DEP_1)
	v_fma_f32 v1, -v1, v11, v13
	v_div_fmas_f32 v1, v1, v9, v11
	s_delay_alu instid0(VALU_DEP_1) | instskip(NEXT) | instid1(VALU_DEP_1)
	v_div_fixup_f32 v1, v1, v29, v28
	v_fmac_f32_e32 v29, v28, v1
	s_delay_alu instid0(VALU_DEP_1) | instskip(NEXT) | instid1(VALU_DEP_1)
	v_div_scale_f32 v9, null, v29, v29, -1.0
	v_rcp_f32_e32 v11, v9
	v_nop
	s_delay_alu instid0(TRANS32_DEP_1) | instskip(NEXT) | instid1(VALU_DEP_1)
	v_fma_f32 v13, -v9, v11, 1.0
	v_fmac_f32_e32 v11, v13, v11
	v_div_scale_f32 v13, vcc_lo, -1.0, v29, -1.0
	s_delay_alu instid0(VALU_DEP_1) | instskip(NEXT) | instid1(VALU_DEP_1)
	v_mul_f32_e32 v15, v13, v11
	v_fma_f32 v17, -v9, v15, v13
	s_delay_alu instid0(VALU_DEP_1) | instskip(NEXT) | instid1(VALU_DEP_1)
	v_fmac_f32_e32 v15, v17, v11
	v_fma_f32 v9, -v9, v15, v13
	s_delay_alu instid0(VALU_DEP_1) | instskip(NEXT) | instid1(VALU_DEP_1)
	v_div_fmas_f32 v9, v9, v11, v15
	v_div_fixup_f32 v31, v9, v29, -1.0
                                        ; implicit-def: $vgpr28_vgpr29
	s_delay_alu instid0(VALU_DEP_1) | instskip(NEXT) | instid1(VALU_DEP_1)
	v_mul_f32_e32 v32, v1, v31
	v_xor_b32_e32 v30, 0x80000000, v32
.LBB11_15:
	s_and_not1_saveexec_b32 s1, s1
	s_cbranch_execz .LBB11_17
; %bb.16:
	v_div_scale_f32 v1, null, v28, v28, v29
	v_div_scale_f32 v13, vcc_lo, v29, v28, v29
	s_delay_alu instid0(VALU_DEP_2) | instskip(SKIP_1) | instid1(TRANS32_DEP_1)
	v_rcp_f32_e32 v9, v1
	v_nop
	v_fma_f32 v11, -v1, v9, 1.0
	s_delay_alu instid0(VALU_DEP_1) | instskip(NEXT) | instid1(VALU_DEP_1)
	v_fmac_f32_e32 v9, v11, v9
	v_mul_f32_e32 v11, v13, v9
	s_delay_alu instid0(VALU_DEP_1) | instskip(NEXT) | instid1(VALU_DEP_1)
	v_fma_f32 v15, -v1, v11, v13
	v_fmac_f32_e32 v11, v15, v9
	s_delay_alu instid0(VALU_DEP_1) | instskip(NEXT) | instid1(VALU_DEP_1)
	v_fma_f32 v1, -v1, v11, v13
	v_div_fmas_f32 v1, v1, v9, v11
	s_delay_alu instid0(VALU_DEP_1) | instskip(NEXT) | instid1(VALU_DEP_1)
	v_div_fixup_f32 v1, v1, v28, v29
	v_fmac_f32_e32 v28, v29, v1
	s_delay_alu instid0(VALU_DEP_1) | instskip(SKIP_1) | instid1(VALU_DEP_2)
	v_div_scale_f32 v9, null, v28, v28, 1.0
	v_div_scale_f32 v15, vcc_lo, 1.0, v28, 1.0
	v_rcp_f32_e32 v11, v9
	v_nop
	s_delay_alu instid0(TRANS32_DEP_1) | instskip(NEXT) | instid1(VALU_DEP_1)
	v_fma_f32 v13, -v9, v11, 1.0
	v_fmac_f32_e32 v11, v13, v11
	s_delay_alu instid0(VALU_DEP_1) | instskip(NEXT) | instid1(VALU_DEP_1)
	v_mul_f32_e32 v13, v15, v11
	v_fma_f32 v17, -v9, v13, v15
	s_delay_alu instid0(VALU_DEP_1) | instskip(NEXT) | instid1(VALU_DEP_1)
	v_fmac_f32_e32 v13, v17, v11
	v_fma_f32 v9, -v9, v13, v15
	s_delay_alu instid0(VALU_DEP_1) | instskip(NEXT) | instid1(VALU_DEP_1)
	v_div_fmas_f32 v9, v9, v11, v13
	v_div_fixup_f32 v30, v9, v28, 1.0
	s_delay_alu instid0(VALU_DEP_1)
	v_xor_b32_e32 v32, 0x80000000, v30
	v_mul_f32_e64 v31, v1, -v30
.LBB11_17:
	s_or_b32 exec_lo, exec_lo, s1
	scratch_store_b64 v7, v[30:31], off
	scratch_load_b64 v[28:29], off, off offset:8
	v_xor_b32_e32 v33, 0x80000000, v31
	v_add_nc_u32_e32 v1, 0x60, v26
	s_wait_loadcnt 0x0
	ds_store_2addr_b64 v26, v[32:33], v[28:29] offset1:12
	s_wait_storecnt_dscnt 0x0
	s_barrier_signal -1
	s_barrier_wait -1
	s_wait_xcnt 0x0
	s_and_saveexec_b32 s1, s0
	s_cbranch_execz .LBB11_19
; %bb.18:
	scratch_load_b64 v[28:29], v7, off
	ds_load_b64 v[30:31], v1
	s_wait_loadcnt_dscnt 0x0
	v_pk_mul_f32 v[34:35], v[30:31], v[28:29] op_sel:[1,1] op_sel_hi:[0,1]
	s_delay_alu instid0(VALU_DEP_1) | instskip(SKIP_2) | instid1(VALU_DEP_3)
	v_pk_fma_f32 v[36:37], v[30:31], v[28:29], v[34:35] op_sel_hi:[1,0,1]
	v_mov_b32_e32 v9, 0
	v_pk_fma_f32 v[28:29], v[30:31], v[28:29], v[34:35] neg_lo:[0,0,1] neg_hi:[0,0,1]
	v_mov_b32_e32 v29, v37
	ds_load_b64 v[32:33], v9 offset:8
	v_pk_add_f32 v[28:29], v[28:29], 0 op_sel_hi:[1,0]
	s_wait_dscnt 0x0
	s_delay_alu instid0(VALU_DEP_1) | instskip(NEXT) | instid1(VALU_DEP_1)
	v_pk_mul_f32 v[30:31], v[28:29], v[32:33] op_sel:[1,1] op_sel_hi:[0,1]
	v_pk_fma_f32 v[34:35], v[28:29], v[32:33], v[30:31] op_sel_hi:[1,0,1]
	v_pk_fma_f32 v[28:29], v[28:29], v[32:33], v[30:31] neg_lo:[0,0,1] neg_hi:[0,0,1]
	s_delay_alu instid0(VALU_DEP_2)
	v_mov_b32_e32 v29, v35
	scratch_store_b64 off, v[28:29], off offset:8
.LBB11_19:
	s_wait_xcnt 0x0
	s_or_b32 exec_lo, exec_lo, s1
	s_wait_storecnt 0x0
	s_barrier_signal -1
	s_barrier_wait -1
	scratch_load_b64 v[28:29], off, off offset:16
	s_mov_b32 s1, exec_lo
	s_wait_loadcnt 0x0
	ds_store_b64 v1, v[28:29]
	s_wait_dscnt 0x0
	s_barrier_signal -1
	s_barrier_wait -1
	v_cmpx_gt_u32_e32 2, v0
	s_cbranch_execz .LBB11_23
; %bb.20:
	scratch_load_b64 v[28:29], v7, off
	ds_load_b64 v[30:31], v1
	s_wait_loadcnt_dscnt 0x0
	v_pk_mul_f32 v[32:33], v[30:31], v[28:29] op_sel:[1,1] op_sel_hi:[0,1]
	s_delay_alu instid0(VALU_DEP_1) | instskip(SKIP_1) | instid1(VALU_DEP_2)
	v_pk_fma_f32 v[34:35], v[30:31], v[28:29], v[32:33] op_sel_hi:[1,0,1]
	v_pk_fma_f32 v[28:29], v[30:31], v[28:29], v[32:33] neg_lo:[0,0,1] neg_hi:[0,0,1]
	v_mov_b32_e32 v29, v35
	s_delay_alu instid0(VALU_DEP_1)
	v_pk_add_f32 v[28:29], v[28:29], 0 op_sel_hi:[1,0]
	s_and_saveexec_b32 s8, s0
	s_cbranch_execz .LBB11_22
; %bb.21:
	scratch_load_b64 v[30:31], off, off offset:8
	v_mov_b32_e32 v7, 0
	ds_load_b64 v[32:33], v7 offset:104
	s_wait_loadcnt_dscnt 0x0
	v_pk_mul_f32 v[34:35], v[32:33], v[30:31] op_sel:[1,1] op_sel_hi:[0,1]
	s_delay_alu instid0(VALU_DEP_1) | instskip(SKIP_1) | instid1(VALU_DEP_2)
	v_pk_fma_f32 v[36:37], v[32:33], v[30:31], v[34:35] op_sel_hi:[1,0,1]
	v_pk_fma_f32 v[30:31], v[32:33], v[30:31], v[34:35] neg_lo:[0,0,1] neg_hi:[0,0,1]
	v_mov_b32_e32 v31, v37
	s_delay_alu instid0(VALU_DEP_1)
	v_pk_add_f32 v[28:29], v[28:29], v[30:31]
.LBB11_22:
	s_or_b32 exec_lo, exec_lo, s8
	v_mov_b32_e32 v7, 0
	ds_load_b64 v[30:31], v7 offset:16
	s_wait_dscnt 0x0
	v_pk_mul_f32 v[32:33], v[28:29], v[30:31] op_sel:[1,1] op_sel_hi:[0,1]
	s_delay_alu instid0(VALU_DEP_1) | instskip(SKIP_1) | instid1(VALU_DEP_2)
	v_pk_fma_f32 v[34:35], v[28:29], v[30:31], v[32:33] op_sel_hi:[1,0,1]
	v_pk_fma_f32 v[28:29], v[28:29], v[30:31], v[32:33] neg_lo:[0,0,1] neg_hi:[0,0,1]
	v_mov_b32_e32 v29, v35
	scratch_store_b64 off, v[28:29], off offset:16
.LBB11_23:
	s_wait_xcnt 0x0
	s_or_b32 exec_lo, exec_lo, s1
	s_wait_storecnt 0x0
	s_barrier_signal -1
	s_barrier_wait -1
	scratch_load_b64 v[28:29], off, off offset:24
	v_add_nc_u32_e32 v7, -1, v0
	s_mov_b32 s0, exec_lo
	s_wait_loadcnt 0x0
	ds_store_b64 v1, v[28:29]
	s_wait_dscnt 0x0
	s_barrier_signal -1
	s_barrier_wait -1
	v_cmpx_gt_u32_e32 3, v0
	s_cbranch_execz .LBB11_27
; %bb.24:
	v_dual_mov_b32 v28, 0 :: v_dual_add_nc_u32 v9, -1, v0
	v_add_nc_u32_e32 v11, 0x60, v26
	v_mov_b32_e32 v13, v26
	s_mov_b32 s1, 0
	s_delay_alu instid0(VALU_DEP_3)
	v_mov_b32_e32 v29, v28
.LBB11_25:                              ; =>This Inner Loop Header: Depth=1
	scratch_load_b64 v[30:31], v13, off
	ds_load_b64 v[32:33], v11
	s_wait_xcnt 0x0
	v_dual_add_nc_u32 v11, 8, v11 :: v_dual_add_nc_u32 v13, 8, v13
	s_wait_loadcnt_dscnt 0x0
	v_pk_mul_f32 v[34:35], v[32:33], v[30:31] op_sel:[1,1] op_sel_hi:[0,1]
	s_delay_alu instid0(VALU_DEP_1) | instskip(SKIP_2) | instid1(VALU_DEP_3)
	v_pk_fma_f32 v[36:37], v[32:33], v[30:31], v[34:35] op_sel_hi:[1,0,1]
	v_add_nc_u32_e32 v9, 1, v9
	v_pk_fma_f32 v[30:31], v[32:33], v[30:31], v[34:35] neg_lo:[0,0,1] neg_hi:[0,0,1]
	v_mov_b32_e32 v31, v37
	s_delay_alu instid0(VALU_DEP_3) | instskip(NEXT) | instid1(VALU_DEP_2)
	v_cmp_lt_u32_e32 vcc_lo, 1, v9
	v_pk_add_f32 v[28:29], v[28:29], v[30:31]
	s_or_b32 s1, vcc_lo, s1
	s_delay_alu instid0(SALU_CYCLE_1)
	s_and_not1_b32 exec_lo, exec_lo, s1
	s_cbranch_execnz .LBB11_25
; %bb.26:
	s_or_b32 exec_lo, exec_lo, s1
	v_mov_b32_e32 v9, 0
	ds_load_b64 v[30:31], v9 offset:24
	s_wait_dscnt 0x0
	v_pk_mul_f32 v[32:33], v[28:29], v[30:31] op_sel:[1,1] op_sel_hi:[0,1]
	s_delay_alu instid0(VALU_DEP_1) | instskip(SKIP_1) | instid1(VALU_DEP_2)
	v_pk_fma_f32 v[34:35], v[28:29], v[30:31], v[32:33] op_sel_hi:[1,0,1]
	v_pk_fma_f32 v[28:29], v[28:29], v[30:31], v[32:33] neg_lo:[0,0,1] neg_hi:[0,0,1]
	v_mov_b32_e32 v29, v35
	scratch_store_b64 off, v[28:29], off offset:24
.LBB11_27:
	s_wait_xcnt 0x0
	s_or_b32 exec_lo, exec_lo, s0
	s_wait_storecnt 0x0
	s_barrier_signal -1
	s_barrier_wait -1
	scratch_load_b64 v[28:29], off, off offset:32
	s_mov_b32 s0, exec_lo
	s_wait_loadcnt 0x0
	ds_store_b64 v1, v[28:29]
	s_wait_dscnt 0x0
	s_barrier_signal -1
	s_barrier_wait -1
	v_cmpx_gt_u32_e32 4, v0
	s_cbranch_execz .LBB11_31
; %bb.28:
	v_dual_mov_b32 v28, 0 :: v_dual_add_nc_u32 v9, -1, v0
	v_add_nc_u32_e32 v11, 0x60, v26
	v_mov_b32_e32 v13, v26
	s_mov_b32 s1, 0
	s_delay_alu instid0(VALU_DEP_3)
	v_mov_b32_e32 v29, v28
.LBB11_29:                              ; =>This Inner Loop Header: Depth=1
	scratch_load_b64 v[30:31], v13, off
	ds_load_b64 v[32:33], v11
	s_wait_xcnt 0x0
	v_dual_add_nc_u32 v11, 8, v11 :: v_dual_add_nc_u32 v13, 8, v13
	s_wait_loadcnt_dscnt 0x0
	v_pk_mul_f32 v[34:35], v[32:33], v[30:31] op_sel:[1,1] op_sel_hi:[0,1]
	s_delay_alu instid0(VALU_DEP_1) | instskip(SKIP_2) | instid1(VALU_DEP_3)
	v_pk_fma_f32 v[36:37], v[32:33], v[30:31], v[34:35] op_sel_hi:[1,0,1]
	v_add_nc_u32_e32 v9, 1, v9
	v_pk_fma_f32 v[30:31], v[32:33], v[30:31], v[34:35] neg_lo:[0,0,1] neg_hi:[0,0,1]
	v_mov_b32_e32 v31, v37
	s_delay_alu instid0(VALU_DEP_3) | instskip(NEXT) | instid1(VALU_DEP_2)
	v_cmp_lt_u32_e32 vcc_lo, 2, v9
	v_pk_add_f32 v[28:29], v[28:29], v[30:31]
	s_or_b32 s1, vcc_lo, s1
	s_delay_alu instid0(SALU_CYCLE_1)
	s_and_not1_b32 exec_lo, exec_lo, s1
	s_cbranch_execnz .LBB11_29
; %bb.30:
	s_or_b32 exec_lo, exec_lo, s1
	v_mov_b32_e32 v9, 0
	ds_load_b64 v[30:31], v9 offset:32
	s_wait_dscnt 0x0
	v_pk_mul_f32 v[32:33], v[28:29], v[30:31] op_sel:[1,1] op_sel_hi:[0,1]
	s_delay_alu instid0(VALU_DEP_1) | instskip(SKIP_1) | instid1(VALU_DEP_2)
	v_pk_fma_f32 v[34:35], v[28:29], v[30:31], v[32:33] op_sel_hi:[1,0,1]
	v_pk_fma_f32 v[28:29], v[28:29], v[30:31], v[32:33] neg_lo:[0,0,1] neg_hi:[0,0,1]
	v_mov_b32_e32 v29, v35
	scratch_store_b64 off, v[28:29], off offset:32
.LBB11_31:
	s_wait_xcnt 0x0
	s_or_b32 exec_lo, exec_lo, s0
	s_wait_storecnt 0x0
	s_barrier_signal -1
	s_barrier_wait -1
	scratch_load_b64 v[28:29], off, off offset:40
	;; [unrolled: 52-line block ×8, first 2 shown]
	s_mov_b32 s0, exec_lo
	s_wait_loadcnt 0x0
	ds_store_b64 v1, v[28:29]
	s_wait_dscnt 0x0
	s_barrier_signal -1
	s_barrier_wait -1
	v_cmpx_ne_u32_e32 11, v0
	s_cbranch_execz .LBB11_59
; %bb.56:
	v_dual_mov_b32 v28, 0 :: v_dual_mov_b32 v9, v26
	s_mov_b32 s1, 0
	s_delay_alu instid0(VALU_DEP_1)
	v_mov_b32_e32 v29, v28
.LBB11_57:                              ; =>This Inner Loop Header: Depth=1
	scratch_load_b64 v[26:27], v9, off
	ds_load_b64 v[30:31], v1
	v_add_nc_u32_e32 v1, 8, v1
	s_wait_xcnt 0x0
	v_add_nc_u32_e32 v9, 8, v9
	s_wait_loadcnt_dscnt 0x0
	v_pk_mul_f32 v[32:33], v[30:31], v[26:27] op_sel:[1,1] op_sel_hi:[0,1]
	s_delay_alu instid0(VALU_DEP_1) | instskip(SKIP_2) | instid1(VALU_DEP_3)
	v_pk_fma_f32 v[34:35], v[30:31], v[26:27], v[32:33] op_sel_hi:[1,0,1]
	v_add_nc_u32_e32 v7, 1, v7
	v_pk_fma_f32 v[26:27], v[30:31], v[26:27], v[32:33] neg_lo:[0,0,1] neg_hi:[0,0,1]
	v_mov_b32_e32 v27, v35
	s_delay_alu instid0(VALU_DEP_3) | instskip(NEXT) | instid1(VALU_DEP_2)
	v_cmp_lt_u32_e32 vcc_lo, 9, v7
	v_pk_add_f32 v[28:29], v[28:29], v[26:27]
	s_or_b32 s1, vcc_lo, s1
	s_delay_alu instid0(SALU_CYCLE_1)
	s_and_not1_b32 exec_lo, exec_lo, s1
	s_cbranch_execnz .LBB11_57
; %bb.58:
	s_or_b32 exec_lo, exec_lo, s1
	v_mov_b32_e32 v1, 0
	ds_load_b64 v[26:27], v1 offset:88
	s_wait_dscnt 0x0
	v_pk_mul_f32 v[30:31], v[28:29], v[26:27] op_sel:[1,1] op_sel_hi:[0,1]
	s_delay_alu instid0(VALU_DEP_1) | instskip(SKIP_1) | instid1(VALU_DEP_2)
	v_pk_fma_f32 v[32:33], v[28:29], v[26:27], v[30:31] op_sel_hi:[1,0,1]
	v_pk_fma_f32 v[26:27], v[28:29], v[26:27], v[30:31] neg_lo:[0,0,1] neg_hi:[0,0,1]
	v_mov_b32_e32 v27, v33
	scratch_store_b64 off, v[26:27], off offset:88
.LBB11_59:
	s_wait_xcnt 0x0
	s_or_b32 exec_lo, exec_lo, s0
	s_mov_b32 s1, -1
	s_wait_storecnt 0x0
	s_barrier_signal -1
	s_barrier_wait -1
.LBB11_60:
	s_and_b32 vcc_lo, exec_lo, s1
	s_cbranch_vccz .LBB11_62
; %bb.61:
	v_mov_b32_e32 v1, 0
	s_lshl_b64 s[0:1], s[16:17], 2
	s_delay_alu instid0(SALU_CYCLE_1)
	s_add_nc_u64 s[0:1], s[6:7], s[0:1]
	global_load_b32 v1, v1, s[0:1]
	s_wait_loadcnt 0x0
	v_cmp_ne_u32_e32 vcc_lo, 0, v1
	s_cbranch_vccz .LBB11_63
.LBB11_62:
	s_sendmsg sendmsg(MSG_DEALLOC_VGPRS)
	s_endpgm
.LBB11_63:
	s_wait_xcnt 0x0
	v_lshl_add_u32 v1, v0, 3, 0x60
	s_mov_b32 s0, exec_lo
	v_cmpx_eq_u32_e32 11, v0
	s_cbranch_execz .LBB11_65
; %bb.64:
	scratch_load_b64 v[26:27], off, off offset:80
	v_mov_b64_e32 v[28:29], 0
	scratch_store_b64 off, v[28:29], off offset:80
	s_wait_loadcnt 0x0
	ds_store_b64 v1, v[26:27]
.LBB11_65:
	s_wait_xcnt 0x0
	s_or_b32 exec_lo, exec_lo, s0
	s_wait_storecnt_dscnt 0x0
	s_barrier_signal -1
	s_barrier_wait -1
	s_clause 0x1
	scratch_load_b64 v[26:27], off, off offset:88
	scratch_load_b64 v[28:29], off, off offset:80
	v_mov_b32_e32 v7, 0
	s_mov_b32 s0, exec_lo
	ds_load_b64 v[30:31], v7 offset:184
	s_wait_loadcnt_dscnt 0x100
	v_pk_mul_f32 v[32:33], v[30:31], v[26:27] op_sel:[1,1] op_sel_hi:[0,1]
	s_delay_alu instid0(VALU_DEP_1) | instskip(SKIP_1) | instid1(VALU_DEP_2)
	v_pk_fma_f32 v[34:35], v[30:31], v[26:27], v[32:33] op_sel_hi:[1,0,1]
	v_pk_fma_f32 v[26:27], v[30:31], v[26:27], v[32:33] neg_lo:[0,0,1] neg_hi:[0,0,1]
	v_mov_b32_e32 v27, v35
	s_delay_alu instid0(VALU_DEP_1) | instskip(SKIP_1) | instid1(VALU_DEP_1)
	v_pk_add_f32 v[26:27], v[26:27], 0 op_sel_hi:[1,0]
	s_wait_loadcnt 0x0
	v_pk_add_f32 v[26:27], v[28:29], v[26:27] neg_lo:[0,1] neg_hi:[0,1]
	scratch_store_b64 off, v[26:27], off offset:80
	s_wait_xcnt 0x0
	v_cmpx_lt_u32_e32 9, v0
	s_cbranch_execz .LBB11_67
; %bb.66:
	scratch_load_b64 v[26:27], off, off offset:72
	v_mov_b64_e32 v[28:29], 0
	scratch_store_b64 off, v[28:29], off offset:72
	s_wait_loadcnt 0x0
	ds_store_b64 v1, v[26:27]
.LBB11_67:
	s_wait_xcnt 0x0
	s_or_b32 exec_lo, exec_lo, s0
	s_wait_storecnt_dscnt 0x0
	s_barrier_signal -1
	s_barrier_wait -1
	s_clause 0x1
	scratch_load_b128 v[26:29], off, off offset:80
	scratch_load_b64 v[34:35], off, off offset:72
	ds_load_b128 v[30:33], v7 offset:176
	s_mov_b32 s0, exec_lo
	s_wait_dscnt 0x0
	v_dual_mov_b32 v36, v33 :: v_dual_mov_b32 v37, v32
	s_wait_loadcnt 0x1
	v_pk_mul_f32 v[38:39], v[30:31], v[26:27] op_sel:[1,1] op_sel_hi:[0,1]
	s_delay_alu instid0(VALU_DEP_1) | instskip(SKIP_2) | instid1(VALU_DEP_3)
	v_pk_fma_f32 v[42:43], v[30:31], v[26:27], v[38:39] op_sel_hi:[1,0,1]
	v_mov_b32_e32 v40, v29
	v_pk_fma_f32 v[26:27], v[30:31], v[26:27], v[38:39] neg_lo:[0,0,1] neg_hi:[0,0,1]
	v_mov_b32_e32 v27, v43
	s_delay_alu instid0(VALU_DEP_3) | instskip(NEXT) | instid1(VALU_DEP_2)
	v_pk_mul_f32 v[36:37], v[36:37], v[40:41] op_sel_hi:[1,0]
	v_pk_add_f32 v[26:27], v[26:27], 0 op_sel_hi:[1,0]
	s_delay_alu instid0(VALU_DEP_2) | instskip(SKIP_1) | instid1(VALU_DEP_2)
	v_pk_fma_f32 v[30:31], v[32:33], v[28:29], v[36:37] op_sel_hi:[1,0,1]
	v_pk_fma_f32 v[28:29], v[32:33], v[28:29], v[36:37] neg_lo:[0,0,1] neg_hi:[0,0,1]
	v_mov_b32_e32 v29, v31
	s_delay_alu instid0(VALU_DEP_1) | instskip(SKIP_1) | instid1(VALU_DEP_1)
	v_pk_add_f32 v[26:27], v[26:27], v[28:29]
	s_wait_loadcnt 0x0
	v_pk_add_f32 v[26:27], v[34:35], v[26:27] neg_lo:[0,1] neg_hi:[0,1]
	scratch_store_b64 off, v[26:27], off offset:72
	s_wait_xcnt 0x0
	v_cmpx_lt_u32_e32 8, v0
	s_cbranch_execz .LBB11_69
; %bb.68:
	scratch_load_b64 v[26:27], off, off offset:64
	v_mov_b64_e32 v[28:29], 0
	scratch_store_b64 off, v[28:29], off offset:64
	s_wait_loadcnt 0x0
	ds_store_b64 v1, v[26:27]
.LBB11_69:
	s_wait_xcnt 0x0
	s_or_b32 exec_lo, exec_lo, s0
	s_wait_storecnt_dscnt 0x0
	s_barrier_signal -1
	s_barrier_wait -1
	s_clause 0x2
	scratch_load_b128 v[26:29], off, off offset:72
	scratch_load_b64 v[34:35], off, off offset:88
	scratch_load_b64 v[36:37], off, off offset:64
	v_mov_b32_e32 v7, 0
	ds_load_2addr_b64 v[30:33], v7 offset0:21 offset1:22
	ds_load_b64 v[38:39], v7 offset:184
	s_mov_b32 s0, exec_lo
	s_wait_dscnt 0x1
	v_dual_mov_b32 v40, v33 :: v_dual_mov_b32 v41, v32
	s_wait_loadcnt 0x2
	v_mov_b32_e32 v44, v29
	v_pk_mul_f32 v[42:43], v[30:31], v[26:27] op_sel:[1,1] op_sel_hi:[0,1]
	s_delay_alu instid0(VALU_DEP_2) | instskip(NEXT) | instid1(VALU_DEP_2)
	v_pk_mul_f32 v[40:41], v[40:41], v[44:45] op_sel_hi:[1,0]
	v_pk_fma_f32 v[46:47], v[30:31], v[26:27], v[42:43] op_sel_hi:[1,0,1]
	v_pk_fma_f32 v[26:27], v[30:31], v[26:27], v[42:43] neg_lo:[0,0,1] neg_hi:[0,0,1]
	s_wait_loadcnt_dscnt 0x100
	v_pk_mul_f32 v[42:43], v[38:39], v[34:35] op_sel:[1,1] op_sel_hi:[0,1]
	v_pk_fma_f32 v[30:31], v[32:33], v[28:29], v[40:41] op_sel_hi:[1,0,1]
	v_mov_b32_e32 v27, v47
	v_pk_fma_f32 v[28:29], v[32:33], v[28:29], v[40:41] neg_lo:[0,0,1] neg_hi:[0,0,1]
	s_delay_alu instid0(VALU_DEP_4) | instskip(NEXT) | instid1(VALU_DEP_4)
	v_pk_fma_f32 v[32:33], v[38:39], v[34:35], v[42:43] neg_lo:[0,0,1] neg_hi:[0,0,1]
	v_mov_b32_e32 v29, v31
	s_delay_alu instid0(VALU_DEP_4) | instskip(SKIP_1) | instid1(VALU_DEP_2)
	v_pk_add_f32 v[26:27], v[26:27], 0 op_sel_hi:[1,0]
	v_pk_fma_f32 v[30:31], v[38:39], v[34:35], v[42:43] op_sel_hi:[1,0,1]
	v_pk_add_f32 v[26:27], v[26:27], v[28:29]
	s_delay_alu instid0(VALU_DEP_2) | instskip(NEXT) | instid1(VALU_DEP_1)
	v_mov_b32_e32 v33, v31
	v_pk_add_f32 v[26:27], v[26:27], v[32:33]
	s_wait_loadcnt 0x0
	s_delay_alu instid0(VALU_DEP_1)
	v_pk_add_f32 v[26:27], v[36:37], v[26:27] neg_lo:[0,1] neg_hi:[0,1]
	scratch_store_b64 off, v[26:27], off offset:64
	s_wait_xcnt 0x0
	v_cmpx_lt_u32_e32 7, v0
	s_cbranch_execz .LBB11_71
; %bb.70:
	scratch_load_b64 v[26:27], off, off offset:56
	v_mov_b64_e32 v[28:29], 0
	scratch_store_b64 off, v[28:29], off offset:56
	s_wait_loadcnt 0x0
	ds_store_b64 v1, v[26:27]
.LBB11_71:
	s_wait_xcnt 0x0
	s_or_b32 exec_lo, exec_lo, s0
	s_wait_storecnt_dscnt 0x0
	s_barrier_signal -1
	s_barrier_wait -1
	s_clause 0x2
	scratch_load_b128 v[26:29], off, off offset:64
	scratch_load_b128 v[30:33], off, off offset:80
	scratch_load_b64 v[42:43], off, off offset:56
	ds_load_b128 v[34:37], v7 offset:160
	ds_load_b128 v[38:41], v7 offset:176
	s_mov_b32 s0, exec_lo
	s_wait_dscnt 0x1
	v_dual_mov_b32 v44, v37 :: v_dual_mov_b32 v45, v36
	s_wait_loadcnt_dscnt 0x200
	v_dual_mov_b32 v50, v41 :: v_dual_mov_b32 v48, v29
	v_pk_mul_f32 v[46:47], v[34:35], v[26:27] op_sel:[1,1] op_sel_hi:[0,1]
	s_delay_alu instid0(VALU_DEP_2) | instskip(NEXT) | instid1(VALU_DEP_2)
	v_pk_mul_f32 v[44:45], v[44:45], v[48:49] op_sel_hi:[1,0]
	v_pk_fma_f32 v[52:53], v[34:35], v[26:27], v[46:47] op_sel_hi:[1,0,1]
	v_pk_fma_f32 v[26:27], v[34:35], v[26:27], v[46:47] neg_lo:[0,0,1] neg_hi:[0,0,1]
	v_mov_b32_e32 v51, v40
	s_wait_loadcnt 0x1
	v_pk_mul_f32 v[48:49], v[38:39], v[30:31] op_sel:[1,1] op_sel_hi:[0,1]
	v_pk_fma_f32 v[34:35], v[36:37], v[28:29], v[44:45] op_sel_hi:[1,0,1]
	v_dual_mov_b32 v27, v53 :: v_dual_mov_b32 v34, v33
	v_pk_fma_f32 v[28:29], v[36:37], v[28:29], v[44:45] neg_lo:[0,0,1] neg_hi:[0,0,1]
	s_delay_alu instid0(VALU_DEP_4) | instskip(NEXT) | instid1(VALU_DEP_4)
	v_pk_fma_f32 v[46:47], v[38:39], v[30:31], v[48:49] op_sel_hi:[1,0,1]
	v_mov_b32_e32 v29, v35
	s_delay_alu instid0(VALU_DEP_4) | instskip(SKIP_2) | instid1(VALU_DEP_3)
	v_pk_add_f32 v[26:27], v[26:27], 0 op_sel_hi:[1,0]
	v_pk_mul_f32 v[34:35], v[50:51], v[34:35] op_sel_hi:[1,0]
	v_pk_fma_f32 v[30:31], v[38:39], v[30:31], v[48:49] neg_lo:[0,0,1] neg_hi:[0,0,1]
	v_pk_add_f32 v[26:27], v[26:27], v[28:29]
	s_delay_alu instid0(VALU_DEP_3) | instskip(SKIP_2) | instid1(VALU_DEP_3)
	v_pk_fma_f32 v[28:29], v[40:41], v[32:33], v[34:35] op_sel_hi:[1,0,1]
	v_mov_b32_e32 v31, v47
	v_pk_fma_f32 v[32:33], v[40:41], v[32:33], v[34:35] neg_lo:[0,0,1] neg_hi:[0,0,1]
	v_mov_b32_e32 v33, v29
	s_delay_alu instid0(VALU_DEP_3) | instskip(NEXT) | instid1(VALU_DEP_1)
	v_pk_add_f32 v[26:27], v[26:27], v[30:31]
	v_pk_add_f32 v[26:27], v[26:27], v[32:33]
	s_wait_loadcnt 0x0
	s_delay_alu instid0(VALU_DEP_1)
	v_pk_add_f32 v[26:27], v[42:43], v[26:27] neg_lo:[0,1] neg_hi:[0,1]
	scratch_store_b64 off, v[26:27], off offset:56
	s_wait_xcnt 0x0
	v_cmpx_lt_u32_e32 6, v0
	s_cbranch_execz .LBB11_73
; %bb.72:
	scratch_load_b64 v[26:27], off, off offset:48
	v_mov_b64_e32 v[28:29], 0
	scratch_store_b64 off, v[28:29], off offset:48
	s_wait_loadcnt 0x0
	ds_store_b64 v1, v[26:27]
.LBB11_73:
	s_wait_xcnt 0x0
	s_or_b32 exec_lo, exec_lo, s0
	s_wait_storecnt_dscnt 0x0
	s_barrier_signal -1
	s_barrier_wait -1
	s_clause 0x3
	scratch_load_b128 v[26:29], off, off offset:56
	scratch_load_b128 v[30:33], off, off offset:72
	scratch_load_b64 v[42:43], off, off offset:88
	scratch_load_b64 v[44:45], off, off offset:48
	v_mov_b32_e32 v7, 0
	ds_load_2addr_b64 v[34:37], v7 offset0:19 offset1:20
	ds_load_2addr_b64 v[38:41], v7 offset0:21 offset1:22
	s_mov_b32 s0, exec_lo
	s_wait_dscnt 0x1
	v_dual_mov_b32 v46, v37 :: v_dual_mov_b32 v47, v36
	ds_load_b64 v[52:53], v7 offset:184
	s_wait_dscnt 0x1
	v_dual_mov_b32 v54, v41 :: v_dual_mov_b32 v55, v40
	s_wait_loadcnt 0x3
	v_pk_mul_f32 v[48:49], v[34:35], v[26:27] op_sel:[1,1] op_sel_hi:[0,1]
	v_mov_b32_e32 v50, v29
	s_delay_alu instid0(VALU_DEP_2) | instskip(NEXT) | instid1(VALU_DEP_2)
	v_pk_fma_f32 v[56:57], v[34:35], v[26:27], v[48:49] op_sel_hi:[1,0,1]
	v_pk_mul_f32 v[46:47], v[46:47], v[50:51] op_sel_hi:[1,0]
	v_pk_fma_f32 v[26:27], v[34:35], v[26:27], v[48:49] neg_lo:[0,0,1] neg_hi:[0,0,1]
	s_wait_loadcnt 0x2
	v_pk_mul_f32 v[50:51], v[38:39], v[30:31] op_sel:[1,1] op_sel_hi:[0,1]
	v_dual_mov_b32 v56, v33 :: v_dual_mov_b32 v27, v57
	v_pk_fma_f32 v[34:35], v[36:37], v[28:29], v[46:47] op_sel_hi:[1,0,1]
	v_pk_fma_f32 v[28:29], v[36:37], v[28:29], v[46:47] neg_lo:[0,0,1] neg_hi:[0,0,1]
	s_delay_alu instid0(VALU_DEP_4) | instskip(NEXT) | instid1(VALU_DEP_4)
	v_pk_fma_f32 v[48:49], v[38:39], v[30:31], v[50:51] op_sel_hi:[1,0,1]
	v_pk_mul_f32 v[54:55], v[54:55], v[56:57] op_sel_hi:[1,0]
	v_pk_add_f32 v[26:27], v[26:27], 0 op_sel_hi:[1,0]
	v_mov_b32_e32 v29, v35
	v_pk_fma_f32 v[30:31], v[38:39], v[30:31], v[50:51] neg_lo:[0,0,1] neg_hi:[0,0,1]
	v_mov_b32_e32 v31, v49
	v_pk_fma_f32 v[34:35], v[40:41], v[32:33], v[54:55] op_sel_hi:[1,0,1]
	v_pk_fma_f32 v[32:33], v[40:41], v[32:33], v[54:55] neg_lo:[0,0,1] neg_hi:[0,0,1]
	v_pk_add_f32 v[26:27], v[26:27], v[28:29]
	s_wait_loadcnt_dscnt 0x100
	v_pk_mul_f32 v[28:29], v[52:53], v[42:43] op_sel:[1,1] op_sel_hi:[0,1]
	s_delay_alu instid0(VALU_DEP_2) | instskip(NEXT) | instid1(VALU_DEP_2)
	v_pk_add_f32 v[26:27], v[26:27], v[30:31]
	v_pk_fma_f32 v[30:31], v[52:53], v[42:43], v[28:29] op_sel_hi:[1,0,1]
	v_mov_b32_e32 v33, v35
	v_pk_fma_f32 v[28:29], v[52:53], v[42:43], v[28:29] neg_lo:[0,0,1] neg_hi:[0,0,1]
	s_delay_alu instid0(VALU_DEP_3) | instskip(NEXT) | instid1(VALU_DEP_3)
	v_mov_b32_e32 v29, v31
	v_pk_add_f32 v[26:27], v[26:27], v[32:33]
	s_delay_alu instid0(VALU_DEP_1) | instskip(SKIP_1) | instid1(VALU_DEP_1)
	v_pk_add_f32 v[26:27], v[26:27], v[28:29]
	s_wait_loadcnt 0x0
	v_pk_add_f32 v[26:27], v[44:45], v[26:27] neg_lo:[0,1] neg_hi:[0,1]
	scratch_store_b64 off, v[26:27], off offset:48
	s_wait_xcnt 0x0
	v_cmpx_lt_u32_e32 5, v0
	s_cbranch_execz .LBB11_75
; %bb.74:
	scratch_load_b64 v[26:27], off, off offset:40
	v_mov_b64_e32 v[28:29], 0
	scratch_store_b64 off, v[28:29], off offset:40
	s_wait_loadcnt 0x0
	ds_store_b64 v1, v[26:27]
.LBB11_75:
	s_wait_xcnt 0x0
	s_or_b32 exec_lo, exec_lo, s0
	s_wait_storecnt_dscnt 0x0
	s_barrier_signal -1
	s_barrier_wait -1
	s_clause 0x3
	scratch_load_b128 v[26:29], off, off offset:48
	scratch_load_b128 v[30:33], off, off offset:64
	;; [unrolled: 1-line block ×3, first 2 shown]
	scratch_load_b64 v[50:51], off, off offset:40
	ds_load_b128 v[38:41], v7 offset:144
	ds_load_b128 v[42:45], v7 offset:160
	ds_load_b128 v[46:49], v7 offset:176
	s_mov_b32 s0, exec_lo
	s_wait_dscnt 0x2
	v_dual_mov_b32 v52, v41 :: v_dual_mov_b32 v53, v40
	s_wait_dscnt 0x1
	v_dual_mov_b32 v54, v45 :: v_dual_mov_b32 v55, v44
	;; [unrolled: 2-line block ×3, first 2 shown]
	s_wait_loadcnt 0x3
	v_pk_mul_f32 v[56:57], v[38:39], v[26:27] op_sel:[1,1] op_sel_hi:[0,1]
	v_mov_b32_e32 v58, v29
	s_delay_alu instid0(VALU_DEP_2) | instskip(NEXT) | instid1(VALU_DEP_2)
	v_pk_fma_f32 v[62:63], v[38:39], v[26:27], v[56:57] op_sel_hi:[1,0,1]
	v_pk_mul_f32 v[52:53], v[52:53], v[58:59] op_sel_hi:[1,0]
	v_pk_fma_f32 v[26:27], v[38:39], v[26:27], v[56:57] neg_lo:[0,0,1] neg_hi:[0,0,1]
	s_wait_loadcnt 0x2
	v_pk_mul_f32 v[58:59], v[42:43], v[30:31] op_sel:[1,1] op_sel_hi:[0,1]
	v_mov_b32_e32 v62, v33
	v_pk_fma_f32 v[38:39], v[40:41], v[28:29], v[52:53] op_sel_hi:[1,0,1]
	v_mov_b32_e32 v27, v63
	v_pk_fma_f32 v[28:29], v[40:41], v[28:29], v[52:53] neg_lo:[0,0,1] neg_hi:[0,0,1]
	v_pk_fma_f32 v[56:57], v[42:43], v[30:31], v[58:59] op_sel_hi:[1,0,1]
	v_pk_mul_f32 v[54:55], v[54:55], v[62:63] op_sel_hi:[1,0]
	v_mov_b32_e32 v29, v39
	v_pk_add_f32 v[26:27], v[26:27], 0 op_sel_hi:[1,0]
	v_pk_fma_f32 v[30:31], v[42:43], v[30:31], v[58:59] neg_lo:[0,0,1] neg_hi:[0,0,1]
	s_wait_loadcnt 0x1
	v_pk_mul_f32 v[38:39], v[46:47], v[34:35] op_sel:[1,1] op_sel_hi:[0,1]
	v_mov_b32_e32 v31, v57
	v_pk_fma_f32 v[40:41], v[44:45], v[32:33], v[54:55] op_sel_hi:[1,0,1]
	v_pk_add_f32 v[26:27], v[26:27], v[28:29]
	v_mov_b32_e32 v28, v37
	v_pk_fma_f32 v[32:33], v[44:45], v[32:33], v[54:55] neg_lo:[0,0,1] neg_hi:[0,0,1]
	v_pk_fma_f32 v[42:43], v[46:47], v[34:35], v[38:39] op_sel_hi:[1,0,1]
	v_mov_b32_e32 v33, v41
	v_pk_add_f32 v[26:27], v[26:27], v[30:31]
	v_pk_mul_f32 v[28:29], v[60:61], v[28:29] op_sel_hi:[1,0]
	v_pk_fma_f32 v[30:31], v[46:47], v[34:35], v[38:39] neg_lo:[0,0,1] neg_hi:[0,0,1]
	v_mov_b32_e32 v31, v43
	s_delay_alu instid0(VALU_DEP_4) | instskip(NEXT) | instid1(VALU_DEP_4)
	v_pk_add_f32 v[26:27], v[26:27], v[32:33]
	v_pk_fma_f32 v[32:33], v[48:49], v[36:37], v[28:29] op_sel_hi:[1,0,1]
	v_pk_fma_f32 v[28:29], v[48:49], v[36:37], v[28:29] neg_lo:[0,0,1] neg_hi:[0,0,1]
	s_delay_alu instid0(VALU_DEP_3) | instskip(NEXT) | instid1(VALU_DEP_3)
	v_pk_add_f32 v[26:27], v[26:27], v[30:31]
	v_mov_b32_e32 v29, v33
	s_delay_alu instid0(VALU_DEP_1) | instskip(SKIP_1) | instid1(VALU_DEP_1)
	v_pk_add_f32 v[26:27], v[26:27], v[28:29]
	s_wait_loadcnt 0x0
	v_pk_add_f32 v[26:27], v[50:51], v[26:27] neg_lo:[0,1] neg_hi:[0,1]
	scratch_store_b64 off, v[26:27], off offset:40
	s_wait_xcnt 0x0
	v_cmpx_lt_u32_e32 4, v0
	s_cbranch_execz .LBB11_77
; %bb.76:
	scratch_load_b64 v[26:27], off, off offset:32
	v_mov_b64_e32 v[28:29], 0
	scratch_store_b64 off, v[28:29], off offset:32
	s_wait_loadcnt 0x0
	ds_store_b64 v1, v[26:27]
.LBB11_77:
	s_wait_xcnt 0x0
	s_or_b32 exec_lo, exec_lo, s0
	s_wait_storecnt_dscnt 0x0
	s_barrier_signal -1
	s_barrier_wait -1
	s_clause 0x4
	scratch_load_b128 v[26:29], off, off offset:40
	scratch_load_b128 v[30:33], off, off offset:56
	;; [unrolled: 1-line block ×3, first 2 shown]
	scratch_load_b64 v[50:51], off, off offset:88
	scratch_load_b64 v[52:53], off, off offset:32
	v_mov_b32_e32 v7, 0
	ds_load_2addr_b64 v[38:41], v7 offset0:17 offset1:18
	ds_load_2addr_b64 v[42:45], v7 offset0:19 offset1:20
	;; [unrolled: 1-line block ×3, first 2 shown]
	ds_load_b64 v[54:55], v7 offset:184
	s_mov_b32 s0, exec_lo
	s_wait_dscnt 0x3
	v_dual_mov_b32 v56, v41 :: v_dual_mov_b32 v57, v40
	s_wait_dscnt 0x2
	v_dual_mov_b32 v58, v45 :: v_dual_mov_b32 v59, v44
	;; [unrolled: 2-line block ×3, first 2 shown]
	s_wait_loadcnt 0x4
	v_pk_mul_f32 v[60:61], v[38:39], v[26:27] op_sel:[1,1] op_sel_hi:[0,1]
	v_mov_b32_e32 v62, v29
	s_wait_loadcnt 0x3
	v_pk_mul_f32 v[66:67], v[42:43], v[30:31] op_sel:[1,1] op_sel_hi:[0,1]
	s_wait_loadcnt 0x2
	v_pk_mul_f32 v[70:71], v[46:47], v[34:35] op_sel:[1,1] op_sel_hi:[0,1]
	v_pk_fma_f32 v[68:69], v[38:39], v[26:27], v[60:61] op_sel_hi:[1,0,1]
	v_pk_mul_f32 v[56:57], v[56:57], v[62:63] op_sel_hi:[1,0]
	v_pk_fma_f32 v[26:27], v[38:39], v[26:27], v[60:61] neg_lo:[0,0,1] neg_hi:[0,0,1]
	v_mov_b32_e32 v62, v33
	v_pk_fma_f32 v[60:61], v[42:43], v[30:31], v[66:67] op_sel_hi:[1,0,1]
	v_mov_b32_e32 v27, v69
	v_pk_fma_f32 v[38:39], v[40:41], v[28:29], v[56:57] op_sel_hi:[1,0,1]
	v_pk_fma_f32 v[28:29], v[40:41], v[28:29], v[56:57] neg_lo:[0,0,1] neg_hi:[0,0,1]
	v_pk_mul_f32 v[58:59], v[58:59], v[62:63] op_sel_hi:[1,0]
	v_pk_fma_f32 v[30:31], v[42:43], v[30:31], v[66:67] neg_lo:[0,0,1] neg_hi:[0,0,1]
	v_pk_add_f32 v[26:27], v[26:27], 0 op_sel_hi:[1,0]
	v_dual_mov_b32 v29, v39 :: v_dual_mov_b32 v38, v37
	s_delay_alu instid0(VALU_DEP_4) | instskip(SKIP_2) | instid1(VALU_DEP_4)
	v_pk_fma_f32 v[40:41], v[44:45], v[32:33], v[58:59] op_sel_hi:[1,0,1]
	v_mov_b32_e32 v31, v61
	v_pk_fma_f32 v[32:33], v[44:45], v[32:33], v[58:59] neg_lo:[0,0,1] neg_hi:[0,0,1]
	v_pk_add_f32 v[26:27], v[26:27], v[28:29]
	v_pk_fma_f32 v[28:29], v[46:47], v[34:35], v[70:71] op_sel_hi:[1,0,1]
	v_pk_mul_f32 v[38:39], v[64:65], v[38:39] op_sel_hi:[1,0]
	v_mov_b32_e32 v33, v41
	s_delay_alu instid0(VALU_DEP_4)
	v_pk_add_f32 v[26:27], v[26:27], v[30:31]
	v_pk_fma_f32 v[30:31], v[46:47], v[34:35], v[70:71] neg_lo:[0,0,1] neg_hi:[0,0,1]
	v_mov_b32_e32 v31, v29
	v_pk_fma_f32 v[28:29], v[48:49], v[36:37], v[38:39] op_sel_hi:[1,0,1]
	v_pk_fma_f32 v[34:35], v[48:49], v[36:37], v[38:39] neg_lo:[0,0,1] neg_hi:[0,0,1]
	v_pk_add_f32 v[26:27], v[26:27], v[32:33]
	s_wait_loadcnt_dscnt 0x100
	v_pk_mul_f32 v[32:33], v[54:55], v[50:51] op_sel:[1,1] op_sel_hi:[0,1]
	v_mov_b32_e32 v35, v29
	s_delay_alu instid0(VALU_DEP_3) | instskip(NEXT) | instid1(VALU_DEP_3)
	v_pk_add_f32 v[26:27], v[26:27], v[30:31]
	v_pk_fma_f32 v[28:29], v[54:55], v[50:51], v[32:33] op_sel_hi:[1,0,1]
	v_pk_fma_f32 v[30:31], v[54:55], v[50:51], v[32:33] neg_lo:[0,0,1] neg_hi:[0,0,1]
	s_delay_alu instid0(VALU_DEP_3) | instskip(NEXT) | instid1(VALU_DEP_3)
	v_pk_add_f32 v[26:27], v[26:27], v[34:35]
	v_mov_b32_e32 v31, v29
	s_delay_alu instid0(VALU_DEP_1) | instskip(SKIP_1) | instid1(VALU_DEP_1)
	v_pk_add_f32 v[26:27], v[26:27], v[30:31]
	s_wait_loadcnt 0x0
	v_pk_add_f32 v[26:27], v[52:53], v[26:27] neg_lo:[0,1] neg_hi:[0,1]
	scratch_store_b64 off, v[26:27], off offset:32
	s_wait_xcnt 0x0
	v_cmpx_lt_u32_e32 3, v0
	s_cbranch_execz .LBB11_79
; %bb.78:
	scratch_load_b64 v[26:27], off, off offset:24
	v_mov_b64_e32 v[28:29], 0
	scratch_store_b64 off, v[28:29], off offset:24
	s_wait_loadcnt 0x0
	ds_store_b64 v1, v[26:27]
.LBB11_79:
	s_wait_xcnt 0x0
	s_or_b32 exec_lo, exec_lo, s0
	s_wait_storecnt_dscnt 0x0
	s_barrier_signal -1
	s_barrier_wait -1
	s_clause 0x4
	scratch_load_b128 v[26:29], off, off offset:32
	scratch_load_b128 v[30:33], off, off offset:48
	;; [unrolled: 1-line block ×4, first 2 shown]
	scratch_load_b64 v[58:59], off, off offset:24
	ds_load_b128 v[42:45], v7 offset:128
	ds_load_b128 v[46:49], v7 offset:144
	;; [unrolled: 1-line block ×4, first 2 shown]
	s_mov_b32 s0, exec_lo
	s_wait_dscnt 0x3
	v_dual_mov_b32 v60, v45 :: v_dual_mov_b32 v61, v44
	s_wait_dscnt 0x2
	v_dual_mov_b32 v62, v49 :: v_dual_mov_b32 v63, v48
	;; [unrolled: 2-line block ×3, first 2 shown]
	v_dual_mov_b32 v65, v52 :: v_dual_mov_b32 v70, v57
	s_wait_loadcnt 0x4
	v_mov_b32_e32 v68, v29
	v_pk_mul_f32 v[66:67], v[42:43], v[26:27] op_sel:[1,1] op_sel_hi:[0,1]
	s_wait_loadcnt 0x3
	v_pk_mul_f32 v[72:73], v[46:47], v[30:31] op_sel:[1,1] op_sel_hi:[0,1]
	s_wait_loadcnt 0x2
	v_pk_mul_f32 v[76:77], v[50:51], v[34:35] op_sel:[1,1] op_sel_hi:[0,1]
	v_pk_mul_f32 v[60:61], v[60:61], v[68:69] op_sel_hi:[1,0]
	v_pk_fma_f32 v[74:75], v[42:43], v[26:27], v[66:67] op_sel_hi:[1,0,1]
	v_pk_fma_f32 v[26:27], v[42:43], v[26:27], v[66:67] neg_lo:[0,0,1] neg_hi:[0,0,1]
	v_mov_b32_e32 v68, v33
	v_pk_fma_f32 v[66:67], v[46:47], v[30:31], v[72:73] op_sel_hi:[1,0,1]
	v_pk_fma_f32 v[42:43], v[44:45], v[28:29], v[60:61] op_sel_hi:[1,0,1]
	v_mov_b32_e32 v27, v75
	v_pk_fma_f32 v[28:29], v[44:45], v[28:29], v[60:61] neg_lo:[0,0,1] neg_hi:[0,0,1]
	v_pk_mul_f32 v[62:63], v[62:63], v[68:69] op_sel_hi:[1,0]
	s_delay_alu instid0(VALU_DEP_4) | instskip(NEXT) | instid1(VALU_DEP_4)
	v_dual_mov_b32 v42, v37 :: v_dual_mov_b32 v29, v43
	v_pk_add_f32 v[26:27], v[26:27], 0 op_sel_hi:[1,0]
	v_pk_fma_f32 v[30:31], v[46:47], v[30:31], v[72:73] neg_lo:[0,0,1] neg_hi:[0,0,1]
	v_mov_b32_e32 v31, v67
	v_pk_fma_f32 v[44:45], v[48:49], v[32:33], v[62:63] op_sel_hi:[1,0,1]
	v_pk_mul_f32 v[42:43], v[64:65], v[42:43] op_sel_hi:[1,0]
	v_pk_add_f32 v[26:27], v[26:27], v[28:29]
	v_pk_fma_f32 v[28:29], v[50:51], v[34:35], v[76:77] op_sel_hi:[1,0,1]
	v_pk_fma_f32 v[32:33], v[48:49], v[32:33], v[62:63] neg_lo:[0,0,1] neg_hi:[0,0,1]
	v_mov_b32_e32 v33, v45
	v_pk_fma_f32 v[34:35], v[50:51], v[34:35], v[76:77] neg_lo:[0,0,1] neg_hi:[0,0,1]
	v_pk_add_f32 v[26:27], v[26:27], v[30:31]
	v_mov_b32_e32 v35, v29
	v_pk_fma_f32 v[28:29], v[52:53], v[36:37], v[42:43] op_sel_hi:[1,0,1]
	s_wait_loadcnt 0x1
	v_pk_mul_f32 v[30:31], v[54:55], v[38:39] op_sel:[1,1] op_sel_hi:[0,1]
	v_mov_b32_e32 v28, v41
	v_pk_add_f32 v[26:27], v[26:27], v[32:33]
	v_pk_fma_f32 v[36:37], v[52:53], v[36:37], v[42:43] neg_lo:[0,0,1] neg_hi:[0,0,1]
	v_mov_b32_e32 v37, v29
	v_pk_fma_f32 v[32:33], v[54:55], v[38:39], v[30:31] op_sel_hi:[1,0,1]
	v_pk_mul_f32 v[28:29], v[70:71], v[28:29] op_sel_hi:[1,0]
	v_pk_add_f32 v[26:27], v[26:27], v[34:35]
	v_pk_fma_f32 v[30:31], v[54:55], v[38:39], v[30:31] neg_lo:[0,0,1] neg_hi:[0,0,1]
	s_delay_alu instid0(VALU_DEP_4) | instskip(NEXT) | instid1(VALU_DEP_4)
	v_mov_b32_e32 v31, v33
	v_pk_fma_f32 v[32:33], v[56:57], v[40:41], v[28:29] op_sel_hi:[1,0,1]
	s_delay_alu instid0(VALU_DEP_4) | instskip(SKIP_1) | instid1(VALU_DEP_3)
	v_pk_add_f32 v[26:27], v[26:27], v[36:37]
	v_pk_fma_f32 v[28:29], v[56:57], v[40:41], v[28:29] neg_lo:[0,0,1] neg_hi:[0,0,1]
	v_mov_b32_e32 v29, v33
	s_delay_alu instid0(VALU_DEP_3) | instskip(NEXT) | instid1(VALU_DEP_1)
	v_pk_add_f32 v[26:27], v[26:27], v[30:31]
	v_pk_add_f32 v[26:27], v[26:27], v[28:29]
	s_wait_loadcnt 0x0
	s_delay_alu instid0(VALU_DEP_1)
	v_pk_add_f32 v[26:27], v[58:59], v[26:27] neg_lo:[0,1] neg_hi:[0,1]
	scratch_store_b64 off, v[26:27], off offset:24
	s_wait_xcnt 0x0
	v_cmpx_lt_u32_e32 2, v0
	s_cbranch_execz .LBB11_81
; %bb.80:
	scratch_load_b64 v[26:27], off, off offset:16
	v_mov_b64_e32 v[28:29], 0
	scratch_store_b64 off, v[28:29], off offset:16
	s_wait_loadcnt 0x0
	ds_store_b64 v1, v[26:27]
.LBB11_81:
	s_wait_xcnt 0x0
	s_or_b32 exec_lo, exec_lo, s0
	s_wait_storecnt_dscnt 0x0
	s_barrier_signal -1
	s_barrier_wait -1
	s_clause 0x5
	scratch_load_b128 v[26:29], off, off offset:24
	scratch_load_b128 v[30:33], off, off offset:40
	;; [unrolled: 1-line block ×4, first 2 shown]
	scratch_load_b64 v[58:59], off, off offset:88
	scratch_load_b64 v[60:61], off, off offset:16
	v_mov_b32_e32 v7, 0
	ds_load_2addr_b64 v[42:45], v7 offset0:15 offset1:16
	ds_load_2addr_b64 v[46:49], v7 offset0:17 offset1:18
	;; [unrolled: 1-line block ×4, first 2 shown]
	ds_load_b64 v[62:63], v7 offset:184
	s_mov_b32 s0, exec_lo
	s_wait_dscnt 0x4
	v_dual_mov_b32 v64, v45 :: v_dual_mov_b32 v65, v44
	s_wait_dscnt 0x1
	v_dual_mov_b32 v66, v49 :: v_dual_mov_b32 v71, v56
	v_dual_mov_b32 v67, v48 :: v_dual_mov_b32 v68, v53
	;; [unrolled: 1-line block ×3, first 2 shown]
	s_wait_loadcnt 0x5
	v_dual_mov_b32 v72, v29 :: v_dual_mul_f32 v73, v42, v27
	v_mul_f32_e32 v9, v43, v27
	s_wait_loadcnt 0x4
	v_pk_mul_f32 v[74:75], v[46:47], v[30:31] op_sel:[1,1] op_sel_hi:[0,1]
	v_mov_b32_e32 v76, v33
	s_wait_loadcnt 0x3
	v_pk_mul_f32 v[78:79], v[50:51], v[34:35] op_sel:[1,1] op_sel_hi:[0,1]
	v_pk_mul_f32 v[64:65], v[64:65], v[72:73] op_sel_hi:[1,0]
	v_fmac_f32_e32 v73, v43, v26
	v_dual_fma_f32 v72, v42, v26, -v9 :: v_dual_mov_b32 v26, v37
	v_pk_fma_f32 v[80:81], v[46:47], v[30:31], v[74:75] op_sel_hi:[1,0,1]
	s_delay_alu instid0(VALU_DEP_4)
	v_pk_fma_f32 v[42:43], v[44:45], v[28:29], v[64:65] op_sel_hi:[1,0,1]
	v_pk_fma_f32 v[28:29], v[44:45], v[28:29], v[64:65] neg_lo:[0,0,1] neg_hi:[0,0,1]
	v_pk_mul_f32 v[66:67], v[66:67], v[76:77] op_sel_hi:[1,0]
	v_pk_add_f32 v[72:73], v[72:73], 0 op_sel_hi:[1,0]
	v_pk_fma_f32 v[30:31], v[46:47], v[30:31], v[74:75] neg_lo:[0,0,1] neg_hi:[0,0,1]
	v_dual_mov_b32 v29, v43 :: v_dual_mov_b32 v31, v81
	s_delay_alu instid0(VALU_DEP_4) | instskip(SKIP_2) | instid1(VALU_DEP_4)
	v_pk_fma_f32 v[44:45], v[48:49], v[32:33], v[66:67] op_sel_hi:[1,0,1]
	v_pk_fma_f32 v[32:33], v[48:49], v[32:33], v[66:67] neg_lo:[0,0,1] neg_hi:[0,0,1]
	v_pk_fma_f32 v[46:47], v[50:51], v[34:35], v[78:79] op_sel_hi:[1,0,1]
	v_pk_add_f32 v[28:29], v[72:73], v[28:29]
	v_pk_mul_f32 v[26:27], v[68:69], v[26:27] op_sel_hi:[1,0]
	v_mov_b32_e32 v33, v45
	v_pk_fma_f32 v[34:35], v[50:51], v[34:35], v[78:79] neg_lo:[0,0,1] neg_hi:[0,0,1]
	s_wait_loadcnt 0x2
	v_pk_mul_f32 v[42:43], v[54:55], v[38:39] op_sel:[1,1] op_sel_hi:[0,1]
	v_pk_add_f32 v[28:29], v[28:29], v[30:31]
	v_mov_b32_e32 v30, v41
	v_pk_fma_f32 v[44:45], v[52:53], v[36:37], v[26:27] op_sel_hi:[1,0,1]
	v_mov_b32_e32 v35, v47
	v_pk_fma_f32 v[26:27], v[52:53], v[36:37], v[26:27] neg_lo:[0,0,1] neg_hi:[0,0,1]
	v_pk_add_f32 v[28:29], v[28:29], v[32:33]
	v_pk_fma_f32 v[32:33], v[54:55], v[38:39], v[42:43] op_sel_hi:[1,0,1]
	v_pk_mul_f32 v[30:31], v[70:71], v[30:31] op_sel_hi:[1,0]
	v_mov_b32_e32 v27, v45
	s_delay_alu instid0(VALU_DEP_4)
	v_pk_add_f32 v[28:29], v[28:29], v[34:35]
	v_pk_fma_f32 v[34:35], v[54:55], v[38:39], v[42:43] neg_lo:[0,0,1] neg_hi:[0,0,1]
	v_mov_b32_e32 v35, v33
	v_pk_fma_f32 v[32:33], v[56:57], v[40:41], v[30:31] op_sel_hi:[1,0,1]
	v_pk_fma_f32 v[30:31], v[56:57], v[40:41], v[30:31] neg_lo:[0,0,1] neg_hi:[0,0,1]
	v_pk_add_f32 v[26:27], v[28:29], v[26:27]
	s_wait_loadcnt_dscnt 0x100
	v_pk_mul_f32 v[28:29], v[62:63], v[58:59] op_sel:[1,1] op_sel_hi:[0,1]
	v_mov_b32_e32 v31, v33
	s_delay_alu instid0(VALU_DEP_3) | instskip(NEXT) | instid1(VALU_DEP_3)
	v_pk_add_f32 v[26:27], v[26:27], v[34:35]
	v_pk_fma_f32 v[32:33], v[62:63], v[58:59], v[28:29] op_sel_hi:[1,0,1]
	v_pk_fma_f32 v[28:29], v[62:63], v[58:59], v[28:29] neg_lo:[0,0,1] neg_hi:[0,0,1]
	s_delay_alu instid0(VALU_DEP_3) | instskip(NEXT) | instid1(VALU_DEP_3)
	v_pk_add_f32 v[26:27], v[26:27], v[30:31]
	v_mov_b32_e32 v29, v33
	s_delay_alu instid0(VALU_DEP_1) | instskip(SKIP_1) | instid1(VALU_DEP_1)
	v_pk_add_f32 v[26:27], v[26:27], v[28:29]
	s_wait_loadcnt 0x0
	v_pk_add_f32 v[26:27], v[60:61], v[26:27] neg_lo:[0,1] neg_hi:[0,1]
	scratch_store_b64 off, v[26:27], off offset:16
	s_wait_xcnt 0x0
	v_cmpx_lt_u32_e32 1, v0
	s_cbranch_execz .LBB11_83
; %bb.82:
	scratch_load_b64 v[26:27], off, off offset:8
	v_mov_b64_e32 v[28:29], 0
	scratch_store_b64 off, v[28:29], off offset:8
	s_wait_loadcnt 0x0
	ds_store_b64 v1, v[26:27]
.LBB11_83:
	s_wait_xcnt 0x0
	s_or_b32 exec_lo, exec_lo, s0
	s_wait_storecnt_dscnt 0x0
	s_barrier_signal -1
	s_barrier_wait -1
	s_clause 0x5
	scratch_load_b128 v[26:29], off, off offset:16
	scratch_load_b128 v[30:33], off, off offset:32
	;; [unrolled: 1-line block ×5, first 2 shown]
	scratch_load_b64 v[66:67], off, off offset:8
	ds_load_b128 v[46:49], v7 offset:128
	ds_load_b128 v[50:53], v7 offset:144
	;; [unrolled: 1-line block ×5, first 2 shown]
	v_dual_ashrrev_i32 v11, 31, v10 :: v_dual_ashrrev_i32 v13, 31, v12
	v_dual_ashrrev_i32 v15, 31, v14 :: v_dual_ashrrev_i32 v17, 31, v16
	;; [unrolled: 1-line block ×4, first 2 shown]
	s_mov_b32 s0, exec_lo
	s_wait_dscnt 0x4
	v_dual_mov_b32 v68, v49 :: v_dual_mov_b32 v69, v48
	s_wait_dscnt 0x3
	v_dual_mov_b32 v70, v53 :: v_dual_mov_b32 v71, v52
	;; [unrolled: 2-line block ×4, first 2 shown]
	s_wait_loadcnt_dscnt 0x500
	v_dual_mul_f32 v7, v63, v27 :: v_dual_mul_f32 v77, v62, v27
	v_dual_mul_f32 v27, v64, v29 :: v_dual_mul_f32 v9, v65, v29
	s_wait_loadcnt 0x4
	v_pk_mul_f32 v[78:79], v[46:47], v[30:31] op_sel:[1,1] op_sel_hi:[0,1]
	s_wait_loadcnt 0x3
	v_dual_mov_b32 v80, v33 :: v_dual_mov_b32 v84, v37
	v_dual_fma_f32 v76, v62, v26, -v7 :: v_dual_fmac_f32 v77, v63, v26
	v_dual_fmac_f32 v27, v65, v28 :: v_dual_fma_f32 v26, v64, v28, -v9
	v_pk_fma_f32 v[28:29], v[46:47], v[30:31], v[78:79] op_sel_hi:[1,0,1]
	s_delay_alu instid0(VALU_DEP_4) | instskip(NEXT) | instid1(VALU_DEP_4)
	v_pk_mul_f32 v[62:63], v[68:69], v[80:81] op_sel_hi:[1,0]
	v_pk_add_f32 v[64:65], v[76:77], 0 op_sel_hi:[1,0]
	v_pk_fma_f32 v[30:31], v[46:47], v[30:31], v[78:79] neg_lo:[0,0,1] neg_hi:[0,0,1]
	v_pk_mul_f32 v[82:83], v[50:51], v[34:35] op_sel:[1,1] op_sel_hi:[0,1]
	v_mov_b32_e32 v31, v29
	v_pk_fma_f32 v[28:29], v[48:49], v[32:33], v[62:63] op_sel_hi:[1,0,1]
	v_pk_add_f32 v[26:27], v[64:65], v[26:27]
	v_pk_fma_f32 v[32:33], v[48:49], v[32:33], v[62:63] neg_lo:[0,0,1] neg_hi:[0,0,1]
	v_pk_mul_f32 v[46:47], v[70:71], v[84:85] op_sel_hi:[1,0]
	v_pk_fma_f32 v[64:65], v[50:51], v[34:35], v[82:83] op_sel_hi:[1,0,1]
	v_mov_b32_e32 v33, v29
	v_pk_add_f32 v[26:27], v[26:27], v[30:31]
	s_wait_loadcnt 0x2
	v_pk_mul_f32 v[68:69], v[54:55], v[38:39] op_sel:[1,1] op_sel_hi:[0,1]
	v_mov_b32_e32 v28, v41
	v_pk_fma_f32 v[30:31], v[50:51], v[34:35], v[82:83] neg_lo:[0,0,1] neg_hi:[0,0,1]
	v_mov_b32_e32 v31, v65
	v_pk_fma_f32 v[34:35], v[52:53], v[36:37], v[46:47] op_sel_hi:[1,0,1]
	v_pk_add_f32 v[26:27], v[26:27], v[32:33]
	v_pk_fma_f32 v[32:33], v[54:55], v[38:39], v[68:69] op_sel_hi:[1,0,1]
	v_pk_mul_f32 v[28:29], v[72:73], v[28:29] op_sel_hi:[1,0]
	v_pk_fma_f32 v[36:37], v[52:53], v[36:37], v[46:47] neg_lo:[0,0,1] neg_hi:[0,0,1]
	v_mov_b32_e32 v37, v35
	v_pk_add_f32 v[26:27], v[26:27], v[30:31]
	v_pk_fma_f32 v[34:35], v[54:55], v[38:39], v[68:69] neg_lo:[0,0,1] neg_hi:[0,0,1]
	v_mov_b32_e32 v35, v33
	v_pk_fma_f32 v[32:33], v[56:57], v[40:41], v[28:29] op_sel_hi:[1,0,1]
	s_wait_loadcnt 0x1
	v_pk_mul_f32 v[30:31], v[58:59], v[42:43] op_sel:[1,1] op_sel_hi:[0,1]
	v_pk_add_f32 v[26:27], v[26:27], v[36:37]
	v_mov_b32_e32 v32, v45
	v_pk_fma_f32 v[28:29], v[56:57], v[40:41], v[28:29] neg_lo:[0,0,1] neg_hi:[0,0,1]
	v_mov_b32_e32 v29, v33
	v_pk_fma_f32 v[36:37], v[58:59], v[42:43], v[30:31] op_sel_hi:[1,0,1]
	v_pk_add_f32 v[26:27], v[26:27], v[34:35]
	v_pk_mul_f32 v[32:33], v[74:75], v[32:33] op_sel_hi:[1,0]
	v_pk_fma_f32 v[30:31], v[58:59], v[42:43], v[30:31] neg_lo:[0,0,1] neg_hi:[0,0,1]
	s_delay_alu instid0(VALU_DEP_4) | instskip(NEXT) | instid1(VALU_DEP_4)
	v_dual_ashrrev_i32 v7, 31, v6 :: v_dual_mov_b32 v31, v37
	v_pk_add_f32 v[26:27], v[26:27], v[28:29]
	s_delay_alu instid0(VALU_DEP_4) | instskip(SKIP_2) | instid1(VALU_DEP_4)
	v_pk_fma_f32 v[28:29], v[60:61], v[44:45], v[32:33] op_sel_hi:[1,0,1]
	v_pk_fma_f32 v[32:33], v[60:61], v[44:45], v[32:33] neg_lo:[0,0,1] neg_hi:[0,0,1]
	v_ashrrev_i32_e32 v9, 31, v8
	v_pk_add_f32 v[26:27], v[26:27], v[30:31]
	s_delay_alu instid0(VALU_DEP_4) | instskip(NEXT) | instid1(VALU_DEP_1)
	v_mov_b32_e32 v33, v29
	v_pk_add_f32 v[26:27], v[26:27], v[32:33]
	s_wait_loadcnt 0x0
	s_delay_alu instid0(VALU_DEP_1)
	v_pk_add_f32 v[26:27], v[66:67], v[26:27] neg_lo:[0,1] neg_hi:[0,1]
	scratch_store_b64 off, v[26:27], off offset:8
	s_wait_xcnt 0x0
	v_cmpx_ne_u32_e32 0, v0
	s_cbranch_execz .LBB11_85
; %bb.84:
	scratch_load_b64 v[26:27], off, off
	v_mov_b64_e32 v[28:29], 0
	scratch_store_b64 off, v[28:29], off
	s_wait_loadcnt 0x0
	ds_store_b64 v1, v[26:27]
.LBB11_85:
	s_wait_xcnt 0x0
	s_or_b32 exec_lo, exec_lo, s0
	s_wait_storecnt_dscnt 0x0
	s_barrier_signal -1
	s_barrier_wait -1
	s_clause 0x6
	scratch_load_b128 v[28:31], off, off offset:8
	scratch_load_b128 v[32:35], off, off offset:24
	;; [unrolled: 1-line block ×5, first 2 shown]
	scratch_load_b64 v[0:1], off, off offset:88
	scratch_load_b64 v[68:69], off, off
	v_mov_b32_e32 v26, 0
	ds_load_2addr_b64 v[48:51], v26 offset0:15 offset1:16
	ds_load_2addr_b64 v[52:55], v26 offset0:17 offset1:18
	;; [unrolled: 1-line block ×5, first 2 shown]
	ds_load_b64 v[70:71], v26 offset:184
	s_and_b32 vcc_lo, exec_lo, s18
	s_wait_dscnt 0x5
	v_dual_mov_b32 v72, v51 :: v_dual_mov_b32 v73, v50
	s_wait_dscnt 0x2
	v_dual_mov_b32 v74, v55 :: v_dual_mov_b32 v79, v62
	v_dual_mov_b32 v75, v54 :: v_dual_mov_b32 v76, v59
	;; [unrolled: 1-line block ×3, first 2 shown]
	s_wait_loadcnt_dscnt 0x601
	v_dual_mul_f32 v27, v64, v29 :: v_dual_mul_f32 v29, v65, v29
	s_wait_loadcnt 0x5
	v_dual_mul_f32 v81, v66, v31 :: v_dual_mul_f32 v83, v48, v33
	v_dual_mul_f32 v31, v67, v31 :: v_dual_mul_f32 v33, v49, v33
	s_wait_loadcnt 0x4
	v_dual_mov_b32 v82, v35 :: v_dual_mov_b32 v86, v39
	v_dual_fmac_f32 v27, v65, v28 :: v_dual_fma_f32 v64, v64, v28, -v29
	s_delay_alu instid0(VALU_DEP_3) | instskip(NEXT) | instid1(VALU_DEP_3)
	v_dual_fma_f32 v80, v66, v30, -v31 :: v_dual_fmac_f32 v81, v67, v30
	v_pk_mul_f32 v[28:29], v[72:73], v[82:83] op_sel_hi:[1,0]
	s_delay_alu instid0(VALU_DEP_3)
	v_dual_add_f32 v31, 0, v27 :: v_dual_add_f32 v30, 0, v64
	s_wait_loadcnt 0x3
	v_mov_b32_e32 v64, v43
	v_pk_mul_f32 v[84:85], v[52:53], v[36:37] op_sel:[1,1] op_sel_hi:[0,1]
	v_dual_fmac_f32 v83, v49, v32 :: v_dual_fma_f32 v82, v48, v32, -v33
	v_pk_fma_f32 v[32:33], v[50:51], v[34:35], v[28:29] op_sel_hi:[1,0,1]
	v_pk_add_f32 v[30:31], v[30:31], v[80:81]
	v_pk_fma_f32 v[28:29], v[50:51], v[34:35], v[28:29] neg_lo:[0,0,1] neg_hi:[0,0,1]
	v_pk_fma_f32 v[48:49], v[52:53], v[36:37], v[84:85] op_sel_hi:[1,0,1]
	v_pk_mul_f32 v[66:67], v[74:75], v[86:87] op_sel_hi:[1,0]
	v_mov_b32_e32 v29, v33
	v_pk_add_f32 v[30:31], v[30:31], v[82:83]
	v_pk_fma_f32 v[34:35], v[52:53], v[36:37], v[84:85] neg_lo:[0,0,1] neg_hi:[0,0,1]
	v_pk_mul_f32 v[88:89], v[56:57], v[40:41] op_sel:[1,1] op_sel_hi:[0,1]
	v_mov_b32_e32 v35, v49
	v_pk_fma_f32 v[36:37], v[54:55], v[38:39], v[66:67] op_sel_hi:[1,0,1]
	v_pk_add_f32 v[28:29], v[30:31], v[28:29]
	v_pk_fma_f32 v[38:39], v[54:55], v[38:39], v[66:67] neg_lo:[0,0,1] neg_hi:[0,0,1]
	v_pk_fma_f32 v[30:31], v[56:57], v[40:41], v[88:89] op_sel_hi:[1,0,1]
	v_pk_mul_f32 v[48:49], v[76:77], v[64:65] op_sel_hi:[1,0]
	s_wait_loadcnt 0x2
	v_dual_mov_b32 v39, v37 :: v_dual_mov_b32 v30, v47
	v_pk_add_f32 v[28:29], v[28:29], v[34:35]
	v_pk_fma_f32 v[34:35], v[56:57], v[40:41], v[88:89] neg_lo:[0,0,1] neg_hi:[0,0,1]
	v_pk_mul_f32 v[32:33], v[60:61], v[44:45] op_sel:[1,1] op_sel_hi:[0,1]
	v_pk_fma_f32 v[36:37], v[58:59], v[42:43], v[48:49] op_sel_hi:[1,0,1]
	v_mov_b32_e32 v35, v31
	v_pk_add_f32 v[28:29], v[28:29], v[38:39]
	v_pk_fma_f32 v[40:41], v[58:59], v[42:43], v[48:49] neg_lo:[0,0,1] neg_hi:[0,0,1]
	v_pk_fma_f32 v[38:39], v[60:61], v[44:45], v[32:33] op_sel_hi:[1,0,1]
	v_pk_mul_f32 v[30:31], v[78:79], v[30:31] op_sel_hi:[1,0]
	v_mov_b32_e32 v41, v37
	v_pk_add_f32 v[28:29], v[28:29], v[34:35]
	v_pk_fma_f32 v[32:33], v[60:61], v[44:45], v[32:33] neg_lo:[0,0,1] neg_hi:[0,0,1]
	s_wait_loadcnt_dscnt 0x100
	v_pk_mul_f32 v[34:35], v[70:71], v[0:1] op_sel:[1,1] op_sel_hi:[0,1]
	v_pk_fma_f32 v[36:37], v[62:63], v[46:47], v[30:31] op_sel_hi:[1,0,1]
	v_mov_b32_e32 v33, v39
	v_pk_add_f32 v[28:29], v[28:29], v[40:41]
	v_pk_fma_f32 v[30:31], v[62:63], v[46:47], v[30:31] neg_lo:[0,0,1] neg_hi:[0,0,1]
	v_pk_fma_f32 v[38:39], v[70:71], v[0:1], v[34:35] op_sel_hi:[1,0,1]
	v_mov_b32_e32 v31, v37
	v_pk_fma_f32 v[0:1], v[70:71], v[0:1], v[34:35] neg_lo:[0,0,1] neg_hi:[0,0,1]
	v_pk_add_f32 v[28:29], v[28:29], v[32:33]
	s_delay_alu instid0(VALU_DEP_4) | instskip(NEXT) | instid1(VALU_DEP_2)
	v_mov_b32_e32 v1, v39
	v_pk_add_f32 v[28:29], v[28:29], v[30:31]
	s_delay_alu instid0(VALU_DEP_1) | instskip(SKIP_1) | instid1(VALU_DEP_1)
	v_pk_add_f32 v[0:1], v[28:29], v[0:1]
	s_wait_loadcnt 0x0
	v_pk_add_f32 v[0:1], v[68:69], v[0:1] neg_lo:[0,1] neg_hi:[0,1]
	scratch_store_b64 off, v[0:1], off
	s_cbranch_vccz .LBB11_108
; %bb.86:
	global_load_b32 v0, v26, s[2:3] offset:40
	s_wait_loadcnt 0x0
	v_cmp_ne_u32_e32 vcc_lo, 11, v0
	s_cbranch_vccz .LBB11_88
; %bb.87:
	v_lshlrev_b32_e32 v0, 3, v0
	s_delay_alu instid0(VALU_DEP_1)
	v_mov_b32_e32 v28, v0
	scratch_load_b64 v[0:1], v28, off offset:-8
	scratch_load_b64 v[26:27], off, off offset:80
	s_wait_loadcnt 0x1
	scratch_store_b64 off, v[0:1], off offset:80
	s_wait_loadcnt 0x0
	scratch_store_b64 v28, v[26:27], off offset:-8
.LBB11_88:
	s_wait_xcnt 0x1
	v_mov_b32_e32 v0, 0
	global_load_b32 v1, v0, s[2:3] offset:36
	s_wait_loadcnt 0x0
	v_cmp_eq_u32_e32 vcc_lo, 10, v1
	s_cbranch_vccnz .LBB11_90
; %bb.89:
	v_lshlrev_b32_e32 v1, 3, v1
	scratch_load_b64 v[26:27], v1, off offset:-8
	scratch_load_b64 v[28:29], off, off offset:72
	s_wait_loadcnt 0x1
	scratch_store_b64 off, v[26:27], off offset:72
	s_wait_loadcnt 0x0
	scratch_store_b64 v1, v[28:29], off offset:-8
.LBB11_90:
	global_load_b32 v0, v0, s[2:3] offset:32
	s_wait_loadcnt 0x0
	v_cmp_eq_u32_e32 vcc_lo, 9, v0
	s_cbranch_vccnz .LBB11_92
; %bb.91:
	s_wait_xcnt 0x0
	v_lshlrev_b32_e32 v0, 3, v0
	s_delay_alu instid0(VALU_DEP_1)
	v_mov_b32_e32 v28, v0
	scratch_load_b64 v[0:1], v28, off offset:-8
	scratch_load_b64 v[26:27], off, off offset:64
	s_wait_loadcnt 0x1
	scratch_store_b64 off, v[0:1], off offset:64
	s_wait_loadcnt 0x0
	scratch_store_b64 v28, v[26:27], off offset:-8
.LBB11_92:
	s_wait_xcnt 0x0
	v_mov_b32_e32 v0, 0
	global_load_b32 v1, v0, s[2:3] offset:28
	s_wait_loadcnt 0x0
	v_cmp_eq_u32_e32 vcc_lo, 8, v1
	s_cbranch_vccnz .LBB11_94
; %bb.93:
	v_lshlrev_b32_e32 v1, 3, v1
	scratch_load_b64 v[26:27], v1, off offset:-8
	scratch_load_b64 v[28:29], off, off offset:56
	s_wait_loadcnt 0x1
	scratch_store_b64 off, v[26:27], off offset:56
	s_wait_loadcnt 0x0
	scratch_store_b64 v1, v[28:29], off offset:-8
.LBB11_94:
	global_load_b32 v0, v0, s[2:3] offset:24
	s_wait_loadcnt 0x0
	v_cmp_eq_u32_e32 vcc_lo, 7, v0
	s_cbranch_vccnz .LBB11_96
; %bb.95:
	s_wait_xcnt 0x0
	v_lshlrev_b32_e32 v0, 3, v0
	s_delay_alu instid0(VALU_DEP_1)
	v_mov_b32_e32 v28, v0
	scratch_load_b64 v[0:1], v28, off offset:-8
	scratch_load_b64 v[26:27], off, off offset:48
	s_wait_loadcnt 0x1
	scratch_store_b64 off, v[0:1], off offset:48
	s_wait_loadcnt 0x0
	scratch_store_b64 v28, v[26:27], off offset:-8
.LBB11_96:
	;; [unrolled: 31-line block ×4, first 2 shown]
	s_wait_xcnt 0x0
	v_mov_b32_e32 v0, 0
	global_load_b32 v1, v0, s[2:3] offset:4
	s_wait_loadcnt 0x0
	v_cmp_eq_u32_e32 vcc_lo, 2, v1
	s_cbranch_vccnz .LBB11_106
; %bb.105:
	v_lshlrev_b32_e32 v1, 3, v1
	scratch_load_b64 v[26:27], v1, off offset:-8
	scratch_load_b64 v[28:29], off, off offset:8
	s_wait_loadcnt 0x1
	scratch_store_b64 off, v[26:27], off offset:8
	s_wait_loadcnt 0x0
	scratch_store_b64 v1, v[28:29], off offset:-8
.LBB11_106:
	global_load_b32 v26, v0, s[2:3]
	scratch_load_b64 v[0:1], off, off
	s_wait_loadcnt 0x1
	v_cmp_eq_u32_e32 vcc_lo, 1, v26
	s_cbranch_vccnz .LBB11_108
; %bb.107:
	v_lshlrev_b32_e32 v26, 3, v26
	s_delay_alu instid0(VALU_DEP_1)
	v_mov_b32_e32 v28, v26
	scratch_load_b64 v[26:27], v28, off offset:-8
	s_wait_loadcnt 0x0
	scratch_store_b64 off, v[26:27], off
	scratch_store_b64 v28, v[0:1], off offset:-8
	scratch_load_b64 v[0:1], off, off
.LBB11_108:
	s_clause 0x5
	scratch_load_b128 v[26:29], off, off offset:8
	scratch_load_b128 v[30:33], off, off offset:24
	;; [unrolled: 1-line block ×5, first 2 shown]
	scratch_load_b64 v[46:47], off, off offset:88
	v_lshl_add_u64 v[6:7], v[6:7], 3, s[4:5]
	v_lshl_add_u64 v[8:9], v[8:9], 3, s[4:5]
	;; [unrolled: 1-line block ×10, first 2 shown]
	s_wait_loadcnt 0x6
	global_store_b64 v[2:3], v[0:1], off
	s_wait_loadcnt 0x5
	s_clause 0x1
	global_store_b64 v[4:5], v[26:27], off
	global_store_b64 v[6:7], v[28:29], off
	s_wait_loadcnt 0x4
	s_clause 0x1
	global_store_b64 v[8:9], v[30:31], off
	;; [unrolled: 4-line block ×5, first 2 shown]
	global_store_b64 v[22:23], v[44:45], off
	s_wait_loadcnt 0x0
	global_store_b64 v[24:25], v[46:47], off
	s_sendmsg sendmsg(MSG_DEALLOC_VGPRS)
	s_endpgm
	.section	.rodata,"a",@progbits
	.p2align	6, 0x0
	.amdhsa_kernel _ZN9rocsolver6v33100L18getri_kernel_smallILi12E19rocblas_complex_numIfEPS3_EEvT1_iilPiilS6_bb
		.amdhsa_group_segment_fixed_size 196
		.amdhsa_private_segment_fixed_size 112
		.amdhsa_kernarg_size 60
		.amdhsa_user_sgpr_count 2
		.amdhsa_user_sgpr_dispatch_ptr 0
		.amdhsa_user_sgpr_queue_ptr 0
		.amdhsa_user_sgpr_kernarg_segment_ptr 1
		.amdhsa_user_sgpr_dispatch_id 0
		.amdhsa_user_sgpr_kernarg_preload_length 0
		.amdhsa_user_sgpr_kernarg_preload_offset 0
		.amdhsa_user_sgpr_private_segment_size 0
		.amdhsa_wavefront_size32 1
		.amdhsa_uses_dynamic_stack 0
		.amdhsa_enable_private_segment 1
		.amdhsa_system_sgpr_workgroup_id_x 1
		.amdhsa_system_sgpr_workgroup_id_y 0
		.amdhsa_system_sgpr_workgroup_id_z 0
		.amdhsa_system_sgpr_workgroup_info 0
		.amdhsa_system_vgpr_workitem_id 0
		.amdhsa_next_free_vgpr 90
		.amdhsa_next_free_sgpr 19
		.amdhsa_named_barrier_count 0
		.amdhsa_reserve_vcc 1
		.amdhsa_float_round_mode_32 0
		.amdhsa_float_round_mode_16_64 0
		.amdhsa_float_denorm_mode_32 3
		.amdhsa_float_denorm_mode_16_64 3
		.amdhsa_fp16_overflow 0
		.amdhsa_memory_ordered 1
		.amdhsa_forward_progress 1
		.amdhsa_inst_pref_size 86
		.amdhsa_round_robin_scheduling 0
		.amdhsa_exception_fp_ieee_invalid_op 0
		.amdhsa_exception_fp_denorm_src 0
		.amdhsa_exception_fp_ieee_div_zero 0
		.amdhsa_exception_fp_ieee_overflow 0
		.amdhsa_exception_fp_ieee_underflow 0
		.amdhsa_exception_fp_ieee_inexact 0
		.amdhsa_exception_int_div_zero 0
	.end_amdhsa_kernel
	.section	.text._ZN9rocsolver6v33100L18getri_kernel_smallILi12E19rocblas_complex_numIfEPS3_EEvT1_iilPiilS6_bb,"axG",@progbits,_ZN9rocsolver6v33100L18getri_kernel_smallILi12E19rocblas_complex_numIfEPS3_EEvT1_iilPiilS6_bb,comdat
.Lfunc_end11:
	.size	_ZN9rocsolver6v33100L18getri_kernel_smallILi12E19rocblas_complex_numIfEPS3_EEvT1_iilPiilS6_bb, .Lfunc_end11-_ZN9rocsolver6v33100L18getri_kernel_smallILi12E19rocblas_complex_numIfEPS3_EEvT1_iilPiilS6_bb
                                        ; -- End function
	.set _ZN9rocsolver6v33100L18getri_kernel_smallILi12E19rocblas_complex_numIfEPS3_EEvT1_iilPiilS6_bb.num_vgpr, 90
	.set _ZN9rocsolver6v33100L18getri_kernel_smallILi12E19rocblas_complex_numIfEPS3_EEvT1_iilPiilS6_bb.num_agpr, 0
	.set _ZN9rocsolver6v33100L18getri_kernel_smallILi12E19rocblas_complex_numIfEPS3_EEvT1_iilPiilS6_bb.numbered_sgpr, 19
	.set _ZN9rocsolver6v33100L18getri_kernel_smallILi12E19rocblas_complex_numIfEPS3_EEvT1_iilPiilS6_bb.num_named_barrier, 0
	.set _ZN9rocsolver6v33100L18getri_kernel_smallILi12E19rocblas_complex_numIfEPS3_EEvT1_iilPiilS6_bb.private_seg_size, 112
	.set _ZN9rocsolver6v33100L18getri_kernel_smallILi12E19rocblas_complex_numIfEPS3_EEvT1_iilPiilS6_bb.uses_vcc, 1
	.set _ZN9rocsolver6v33100L18getri_kernel_smallILi12E19rocblas_complex_numIfEPS3_EEvT1_iilPiilS6_bb.uses_flat_scratch, 1
	.set _ZN9rocsolver6v33100L18getri_kernel_smallILi12E19rocblas_complex_numIfEPS3_EEvT1_iilPiilS6_bb.has_dyn_sized_stack, 0
	.set _ZN9rocsolver6v33100L18getri_kernel_smallILi12E19rocblas_complex_numIfEPS3_EEvT1_iilPiilS6_bb.has_recursion, 0
	.set _ZN9rocsolver6v33100L18getri_kernel_smallILi12E19rocblas_complex_numIfEPS3_EEvT1_iilPiilS6_bb.has_indirect_call, 0
	.section	.AMDGPU.csdata,"",@progbits
; Kernel info:
; codeLenInByte = 10968
; TotalNumSgprs: 21
; NumVgprs: 90
; ScratchSize: 112
; MemoryBound: 0
; FloatMode: 240
; IeeeMode: 1
; LDSByteSize: 196 bytes/workgroup (compile time only)
; SGPRBlocks: 0
; VGPRBlocks: 5
; NumSGPRsForWavesPerEU: 21
; NumVGPRsForWavesPerEU: 90
; NamedBarCnt: 0
; Occupancy: 10
; WaveLimiterHint : 1
; COMPUTE_PGM_RSRC2:SCRATCH_EN: 1
; COMPUTE_PGM_RSRC2:USER_SGPR: 2
; COMPUTE_PGM_RSRC2:TRAP_HANDLER: 0
; COMPUTE_PGM_RSRC2:TGID_X_EN: 1
; COMPUTE_PGM_RSRC2:TGID_Y_EN: 0
; COMPUTE_PGM_RSRC2:TGID_Z_EN: 0
; COMPUTE_PGM_RSRC2:TIDIG_COMP_CNT: 0
	.section	.text._ZN9rocsolver6v33100L18getri_kernel_smallILi13E19rocblas_complex_numIfEPS3_EEvT1_iilPiilS6_bb,"axG",@progbits,_ZN9rocsolver6v33100L18getri_kernel_smallILi13E19rocblas_complex_numIfEPS3_EEvT1_iilPiilS6_bb,comdat
	.globl	_ZN9rocsolver6v33100L18getri_kernel_smallILi13E19rocblas_complex_numIfEPS3_EEvT1_iilPiilS6_bb ; -- Begin function _ZN9rocsolver6v33100L18getri_kernel_smallILi13E19rocblas_complex_numIfEPS3_EEvT1_iilPiilS6_bb
	.p2align	8
	.type	_ZN9rocsolver6v33100L18getri_kernel_smallILi13E19rocblas_complex_numIfEPS3_EEvT1_iilPiilS6_bb,@function
_ZN9rocsolver6v33100L18getri_kernel_smallILi13E19rocblas_complex_numIfEPS3_EEvT1_iilPiilS6_bb: ; @_ZN9rocsolver6v33100L18getri_kernel_smallILi13E19rocblas_complex_numIfEPS3_EEvT1_iilPiilS6_bb
; %bb.0:
	s_mov_b32 s2, exec_lo
	v_cmpx_gt_u32_e32 13, v0
	s_cbranch_execz .LBB12_66
; %bb.1:
	s_clause 0x2
	s_load_b32 s2, s[0:1], 0x38
	s_load_b128 s[12:15], s[0:1], 0x10
	s_load_b128 s[4:7], s[0:1], 0x28
	s_getreg_b32 s9, hwreg(HW_REG_IB_STS2, 6, 4)
	s_wait_kmcnt 0x0
	s_bitcmp1_b32 s2, 8
	s_cselect_b32 s18, -1, 0
	s_bfe_u32 s3, ttmp6, 0x4000c
	s_and_b32 s8, ttmp6, 15
	s_add_co_i32 s3, s3, 1
	s_delay_alu instid0(SALU_CYCLE_1) | instskip(NEXT) | instid1(SALU_CYCLE_1)
	s_mul_i32 s3, ttmp9, s3
	s_add_co_i32 s8, s8, s3
	s_cmp_eq_u32 s9, 0
	s_cselect_b32 s16, ttmp9, s8
	s_bfe_u32 s2, s2, 0x10008
	s_ashr_i32 s17, s16, 31
	s_cmp_eq_u32 s2, 0
                                        ; implicit-def: $sgpr2_sgpr3
	s_cbranch_scc1 .LBB12_3
; %bb.2:
	s_load_b32 s2, s[0:1], 0x20
	s_mul_u64 s[4:5], s[4:5], s[16:17]
	s_delay_alu instid0(SALU_CYCLE_1) | instskip(NEXT) | instid1(SALU_CYCLE_1)
	s_lshl_b64 s[4:5], s[4:5], 2
	s_add_nc_u64 s[4:5], s[14:15], s[4:5]
	s_wait_kmcnt 0x0
	s_ashr_i32 s3, s2, 31
	s_delay_alu instid0(SALU_CYCLE_1) | instskip(NEXT) | instid1(SALU_CYCLE_1)
	s_lshl_b64 s[2:3], s[2:3], 2
	s_add_nc_u64 s[2:3], s[4:5], s[2:3]
.LBB12_3:
	s_clause 0x1
	s_load_b128 s[8:11], s[0:1], 0x0
	s_load_b32 s14, s[0:1], 0x38
	s_mul_u64 s[4:5], s[12:13], s[16:17]
	v_mov_b32_e32 v29, 0
	s_lshl_b64 s[4:5], s[4:5], 3
	v_lshlrev_b32_e32 v28, 3, v0
	s_wait_kmcnt 0x0
	v_add3_u32 v6, s11, s11, v0
	s_ashr_i32 s1, s10, 31
	s_mov_b32 s0, s10
	s_add_nc_u64 s[4:5], s[8:9], s[4:5]
	s_lshl_b64 s[0:1], s[0:1], 3
	v_add_nc_u32_e32 v8, s11, v6
	s_add_nc_u64 s[4:5], s[4:5], s[0:1]
	s_ashr_i32 s1, s11, 31
	s_mov_b32 s0, s11
	s_bitcmp0_b32 s14, 0
	v_add_nc_u32_e32 v10, s11, v8
	v_add_nc_u64_e32 v[2:3], s[4:5], v[28:29]
	s_delay_alu instid0(VALU_DEP_2) | instskip(NEXT) | instid1(VALU_DEP_2)
	v_add_nc_u32_e32 v12, s11, v10
	v_lshl_add_u64 v[4:5], s[0:1], 3, v[2:3]
	s_mov_b32 s1, -1
	s_delay_alu instid0(VALU_DEP_2)
	v_add_nc_u32_e32 v14, s11, v12
	s_clause 0x5
	global_load_b64 v[30:31], v0, s[4:5] scale_offset
	global_load_b64 v[32:33], v[4:5], off
	global_load_b64 v[34:35], v6, s[4:5] scale_offset
	global_load_b64 v[36:37], v8, s[4:5] scale_offset
	;; [unrolled: 1-line block ×4, first 2 shown]
	v_add_nc_u32_e32 v16, s11, v14
	s_delay_alu instid0(VALU_DEP_1) | instskip(NEXT) | instid1(VALU_DEP_1)
	v_add_nc_u32_e32 v18, s11, v16
	v_add_nc_u32_e32 v20, s11, v18
	s_delay_alu instid0(VALU_DEP_1) | instskip(NEXT) | instid1(VALU_DEP_1)
	v_add_nc_u32_e32 v22, s11, v20
	v_add_nc_u32_e32 v24, s11, v22
	s_delay_alu instid0(VALU_DEP_1)
	v_add_nc_u32_e32 v26, s11, v24
	s_clause 0x6
	global_load_b64 v[42:43], v14, s[4:5] scale_offset
	global_load_b64 v[44:45], v16, s[4:5] scale_offset
	global_load_b64 v[46:47], v18, s[4:5] scale_offset
	global_load_b64 v[48:49], v20, s[4:5] scale_offset
	global_load_b64 v[50:51], v22, s[4:5] scale_offset
	global_load_b64 v[52:53], v24, s[4:5] scale_offset
	global_load_b64 v[54:55], v26, s[4:5] scale_offset
	s_wait_loadcnt 0xb
	scratch_store_b128 off, v[30:33], off
	s_wait_loadcnt 0x9
	scratch_store_b128 off, v[34:37], off offset:16
	s_wait_loadcnt 0x7
	scratch_store_b128 off, v[38:41], off offset:32
	;; [unrolled: 2-line block ×5, first 2 shown]
	s_wait_loadcnt 0x0
	scratch_store_b64 off, v[54:55], off offset:96
	s_cbranch_scc1 .LBB12_64
; %bb.4:
	v_cmp_eq_u32_e64 s0, 0, v0
	s_wait_xcnt 0x0
	s_and_saveexec_b32 s1, s0
; %bb.5:
	v_mov_b32_e32 v1, 0
	ds_store_b32 v1, v1 offset:104
; %bb.6:
	s_or_b32 exec_lo, exec_lo, s1
	s_wait_storecnt_dscnt 0x0
	s_barrier_signal -1
	s_barrier_wait -1
	scratch_load_b64 v[30:31], v0, off scale_offset
	s_wait_loadcnt 0x0
	v_cmp_eq_f32_e32 vcc_lo, 0, v30
	v_cmp_eq_f32_e64 s1, 0, v31
	s_and_b32 s1, vcc_lo, s1
	s_delay_alu instid0(SALU_CYCLE_1)
	s_and_saveexec_b32 s8, s1
	s_cbranch_execz .LBB12_10
; %bb.7:
	v_mov_b32_e32 v1, 0
	s_mov_b32 s9, 0
	ds_load_b32 v7, v1 offset:104
	s_wait_dscnt 0x0
	v_readfirstlane_b32 s1, v7
	v_add_nc_u32_e32 v7, 1, v0
	s_cmp_eq_u32 s1, 0
	s_delay_alu instid0(VALU_DEP_1) | instskip(SKIP_1) | instid1(SALU_CYCLE_1)
	v_cmp_gt_i32_e32 vcc_lo, s1, v7
	s_cselect_b32 s10, -1, 0
	s_or_b32 s10, s10, vcc_lo
	s_delay_alu instid0(SALU_CYCLE_1)
	s_and_b32 exec_lo, exec_lo, s10
	s_cbranch_execz .LBB12_10
; %bb.8:
	v_mov_b32_e32 v9, s1
.LBB12_9:                               ; =>This Inner Loop Header: Depth=1
	ds_cmpstore_rtn_b32 v9, v1, v7, v9 offset:104
	s_wait_dscnt 0x0
	v_cmp_ne_u32_e32 vcc_lo, 0, v9
	v_cmp_le_i32_e64 s1, v9, v7
	s_and_b32 s1, vcc_lo, s1
	s_delay_alu instid0(SALU_CYCLE_1) | instskip(NEXT) | instid1(SALU_CYCLE_1)
	s_and_b32 s1, exec_lo, s1
	s_or_b32 s9, s1, s9
	s_delay_alu instid0(SALU_CYCLE_1)
	s_and_not1_b32 exec_lo, exec_lo, s9
	s_cbranch_execnz .LBB12_9
.LBB12_10:
	s_or_b32 exec_lo, exec_lo, s8
	v_mov_b32_e32 v1, 0
	s_barrier_signal -1
	s_barrier_wait -1
	ds_load_b32 v7, v1 offset:104
	s_and_saveexec_b32 s1, s0
	s_cbranch_execz .LBB12_12
; %bb.11:
	s_lshl_b64 s[8:9], s[16:17], 2
	s_delay_alu instid0(SALU_CYCLE_1)
	s_add_nc_u64 s[8:9], s[6:7], s[8:9]
	s_wait_dscnt 0x0
	global_store_b32 v1, v7, s[8:9]
.LBB12_12:
	s_wait_xcnt 0x0
	s_or_b32 exec_lo, exec_lo, s1
	s_wait_dscnt 0x0
	v_cmp_ne_u32_e32 vcc_lo, 0, v7
	s_mov_b32 s1, 0
	s_cbranch_vccnz .LBB12_64
; %bb.13:
	v_lshl_add_u32 v7, v0, 3, 0
                                        ; implicit-def: $vgpr33
                                        ; implicit-def: $vgpr34
	scratch_load_b64 v[30:31], v7, off
	s_wait_loadcnt 0x0
	v_cmp_ngt_f32_e64 s1, |v30|, |v31|
	s_wait_xcnt 0x0
	s_and_saveexec_b32 s8, s1
	s_delay_alu instid0(SALU_CYCLE_1)
	s_xor_b32 s1, exec_lo, s8
	s_cbranch_execz .LBB12_15
; %bb.14:
	v_div_scale_f32 v1, null, v31, v31, v30
	v_div_scale_f32 v13, vcc_lo, v30, v31, v30
	s_delay_alu instid0(VALU_DEP_2) | instskip(SKIP_1) | instid1(TRANS32_DEP_1)
	v_rcp_f32_e32 v9, v1
	v_nop
	v_fma_f32 v11, -v1, v9, 1.0
	s_delay_alu instid0(VALU_DEP_1) | instskip(NEXT) | instid1(VALU_DEP_1)
	v_fmac_f32_e32 v9, v11, v9
	v_mul_f32_e32 v11, v13, v9
	s_delay_alu instid0(VALU_DEP_1) | instskip(NEXT) | instid1(VALU_DEP_1)
	v_fma_f32 v15, -v1, v11, v13
	v_fmac_f32_e32 v11, v15, v9
	s_delay_alu instid0(VALU_DEP_1) | instskip(NEXT) | instid1(VALU_DEP_1)
	v_fma_f32 v1, -v1, v11, v13
	v_div_fmas_f32 v1, v1, v9, v11
	s_delay_alu instid0(VALU_DEP_1) | instskip(NEXT) | instid1(VALU_DEP_1)
	v_div_fixup_f32 v1, v1, v31, v30
	v_fmac_f32_e32 v31, v30, v1
	s_delay_alu instid0(VALU_DEP_1) | instskip(NEXT) | instid1(VALU_DEP_1)
	v_div_scale_f32 v9, null, v31, v31, -1.0
	v_rcp_f32_e32 v11, v9
	v_nop
	s_delay_alu instid0(TRANS32_DEP_1) | instskip(NEXT) | instid1(VALU_DEP_1)
	v_fma_f32 v13, -v9, v11, 1.0
	v_fmac_f32_e32 v11, v13, v11
	v_div_scale_f32 v13, vcc_lo, -1.0, v31, -1.0
	s_delay_alu instid0(VALU_DEP_1) | instskip(NEXT) | instid1(VALU_DEP_1)
	v_mul_f32_e32 v15, v13, v11
	v_fma_f32 v17, -v9, v15, v13
	s_delay_alu instid0(VALU_DEP_1) | instskip(NEXT) | instid1(VALU_DEP_1)
	v_fmac_f32_e32 v15, v17, v11
	v_fma_f32 v9, -v9, v15, v13
	s_delay_alu instid0(VALU_DEP_1) | instskip(NEXT) | instid1(VALU_DEP_1)
	v_div_fmas_f32 v9, v9, v11, v15
	v_div_fixup_f32 v33, v9, v31, -1.0
                                        ; implicit-def: $vgpr30_vgpr31
	s_delay_alu instid0(VALU_DEP_1) | instskip(NEXT) | instid1(VALU_DEP_1)
	v_mul_f32_e32 v34, v1, v33
	v_xor_b32_e32 v32, 0x80000000, v34
.LBB12_15:
	s_and_not1_saveexec_b32 s1, s1
	s_cbranch_execz .LBB12_17
; %bb.16:
	v_div_scale_f32 v1, null, v30, v30, v31
	v_div_scale_f32 v13, vcc_lo, v31, v30, v31
	s_delay_alu instid0(VALU_DEP_2) | instskip(SKIP_1) | instid1(TRANS32_DEP_1)
	v_rcp_f32_e32 v9, v1
	v_nop
	v_fma_f32 v11, -v1, v9, 1.0
	s_delay_alu instid0(VALU_DEP_1) | instskip(NEXT) | instid1(VALU_DEP_1)
	v_fmac_f32_e32 v9, v11, v9
	v_mul_f32_e32 v11, v13, v9
	s_delay_alu instid0(VALU_DEP_1) | instskip(NEXT) | instid1(VALU_DEP_1)
	v_fma_f32 v15, -v1, v11, v13
	v_fmac_f32_e32 v11, v15, v9
	s_delay_alu instid0(VALU_DEP_1) | instskip(NEXT) | instid1(VALU_DEP_1)
	v_fma_f32 v1, -v1, v11, v13
	v_div_fmas_f32 v1, v1, v9, v11
	s_delay_alu instid0(VALU_DEP_1) | instskip(NEXT) | instid1(VALU_DEP_1)
	v_div_fixup_f32 v1, v1, v30, v31
	v_fmac_f32_e32 v30, v31, v1
	s_delay_alu instid0(VALU_DEP_1) | instskip(SKIP_1) | instid1(VALU_DEP_2)
	v_div_scale_f32 v9, null, v30, v30, 1.0
	v_div_scale_f32 v15, vcc_lo, 1.0, v30, 1.0
	v_rcp_f32_e32 v11, v9
	v_nop
	s_delay_alu instid0(TRANS32_DEP_1) | instskip(NEXT) | instid1(VALU_DEP_1)
	v_fma_f32 v13, -v9, v11, 1.0
	v_fmac_f32_e32 v11, v13, v11
	s_delay_alu instid0(VALU_DEP_1) | instskip(NEXT) | instid1(VALU_DEP_1)
	v_mul_f32_e32 v13, v15, v11
	v_fma_f32 v17, -v9, v13, v15
	s_delay_alu instid0(VALU_DEP_1) | instskip(NEXT) | instid1(VALU_DEP_1)
	v_fmac_f32_e32 v13, v17, v11
	v_fma_f32 v9, -v9, v13, v15
	s_delay_alu instid0(VALU_DEP_1) | instskip(NEXT) | instid1(VALU_DEP_1)
	v_div_fmas_f32 v9, v9, v11, v13
	v_div_fixup_f32 v32, v9, v30, 1.0
	s_delay_alu instid0(VALU_DEP_1)
	v_xor_b32_e32 v34, 0x80000000, v32
	v_mul_f32_e64 v33, v1, -v32
.LBB12_17:
	s_or_b32 exec_lo, exec_lo, s1
	scratch_store_b64 v7, v[32:33], off
	scratch_load_b64 v[30:31], off, off offset:8
	v_xor_b32_e32 v35, 0x80000000, v33
	v_add_nc_u32_e32 v1, 0x70, v28
	s_wait_loadcnt 0x0
	ds_store_2addr_b64 v28, v[34:35], v[30:31] offset1:14
	s_wait_storecnt_dscnt 0x0
	s_barrier_signal -1
	s_barrier_wait -1
	s_wait_xcnt 0x0
	s_and_saveexec_b32 s1, s0
	s_cbranch_execz .LBB12_19
; %bb.18:
	scratch_load_b64 v[30:31], v7, off
	ds_load_b64 v[32:33], v1
	s_wait_loadcnt_dscnt 0x0
	v_pk_mul_f32 v[36:37], v[32:33], v[30:31] op_sel:[1,1] op_sel_hi:[0,1]
	s_delay_alu instid0(VALU_DEP_1) | instskip(SKIP_2) | instid1(VALU_DEP_3)
	v_pk_fma_f32 v[38:39], v[32:33], v[30:31], v[36:37] op_sel_hi:[1,0,1]
	v_mov_b32_e32 v9, 0
	v_pk_fma_f32 v[30:31], v[32:33], v[30:31], v[36:37] neg_lo:[0,0,1] neg_hi:[0,0,1]
	v_mov_b32_e32 v31, v39
	ds_load_b64 v[34:35], v9 offset:8
	v_pk_add_f32 v[30:31], v[30:31], 0 op_sel_hi:[1,0]
	s_wait_dscnt 0x0
	s_delay_alu instid0(VALU_DEP_1) | instskip(NEXT) | instid1(VALU_DEP_1)
	v_pk_mul_f32 v[32:33], v[30:31], v[34:35] op_sel:[1,1] op_sel_hi:[0,1]
	v_pk_fma_f32 v[36:37], v[30:31], v[34:35], v[32:33] op_sel_hi:[1,0,1]
	v_pk_fma_f32 v[30:31], v[30:31], v[34:35], v[32:33] neg_lo:[0,0,1] neg_hi:[0,0,1]
	s_delay_alu instid0(VALU_DEP_2)
	v_mov_b32_e32 v31, v37
	scratch_store_b64 off, v[30:31], off offset:8
.LBB12_19:
	s_wait_xcnt 0x0
	s_or_b32 exec_lo, exec_lo, s1
	s_wait_storecnt 0x0
	s_barrier_signal -1
	s_barrier_wait -1
	scratch_load_b64 v[30:31], off, off offset:16
	s_mov_b32 s1, exec_lo
	s_wait_loadcnt 0x0
	ds_store_b64 v1, v[30:31]
	s_wait_dscnt 0x0
	s_barrier_signal -1
	s_barrier_wait -1
	v_cmpx_gt_u32_e32 2, v0
	s_cbranch_execz .LBB12_23
; %bb.20:
	scratch_load_b64 v[30:31], v7, off
	ds_load_b64 v[32:33], v1
	s_wait_loadcnt_dscnt 0x0
	v_pk_mul_f32 v[34:35], v[32:33], v[30:31] op_sel:[1,1] op_sel_hi:[0,1]
	s_delay_alu instid0(VALU_DEP_1) | instskip(SKIP_1) | instid1(VALU_DEP_2)
	v_pk_fma_f32 v[36:37], v[32:33], v[30:31], v[34:35] op_sel_hi:[1,0,1]
	v_pk_fma_f32 v[30:31], v[32:33], v[30:31], v[34:35] neg_lo:[0,0,1] neg_hi:[0,0,1]
	v_mov_b32_e32 v31, v37
	s_delay_alu instid0(VALU_DEP_1)
	v_pk_add_f32 v[30:31], v[30:31], 0 op_sel_hi:[1,0]
	s_and_saveexec_b32 s8, s0
	s_cbranch_execz .LBB12_22
; %bb.21:
	scratch_load_b64 v[32:33], off, off offset:8
	v_mov_b32_e32 v7, 0
	ds_load_b64 v[34:35], v7 offset:120
	s_wait_loadcnt_dscnt 0x0
	v_pk_mul_f32 v[36:37], v[34:35], v[32:33] op_sel:[1,1] op_sel_hi:[0,1]
	s_delay_alu instid0(VALU_DEP_1) | instskip(SKIP_1) | instid1(VALU_DEP_2)
	v_pk_fma_f32 v[38:39], v[34:35], v[32:33], v[36:37] op_sel_hi:[1,0,1]
	v_pk_fma_f32 v[32:33], v[34:35], v[32:33], v[36:37] neg_lo:[0,0,1] neg_hi:[0,0,1]
	v_mov_b32_e32 v33, v39
	s_delay_alu instid0(VALU_DEP_1)
	v_pk_add_f32 v[30:31], v[30:31], v[32:33]
.LBB12_22:
	s_or_b32 exec_lo, exec_lo, s8
	v_mov_b32_e32 v7, 0
	ds_load_b64 v[32:33], v7 offset:16
	s_wait_dscnt 0x0
	v_pk_mul_f32 v[34:35], v[30:31], v[32:33] op_sel:[1,1] op_sel_hi:[0,1]
	s_delay_alu instid0(VALU_DEP_1) | instskip(SKIP_1) | instid1(VALU_DEP_2)
	v_pk_fma_f32 v[36:37], v[30:31], v[32:33], v[34:35] op_sel_hi:[1,0,1]
	v_pk_fma_f32 v[30:31], v[30:31], v[32:33], v[34:35] neg_lo:[0,0,1] neg_hi:[0,0,1]
	v_mov_b32_e32 v31, v37
	scratch_store_b64 off, v[30:31], off offset:16
.LBB12_23:
	s_wait_xcnt 0x0
	s_or_b32 exec_lo, exec_lo, s1
	s_wait_storecnt 0x0
	s_barrier_signal -1
	s_barrier_wait -1
	scratch_load_b64 v[30:31], off, off offset:24
	v_add_nc_u32_e32 v7, -1, v0
	s_mov_b32 s0, exec_lo
	s_wait_loadcnt 0x0
	ds_store_b64 v1, v[30:31]
	s_wait_dscnt 0x0
	s_barrier_signal -1
	s_barrier_wait -1
	v_cmpx_gt_u32_e32 3, v0
	s_cbranch_execz .LBB12_27
; %bb.24:
	v_dual_mov_b32 v30, 0 :: v_dual_add_nc_u32 v9, -1, v0
	v_add_nc_u32_e32 v11, 0x70, v28
	v_mov_b32_e32 v13, v28
	s_mov_b32 s1, 0
	s_delay_alu instid0(VALU_DEP_3)
	v_mov_b32_e32 v31, v30
.LBB12_25:                              ; =>This Inner Loop Header: Depth=1
	scratch_load_b64 v[32:33], v13, off
	ds_load_b64 v[34:35], v11
	s_wait_xcnt 0x0
	v_dual_add_nc_u32 v11, 8, v11 :: v_dual_add_nc_u32 v13, 8, v13
	s_wait_loadcnt_dscnt 0x0
	v_pk_mul_f32 v[36:37], v[34:35], v[32:33] op_sel:[1,1] op_sel_hi:[0,1]
	s_delay_alu instid0(VALU_DEP_1) | instskip(SKIP_2) | instid1(VALU_DEP_3)
	v_pk_fma_f32 v[38:39], v[34:35], v[32:33], v[36:37] op_sel_hi:[1,0,1]
	v_add_nc_u32_e32 v9, 1, v9
	v_pk_fma_f32 v[32:33], v[34:35], v[32:33], v[36:37] neg_lo:[0,0,1] neg_hi:[0,0,1]
	v_mov_b32_e32 v33, v39
	s_delay_alu instid0(VALU_DEP_3) | instskip(NEXT) | instid1(VALU_DEP_2)
	v_cmp_lt_u32_e32 vcc_lo, 1, v9
	v_pk_add_f32 v[30:31], v[30:31], v[32:33]
	s_or_b32 s1, vcc_lo, s1
	s_delay_alu instid0(SALU_CYCLE_1)
	s_and_not1_b32 exec_lo, exec_lo, s1
	s_cbranch_execnz .LBB12_25
; %bb.26:
	s_or_b32 exec_lo, exec_lo, s1
	v_mov_b32_e32 v9, 0
	ds_load_b64 v[32:33], v9 offset:24
	s_wait_dscnt 0x0
	v_pk_mul_f32 v[34:35], v[30:31], v[32:33] op_sel:[1,1] op_sel_hi:[0,1]
	s_delay_alu instid0(VALU_DEP_1) | instskip(SKIP_1) | instid1(VALU_DEP_2)
	v_pk_fma_f32 v[36:37], v[30:31], v[32:33], v[34:35] op_sel_hi:[1,0,1]
	v_pk_fma_f32 v[30:31], v[30:31], v[32:33], v[34:35] neg_lo:[0,0,1] neg_hi:[0,0,1]
	v_mov_b32_e32 v31, v37
	scratch_store_b64 off, v[30:31], off offset:24
.LBB12_27:
	s_wait_xcnt 0x0
	s_or_b32 exec_lo, exec_lo, s0
	s_wait_storecnt 0x0
	s_barrier_signal -1
	s_barrier_wait -1
	scratch_load_b64 v[30:31], off, off offset:32
	s_mov_b32 s0, exec_lo
	s_wait_loadcnt 0x0
	ds_store_b64 v1, v[30:31]
	s_wait_dscnt 0x0
	s_barrier_signal -1
	s_barrier_wait -1
	v_cmpx_gt_u32_e32 4, v0
	s_cbranch_execz .LBB12_31
; %bb.28:
	v_dual_mov_b32 v30, 0 :: v_dual_add_nc_u32 v9, -1, v0
	v_add_nc_u32_e32 v11, 0x70, v28
	v_mov_b32_e32 v13, v28
	s_mov_b32 s1, 0
	s_delay_alu instid0(VALU_DEP_3)
	v_mov_b32_e32 v31, v30
.LBB12_29:                              ; =>This Inner Loop Header: Depth=1
	scratch_load_b64 v[32:33], v13, off
	ds_load_b64 v[34:35], v11
	s_wait_xcnt 0x0
	v_dual_add_nc_u32 v11, 8, v11 :: v_dual_add_nc_u32 v13, 8, v13
	s_wait_loadcnt_dscnt 0x0
	v_pk_mul_f32 v[36:37], v[34:35], v[32:33] op_sel:[1,1] op_sel_hi:[0,1]
	s_delay_alu instid0(VALU_DEP_1) | instskip(SKIP_2) | instid1(VALU_DEP_3)
	v_pk_fma_f32 v[38:39], v[34:35], v[32:33], v[36:37] op_sel_hi:[1,0,1]
	v_add_nc_u32_e32 v9, 1, v9
	v_pk_fma_f32 v[32:33], v[34:35], v[32:33], v[36:37] neg_lo:[0,0,1] neg_hi:[0,0,1]
	v_mov_b32_e32 v33, v39
	s_delay_alu instid0(VALU_DEP_3) | instskip(NEXT) | instid1(VALU_DEP_2)
	v_cmp_lt_u32_e32 vcc_lo, 2, v9
	v_pk_add_f32 v[30:31], v[30:31], v[32:33]
	s_or_b32 s1, vcc_lo, s1
	s_delay_alu instid0(SALU_CYCLE_1)
	s_and_not1_b32 exec_lo, exec_lo, s1
	s_cbranch_execnz .LBB12_29
; %bb.30:
	s_or_b32 exec_lo, exec_lo, s1
	v_mov_b32_e32 v9, 0
	ds_load_b64 v[32:33], v9 offset:32
	s_wait_dscnt 0x0
	v_pk_mul_f32 v[34:35], v[30:31], v[32:33] op_sel:[1,1] op_sel_hi:[0,1]
	s_delay_alu instid0(VALU_DEP_1) | instskip(SKIP_1) | instid1(VALU_DEP_2)
	v_pk_fma_f32 v[36:37], v[30:31], v[32:33], v[34:35] op_sel_hi:[1,0,1]
	v_pk_fma_f32 v[30:31], v[30:31], v[32:33], v[34:35] neg_lo:[0,0,1] neg_hi:[0,0,1]
	v_mov_b32_e32 v31, v37
	scratch_store_b64 off, v[30:31], off offset:32
.LBB12_31:
	s_wait_xcnt 0x0
	s_or_b32 exec_lo, exec_lo, s0
	s_wait_storecnt 0x0
	s_barrier_signal -1
	s_barrier_wait -1
	scratch_load_b64 v[30:31], off, off offset:40
	;; [unrolled: 52-line block ×9, first 2 shown]
	s_mov_b32 s0, exec_lo
	s_wait_loadcnt 0x0
	ds_store_b64 v1, v[30:31]
	s_wait_dscnt 0x0
	s_barrier_signal -1
	s_barrier_wait -1
	v_cmpx_ne_u32_e32 12, v0
	s_cbranch_execz .LBB12_63
; %bb.60:
	v_dual_mov_b32 v30, 0 :: v_dual_mov_b32 v9, v28
	s_mov_b32 s1, 0
	s_delay_alu instid0(VALU_DEP_1)
	v_mov_b32_e32 v31, v30
.LBB12_61:                              ; =>This Inner Loop Header: Depth=1
	scratch_load_b64 v[28:29], v9, off
	ds_load_b64 v[32:33], v1
	v_add_nc_u32_e32 v1, 8, v1
	s_wait_xcnt 0x0
	v_add_nc_u32_e32 v9, 8, v9
	s_wait_loadcnt_dscnt 0x0
	v_pk_mul_f32 v[34:35], v[32:33], v[28:29] op_sel:[1,1] op_sel_hi:[0,1]
	s_delay_alu instid0(VALU_DEP_1) | instskip(SKIP_2) | instid1(VALU_DEP_3)
	v_pk_fma_f32 v[36:37], v[32:33], v[28:29], v[34:35] op_sel_hi:[1,0,1]
	v_add_nc_u32_e32 v7, 1, v7
	v_pk_fma_f32 v[28:29], v[32:33], v[28:29], v[34:35] neg_lo:[0,0,1] neg_hi:[0,0,1]
	v_mov_b32_e32 v29, v37
	s_delay_alu instid0(VALU_DEP_3) | instskip(NEXT) | instid1(VALU_DEP_2)
	v_cmp_lt_u32_e32 vcc_lo, 10, v7
	v_pk_add_f32 v[30:31], v[30:31], v[28:29]
	s_or_b32 s1, vcc_lo, s1
	s_delay_alu instid0(SALU_CYCLE_1)
	s_and_not1_b32 exec_lo, exec_lo, s1
	s_cbranch_execnz .LBB12_61
; %bb.62:
	s_or_b32 exec_lo, exec_lo, s1
	v_mov_b32_e32 v1, 0
	ds_load_b64 v[28:29], v1 offset:96
	s_wait_dscnt 0x0
	v_pk_mul_f32 v[32:33], v[30:31], v[28:29] op_sel:[1,1] op_sel_hi:[0,1]
	s_delay_alu instid0(VALU_DEP_1) | instskip(SKIP_1) | instid1(VALU_DEP_2)
	v_pk_fma_f32 v[34:35], v[30:31], v[28:29], v[32:33] op_sel_hi:[1,0,1]
	v_pk_fma_f32 v[28:29], v[30:31], v[28:29], v[32:33] neg_lo:[0,0,1] neg_hi:[0,0,1]
	v_mov_b32_e32 v29, v35
	scratch_store_b64 off, v[28:29], off offset:96
.LBB12_63:
	s_wait_xcnt 0x0
	s_or_b32 exec_lo, exec_lo, s0
	s_mov_b32 s1, -1
	s_wait_storecnt 0x0
	s_barrier_signal -1
	s_barrier_wait -1
.LBB12_64:
	s_and_b32 vcc_lo, exec_lo, s1
	s_cbranch_vccz .LBB12_66
; %bb.65:
	v_mov_b32_e32 v1, 0
	s_lshl_b64 s[0:1], s[16:17], 2
	s_delay_alu instid0(SALU_CYCLE_1)
	s_add_nc_u64 s[0:1], s[6:7], s[0:1]
	global_load_b32 v1, v1, s[0:1]
	s_wait_loadcnt 0x0
	v_cmp_ne_u32_e32 vcc_lo, 0, v1
	s_cbranch_vccz .LBB12_67
.LBB12_66:
	s_sendmsg sendmsg(MSG_DEALLOC_VGPRS)
	s_endpgm
.LBB12_67:
	s_wait_xcnt 0x0
	v_lshl_add_u32 v1, v0, 3, 0x70
	s_mov_b32 s0, exec_lo
	v_cmpx_eq_u32_e32 12, v0
	s_cbranch_execz .LBB12_69
; %bb.68:
	scratch_load_b64 v[28:29], off, off offset:88
	v_mov_b64_e32 v[30:31], 0
	scratch_store_b64 off, v[30:31], off offset:88
	s_wait_loadcnt 0x0
	ds_store_b64 v1, v[28:29]
.LBB12_69:
	s_wait_xcnt 0x0
	s_or_b32 exec_lo, exec_lo, s0
	s_wait_storecnt_dscnt 0x0
	s_barrier_signal -1
	s_barrier_wait -1
	s_clause 0x1
	scratch_load_b64 v[28:29], off, off offset:96
	scratch_load_b64 v[30:31], off, off offset:88
	v_mov_b32_e32 v7, 0
	s_mov_b32 s0, exec_lo
	ds_load_b64 v[32:33], v7 offset:208
	s_wait_loadcnt_dscnt 0x100
	v_pk_mul_f32 v[34:35], v[32:33], v[28:29] op_sel:[1,1] op_sel_hi:[0,1]
	s_delay_alu instid0(VALU_DEP_1) | instskip(SKIP_1) | instid1(VALU_DEP_2)
	v_pk_fma_f32 v[36:37], v[32:33], v[28:29], v[34:35] op_sel_hi:[1,0,1]
	v_pk_fma_f32 v[28:29], v[32:33], v[28:29], v[34:35] neg_lo:[0,0,1] neg_hi:[0,0,1]
	v_mov_b32_e32 v29, v37
	s_delay_alu instid0(VALU_DEP_1) | instskip(SKIP_1) | instid1(VALU_DEP_1)
	v_pk_add_f32 v[28:29], v[28:29], 0 op_sel_hi:[1,0]
	s_wait_loadcnt 0x0
	v_pk_add_f32 v[28:29], v[30:31], v[28:29] neg_lo:[0,1] neg_hi:[0,1]
	scratch_store_b64 off, v[28:29], off offset:88
	s_wait_xcnt 0x0
	v_cmpx_lt_u32_e32 10, v0
	s_cbranch_execz .LBB12_71
; %bb.70:
	scratch_load_b64 v[28:29], off, off offset:80
	v_mov_b64_e32 v[30:31], 0
	scratch_store_b64 off, v[30:31], off offset:80
	s_wait_loadcnt 0x0
	ds_store_b64 v1, v[28:29]
.LBB12_71:
	s_wait_xcnt 0x0
	s_or_b32 exec_lo, exec_lo, s0
	s_wait_storecnt_dscnt 0x0
	s_barrier_signal -1
	s_barrier_wait -1
	s_clause 0x1
	scratch_load_b128 v[28:31], off, off offset:88
	scratch_load_b64 v[36:37], off, off offset:80
	ds_load_2addr_b64 v[32:35], v7 offset0:25 offset1:26
	s_mov_b32 s0, exec_lo
	s_wait_dscnt 0x0
	v_dual_mov_b32 v38, v35 :: v_dual_mov_b32 v39, v34
	s_wait_loadcnt 0x1
	v_pk_mul_f32 v[40:41], v[32:33], v[28:29] op_sel:[1,1] op_sel_hi:[0,1]
	s_delay_alu instid0(VALU_DEP_1) | instskip(SKIP_2) | instid1(VALU_DEP_3)
	v_pk_fma_f32 v[44:45], v[32:33], v[28:29], v[40:41] op_sel_hi:[1,0,1]
	v_mov_b32_e32 v42, v31
	v_pk_fma_f32 v[28:29], v[32:33], v[28:29], v[40:41] neg_lo:[0,0,1] neg_hi:[0,0,1]
	v_mov_b32_e32 v29, v45
	s_delay_alu instid0(VALU_DEP_3) | instskip(NEXT) | instid1(VALU_DEP_2)
	v_pk_mul_f32 v[38:39], v[38:39], v[42:43] op_sel_hi:[1,0]
	v_pk_add_f32 v[28:29], v[28:29], 0 op_sel_hi:[1,0]
	s_delay_alu instid0(VALU_DEP_2) | instskip(SKIP_1) | instid1(VALU_DEP_2)
	v_pk_fma_f32 v[32:33], v[34:35], v[30:31], v[38:39] op_sel_hi:[1,0,1]
	v_pk_fma_f32 v[30:31], v[34:35], v[30:31], v[38:39] neg_lo:[0,0,1] neg_hi:[0,0,1]
	v_mov_b32_e32 v31, v33
	s_delay_alu instid0(VALU_DEP_1) | instskip(SKIP_1) | instid1(VALU_DEP_1)
	v_pk_add_f32 v[28:29], v[28:29], v[30:31]
	s_wait_loadcnt 0x0
	v_pk_add_f32 v[28:29], v[36:37], v[28:29] neg_lo:[0,1] neg_hi:[0,1]
	scratch_store_b64 off, v[28:29], off offset:80
	s_wait_xcnt 0x0
	v_cmpx_lt_u32_e32 9, v0
	s_cbranch_execz .LBB12_73
; %bb.72:
	scratch_load_b64 v[28:29], off, off offset:72
	v_mov_b64_e32 v[30:31], 0
	scratch_store_b64 off, v[30:31], off offset:72
	s_wait_loadcnt 0x0
	ds_store_b64 v1, v[28:29]
.LBB12_73:
	s_wait_xcnt 0x0
	s_or_b32 exec_lo, exec_lo, s0
	s_wait_storecnt_dscnt 0x0
	s_barrier_signal -1
	s_barrier_wait -1
	s_clause 0x2
	scratch_load_b128 v[28:31], off, off offset:80
	scratch_load_b64 v[36:37], off, off offset:96
	scratch_load_b64 v[38:39], off, off offset:72
	v_mov_b32_e32 v7, 0
	ds_load_b128 v[32:35], v7 offset:192
	ds_load_b64 v[40:41], v7 offset:208
	s_mov_b32 s0, exec_lo
	s_wait_dscnt 0x1
	v_dual_mov_b32 v42, v35 :: v_dual_mov_b32 v43, v34
	s_wait_loadcnt 0x2
	v_mov_b32_e32 v46, v31
	v_pk_mul_f32 v[44:45], v[32:33], v[28:29] op_sel:[1,1] op_sel_hi:[0,1]
	s_delay_alu instid0(VALU_DEP_2) | instskip(NEXT) | instid1(VALU_DEP_2)
	v_pk_mul_f32 v[42:43], v[42:43], v[46:47] op_sel_hi:[1,0]
	v_pk_fma_f32 v[48:49], v[32:33], v[28:29], v[44:45] op_sel_hi:[1,0,1]
	v_pk_fma_f32 v[28:29], v[32:33], v[28:29], v[44:45] neg_lo:[0,0,1] neg_hi:[0,0,1]
	s_wait_loadcnt_dscnt 0x100
	v_pk_mul_f32 v[44:45], v[40:41], v[36:37] op_sel:[1,1] op_sel_hi:[0,1]
	v_pk_fma_f32 v[32:33], v[34:35], v[30:31], v[42:43] op_sel_hi:[1,0,1]
	v_mov_b32_e32 v29, v49
	v_pk_fma_f32 v[30:31], v[34:35], v[30:31], v[42:43] neg_lo:[0,0,1] neg_hi:[0,0,1]
	s_delay_alu instid0(VALU_DEP_4) | instskip(NEXT) | instid1(VALU_DEP_4)
	v_pk_fma_f32 v[34:35], v[40:41], v[36:37], v[44:45] neg_lo:[0,0,1] neg_hi:[0,0,1]
	v_mov_b32_e32 v31, v33
	s_delay_alu instid0(VALU_DEP_4) | instskip(SKIP_1) | instid1(VALU_DEP_2)
	v_pk_add_f32 v[28:29], v[28:29], 0 op_sel_hi:[1,0]
	v_pk_fma_f32 v[32:33], v[40:41], v[36:37], v[44:45] op_sel_hi:[1,0,1]
	v_pk_add_f32 v[28:29], v[28:29], v[30:31]
	s_delay_alu instid0(VALU_DEP_2) | instskip(NEXT) | instid1(VALU_DEP_1)
	v_mov_b32_e32 v35, v33
	v_pk_add_f32 v[28:29], v[28:29], v[34:35]
	s_wait_loadcnt 0x0
	s_delay_alu instid0(VALU_DEP_1)
	v_pk_add_f32 v[28:29], v[38:39], v[28:29] neg_lo:[0,1] neg_hi:[0,1]
	scratch_store_b64 off, v[28:29], off offset:72
	s_wait_xcnt 0x0
	v_cmpx_lt_u32_e32 8, v0
	s_cbranch_execz .LBB12_75
; %bb.74:
	scratch_load_b64 v[28:29], off, off offset:64
	v_mov_b64_e32 v[30:31], 0
	scratch_store_b64 off, v[30:31], off offset:64
	s_wait_loadcnt 0x0
	ds_store_b64 v1, v[28:29]
.LBB12_75:
	s_wait_xcnt 0x0
	s_or_b32 exec_lo, exec_lo, s0
	s_wait_storecnt_dscnt 0x0
	s_barrier_signal -1
	s_barrier_wait -1
	s_clause 0x2
	scratch_load_b128 v[28:31], off, off offset:72
	scratch_load_b128 v[32:35], off, off offset:88
	scratch_load_b64 v[44:45], off, off offset:64
	ds_load_2addr_b64 v[36:39], v7 offset0:23 offset1:24
	ds_load_2addr_b64 v[40:43], v7 offset0:25 offset1:26
	s_mov_b32 s0, exec_lo
	s_wait_dscnt 0x1
	v_dual_mov_b32 v46, v39 :: v_dual_mov_b32 v47, v38
	s_wait_loadcnt_dscnt 0x200
	v_dual_mov_b32 v52, v43 :: v_dual_mov_b32 v50, v31
	v_pk_mul_f32 v[48:49], v[36:37], v[28:29] op_sel:[1,1] op_sel_hi:[0,1]
	s_delay_alu instid0(VALU_DEP_2) | instskip(NEXT) | instid1(VALU_DEP_2)
	v_pk_mul_f32 v[46:47], v[46:47], v[50:51] op_sel_hi:[1,0]
	v_pk_fma_f32 v[54:55], v[36:37], v[28:29], v[48:49] op_sel_hi:[1,0,1]
	v_pk_fma_f32 v[28:29], v[36:37], v[28:29], v[48:49] neg_lo:[0,0,1] neg_hi:[0,0,1]
	v_mov_b32_e32 v53, v42
	s_wait_loadcnt 0x1
	v_pk_mul_f32 v[50:51], v[40:41], v[32:33] op_sel:[1,1] op_sel_hi:[0,1]
	v_pk_fma_f32 v[36:37], v[38:39], v[30:31], v[46:47] op_sel_hi:[1,0,1]
	v_dual_mov_b32 v29, v55 :: v_dual_mov_b32 v36, v35
	v_pk_fma_f32 v[30:31], v[38:39], v[30:31], v[46:47] neg_lo:[0,0,1] neg_hi:[0,0,1]
	s_delay_alu instid0(VALU_DEP_4) | instskip(NEXT) | instid1(VALU_DEP_4)
	v_pk_fma_f32 v[48:49], v[40:41], v[32:33], v[50:51] op_sel_hi:[1,0,1]
	v_mov_b32_e32 v31, v37
	s_delay_alu instid0(VALU_DEP_4) | instskip(SKIP_2) | instid1(VALU_DEP_3)
	v_pk_add_f32 v[28:29], v[28:29], 0 op_sel_hi:[1,0]
	v_pk_mul_f32 v[36:37], v[52:53], v[36:37] op_sel_hi:[1,0]
	v_pk_fma_f32 v[32:33], v[40:41], v[32:33], v[50:51] neg_lo:[0,0,1] neg_hi:[0,0,1]
	v_pk_add_f32 v[28:29], v[28:29], v[30:31]
	s_delay_alu instid0(VALU_DEP_3) | instskip(SKIP_2) | instid1(VALU_DEP_3)
	v_pk_fma_f32 v[30:31], v[42:43], v[34:35], v[36:37] op_sel_hi:[1,0,1]
	v_mov_b32_e32 v33, v49
	v_pk_fma_f32 v[34:35], v[42:43], v[34:35], v[36:37] neg_lo:[0,0,1] neg_hi:[0,0,1]
	v_mov_b32_e32 v35, v31
	s_delay_alu instid0(VALU_DEP_3) | instskip(NEXT) | instid1(VALU_DEP_1)
	v_pk_add_f32 v[28:29], v[28:29], v[32:33]
	v_pk_add_f32 v[28:29], v[28:29], v[34:35]
	s_wait_loadcnt 0x0
	s_delay_alu instid0(VALU_DEP_1)
	v_pk_add_f32 v[28:29], v[44:45], v[28:29] neg_lo:[0,1] neg_hi:[0,1]
	scratch_store_b64 off, v[28:29], off offset:64
	s_wait_xcnt 0x0
	v_cmpx_lt_u32_e32 7, v0
	s_cbranch_execz .LBB12_77
; %bb.76:
	scratch_load_b64 v[28:29], off, off offset:56
	v_mov_b64_e32 v[30:31], 0
	scratch_store_b64 off, v[30:31], off offset:56
	s_wait_loadcnt 0x0
	ds_store_b64 v1, v[28:29]
.LBB12_77:
	s_wait_xcnt 0x0
	s_or_b32 exec_lo, exec_lo, s0
	s_wait_storecnt_dscnt 0x0
	s_barrier_signal -1
	s_barrier_wait -1
	s_clause 0x3
	scratch_load_b128 v[28:31], off, off offset:64
	scratch_load_b128 v[32:35], off, off offset:80
	scratch_load_b64 v[44:45], off, off offset:96
	scratch_load_b64 v[46:47], off, off offset:56
	v_mov_b32_e32 v7, 0
	ds_load_b128 v[36:39], v7 offset:176
	ds_load_b128 v[40:43], v7 offset:192
	s_mov_b32 s0, exec_lo
	s_wait_dscnt 0x1
	v_dual_mov_b32 v48, v39 :: v_dual_mov_b32 v49, v38
	ds_load_b64 v[54:55], v7 offset:208
	s_wait_dscnt 0x1
	v_dual_mov_b32 v56, v43 :: v_dual_mov_b32 v57, v42
	s_wait_loadcnt 0x3
	v_pk_mul_f32 v[50:51], v[36:37], v[28:29] op_sel:[1,1] op_sel_hi:[0,1]
	v_mov_b32_e32 v52, v31
	s_delay_alu instid0(VALU_DEP_2) | instskip(NEXT) | instid1(VALU_DEP_2)
	v_pk_fma_f32 v[58:59], v[36:37], v[28:29], v[50:51] op_sel_hi:[1,0,1]
	v_pk_mul_f32 v[48:49], v[48:49], v[52:53] op_sel_hi:[1,0]
	v_pk_fma_f32 v[28:29], v[36:37], v[28:29], v[50:51] neg_lo:[0,0,1] neg_hi:[0,0,1]
	s_wait_loadcnt 0x2
	v_pk_mul_f32 v[52:53], v[40:41], v[32:33] op_sel:[1,1] op_sel_hi:[0,1]
	v_dual_mov_b32 v58, v35 :: v_dual_mov_b32 v29, v59
	v_pk_fma_f32 v[36:37], v[38:39], v[30:31], v[48:49] op_sel_hi:[1,0,1]
	v_pk_fma_f32 v[30:31], v[38:39], v[30:31], v[48:49] neg_lo:[0,0,1] neg_hi:[0,0,1]
	s_delay_alu instid0(VALU_DEP_4) | instskip(NEXT) | instid1(VALU_DEP_4)
	v_pk_fma_f32 v[50:51], v[40:41], v[32:33], v[52:53] op_sel_hi:[1,0,1]
	v_pk_mul_f32 v[56:57], v[56:57], v[58:59] op_sel_hi:[1,0]
	v_pk_add_f32 v[28:29], v[28:29], 0 op_sel_hi:[1,0]
	v_mov_b32_e32 v31, v37
	v_pk_fma_f32 v[32:33], v[40:41], v[32:33], v[52:53] neg_lo:[0,0,1] neg_hi:[0,0,1]
	v_mov_b32_e32 v33, v51
	v_pk_fma_f32 v[36:37], v[42:43], v[34:35], v[56:57] op_sel_hi:[1,0,1]
	v_pk_fma_f32 v[34:35], v[42:43], v[34:35], v[56:57] neg_lo:[0,0,1] neg_hi:[0,0,1]
	v_pk_add_f32 v[28:29], v[28:29], v[30:31]
	s_wait_loadcnt_dscnt 0x100
	v_pk_mul_f32 v[30:31], v[54:55], v[44:45] op_sel:[1,1] op_sel_hi:[0,1]
	s_delay_alu instid0(VALU_DEP_2) | instskip(NEXT) | instid1(VALU_DEP_2)
	v_pk_add_f32 v[28:29], v[28:29], v[32:33]
	v_pk_fma_f32 v[32:33], v[54:55], v[44:45], v[30:31] op_sel_hi:[1,0,1]
	v_mov_b32_e32 v35, v37
	v_pk_fma_f32 v[30:31], v[54:55], v[44:45], v[30:31] neg_lo:[0,0,1] neg_hi:[0,0,1]
	s_delay_alu instid0(VALU_DEP_3) | instskip(NEXT) | instid1(VALU_DEP_3)
	v_mov_b32_e32 v31, v33
	v_pk_add_f32 v[28:29], v[28:29], v[34:35]
	s_delay_alu instid0(VALU_DEP_1) | instskip(SKIP_1) | instid1(VALU_DEP_1)
	v_pk_add_f32 v[28:29], v[28:29], v[30:31]
	s_wait_loadcnt 0x0
	v_pk_add_f32 v[28:29], v[46:47], v[28:29] neg_lo:[0,1] neg_hi:[0,1]
	scratch_store_b64 off, v[28:29], off offset:56
	s_wait_xcnt 0x0
	v_cmpx_lt_u32_e32 6, v0
	s_cbranch_execz .LBB12_79
; %bb.78:
	scratch_load_b64 v[28:29], off, off offset:48
	v_mov_b64_e32 v[30:31], 0
	scratch_store_b64 off, v[30:31], off offset:48
	s_wait_loadcnt 0x0
	ds_store_b64 v1, v[28:29]
.LBB12_79:
	s_wait_xcnt 0x0
	s_or_b32 exec_lo, exec_lo, s0
	s_wait_storecnt_dscnt 0x0
	s_barrier_signal -1
	s_barrier_wait -1
	s_clause 0x3
	scratch_load_b128 v[28:31], off, off offset:56
	scratch_load_b128 v[32:35], off, off offset:72
	;; [unrolled: 1-line block ×3, first 2 shown]
	scratch_load_b64 v[52:53], off, off offset:48
	ds_load_2addr_b64 v[40:43], v7 offset0:21 offset1:22
	ds_load_2addr_b64 v[44:47], v7 offset0:23 offset1:24
	;; [unrolled: 1-line block ×3, first 2 shown]
	s_mov_b32 s0, exec_lo
	s_wait_dscnt 0x2
	v_dual_mov_b32 v54, v43 :: v_dual_mov_b32 v55, v42
	s_wait_dscnt 0x1
	v_dual_mov_b32 v56, v47 :: v_dual_mov_b32 v57, v46
	;; [unrolled: 2-line block ×3, first 2 shown]
	s_wait_loadcnt 0x3
	v_pk_mul_f32 v[58:59], v[40:41], v[28:29] op_sel:[1,1] op_sel_hi:[0,1]
	v_mov_b32_e32 v60, v31
	s_delay_alu instid0(VALU_DEP_2) | instskip(NEXT) | instid1(VALU_DEP_2)
	v_pk_fma_f32 v[64:65], v[40:41], v[28:29], v[58:59] op_sel_hi:[1,0,1]
	v_pk_mul_f32 v[54:55], v[54:55], v[60:61] op_sel_hi:[1,0]
	v_pk_fma_f32 v[28:29], v[40:41], v[28:29], v[58:59] neg_lo:[0,0,1] neg_hi:[0,0,1]
	s_wait_loadcnt 0x2
	v_pk_mul_f32 v[60:61], v[44:45], v[32:33] op_sel:[1,1] op_sel_hi:[0,1]
	v_mov_b32_e32 v64, v35
	v_pk_fma_f32 v[40:41], v[42:43], v[30:31], v[54:55] op_sel_hi:[1,0,1]
	v_mov_b32_e32 v29, v65
	v_pk_fma_f32 v[30:31], v[42:43], v[30:31], v[54:55] neg_lo:[0,0,1] neg_hi:[0,0,1]
	v_pk_fma_f32 v[58:59], v[44:45], v[32:33], v[60:61] op_sel_hi:[1,0,1]
	v_pk_mul_f32 v[56:57], v[56:57], v[64:65] op_sel_hi:[1,0]
	v_mov_b32_e32 v31, v41
	v_pk_add_f32 v[28:29], v[28:29], 0 op_sel_hi:[1,0]
	v_pk_fma_f32 v[32:33], v[44:45], v[32:33], v[60:61] neg_lo:[0,0,1] neg_hi:[0,0,1]
	s_wait_loadcnt 0x1
	v_pk_mul_f32 v[40:41], v[48:49], v[36:37] op_sel:[1,1] op_sel_hi:[0,1]
	v_mov_b32_e32 v33, v59
	v_pk_fma_f32 v[42:43], v[46:47], v[34:35], v[56:57] op_sel_hi:[1,0,1]
	v_pk_add_f32 v[28:29], v[28:29], v[30:31]
	v_mov_b32_e32 v30, v39
	v_pk_fma_f32 v[34:35], v[46:47], v[34:35], v[56:57] neg_lo:[0,0,1] neg_hi:[0,0,1]
	v_pk_fma_f32 v[44:45], v[48:49], v[36:37], v[40:41] op_sel_hi:[1,0,1]
	v_mov_b32_e32 v35, v43
	v_pk_add_f32 v[28:29], v[28:29], v[32:33]
	v_pk_mul_f32 v[30:31], v[62:63], v[30:31] op_sel_hi:[1,0]
	v_pk_fma_f32 v[32:33], v[48:49], v[36:37], v[40:41] neg_lo:[0,0,1] neg_hi:[0,0,1]
	v_mov_b32_e32 v33, v45
	s_delay_alu instid0(VALU_DEP_4) | instskip(NEXT) | instid1(VALU_DEP_4)
	v_pk_add_f32 v[28:29], v[28:29], v[34:35]
	v_pk_fma_f32 v[34:35], v[50:51], v[38:39], v[30:31] op_sel_hi:[1,0,1]
	v_pk_fma_f32 v[30:31], v[50:51], v[38:39], v[30:31] neg_lo:[0,0,1] neg_hi:[0,0,1]
	s_delay_alu instid0(VALU_DEP_3) | instskip(NEXT) | instid1(VALU_DEP_3)
	v_pk_add_f32 v[28:29], v[28:29], v[32:33]
	v_mov_b32_e32 v31, v35
	s_delay_alu instid0(VALU_DEP_1) | instskip(SKIP_1) | instid1(VALU_DEP_1)
	v_pk_add_f32 v[28:29], v[28:29], v[30:31]
	s_wait_loadcnt 0x0
	v_pk_add_f32 v[28:29], v[52:53], v[28:29] neg_lo:[0,1] neg_hi:[0,1]
	scratch_store_b64 off, v[28:29], off offset:48
	s_wait_xcnt 0x0
	v_cmpx_lt_u32_e32 5, v0
	s_cbranch_execz .LBB12_81
; %bb.80:
	scratch_load_b64 v[28:29], off, off offset:40
	v_mov_b64_e32 v[30:31], 0
	scratch_store_b64 off, v[30:31], off offset:40
	s_wait_loadcnt 0x0
	ds_store_b64 v1, v[28:29]
.LBB12_81:
	s_wait_xcnt 0x0
	s_or_b32 exec_lo, exec_lo, s0
	s_wait_storecnt_dscnt 0x0
	s_barrier_signal -1
	s_barrier_wait -1
	s_clause 0x4
	scratch_load_b128 v[28:31], off, off offset:48
	scratch_load_b128 v[32:35], off, off offset:64
	;; [unrolled: 1-line block ×3, first 2 shown]
	scratch_load_b64 v[52:53], off, off offset:96
	scratch_load_b64 v[54:55], off, off offset:40
	v_mov_b32_e32 v7, 0
	ds_load_b128 v[40:43], v7 offset:160
	ds_load_b128 v[44:47], v7 offset:176
	;; [unrolled: 1-line block ×3, first 2 shown]
	ds_load_b64 v[56:57], v7 offset:208
	s_mov_b32 s0, exec_lo
	s_wait_dscnt 0x3
	v_dual_mov_b32 v58, v43 :: v_dual_mov_b32 v59, v42
	s_wait_dscnt 0x2
	v_dual_mov_b32 v60, v47 :: v_dual_mov_b32 v61, v46
	;; [unrolled: 2-line block ×3, first 2 shown]
	s_wait_loadcnt 0x4
	v_pk_mul_f32 v[62:63], v[40:41], v[28:29] op_sel:[1,1] op_sel_hi:[0,1]
	v_mov_b32_e32 v64, v31
	s_wait_loadcnt 0x3
	v_pk_mul_f32 v[68:69], v[44:45], v[32:33] op_sel:[1,1] op_sel_hi:[0,1]
	s_wait_loadcnt 0x2
	v_pk_mul_f32 v[72:73], v[48:49], v[36:37] op_sel:[1,1] op_sel_hi:[0,1]
	v_pk_fma_f32 v[70:71], v[40:41], v[28:29], v[62:63] op_sel_hi:[1,0,1]
	v_pk_mul_f32 v[58:59], v[58:59], v[64:65] op_sel_hi:[1,0]
	v_pk_fma_f32 v[28:29], v[40:41], v[28:29], v[62:63] neg_lo:[0,0,1] neg_hi:[0,0,1]
	v_mov_b32_e32 v64, v35
	v_pk_fma_f32 v[62:63], v[44:45], v[32:33], v[68:69] op_sel_hi:[1,0,1]
	v_mov_b32_e32 v29, v71
	v_pk_fma_f32 v[40:41], v[42:43], v[30:31], v[58:59] op_sel_hi:[1,0,1]
	v_pk_fma_f32 v[30:31], v[42:43], v[30:31], v[58:59] neg_lo:[0,0,1] neg_hi:[0,0,1]
	v_pk_mul_f32 v[60:61], v[60:61], v[64:65] op_sel_hi:[1,0]
	v_pk_fma_f32 v[32:33], v[44:45], v[32:33], v[68:69] neg_lo:[0,0,1] neg_hi:[0,0,1]
	v_pk_add_f32 v[28:29], v[28:29], 0 op_sel_hi:[1,0]
	v_dual_mov_b32 v31, v41 :: v_dual_mov_b32 v40, v39
	s_delay_alu instid0(VALU_DEP_4) | instskip(SKIP_2) | instid1(VALU_DEP_4)
	v_pk_fma_f32 v[42:43], v[46:47], v[34:35], v[60:61] op_sel_hi:[1,0,1]
	v_mov_b32_e32 v33, v63
	v_pk_fma_f32 v[34:35], v[46:47], v[34:35], v[60:61] neg_lo:[0,0,1] neg_hi:[0,0,1]
	v_pk_add_f32 v[28:29], v[28:29], v[30:31]
	v_pk_fma_f32 v[30:31], v[48:49], v[36:37], v[72:73] op_sel_hi:[1,0,1]
	v_pk_mul_f32 v[40:41], v[66:67], v[40:41] op_sel_hi:[1,0]
	v_mov_b32_e32 v35, v43
	s_delay_alu instid0(VALU_DEP_4)
	v_pk_add_f32 v[28:29], v[28:29], v[32:33]
	v_pk_fma_f32 v[32:33], v[48:49], v[36:37], v[72:73] neg_lo:[0,0,1] neg_hi:[0,0,1]
	v_mov_b32_e32 v33, v31
	v_pk_fma_f32 v[30:31], v[50:51], v[38:39], v[40:41] op_sel_hi:[1,0,1]
	v_pk_fma_f32 v[36:37], v[50:51], v[38:39], v[40:41] neg_lo:[0,0,1] neg_hi:[0,0,1]
	v_pk_add_f32 v[28:29], v[28:29], v[34:35]
	s_wait_loadcnt_dscnt 0x100
	v_pk_mul_f32 v[34:35], v[56:57], v[52:53] op_sel:[1,1] op_sel_hi:[0,1]
	v_mov_b32_e32 v37, v31
	s_delay_alu instid0(VALU_DEP_3) | instskip(NEXT) | instid1(VALU_DEP_3)
	v_pk_add_f32 v[28:29], v[28:29], v[32:33]
	v_pk_fma_f32 v[30:31], v[56:57], v[52:53], v[34:35] op_sel_hi:[1,0,1]
	v_pk_fma_f32 v[32:33], v[56:57], v[52:53], v[34:35] neg_lo:[0,0,1] neg_hi:[0,0,1]
	s_delay_alu instid0(VALU_DEP_3) | instskip(NEXT) | instid1(VALU_DEP_3)
	v_pk_add_f32 v[28:29], v[28:29], v[36:37]
	v_mov_b32_e32 v33, v31
	s_delay_alu instid0(VALU_DEP_1) | instskip(SKIP_1) | instid1(VALU_DEP_1)
	v_pk_add_f32 v[28:29], v[28:29], v[32:33]
	s_wait_loadcnt 0x0
	v_pk_add_f32 v[28:29], v[54:55], v[28:29] neg_lo:[0,1] neg_hi:[0,1]
	scratch_store_b64 off, v[28:29], off offset:40
	s_wait_xcnt 0x0
	v_cmpx_lt_u32_e32 4, v0
	s_cbranch_execz .LBB12_83
; %bb.82:
	scratch_load_b64 v[28:29], off, off offset:32
	v_mov_b64_e32 v[30:31], 0
	scratch_store_b64 off, v[30:31], off offset:32
	s_wait_loadcnt 0x0
	ds_store_b64 v1, v[28:29]
.LBB12_83:
	s_wait_xcnt 0x0
	s_or_b32 exec_lo, exec_lo, s0
	s_wait_storecnt_dscnt 0x0
	s_barrier_signal -1
	s_barrier_wait -1
	s_clause 0x4
	scratch_load_b128 v[28:31], off, off offset:40
	scratch_load_b128 v[32:35], off, off offset:56
	;; [unrolled: 1-line block ×4, first 2 shown]
	scratch_load_b64 v[60:61], off, off offset:32
	ds_load_2addr_b64 v[44:47], v7 offset0:19 offset1:20
	ds_load_2addr_b64 v[48:51], v7 offset0:21 offset1:22
	;; [unrolled: 1-line block ×4, first 2 shown]
	s_mov_b32 s0, exec_lo
	s_wait_dscnt 0x3
	v_dual_mov_b32 v62, v47 :: v_dual_mov_b32 v63, v46
	s_wait_dscnt 0x2
	v_dual_mov_b32 v64, v51 :: v_dual_mov_b32 v65, v50
	;; [unrolled: 2-line block ×3, first 2 shown]
	v_dual_mov_b32 v67, v54 :: v_dual_mov_b32 v72, v59
	s_wait_loadcnt 0x4
	v_mov_b32_e32 v70, v31
	v_pk_mul_f32 v[68:69], v[44:45], v[28:29] op_sel:[1,1] op_sel_hi:[0,1]
	s_wait_loadcnt 0x3
	v_pk_mul_f32 v[74:75], v[48:49], v[32:33] op_sel:[1,1] op_sel_hi:[0,1]
	s_wait_loadcnt 0x2
	v_pk_mul_f32 v[78:79], v[52:53], v[36:37] op_sel:[1,1] op_sel_hi:[0,1]
	v_pk_mul_f32 v[62:63], v[62:63], v[70:71] op_sel_hi:[1,0]
	v_pk_fma_f32 v[76:77], v[44:45], v[28:29], v[68:69] op_sel_hi:[1,0,1]
	v_pk_fma_f32 v[28:29], v[44:45], v[28:29], v[68:69] neg_lo:[0,0,1] neg_hi:[0,0,1]
	v_mov_b32_e32 v70, v35
	v_pk_fma_f32 v[68:69], v[48:49], v[32:33], v[74:75] op_sel_hi:[1,0,1]
	v_pk_fma_f32 v[44:45], v[46:47], v[30:31], v[62:63] op_sel_hi:[1,0,1]
	v_mov_b32_e32 v29, v77
	v_pk_fma_f32 v[30:31], v[46:47], v[30:31], v[62:63] neg_lo:[0,0,1] neg_hi:[0,0,1]
	v_pk_mul_f32 v[64:65], v[64:65], v[70:71] op_sel_hi:[1,0]
	s_delay_alu instid0(VALU_DEP_4) | instskip(NEXT) | instid1(VALU_DEP_4)
	v_dual_mov_b32 v44, v39 :: v_dual_mov_b32 v31, v45
	v_pk_add_f32 v[28:29], v[28:29], 0 op_sel_hi:[1,0]
	v_pk_fma_f32 v[32:33], v[48:49], v[32:33], v[74:75] neg_lo:[0,0,1] neg_hi:[0,0,1]
	v_mov_b32_e32 v33, v69
	v_pk_fma_f32 v[46:47], v[50:51], v[34:35], v[64:65] op_sel_hi:[1,0,1]
	v_pk_mul_f32 v[44:45], v[66:67], v[44:45] op_sel_hi:[1,0]
	v_pk_add_f32 v[28:29], v[28:29], v[30:31]
	v_pk_fma_f32 v[30:31], v[52:53], v[36:37], v[78:79] op_sel_hi:[1,0,1]
	v_pk_fma_f32 v[34:35], v[50:51], v[34:35], v[64:65] neg_lo:[0,0,1] neg_hi:[0,0,1]
	v_mov_b32_e32 v35, v47
	v_pk_fma_f32 v[36:37], v[52:53], v[36:37], v[78:79] neg_lo:[0,0,1] neg_hi:[0,0,1]
	v_pk_add_f32 v[28:29], v[28:29], v[32:33]
	v_mov_b32_e32 v37, v31
	v_pk_fma_f32 v[30:31], v[54:55], v[38:39], v[44:45] op_sel_hi:[1,0,1]
	s_wait_loadcnt 0x1
	v_pk_mul_f32 v[32:33], v[56:57], v[40:41] op_sel:[1,1] op_sel_hi:[0,1]
	v_mov_b32_e32 v30, v43
	v_pk_add_f32 v[28:29], v[28:29], v[34:35]
	v_pk_fma_f32 v[38:39], v[54:55], v[38:39], v[44:45] neg_lo:[0,0,1] neg_hi:[0,0,1]
	v_mov_b32_e32 v39, v31
	v_pk_fma_f32 v[34:35], v[56:57], v[40:41], v[32:33] op_sel_hi:[1,0,1]
	v_pk_mul_f32 v[30:31], v[72:73], v[30:31] op_sel_hi:[1,0]
	v_pk_add_f32 v[28:29], v[28:29], v[36:37]
	v_pk_fma_f32 v[32:33], v[56:57], v[40:41], v[32:33] neg_lo:[0,0,1] neg_hi:[0,0,1]
	s_delay_alu instid0(VALU_DEP_4) | instskip(NEXT) | instid1(VALU_DEP_4)
	v_mov_b32_e32 v33, v35
	v_pk_fma_f32 v[34:35], v[58:59], v[42:43], v[30:31] op_sel_hi:[1,0,1]
	s_delay_alu instid0(VALU_DEP_4) | instskip(SKIP_1) | instid1(VALU_DEP_3)
	v_pk_add_f32 v[28:29], v[28:29], v[38:39]
	v_pk_fma_f32 v[30:31], v[58:59], v[42:43], v[30:31] neg_lo:[0,0,1] neg_hi:[0,0,1]
	v_mov_b32_e32 v31, v35
	s_delay_alu instid0(VALU_DEP_3) | instskip(NEXT) | instid1(VALU_DEP_1)
	v_pk_add_f32 v[28:29], v[28:29], v[32:33]
	v_pk_add_f32 v[28:29], v[28:29], v[30:31]
	s_wait_loadcnt 0x0
	s_delay_alu instid0(VALU_DEP_1)
	v_pk_add_f32 v[28:29], v[60:61], v[28:29] neg_lo:[0,1] neg_hi:[0,1]
	scratch_store_b64 off, v[28:29], off offset:32
	s_wait_xcnt 0x0
	v_cmpx_lt_u32_e32 3, v0
	s_cbranch_execz .LBB12_85
; %bb.84:
	scratch_load_b64 v[28:29], off, off offset:24
	v_mov_b64_e32 v[30:31], 0
	scratch_store_b64 off, v[30:31], off offset:24
	s_wait_loadcnt 0x0
	ds_store_b64 v1, v[28:29]
.LBB12_85:
	s_wait_xcnt 0x0
	s_or_b32 exec_lo, exec_lo, s0
	s_wait_storecnt_dscnt 0x0
	s_barrier_signal -1
	s_barrier_wait -1
	s_clause 0x5
	scratch_load_b128 v[28:31], off, off offset:32
	scratch_load_b128 v[32:35], off, off offset:48
	;; [unrolled: 1-line block ×4, first 2 shown]
	scratch_load_b64 v[60:61], off, off offset:96
	scratch_load_b64 v[62:63], off, off offset:24
	v_mov_b32_e32 v7, 0
	ds_load_b128 v[44:47], v7 offset:144
	ds_load_b128 v[48:51], v7 offset:160
	;; [unrolled: 1-line block ×4, first 2 shown]
	ds_load_b64 v[64:65], v7 offset:208
	s_mov_b32 s0, exec_lo
	s_wait_dscnt 0x4
	v_dual_mov_b32 v66, v47 :: v_dual_mov_b32 v67, v46
	s_wait_dscnt 0x1
	v_dual_mov_b32 v68, v51 :: v_dual_mov_b32 v73, v58
	v_dual_mov_b32 v69, v50 :: v_dual_mov_b32 v70, v55
	;; [unrolled: 1-line block ×3, first 2 shown]
	s_wait_loadcnt 0x5
	v_dual_mov_b32 v74, v31 :: v_dual_mul_f32 v75, v44, v29
	v_mul_f32_e32 v9, v45, v29
	s_wait_loadcnt 0x4
	v_pk_mul_f32 v[76:77], v[48:49], v[32:33] op_sel:[1,1] op_sel_hi:[0,1]
	v_mov_b32_e32 v78, v35
	s_wait_loadcnt 0x3
	v_pk_mul_f32 v[80:81], v[52:53], v[36:37] op_sel:[1,1] op_sel_hi:[0,1]
	v_pk_mul_f32 v[66:67], v[66:67], v[74:75] op_sel_hi:[1,0]
	v_dual_fmac_f32 v75, v45, v28 :: v_dual_fma_f32 v74, v44, v28, -v9
	v_mov_b32_e32 v28, v39
	v_pk_fma_f32 v[82:83], v[48:49], v[32:33], v[76:77] op_sel_hi:[1,0,1]
	s_delay_alu instid0(VALU_DEP_4)
	v_pk_fma_f32 v[44:45], v[46:47], v[30:31], v[66:67] op_sel_hi:[1,0,1]
	v_pk_fma_f32 v[30:31], v[46:47], v[30:31], v[66:67] neg_lo:[0,0,1] neg_hi:[0,0,1]
	v_pk_mul_f32 v[68:69], v[68:69], v[78:79] op_sel_hi:[1,0]
	v_pk_add_f32 v[74:75], v[74:75], 0 op_sel_hi:[1,0]
	v_pk_fma_f32 v[32:33], v[48:49], v[32:33], v[76:77] neg_lo:[0,0,1] neg_hi:[0,0,1]
	v_dual_mov_b32 v31, v45 :: v_dual_mov_b32 v33, v83
	s_delay_alu instid0(VALU_DEP_4) | instskip(SKIP_2) | instid1(VALU_DEP_4)
	v_pk_fma_f32 v[46:47], v[50:51], v[34:35], v[68:69] op_sel_hi:[1,0,1]
	v_pk_fma_f32 v[34:35], v[50:51], v[34:35], v[68:69] neg_lo:[0,0,1] neg_hi:[0,0,1]
	v_pk_fma_f32 v[48:49], v[52:53], v[36:37], v[80:81] op_sel_hi:[1,0,1]
	v_pk_add_f32 v[30:31], v[74:75], v[30:31]
	v_pk_mul_f32 v[28:29], v[70:71], v[28:29] op_sel_hi:[1,0]
	v_mov_b32_e32 v35, v47
	v_pk_fma_f32 v[36:37], v[52:53], v[36:37], v[80:81] neg_lo:[0,0,1] neg_hi:[0,0,1]
	s_wait_loadcnt 0x2
	v_pk_mul_f32 v[44:45], v[56:57], v[40:41] op_sel:[1,1] op_sel_hi:[0,1]
	v_pk_add_f32 v[30:31], v[30:31], v[32:33]
	v_mov_b32_e32 v32, v43
	v_pk_fma_f32 v[46:47], v[54:55], v[38:39], v[28:29] op_sel_hi:[1,0,1]
	v_mov_b32_e32 v37, v49
	v_pk_fma_f32 v[28:29], v[54:55], v[38:39], v[28:29] neg_lo:[0,0,1] neg_hi:[0,0,1]
	v_pk_add_f32 v[30:31], v[30:31], v[34:35]
	v_pk_fma_f32 v[34:35], v[56:57], v[40:41], v[44:45] op_sel_hi:[1,0,1]
	v_pk_mul_f32 v[32:33], v[72:73], v[32:33] op_sel_hi:[1,0]
	v_mov_b32_e32 v29, v47
	s_delay_alu instid0(VALU_DEP_4)
	v_pk_add_f32 v[30:31], v[30:31], v[36:37]
	v_pk_fma_f32 v[36:37], v[56:57], v[40:41], v[44:45] neg_lo:[0,0,1] neg_hi:[0,0,1]
	v_mov_b32_e32 v37, v35
	v_pk_fma_f32 v[34:35], v[58:59], v[42:43], v[32:33] op_sel_hi:[1,0,1]
	v_pk_fma_f32 v[32:33], v[58:59], v[42:43], v[32:33] neg_lo:[0,0,1] neg_hi:[0,0,1]
	v_pk_add_f32 v[28:29], v[30:31], v[28:29]
	s_wait_loadcnt_dscnt 0x100
	v_pk_mul_f32 v[30:31], v[64:65], v[60:61] op_sel:[1,1] op_sel_hi:[0,1]
	v_mov_b32_e32 v33, v35
	s_delay_alu instid0(VALU_DEP_3) | instskip(NEXT) | instid1(VALU_DEP_3)
	v_pk_add_f32 v[28:29], v[28:29], v[36:37]
	v_pk_fma_f32 v[34:35], v[64:65], v[60:61], v[30:31] op_sel_hi:[1,0,1]
	v_pk_fma_f32 v[30:31], v[64:65], v[60:61], v[30:31] neg_lo:[0,0,1] neg_hi:[0,0,1]
	s_delay_alu instid0(VALU_DEP_3) | instskip(NEXT) | instid1(VALU_DEP_3)
	v_pk_add_f32 v[28:29], v[28:29], v[32:33]
	v_mov_b32_e32 v31, v35
	s_delay_alu instid0(VALU_DEP_1) | instskip(SKIP_1) | instid1(VALU_DEP_1)
	v_pk_add_f32 v[28:29], v[28:29], v[30:31]
	s_wait_loadcnt 0x0
	v_pk_add_f32 v[28:29], v[62:63], v[28:29] neg_lo:[0,1] neg_hi:[0,1]
	scratch_store_b64 off, v[28:29], off offset:24
	s_wait_xcnt 0x0
	v_cmpx_lt_u32_e32 2, v0
	s_cbranch_execz .LBB12_87
; %bb.86:
	scratch_load_b64 v[28:29], off, off offset:16
	v_mov_b64_e32 v[30:31], 0
	scratch_store_b64 off, v[30:31], off offset:16
	s_wait_loadcnt 0x0
	ds_store_b64 v1, v[28:29]
.LBB12_87:
	s_wait_xcnt 0x0
	s_or_b32 exec_lo, exec_lo, s0
	s_wait_storecnt_dscnt 0x0
	s_barrier_signal -1
	s_barrier_wait -1
	s_clause 0x5
	scratch_load_b128 v[28:31], off, off offset:24
	scratch_load_b128 v[32:35], off, off offset:40
	;; [unrolled: 1-line block ×5, first 2 shown]
	scratch_load_b64 v[68:69], off, off offset:16
	ds_load_2addr_b64 v[48:51], v7 offset0:19 offset1:20
	ds_load_2addr_b64 v[52:55], v7 offset0:21 offset1:22
	;; [unrolled: 1-line block ×5, first 2 shown]
	s_mov_b32 s0, exec_lo
	s_wait_dscnt 0x4
	v_dual_mov_b32 v70, v51 :: v_dual_mov_b32 v71, v50
	s_wait_dscnt 0x3
	v_dual_mov_b32 v72, v55 :: v_dual_mov_b32 v73, v54
	;; [unrolled: 2-line block ×4, first 2 shown]
	s_wait_loadcnt_dscnt 0x500
	v_dual_mul_f32 v79, v64, v29 :: v_dual_mul_f32 v81, v66, v31
	v_dual_mul_f32 v7, v65, v29 :: v_dual_mul_f32 v9, v67, v31
	s_wait_loadcnt 0x4
	v_pk_mul_f32 v[82:83], v[48:49], v[32:33] op_sel:[1,1] op_sel_hi:[0,1]
	s_wait_loadcnt 0x3
	v_dual_mov_b32 v84, v35 :: v_dual_mov_b32 v88, v39
	v_dual_fmac_f32 v79, v65, v28 :: v_dual_fmac_f32 v81, v67, v30
	v_dual_fma_f32 v78, v64, v28, -v7 :: v_dual_fma_f32 v80, v66, v30, -v9
	v_pk_fma_f32 v[28:29], v[48:49], v[32:33], v[82:83] op_sel_hi:[1,0,1]
	s_delay_alu instid0(VALU_DEP_4) | instskip(SKIP_1) | instid1(VALU_DEP_4)
	v_pk_mul_f32 v[30:31], v[70:71], v[84:85] op_sel_hi:[1,0]
	v_pk_fma_f32 v[32:33], v[48:49], v[32:33], v[82:83] neg_lo:[0,0,1] neg_hi:[0,0,1]
	v_pk_add_f32 v[64:65], v[78:79], 0 op_sel_hi:[1,0]
	v_pk_mul_f32 v[86:87], v[52:53], v[36:37] op_sel:[1,1] op_sel_hi:[0,1]
	v_mov_b32_e32 v33, v29
	v_pk_fma_f32 v[28:29], v[50:51], v[34:35], v[30:31] op_sel_hi:[1,0,1]
	v_pk_fma_f32 v[30:31], v[50:51], v[34:35], v[30:31] neg_lo:[0,0,1] neg_hi:[0,0,1]
	v_pk_add_f32 v[48:49], v[64:65], v[80:81]
	v_pk_fma_f32 v[64:65], v[52:53], v[36:37], v[86:87] op_sel_hi:[1,0,1]
	v_pk_mul_f32 v[70:71], v[72:73], v[88:89] op_sel_hi:[1,0]
	v_mov_b32_e32 v31, v29
	s_wait_loadcnt 0x2
	v_pk_mul_f32 v[66:67], v[56:57], v[40:41] op_sel:[1,1] op_sel_hi:[0,1]
	v_pk_add_f32 v[28:29], v[48:49], v[32:33]
	v_mov_b32_e32 v32, v43
	v_pk_fma_f32 v[34:35], v[52:53], v[36:37], v[86:87] neg_lo:[0,0,1] neg_hi:[0,0,1]
	v_mov_b32_e32 v35, v65
	v_pk_fma_f32 v[36:37], v[54:55], v[38:39], v[70:71] op_sel_hi:[1,0,1]
	v_pk_add_f32 v[28:29], v[28:29], v[30:31]
	v_pk_fma_f32 v[30:31], v[56:57], v[40:41], v[66:67] op_sel_hi:[1,0,1]
	v_pk_mul_f32 v[32:33], v[74:75], v[32:33] op_sel_hi:[1,0]
	v_pk_fma_f32 v[38:39], v[54:55], v[38:39], v[70:71] neg_lo:[0,0,1] neg_hi:[0,0,1]
	v_mov_b32_e32 v39, v37
	v_pk_add_f32 v[28:29], v[28:29], v[34:35]
	v_pk_fma_f32 v[36:37], v[56:57], v[40:41], v[66:67] neg_lo:[0,0,1] neg_hi:[0,0,1]
	v_mov_b32_e32 v37, v31
	v_pk_fma_f32 v[30:31], v[58:59], v[42:43], v[32:33] op_sel_hi:[1,0,1]
	s_wait_loadcnt 0x1
	v_pk_mul_f32 v[34:35], v[60:61], v[44:45] op_sel:[1,1] op_sel_hi:[0,1]
	v_pk_add_f32 v[28:29], v[28:29], v[38:39]
	v_mov_b32_e32 v30, v47
	v_pk_fma_f32 v[32:33], v[58:59], v[42:43], v[32:33] neg_lo:[0,0,1] neg_hi:[0,0,1]
	v_mov_b32_e32 v33, v31
	v_pk_fma_f32 v[38:39], v[60:61], v[44:45], v[34:35] op_sel_hi:[1,0,1]
	v_pk_add_f32 v[28:29], v[28:29], v[36:37]
	v_pk_mul_f32 v[30:31], v[76:77], v[30:31] op_sel_hi:[1,0]
	v_pk_fma_f32 v[34:35], v[60:61], v[44:45], v[34:35] neg_lo:[0,0,1] neg_hi:[0,0,1]
	s_delay_alu instid0(VALU_DEP_3) | instskip(NEXT) | instid1(VALU_DEP_3)
	v_pk_add_f32 v[28:29], v[28:29], v[32:33]
	v_pk_fma_f32 v[32:33], v[62:63], v[46:47], v[30:31] op_sel_hi:[1,0,1]
	v_mov_b32_e32 v35, v39
	v_pk_fma_f32 v[30:31], v[62:63], v[46:47], v[30:31] neg_lo:[0,0,1] neg_hi:[0,0,1]
	s_delay_alu instid0(VALU_DEP_3) | instskip(NEXT) | instid1(VALU_DEP_3)
	v_mov_b32_e32 v31, v33
	v_pk_add_f32 v[28:29], v[28:29], v[34:35]
	s_delay_alu instid0(VALU_DEP_1) | instskip(SKIP_1) | instid1(VALU_DEP_1)
	v_pk_add_f32 v[28:29], v[28:29], v[30:31]
	s_wait_loadcnt 0x0
	v_pk_add_f32 v[28:29], v[68:69], v[28:29] neg_lo:[0,1] neg_hi:[0,1]
	scratch_store_b64 off, v[28:29], off offset:16
	s_wait_xcnt 0x0
	v_cmpx_lt_u32_e32 1, v0
	s_cbranch_execz .LBB12_89
; %bb.88:
	scratch_load_b64 v[28:29], off, off offset:8
	v_mov_b64_e32 v[30:31], 0
	scratch_store_b64 off, v[30:31], off offset:8
	s_wait_loadcnt 0x0
	ds_store_b64 v1, v[28:29]
.LBB12_89:
	s_wait_xcnt 0x0
	s_or_b32 exec_lo, exec_lo, s0
	s_wait_storecnt_dscnt 0x0
	s_barrier_signal -1
	s_barrier_wait -1
	s_clause 0x6
	scratch_load_b128 v[30:33], off, off offset:16
	scratch_load_b128 v[34:37], off, off offset:32
	;; [unrolled: 1-line block ×5, first 2 shown]
	scratch_load_b64 v[70:71], off, off offset:96
	scratch_load_b64 v[72:73], off, off offset:8
	v_mov_b32_e32 v28, 0
	ds_load_b128 v[50:53], v28 offset:144
	ds_load_b128 v[54:57], v28 offset:160
	;; [unrolled: 1-line block ×5, first 2 shown]
	ds_load_b64 v[74:75], v28 offset:208
	v_dual_ashrrev_i32 v17, 31, v16 :: v_dual_ashrrev_i32 v19, 31, v18
	v_dual_ashrrev_i32 v21, 31, v20 :: v_dual_ashrrev_i32 v23, 31, v22
	;; [unrolled: 1-line block ×3, first 2 shown]
	s_mov_b32 s0, exec_lo
	s_wait_dscnt 0x5
	v_dual_mov_b32 v76, v53 :: v_dual_ashrrev_i32 v15, 31, v14
	s_wait_dscnt 0x4
	v_dual_mov_b32 v77, v52 :: v_dual_mov_b32 v78, v57
	s_wait_dscnt 0x2
	v_dual_mov_b32 v83, v64 :: v_dual_mov_b32 v79, v56
	v_dual_mov_b32 v80, v61 :: v_dual_mov_b32 v81, v60
	v_mov_b32_e32 v82, v65
	s_wait_loadcnt_dscnt 0x601
	v_dual_mul_f32 v7, v69, v33 :: v_dual_mul_f32 v9, v66, v31
	v_dual_mul_f32 v85, v68, v33 :: v_dual_mul_f32 v11, v67, v31
	s_wait_loadcnt 0x4
	v_dual_mov_b32 v86, v37 :: v_dual_mov_b32 v88, v41
	s_delay_alu instid0(VALU_DEP_3) | instskip(NEXT) | instid1(VALU_DEP_3)
	v_dual_fma_f32 v84, v68, v32, -v7 :: v_dual_fmac_f32 v9, v67, v30
	v_fma_f32 v7, v66, v30, -v11
	v_dual_mul_f32 v31, v50, v35 :: v_dual_mul_f32 v13, v51, v35
	s_delay_alu instid0(VALU_DEP_3)
	v_dual_fmac_f32 v85, v69, v32 :: v_dual_add_f32 v69, 0, v9
	v_pk_mul_f32 v[66:67], v[76:77], v[86:87] op_sel_hi:[1,0]
	s_wait_loadcnt 0x3
	v_dual_add_f32 v68, 0, v7 :: v_dual_mov_b32 v76, v45
	v_pk_mul_f32 v[90:91], v[54:55], v[38:39] op_sel:[1,1] op_sel_hi:[0,1]
	v_dual_fmac_f32 v31, v51, v34 :: v_dual_fma_f32 v30, v50, v34, -v13
	v_pk_fma_f32 v[34:35], v[52:53], v[36:37], v[66:67] op_sel_hi:[1,0,1]
	s_delay_alu instid0(VALU_DEP_4)
	v_pk_add_f32 v[50:51], v[68:69], v[84:85]
	v_pk_fma_f32 v[36:37], v[52:53], v[36:37], v[66:67] neg_lo:[0,0,1] neg_hi:[0,0,1]
	v_pk_mul_f32 v[68:69], v[78:79], v[88:89] op_sel_hi:[1,0]
	v_pk_fma_f32 v[78:79], v[54:55], v[38:39], v[90:91] op_sel_hi:[1,0,1]
	v_mov_b32_e32 v37, v35
	v_pk_add_f32 v[30:31], v[50:51], v[30:31]
	v_pk_fma_f32 v[38:39], v[54:55], v[38:39], v[90:91] neg_lo:[0,0,1] neg_hi:[0,0,1]
	v_pk_mul_f32 v[32:33], v[58:59], v[42:43] op_sel:[1,1] op_sel_hi:[0,1]
	v_mov_b32_e32 v39, v79
	v_pk_fma_f32 v[50:51], v[56:57], v[40:41], v[68:69] op_sel_hi:[1,0,1]
	v_pk_add_f32 v[30:31], v[30:31], v[36:37]
	v_pk_fma_f32 v[40:41], v[56:57], v[40:41], v[68:69] neg_lo:[0,0,1] neg_hi:[0,0,1]
	v_pk_fma_f32 v[36:37], v[58:59], v[42:43], v[32:33] op_sel_hi:[1,0,1]
	v_pk_mul_f32 v[52:53], v[80:81], v[76:77] op_sel_hi:[1,0]
	s_wait_loadcnt 0x2
	v_dual_mov_b32 v41, v51 :: v_dual_mov_b32 v36, v49
	v_pk_add_f32 v[30:31], v[30:31], v[38:39]
	v_pk_fma_f32 v[32:33], v[58:59], v[42:43], v[32:33] neg_lo:[0,0,1] neg_hi:[0,0,1]
	v_pk_mul_f32 v[34:35], v[62:63], v[46:47] op_sel:[1,1] op_sel_hi:[0,1]
	v_pk_fma_f32 v[38:39], v[60:61], v[44:45], v[52:53] op_sel_hi:[1,0,1]
	v_mov_b32_e32 v33, v37
	v_pk_add_f32 v[30:31], v[30:31], v[40:41]
	v_pk_fma_f32 v[42:43], v[60:61], v[44:45], v[52:53] neg_lo:[0,0,1] neg_hi:[0,0,1]
	v_pk_fma_f32 v[40:41], v[62:63], v[46:47], v[34:35] op_sel_hi:[1,0,1]
	v_pk_mul_f32 v[36:37], v[82:83], v[36:37] op_sel_hi:[1,0]
	v_mov_b32_e32 v43, v39
	v_pk_add_f32 v[30:31], v[30:31], v[32:33]
	v_pk_fma_f32 v[32:33], v[62:63], v[46:47], v[34:35] neg_lo:[0,0,1] neg_hi:[0,0,1]
	v_dual_mov_b32 v33, v41 :: v_dual_ashrrev_i32 v7, 31, v6
	v_pk_fma_f32 v[34:35], v[64:65], v[48:49], v[36:37] op_sel_hi:[1,0,1]
	s_delay_alu instid0(VALU_DEP_4)
	v_pk_add_f32 v[30:31], v[30:31], v[42:43]
	s_wait_loadcnt_dscnt 0x100
	v_pk_mul_f32 v[38:39], v[74:75], v[70:71] op_sel:[1,1] op_sel_hi:[0,1]
	v_pk_fma_f32 v[36:37], v[64:65], v[48:49], v[36:37] neg_lo:[0,0,1] neg_hi:[0,0,1]
	v_dual_ashrrev_i32 v9, 31, v8 :: v_dual_mov_b32 v37, v35
	v_pk_add_f32 v[30:31], v[30:31], v[32:33]
	s_delay_alu instid0(VALU_DEP_4) | instskip(SKIP_2) | instid1(VALU_DEP_4)
	v_pk_fma_f32 v[32:33], v[74:75], v[70:71], v[38:39] op_sel_hi:[1,0,1]
	v_pk_fma_f32 v[34:35], v[74:75], v[70:71], v[38:39] neg_lo:[0,0,1] neg_hi:[0,0,1]
	v_dual_ashrrev_i32 v11, 31, v10 :: v_dual_ashrrev_i32 v13, 31, v12
	v_pk_add_f32 v[30:31], v[30:31], v[36:37]
	s_delay_alu instid0(VALU_DEP_4) | instskip(NEXT) | instid1(VALU_DEP_1)
	v_mov_b32_e32 v35, v33
	v_pk_add_f32 v[30:31], v[30:31], v[34:35]
	s_wait_loadcnt 0x0
	s_delay_alu instid0(VALU_DEP_1)
	v_pk_add_f32 v[30:31], v[72:73], v[30:31] neg_lo:[0,1] neg_hi:[0,1]
	scratch_store_b64 off, v[30:31], off offset:8
	s_wait_xcnt 0x0
	v_cmpx_ne_u32_e32 0, v0
	s_cbranch_execz .LBB12_91
; %bb.90:
	scratch_load_b64 v[30:31], off, off
	v_mov_b64_e32 v[32:33], 0
	scratch_store_b64 off, v[32:33], off
	s_wait_loadcnt 0x0
	ds_store_b64 v1, v[30:31]
.LBB12_91:
	s_wait_xcnt 0x0
	s_or_b32 exec_lo, exec_lo, s0
	s_wait_storecnt_dscnt 0x0
	s_barrier_signal -1
	s_barrier_wait -1
	s_clause 0x6
	scratch_load_b128 v[30:33], off, off offset:8
	scratch_load_b128 v[34:37], off, off offset:24
	;; [unrolled: 1-line block ×6, first 2 shown]
	scratch_load_b64 v[0:1], off, off
	ds_load_2addr_b64 v[54:57], v28 offset0:19 offset1:20
	ds_load_2addr_b64 v[58:61], v28 offset0:21 offset1:22
	;; [unrolled: 1-line block ×6, first 2 shown]
	s_and_b32 vcc_lo, exec_lo, s18
	s_wait_dscnt 0x5
	v_dual_mov_b32 v28, v57 :: v_dual_mov_b32 v29, v56
	s_wait_dscnt 0x4
	v_dual_mov_b32 v78, v61 :: v_dual_mov_b32 v79, v60
	;; [unrolled: 2-line block ×4, first 2 shown]
	s_wait_loadcnt_dscnt 0x601
	v_dual_mul_f32 v84, v70, v31 :: v_dual_mul_f32 v86, v72, v33
	v_dual_mul_f32 v31, v71, v31 :: v_dual_mul_f32 v33, v73, v33
	s_wait_loadcnt 0x4
	s_delay_alu instid0(VALU_DEP_2)
	v_dual_mov_b32 v90, v41 :: v_dual_fmac_f32 v84, v71, v30
	s_wait_dscnt 0x0
	v_dual_mul_f32 v85, v74, v35 :: v_dual_mul_f32 v87, v76, v37
	s_wait_loadcnt 0x3
	v_dual_fma_f32 v31, v70, v30, -v31 :: v_dual_mov_b32 v30, v45
	v_dual_mul_f32 v35, v75, v35 :: v_dual_mul_f32 v37, v77, v37
	v_dual_fmac_f32 v86, v73, v32 :: v_dual_fma_f32 v70, v72, v32, -v33
	s_delay_alu instid0(VALU_DEP_3) | instskip(SKIP_1) | instid1(VALU_DEP_4)
	v_dual_add_f32 v71, 0, v84 :: v_dual_add_f32 v31, 0, v31
	v_pk_mul_f32 v[88:89], v[54:55], v[38:39] op_sel:[1,1] op_sel_hi:[0,1]
	v_dual_fma_f32 v84, v74, v34, -v35 :: v_dual_fmac_f32 v85, v75, v34
	s_delay_alu instid0(VALU_DEP_3) | instskip(NEXT) | instid1(VALU_DEP_4)
	v_dual_add_f32 v35, v71, v86 :: v_dual_fmac_f32 v87, v77, v36
	v_dual_add_f32 v34, v31, v70 :: v_dual_fma_f32 v86, v76, v36, -v37
	s_delay_alu instid0(VALU_DEP_4) | instskip(SKIP_2) | instid1(VALU_DEP_4)
	v_pk_fma_f32 v[36:37], v[54:55], v[38:39], v[88:89] op_sel_hi:[1,0,1]
	v_pk_mul_f32 v[28:29], v[28:29], v[90:91] op_sel_hi:[1,0]
	v_pk_fma_f32 v[38:39], v[54:55], v[38:39], v[88:89] neg_lo:[0,0,1] neg_hi:[0,0,1]
	v_pk_add_f32 v[34:35], v[34:35], v[84:85]
	v_pk_mul_f32 v[92:93], v[58:59], v[42:43] op_sel:[1,1] op_sel_hi:[0,1]
	s_wait_loadcnt 0x2
	v_dual_mov_b32 v36, v49 :: v_dual_mov_b32 v39, v37
	v_pk_fma_f32 v[54:55], v[56:57], v[40:41], v[28:29] op_sel_hi:[1,0,1]
	v_pk_add_f32 v[34:35], v[34:35], v[86:87]
	v_pk_fma_f32 v[28:29], v[56:57], v[40:41], v[28:29] neg_lo:[0,0,1] neg_hi:[0,0,1]
	v_pk_fma_f32 v[70:71], v[58:59], v[42:43], v[92:93] op_sel_hi:[1,0,1]
	v_pk_mul_f32 v[30:31], v[78:79], v[30:31] op_sel_hi:[1,0]
	v_mov_b32_e32 v29, v55
	v_pk_add_f32 v[34:35], v[34:35], v[38:39]
	v_pk_fma_f32 v[40:41], v[58:59], v[42:43], v[92:93] neg_lo:[0,0,1] neg_hi:[0,0,1]
	v_pk_mul_f32 v[32:33], v[62:63], v[46:47] op_sel:[1,1] op_sel_hi:[0,1]
	v_mov_b32_e32 v41, v71
	v_pk_fma_f32 v[42:43], v[60:61], v[44:45], v[30:31] op_sel_hi:[1,0,1]
	v_pk_add_f32 v[28:29], v[34:35], v[28:29]
	v_pk_fma_f32 v[30:31], v[60:61], v[44:45], v[30:31] neg_lo:[0,0,1] neg_hi:[0,0,1]
	v_pk_fma_f32 v[34:35], v[62:63], v[46:47], v[32:33] op_sel_hi:[1,0,1]
	v_pk_mul_f32 v[36:37], v[80:81], v[36:37] op_sel_hi:[1,0]
	s_wait_loadcnt 0x1
	v_dual_mov_b32 v31, v43 :: v_dual_mov_b32 v34, v53
	v_pk_add_f32 v[28:29], v[28:29], v[40:41]
	v_pk_fma_f32 v[32:33], v[62:63], v[46:47], v[32:33] neg_lo:[0,0,1] neg_hi:[0,0,1]
	v_pk_mul_f32 v[38:39], v[66:67], v[50:51] op_sel:[1,1] op_sel_hi:[0,1]
	v_pk_fma_f32 v[40:41], v[64:65], v[48:49], v[36:37] op_sel_hi:[1,0,1]
	v_mov_b32_e32 v33, v35
	v_pk_add_f32 v[28:29], v[28:29], v[30:31]
	v_pk_fma_f32 v[36:37], v[64:65], v[48:49], v[36:37] neg_lo:[0,0,1] neg_hi:[0,0,1]
	v_pk_fma_f32 v[30:31], v[66:67], v[50:51], v[38:39] op_sel_hi:[1,0,1]
	v_pk_mul_f32 v[34:35], v[82:83], v[34:35] op_sel_hi:[1,0]
	v_mov_b32_e32 v37, v41
	v_pk_add_f32 v[28:29], v[28:29], v[32:33]
	v_pk_fma_f32 v[32:33], v[66:67], v[50:51], v[38:39] neg_lo:[0,0,1] neg_hi:[0,0,1]
	v_mov_b32_e32 v33, v31
	v_pk_fma_f32 v[30:31], v[68:69], v[52:53], v[34:35] op_sel_hi:[1,0,1]
	v_pk_fma_f32 v[34:35], v[68:69], v[52:53], v[34:35] neg_lo:[0,0,1] neg_hi:[0,0,1]
	v_pk_add_f32 v[28:29], v[28:29], v[36:37]
	s_delay_alu instid0(VALU_DEP_3) | instskip(NEXT) | instid1(VALU_DEP_2)
	v_mov_b32_e32 v35, v31
	v_pk_add_f32 v[28:29], v[28:29], v[32:33]
	s_delay_alu instid0(VALU_DEP_1) | instskip(SKIP_1) | instid1(VALU_DEP_1)
	v_pk_add_f32 v[28:29], v[28:29], v[34:35]
	s_wait_loadcnt 0x0
	v_pk_add_f32 v[0:1], v[0:1], v[28:29] neg_lo:[0,1] neg_hi:[0,1]
	scratch_store_b64 off, v[0:1], off
	s_cbranch_vccz .LBB12_116
; %bb.92:
	s_wait_xcnt 0x0
	v_mov_b32_e32 v0, 0
	global_load_b32 v1, v0, s[2:3] offset:44
	s_wait_loadcnt 0x0
	v_cmp_ne_u32_e32 vcc_lo, 12, v1
	s_cbranch_vccz .LBB12_94
; %bb.93:
	v_lshlrev_b32_e32 v1, 3, v1
	scratch_load_b64 v[28:29], v1, off offset:-8
	scratch_load_b64 v[30:31], off, off offset:88
	s_wait_loadcnt 0x1
	scratch_store_b64 off, v[28:29], off offset:88
	s_wait_loadcnt 0x0
	scratch_store_b64 v1, v[30:31], off offset:-8
.LBB12_94:
	global_load_b32 v0, v0, s[2:3] offset:40
	s_wait_loadcnt 0x0
	v_cmp_eq_u32_e32 vcc_lo, 11, v0
	s_cbranch_vccnz .LBB12_96
; %bb.95:
	s_wait_xcnt 0x0
	v_lshlrev_b32_e32 v0, 3, v0
	s_delay_alu instid0(VALU_DEP_1)
	v_mov_b32_e32 v30, v0
	scratch_load_b64 v[0:1], v30, off offset:-8
	scratch_load_b64 v[28:29], off, off offset:80
	s_wait_loadcnt 0x1
	scratch_store_b64 off, v[0:1], off offset:80
	s_wait_loadcnt 0x0
	scratch_store_b64 v30, v[28:29], off offset:-8
.LBB12_96:
	s_wait_xcnt 0x0
	v_mov_b32_e32 v0, 0
	global_load_b32 v1, v0, s[2:3] offset:36
	s_wait_loadcnt 0x0
	v_cmp_eq_u32_e32 vcc_lo, 10, v1
	s_cbranch_vccnz .LBB12_98
; %bb.97:
	v_lshlrev_b32_e32 v1, 3, v1
	scratch_load_b64 v[28:29], v1, off offset:-8
	scratch_load_b64 v[30:31], off, off offset:72
	s_wait_loadcnt 0x1
	scratch_store_b64 off, v[28:29], off offset:72
	s_wait_loadcnt 0x0
	scratch_store_b64 v1, v[30:31], off offset:-8
.LBB12_98:
	global_load_b32 v0, v0, s[2:3] offset:32
	s_wait_loadcnt 0x0
	v_cmp_eq_u32_e32 vcc_lo, 9, v0
	s_cbranch_vccnz .LBB12_100
; %bb.99:
	s_wait_xcnt 0x0
	v_lshlrev_b32_e32 v0, 3, v0
	s_delay_alu instid0(VALU_DEP_1)
	v_mov_b32_e32 v30, v0
	scratch_load_b64 v[0:1], v30, off offset:-8
	scratch_load_b64 v[28:29], off, off offset:64
	s_wait_loadcnt 0x1
	scratch_store_b64 off, v[0:1], off offset:64
	s_wait_loadcnt 0x0
	scratch_store_b64 v30, v[28:29], off offset:-8
.LBB12_100:
	s_wait_xcnt 0x0
	v_mov_b32_e32 v0, 0
	global_load_b32 v1, v0, s[2:3] offset:28
	s_wait_loadcnt 0x0
	v_cmp_eq_u32_e32 vcc_lo, 8, v1
	s_cbranch_vccnz .LBB12_102
; %bb.101:
	v_lshlrev_b32_e32 v1, 3, v1
	scratch_load_b64 v[28:29], v1, off offset:-8
	scratch_load_b64 v[30:31], off, off offset:56
	s_wait_loadcnt 0x1
	scratch_store_b64 off, v[28:29], off offset:56
	s_wait_loadcnt 0x0
	scratch_store_b64 v1, v[30:31], off offset:-8
.LBB12_102:
	;; [unrolled: 31-line block ×5, first 2 shown]
	global_load_b32 v28, v0, s[2:3]
	scratch_load_b64 v[0:1], off, off
	s_wait_loadcnt 0x1
	v_cmp_eq_u32_e32 vcc_lo, 1, v28
	s_cbranch_vccnz .LBB12_116
; %bb.115:
	v_lshlrev_b32_e32 v28, 3, v28
	s_delay_alu instid0(VALU_DEP_1)
	v_mov_b32_e32 v30, v28
	scratch_load_b64 v[28:29], v30, off offset:-8
	s_wait_loadcnt 0x0
	scratch_store_b64 off, v[28:29], off
	scratch_store_b64 v30, v[0:1], off offset:-8
	scratch_load_b64 v[0:1], off, off
.LBB12_116:
	v_lshl_add_u64 v[28:29], v[6:7], 3, s[4:5]
	v_lshl_add_u64 v[30:31], v[8:9], 3, s[4:5]
	v_lshl_add_u64 v[6:7], v[24:25], 3, s[4:5]
	v_lshl_add_u64 v[8:9], v[26:27], 3, s[4:5]
	s_clause 0x5
	scratch_load_b128 v[24:27], off, off offset:8
	scratch_load_b128 v[32:35], off, off offset:24
	;; [unrolled: 1-line block ×6, first 2 shown]
	v_lshl_add_u64 v[10:11], v[10:11], 3, s[4:5]
	v_lshl_add_u64 v[12:13], v[12:13], 3, s[4:5]
	;; [unrolled: 1-line block ×7, first 2 shown]
	s_wait_loadcnt 0x6
	global_store_b64 v[2:3], v[0:1], off
	s_wait_loadcnt 0x5
	s_clause 0x1
	global_store_b64 v[4:5], v[24:25], off
	global_store_b64 v[28:29], v[26:27], off
	s_wait_loadcnt 0x4
	s_clause 0x1
	global_store_b64 v[30:31], v[32:33], off
	;; [unrolled: 4-line block ×6, first 2 shown]
	global_store_b64 v[8:9], v[50:51], off
	s_sendmsg sendmsg(MSG_DEALLOC_VGPRS)
	s_endpgm
	.section	.rodata,"a",@progbits
	.p2align	6, 0x0
	.amdhsa_kernel _ZN9rocsolver6v33100L18getri_kernel_smallILi13E19rocblas_complex_numIfEPS3_EEvT1_iilPiilS6_bb
		.amdhsa_group_segment_fixed_size 216
		.amdhsa_private_segment_fixed_size 112
		.amdhsa_kernarg_size 60
		.amdhsa_user_sgpr_count 2
		.amdhsa_user_sgpr_dispatch_ptr 0
		.amdhsa_user_sgpr_queue_ptr 0
		.amdhsa_user_sgpr_kernarg_segment_ptr 1
		.amdhsa_user_sgpr_dispatch_id 0
		.amdhsa_user_sgpr_kernarg_preload_length 0
		.amdhsa_user_sgpr_kernarg_preload_offset 0
		.amdhsa_user_sgpr_private_segment_size 0
		.amdhsa_wavefront_size32 1
		.amdhsa_uses_dynamic_stack 0
		.amdhsa_enable_private_segment 1
		.amdhsa_system_sgpr_workgroup_id_x 1
		.amdhsa_system_sgpr_workgroup_id_y 0
		.amdhsa_system_sgpr_workgroup_id_z 0
		.amdhsa_system_sgpr_workgroup_info 0
		.amdhsa_system_vgpr_workitem_id 0
		.amdhsa_next_free_vgpr 94
		.amdhsa_next_free_sgpr 19
		.amdhsa_named_barrier_count 0
		.amdhsa_reserve_vcc 1
		.amdhsa_float_round_mode_32 0
		.amdhsa_float_round_mode_16_64 0
		.amdhsa_float_denorm_mode_32 3
		.amdhsa_float_denorm_mode_16_64 3
		.amdhsa_fp16_overflow 0
		.amdhsa_memory_ordered 1
		.amdhsa_forward_progress 1
		.amdhsa_inst_pref_size 96
		.amdhsa_round_robin_scheduling 0
		.amdhsa_exception_fp_ieee_invalid_op 0
		.amdhsa_exception_fp_denorm_src 0
		.amdhsa_exception_fp_ieee_div_zero 0
		.amdhsa_exception_fp_ieee_overflow 0
		.amdhsa_exception_fp_ieee_underflow 0
		.amdhsa_exception_fp_ieee_inexact 0
		.amdhsa_exception_int_div_zero 0
	.end_amdhsa_kernel
	.section	.text._ZN9rocsolver6v33100L18getri_kernel_smallILi13E19rocblas_complex_numIfEPS3_EEvT1_iilPiilS6_bb,"axG",@progbits,_ZN9rocsolver6v33100L18getri_kernel_smallILi13E19rocblas_complex_numIfEPS3_EEvT1_iilPiilS6_bb,comdat
.Lfunc_end12:
	.size	_ZN9rocsolver6v33100L18getri_kernel_smallILi13E19rocblas_complex_numIfEPS3_EEvT1_iilPiilS6_bb, .Lfunc_end12-_ZN9rocsolver6v33100L18getri_kernel_smallILi13E19rocblas_complex_numIfEPS3_EEvT1_iilPiilS6_bb
                                        ; -- End function
	.set _ZN9rocsolver6v33100L18getri_kernel_smallILi13E19rocblas_complex_numIfEPS3_EEvT1_iilPiilS6_bb.num_vgpr, 94
	.set _ZN9rocsolver6v33100L18getri_kernel_smallILi13E19rocblas_complex_numIfEPS3_EEvT1_iilPiilS6_bb.num_agpr, 0
	.set _ZN9rocsolver6v33100L18getri_kernel_smallILi13E19rocblas_complex_numIfEPS3_EEvT1_iilPiilS6_bb.numbered_sgpr, 19
	.set _ZN9rocsolver6v33100L18getri_kernel_smallILi13E19rocblas_complex_numIfEPS3_EEvT1_iilPiilS6_bb.num_named_barrier, 0
	.set _ZN9rocsolver6v33100L18getri_kernel_smallILi13E19rocblas_complex_numIfEPS3_EEvT1_iilPiilS6_bb.private_seg_size, 112
	.set _ZN9rocsolver6v33100L18getri_kernel_smallILi13E19rocblas_complex_numIfEPS3_EEvT1_iilPiilS6_bb.uses_vcc, 1
	.set _ZN9rocsolver6v33100L18getri_kernel_smallILi13E19rocblas_complex_numIfEPS3_EEvT1_iilPiilS6_bb.uses_flat_scratch, 1
	.set _ZN9rocsolver6v33100L18getri_kernel_smallILi13E19rocblas_complex_numIfEPS3_EEvT1_iilPiilS6_bb.has_dyn_sized_stack, 0
	.set _ZN9rocsolver6v33100L18getri_kernel_smallILi13E19rocblas_complex_numIfEPS3_EEvT1_iilPiilS6_bb.has_recursion, 0
	.set _ZN9rocsolver6v33100L18getri_kernel_smallILi13E19rocblas_complex_numIfEPS3_EEvT1_iilPiilS6_bb.has_indirect_call, 0
	.section	.AMDGPU.csdata,"",@progbits
; Kernel info:
; codeLenInByte = 12196
; TotalNumSgprs: 21
; NumVgprs: 94
; ScratchSize: 112
; MemoryBound: 0
; FloatMode: 240
; IeeeMode: 1
; LDSByteSize: 216 bytes/workgroup (compile time only)
; SGPRBlocks: 0
; VGPRBlocks: 5
; NumSGPRsForWavesPerEU: 21
; NumVGPRsForWavesPerEU: 94
; NamedBarCnt: 0
; Occupancy: 10
; WaveLimiterHint : 1
; COMPUTE_PGM_RSRC2:SCRATCH_EN: 1
; COMPUTE_PGM_RSRC2:USER_SGPR: 2
; COMPUTE_PGM_RSRC2:TRAP_HANDLER: 0
; COMPUTE_PGM_RSRC2:TGID_X_EN: 1
; COMPUTE_PGM_RSRC2:TGID_Y_EN: 0
; COMPUTE_PGM_RSRC2:TGID_Z_EN: 0
; COMPUTE_PGM_RSRC2:TIDIG_COMP_CNT: 0
	.section	.text._ZN9rocsolver6v33100L18getri_kernel_smallILi14E19rocblas_complex_numIfEPS3_EEvT1_iilPiilS6_bb,"axG",@progbits,_ZN9rocsolver6v33100L18getri_kernel_smallILi14E19rocblas_complex_numIfEPS3_EEvT1_iilPiilS6_bb,comdat
	.globl	_ZN9rocsolver6v33100L18getri_kernel_smallILi14E19rocblas_complex_numIfEPS3_EEvT1_iilPiilS6_bb ; -- Begin function _ZN9rocsolver6v33100L18getri_kernel_smallILi14E19rocblas_complex_numIfEPS3_EEvT1_iilPiilS6_bb
	.p2align	8
	.type	_ZN9rocsolver6v33100L18getri_kernel_smallILi14E19rocblas_complex_numIfEPS3_EEvT1_iilPiilS6_bb,@function
_ZN9rocsolver6v33100L18getri_kernel_smallILi14E19rocblas_complex_numIfEPS3_EEvT1_iilPiilS6_bb: ; @_ZN9rocsolver6v33100L18getri_kernel_smallILi14E19rocblas_complex_numIfEPS3_EEvT1_iilPiilS6_bb
; %bb.0:
	s_mov_b32 s2, exec_lo
	v_cmpx_gt_u32_e32 14, v0
	s_cbranch_execz .LBB13_70
; %bb.1:
	s_clause 0x2
	s_load_b32 s2, s[0:1], 0x38
	s_load_b128 s[12:15], s[0:1], 0x10
	s_load_b128 s[4:7], s[0:1], 0x28
	s_getreg_b32 s9, hwreg(HW_REG_IB_STS2, 6, 4)
	s_wait_kmcnt 0x0
	s_bitcmp1_b32 s2, 8
	s_cselect_b32 s18, -1, 0
	s_bfe_u32 s3, ttmp6, 0x4000c
	s_and_b32 s8, ttmp6, 15
	s_add_co_i32 s3, s3, 1
	s_delay_alu instid0(SALU_CYCLE_1) | instskip(NEXT) | instid1(SALU_CYCLE_1)
	s_mul_i32 s3, ttmp9, s3
	s_add_co_i32 s8, s8, s3
	s_cmp_eq_u32 s9, 0
	s_cselect_b32 s16, ttmp9, s8
	s_bfe_u32 s2, s2, 0x10008
	s_ashr_i32 s17, s16, 31
	s_cmp_eq_u32 s2, 0
                                        ; implicit-def: $sgpr2_sgpr3
	s_cbranch_scc1 .LBB13_3
; %bb.2:
	s_load_b32 s2, s[0:1], 0x20
	s_mul_u64 s[4:5], s[4:5], s[16:17]
	s_delay_alu instid0(SALU_CYCLE_1) | instskip(NEXT) | instid1(SALU_CYCLE_1)
	s_lshl_b64 s[4:5], s[4:5], 2
	s_add_nc_u64 s[4:5], s[14:15], s[4:5]
	s_wait_kmcnt 0x0
	s_ashr_i32 s3, s2, 31
	s_delay_alu instid0(SALU_CYCLE_1) | instskip(NEXT) | instid1(SALU_CYCLE_1)
	s_lshl_b64 s[2:3], s[2:3], 2
	s_add_nc_u64 s[2:3], s[4:5], s[2:3]
.LBB13_3:
	s_clause 0x1
	s_load_b128 s[8:11], s[0:1], 0x0
	s_load_b32 s14, s[0:1], 0x38
	s_mul_u64 s[4:5], s[12:13], s[16:17]
	v_lshlrev_b32_e32 v30, 3, v0
	s_lshl_b64 s[4:5], s[4:5], 3
	s_wait_kmcnt 0x0
	v_add3_u32 v6, s11, s11, v0
	s_ashr_i32 s1, s10, 31
	s_mov_b32 s0, s10
	s_add_nc_u64 s[4:5], s[8:9], s[4:5]
	s_lshl_b64 s[0:1], s[0:1], 3
	v_add_nc_u32_e32 v8, s11, v6
	s_add_nc_u64 s[4:5], s[4:5], s[0:1]
	s_ashr_i32 s1, s11, 31
	s_mov_b32 s0, s11
	s_bitcmp0_b32 s14, 0
	v_add_nc_u32_e32 v10, s11, v8
	s_delay_alu instid0(VALU_DEP_1) | instskip(NEXT) | instid1(VALU_DEP_1)
	v_add_nc_u32_e32 v12, s11, v10
	v_add_nc_u32_e32 v14, s11, v12
	s_delay_alu instid0(VALU_DEP_1) | instskip(NEXT) | instid1(VALU_DEP_1)
	v_dual_mov_b32 v31, 0 :: v_dual_add_nc_u32 v16, s11, v14
	v_add_nc_u32_e32 v18, s11, v16
	s_delay_alu instid0(VALU_DEP_2) | instskip(NEXT) | instid1(VALU_DEP_2)
	v_add_nc_u64_e32 v[2:3], s[4:5], v[30:31]
	v_add_nc_u32_e32 v20, s11, v18
	s_delay_alu instid0(VALU_DEP_2) | instskip(SKIP_1) | instid1(VALU_DEP_2)
	v_lshl_add_u64 v[4:5], s[0:1], 3, v[2:3]
	s_mov_b32 s1, -1
	v_add_nc_u32_e32 v22, s11, v20
	s_clause 0x5
	global_load_b64 v[32:33], v0, s[4:5] scale_offset
	global_load_b64 v[34:35], v[4:5], off
	global_load_b64 v[36:37], v6, s[4:5] scale_offset
	global_load_b64 v[38:39], v8, s[4:5] scale_offset
	;; [unrolled: 1-line block ×4, first 2 shown]
	v_add_nc_u32_e32 v24, s11, v22
	s_delay_alu instid0(VALU_DEP_1)
	v_add_nc_u32_e32 v26, s11, v24
	s_clause 0x3
	global_load_b64 v[44:45], v14, s[4:5] scale_offset
	global_load_b64 v[46:47], v16, s[4:5] scale_offset
	;; [unrolled: 1-line block ×4, first 2 shown]
	v_add_nc_u32_e32 v28, s11, v26
	s_clause 0x3
	global_load_b64 v[52:53], v22, s[4:5] scale_offset
	global_load_b64 v[54:55], v24, s[4:5] scale_offset
	;; [unrolled: 1-line block ×4, first 2 shown]
	s_wait_loadcnt 0xc
	scratch_store_b128 off, v[32:35], off
	s_wait_loadcnt 0xa
	scratch_store_b128 off, v[36:39], off offset:16
	s_wait_loadcnt 0x8
	scratch_store_b128 off, v[40:43], off offset:32
	;; [unrolled: 2-line block ×6, first 2 shown]
	s_cbranch_scc1 .LBB13_68
; %bb.4:
	v_cmp_eq_u32_e64 s0, 0, v0
	s_wait_xcnt 0x0
	s_and_saveexec_b32 s1, s0
; %bb.5:
	v_mov_b32_e32 v1, 0
	ds_store_b32 v1, v1 offset:224
; %bb.6:
	s_or_b32 exec_lo, exec_lo, s1
	s_wait_storecnt_dscnt 0x0
	s_barrier_signal -1
	s_barrier_wait -1
	scratch_load_b64 v[32:33], v0, off scale_offset
	s_wait_loadcnt 0x0
	v_cmp_eq_f32_e32 vcc_lo, 0, v32
	v_cmp_eq_f32_e64 s1, 0, v33
	s_and_b32 s1, vcc_lo, s1
	s_delay_alu instid0(SALU_CYCLE_1)
	s_and_saveexec_b32 s8, s1
	s_cbranch_execz .LBB13_10
; %bb.7:
	v_mov_b32_e32 v1, 0
	s_mov_b32 s9, 0
	ds_load_b32 v7, v1 offset:224
	s_wait_dscnt 0x0
	v_readfirstlane_b32 s1, v7
	v_add_nc_u32_e32 v7, 1, v0
	s_cmp_eq_u32 s1, 0
	s_delay_alu instid0(VALU_DEP_1) | instskip(SKIP_1) | instid1(SALU_CYCLE_1)
	v_cmp_gt_i32_e32 vcc_lo, s1, v7
	s_cselect_b32 s10, -1, 0
	s_or_b32 s10, s10, vcc_lo
	s_delay_alu instid0(SALU_CYCLE_1)
	s_and_b32 exec_lo, exec_lo, s10
	s_cbranch_execz .LBB13_10
; %bb.8:
	v_mov_b32_e32 v9, s1
.LBB13_9:                               ; =>This Inner Loop Header: Depth=1
	ds_cmpstore_rtn_b32 v9, v1, v7, v9 offset:224
	s_wait_dscnt 0x0
	v_cmp_ne_u32_e32 vcc_lo, 0, v9
	v_cmp_le_i32_e64 s1, v9, v7
	s_and_b32 s1, vcc_lo, s1
	s_delay_alu instid0(SALU_CYCLE_1) | instskip(NEXT) | instid1(SALU_CYCLE_1)
	s_and_b32 s1, exec_lo, s1
	s_or_b32 s9, s1, s9
	s_delay_alu instid0(SALU_CYCLE_1)
	s_and_not1_b32 exec_lo, exec_lo, s9
	s_cbranch_execnz .LBB13_9
.LBB13_10:
	s_or_b32 exec_lo, exec_lo, s8
	v_mov_b32_e32 v1, 0
	s_barrier_signal -1
	s_barrier_wait -1
	ds_load_b32 v7, v1 offset:224
	s_and_saveexec_b32 s1, s0
	s_cbranch_execz .LBB13_12
; %bb.11:
	s_lshl_b64 s[8:9], s[16:17], 2
	s_delay_alu instid0(SALU_CYCLE_1)
	s_add_nc_u64 s[8:9], s[6:7], s[8:9]
	s_wait_dscnt 0x0
	global_store_b32 v1, v7, s[8:9]
.LBB13_12:
	s_wait_xcnt 0x0
	s_or_b32 exec_lo, exec_lo, s1
	s_wait_dscnt 0x0
	v_cmp_ne_u32_e32 vcc_lo, 0, v7
	s_mov_b32 s1, 0
	s_cbranch_vccnz .LBB13_68
; %bb.13:
	v_lshl_add_u32 v7, v0, 3, 0
                                        ; implicit-def: $vgpr35
                                        ; implicit-def: $vgpr36
	scratch_load_b64 v[32:33], v7, off
	s_wait_loadcnt 0x0
	v_cmp_ngt_f32_e64 s1, |v32|, |v33|
	s_wait_xcnt 0x0
	s_and_saveexec_b32 s8, s1
	s_delay_alu instid0(SALU_CYCLE_1)
	s_xor_b32 s1, exec_lo, s8
	s_cbranch_execz .LBB13_15
; %bb.14:
	v_div_scale_f32 v1, null, v33, v33, v32
	v_div_scale_f32 v13, vcc_lo, v32, v33, v32
	s_delay_alu instid0(VALU_DEP_2) | instskip(SKIP_1) | instid1(TRANS32_DEP_1)
	v_rcp_f32_e32 v9, v1
	v_nop
	v_fma_f32 v11, -v1, v9, 1.0
	s_delay_alu instid0(VALU_DEP_1) | instskip(NEXT) | instid1(VALU_DEP_1)
	v_fmac_f32_e32 v9, v11, v9
	v_mul_f32_e32 v11, v13, v9
	s_delay_alu instid0(VALU_DEP_1) | instskip(NEXT) | instid1(VALU_DEP_1)
	v_fma_f32 v15, -v1, v11, v13
	v_fmac_f32_e32 v11, v15, v9
	s_delay_alu instid0(VALU_DEP_1) | instskip(NEXT) | instid1(VALU_DEP_1)
	v_fma_f32 v1, -v1, v11, v13
	v_div_fmas_f32 v1, v1, v9, v11
	s_delay_alu instid0(VALU_DEP_1) | instskip(NEXT) | instid1(VALU_DEP_1)
	v_div_fixup_f32 v1, v1, v33, v32
	v_fmac_f32_e32 v33, v32, v1
	s_delay_alu instid0(VALU_DEP_1) | instskip(NEXT) | instid1(VALU_DEP_1)
	v_div_scale_f32 v9, null, v33, v33, -1.0
	v_rcp_f32_e32 v11, v9
	v_nop
	s_delay_alu instid0(TRANS32_DEP_1) | instskip(NEXT) | instid1(VALU_DEP_1)
	v_fma_f32 v13, -v9, v11, 1.0
	v_fmac_f32_e32 v11, v13, v11
	v_div_scale_f32 v13, vcc_lo, -1.0, v33, -1.0
	s_delay_alu instid0(VALU_DEP_1) | instskip(NEXT) | instid1(VALU_DEP_1)
	v_mul_f32_e32 v15, v13, v11
	v_fma_f32 v17, -v9, v15, v13
	s_delay_alu instid0(VALU_DEP_1) | instskip(NEXT) | instid1(VALU_DEP_1)
	v_fmac_f32_e32 v15, v17, v11
	v_fma_f32 v9, -v9, v15, v13
	s_delay_alu instid0(VALU_DEP_1) | instskip(NEXT) | instid1(VALU_DEP_1)
	v_div_fmas_f32 v9, v9, v11, v15
	v_div_fixup_f32 v35, v9, v33, -1.0
                                        ; implicit-def: $vgpr32_vgpr33
	s_delay_alu instid0(VALU_DEP_1) | instskip(NEXT) | instid1(VALU_DEP_1)
	v_mul_f32_e32 v36, v1, v35
	v_xor_b32_e32 v34, 0x80000000, v36
.LBB13_15:
	s_and_not1_saveexec_b32 s1, s1
	s_cbranch_execz .LBB13_17
; %bb.16:
	v_div_scale_f32 v1, null, v32, v32, v33
	v_div_scale_f32 v13, vcc_lo, v33, v32, v33
	s_delay_alu instid0(VALU_DEP_2) | instskip(SKIP_1) | instid1(TRANS32_DEP_1)
	v_rcp_f32_e32 v9, v1
	v_nop
	v_fma_f32 v11, -v1, v9, 1.0
	s_delay_alu instid0(VALU_DEP_1) | instskip(NEXT) | instid1(VALU_DEP_1)
	v_fmac_f32_e32 v9, v11, v9
	v_mul_f32_e32 v11, v13, v9
	s_delay_alu instid0(VALU_DEP_1) | instskip(NEXT) | instid1(VALU_DEP_1)
	v_fma_f32 v15, -v1, v11, v13
	v_fmac_f32_e32 v11, v15, v9
	s_delay_alu instid0(VALU_DEP_1) | instskip(NEXT) | instid1(VALU_DEP_1)
	v_fma_f32 v1, -v1, v11, v13
	v_div_fmas_f32 v1, v1, v9, v11
	s_delay_alu instid0(VALU_DEP_1) | instskip(NEXT) | instid1(VALU_DEP_1)
	v_div_fixup_f32 v1, v1, v32, v33
	v_fmac_f32_e32 v32, v33, v1
	s_delay_alu instid0(VALU_DEP_1) | instskip(SKIP_1) | instid1(VALU_DEP_2)
	v_div_scale_f32 v9, null, v32, v32, 1.0
	v_div_scale_f32 v15, vcc_lo, 1.0, v32, 1.0
	v_rcp_f32_e32 v11, v9
	v_nop
	s_delay_alu instid0(TRANS32_DEP_1) | instskip(NEXT) | instid1(VALU_DEP_1)
	v_fma_f32 v13, -v9, v11, 1.0
	v_fmac_f32_e32 v11, v13, v11
	s_delay_alu instid0(VALU_DEP_1) | instskip(NEXT) | instid1(VALU_DEP_1)
	v_mul_f32_e32 v13, v15, v11
	v_fma_f32 v17, -v9, v13, v15
	s_delay_alu instid0(VALU_DEP_1) | instskip(NEXT) | instid1(VALU_DEP_1)
	v_fmac_f32_e32 v13, v17, v11
	v_fma_f32 v9, -v9, v13, v15
	s_delay_alu instid0(VALU_DEP_1) | instskip(NEXT) | instid1(VALU_DEP_1)
	v_div_fmas_f32 v9, v9, v11, v13
	v_div_fixup_f32 v34, v9, v32, 1.0
	s_delay_alu instid0(VALU_DEP_1)
	v_xor_b32_e32 v36, 0x80000000, v34
	v_mul_f32_e64 v35, v1, -v34
.LBB13_17:
	s_or_b32 exec_lo, exec_lo, s1
	scratch_store_b64 v7, v[34:35], off
	scratch_load_b64 v[32:33], off, off offset:8
	v_xor_b32_e32 v37, 0x80000000, v35
	v_add_nc_u32_e32 v1, 0x70, v30
	s_wait_loadcnt 0x0
	ds_store_2addr_b64 v30, v[36:37], v[32:33] offset1:14
	s_wait_storecnt_dscnt 0x0
	s_barrier_signal -1
	s_barrier_wait -1
	s_wait_xcnt 0x0
	s_and_saveexec_b32 s1, s0
	s_cbranch_execz .LBB13_19
; %bb.18:
	scratch_load_b64 v[32:33], v7, off
	ds_load_b64 v[34:35], v1
	s_wait_loadcnt_dscnt 0x0
	v_pk_mul_f32 v[38:39], v[34:35], v[32:33] op_sel:[1,1] op_sel_hi:[0,1]
	s_delay_alu instid0(VALU_DEP_1) | instskip(SKIP_2) | instid1(VALU_DEP_3)
	v_pk_fma_f32 v[40:41], v[34:35], v[32:33], v[38:39] op_sel_hi:[1,0,1]
	v_mov_b32_e32 v9, 0
	v_pk_fma_f32 v[32:33], v[34:35], v[32:33], v[38:39] neg_lo:[0,0,1] neg_hi:[0,0,1]
	v_mov_b32_e32 v33, v41
	ds_load_b64 v[36:37], v9 offset:8
	v_pk_add_f32 v[32:33], v[32:33], 0 op_sel_hi:[1,0]
	s_wait_dscnt 0x0
	s_delay_alu instid0(VALU_DEP_1) | instskip(NEXT) | instid1(VALU_DEP_1)
	v_pk_mul_f32 v[34:35], v[32:33], v[36:37] op_sel:[1,1] op_sel_hi:[0,1]
	v_pk_fma_f32 v[38:39], v[32:33], v[36:37], v[34:35] op_sel_hi:[1,0,1]
	v_pk_fma_f32 v[32:33], v[32:33], v[36:37], v[34:35] neg_lo:[0,0,1] neg_hi:[0,0,1]
	s_delay_alu instid0(VALU_DEP_2)
	v_mov_b32_e32 v33, v39
	scratch_store_b64 off, v[32:33], off offset:8
.LBB13_19:
	s_wait_xcnt 0x0
	s_or_b32 exec_lo, exec_lo, s1
	s_wait_storecnt 0x0
	s_barrier_signal -1
	s_barrier_wait -1
	scratch_load_b64 v[32:33], off, off offset:16
	s_mov_b32 s1, exec_lo
	s_wait_loadcnt 0x0
	ds_store_b64 v1, v[32:33]
	s_wait_dscnt 0x0
	s_barrier_signal -1
	s_barrier_wait -1
	v_cmpx_gt_u32_e32 2, v0
	s_cbranch_execz .LBB13_23
; %bb.20:
	scratch_load_b64 v[32:33], v7, off
	ds_load_b64 v[34:35], v1
	s_wait_loadcnt_dscnt 0x0
	v_pk_mul_f32 v[36:37], v[34:35], v[32:33] op_sel:[1,1] op_sel_hi:[0,1]
	s_delay_alu instid0(VALU_DEP_1) | instskip(SKIP_1) | instid1(VALU_DEP_2)
	v_pk_fma_f32 v[38:39], v[34:35], v[32:33], v[36:37] op_sel_hi:[1,0,1]
	v_pk_fma_f32 v[32:33], v[34:35], v[32:33], v[36:37] neg_lo:[0,0,1] neg_hi:[0,0,1]
	v_mov_b32_e32 v33, v39
	s_delay_alu instid0(VALU_DEP_1)
	v_pk_add_f32 v[32:33], v[32:33], 0 op_sel_hi:[1,0]
	s_and_saveexec_b32 s8, s0
	s_cbranch_execz .LBB13_22
; %bb.21:
	scratch_load_b64 v[34:35], off, off offset:8
	v_mov_b32_e32 v7, 0
	ds_load_b64 v[36:37], v7 offset:120
	s_wait_loadcnt_dscnt 0x0
	v_pk_mul_f32 v[38:39], v[36:37], v[34:35] op_sel:[1,1] op_sel_hi:[0,1]
	s_delay_alu instid0(VALU_DEP_1) | instskip(SKIP_1) | instid1(VALU_DEP_2)
	v_pk_fma_f32 v[40:41], v[36:37], v[34:35], v[38:39] op_sel_hi:[1,0,1]
	v_pk_fma_f32 v[34:35], v[36:37], v[34:35], v[38:39] neg_lo:[0,0,1] neg_hi:[0,0,1]
	v_mov_b32_e32 v35, v41
	s_delay_alu instid0(VALU_DEP_1)
	v_pk_add_f32 v[32:33], v[32:33], v[34:35]
.LBB13_22:
	s_or_b32 exec_lo, exec_lo, s8
	v_mov_b32_e32 v7, 0
	ds_load_b64 v[34:35], v7 offset:16
	s_wait_dscnt 0x0
	v_pk_mul_f32 v[36:37], v[32:33], v[34:35] op_sel:[1,1] op_sel_hi:[0,1]
	s_delay_alu instid0(VALU_DEP_1) | instskip(SKIP_1) | instid1(VALU_DEP_2)
	v_pk_fma_f32 v[38:39], v[32:33], v[34:35], v[36:37] op_sel_hi:[1,0,1]
	v_pk_fma_f32 v[32:33], v[32:33], v[34:35], v[36:37] neg_lo:[0,0,1] neg_hi:[0,0,1]
	v_mov_b32_e32 v33, v39
	scratch_store_b64 off, v[32:33], off offset:16
.LBB13_23:
	s_wait_xcnt 0x0
	s_or_b32 exec_lo, exec_lo, s1
	s_wait_storecnt 0x0
	s_barrier_signal -1
	s_barrier_wait -1
	scratch_load_b64 v[32:33], off, off offset:24
	v_add_nc_u32_e32 v7, -1, v0
	s_mov_b32 s0, exec_lo
	s_wait_loadcnt 0x0
	ds_store_b64 v1, v[32:33]
	s_wait_dscnt 0x0
	s_barrier_signal -1
	s_barrier_wait -1
	v_cmpx_gt_u32_e32 3, v0
	s_cbranch_execz .LBB13_27
; %bb.24:
	v_dual_mov_b32 v32, 0 :: v_dual_add_nc_u32 v9, -1, v0
	v_add_nc_u32_e32 v11, 0x70, v30
	v_mov_b32_e32 v13, v30
	s_mov_b32 s1, 0
	s_delay_alu instid0(VALU_DEP_3)
	v_mov_b32_e32 v33, v32
.LBB13_25:                              ; =>This Inner Loop Header: Depth=1
	scratch_load_b64 v[34:35], v13, off
	ds_load_b64 v[36:37], v11
	s_wait_xcnt 0x0
	v_dual_add_nc_u32 v11, 8, v11 :: v_dual_add_nc_u32 v13, 8, v13
	s_wait_loadcnt_dscnt 0x0
	v_pk_mul_f32 v[38:39], v[36:37], v[34:35] op_sel:[1,1] op_sel_hi:[0,1]
	s_delay_alu instid0(VALU_DEP_1) | instskip(SKIP_2) | instid1(VALU_DEP_3)
	v_pk_fma_f32 v[40:41], v[36:37], v[34:35], v[38:39] op_sel_hi:[1,0,1]
	v_add_nc_u32_e32 v9, 1, v9
	v_pk_fma_f32 v[34:35], v[36:37], v[34:35], v[38:39] neg_lo:[0,0,1] neg_hi:[0,0,1]
	v_mov_b32_e32 v35, v41
	s_delay_alu instid0(VALU_DEP_3) | instskip(NEXT) | instid1(VALU_DEP_2)
	v_cmp_lt_u32_e32 vcc_lo, 1, v9
	v_pk_add_f32 v[32:33], v[32:33], v[34:35]
	s_or_b32 s1, vcc_lo, s1
	s_delay_alu instid0(SALU_CYCLE_1)
	s_and_not1_b32 exec_lo, exec_lo, s1
	s_cbranch_execnz .LBB13_25
; %bb.26:
	s_or_b32 exec_lo, exec_lo, s1
	v_mov_b32_e32 v9, 0
	ds_load_b64 v[34:35], v9 offset:24
	s_wait_dscnt 0x0
	v_pk_mul_f32 v[36:37], v[32:33], v[34:35] op_sel:[1,1] op_sel_hi:[0,1]
	s_delay_alu instid0(VALU_DEP_1) | instskip(SKIP_1) | instid1(VALU_DEP_2)
	v_pk_fma_f32 v[38:39], v[32:33], v[34:35], v[36:37] op_sel_hi:[1,0,1]
	v_pk_fma_f32 v[32:33], v[32:33], v[34:35], v[36:37] neg_lo:[0,0,1] neg_hi:[0,0,1]
	v_mov_b32_e32 v33, v39
	scratch_store_b64 off, v[32:33], off offset:24
.LBB13_27:
	s_wait_xcnt 0x0
	s_or_b32 exec_lo, exec_lo, s0
	s_wait_storecnt 0x0
	s_barrier_signal -1
	s_barrier_wait -1
	scratch_load_b64 v[32:33], off, off offset:32
	s_mov_b32 s0, exec_lo
	s_wait_loadcnt 0x0
	ds_store_b64 v1, v[32:33]
	s_wait_dscnt 0x0
	s_barrier_signal -1
	s_barrier_wait -1
	v_cmpx_gt_u32_e32 4, v0
	s_cbranch_execz .LBB13_31
; %bb.28:
	v_dual_mov_b32 v32, 0 :: v_dual_add_nc_u32 v9, -1, v0
	v_add_nc_u32_e32 v11, 0x70, v30
	v_mov_b32_e32 v13, v30
	s_mov_b32 s1, 0
	s_delay_alu instid0(VALU_DEP_3)
	v_mov_b32_e32 v33, v32
.LBB13_29:                              ; =>This Inner Loop Header: Depth=1
	scratch_load_b64 v[34:35], v13, off
	ds_load_b64 v[36:37], v11
	s_wait_xcnt 0x0
	v_dual_add_nc_u32 v11, 8, v11 :: v_dual_add_nc_u32 v13, 8, v13
	s_wait_loadcnt_dscnt 0x0
	v_pk_mul_f32 v[38:39], v[36:37], v[34:35] op_sel:[1,1] op_sel_hi:[0,1]
	s_delay_alu instid0(VALU_DEP_1) | instskip(SKIP_2) | instid1(VALU_DEP_3)
	v_pk_fma_f32 v[40:41], v[36:37], v[34:35], v[38:39] op_sel_hi:[1,0,1]
	v_add_nc_u32_e32 v9, 1, v9
	v_pk_fma_f32 v[34:35], v[36:37], v[34:35], v[38:39] neg_lo:[0,0,1] neg_hi:[0,0,1]
	v_mov_b32_e32 v35, v41
	s_delay_alu instid0(VALU_DEP_3) | instskip(NEXT) | instid1(VALU_DEP_2)
	v_cmp_lt_u32_e32 vcc_lo, 2, v9
	v_pk_add_f32 v[32:33], v[32:33], v[34:35]
	s_or_b32 s1, vcc_lo, s1
	s_delay_alu instid0(SALU_CYCLE_1)
	s_and_not1_b32 exec_lo, exec_lo, s1
	s_cbranch_execnz .LBB13_29
; %bb.30:
	s_or_b32 exec_lo, exec_lo, s1
	v_mov_b32_e32 v9, 0
	ds_load_b64 v[34:35], v9 offset:32
	s_wait_dscnt 0x0
	v_pk_mul_f32 v[36:37], v[32:33], v[34:35] op_sel:[1,1] op_sel_hi:[0,1]
	s_delay_alu instid0(VALU_DEP_1) | instskip(SKIP_1) | instid1(VALU_DEP_2)
	v_pk_fma_f32 v[38:39], v[32:33], v[34:35], v[36:37] op_sel_hi:[1,0,1]
	v_pk_fma_f32 v[32:33], v[32:33], v[34:35], v[36:37] neg_lo:[0,0,1] neg_hi:[0,0,1]
	v_mov_b32_e32 v33, v39
	scratch_store_b64 off, v[32:33], off offset:32
.LBB13_31:
	s_wait_xcnt 0x0
	s_or_b32 exec_lo, exec_lo, s0
	s_wait_storecnt 0x0
	s_barrier_signal -1
	s_barrier_wait -1
	scratch_load_b64 v[32:33], off, off offset:40
	;; [unrolled: 52-line block ×10, first 2 shown]
	s_mov_b32 s0, exec_lo
	s_wait_loadcnt 0x0
	ds_store_b64 v1, v[32:33]
	s_wait_dscnt 0x0
	s_barrier_signal -1
	s_barrier_wait -1
	v_cmpx_ne_u32_e32 13, v0
	s_cbranch_execz .LBB13_67
; %bb.64:
	v_dual_mov_b32 v32, 0 :: v_dual_mov_b32 v9, v30
	s_mov_b32 s1, 0
	s_delay_alu instid0(VALU_DEP_1)
	v_mov_b32_e32 v33, v32
.LBB13_65:                              ; =>This Inner Loop Header: Depth=1
	scratch_load_b64 v[30:31], v9, off
	ds_load_b64 v[34:35], v1
	v_add_nc_u32_e32 v1, 8, v1
	s_wait_xcnt 0x0
	v_add_nc_u32_e32 v9, 8, v9
	s_wait_loadcnt_dscnt 0x0
	v_pk_mul_f32 v[36:37], v[34:35], v[30:31] op_sel:[1,1] op_sel_hi:[0,1]
	s_delay_alu instid0(VALU_DEP_1) | instskip(SKIP_2) | instid1(VALU_DEP_3)
	v_pk_fma_f32 v[38:39], v[34:35], v[30:31], v[36:37] op_sel_hi:[1,0,1]
	v_add_nc_u32_e32 v7, 1, v7
	v_pk_fma_f32 v[30:31], v[34:35], v[30:31], v[36:37] neg_lo:[0,0,1] neg_hi:[0,0,1]
	v_mov_b32_e32 v31, v39
	s_delay_alu instid0(VALU_DEP_3) | instskip(NEXT) | instid1(VALU_DEP_2)
	v_cmp_lt_u32_e32 vcc_lo, 11, v7
	v_pk_add_f32 v[32:33], v[32:33], v[30:31]
	s_or_b32 s1, vcc_lo, s1
	s_delay_alu instid0(SALU_CYCLE_1)
	s_and_not1_b32 exec_lo, exec_lo, s1
	s_cbranch_execnz .LBB13_65
; %bb.66:
	s_or_b32 exec_lo, exec_lo, s1
	v_mov_b32_e32 v1, 0
	ds_load_b64 v[30:31], v1 offset:104
	s_wait_dscnt 0x0
	v_pk_mul_f32 v[34:35], v[32:33], v[30:31] op_sel:[1,1] op_sel_hi:[0,1]
	s_delay_alu instid0(VALU_DEP_1) | instskip(SKIP_1) | instid1(VALU_DEP_2)
	v_pk_fma_f32 v[36:37], v[32:33], v[30:31], v[34:35] op_sel_hi:[1,0,1]
	v_pk_fma_f32 v[30:31], v[32:33], v[30:31], v[34:35] neg_lo:[0,0,1] neg_hi:[0,0,1]
	v_mov_b32_e32 v31, v37
	scratch_store_b64 off, v[30:31], off offset:104
.LBB13_67:
	s_wait_xcnt 0x0
	s_or_b32 exec_lo, exec_lo, s0
	s_mov_b32 s1, -1
	s_wait_storecnt 0x0
	s_barrier_signal -1
	s_barrier_wait -1
.LBB13_68:
	s_and_b32 vcc_lo, exec_lo, s1
	s_cbranch_vccz .LBB13_70
; %bb.69:
	v_mov_b32_e32 v1, 0
	s_lshl_b64 s[0:1], s[16:17], 2
	s_delay_alu instid0(SALU_CYCLE_1)
	s_add_nc_u64 s[0:1], s[6:7], s[0:1]
	global_load_b32 v1, v1, s[0:1]
	s_wait_loadcnt 0x0
	v_cmp_ne_u32_e32 vcc_lo, 0, v1
	s_cbranch_vccz .LBB13_71
.LBB13_70:
	s_sendmsg sendmsg(MSG_DEALLOC_VGPRS)
	s_endpgm
.LBB13_71:
	s_wait_xcnt 0x0
	v_lshl_add_u32 v1, v0, 3, 0x70
	s_mov_b32 s0, exec_lo
	v_cmpx_eq_u32_e32 13, v0
	s_cbranch_execz .LBB13_73
; %bb.72:
	scratch_load_b64 v[30:31], off, off offset:96
	v_mov_b64_e32 v[32:33], 0
	scratch_store_b64 off, v[32:33], off offset:96
	s_wait_loadcnt 0x0
	ds_store_b64 v1, v[30:31]
.LBB13_73:
	s_wait_xcnt 0x0
	s_or_b32 exec_lo, exec_lo, s0
	s_wait_storecnt_dscnt 0x0
	s_barrier_signal -1
	s_barrier_wait -1
	s_clause 0x1
	scratch_load_b64 v[30:31], off, off offset:104
	scratch_load_b64 v[32:33], off, off offset:96
	v_mov_b32_e32 v7, 0
	s_mov_b32 s0, exec_lo
	ds_load_b64 v[34:35], v7 offset:216
	s_wait_loadcnt_dscnt 0x100
	v_pk_mul_f32 v[36:37], v[34:35], v[30:31] op_sel:[1,1] op_sel_hi:[0,1]
	s_delay_alu instid0(VALU_DEP_1) | instskip(SKIP_1) | instid1(VALU_DEP_2)
	v_pk_fma_f32 v[38:39], v[34:35], v[30:31], v[36:37] op_sel_hi:[1,0,1]
	v_pk_fma_f32 v[30:31], v[34:35], v[30:31], v[36:37] neg_lo:[0,0,1] neg_hi:[0,0,1]
	v_mov_b32_e32 v31, v39
	s_delay_alu instid0(VALU_DEP_1) | instskip(SKIP_1) | instid1(VALU_DEP_1)
	v_pk_add_f32 v[30:31], v[30:31], 0 op_sel_hi:[1,0]
	s_wait_loadcnt 0x0
	v_pk_add_f32 v[30:31], v[32:33], v[30:31] neg_lo:[0,1] neg_hi:[0,1]
	scratch_store_b64 off, v[30:31], off offset:96
	s_wait_xcnt 0x0
	v_cmpx_lt_u32_e32 11, v0
	s_cbranch_execz .LBB13_75
; %bb.74:
	scratch_load_b64 v[30:31], off, off offset:88
	v_mov_b64_e32 v[32:33], 0
	scratch_store_b64 off, v[32:33], off offset:88
	s_wait_loadcnt 0x0
	ds_store_b64 v1, v[30:31]
.LBB13_75:
	s_wait_xcnt 0x0
	s_or_b32 exec_lo, exec_lo, s0
	s_wait_storecnt_dscnt 0x0
	s_barrier_signal -1
	s_barrier_wait -1
	s_clause 0x1
	scratch_load_b128 v[30:33], off, off offset:96
	scratch_load_b64 v[38:39], off, off offset:88
	ds_load_b128 v[34:37], v7 offset:208
	s_mov_b32 s0, exec_lo
	s_wait_dscnt 0x0
	v_dual_mov_b32 v40, v37 :: v_dual_mov_b32 v41, v36
	s_wait_loadcnt 0x1
	v_pk_mul_f32 v[42:43], v[34:35], v[30:31] op_sel:[1,1] op_sel_hi:[0,1]
	s_delay_alu instid0(VALU_DEP_1) | instskip(SKIP_2) | instid1(VALU_DEP_3)
	v_pk_fma_f32 v[46:47], v[34:35], v[30:31], v[42:43] op_sel_hi:[1,0,1]
	v_mov_b32_e32 v44, v33
	v_pk_fma_f32 v[30:31], v[34:35], v[30:31], v[42:43] neg_lo:[0,0,1] neg_hi:[0,0,1]
	v_mov_b32_e32 v31, v47
	s_delay_alu instid0(VALU_DEP_3) | instskip(NEXT) | instid1(VALU_DEP_2)
	v_pk_mul_f32 v[40:41], v[40:41], v[44:45] op_sel_hi:[1,0]
	v_pk_add_f32 v[30:31], v[30:31], 0 op_sel_hi:[1,0]
	s_delay_alu instid0(VALU_DEP_2) | instskip(SKIP_1) | instid1(VALU_DEP_2)
	v_pk_fma_f32 v[34:35], v[36:37], v[32:33], v[40:41] op_sel_hi:[1,0,1]
	v_pk_fma_f32 v[32:33], v[36:37], v[32:33], v[40:41] neg_lo:[0,0,1] neg_hi:[0,0,1]
	v_mov_b32_e32 v33, v35
	s_delay_alu instid0(VALU_DEP_1) | instskip(SKIP_1) | instid1(VALU_DEP_1)
	v_pk_add_f32 v[30:31], v[30:31], v[32:33]
	s_wait_loadcnt 0x0
	v_pk_add_f32 v[30:31], v[38:39], v[30:31] neg_lo:[0,1] neg_hi:[0,1]
	scratch_store_b64 off, v[30:31], off offset:88
	s_wait_xcnt 0x0
	v_cmpx_lt_u32_e32 10, v0
	s_cbranch_execz .LBB13_77
; %bb.76:
	scratch_load_b64 v[30:31], off, off offset:80
	v_mov_b64_e32 v[32:33], 0
	scratch_store_b64 off, v[32:33], off offset:80
	s_wait_loadcnt 0x0
	ds_store_b64 v1, v[30:31]
.LBB13_77:
	s_wait_xcnt 0x0
	s_or_b32 exec_lo, exec_lo, s0
	s_wait_storecnt_dscnt 0x0
	s_barrier_signal -1
	s_barrier_wait -1
	s_clause 0x2
	scratch_load_b128 v[30:33], off, off offset:88
	scratch_load_b64 v[38:39], off, off offset:104
	scratch_load_b64 v[40:41], off, off offset:80
	v_mov_b32_e32 v7, 0
	ds_load_2addr_b64 v[34:37], v7 offset0:25 offset1:26
	ds_load_b64 v[42:43], v7 offset:216
	s_mov_b32 s0, exec_lo
	s_wait_dscnt 0x1
	v_dual_mov_b32 v44, v37 :: v_dual_mov_b32 v45, v36
	s_wait_loadcnt 0x2
	v_mov_b32_e32 v48, v33
	v_pk_mul_f32 v[46:47], v[34:35], v[30:31] op_sel:[1,1] op_sel_hi:[0,1]
	s_delay_alu instid0(VALU_DEP_2) | instskip(NEXT) | instid1(VALU_DEP_2)
	v_pk_mul_f32 v[44:45], v[44:45], v[48:49] op_sel_hi:[1,0]
	v_pk_fma_f32 v[50:51], v[34:35], v[30:31], v[46:47] op_sel_hi:[1,0,1]
	v_pk_fma_f32 v[30:31], v[34:35], v[30:31], v[46:47] neg_lo:[0,0,1] neg_hi:[0,0,1]
	s_wait_loadcnt_dscnt 0x100
	v_pk_mul_f32 v[46:47], v[42:43], v[38:39] op_sel:[1,1] op_sel_hi:[0,1]
	v_pk_fma_f32 v[34:35], v[36:37], v[32:33], v[44:45] op_sel_hi:[1,0,1]
	v_mov_b32_e32 v31, v51
	v_pk_fma_f32 v[32:33], v[36:37], v[32:33], v[44:45] neg_lo:[0,0,1] neg_hi:[0,0,1]
	s_delay_alu instid0(VALU_DEP_4) | instskip(NEXT) | instid1(VALU_DEP_4)
	v_pk_fma_f32 v[36:37], v[42:43], v[38:39], v[46:47] neg_lo:[0,0,1] neg_hi:[0,0,1]
	v_mov_b32_e32 v33, v35
	s_delay_alu instid0(VALU_DEP_4) | instskip(SKIP_1) | instid1(VALU_DEP_2)
	v_pk_add_f32 v[30:31], v[30:31], 0 op_sel_hi:[1,0]
	v_pk_fma_f32 v[34:35], v[42:43], v[38:39], v[46:47] op_sel_hi:[1,0,1]
	v_pk_add_f32 v[30:31], v[30:31], v[32:33]
	s_delay_alu instid0(VALU_DEP_2) | instskip(NEXT) | instid1(VALU_DEP_1)
	v_mov_b32_e32 v37, v35
	v_pk_add_f32 v[30:31], v[30:31], v[36:37]
	s_wait_loadcnt 0x0
	s_delay_alu instid0(VALU_DEP_1)
	v_pk_add_f32 v[30:31], v[40:41], v[30:31] neg_lo:[0,1] neg_hi:[0,1]
	scratch_store_b64 off, v[30:31], off offset:80
	s_wait_xcnt 0x0
	v_cmpx_lt_u32_e32 9, v0
	s_cbranch_execz .LBB13_79
; %bb.78:
	scratch_load_b64 v[30:31], off, off offset:72
	v_mov_b64_e32 v[32:33], 0
	scratch_store_b64 off, v[32:33], off offset:72
	s_wait_loadcnt 0x0
	ds_store_b64 v1, v[30:31]
.LBB13_79:
	s_wait_xcnt 0x0
	s_or_b32 exec_lo, exec_lo, s0
	s_wait_storecnt_dscnt 0x0
	s_barrier_signal -1
	s_barrier_wait -1
	s_clause 0x2
	scratch_load_b128 v[30:33], off, off offset:80
	scratch_load_b128 v[34:37], off, off offset:96
	scratch_load_b64 v[46:47], off, off offset:72
	ds_load_b128 v[38:41], v7 offset:192
	ds_load_b128 v[42:45], v7 offset:208
	s_mov_b32 s0, exec_lo
	s_wait_dscnt 0x1
	v_dual_mov_b32 v48, v41 :: v_dual_mov_b32 v49, v40
	s_wait_loadcnt_dscnt 0x200
	v_dual_mov_b32 v54, v45 :: v_dual_mov_b32 v52, v33
	v_pk_mul_f32 v[50:51], v[38:39], v[30:31] op_sel:[1,1] op_sel_hi:[0,1]
	s_delay_alu instid0(VALU_DEP_2) | instskip(NEXT) | instid1(VALU_DEP_2)
	v_pk_mul_f32 v[48:49], v[48:49], v[52:53] op_sel_hi:[1,0]
	v_pk_fma_f32 v[56:57], v[38:39], v[30:31], v[50:51] op_sel_hi:[1,0,1]
	v_pk_fma_f32 v[30:31], v[38:39], v[30:31], v[50:51] neg_lo:[0,0,1] neg_hi:[0,0,1]
	v_mov_b32_e32 v55, v44
	s_wait_loadcnt 0x1
	v_pk_mul_f32 v[52:53], v[42:43], v[34:35] op_sel:[1,1] op_sel_hi:[0,1]
	v_pk_fma_f32 v[38:39], v[40:41], v[32:33], v[48:49] op_sel_hi:[1,0,1]
	v_dual_mov_b32 v31, v57 :: v_dual_mov_b32 v38, v37
	v_pk_fma_f32 v[32:33], v[40:41], v[32:33], v[48:49] neg_lo:[0,0,1] neg_hi:[0,0,1]
	s_delay_alu instid0(VALU_DEP_4) | instskip(NEXT) | instid1(VALU_DEP_4)
	v_pk_fma_f32 v[50:51], v[42:43], v[34:35], v[52:53] op_sel_hi:[1,0,1]
	v_mov_b32_e32 v33, v39
	s_delay_alu instid0(VALU_DEP_4) | instskip(SKIP_2) | instid1(VALU_DEP_3)
	v_pk_add_f32 v[30:31], v[30:31], 0 op_sel_hi:[1,0]
	v_pk_mul_f32 v[38:39], v[54:55], v[38:39] op_sel_hi:[1,0]
	v_pk_fma_f32 v[34:35], v[42:43], v[34:35], v[52:53] neg_lo:[0,0,1] neg_hi:[0,0,1]
	v_pk_add_f32 v[30:31], v[30:31], v[32:33]
	s_delay_alu instid0(VALU_DEP_3) | instskip(SKIP_2) | instid1(VALU_DEP_3)
	v_pk_fma_f32 v[32:33], v[44:45], v[36:37], v[38:39] op_sel_hi:[1,0,1]
	v_mov_b32_e32 v35, v51
	v_pk_fma_f32 v[36:37], v[44:45], v[36:37], v[38:39] neg_lo:[0,0,1] neg_hi:[0,0,1]
	v_mov_b32_e32 v37, v33
	s_delay_alu instid0(VALU_DEP_3) | instskip(NEXT) | instid1(VALU_DEP_1)
	v_pk_add_f32 v[30:31], v[30:31], v[34:35]
	v_pk_add_f32 v[30:31], v[30:31], v[36:37]
	s_wait_loadcnt 0x0
	s_delay_alu instid0(VALU_DEP_1)
	v_pk_add_f32 v[30:31], v[46:47], v[30:31] neg_lo:[0,1] neg_hi:[0,1]
	scratch_store_b64 off, v[30:31], off offset:72
	s_wait_xcnt 0x0
	v_cmpx_lt_u32_e32 8, v0
	s_cbranch_execz .LBB13_81
; %bb.80:
	scratch_load_b64 v[30:31], off, off offset:64
	v_mov_b64_e32 v[32:33], 0
	scratch_store_b64 off, v[32:33], off offset:64
	s_wait_loadcnt 0x0
	ds_store_b64 v1, v[30:31]
.LBB13_81:
	s_wait_xcnt 0x0
	s_or_b32 exec_lo, exec_lo, s0
	s_wait_storecnt_dscnt 0x0
	s_barrier_signal -1
	s_barrier_wait -1
	s_clause 0x3
	scratch_load_b128 v[30:33], off, off offset:72
	scratch_load_b128 v[34:37], off, off offset:88
	scratch_load_b64 v[46:47], off, off offset:104
	scratch_load_b64 v[48:49], off, off offset:64
	v_mov_b32_e32 v7, 0
	ds_load_2addr_b64 v[38:41], v7 offset0:23 offset1:24
	ds_load_2addr_b64 v[42:45], v7 offset0:25 offset1:26
	s_mov_b32 s0, exec_lo
	s_wait_dscnt 0x1
	v_dual_mov_b32 v50, v41 :: v_dual_mov_b32 v51, v40
	ds_load_b64 v[56:57], v7 offset:216
	s_wait_dscnt 0x1
	v_dual_mov_b32 v58, v45 :: v_dual_mov_b32 v59, v44
	s_wait_loadcnt 0x3
	v_pk_mul_f32 v[52:53], v[38:39], v[30:31] op_sel:[1,1] op_sel_hi:[0,1]
	v_mov_b32_e32 v54, v33
	s_delay_alu instid0(VALU_DEP_2) | instskip(NEXT) | instid1(VALU_DEP_2)
	v_pk_fma_f32 v[60:61], v[38:39], v[30:31], v[52:53] op_sel_hi:[1,0,1]
	v_pk_mul_f32 v[50:51], v[50:51], v[54:55] op_sel_hi:[1,0]
	v_pk_fma_f32 v[30:31], v[38:39], v[30:31], v[52:53] neg_lo:[0,0,1] neg_hi:[0,0,1]
	s_wait_loadcnt 0x2
	v_pk_mul_f32 v[54:55], v[42:43], v[34:35] op_sel:[1,1] op_sel_hi:[0,1]
	v_dual_mov_b32 v60, v37 :: v_dual_mov_b32 v31, v61
	v_pk_fma_f32 v[38:39], v[40:41], v[32:33], v[50:51] op_sel_hi:[1,0,1]
	v_pk_fma_f32 v[32:33], v[40:41], v[32:33], v[50:51] neg_lo:[0,0,1] neg_hi:[0,0,1]
	s_delay_alu instid0(VALU_DEP_4) | instskip(NEXT) | instid1(VALU_DEP_4)
	v_pk_fma_f32 v[52:53], v[42:43], v[34:35], v[54:55] op_sel_hi:[1,0,1]
	v_pk_mul_f32 v[58:59], v[58:59], v[60:61] op_sel_hi:[1,0]
	v_pk_add_f32 v[30:31], v[30:31], 0 op_sel_hi:[1,0]
	v_mov_b32_e32 v33, v39
	v_pk_fma_f32 v[34:35], v[42:43], v[34:35], v[54:55] neg_lo:[0,0,1] neg_hi:[0,0,1]
	v_mov_b32_e32 v35, v53
	v_pk_fma_f32 v[38:39], v[44:45], v[36:37], v[58:59] op_sel_hi:[1,0,1]
	v_pk_fma_f32 v[36:37], v[44:45], v[36:37], v[58:59] neg_lo:[0,0,1] neg_hi:[0,0,1]
	v_pk_add_f32 v[30:31], v[30:31], v[32:33]
	s_wait_loadcnt_dscnt 0x100
	v_pk_mul_f32 v[32:33], v[56:57], v[46:47] op_sel:[1,1] op_sel_hi:[0,1]
	s_delay_alu instid0(VALU_DEP_2) | instskip(NEXT) | instid1(VALU_DEP_2)
	v_pk_add_f32 v[30:31], v[30:31], v[34:35]
	v_pk_fma_f32 v[34:35], v[56:57], v[46:47], v[32:33] op_sel_hi:[1,0,1]
	v_mov_b32_e32 v37, v39
	v_pk_fma_f32 v[32:33], v[56:57], v[46:47], v[32:33] neg_lo:[0,0,1] neg_hi:[0,0,1]
	s_delay_alu instid0(VALU_DEP_3) | instskip(NEXT) | instid1(VALU_DEP_3)
	v_mov_b32_e32 v33, v35
	v_pk_add_f32 v[30:31], v[30:31], v[36:37]
	s_delay_alu instid0(VALU_DEP_1) | instskip(SKIP_1) | instid1(VALU_DEP_1)
	v_pk_add_f32 v[30:31], v[30:31], v[32:33]
	s_wait_loadcnt 0x0
	v_pk_add_f32 v[30:31], v[48:49], v[30:31] neg_lo:[0,1] neg_hi:[0,1]
	scratch_store_b64 off, v[30:31], off offset:64
	s_wait_xcnt 0x0
	v_cmpx_lt_u32_e32 7, v0
	s_cbranch_execz .LBB13_83
; %bb.82:
	scratch_load_b64 v[30:31], off, off offset:56
	v_mov_b64_e32 v[32:33], 0
	scratch_store_b64 off, v[32:33], off offset:56
	s_wait_loadcnt 0x0
	ds_store_b64 v1, v[30:31]
.LBB13_83:
	s_wait_xcnt 0x0
	s_or_b32 exec_lo, exec_lo, s0
	s_wait_storecnt_dscnt 0x0
	s_barrier_signal -1
	s_barrier_wait -1
	s_clause 0x3
	scratch_load_b128 v[30:33], off, off offset:64
	scratch_load_b128 v[34:37], off, off offset:80
	;; [unrolled: 1-line block ×3, first 2 shown]
	scratch_load_b64 v[54:55], off, off offset:56
	ds_load_b128 v[42:45], v7 offset:176
	ds_load_b128 v[46:49], v7 offset:192
	;; [unrolled: 1-line block ×3, first 2 shown]
	s_mov_b32 s0, exec_lo
	s_wait_dscnt 0x2
	v_dual_mov_b32 v56, v45 :: v_dual_mov_b32 v57, v44
	s_wait_dscnt 0x1
	v_dual_mov_b32 v58, v49 :: v_dual_mov_b32 v59, v48
	;; [unrolled: 2-line block ×3, first 2 shown]
	s_wait_loadcnt 0x3
	v_pk_mul_f32 v[60:61], v[42:43], v[30:31] op_sel:[1,1] op_sel_hi:[0,1]
	v_mov_b32_e32 v62, v33
	s_delay_alu instid0(VALU_DEP_2) | instskip(NEXT) | instid1(VALU_DEP_2)
	v_pk_fma_f32 v[66:67], v[42:43], v[30:31], v[60:61] op_sel_hi:[1,0,1]
	v_pk_mul_f32 v[56:57], v[56:57], v[62:63] op_sel_hi:[1,0]
	v_pk_fma_f32 v[30:31], v[42:43], v[30:31], v[60:61] neg_lo:[0,0,1] neg_hi:[0,0,1]
	s_wait_loadcnt 0x2
	v_pk_mul_f32 v[62:63], v[46:47], v[34:35] op_sel:[1,1] op_sel_hi:[0,1]
	v_mov_b32_e32 v66, v37
	v_pk_fma_f32 v[42:43], v[44:45], v[32:33], v[56:57] op_sel_hi:[1,0,1]
	v_mov_b32_e32 v31, v67
	v_pk_fma_f32 v[32:33], v[44:45], v[32:33], v[56:57] neg_lo:[0,0,1] neg_hi:[0,0,1]
	v_pk_fma_f32 v[60:61], v[46:47], v[34:35], v[62:63] op_sel_hi:[1,0,1]
	v_pk_mul_f32 v[58:59], v[58:59], v[66:67] op_sel_hi:[1,0]
	v_mov_b32_e32 v33, v43
	v_pk_add_f32 v[30:31], v[30:31], 0 op_sel_hi:[1,0]
	v_pk_fma_f32 v[34:35], v[46:47], v[34:35], v[62:63] neg_lo:[0,0,1] neg_hi:[0,0,1]
	s_wait_loadcnt 0x1
	v_pk_mul_f32 v[42:43], v[50:51], v[38:39] op_sel:[1,1] op_sel_hi:[0,1]
	v_mov_b32_e32 v35, v61
	v_pk_fma_f32 v[44:45], v[48:49], v[36:37], v[58:59] op_sel_hi:[1,0,1]
	v_pk_add_f32 v[30:31], v[30:31], v[32:33]
	v_mov_b32_e32 v32, v41
	v_pk_fma_f32 v[36:37], v[48:49], v[36:37], v[58:59] neg_lo:[0,0,1] neg_hi:[0,0,1]
	v_pk_fma_f32 v[46:47], v[50:51], v[38:39], v[42:43] op_sel_hi:[1,0,1]
	v_mov_b32_e32 v37, v45
	v_pk_add_f32 v[30:31], v[30:31], v[34:35]
	v_pk_mul_f32 v[32:33], v[64:65], v[32:33] op_sel_hi:[1,0]
	v_pk_fma_f32 v[34:35], v[50:51], v[38:39], v[42:43] neg_lo:[0,0,1] neg_hi:[0,0,1]
	v_mov_b32_e32 v35, v47
	s_delay_alu instid0(VALU_DEP_4) | instskip(NEXT) | instid1(VALU_DEP_4)
	v_pk_add_f32 v[30:31], v[30:31], v[36:37]
	v_pk_fma_f32 v[36:37], v[52:53], v[40:41], v[32:33] op_sel_hi:[1,0,1]
	v_pk_fma_f32 v[32:33], v[52:53], v[40:41], v[32:33] neg_lo:[0,0,1] neg_hi:[0,0,1]
	s_delay_alu instid0(VALU_DEP_3) | instskip(NEXT) | instid1(VALU_DEP_3)
	v_pk_add_f32 v[30:31], v[30:31], v[34:35]
	v_mov_b32_e32 v33, v37
	s_delay_alu instid0(VALU_DEP_1) | instskip(SKIP_1) | instid1(VALU_DEP_1)
	v_pk_add_f32 v[30:31], v[30:31], v[32:33]
	s_wait_loadcnt 0x0
	v_pk_add_f32 v[30:31], v[54:55], v[30:31] neg_lo:[0,1] neg_hi:[0,1]
	scratch_store_b64 off, v[30:31], off offset:56
	s_wait_xcnt 0x0
	v_cmpx_lt_u32_e32 6, v0
	s_cbranch_execz .LBB13_85
; %bb.84:
	scratch_load_b64 v[30:31], off, off offset:48
	v_mov_b64_e32 v[32:33], 0
	scratch_store_b64 off, v[32:33], off offset:48
	s_wait_loadcnt 0x0
	ds_store_b64 v1, v[30:31]
.LBB13_85:
	s_wait_xcnt 0x0
	s_or_b32 exec_lo, exec_lo, s0
	s_wait_storecnt_dscnt 0x0
	s_barrier_signal -1
	s_barrier_wait -1
	s_clause 0x4
	scratch_load_b128 v[30:33], off, off offset:56
	scratch_load_b128 v[34:37], off, off offset:72
	;; [unrolled: 1-line block ×3, first 2 shown]
	scratch_load_b64 v[54:55], off, off offset:104
	scratch_load_b64 v[56:57], off, off offset:48
	v_mov_b32_e32 v7, 0
	ds_load_2addr_b64 v[42:45], v7 offset0:21 offset1:22
	ds_load_2addr_b64 v[46:49], v7 offset0:23 offset1:24
	;; [unrolled: 1-line block ×3, first 2 shown]
	ds_load_b64 v[58:59], v7 offset:216
	s_mov_b32 s0, exec_lo
	s_wait_dscnt 0x3
	v_dual_mov_b32 v60, v45 :: v_dual_mov_b32 v61, v44
	s_wait_dscnt 0x2
	v_dual_mov_b32 v62, v49 :: v_dual_mov_b32 v63, v48
	;; [unrolled: 2-line block ×3, first 2 shown]
	s_wait_loadcnt 0x4
	v_pk_mul_f32 v[64:65], v[42:43], v[30:31] op_sel:[1,1] op_sel_hi:[0,1]
	v_mov_b32_e32 v66, v33
	s_wait_loadcnt 0x3
	v_pk_mul_f32 v[70:71], v[46:47], v[34:35] op_sel:[1,1] op_sel_hi:[0,1]
	s_wait_loadcnt 0x2
	v_pk_mul_f32 v[74:75], v[50:51], v[38:39] op_sel:[1,1] op_sel_hi:[0,1]
	v_pk_fma_f32 v[72:73], v[42:43], v[30:31], v[64:65] op_sel_hi:[1,0,1]
	v_pk_mul_f32 v[60:61], v[60:61], v[66:67] op_sel_hi:[1,0]
	v_pk_fma_f32 v[30:31], v[42:43], v[30:31], v[64:65] neg_lo:[0,0,1] neg_hi:[0,0,1]
	v_mov_b32_e32 v66, v37
	v_pk_fma_f32 v[64:65], v[46:47], v[34:35], v[70:71] op_sel_hi:[1,0,1]
	v_mov_b32_e32 v31, v73
	v_pk_fma_f32 v[42:43], v[44:45], v[32:33], v[60:61] op_sel_hi:[1,0,1]
	v_pk_fma_f32 v[32:33], v[44:45], v[32:33], v[60:61] neg_lo:[0,0,1] neg_hi:[0,0,1]
	v_pk_mul_f32 v[62:63], v[62:63], v[66:67] op_sel_hi:[1,0]
	v_pk_fma_f32 v[34:35], v[46:47], v[34:35], v[70:71] neg_lo:[0,0,1] neg_hi:[0,0,1]
	v_pk_add_f32 v[30:31], v[30:31], 0 op_sel_hi:[1,0]
	v_dual_mov_b32 v33, v43 :: v_dual_mov_b32 v42, v41
	s_delay_alu instid0(VALU_DEP_4) | instskip(SKIP_2) | instid1(VALU_DEP_4)
	v_pk_fma_f32 v[44:45], v[48:49], v[36:37], v[62:63] op_sel_hi:[1,0,1]
	v_mov_b32_e32 v35, v65
	v_pk_fma_f32 v[36:37], v[48:49], v[36:37], v[62:63] neg_lo:[0,0,1] neg_hi:[0,0,1]
	v_pk_add_f32 v[30:31], v[30:31], v[32:33]
	v_pk_fma_f32 v[32:33], v[50:51], v[38:39], v[74:75] op_sel_hi:[1,0,1]
	v_pk_mul_f32 v[42:43], v[68:69], v[42:43] op_sel_hi:[1,0]
	v_mov_b32_e32 v37, v45
	s_delay_alu instid0(VALU_DEP_4)
	v_pk_add_f32 v[30:31], v[30:31], v[34:35]
	v_pk_fma_f32 v[34:35], v[50:51], v[38:39], v[74:75] neg_lo:[0,0,1] neg_hi:[0,0,1]
	v_mov_b32_e32 v35, v33
	v_pk_fma_f32 v[32:33], v[52:53], v[40:41], v[42:43] op_sel_hi:[1,0,1]
	v_pk_fma_f32 v[38:39], v[52:53], v[40:41], v[42:43] neg_lo:[0,0,1] neg_hi:[0,0,1]
	v_pk_add_f32 v[30:31], v[30:31], v[36:37]
	s_wait_loadcnt_dscnt 0x100
	v_pk_mul_f32 v[36:37], v[58:59], v[54:55] op_sel:[1,1] op_sel_hi:[0,1]
	v_mov_b32_e32 v39, v33
	s_delay_alu instid0(VALU_DEP_3) | instskip(NEXT) | instid1(VALU_DEP_3)
	v_pk_add_f32 v[30:31], v[30:31], v[34:35]
	v_pk_fma_f32 v[32:33], v[58:59], v[54:55], v[36:37] op_sel_hi:[1,0,1]
	v_pk_fma_f32 v[34:35], v[58:59], v[54:55], v[36:37] neg_lo:[0,0,1] neg_hi:[0,0,1]
	s_delay_alu instid0(VALU_DEP_3) | instskip(NEXT) | instid1(VALU_DEP_3)
	v_pk_add_f32 v[30:31], v[30:31], v[38:39]
	v_mov_b32_e32 v35, v33
	s_delay_alu instid0(VALU_DEP_1) | instskip(SKIP_1) | instid1(VALU_DEP_1)
	v_pk_add_f32 v[30:31], v[30:31], v[34:35]
	s_wait_loadcnt 0x0
	v_pk_add_f32 v[30:31], v[56:57], v[30:31] neg_lo:[0,1] neg_hi:[0,1]
	scratch_store_b64 off, v[30:31], off offset:48
	s_wait_xcnt 0x0
	v_cmpx_lt_u32_e32 5, v0
	s_cbranch_execz .LBB13_87
; %bb.86:
	scratch_load_b64 v[30:31], off, off offset:40
	v_mov_b64_e32 v[32:33], 0
	scratch_store_b64 off, v[32:33], off offset:40
	s_wait_loadcnt 0x0
	ds_store_b64 v1, v[30:31]
.LBB13_87:
	s_wait_xcnt 0x0
	s_or_b32 exec_lo, exec_lo, s0
	s_wait_storecnt_dscnt 0x0
	s_barrier_signal -1
	s_barrier_wait -1
	s_clause 0x4
	scratch_load_b128 v[30:33], off, off offset:48
	scratch_load_b128 v[34:37], off, off offset:64
	;; [unrolled: 1-line block ×4, first 2 shown]
	scratch_load_b64 v[62:63], off, off offset:40
	ds_load_b128 v[46:49], v7 offset:160
	ds_load_b128 v[50:53], v7 offset:176
	;; [unrolled: 1-line block ×4, first 2 shown]
	s_mov_b32 s0, exec_lo
	s_wait_dscnt 0x3
	v_dual_mov_b32 v64, v49 :: v_dual_mov_b32 v65, v48
	s_wait_dscnt 0x2
	v_dual_mov_b32 v66, v53 :: v_dual_mov_b32 v67, v52
	;; [unrolled: 2-line block ×3, first 2 shown]
	v_dual_mov_b32 v69, v56 :: v_dual_mov_b32 v74, v61
	s_wait_loadcnt 0x4
	v_mov_b32_e32 v72, v33
	v_pk_mul_f32 v[70:71], v[46:47], v[30:31] op_sel:[1,1] op_sel_hi:[0,1]
	s_wait_loadcnt 0x3
	v_pk_mul_f32 v[76:77], v[50:51], v[34:35] op_sel:[1,1] op_sel_hi:[0,1]
	s_wait_loadcnt 0x2
	v_pk_mul_f32 v[80:81], v[54:55], v[38:39] op_sel:[1,1] op_sel_hi:[0,1]
	v_pk_mul_f32 v[64:65], v[64:65], v[72:73] op_sel_hi:[1,0]
	v_pk_fma_f32 v[78:79], v[46:47], v[30:31], v[70:71] op_sel_hi:[1,0,1]
	v_pk_fma_f32 v[30:31], v[46:47], v[30:31], v[70:71] neg_lo:[0,0,1] neg_hi:[0,0,1]
	v_mov_b32_e32 v72, v37
	v_pk_fma_f32 v[70:71], v[50:51], v[34:35], v[76:77] op_sel_hi:[1,0,1]
	v_pk_fma_f32 v[46:47], v[48:49], v[32:33], v[64:65] op_sel_hi:[1,0,1]
	v_mov_b32_e32 v31, v79
	v_pk_fma_f32 v[32:33], v[48:49], v[32:33], v[64:65] neg_lo:[0,0,1] neg_hi:[0,0,1]
	v_pk_mul_f32 v[66:67], v[66:67], v[72:73] op_sel_hi:[1,0]
	s_delay_alu instid0(VALU_DEP_4) | instskip(NEXT) | instid1(VALU_DEP_4)
	v_dual_mov_b32 v46, v41 :: v_dual_mov_b32 v33, v47
	v_pk_add_f32 v[30:31], v[30:31], 0 op_sel_hi:[1,0]
	v_pk_fma_f32 v[34:35], v[50:51], v[34:35], v[76:77] neg_lo:[0,0,1] neg_hi:[0,0,1]
	v_mov_b32_e32 v35, v71
	v_pk_fma_f32 v[48:49], v[52:53], v[36:37], v[66:67] op_sel_hi:[1,0,1]
	v_pk_mul_f32 v[46:47], v[68:69], v[46:47] op_sel_hi:[1,0]
	v_pk_add_f32 v[30:31], v[30:31], v[32:33]
	v_pk_fma_f32 v[32:33], v[54:55], v[38:39], v[80:81] op_sel_hi:[1,0,1]
	v_pk_fma_f32 v[36:37], v[52:53], v[36:37], v[66:67] neg_lo:[0,0,1] neg_hi:[0,0,1]
	v_mov_b32_e32 v37, v49
	v_pk_fma_f32 v[38:39], v[54:55], v[38:39], v[80:81] neg_lo:[0,0,1] neg_hi:[0,0,1]
	v_pk_add_f32 v[30:31], v[30:31], v[34:35]
	v_mov_b32_e32 v39, v33
	v_pk_fma_f32 v[32:33], v[56:57], v[40:41], v[46:47] op_sel_hi:[1,0,1]
	s_wait_loadcnt 0x1
	v_pk_mul_f32 v[34:35], v[58:59], v[42:43] op_sel:[1,1] op_sel_hi:[0,1]
	v_mov_b32_e32 v32, v45
	v_pk_add_f32 v[30:31], v[30:31], v[36:37]
	v_pk_fma_f32 v[40:41], v[56:57], v[40:41], v[46:47] neg_lo:[0,0,1] neg_hi:[0,0,1]
	v_mov_b32_e32 v41, v33
	v_pk_fma_f32 v[36:37], v[58:59], v[42:43], v[34:35] op_sel_hi:[1,0,1]
	v_pk_mul_f32 v[32:33], v[74:75], v[32:33] op_sel_hi:[1,0]
	v_pk_add_f32 v[30:31], v[30:31], v[38:39]
	v_pk_fma_f32 v[34:35], v[58:59], v[42:43], v[34:35] neg_lo:[0,0,1] neg_hi:[0,0,1]
	s_delay_alu instid0(VALU_DEP_4) | instskip(NEXT) | instid1(VALU_DEP_4)
	v_mov_b32_e32 v35, v37
	v_pk_fma_f32 v[36:37], v[60:61], v[44:45], v[32:33] op_sel_hi:[1,0,1]
	s_delay_alu instid0(VALU_DEP_4) | instskip(SKIP_1) | instid1(VALU_DEP_3)
	v_pk_add_f32 v[30:31], v[30:31], v[40:41]
	v_pk_fma_f32 v[32:33], v[60:61], v[44:45], v[32:33] neg_lo:[0,0,1] neg_hi:[0,0,1]
	v_mov_b32_e32 v33, v37
	s_delay_alu instid0(VALU_DEP_3) | instskip(NEXT) | instid1(VALU_DEP_1)
	v_pk_add_f32 v[30:31], v[30:31], v[34:35]
	v_pk_add_f32 v[30:31], v[30:31], v[32:33]
	s_wait_loadcnt 0x0
	s_delay_alu instid0(VALU_DEP_1)
	v_pk_add_f32 v[30:31], v[62:63], v[30:31] neg_lo:[0,1] neg_hi:[0,1]
	scratch_store_b64 off, v[30:31], off offset:40
	s_wait_xcnt 0x0
	v_cmpx_lt_u32_e32 4, v0
	s_cbranch_execz .LBB13_89
; %bb.88:
	scratch_load_b64 v[30:31], off, off offset:32
	v_mov_b64_e32 v[32:33], 0
	scratch_store_b64 off, v[32:33], off offset:32
	s_wait_loadcnt 0x0
	ds_store_b64 v1, v[30:31]
.LBB13_89:
	s_wait_xcnt 0x0
	s_or_b32 exec_lo, exec_lo, s0
	s_wait_storecnt_dscnt 0x0
	s_barrier_signal -1
	s_barrier_wait -1
	s_clause 0x5
	scratch_load_b128 v[30:33], off, off offset:40
	scratch_load_b128 v[34:37], off, off offset:56
	;; [unrolled: 1-line block ×4, first 2 shown]
	scratch_load_b64 v[62:63], off, off offset:104
	scratch_load_b64 v[64:65], off, off offset:32
	v_mov_b32_e32 v7, 0
	ds_load_2addr_b64 v[46:49], v7 offset0:19 offset1:20
	ds_load_2addr_b64 v[50:53], v7 offset0:21 offset1:22
	;; [unrolled: 1-line block ×4, first 2 shown]
	ds_load_b64 v[66:67], v7 offset:216
	s_mov_b32 s0, exec_lo
	s_wait_dscnt 0x4
	v_dual_mov_b32 v68, v49 :: v_dual_mov_b32 v69, v48
	s_wait_dscnt 0x1
	v_dual_mov_b32 v70, v53 :: v_dual_mov_b32 v75, v60
	v_dual_mov_b32 v71, v52 :: v_dual_mov_b32 v72, v57
	;; [unrolled: 1-line block ×3, first 2 shown]
	s_wait_loadcnt 0x5
	v_dual_mov_b32 v76, v33 :: v_dual_mul_f32 v77, v46, v31
	v_mul_f32_e32 v9, v47, v31
	s_wait_loadcnt 0x4
	v_pk_mul_f32 v[78:79], v[50:51], v[34:35] op_sel:[1,1] op_sel_hi:[0,1]
	v_mov_b32_e32 v80, v37
	s_wait_loadcnt 0x3
	v_pk_mul_f32 v[82:83], v[54:55], v[38:39] op_sel:[1,1] op_sel_hi:[0,1]
	v_pk_mul_f32 v[68:69], v[68:69], v[76:77] op_sel_hi:[1,0]
	v_fmac_f32_e32 v77, v47, v30
	v_dual_fma_f32 v76, v46, v30, -v9 :: v_dual_mov_b32 v30, v41
	v_pk_fma_f32 v[84:85], v[50:51], v[34:35], v[78:79] op_sel_hi:[1,0,1]
	s_delay_alu instid0(VALU_DEP_4)
	v_pk_fma_f32 v[46:47], v[48:49], v[32:33], v[68:69] op_sel_hi:[1,0,1]
	v_pk_fma_f32 v[32:33], v[48:49], v[32:33], v[68:69] neg_lo:[0,0,1] neg_hi:[0,0,1]
	v_pk_mul_f32 v[70:71], v[70:71], v[80:81] op_sel_hi:[1,0]
	v_pk_add_f32 v[76:77], v[76:77], 0 op_sel_hi:[1,0]
	v_pk_fma_f32 v[34:35], v[50:51], v[34:35], v[78:79] neg_lo:[0,0,1] neg_hi:[0,0,1]
	v_dual_mov_b32 v33, v47 :: v_dual_mov_b32 v35, v85
	s_delay_alu instid0(VALU_DEP_4) | instskip(SKIP_2) | instid1(VALU_DEP_4)
	v_pk_fma_f32 v[48:49], v[52:53], v[36:37], v[70:71] op_sel_hi:[1,0,1]
	v_pk_fma_f32 v[36:37], v[52:53], v[36:37], v[70:71] neg_lo:[0,0,1] neg_hi:[0,0,1]
	v_pk_fma_f32 v[50:51], v[54:55], v[38:39], v[82:83] op_sel_hi:[1,0,1]
	v_pk_add_f32 v[32:33], v[76:77], v[32:33]
	v_pk_mul_f32 v[30:31], v[72:73], v[30:31] op_sel_hi:[1,0]
	v_mov_b32_e32 v37, v49
	v_pk_fma_f32 v[38:39], v[54:55], v[38:39], v[82:83] neg_lo:[0,0,1] neg_hi:[0,0,1]
	s_wait_loadcnt 0x2
	v_pk_mul_f32 v[46:47], v[58:59], v[42:43] op_sel:[1,1] op_sel_hi:[0,1]
	v_pk_add_f32 v[32:33], v[32:33], v[34:35]
	v_mov_b32_e32 v34, v45
	v_pk_fma_f32 v[48:49], v[56:57], v[40:41], v[30:31] op_sel_hi:[1,0,1]
	v_mov_b32_e32 v39, v51
	v_pk_fma_f32 v[30:31], v[56:57], v[40:41], v[30:31] neg_lo:[0,0,1] neg_hi:[0,0,1]
	v_pk_add_f32 v[32:33], v[32:33], v[36:37]
	v_pk_fma_f32 v[36:37], v[58:59], v[42:43], v[46:47] op_sel_hi:[1,0,1]
	v_pk_mul_f32 v[34:35], v[74:75], v[34:35] op_sel_hi:[1,0]
	v_mov_b32_e32 v31, v49
	s_delay_alu instid0(VALU_DEP_4)
	v_pk_add_f32 v[32:33], v[32:33], v[38:39]
	v_pk_fma_f32 v[38:39], v[58:59], v[42:43], v[46:47] neg_lo:[0,0,1] neg_hi:[0,0,1]
	v_mov_b32_e32 v39, v37
	v_pk_fma_f32 v[36:37], v[60:61], v[44:45], v[34:35] op_sel_hi:[1,0,1]
	v_pk_fma_f32 v[34:35], v[60:61], v[44:45], v[34:35] neg_lo:[0,0,1] neg_hi:[0,0,1]
	v_pk_add_f32 v[30:31], v[32:33], v[30:31]
	s_wait_loadcnt_dscnt 0x100
	v_pk_mul_f32 v[32:33], v[66:67], v[62:63] op_sel:[1,1] op_sel_hi:[0,1]
	v_mov_b32_e32 v35, v37
	s_delay_alu instid0(VALU_DEP_3) | instskip(NEXT) | instid1(VALU_DEP_3)
	v_pk_add_f32 v[30:31], v[30:31], v[38:39]
	v_pk_fma_f32 v[36:37], v[66:67], v[62:63], v[32:33] op_sel_hi:[1,0,1]
	v_pk_fma_f32 v[32:33], v[66:67], v[62:63], v[32:33] neg_lo:[0,0,1] neg_hi:[0,0,1]
	s_delay_alu instid0(VALU_DEP_3) | instskip(NEXT) | instid1(VALU_DEP_3)
	v_pk_add_f32 v[30:31], v[30:31], v[34:35]
	v_mov_b32_e32 v33, v37
	s_delay_alu instid0(VALU_DEP_1) | instskip(SKIP_1) | instid1(VALU_DEP_1)
	v_pk_add_f32 v[30:31], v[30:31], v[32:33]
	s_wait_loadcnt 0x0
	v_pk_add_f32 v[30:31], v[64:65], v[30:31] neg_lo:[0,1] neg_hi:[0,1]
	scratch_store_b64 off, v[30:31], off offset:32
	s_wait_xcnt 0x0
	v_cmpx_lt_u32_e32 3, v0
	s_cbranch_execz .LBB13_91
; %bb.90:
	scratch_load_b64 v[30:31], off, off offset:24
	v_mov_b64_e32 v[32:33], 0
	scratch_store_b64 off, v[32:33], off offset:24
	s_wait_loadcnt 0x0
	ds_store_b64 v1, v[30:31]
.LBB13_91:
	s_wait_xcnt 0x0
	s_or_b32 exec_lo, exec_lo, s0
	s_wait_storecnt_dscnt 0x0
	s_barrier_signal -1
	s_barrier_wait -1
	s_clause 0x5
	scratch_load_b128 v[30:33], off, off offset:32
	scratch_load_b128 v[34:37], off, off offset:48
	scratch_load_b128 v[38:41], off, off offset:64
	scratch_load_b128 v[42:45], off, off offset:80
	scratch_load_b128 v[46:49], off, off offset:96
	scratch_load_b64 v[70:71], off, off offset:24
	ds_load_b128 v[50:53], v7 offset:160
	ds_load_b128 v[54:57], v7 offset:176
	;; [unrolled: 1-line block ×5, first 2 shown]
	s_mov_b32 s0, exec_lo
	s_wait_dscnt 0x4
	v_dual_mov_b32 v72, v53 :: v_dual_mov_b32 v73, v52
	s_wait_dscnt 0x3
	v_dual_mov_b32 v74, v57 :: v_dual_mov_b32 v75, v56
	;; [unrolled: 2-line block ×4, first 2 shown]
	s_wait_loadcnt_dscnt 0x500
	v_dual_mul_f32 v81, v66, v31 :: v_dual_mul_f32 v83, v68, v33
	v_dual_mul_f32 v7, v67, v31 :: v_dual_mul_f32 v9, v69, v33
	s_wait_loadcnt 0x4
	v_pk_mul_f32 v[84:85], v[50:51], v[34:35] op_sel:[1,1] op_sel_hi:[0,1]
	s_wait_loadcnt 0x3
	v_dual_mov_b32 v86, v37 :: v_dual_mov_b32 v90, v41
	v_dual_fmac_f32 v81, v67, v30 :: v_dual_fma_f32 v80, v66, v30, -v7
	v_dual_fmac_f32 v83, v69, v32 :: v_dual_fma_f32 v82, v68, v32, -v9
	v_pk_fma_f32 v[30:31], v[50:51], v[34:35], v[84:85] op_sel_hi:[1,0,1]
	s_delay_alu instid0(VALU_DEP_4) | instskip(NEXT) | instid1(VALU_DEP_4)
	v_pk_mul_f32 v[32:33], v[72:73], v[86:87] op_sel_hi:[1,0]
	v_pk_add_f32 v[66:67], v[80:81], 0 op_sel_hi:[1,0]
	v_pk_fma_f32 v[34:35], v[50:51], v[34:35], v[84:85] neg_lo:[0,0,1] neg_hi:[0,0,1]
	v_pk_mul_f32 v[88:89], v[54:55], v[38:39] op_sel:[1,1] op_sel_hi:[0,1]
	v_mov_b32_e32 v35, v31
	v_pk_fma_f32 v[30:31], v[52:53], v[36:37], v[32:33] op_sel_hi:[1,0,1]
	v_pk_add_f32 v[50:51], v[66:67], v[82:83]
	v_pk_fma_f32 v[32:33], v[52:53], v[36:37], v[32:33] neg_lo:[0,0,1] neg_hi:[0,0,1]
	v_pk_fma_f32 v[66:67], v[54:55], v[38:39], v[88:89] op_sel_hi:[1,0,1]
	v_pk_mul_f32 v[72:73], v[74:75], v[90:91] op_sel_hi:[1,0]
	v_mov_b32_e32 v33, v31
	v_pk_add_f32 v[30:31], v[50:51], v[34:35]
	s_wait_loadcnt 0x2
	v_pk_mul_f32 v[68:69], v[58:59], v[42:43] op_sel:[1,1] op_sel_hi:[0,1]
	v_mov_b32_e32 v34, v45
	v_pk_fma_f32 v[36:37], v[54:55], v[38:39], v[88:89] neg_lo:[0,0,1] neg_hi:[0,0,1]
	v_mov_b32_e32 v37, v67
	v_pk_fma_f32 v[38:39], v[56:57], v[40:41], v[72:73] op_sel_hi:[1,0,1]
	v_pk_add_f32 v[30:31], v[30:31], v[32:33]
	v_pk_fma_f32 v[32:33], v[58:59], v[42:43], v[68:69] op_sel_hi:[1,0,1]
	v_pk_mul_f32 v[34:35], v[76:77], v[34:35] op_sel_hi:[1,0]
	v_pk_fma_f32 v[40:41], v[56:57], v[40:41], v[72:73] neg_lo:[0,0,1] neg_hi:[0,0,1]
	v_mov_b32_e32 v41, v39
	v_pk_add_f32 v[30:31], v[30:31], v[36:37]
	v_pk_fma_f32 v[38:39], v[58:59], v[42:43], v[68:69] neg_lo:[0,0,1] neg_hi:[0,0,1]
	v_mov_b32_e32 v39, v33
	v_pk_fma_f32 v[32:33], v[60:61], v[44:45], v[34:35] op_sel_hi:[1,0,1]
	s_wait_loadcnt 0x1
	v_pk_mul_f32 v[36:37], v[62:63], v[46:47] op_sel:[1,1] op_sel_hi:[0,1]
	v_pk_add_f32 v[30:31], v[30:31], v[40:41]
	v_mov_b32_e32 v32, v49
	v_pk_fma_f32 v[34:35], v[60:61], v[44:45], v[34:35] neg_lo:[0,0,1] neg_hi:[0,0,1]
	v_mov_b32_e32 v35, v33
	v_pk_fma_f32 v[40:41], v[62:63], v[46:47], v[36:37] op_sel_hi:[1,0,1]
	v_pk_add_f32 v[30:31], v[30:31], v[38:39]
	v_pk_mul_f32 v[32:33], v[78:79], v[32:33] op_sel_hi:[1,0]
	v_pk_fma_f32 v[36:37], v[62:63], v[46:47], v[36:37] neg_lo:[0,0,1] neg_hi:[0,0,1]
	s_delay_alu instid0(VALU_DEP_3) | instskip(NEXT) | instid1(VALU_DEP_3)
	v_pk_add_f32 v[30:31], v[30:31], v[34:35]
	v_pk_fma_f32 v[34:35], v[64:65], v[48:49], v[32:33] op_sel_hi:[1,0,1]
	v_mov_b32_e32 v37, v41
	v_pk_fma_f32 v[32:33], v[64:65], v[48:49], v[32:33] neg_lo:[0,0,1] neg_hi:[0,0,1]
	s_delay_alu instid0(VALU_DEP_3) | instskip(NEXT) | instid1(VALU_DEP_3)
	v_mov_b32_e32 v33, v35
	v_pk_add_f32 v[30:31], v[30:31], v[36:37]
	s_delay_alu instid0(VALU_DEP_1) | instskip(SKIP_1) | instid1(VALU_DEP_1)
	v_pk_add_f32 v[30:31], v[30:31], v[32:33]
	s_wait_loadcnt 0x0
	v_pk_add_f32 v[30:31], v[70:71], v[30:31] neg_lo:[0,1] neg_hi:[0,1]
	scratch_store_b64 off, v[30:31], off offset:24
	s_wait_xcnt 0x0
	v_cmpx_lt_u32_e32 2, v0
	s_cbranch_execz .LBB13_93
; %bb.92:
	scratch_load_b64 v[30:31], off, off offset:16
	v_mov_b64_e32 v[32:33], 0
	scratch_store_b64 off, v[32:33], off offset:16
	s_wait_loadcnt 0x0
	ds_store_b64 v1, v[30:31]
.LBB13_93:
	s_wait_xcnt 0x0
	s_or_b32 exec_lo, exec_lo, s0
	s_wait_storecnt_dscnt 0x0
	s_barrier_signal -1
	s_barrier_wait -1
	s_clause 0x6
	scratch_load_b128 v[30:33], off, off offset:24
	scratch_load_b128 v[34:37], off, off offset:40
	;; [unrolled: 1-line block ×5, first 2 shown]
	scratch_load_b64 v[70:71], off, off offset:104
	scratch_load_b64 v[72:73], off, off offset:16
	v_mov_b32_e32 v7, 0
	ds_load_2addr_b64 v[50:53], v7 offset0:19 offset1:20
	ds_load_2addr_b64 v[54:57], v7 offset0:21 offset1:22
	;; [unrolled: 1-line block ×5, first 2 shown]
	ds_load_b64 v[74:75], v7 offset:216
	s_mov_b32 s0, exec_lo
	s_wait_dscnt 0x5
	v_dual_mov_b32 v76, v53 :: v_dual_mov_b32 v77, v52
	s_wait_dscnt 0x2
	v_dual_mov_b32 v78, v57 :: v_dual_mov_b32 v83, v64
	v_dual_mov_b32 v79, v56 :: v_dual_mov_b32 v80, v61
	;; [unrolled: 1-line block ×3, first 2 shown]
	s_wait_loadcnt_dscnt 0x601
	v_dual_mul_f32 v9, v66, v31 :: v_dual_mul_f32 v11, v67, v31
	v_dual_mul_f32 v13, v69, v33 :: v_dual_mul_f32 v85, v68, v33
	s_wait_loadcnt 0x5
	v_dual_mul_f32 v87, v50, v35 :: v_dual_mul_f32 v15, v51, v35
	s_wait_loadcnt 0x4
	v_dual_mov_b32 v86, v37 :: v_dual_mov_b32 v90, v41
	v_dual_fmac_f32 v9, v67, v30 :: v_dual_fma_f32 v11, v66, v30, -v11
	v_fmac_f32_e32 v85, v69, v32
	v_pk_mul_f32 v[88:89], v[54:55], v[38:39] op_sel:[1,1] op_sel_hi:[0,1]
	s_delay_alu instid0(VALU_DEP_3)
	v_dual_fma_f32 v84, v68, v32, -v13 :: v_dual_add_f32 v33, 0, v9
	v_pk_mul_f32 v[30:31], v[76:77], v[86:87] op_sel_hi:[1,0]
	s_wait_loadcnt 0x3
	v_dual_add_f32 v32, 0, v11 :: v_dual_mov_b32 v66, v45
	v_fmac_f32_e32 v87, v51, v34
	v_fma_f32 v86, v50, v34, -v15
	v_pk_fma_f32 v[34:35], v[52:53], v[36:37], v[30:31] op_sel_hi:[1,0,1]
	s_delay_alu instid0(VALU_DEP_4) | instskip(SKIP_4) | instid1(VALU_DEP_4)
	v_pk_add_f32 v[32:33], v[32:33], v[84:85]
	v_pk_fma_f32 v[50:51], v[54:55], v[38:39], v[88:89] op_sel_hi:[1,0,1]
	v_pk_fma_f32 v[30:31], v[52:53], v[36:37], v[30:31] neg_lo:[0,0,1] neg_hi:[0,0,1]
	v_pk_fma_f32 v[36:37], v[54:55], v[38:39], v[88:89] neg_lo:[0,0,1] neg_hi:[0,0,1]
	v_pk_mul_f32 v[68:69], v[78:79], v[90:91] op_sel_hi:[1,0]
	v_dual_mov_b32 v31, v35 :: v_dual_mov_b32 v37, v51
	v_pk_add_f32 v[32:33], v[32:33], v[86:87]
	v_pk_mul_f32 v[92:93], v[58:59], v[42:43] op_sel:[1,1] op_sel_hi:[0,1]
	s_delay_alu instid0(VALU_DEP_4)
	v_pk_fma_f32 v[38:39], v[56:57], v[40:41], v[68:69] op_sel_hi:[1,0,1]
	v_pk_fma_f32 v[40:41], v[56:57], v[40:41], v[68:69] neg_lo:[0,0,1] neg_hi:[0,0,1]
	v_pk_mul_f32 v[50:51], v[80:81], v[66:67] op_sel_hi:[1,0]
	v_pk_add_f32 v[30:31], v[32:33], v[30:31]
	v_pk_fma_f32 v[32:33], v[58:59], v[42:43], v[92:93] op_sel_hi:[1,0,1]
	s_wait_loadcnt 0x2
	v_dual_mov_b32 v41, v39 :: v_dual_mov_b32 v32, v49
	v_pk_mul_f32 v[34:35], v[62:63], v[46:47] op_sel:[1,1] op_sel_hi:[0,1]
	v_pk_add_f32 v[30:31], v[30:31], v[36:37]
	v_pk_fma_f32 v[36:37], v[58:59], v[42:43], v[92:93] neg_lo:[0,0,1] neg_hi:[0,0,1]
	v_pk_fma_f32 v[38:39], v[60:61], v[44:45], v[50:51] op_sel_hi:[1,0,1]
	v_mov_b32_e32 v37, v33
	v_pk_fma_f32 v[42:43], v[60:61], v[44:45], v[50:51] neg_lo:[0,0,1] neg_hi:[0,0,1]
	v_pk_add_f32 v[30:31], v[30:31], v[40:41]
	v_pk_fma_f32 v[40:41], v[62:63], v[46:47], v[34:35] op_sel_hi:[1,0,1]
	v_pk_mul_f32 v[32:33], v[82:83], v[32:33] op_sel_hi:[1,0]
	v_mov_b32_e32 v43, v39
	v_pk_fma_f32 v[34:35], v[62:63], v[46:47], v[34:35] neg_lo:[0,0,1] neg_hi:[0,0,1]
	v_pk_add_f32 v[30:31], v[30:31], v[36:37]
	s_wait_loadcnt_dscnt 0x100
	v_pk_mul_f32 v[38:39], v[74:75], v[70:71] op_sel:[1,1] op_sel_hi:[0,1]
	v_pk_fma_f32 v[36:37], v[64:65], v[48:49], v[32:33] op_sel_hi:[1,0,1]
	v_mov_b32_e32 v35, v41
	v_pk_fma_f32 v[32:33], v[64:65], v[48:49], v[32:33] neg_lo:[0,0,1] neg_hi:[0,0,1]
	v_pk_add_f32 v[30:31], v[30:31], v[42:43]
	s_delay_alu instid0(VALU_DEP_4) | instskip(SKIP_1) | instid1(VALU_DEP_3)
	v_mov_b32_e32 v33, v37
	v_pk_fma_f32 v[36:37], v[74:75], v[70:71], v[38:39] neg_lo:[0,0,1] neg_hi:[0,0,1]
	v_pk_add_f32 v[30:31], v[30:31], v[34:35]
	v_pk_fma_f32 v[34:35], v[74:75], v[70:71], v[38:39] op_sel_hi:[1,0,1]
	s_delay_alu instid0(VALU_DEP_2) | instskip(NEXT) | instid1(VALU_DEP_2)
	v_pk_add_f32 v[30:31], v[30:31], v[32:33]
	v_mov_b32_e32 v37, v35
	s_delay_alu instid0(VALU_DEP_1) | instskip(SKIP_1) | instid1(VALU_DEP_1)
	v_pk_add_f32 v[30:31], v[30:31], v[36:37]
	s_wait_loadcnt 0x0
	v_pk_add_f32 v[30:31], v[72:73], v[30:31] neg_lo:[0,1] neg_hi:[0,1]
	scratch_store_b64 off, v[30:31], off offset:16
	s_wait_xcnt 0x0
	v_cmpx_lt_u32_e32 1, v0
	s_cbranch_execz .LBB13_95
; %bb.94:
	scratch_load_b64 v[30:31], off, off offset:8
	v_mov_b64_e32 v[32:33], 0
	scratch_store_b64 off, v[32:33], off offset:8
	s_wait_loadcnt 0x0
	ds_store_b64 v1, v[30:31]
.LBB13_95:
	s_wait_xcnt 0x0
	s_or_b32 exec_lo, exec_lo, s0
	s_wait_storecnt_dscnt 0x0
	s_barrier_signal -1
	s_barrier_wait -1
	s_clause 0x6
	scratch_load_b128 v[30:33], off, off offset:16
	scratch_load_b128 v[34:37], off, off offset:32
	;; [unrolled: 1-line block ×6, first 2 shown]
	scratch_load_b64 v[78:79], off, off offset:8
	ds_load_b128 v[54:57], v7 offset:160
	ds_load_b128 v[58:61], v7 offset:176
	ds_load_b128 v[62:65], v7 offset:192
	ds_load_b128 v[66:69], v7 offset:208
	ds_load_b128 v[70:73], v7 offset:128
	ds_load_b128 v[74:77], v7 offset:144
	v_ashrrev_i32_e32 v7, 31, v6
	v_dual_ashrrev_i32 v23, 31, v22 :: v_dual_ashrrev_i32 v25, 31, v24
	v_dual_ashrrev_i32 v27, 31, v26 :: v_dual_ashrrev_i32 v29, 31, v28
	s_mov_b32 s0, exec_lo
	s_wait_dscnt 0x5
	v_dual_mov_b32 v80, v57 :: v_dual_ashrrev_i32 v21, 31, v20
	s_wait_dscnt 0x4
	v_dual_mov_b32 v81, v56 :: v_dual_mov_b32 v82, v61
	s_wait_dscnt 0x2
	v_dual_mov_b32 v87, v68 :: v_dual_mov_b32 v83, v60
	v_dual_mov_b32 v84, v65 :: v_dual_mov_b32 v85, v64
	s_wait_loadcnt_dscnt 0x601
	v_dual_mov_b32 v86, v69 :: v_dual_mul_f32 v9, v70, v31
	s_wait_loadcnt_dscnt 0x500
	v_dual_mul_f32 v91, v76, v37 :: v_dual_mul_f32 v13, v71, v31
	v_dual_mul_f32 v11, v72, v33 :: v_dual_mul_f32 v89, v74, v35
	;; [unrolled: 1-line block ×3, first 2 shown]
	v_dual_mul_f32 v19, v77, v37 :: v_dual_fmac_f32 v9, v71, v30
	s_wait_loadcnt 0x4
	v_dual_mov_b32 v94, v41 :: v_dual_fma_f32 v13, v70, v30, -v13
	v_fmac_f32_e32 v11, v73, v32
	s_delay_alu instid0(VALU_DEP_3) | instskip(SKIP_1) | instid1(VALU_DEP_4)
	v_dual_fma_f32 v15, v72, v32, -v15 :: v_dual_add_f32 v9, 0, v9
	v_pk_mul_f32 v[92:93], v[54:55], v[38:39] op_sel:[1,1] op_sel_hi:[0,1]
	v_add_f32_e32 v13, 0, v13
	s_wait_loadcnt 0x3
	v_pk_mul_f32 v[30:31], v[58:59], v[42:43] op_sel:[1,1] op_sel_hi:[0,1]
	v_dual_mov_b32 v32, v45 :: v_dual_fma_f32 v88, v74, v34, -v17
	v_dual_fmac_f32 v89, v75, v34 :: v_dual_add_f32 v35, v9, v11
	v_dual_add_f32 v34, v13, v15 :: v_dual_fma_f32 v90, v76, v36, -v19
	v_fmac_f32_e32 v91, v77, v36
	v_pk_fma_f32 v[36:37], v[54:55], v[38:39], v[92:93] op_sel_hi:[1,0,1]
	v_pk_mul_f32 v[70:71], v[80:81], v[94:95] op_sel_hi:[1,0]
	s_delay_alu instid0(VALU_DEP_4)
	v_pk_add_f32 v[34:35], v[34:35], v[88:89]
	v_pk_fma_f32 v[38:39], v[54:55], v[38:39], v[92:93] neg_lo:[0,0,1] neg_hi:[0,0,1]
	v_pk_fma_f32 v[54:55], v[58:59], v[42:43], v[30:31] op_sel_hi:[1,0,1]
	v_pk_fma_f32 v[30:31], v[58:59], v[42:43], v[30:31] neg_lo:[0,0,1] neg_hi:[0,0,1]
	v_mov_b32_e32 v39, v37
	v_pk_fma_f32 v[36:37], v[56:57], v[40:41], v[70:71] op_sel_hi:[1,0,1]
	v_pk_fma_f32 v[40:41], v[56:57], v[40:41], v[70:71] neg_lo:[0,0,1] neg_hi:[0,0,1]
	v_mov_b32_e32 v31, v55
	v_pk_add_f32 v[34:35], v[34:35], v[90:91]
	v_pk_mul_f32 v[32:33], v[82:83], v[32:33] op_sel_hi:[1,0]
	v_mov_b32_e32 v41, v37
	s_wait_loadcnt 0x2
	v_pk_mul_f32 v[72:73], v[62:63], v[46:47] op_sel:[1,1] op_sel_hi:[0,1]
	v_dual_ashrrev_i32 v15, 31, v14 :: v_dual_ashrrev_i32 v17, 31, v16
	v_pk_add_f32 v[34:35], v[34:35], v[38:39]
	v_pk_fma_f32 v[38:39], v[60:61], v[44:45], v[32:33] op_sel_hi:[1,0,1]
	v_mov_b32_e32 v36, v49
	v_pk_fma_f32 v[32:33], v[60:61], v[44:45], v[32:33] neg_lo:[0,0,1] neg_hi:[0,0,1]
	v_ashrrev_i32_e32 v9, 31, v8
	v_pk_add_f32 v[34:35], v[34:35], v[40:41]
	v_pk_fma_f32 v[40:41], v[62:63], v[46:47], v[72:73] op_sel_hi:[1,0,1]
	v_mov_b32_e32 v33, v39
	v_pk_mul_f32 v[36:37], v[84:85], v[36:37] op_sel_hi:[1,0]
	v_pk_fma_f32 v[38:39], v[62:63], v[46:47], v[72:73] neg_lo:[0,0,1] neg_hi:[0,0,1]
	v_pk_add_f32 v[30:31], v[34:35], v[30:31]
	s_wait_loadcnt 0x1
	v_pk_mul_f32 v[34:35], v[66:67], v[50:51] op_sel:[1,1] op_sel_hi:[0,1]
	v_mov_b32_e32 v39, v41
	v_pk_fma_f32 v[40:41], v[64:65], v[48:49], v[36:37] op_sel_hi:[1,0,1]
	v_pk_fma_f32 v[36:37], v[64:65], v[48:49], v[36:37] neg_lo:[0,0,1] neg_hi:[0,0,1]
	v_pk_add_f32 v[30:31], v[30:31], v[32:33]
	v_mov_b32_e32 v32, v53
	v_pk_fma_f32 v[42:43], v[66:67], v[50:51], v[34:35] op_sel_hi:[1,0,1]
	v_mov_b32_e32 v37, v41
	v_pk_fma_f32 v[34:35], v[66:67], v[50:51], v[34:35] neg_lo:[0,0,1] neg_hi:[0,0,1]
	v_pk_add_f32 v[30:31], v[30:31], v[38:39]
	v_pk_mul_f32 v[32:33], v[86:87], v[32:33] op_sel_hi:[1,0]
	v_dual_mov_b32 v35, v43 :: v_dual_ashrrev_i32 v11, 31, v10
	v_ashrrev_i32_e32 v19, 31, v18
	s_delay_alu instid0(VALU_DEP_4) | instskip(NEXT) | instid1(VALU_DEP_4)
	v_pk_add_f32 v[30:31], v[30:31], v[36:37]
	v_pk_fma_f32 v[36:37], v[68:69], v[52:53], v[32:33] op_sel_hi:[1,0,1]
	v_pk_fma_f32 v[32:33], v[68:69], v[52:53], v[32:33] neg_lo:[0,0,1] neg_hi:[0,0,1]
	v_ashrrev_i32_e32 v13, 31, v12
	s_delay_alu instid0(VALU_DEP_4) | instskip(NEXT) | instid1(VALU_DEP_4)
	v_pk_add_f32 v[30:31], v[30:31], v[34:35]
	v_mov_b32_e32 v33, v37
	s_delay_alu instid0(VALU_DEP_1) | instskip(SKIP_1) | instid1(VALU_DEP_1)
	v_pk_add_f32 v[30:31], v[30:31], v[32:33]
	s_wait_loadcnt 0x0
	v_pk_add_f32 v[30:31], v[78:79], v[30:31] neg_lo:[0,1] neg_hi:[0,1]
	scratch_store_b64 off, v[30:31], off offset:8
	s_wait_xcnt 0x0
	v_cmpx_ne_u32_e32 0, v0
	s_cbranch_execz .LBB13_97
; %bb.96:
	scratch_load_b64 v[30:31], off, off
	v_mov_b64_e32 v[32:33], 0
	scratch_store_b64 off, v[32:33], off
	s_wait_loadcnt 0x0
	ds_store_b64 v1, v[30:31]
.LBB13_97:
	s_wait_xcnt 0x0
	s_or_b32 exec_lo, exec_lo, s0
	s_wait_storecnt_dscnt 0x0
	s_barrier_signal -1
	s_barrier_wait -1
	s_clause 0x7
	scratch_load_b128 v[32:35], off, off offset:8
	scratch_load_b128 v[36:39], off, off offset:24
	;; [unrolled: 1-line block ×6, first 2 shown]
	scratch_load_b64 v[0:1], off, off offset:104
	scratch_load_b64 v[80:81], off, off
	v_mov_b32_e32 v30, 0
	ds_load_2addr_b64 v[56:59], v30 offset0:19 offset1:20
	ds_load_2addr_b64 v[60:63], v30 offset0:21 offset1:22
	ds_load_2addr_b64 v[64:67], v30 offset0:23 offset1:24
	ds_load_2addr_b64 v[68:71], v30 offset0:25 offset1:26
	ds_load_2addr_b64 v[72:75], v30 offset0:15 offset1:16
	ds_load_2addr_b64 v[76:79], v30 offset0:17 offset1:18
	ds_load_b64 v[82:83], v30 offset:216
	s_and_b32 vcc_lo, exec_lo, s18
	s_wait_dscnt 0x6
	v_dual_mov_b32 v84, v59 :: v_dual_mov_b32 v85, v58
	s_wait_dscnt 0x3
	v_dual_mov_b32 v86, v63 :: v_dual_mov_b32 v91, v70
	v_dual_mov_b32 v87, v62 :: v_dual_mov_b32 v88, v67
	;; [unrolled: 1-line block ×3, first 2 shown]
	s_wait_loadcnt_dscnt 0x702
	v_dual_mul_f32 v31, v72, v33 :: v_dual_mul_f32 v33, v73, v33
	s_wait_loadcnt_dscnt 0x601
	v_dual_mul_f32 v92, v74, v35 :: v_dual_mul_f32 v98, v76, v37
	s_delay_alu instid0(VALU_DEP_2) | instskip(NEXT) | instid1(VALU_DEP_3)
	v_dual_mul_f32 v35, v75, v35 :: v_dual_fmac_f32 v31, v73, v32
	v_dual_fma_f32 v33, v72, v32, -v33 :: v_dual_mul_f32 v93, v78, v39
	s_wait_loadcnt 0x5
	v_mul_f32_e32 v95, v56, v41
	v_dual_mul_f32 v37, v77, v37 :: v_dual_mul_f32 v39, v79, v39
	s_wait_loadcnt 0x4
	v_dual_mov_b32 v32, v47 :: v_dual_fma_f32 v72, v74, v34, -v35
	v_dual_fmac_f32 v92, v75, v34 :: v_dual_add_f32 v31, 0, v31
	v_dual_add_f32 v33, 0, v33 :: v_dual_fmac_f32 v98, v77, v36
	v_dual_mul_f32 v41, v57, v41 :: v_dual_mov_b32 v94, v43
	v_fma_f32 v73, v76, v36, -v37
	s_delay_alu instid0(VALU_DEP_3) | instskip(SKIP_1) | instid1(VALU_DEP_4)
	v_dual_add_f32 v33, v33, v72 :: v_dual_fmac_f32 v93, v79, v38
	v_dual_add_f32 v31, v31, v92 :: v_dual_fma_f32 v92, v78, v38, -v39
	v_pk_mul_f32 v[36:37], v[84:85], v[94:95] op_sel_hi:[1,0]
	s_delay_alu instid0(VALU_DEP_3) | instskip(SKIP_1) | instid1(VALU_DEP_4)
	v_add_f32_e32 v38, v33, v73
	v_pk_mul_f32 v[96:97], v[60:61], v[44:45] op_sel:[1,1] op_sel_hi:[0,1]
	v_dual_add_f32 v39, v31, v98 :: v_dual_fmac_f32 v95, v57, v40
	s_wait_loadcnt 0x3
	v_dual_mov_b32 v72, v51 :: v_dual_fma_f32 v94, v56, v40, -v41
	v_pk_fma_f32 v[40:41], v[58:59], v[42:43], v[36:37] op_sel_hi:[1,0,1]
	s_delay_alu instid0(VALU_DEP_3)
	v_pk_add_f32 v[38:39], v[38:39], v[92:93]
	v_pk_fma_f32 v[36:37], v[58:59], v[42:43], v[36:37] neg_lo:[0,0,1] neg_hi:[0,0,1]
	v_pk_fma_f32 v[56:57], v[60:61], v[44:45], v[96:97] op_sel_hi:[1,0,1]
	v_pk_mul_f32 v[32:33], v[86:87], v[32:33] op_sel_hi:[1,0]
	v_mov_b32_e32 v37, v41
	v_pk_add_f32 v[38:39], v[38:39], v[94:95]
	v_pk_fma_f32 v[42:43], v[60:61], v[44:45], v[96:97] neg_lo:[0,0,1] neg_hi:[0,0,1]
	v_pk_mul_f32 v[34:35], v[64:65], v[48:49] op_sel:[1,1] op_sel_hi:[0,1]
	v_mov_b32_e32 v43, v57
	v_pk_fma_f32 v[44:45], v[62:63], v[46:47], v[32:33] op_sel_hi:[1,0,1]
	v_pk_add_f32 v[36:37], v[38:39], v[36:37]
	v_pk_fma_f32 v[32:33], v[62:63], v[46:47], v[32:33] neg_lo:[0,0,1] neg_hi:[0,0,1]
	v_pk_fma_f32 v[38:39], v[64:65], v[48:49], v[34:35] op_sel_hi:[1,0,1]
	v_pk_mul_f32 v[56:57], v[88:89], v[72:73] op_sel_hi:[1,0]
	s_wait_loadcnt 0x2
	v_dual_mov_b32 v33, v45 :: v_dual_mov_b32 v38, v55
	v_pk_add_f32 v[36:37], v[36:37], v[42:43]
	v_pk_fma_f32 v[34:35], v[64:65], v[48:49], v[34:35] neg_lo:[0,0,1] neg_hi:[0,0,1]
	v_pk_mul_f32 v[40:41], v[68:69], v[52:53] op_sel:[1,1] op_sel_hi:[0,1]
	v_pk_fma_f32 v[42:43], v[66:67], v[50:51], v[56:57] op_sel_hi:[1,0,1]
	v_mov_b32_e32 v35, v39
	v_pk_add_f32 v[32:33], v[36:37], v[32:33]
	v_pk_fma_f32 v[44:45], v[66:67], v[50:51], v[56:57] neg_lo:[0,0,1] neg_hi:[0,0,1]
	v_pk_fma_f32 v[36:37], v[68:69], v[52:53], v[40:41] op_sel_hi:[1,0,1]
	v_pk_mul_f32 v[38:39], v[90:91], v[38:39] op_sel_hi:[1,0]
	v_mov_b32_e32 v45, v43
	v_pk_add_f32 v[32:33], v[32:33], v[34:35]
	v_pk_fma_f32 v[40:41], v[68:69], v[52:53], v[40:41] neg_lo:[0,0,1] neg_hi:[0,0,1]
	s_wait_loadcnt_dscnt 0x100
	v_pk_mul_f32 v[34:35], v[82:83], v[0:1] op_sel:[1,1] op_sel_hi:[0,1]
	v_mov_b32_e32 v41, v37
	v_pk_fma_f32 v[36:37], v[70:71], v[54:55], v[38:39] op_sel_hi:[1,0,1]
	v_pk_add_f32 v[32:33], v[32:33], v[44:45]
	v_pk_fma_f32 v[38:39], v[70:71], v[54:55], v[38:39] neg_lo:[0,0,1] neg_hi:[0,0,1]
	v_pk_fma_f32 v[42:43], v[82:83], v[0:1], v[34:35] op_sel_hi:[1,0,1]
	v_pk_fma_f32 v[0:1], v[82:83], v[0:1], v[34:35] neg_lo:[0,0,1] neg_hi:[0,0,1]
	v_mov_b32_e32 v39, v37
	v_pk_add_f32 v[32:33], v[32:33], v[40:41]
	s_delay_alu instid0(VALU_DEP_4) | instskip(NEXT) | instid1(VALU_DEP_2)
	v_mov_b32_e32 v1, v43
	v_pk_add_f32 v[32:33], v[32:33], v[38:39]
	s_delay_alu instid0(VALU_DEP_1) | instskip(SKIP_1) | instid1(VALU_DEP_1)
	v_pk_add_f32 v[0:1], v[32:33], v[0:1]
	s_wait_loadcnt 0x0
	v_pk_add_f32 v[0:1], v[80:81], v[0:1] neg_lo:[0,1] neg_hi:[0,1]
	scratch_store_b64 off, v[0:1], off
	s_cbranch_vccz .LBB13_124
; %bb.98:
	global_load_b32 v0, v30, s[2:3] offset:48
	s_wait_loadcnt 0x0
	v_cmp_ne_u32_e32 vcc_lo, 13, v0
	s_cbranch_vccz .LBB13_100
; %bb.99:
	v_lshlrev_b32_e32 v0, 3, v0
	s_delay_alu instid0(VALU_DEP_1)
	v_mov_b32_e32 v32, v0
	scratch_load_b64 v[0:1], v32, off offset:-8
	scratch_load_b64 v[30:31], off, off offset:96
	s_wait_loadcnt 0x1
	scratch_store_b64 off, v[0:1], off offset:96
	s_wait_loadcnt 0x0
	scratch_store_b64 v32, v[30:31], off offset:-8
.LBB13_100:
	s_wait_xcnt 0x1
	v_mov_b32_e32 v0, 0
	global_load_b32 v1, v0, s[2:3] offset:44
	s_wait_loadcnt 0x0
	v_cmp_eq_u32_e32 vcc_lo, 12, v1
	s_cbranch_vccnz .LBB13_102
; %bb.101:
	v_lshlrev_b32_e32 v1, 3, v1
	scratch_load_b64 v[30:31], v1, off offset:-8
	scratch_load_b64 v[32:33], off, off offset:88
	s_wait_loadcnt 0x1
	scratch_store_b64 off, v[30:31], off offset:88
	s_wait_loadcnt 0x0
	scratch_store_b64 v1, v[32:33], off offset:-8
.LBB13_102:
	global_load_b32 v0, v0, s[2:3] offset:40
	s_wait_loadcnt 0x0
	v_cmp_eq_u32_e32 vcc_lo, 11, v0
	s_cbranch_vccnz .LBB13_104
; %bb.103:
	s_wait_xcnt 0x0
	v_lshlrev_b32_e32 v0, 3, v0
	s_delay_alu instid0(VALU_DEP_1)
	v_mov_b32_e32 v32, v0
	scratch_load_b64 v[0:1], v32, off offset:-8
	scratch_load_b64 v[30:31], off, off offset:80
	s_wait_loadcnt 0x1
	scratch_store_b64 off, v[0:1], off offset:80
	s_wait_loadcnt 0x0
	scratch_store_b64 v32, v[30:31], off offset:-8
.LBB13_104:
	s_wait_xcnt 0x0
	v_mov_b32_e32 v0, 0
	global_load_b32 v1, v0, s[2:3] offset:36
	s_wait_loadcnt 0x0
	v_cmp_eq_u32_e32 vcc_lo, 10, v1
	s_cbranch_vccnz .LBB13_106
; %bb.105:
	v_lshlrev_b32_e32 v1, 3, v1
	scratch_load_b64 v[30:31], v1, off offset:-8
	scratch_load_b64 v[32:33], off, off offset:72
	s_wait_loadcnt 0x1
	scratch_store_b64 off, v[30:31], off offset:72
	s_wait_loadcnt 0x0
	scratch_store_b64 v1, v[32:33], off offset:-8
.LBB13_106:
	global_load_b32 v0, v0, s[2:3] offset:32
	s_wait_loadcnt 0x0
	v_cmp_eq_u32_e32 vcc_lo, 9, v0
	s_cbranch_vccnz .LBB13_108
; %bb.107:
	s_wait_xcnt 0x0
	v_lshlrev_b32_e32 v0, 3, v0
	s_delay_alu instid0(VALU_DEP_1)
	v_mov_b32_e32 v32, v0
	scratch_load_b64 v[0:1], v32, off offset:-8
	scratch_load_b64 v[30:31], off, off offset:64
	s_wait_loadcnt 0x1
	scratch_store_b64 off, v[0:1], off offset:64
	s_wait_loadcnt 0x0
	scratch_store_b64 v32, v[30:31], off offset:-8
.LBB13_108:
	;; [unrolled: 31-line block ×5, first 2 shown]
	s_wait_xcnt 0x0
	v_mov_b32_e32 v0, 0
	global_load_b32 v1, v0, s[2:3] offset:4
	s_wait_loadcnt 0x0
	v_cmp_eq_u32_e32 vcc_lo, 2, v1
	s_cbranch_vccnz .LBB13_122
; %bb.121:
	v_lshlrev_b32_e32 v1, 3, v1
	scratch_load_b64 v[30:31], v1, off offset:-8
	scratch_load_b64 v[32:33], off, off offset:8
	s_wait_loadcnt 0x1
	scratch_store_b64 off, v[30:31], off offset:8
	s_wait_loadcnt 0x0
	scratch_store_b64 v1, v[32:33], off offset:-8
.LBB13_122:
	global_load_b32 v30, v0, s[2:3]
	scratch_load_b64 v[0:1], off, off
	s_wait_loadcnt 0x1
	v_cmp_eq_u32_e32 vcc_lo, 1, v30
	s_cbranch_vccnz .LBB13_124
; %bb.123:
	v_lshlrev_b32_e32 v30, 3, v30
	s_delay_alu instid0(VALU_DEP_1)
	v_mov_b32_e32 v32, v30
	scratch_load_b64 v[30:31], v32, off offset:-8
	s_wait_loadcnt 0x0
	scratch_store_b64 off, v[30:31], off
	scratch_store_b64 v32, v[0:1], off offset:-8
	scratch_load_b64 v[0:1], off, off
.LBB13_124:
	s_clause 0x6
	scratch_load_b128 v[30:33], off, off offset:8
	scratch_load_b128 v[34:37], off, off offset:24
	;; [unrolled: 1-line block ×6, first 2 shown]
	scratch_load_b64 v[54:55], off, off offset:104
	v_lshl_add_u64 v[6:7], v[6:7], 3, s[4:5]
	v_lshl_add_u64 v[8:9], v[8:9], 3, s[4:5]
	;; [unrolled: 1-line block ×12, first 2 shown]
	s_wait_loadcnt 0x7
	global_store_b64 v[2:3], v[0:1], off
	s_wait_loadcnt 0x6
	s_clause 0x1
	global_store_b64 v[4:5], v[30:31], off
	global_store_b64 v[6:7], v[32:33], off
	s_wait_loadcnt 0x5
	s_clause 0x1
	global_store_b64 v[8:9], v[34:35], off
	global_store_b64 v[10:11], v[36:37], off
	s_wait_loadcnt 0x4
	s_clause 0x1
	global_store_b64 v[12:13], v[38:39], off
	global_store_b64 v[14:15], v[40:41], off
	s_wait_loadcnt 0x3
	s_clause 0x1
	global_store_b64 v[16:17], v[42:43], off
	global_store_b64 v[18:19], v[44:45], off
	s_wait_loadcnt 0x2
	s_clause 0x1
	global_store_b64 v[20:21], v[46:47], off
	global_store_b64 v[22:23], v[48:49], off
	s_wait_loadcnt 0x1
	s_clause 0x1
	global_store_b64 v[24:25], v[50:51], off
	global_store_b64 v[26:27], v[52:53], off
	s_wait_loadcnt 0x0
	global_store_b64 v[28:29], v[54:55], off
	s_sendmsg sendmsg(MSG_DEALLOC_VGPRS)
	s_endpgm
	.section	.rodata,"a",@progbits
	.p2align	6, 0x0
	.amdhsa_kernel _ZN9rocsolver6v33100L18getri_kernel_smallILi14E19rocblas_complex_numIfEPS3_EEvT1_iilPiilS6_bb
		.amdhsa_group_segment_fixed_size 228
		.amdhsa_private_segment_fixed_size 128
		.amdhsa_kernarg_size 60
		.amdhsa_user_sgpr_count 2
		.amdhsa_user_sgpr_dispatch_ptr 0
		.amdhsa_user_sgpr_queue_ptr 0
		.amdhsa_user_sgpr_kernarg_segment_ptr 1
		.amdhsa_user_sgpr_dispatch_id 0
		.amdhsa_user_sgpr_kernarg_preload_length 0
		.amdhsa_user_sgpr_kernarg_preload_offset 0
		.amdhsa_user_sgpr_private_segment_size 0
		.amdhsa_wavefront_size32 1
		.amdhsa_uses_dynamic_stack 0
		.amdhsa_enable_private_segment 1
		.amdhsa_system_sgpr_workgroup_id_x 1
		.amdhsa_system_sgpr_workgroup_id_y 0
		.amdhsa_system_sgpr_workgroup_id_z 0
		.amdhsa_system_sgpr_workgroup_info 0
		.amdhsa_system_vgpr_workitem_id 0
		.amdhsa_next_free_vgpr 99
		.amdhsa_next_free_sgpr 19
		.amdhsa_named_barrier_count 0
		.amdhsa_reserve_vcc 1
		.amdhsa_float_round_mode_32 0
		.amdhsa_float_round_mode_16_64 0
		.amdhsa_float_denorm_mode_32 3
		.amdhsa_float_denorm_mode_16_64 3
		.amdhsa_fp16_overflow 0
		.amdhsa_memory_ordered 1
		.amdhsa_forward_progress 1
		.amdhsa_inst_pref_size 105
		.amdhsa_round_robin_scheduling 0
		.amdhsa_exception_fp_ieee_invalid_op 0
		.amdhsa_exception_fp_denorm_src 0
		.amdhsa_exception_fp_ieee_div_zero 0
		.amdhsa_exception_fp_ieee_overflow 0
		.amdhsa_exception_fp_ieee_underflow 0
		.amdhsa_exception_fp_ieee_inexact 0
		.amdhsa_exception_int_div_zero 0
	.end_amdhsa_kernel
	.section	.text._ZN9rocsolver6v33100L18getri_kernel_smallILi14E19rocblas_complex_numIfEPS3_EEvT1_iilPiilS6_bb,"axG",@progbits,_ZN9rocsolver6v33100L18getri_kernel_smallILi14E19rocblas_complex_numIfEPS3_EEvT1_iilPiilS6_bb,comdat
.Lfunc_end13:
	.size	_ZN9rocsolver6v33100L18getri_kernel_smallILi14E19rocblas_complex_numIfEPS3_EEvT1_iilPiilS6_bb, .Lfunc_end13-_ZN9rocsolver6v33100L18getri_kernel_smallILi14E19rocblas_complex_numIfEPS3_EEvT1_iilPiilS6_bb
                                        ; -- End function
	.set _ZN9rocsolver6v33100L18getri_kernel_smallILi14E19rocblas_complex_numIfEPS3_EEvT1_iilPiilS6_bb.num_vgpr, 99
	.set _ZN9rocsolver6v33100L18getri_kernel_smallILi14E19rocblas_complex_numIfEPS3_EEvT1_iilPiilS6_bb.num_agpr, 0
	.set _ZN9rocsolver6v33100L18getri_kernel_smallILi14E19rocblas_complex_numIfEPS3_EEvT1_iilPiilS6_bb.numbered_sgpr, 19
	.set _ZN9rocsolver6v33100L18getri_kernel_smallILi14E19rocblas_complex_numIfEPS3_EEvT1_iilPiilS6_bb.num_named_barrier, 0
	.set _ZN9rocsolver6v33100L18getri_kernel_smallILi14E19rocblas_complex_numIfEPS3_EEvT1_iilPiilS6_bb.private_seg_size, 128
	.set _ZN9rocsolver6v33100L18getri_kernel_smallILi14E19rocblas_complex_numIfEPS3_EEvT1_iilPiilS6_bb.uses_vcc, 1
	.set _ZN9rocsolver6v33100L18getri_kernel_smallILi14E19rocblas_complex_numIfEPS3_EEvT1_iilPiilS6_bb.uses_flat_scratch, 1
	.set _ZN9rocsolver6v33100L18getri_kernel_smallILi14E19rocblas_complex_numIfEPS3_EEvT1_iilPiilS6_bb.has_dyn_sized_stack, 0
	.set _ZN9rocsolver6v33100L18getri_kernel_smallILi14E19rocblas_complex_numIfEPS3_EEvT1_iilPiilS6_bb.has_recursion, 0
	.set _ZN9rocsolver6v33100L18getri_kernel_smallILi14E19rocblas_complex_numIfEPS3_EEvT1_iilPiilS6_bb.has_indirect_call, 0
	.section	.AMDGPU.csdata,"",@progbits
; Kernel info:
; codeLenInByte = 13412
; TotalNumSgprs: 21
; NumVgprs: 99
; ScratchSize: 128
; MemoryBound: 0
; FloatMode: 240
; IeeeMode: 1
; LDSByteSize: 228 bytes/workgroup (compile time only)
; SGPRBlocks: 0
; VGPRBlocks: 6
; NumSGPRsForWavesPerEU: 21
; NumVGPRsForWavesPerEU: 99
; NamedBarCnt: 0
; Occupancy: 9
; WaveLimiterHint : 1
; COMPUTE_PGM_RSRC2:SCRATCH_EN: 1
; COMPUTE_PGM_RSRC2:USER_SGPR: 2
; COMPUTE_PGM_RSRC2:TRAP_HANDLER: 0
; COMPUTE_PGM_RSRC2:TGID_X_EN: 1
; COMPUTE_PGM_RSRC2:TGID_Y_EN: 0
; COMPUTE_PGM_RSRC2:TGID_Z_EN: 0
; COMPUTE_PGM_RSRC2:TIDIG_COMP_CNT: 0
	.section	.text._ZN9rocsolver6v33100L18getri_kernel_smallILi15E19rocblas_complex_numIfEPS3_EEvT1_iilPiilS6_bb,"axG",@progbits,_ZN9rocsolver6v33100L18getri_kernel_smallILi15E19rocblas_complex_numIfEPS3_EEvT1_iilPiilS6_bb,comdat
	.globl	_ZN9rocsolver6v33100L18getri_kernel_smallILi15E19rocblas_complex_numIfEPS3_EEvT1_iilPiilS6_bb ; -- Begin function _ZN9rocsolver6v33100L18getri_kernel_smallILi15E19rocblas_complex_numIfEPS3_EEvT1_iilPiilS6_bb
	.p2align	8
	.type	_ZN9rocsolver6v33100L18getri_kernel_smallILi15E19rocblas_complex_numIfEPS3_EEvT1_iilPiilS6_bb,@function
_ZN9rocsolver6v33100L18getri_kernel_smallILi15E19rocblas_complex_numIfEPS3_EEvT1_iilPiilS6_bb: ; @_ZN9rocsolver6v33100L18getri_kernel_smallILi15E19rocblas_complex_numIfEPS3_EEvT1_iilPiilS6_bb
; %bb.0:
	s_mov_b32 s2, exec_lo
	v_cmpx_gt_u32_e32 15, v0
	s_cbranch_execz .LBB14_74
; %bb.1:
	s_clause 0x2
	s_load_b32 s2, s[0:1], 0x38
	s_load_b128 s[12:15], s[0:1], 0x10
	s_load_b128 s[4:7], s[0:1], 0x28
	s_getreg_b32 s9, hwreg(HW_REG_IB_STS2, 6, 4)
	s_wait_kmcnt 0x0
	s_bitcmp1_b32 s2, 8
	s_cselect_b32 s18, -1, 0
	s_bfe_u32 s3, ttmp6, 0x4000c
	s_and_b32 s8, ttmp6, 15
	s_add_co_i32 s3, s3, 1
	s_delay_alu instid0(SALU_CYCLE_1) | instskip(NEXT) | instid1(SALU_CYCLE_1)
	s_mul_i32 s3, ttmp9, s3
	s_add_co_i32 s8, s8, s3
	s_cmp_eq_u32 s9, 0
	s_cselect_b32 s16, ttmp9, s8
	s_bfe_u32 s2, s2, 0x10008
	s_ashr_i32 s17, s16, 31
	s_cmp_eq_u32 s2, 0
                                        ; implicit-def: $sgpr2_sgpr3
	s_cbranch_scc1 .LBB14_3
; %bb.2:
	s_load_b32 s2, s[0:1], 0x20
	s_mul_u64 s[4:5], s[4:5], s[16:17]
	s_delay_alu instid0(SALU_CYCLE_1) | instskip(NEXT) | instid1(SALU_CYCLE_1)
	s_lshl_b64 s[4:5], s[4:5], 2
	s_add_nc_u64 s[4:5], s[14:15], s[4:5]
	s_wait_kmcnt 0x0
	s_ashr_i32 s3, s2, 31
	s_delay_alu instid0(SALU_CYCLE_1) | instskip(NEXT) | instid1(SALU_CYCLE_1)
	s_lshl_b64 s[2:3], s[2:3], 2
	s_add_nc_u64 s[2:3], s[4:5], s[2:3]
.LBB14_3:
	s_clause 0x1
	s_load_b128 s[8:11], s[0:1], 0x0
	s_load_b32 s14, s[0:1], 0x38
	s_wait_xcnt 0x0
	s_mul_u64 s[0:1], s[12:13], s[16:17]
	v_lshlrev_b32_e32 v32, 3, v0
	s_lshl_b64 s[0:1], s[0:1], 3
	s_wait_kmcnt 0x0
	v_add3_u32 v6, s11, s11, v0
	s_ashr_i32 s5, s10, 31
	s_mov_b32 s4, s10
	s_add_nc_u64 s[0:1], s[8:9], s[0:1]
	s_lshl_b64 s[4:5], s[4:5], 3
	v_add_nc_u32_e32 v8, s11, v6
	s_add_nc_u64 s[4:5], s[0:1], s[4:5]
	s_ashr_i32 s1, s11, 31
	s_mov_b32 s0, s11
	s_bitcmp0_b32 s14, 0
	v_add_nc_u32_e32 v10, s11, v8
	s_delay_alu instid0(VALU_DEP_1) | instskip(NEXT) | instid1(VALU_DEP_1)
	v_add_nc_u32_e32 v12, s11, v10
	v_add_nc_u32_e32 v14, s11, v12
	s_delay_alu instid0(VALU_DEP_1) | instskip(NEXT) | instid1(VALU_DEP_1)
	v_dual_mov_b32 v33, 0 :: v_dual_add_nc_u32 v16, s11, v14
	v_add_nc_u32_e32 v18, s11, v16
	s_delay_alu instid0(VALU_DEP_2) | instskip(NEXT) | instid1(VALU_DEP_2)
	v_add_nc_u64_e32 v[2:3], s[4:5], v[32:33]
	v_add_nc_u32_e32 v20, s11, v18
	s_delay_alu instid0(VALU_DEP_2) | instskip(SKIP_1) | instid1(VALU_DEP_2)
	v_lshl_add_u64 v[4:5], s[0:1], 3, v[2:3]
	s_mov_b32 s1, -1
	v_add_nc_u32_e32 v22, s11, v20
	s_clause 0x5
	global_load_b64 v[34:35], v0, s[4:5] scale_offset
	global_load_b64 v[36:37], v[4:5], off
	global_load_b64 v[38:39], v6, s[4:5] scale_offset
	global_load_b64 v[40:41], v8, s[4:5] scale_offset
	;; [unrolled: 1-line block ×4, first 2 shown]
	v_add_nc_u32_e32 v24, s11, v22
	s_delay_alu instid0(VALU_DEP_1)
	v_add_nc_u32_e32 v26, s11, v24
	s_clause 0x3
	global_load_b64 v[46:47], v14, s[4:5] scale_offset
	global_load_b64 v[48:49], v16, s[4:5] scale_offset
	;; [unrolled: 1-line block ×4, first 2 shown]
	v_add_nc_u32_e32 v28, s11, v26
	s_delay_alu instid0(VALU_DEP_1)
	v_add_nc_u32_e32 v30, s11, v28
	s_clause 0x4
	global_load_b64 v[54:55], v22, s[4:5] scale_offset
	global_load_b64 v[56:57], v24, s[4:5] scale_offset
	;; [unrolled: 1-line block ×5, first 2 shown]
	s_wait_loadcnt 0xd
	scratch_store_b128 off, v[34:37], off
	s_wait_loadcnt 0xb
	scratch_store_b128 off, v[38:41], off offset:16
	s_wait_loadcnt 0x9
	scratch_store_b128 off, v[42:45], off offset:32
	;; [unrolled: 2-line block ×6, first 2 shown]
	s_wait_loadcnt 0x0
	scratch_store_b64 off, v[62:63], off offset:112
	s_cbranch_scc1 .LBB14_72
; %bb.4:
	v_cmp_eq_u32_e64 s0, 0, v0
	s_wait_xcnt 0x0
	s_and_saveexec_b32 s1, s0
; %bb.5:
	v_mov_b32_e32 v1, 0
	ds_store_b32 v1, v1 offset:120
; %bb.6:
	s_or_b32 exec_lo, exec_lo, s1
	s_wait_storecnt_dscnt 0x0
	s_barrier_signal -1
	s_barrier_wait -1
	scratch_load_b64 v[34:35], v0, off scale_offset
	s_wait_loadcnt 0x0
	v_cmp_eq_f32_e32 vcc_lo, 0, v34
	v_cmp_eq_f32_e64 s1, 0, v35
	s_and_b32 s1, vcc_lo, s1
	s_delay_alu instid0(SALU_CYCLE_1)
	s_and_saveexec_b32 s8, s1
	s_cbranch_execz .LBB14_10
; %bb.7:
	v_mov_b32_e32 v1, 0
	s_mov_b32 s9, 0
	ds_load_b32 v7, v1 offset:120
	s_wait_dscnt 0x0
	v_readfirstlane_b32 s1, v7
	v_add_nc_u32_e32 v7, 1, v0
	s_cmp_eq_u32 s1, 0
	s_delay_alu instid0(VALU_DEP_1) | instskip(SKIP_1) | instid1(SALU_CYCLE_1)
	v_cmp_gt_i32_e32 vcc_lo, s1, v7
	s_cselect_b32 s10, -1, 0
	s_or_b32 s10, s10, vcc_lo
	s_delay_alu instid0(SALU_CYCLE_1)
	s_and_b32 exec_lo, exec_lo, s10
	s_cbranch_execz .LBB14_10
; %bb.8:
	v_mov_b32_e32 v9, s1
.LBB14_9:                               ; =>This Inner Loop Header: Depth=1
	ds_cmpstore_rtn_b32 v9, v1, v7, v9 offset:120
	s_wait_dscnt 0x0
	v_cmp_ne_u32_e32 vcc_lo, 0, v9
	v_cmp_le_i32_e64 s1, v9, v7
	s_and_b32 s1, vcc_lo, s1
	s_delay_alu instid0(SALU_CYCLE_1) | instskip(NEXT) | instid1(SALU_CYCLE_1)
	s_and_b32 s1, exec_lo, s1
	s_or_b32 s9, s1, s9
	s_delay_alu instid0(SALU_CYCLE_1)
	s_and_not1_b32 exec_lo, exec_lo, s9
	s_cbranch_execnz .LBB14_9
.LBB14_10:
	s_or_b32 exec_lo, exec_lo, s8
	v_mov_b32_e32 v1, 0
	s_barrier_signal -1
	s_barrier_wait -1
	ds_load_b32 v7, v1 offset:120
	s_and_saveexec_b32 s1, s0
	s_cbranch_execz .LBB14_12
; %bb.11:
	s_lshl_b64 s[8:9], s[16:17], 2
	s_delay_alu instid0(SALU_CYCLE_1)
	s_add_nc_u64 s[8:9], s[6:7], s[8:9]
	s_wait_dscnt 0x0
	global_store_b32 v1, v7, s[8:9]
.LBB14_12:
	s_wait_xcnt 0x0
	s_or_b32 exec_lo, exec_lo, s1
	s_wait_dscnt 0x0
	v_cmp_ne_u32_e32 vcc_lo, 0, v7
	s_mov_b32 s1, 0
	s_cbranch_vccnz .LBB14_72
; %bb.13:
	v_lshl_add_u32 v7, v0, 3, 0
                                        ; implicit-def: $vgpr37
                                        ; implicit-def: $vgpr38
	scratch_load_b64 v[34:35], v7, off
	s_wait_loadcnt 0x0
	v_cmp_ngt_f32_e64 s1, |v34|, |v35|
	s_wait_xcnt 0x0
	s_and_saveexec_b32 s8, s1
	s_delay_alu instid0(SALU_CYCLE_1)
	s_xor_b32 s1, exec_lo, s8
	s_cbranch_execz .LBB14_15
; %bb.14:
	v_div_scale_f32 v1, null, v35, v35, v34
	v_div_scale_f32 v13, vcc_lo, v34, v35, v34
	s_delay_alu instid0(VALU_DEP_2) | instskip(SKIP_1) | instid1(TRANS32_DEP_1)
	v_rcp_f32_e32 v9, v1
	v_nop
	v_fma_f32 v11, -v1, v9, 1.0
	s_delay_alu instid0(VALU_DEP_1) | instskip(NEXT) | instid1(VALU_DEP_1)
	v_fmac_f32_e32 v9, v11, v9
	v_mul_f32_e32 v11, v13, v9
	s_delay_alu instid0(VALU_DEP_1) | instskip(NEXT) | instid1(VALU_DEP_1)
	v_fma_f32 v15, -v1, v11, v13
	v_fmac_f32_e32 v11, v15, v9
	s_delay_alu instid0(VALU_DEP_1) | instskip(NEXT) | instid1(VALU_DEP_1)
	v_fma_f32 v1, -v1, v11, v13
	v_div_fmas_f32 v1, v1, v9, v11
	s_delay_alu instid0(VALU_DEP_1) | instskip(NEXT) | instid1(VALU_DEP_1)
	v_div_fixup_f32 v1, v1, v35, v34
	v_fmac_f32_e32 v35, v34, v1
	s_delay_alu instid0(VALU_DEP_1) | instskip(NEXT) | instid1(VALU_DEP_1)
	v_div_scale_f32 v9, null, v35, v35, -1.0
	v_rcp_f32_e32 v11, v9
	v_nop
	s_delay_alu instid0(TRANS32_DEP_1) | instskip(NEXT) | instid1(VALU_DEP_1)
	v_fma_f32 v13, -v9, v11, 1.0
	v_fmac_f32_e32 v11, v13, v11
	v_div_scale_f32 v13, vcc_lo, -1.0, v35, -1.0
	s_delay_alu instid0(VALU_DEP_1) | instskip(NEXT) | instid1(VALU_DEP_1)
	v_mul_f32_e32 v15, v13, v11
	v_fma_f32 v17, -v9, v15, v13
	s_delay_alu instid0(VALU_DEP_1) | instskip(NEXT) | instid1(VALU_DEP_1)
	v_fmac_f32_e32 v15, v17, v11
	v_fma_f32 v9, -v9, v15, v13
	s_delay_alu instid0(VALU_DEP_1) | instskip(NEXT) | instid1(VALU_DEP_1)
	v_div_fmas_f32 v9, v9, v11, v15
	v_div_fixup_f32 v37, v9, v35, -1.0
                                        ; implicit-def: $vgpr34_vgpr35
	s_delay_alu instid0(VALU_DEP_1) | instskip(NEXT) | instid1(VALU_DEP_1)
	v_mul_f32_e32 v38, v1, v37
	v_xor_b32_e32 v36, 0x80000000, v38
.LBB14_15:
	s_and_not1_saveexec_b32 s1, s1
	s_cbranch_execz .LBB14_17
; %bb.16:
	v_div_scale_f32 v1, null, v34, v34, v35
	v_div_scale_f32 v13, vcc_lo, v35, v34, v35
	s_delay_alu instid0(VALU_DEP_2) | instskip(SKIP_1) | instid1(TRANS32_DEP_1)
	v_rcp_f32_e32 v9, v1
	v_nop
	v_fma_f32 v11, -v1, v9, 1.0
	s_delay_alu instid0(VALU_DEP_1) | instskip(NEXT) | instid1(VALU_DEP_1)
	v_fmac_f32_e32 v9, v11, v9
	v_mul_f32_e32 v11, v13, v9
	s_delay_alu instid0(VALU_DEP_1) | instskip(NEXT) | instid1(VALU_DEP_1)
	v_fma_f32 v15, -v1, v11, v13
	v_fmac_f32_e32 v11, v15, v9
	s_delay_alu instid0(VALU_DEP_1) | instskip(NEXT) | instid1(VALU_DEP_1)
	v_fma_f32 v1, -v1, v11, v13
	v_div_fmas_f32 v1, v1, v9, v11
	s_delay_alu instid0(VALU_DEP_1) | instskip(NEXT) | instid1(VALU_DEP_1)
	v_div_fixup_f32 v1, v1, v34, v35
	v_fmac_f32_e32 v34, v35, v1
	s_delay_alu instid0(VALU_DEP_1) | instskip(SKIP_1) | instid1(VALU_DEP_2)
	v_div_scale_f32 v9, null, v34, v34, 1.0
	v_div_scale_f32 v15, vcc_lo, 1.0, v34, 1.0
	v_rcp_f32_e32 v11, v9
	v_nop
	s_delay_alu instid0(TRANS32_DEP_1) | instskip(NEXT) | instid1(VALU_DEP_1)
	v_fma_f32 v13, -v9, v11, 1.0
	v_fmac_f32_e32 v11, v13, v11
	s_delay_alu instid0(VALU_DEP_1) | instskip(NEXT) | instid1(VALU_DEP_1)
	v_mul_f32_e32 v13, v15, v11
	v_fma_f32 v17, -v9, v13, v15
	s_delay_alu instid0(VALU_DEP_1) | instskip(NEXT) | instid1(VALU_DEP_1)
	v_fmac_f32_e32 v13, v17, v11
	v_fma_f32 v9, -v9, v13, v15
	s_delay_alu instid0(VALU_DEP_1) | instskip(NEXT) | instid1(VALU_DEP_1)
	v_div_fmas_f32 v9, v9, v11, v13
	v_div_fixup_f32 v36, v9, v34, 1.0
	s_delay_alu instid0(VALU_DEP_1)
	v_xor_b32_e32 v38, 0x80000000, v36
	v_mul_f32_e64 v37, v1, -v36
.LBB14_17:
	s_or_b32 exec_lo, exec_lo, s1
	scratch_store_b64 v7, v[36:37], off
	scratch_load_b64 v[34:35], off, off offset:8
	v_xor_b32_e32 v39, 0x80000000, v37
	v_add_nc_u32_e32 v1, 0x80, v32
	s_wait_loadcnt 0x0
	ds_store_2addr_b64 v32, v[38:39], v[34:35] offset1:16
	s_wait_storecnt_dscnt 0x0
	s_barrier_signal -1
	s_barrier_wait -1
	s_wait_xcnt 0x0
	s_and_saveexec_b32 s1, s0
	s_cbranch_execz .LBB14_19
; %bb.18:
	scratch_load_b64 v[34:35], v7, off
	ds_load_b64 v[36:37], v1
	s_wait_loadcnt_dscnt 0x0
	v_pk_mul_f32 v[40:41], v[36:37], v[34:35] op_sel:[1,1] op_sel_hi:[0,1]
	s_delay_alu instid0(VALU_DEP_1) | instskip(SKIP_2) | instid1(VALU_DEP_3)
	v_pk_fma_f32 v[42:43], v[36:37], v[34:35], v[40:41] op_sel_hi:[1,0,1]
	v_mov_b32_e32 v9, 0
	v_pk_fma_f32 v[34:35], v[36:37], v[34:35], v[40:41] neg_lo:[0,0,1] neg_hi:[0,0,1]
	v_mov_b32_e32 v35, v43
	ds_load_b64 v[38:39], v9 offset:8
	v_pk_add_f32 v[34:35], v[34:35], 0 op_sel_hi:[1,0]
	s_wait_dscnt 0x0
	s_delay_alu instid0(VALU_DEP_1) | instskip(NEXT) | instid1(VALU_DEP_1)
	v_pk_mul_f32 v[36:37], v[34:35], v[38:39] op_sel:[1,1] op_sel_hi:[0,1]
	v_pk_fma_f32 v[40:41], v[34:35], v[38:39], v[36:37] op_sel_hi:[1,0,1]
	v_pk_fma_f32 v[34:35], v[34:35], v[38:39], v[36:37] neg_lo:[0,0,1] neg_hi:[0,0,1]
	s_delay_alu instid0(VALU_DEP_2)
	v_mov_b32_e32 v35, v41
	scratch_store_b64 off, v[34:35], off offset:8
.LBB14_19:
	s_wait_xcnt 0x0
	s_or_b32 exec_lo, exec_lo, s1
	s_wait_storecnt 0x0
	s_barrier_signal -1
	s_barrier_wait -1
	scratch_load_b64 v[34:35], off, off offset:16
	s_mov_b32 s1, exec_lo
	s_wait_loadcnt 0x0
	ds_store_b64 v1, v[34:35]
	s_wait_dscnt 0x0
	s_barrier_signal -1
	s_barrier_wait -1
	v_cmpx_gt_u32_e32 2, v0
	s_cbranch_execz .LBB14_23
; %bb.20:
	scratch_load_b64 v[34:35], v7, off
	ds_load_b64 v[36:37], v1
	s_wait_loadcnt_dscnt 0x0
	v_pk_mul_f32 v[38:39], v[36:37], v[34:35] op_sel:[1,1] op_sel_hi:[0,1]
	s_delay_alu instid0(VALU_DEP_1) | instskip(SKIP_1) | instid1(VALU_DEP_2)
	v_pk_fma_f32 v[40:41], v[36:37], v[34:35], v[38:39] op_sel_hi:[1,0,1]
	v_pk_fma_f32 v[34:35], v[36:37], v[34:35], v[38:39] neg_lo:[0,0,1] neg_hi:[0,0,1]
	v_mov_b32_e32 v35, v41
	s_delay_alu instid0(VALU_DEP_1)
	v_pk_add_f32 v[34:35], v[34:35], 0 op_sel_hi:[1,0]
	s_and_saveexec_b32 s8, s0
	s_cbranch_execz .LBB14_22
; %bb.21:
	scratch_load_b64 v[36:37], off, off offset:8
	v_mov_b32_e32 v7, 0
	ds_load_b64 v[38:39], v7 offset:136
	s_wait_loadcnt_dscnt 0x0
	v_pk_mul_f32 v[40:41], v[38:39], v[36:37] op_sel:[1,1] op_sel_hi:[0,1]
	s_delay_alu instid0(VALU_DEP_1) | instskip(SKIP_1) | instid1(VALU_DEP_2)
	v_pk_fma_f32 v[42:43], v[38:39], v[36:37], v[40:41] op_sel_hi:[1,0,1]
	v_pk_fma_f32 v[36:37], v[38:39], v[36:37], v[40:41] neg_lo:[0,0,1] neg_hi:[0,0,1]
	v_mov_b32_e32 v37, v43
	s_delay_alu instid0(VALU_DEP_1)
	v_pk_add_f32 v[34:35], v[34:35], v[36:37]
.LBB14_22:
	s_or_b32 exec_lo, exec_lo, s8
	v_mov_b32_e32 v7, 0
	ds_load_b64 v[36:37], v7 offset:16
	s_wait_dscnt 0x0
	v_pk_mul_f32 v[38:39], v[34:35], v[36:37] op_sel:[1,1] op_sel_hi:[0,1]
	s_delay_alu instid0(VALU_DEP_1) | instskip(SKIP_1) | instid1(VALU_DEP_2)
	v_pk_fma_f32 v[40:41], v[34:35], v[36:37], v[38:39] op_sel_hi:[1,0,1]
	v_pk_fma_f32 v[34:35], v[34:35], v[36:37], v[38:39] neg_lo:[0,0,1] neg_hi:[0,0,1]
	v_mov_b32_e32 v35, v41
	scratch_store_b64 off, v[34:35], off offset:16
.LBB14_23:
	s_wait_xcnt 0x0
	s_or_b32 exec_lo, exec_lo, s1
	s_wait_storecnt 0x0
	s_barrier_signal -1
	s_barrier_wait -1
	scratch_load_b64 v[34:35], off, off offset:24
	v_add_nc_u32_e32 v7, -1, v0
	s_mov_b32 s0, exec_lo
	s_wait_loadcnt 0x0
	ds_store_b64 v1, v[34:35]
	s_wait_dscnt 0x0
	s_barrier_signal -1
	s_barrier_wait -1
	v_cmpx_gt_u32_e32 3, v0
	s_cbranch_execz .LBB14_27
; %bb.24:
	v_dual_mov_b32 v34, 0 :: v_dual_add_nc_u32 v9, -1, v0
	v_add_nc_u32_e32 v11, 0x80, v32
	v_mov_b32_e32 v13, v32
	s_mov_b32 s1, 0
	s_delay_alu instid0(VALU_DEP_3)
	v_mov_b32_e32 v35, v34
.LBB14_25:                              ; =>This Inner Loop Header: Depth=1
	scratch_load_b64 v[36:37], v13, off
	ds_load_b64 v[38:39], v11
	s_wait_xcnt 0x0
	v_dual_add_nc_u32 v11, 8, v11 :: v_dual_add_nc_u32 v13, 8, v13
	s_wait_loadcnt_dscnt 0x0
	v_pk_mul_f32 v[40:41], v[38:39], v[36:37] op_sel:[1,1] op_sel_hi:[0,1]
	s_delay_alu instid0(VALU_DEP_1) | instskip(SKIP_2) | instid1(VALU_DEP_3)
	v_pk_fma_f32 v[42:43], v[38:39], v[36:37], v[40:41] op_sel_hi:[1,0,1]
	v_add_nc_u32_e32 v9, 1, v9
	v_pk_fma_f32 v[36:37], v[38:39], v[36:37], v[40:41] neg_lo:[0,0,1] neg_hi:[0,0,1]
	v_mov_b32_e32 v37, v43
	s_delay_alu instid0(VALU_DEP_3) | instskip(NEXT) | instid1(VALU_DEP_2)
	v_cmp_lt_u32_e32 vcc_lo, 1, v9
	v_pk_add_f32 v[34:35], v[34:35], v[36:37]
	s_or_b32 s1, vcc_lo, s1
	s_delay_alu instid0(SALU_CYCLE_1)
	s_and_not1_b32 exec_lo, exec_lo, s1
	s_cbranch_execnz .LBB14_25
; %bb.26:
	s_or_b32 exec_lo, exec_lo, s1
	v_mov_b32_e32 v9, 0
	ds_load_b64 v[36:37], v9 offset:24
	s_wait_dscnt 0x0
	v_pk_mul_f32 v[38:39], v[34:35], v[36:37] op_sel:[1,1] op_sel_hi:[0,1]
	s_delay_alu instid0(VALU_DEP_1) | instskip(SKIP_1) | instid1(VALU_DEP_2)
	v_pk_fma_f32 v[40:41], v[34:35], v[36:37], v[38:39] op_sel_hi:[1,0,1]
	v_pk_fma_f32 v[34:35], v[34:35], v[36:37], v[38:39] neg_lo:[0,0,1] neg_hi:[0,0,1]
	v_mov_b32_e32 v35, v41
	scratch_store_b64 off, v[34:35], off offset:24
.LBB14_27:
	s_wait_xcnt 0x0
	s_or_b32 exec_lo, exec_lo, s0
	s_wait_storecnt 0x0
	s_barrier_signal -1
	s_barrier_wait -1
	scratch_load_b64 v[34:35], off, off offset:32
	s_mov_b32 s0, exec_lo
	s_wait_loadcnt 0x0
	ds_store_b64 v1, v[34:35]
	s_wait_dscnt 0x0
	s_barrier_signal -1
	s_barrier_wait -1
	v_cmpx_gt_u32_e32 4, v0
	s_cbranch_execz .LBB14_31
; %bb.28:
	v_dual_mov_b32 v34, 0 :: v_dual_add_nc_u32 v9, -1, v0
	v_add_nc_u32_e32 v11, 0x80, v32
	v_mov_b32_e32 v13, v32
	s_mov_b32 s1, 0
	s_delay_alu instid0(VALU_DEP_3)
	v_mov_b32_e32 v35, v34
.LBB14_29:                              ; =>This Inner Loop Header: Depth=1
	scratch_load_b64 v[36:37], v13, off
	ds_load_b64 v[38:39], v11
	s_wait_xcnt 0x0
	v_dual_add_nc_u32 v11, 8, v11 :: v_dual_add_nc_u32 v13, 8, v13
	s_wait_loadcnt_dscnt 0x0
	v_pk_mul_f32 v[40:41], v[38:39], v[36:37] op_sel:[1,1] op_sel_hi:[0,1]
	s_delay_alu instid0(VALU_DEP_1) | instskip(SKIP_2) | instid1(VALU_DEP_3)
	v_pk_fma_f32 v[42:43], v[38:39], v[36:37], v[40:41] op_sel_hi:[1,0,1]
	v_add_nc_u32_e32 v9, 1, v9
	v_pk_fma_f32 v[36:37], v[38:39], v[36:37], v[40:41] neg_lo:[0,0,1] neg_hi:[0,0,1]
	v_mov_b32_e32 v37, v43
	s_delay_alu instid0(VALU_DEP_3) | instskip(NEXT) | instid1(VALU_DEP_2)
	v_cmp_lt_u32_e32 vcc_lo, 2, v9
	v_pk_add_f32 v[34:35], v[34:35], v[36:37]
	s_or_b32 s1, vcc_lo, s1
	s_delay_alu instid0(SALU_CYCLE_1)
	s_and_not1_b32 exec_lo, exec_lo, s1
	s_cbranch_execnz .LBB14_29
; %bb.30:
	s_or_b32 exec_lo, exec_lo, s1
	v_mov_b32_e32 v9, 0
	ds_load_b64 v[36:37], v9 offset:32
	s_wait_dscnt 0x0
	v_pk_mul_f32 v[38:39], v[34:35], v[36:37] op_sel:[1,1] op_sel_hi:[0,1]
	s_delay_alu instid0(VALU_DEP_1) | instskip(SKIP_1) | instid1(VALU_DEP_2)
	v_pk_fma_f32 v[40:41], v[34:35], v[36:37], v[38:39] op_sel_hi:[1,0,1]
	v_pk_fma_f32 v[34:35], v[34:35], v[36:37], v[38:39] neg_lo:[0,0,1] neg_hi:[0,0,1]
	v_mov_b32_e32 v35, v41
	scratch_store_b64 off, v[34:35], off offset:32
.LBB14_31:
	s_wait_xcnt 0x0
	s_or_b32 exec_lo, exec_lo, s0
	s_wait_storecnt 0x0
	s_barrier_signal -1
	s_barrier_wait -1
	scratch_load_b64 v[34:35], off, off offset:40
	;; [unrolled: 52-line block ×11, first 2 shown]
	s_mov_b32 s0, exec_lo
	s_wait_loadcnt 0x0
	ds_store_b64 v1, v[34:35]
	s_wait_dscnt 0x0
	s_barrier_signal -1
	s_barrier_wait -1
	v_cmpx_ne_u32_e32 14, v0
	s_cbranch_execz .LBB14_71
; %bb.68:
	v_dual_mov_b32 v34, 0 :: v_dual_mov_b32 v9, v32
	s_mov_b32 s1, 0
	s_delay_alu instid0(VALU_DEP_1)
	v_mov_b32_e32 v35, v34
.LBB14_69:                              ; =>This Inner Loop Header: Depth=1
	scratch_load_b64 v[32:33], v9, off
	ds_load_b64 v[36:37], v1
	v_add_nc_u32_e32 v1, 8, v1
	s_wait_xcnt 0x0
	v_add_nc_u32_e32 v9, 8, v9
	s_wait_loadcnt_dscnt 0x0
	v_pk_mul_f32 v[38:39], v[36:37], v[32:33] op_sel:[1,1] op_sel_hi:[0,1]
	s_delay_alu instid0(VALU_DEP_1) | instskip(SKIP_2) | instid1(VALU_DEP_3)
	v_pk_fma_f32 v[40:41], v[36:37], v[32:33], v[38:39] op_sel_hi:[1,0,1]
	v_add_nc_u32_e32 v7, 1, v7
	v_pk_fma_f32 v[32:33], v[36:37], v[32:33], v[38:39] neg_lo:[0,0,1] neg_hi:[0,0,1]
	v_mov_b32_e32 v33, v41
	s_delay_alu instid0(VALU_DEP_3) | instskip(NEXT) | instid1(VALU_DEP_2)
	v_cmp_lt_u32_e32 vcc_lo, 12, v7
	v_pk_add_f32 v[34:35], v[34:35], v[32:33]
	s_or_b32 s1, vcc_lo, s1
	s_delay_alu instid0(SALU_CYCLE_1)
	s_and_not1_b32 exec_lo, exec_lo, s1
	s_cbranch_execnz .LBB14_69
; %bb.70:
	s_or_b32 exec_lo, exec_lo, s1
	v_mov_b32_e32 v1, 0
	ds_load_b64 v[32:33], v1 offset:112
	s_wait_dscnt 0x0
	v_pk_mul_f32 v[36:37], v[34:35], v[32:33] op_sel:[1,1] op_sel_hi:[0,1]
	s_delay_alu instid0(VALU_DEP_1) | instskip(SKIP_1) | instid1(VALU_DEP_2)
	v_pk_fma_f32 v[38:39], v[34:35], v[32:33], v[36:37] op_sel_hi:[1,0,1]
	v_pk_fma_f32 v[32:33], v[34:35], v[32:33], v[36:37] neg_lo:[0,0,1] neg_hi:[0,0,1]
	v_mov_b32_e32 v33, v39
	scratch_store_b64 off, v[32:33], off offset:112
.LBB14_71:
	s_wait_xcnt 0x0
	s_or_b32 exec_lo, exec_lo, s0
	s_mov_b32 s1, -1
	s_wait_storecnt 0x0
	s_barrier_signal -1
	s_barrier_wait -1
.LBB14_72:
	s_and_b32 vcc_lo, exec_lo, s1
	s_cbranch_vccz .LBB14_74
; %bb.73:
	v_mov_b32_e32 v1, 0
	s_lshl_b64 s[0:1], s[16:17], 2
	s_delay_alu instid0(SALU_CYCLE_1)
	s_add_nc_u64 s[0:1], s[6:7], s[0:1]
	global_load_b32 v1, v1, s[0:1]
	s_wait_loadcnt 0x0
	v_cmp_ne_u32_e32 vcc_lo, 0, v1
	s_cbranch_vccz .LBB14_75
.LBB14_74:
	s_sendmsg sendmsg(MSG_DEALLOC_VGPRS)
	s_endpgm
.LBB14_75:
	s_wait_xcnt 0x0
	v_lshl_add_u32 v1, v0, 3, 0x80
	s_mov_b32 s0, exec_lo
	v_cmpx_eq_u32_e32 14, v0
	s_cbranch_execz .LBB14_77
; %bb.76:
	scratch_load_b64 v[32:33], off, off offset:104
	v_mov_b64_e32 v[34:35], 0
	scratch_store_b64 off, v[34:35], off offset:104
	s_wait_loadcnt 0x0
	ds_store_b64 v1, v[32:33]
.LBB14_77:
	s_wait_xcnt 0x0
	s_or_b32 exec_lo, exec_lo, s0
	s_wait_storecnt_dscnt 0x0
	s_barrier_signal -1
	s_barrier_wait -1
	s_clause 0x1
	scratch_load_b64 v[32:33], off, off offset:112
	scratch_load_b64 v[34:35], off, off offset:104
	v_mov_b32_e32 v7, 0
	s_mov_b32 s0, exec_lo
	ds_load_b64 v[36:37], v7 offset:240
	s_wait_loadcnt_dscnt 0x100
	v_pk_mul_f32 v[38:39], v[36:37], v[32:33] op_sel:[1,1] op_sel_hi:[0,1]
	s_delay_alu instid0(VALU_DEP_1) | instskip(SKIP_1) | instid1(VALU_DEP_2)
	v_pk_fma_f32 v[40:41], v[36:37], v[32:33], v[38:39] op_sel_hi:[1,0,1]
	v_pk_fma_f32 v[32:33], v[36:37], v[32:33], v[38:39] neg_lo:[0,0,1] neg_hi:[0,0,1]
	v_mov_b32_e32 v33, v41
	s_delay_alu instid0(VALU_DEP_1) | instskip(SKIP_1) | instid1(VALU_DEP_1)
	v_pk_add_f32 v[32:33], v[32:33], 0 op_sel_hi:[1,0]
	s_wait_loadcnt 0x0
	v_pk_add_f32 v[32:33], v[34:35], v[32:33] neg_lo:[0,1] neg_hi:[0,1]
	scratch_store_b64 off, v[32:33], off offset:104
	s_wait_xcnt 0x0
	v_cmpx_lt_u32_e32 12, v0
	s_cbranch_execz .LBB14_79
; %bb.78:
	scratch_load_b64 v[32:33], off, off offset:96
	v_mov_b64_e32 v[34:35], 0
	scratch_store_b64 off, v[34:35], off offset:96
	s_wait_loadcnt 0x0
	ds_store_b64 v1, v[32:33]
.LBB14_79:
	s_wait_xcnt 0x0
	s_or_b32 exec_lo, exec_lo, s0
	s_wait_storecnt_dscnt 0x0
	s_barrier_signal -1
	s_barrier_wait -1
	s_clause 0x1
	scratch_load_b128 v[32:35], off, off offset:104
	scratch_load_b64 v[40:41], off, off offset:96
	ds_load_2addr_b64 v[36:39], v7 offset0:29 offset1:30
	s_mov_b32 s0, exec_lo
	s_wait_dscnt 0x0
	v_dual_mov_b32 v42, v39 :: v_dual_mov_b32 v43, v38
	s_wait_loadcnt 0x1
	v_pk_mul_f32 v[44:45], v[36:37], v[32:33] op_sel:[1,1] op_sel_hi:[0,1]
	s_delay_alu instid0(VALU_DEP_1) | instskip(SKIP_2) | instid1(VALU_DEP_3)
	v_pk_fma_f32 v[48:49], v[36:37], v[32:33], v[44:45] op_sel_hi:[1,0,1]
	v_mov_b32_e32 v46, v35
	v_pk_fma_f32 v[32:33], v[36:37], v[32:33], v[44:45] neg_lo:[0,0,1] neg_hi:[0,0,1]
	v_mov_b32_e32 v33, v49
	s_delay_alu instid0(VALU_DEP_3) | instskip(NEXT) | instid1(VALU_DEP_2)
	v_pk_mul_f32 v[42:43], v[42:43], v[46:47] op_sel_hi:[1,0]
	v_pk_add_f32 v[32:33], v[32:33], 0 op_sel_hi:[1,0]
	s_delay_alu instid0(VALU_DEP_2) | instskip(SKIP_1) | instid1(VALU_DEP_2)
	v_pk_fma_f32 v[36:37], v[38:39], v[34:35], v[42:43] op_sel_hi:[1,0,1]
	v_pk_fma_f32 v[34:35], v[38:39], v[34:35], v[42:43] neg_lo:[0,0,1] neg_hi:[0,0,1]
	v_mov_b32_e32 v35, v37
	s_delay_alu instid0(VALU_DEP_1) | instskip(SKIP_1) | instid1(VALU_DEP_1)
	v_pk_add_f32 v[32:33], v[32:33], v[34:35]
	s_wait_loadcnt 0x0
	v_pk_add_f32 v[32:33], v[40:41], v[32:33] neg_lo:[0,1] neg_hi:[0,1]
	scratch_store_b64 off, v[32:33], off offset:96
	s_wait_xcnt 0x0
	v_cmpx_lt_u32_e32 11, v0
	s_cbranch_execz .LBB14_81
; %bb.80:
	scratch_load_b64 v[32:33], off, off offset:88
	v_mov_b64_e32 v[34:35], 0
	scratch_store_b64 off, v[34:35], off offset:88
	s_wait_loadcnt 0x0
	ds_store_b64 v1, v[32:33]
.LBB14_81:
	s_wait_xcnt 0x0
	s_or_b32 exec_lo, exec_lo, s0
	s_wait_storecnt_dscnt 0x0
	s_barrier_signal -1
	s_barrier_wait -1
	s_clause 0x2
	scratch_load_b128 v[32:35], off, off offset:96
	scratch_load_b64 v[40:41], off, off offset:112
	scratch_load_b64 v[42:43], off, off offset:88
	v_mov_b32_e32 v7, 0
	ds_load_b128 v[36:39], v7 offset:224
	ds_load_b64 v[44:45], v7 offset:240
	s_mov_b32 s0, exec_lo
	s_wait_dscnt 0x1
	v_dual_mov_b32 v46, v39 :: v_dual_mov_b32 v47, v38
	s_wait_loadcnt 0x2
	v_mov_b32_e32 v50, v35
	v_pk_mul_f32 v[48:49], v[36:37], v[32:33] op_sel:[1,1] op_sel_hi:[0,1]
	s_delay_alu instid0(VALU_DEP_2) | instskip(NEXT) | instid1(VALU_DEP_2)
	v_pk_mul_f32 v[46:47], v[46:47], v[50:51] op_sel_hi:[1,0]
	v_pk_fma_f32 v[52:53], v[36:37], v[32:33], v[48:49] op_sel_hi:[1,0,1]
	v_pk_fma_f32 v[32:33], v[36:37], v[32:33], v[48:49] neg_lo:[0,0,1] neg_hi:[0,0,1]
	s_wait_loadcnt_dscnt 0x100
	v_pk_mul_f32 v[48:49], v[44:45], v[40:41] op_sel:[1,1] op_sel_hi:[0,1]
	v_pk_fma_f32 v[36:37], v[38:39], v[34:35], v[46:47] op_sel_hi:[1,0,1]
	v_mov_b32_e32 v33, v53
	v_pk_fma_f32 v[34:35], v[38:39], v[34:35], v[46:47] neg_lo:[0,0,1] neg_hi:[0,0,1]
	s_delay_alu instid0(VALU_DEP_4) | instskip(NEXT) | instid1(VALU_DEP_4)
	v_pk_fma_f32 v[38:39], v[44:45], v[40:41], v[48:49] neg_lo:[0,0,1] neg_hi:[0,0,1]
	v_mov_b32_e32 v35, v37
	s_delay_alu instid0(VALU_DEP_4) | instskip(SKIP_1) | instid1(VALU_DEP_2)
	v_pk_add_f32 v[32:33], v[32:33], 0 op_sel_hi:[1,0]
	v_pk_fma_f32 v[36:37], v[44:45], v[40:41], v[48:49] op_sel_hi:[1,0,1]
	v_pk_add_f32 v[32:33], v[32:33], v[34:35]
	s_delay_alu instid0(VALU_DEP_2) | instskip(NEXT) | instid1(VALU_DEP_1)
	v_mov_b32_e32 v39, v37
	v_pk_add_f32 v[32:33], v[32:33], v[38:39]
	s_wait_loadcnt 0x0
	s_delay_alu instid0(VALU_DEP_1)
	v_pk_add_f32 v[32:33], v[42:43], v[32:33] neg_lo:[0,1] neg_hi:[0,1]
	scratch_store_b64 off, v[32:33], off offset:88
	s_wait_xcnt 0x0
	v_cmpx_lt_u32_e32 10, v0
	s_cbranch_execz .LBB14_83
; %bb.82:
	scratch_load_b64 v[32:33], off, off offset:80
	v_mov_b64_e32 v[34:35], 0
	scratch_store_b64 off, v[34:35], off offset:80
	s_wait_loadcnt 0x0
	ds_store_b64 v1, v[32:33]
.LBB14_83:
	s_wait_xcnt 0x0
	s_or_b32 exec_lo, exec_lo, s0
	s_wait_storecnt_dscnt 0x0
	s_barrier_signal -1
	s_barrier_wait -1
	s_clause 0x2
	scratch_load_b128 v[32:35], off, off offset:88
	scratch_load_b128 v[36:39], off, off offset:104
	scratch_load_b64 v[48:49], off, off offset:80
	ds_load_2addr_b64 v[40:43], v7 offset0:27 offset1:28
	ds_load_2addr_b64 v[44:47], v7 offset0:29 offset1:30
	s_mov_b32 s0, exec_lo
	s_wait_dscnt 0x1
	v_dual_mov_b32 v50, v43 :: v_dual_mov_b32 v51, v42
	s_wait_loadcnt_dscnt 0x200
	v_dual_mov_b32 v56, v47 :: v_dual_mov_b32 v54, v35
	v_pk_mul_f32 v[52:53], v[40:41], v[32:33] op_sel:[1,1] op_sel_hi:[0,1]
	s_delay_alu instid0(VALU_DEP_2) | instskip(NEXT) | instid1(VALU_DEP_2)
	v_pk_mul_f32 v[50:51], v[50:51], v[54:55] op_sel_hi:[1,0]
	v_pk_fma_f32 v[58:59], v[40:41], v[32:33], v[52:53] op_sel_hi:[1,0,1]
	v_pk_fma_f32 v[32:33], v[40:41], v[32:33], v[52:53] neg_lo:[0,0,1] neg_hi:[0,0,1]
	v_mov_b32_e32 v57, v46
	s_wait_loadcnt 0x1
	v_pk_mul_f32 v[54:55], v[44:45], v[36:37] op_sel:[1,1] op_sel_hi:[0,1]
	v_pk_fma_f32 v[40:41], v[42:43], v[34:35], v[50:51] op_sel_hi:[1,0,1]
	v_dual_mov_b32 v33, v59 :: v_dual_mov_b32 v40, v39
	v_pk_fma_f32 v[34:35], v[42:43], v[34:35], v[50:51] neg_lo:[0,0,1] neg_hi:[0,0,1]
	s_delay_alu instid0(VALU_DEP_4) | instskip(NEXT) | instid1(VALU_DEP_4)
	v_pk_fma_f32 v[52:53], v[44:45], v[36:37], v[54:55] op_sel_hi:[1,0,1]
	v_mov_b32_e32 v35, v41
	s_delay_alu instid0(VALU_DEP_4) | instskip(SKIP_2) | instid1(VALU_DEP_3)
	v_pk_add_f32 v[32:33], v[32:33], 0 op_sel_hi:[1,0]
	v_pk_mul_f32 v[40:41], v[56:57], v[40:41] op_sel_hi:[1,0]
	v_pk_fma_f32 v[36:37], v[44:45], v[36:37], v[54:55] neg_lo:[0,0,1] neg_hi:[0,0,1]
	v_pk_add_f32 v[32:33], v[32:33], v[34:35]
	s_delay_alu instid0(VALU_DEP_3) | instskip(SKIP_2) | instid1(VALU_DEP_3)
	v_pk_fma_f32 v[34:35], v[46:47], v[38:39], v[40:41] op_sel_hi:[1,0,1]
	v_mov_b32_e32 v37, v53
	v_pk_fma_f32 v[38:39], v[46:47], v[38:39], v[40:41] neg_lo:[0,0,1] neg_hi:[0,0,1]
	v_mov_b32_e32 v39, v35
	s_delay_alu instid0(VALU_DEP_3) | instskip(NEXT) | instid1(VALU_DEP_1)
	v_pk_add_f32 v[32:33], v[32:33], v[36:37]
	v_pk_add_f32 v[32:33], v[32:33], v[38:39]
	s_wait_loadcnt 0x0
	s_delay_alu instid0(VALU_DEP_1)
	v_pk_add_f32 v[32:33], v[48:49], v[32:33] neg_lo:[0,1] neg_hi:[0,1]
	scratch_store_b64 off, v[32:33], off offset:80
	s_wait_xcnt 0x0
	v_cmpx_lt_u32_e32 9, v0
	s_cbranch_execz .LBB14_85
; %bb.84:
	scratch_load_b64 v[32:33], off, off offset:72
	v_mov_b64_e32 v[34:35], 0
	scratch_store_b64 off, v[34:35], off offset:72
	s_wait_loadcnt 0x0
	ds_store_b64 v1, v[32:33]
.LBB14_85:
	s_wait_xcnt 0x0
	s_or_b32 exec_lo, exec_lo, s0
	s_wait_storecnt_dscnt 0x0
	s_barrier_signal -1
	s_barrier_wait -1
	s_clause 0x3
	scratch_load_b128 v[32:35], off, off offset:80
	scratch_load_b128 v[36:39], off, off offset:96
	scratch_load_b64 v[48:49], off, off offset:112
	scratch_load_b64 v[50:51], off, off offset:72
	v_mov_b32_e32 v7, 0
	ds_load_b128 v[40:43], v7 offset:208
	ds_load_b128 v[44:47], v7 offset:224
	s_mov_b32 s0, exec_lo
	s_wait_dscnt 0x1
	v_dual_mov_b32 v52, v43 :: v_dual_mov_b32 v53, v42
	ds_load_b64 v[58:59], v7 offset:240
	s_wait_dscnt 0x1
	v_dual_mov_b32 v60, v47 :: v_dual_mov_b32 v61, v46
	s_wait_loadcnt 0x3
	v_pk_mul_f32 v[54:55], v[40:41], v[32:33] op_sel:[1,1] op_sel_hi:[0,1]
	v_mov_b32_e32 v56, v35
	s_delay_alu instid0(VALU_DEP_2) | instskip(NEXT) | instid1(VALU_DEP_2)
	v_pk_fma_f32 v[62:63], v[40:41], v[32:33], v[54:55] op_sel_hi:[1,0,1]
	v_pk_mul_f32 v[52:53], v[52:53], v[56:57] op_sel_hi:[1,0]
	v_pk_fma_f32 v[32:33], v[40:41], v[32:33], v[54:55] neg_lo:[0,0,1] neg_hi:[0,0,1]
	s_wait_loadcnt 0x2
	v_pk_mul_f32 v[56:57], v[44:45], v[36:37] op_sel:[1,1] op_sel_hi:[0,1]
	v_dual_mov_b32 v62, v39 :: v_dual_mov_b32 v33, v63
	v_pk_fma_f32 v[40:41], v[42:43], v[34:35], v[52:53] op_sel_hi:[1,0,1]
	v_pk_fma_f32 v[34:35], v[42:43], v[34:35], v[52:53] neg_lo:[0,0,1] neg_hi:[0,0,1]
	s_delay_alu instid0(VALU_DEP_4) | instskip(NEXT) | instid1(VALU_DEP_4)
	v_pk_fma_f32 v[54:55], v[44:45], v[36:37], v[56:57] op_sel_hi:[1,0,1]
	v_pk_mul_f32 v[60:61], v[60:61], v[62:63] op_sel_hi:[1,0]
	v_pk_add_f32 v[32:33], v[32:33], 0 op_sel_hi:[1,0]
	v_mov_b32_e32 v35, v41
	v_pk_fma_f32 v[36:37], v[44:45], v[36:37], v[56:57] neg_lo:[0,0,1] neg_hi:[0,0,1]
	v_mov_b32_e32 v37, v55
	v_pk_fma_f32 v[40:41], v[46:47], v[38:39], v[60:61] op_sel_hi:[1,0,1]
	v_pk_fma_f32 v[38:39], v[46:47], v[38:39], v[60:61] neg_lo:[0,0,1] neg_hi:[0,0,1]
	v_pk_add_f32 v[32:33], v[32:33], v[34:35]
	s_wait_loadcnt_dscnt 0x100
	v_pk_mul_f32 v[34:35], v[58:59], v[48:49] op_sel:[1,1] op_sel_hi:[0,1]
	s_delay_alu instid0(VALU_DEP_2) | instskip(NEXT) | instid1(VALU_DEP_2)
	v_pk_add_f32 v[32:33], v[32:33], v[36:37]
	v_pk_fma_f32 v[36:37], v[58:59], v[48:49], v[34:35] op_sel_hi:[1,0,1]
	v_mov_b32_e32 v39, v41
	v_pk_fma_f32 v[34:35], v[58:59], v[48:49], v[34:35] neg_lo:[0,0,1] neg_hi:[0,0,1]
	s_delay_alu instid0(VALU_DEP_3) | instskip(NEXT) | instid1(VALU_DEP_3)
	v_mov_b32_e32 v35, v37
	v_pk_add_f32 v[32:33], v[32:33], v[38:39]
	s_delay_alu instid0(VALU_DEP_1) | instskip(SKIP_1) | instid1(VALU_DEP_1)
	v_pk_add_f32 v[32:33], v[32:33], v[34:35]
	s_wait_loadcnt 0x0
	v_pk_add_f32 v[32:33], v[50:51], v[32:33] neg_lo:[0,1] neg_hi:[0,1]
	scratch_store_b64 off, v[32:33], off offset:72
	s_wait_xcnt 0x0
	v_cmpx_lt_u32_e32 8, v0
	s_cbranch_execz .LBB14_87
; %bb.86:
	scratch_load_b64 v[32:33], off, off offset:64
	v_mov_b64_e32 v[34:35], 0
	scratch_store_b64 off, v[34:35], off offset:64
	s_wait_loadcnt 0x0
	ds_store_b64 v1, v[32:33]
.LBB14_87:
	s_wait_xcnt 0x0
	s_or_b32 exec_lo, exec_lo, s0
	s_wait_storecnt_dscnt 0x0
	s_barrier_signal -1
	s_barrier_wait -1
	s_clause 0x3
	scratch_load_b128 v[32:35], off, off offset:72
	scratch_load_b128 v[36:39], off, off offset:88
	;; [unrolled: 1-line block ×3, first 2 shown]
	scratch_load_b64 v[56:57], off, off offset:64
	ds_load_2addr_b64 v[44:47], v7 offset0:25 offset1:26
	ds_load_2addr_b64 v[48:51], v7 offset0:27 offset1:28
	;; [unrolled: 1-line block ×3, first 2 shown]
	s_mov_b32 s0, exec_lo
	s_wait_dscnt 0x2
	v_dual_mov_b32 v58, v47 :: v_dual_mov_b32 v59, v46
	s_wait_dscnt 0x1
	v_dual_mov_b32 v60, v51 :: v_dual_mov_b32 v61, v50
	s_wait_dscnt 0x0
	v_dual_mov_b32 v66, v55 :: v_dual_mov_b32 v67, v54
	s_wait_loadcnt 0x3
	v_pk_mul_f32 v[62:63], v[44:45], v[32:33] op_sel:[1,1] op_sel_hi:[0,1]
	v_mov_b32_e32 v64, v35
	s_delay_alu instid0(VALU_DEP_2) | instskip(NEXT) | instid1(VALU_DEP_2)
	v_pk_fma_f32 v[68:69], v[44:45], v[32:33], v[62:63] op_sel_hi:[1,0,1]
	v_pk_mul_f32 v[58:59], v[58:59], v[64:65] op_sel_hi:[1,0]
	v_pk_fma_f32 v[32:33], v[44:45], v[32:33], v[62:63] neg_lo:[0,0,1] neg_hi:[0,0,1]
	s_wait_loadcnt 0x2
	v_pk_mul_f32 v[64:65], v[48:49], v[36:37] op_sel:[1,1] op_sel_hi:[0,1]
	v_mov_b32_e32 v68, v39
	v_pk_fma_f32 v[44:45], v[46:47], v[34:35], v[58:59] op_sel_hi:[1,0,1]
	v_mov_b32_e32 v33, v69
	v_pk_fma_f32 v[34:35], v[46:47], v[34:35], v[58:59] neg_lo:[0,0,1] neg_hi:[0,0,1]
	v_pk_fma_f32 v[62:63], v[48:49], v[36:37], v[64:65] op_sel_hi:[1,0,1]
	v_pk_mul_f32 v[60:61], v[60:61], v[68:69] op_sel_hi:[1,0]
	v_mov_b32_e32 v35, v45
	v_pk_add_f32 v[32:33], v[32:33], 0 op_sel_hi:[1,0]
	v_pk_fma_f32 v[36:37], v[48:49], v[36:37], v[64:65] neg_lo:[0,0,1] neg_hi:[0,0,1]
	s_wait_loadcnt 0x1
	v_pk_mul_f32 v[44:45], v[52:53], v[40:41] op_sel:[1,1] op_sel_hi:[0,1]
	v_mov_b32_e32 v37, v63
	v_pk_fma_f32 v[46:47], v[50:51], v[38:39], v[60:61] op_sel_hi:[1,0,1]
	v_pk_add_f32 v[32:33], v[32:33], v[34:35]
	v_mov_b32_e32 v34, v43
	v_pk_fma_f32 v[38:39], v[50:51], v[38:39], v[60:61] neg_lo:[0,0,1] neg_hi:[0,0,1]
	v_pk_fma_f32 v[48:49], v[52:53], v[40:41], v[44:45] op_sel_hi:[1,0,1]
	v_mov_b32_e32 v39, v47
	v_pk_add_f32 v[32:33], v[32:33], v[36:37]
	v_pk_mul_f32 v[34:35], v[66:67], v[34:35] op_sel_hi:[1,0]
	v_pk_fma_f32 v[36:37], v[52:53], v[40:41], v[44:45] neg_lo:[0,0,1] neg_hi:[0,0,1]
	v_mov_b32_e32 v37, v49
	s_delay_alu instid0(VALU_DEP_4) | instskip(NEXT) | instid1(VALU_DEP_4)
	v_pk_add_f32 v[32:33], v[32:33], v[38:39]
	v_pk_fma_f32 v[38:39], v[54:55], v[42:43], v[34:35] op_sel_hi:[1,0,1]
	v_pk_fma_f32 v[34:35], v[54:55], v[42:43], v[34:35] neg_lo:[0,0,1] neg_hi:[0,0,1]
	s_delay_alu instid0(VALU_DEP_3) | instskip(NEXT) | instid1(VALU_DEP_3)
	v_pk_add_f32 v[32:33], v[32:33], v[36:37]
	v_mov_b32_e32 v35, v39
	s_delay_alu instid0(VALU_DEP_1) | instskip(SKIP_1) | instid1(VALU_DEP_1)
	v_pk_add_f32 v[32:33], v[32:33], v[34:35]
	s_wait_loadcnt 0x0
	v_pk_add_f32 v[32:33], v[56:57], v[32:33] neg_lo:[0,1] neg_hi:[0,1]
	scratch_store_b64 off, v[32:33], off offset:64
	s_wait_xcnt 0x0
	v_cmpx_lt_u32_e32 7, v0
	s_cbranch_execz .LBB14_89
; %bb.88:
	scratch_load_b64 v[32:33], off, off offset:56
	v_mov_b64_e32 v[34:35], 0
	scratch_store_b64 off, v[34:35], off offset:56
	s_wait_loadcnt 0x0
	ds_store_b64 v1, v[32:33]
.LBB14_89:
	s_wait_xcnt 0x0
	s_or_b32 exec_lo, exec_lo, s0
	s_wait_storecnt_dscnt 0x0
	s_barrier_signal -1
	s_barrier_wait -1
	s_clause 0x4
	scratch_load_b128 v[32:35], off, off offset:64
	scratch_load_b128 v[36:39], off, off offset:80
	;; [unrolled: 1-line block ×3, first 2 shown]
	scratch_load_b64 v[56:57], off, off offset:112
	scratch_load_b64 v[58:59], off, off offset:56
	v_mov_b32_e32 v7, 0
	ds_load_b128 v[44:47], v7 offset:192
	ds_load_b128 v[48:51], v7 offset:208
	;; [unrolled: 1-line block ×3, first 2 shown]
	ds_load_b64 v[60:61], v7 offset:240
	s_mov_b32 s0, exec_lo
	s_wait_dscnt 0x3
	v_dual_mov_b32 v62, v47 :: v_dual_mov_b32 v63, v46
	s_wait_dscnt 0x2
	v_dual_mov_b32 v64, v51 :: v_dual_mov_b32 v65, v50
	;; [unrolled: 2-line block ×3, first 2 shown]
	s_wait_loadcnt 0x4
	v_pk_mul_f32 v[66:67], v[44:45], v[32:33] op_sel:[1,1] op_sel_hi:[0,1]
	v_mov_b32_e32 v68, v35
	s_wait_loadcnt 0x3
	v_pk_mul_f32 v[72:73], v[48:49], v[36:37] op_sel:[1,1] op_sel_hi:[0,1]
	s_wait_loadcnt 0x2
	v_pk_mul_f32 v[76:77], v[52:53], v[40:41] op_sel:[1,1] op_sel_hi:[0,1]
	v_pk_fma_f32 v[74:75], v[44:45], v[32:33], v[66:67] op_sel_hi:[1,0,1]
	v_pk_mul_f32 v[62:63], v[62:63], v[68:69] op_sel_hi:[1,0]
	v_pk_fma_f32 v[32:33], v[44:45], v[32:33], v[66:67] neg_lo:[0,0,1] neg_hi:[0,0,1]
	v_mov_b32_e32 v68, v39
	v_pk_fma_f32 v[66:67], v[48:49], v[36:37], v[72:73] op_sel_hi:[1,0,1]
	v_mov_b32_e32 v33, v75
	v_pk_fma_f32 v[44:45], v[46:47], v[34:35], v[62:63] op_sel_hi:[1,0,1]
	v_pk_fma_f32 v[34:35], v[46:47], v[34:35], v[62:63] neg_lo:[0,0,1] neg_hi:[0,0,1]
	v_pk_mul_f32 v[64:65], v[64:65], v[68:69] op_sel_hi:[1,0]
	v_pk_fma_f32 v[36:37], v[48:49], v[36:37], v[72:73] neg_lo:[0,0,1] neg_hi:[0,0,1]
	v_pk_add_f32 v[32:33], v[32:33], 0 op_sel_hi:[1,0]
	v_dual_mov_b32 v35, v45 :: v_dual_mov_b32 v44, v43
	s_delay_alu instid0(VALU_DEP_4) | instskip(SKIP_2) | instid1(VALU_DEP_4)
	v_pk_fma_f32 v[46:47], v[50:51], v[38:39], v[64:65] op_sel_hi:[1,0,1]
	v_mov_b32_e32 v37, v67
	v_pk_fma_f32 v[38:39], v[50:51], v[38:39], v[64:65] neg_lo:[0,0,1] neg_hi:[0,0,1]
	v_pk_add_f32 v[32:33], v[32:33], v[34:35]
	v_pk_fma_f32 v[34:35], v[52:53], v[40:41], v[76:77] op_sel_hi:[1,0,1]
	v_pk_mul_f32 v[44:45], v[70:71], v[44:45] op_sel_hi:[1,0]
	v_mov_b32_e32 v39, v47
	s_delay_alu instid0(VALU_DEP_4)
	v_pk_add_f32 v[32:33], v[32:33], v[36:37]
	v_pk_fma_f32 v[36:37], v[52:53], v[40:41], v[76:77] neg_lo:[0,0,1] neg_hi:[0,0,1]
	v_mov_b32_e32 v37, v35
	v_pk_fma_f32 v[34:35], v[54:55], v[42:43], v[44:45] op_sel_hi:[1,0,1]
	v_pk_fma_f32 v[40:41], v[54:55], v[42:43], v[44:45] neg_lo:[0,0,1] neg_hi:[0,0,1]
	v_pk_add_f32 v[32:33], v[32:33], v[38:39]
	s_wait_loadcnt_dscnt 0x100
	v_pk_mul_f32 v[38:39], v[60:61], v[56:57] op_sel:[1,1] op_sel_hi:[0,1]
	v_mov_b32_e32 v41, v35
	s_delay_alu instid0(VALU_DEP_3) | instskip(NEXT) | instid1(VALU_DEP_3)
	v_pk_add_f32 v[32:33], v[32:33], v[36:37]
	v_pk_fma_f32 v[34:35], v[60:61], v[56:57], v[38:39] op_sel_hi:[1,0,1]
	v_pk_fma_f32 v[36:37], v[60:61], v[56:57], v[38:39] neg_lo:[0,0,1] neg_hi:[0,0,1]
	s_delay_alu instid0(VALU_DEP_3) | instskip(NEXT) | instid1(VALU_DEP_3)
	v_pk_add_f32 v[32:33], v[32:33], v[40:41]
	v_mov_b32_e32 v37, v35
	s_delay_alu instid0(VALU_DEP_1) | instskip(SKIP_1) | instid1(VALU_DEP_1)
	v_pk_add_f32 v[32:33], v[32:33], v[36:37]
	s_wait_loadcnt 0x0
	v_pk_add_f32 v[32:33], v[58:59], v[32:33] neg_lo:[0,1] neg_hi:[0,1]
	scratch_store_b64 off, v[32:33], off offset:56
	s_wait_xcnt 0x0
	v_cmpx_lt_u32_e32 6, v0
	s_cbranch_execz .LBB14_91
; %bb.90:
	scratch_load_b64 v[32:33], off, off offset:48
	v_mov_b64_e32 v[34:35], 0
	scratch_store_b64 off, v[34:35], off offset:48
	s_wait_loadcnt 0x0
	ds_store_b64 v1, v[32:33]
.LBB14_91:
	s_wait_xcnt 0x0
	s_or_b32 exec_lo, exec_lo, s0
	s_wait_storecnt_dscnt 0x0
	s_barrier_signal -1
	s_barrier_wait -1
	s_clause 0x4
	scratch_load_b128 v[32:35], off, off offset:56
	scratch_load_b128 v[36:39], off, off offset:72
	;; [unrolled: 1-line block ×4, first 2 shown]
	scratch_load_b64 v[64:65], off, off offset:48
	ds_load_2addr_b64 v[48:51], v7 offset0:23 offset1:24
	ds_load_2addr_b64 v[52:55], v7 offset0:25 offset1:26
	;; [unrolled: 1-line block ×4, first 2 shown]
	s_mov_b32 s0, exec_lo
	s_wait_dscnt 0x3
	v_dual_mov_b32 v66, v51 :: v_dual_mov_b32 v67, v50
	s_wait_dscnt 0x2
	v_dual_mov_b32 v68, v55 :: v_dual_mov_b32 v69, v54
	;; [unrolled: 2-line block ×3, first 2 shown]
	v_dual_mov_b32 v71, v58 :: v_dual_mov_b32 v76, v63
	s_wait_loadcnt 0x4
	v_mov_b32_e32 v74, v35
	v_pk_mul_f32 v[72:73], v[48:49], v[32:33] op_sel:[1,1] op_sel_hi:[0,1]
	s_wait_loadcnt 0x3
	v_pk_mul_f32 v[78:79], v[52:53], v[36:37] op_sel:[1,1] op_sel_hi:[0,1]
	s_wait_loadcnt 0x2
	v_pk_mul_f32 v[82:83], v[56:57], v[40:41] op_sel:[1,1] op_sel_hi:[0,1]
	v_pk_mul_f32 v[66:67], v[66:67], v[74:75] op_sel_hi:[1,0]
	v_pk_fma_f32 v[80:81], v[48:49], v[32:33], v[72:73] op_sel_hi:[1,0,1]
	v_pk_fma_f32 v[32:33], v[48:49], v[32:33], v[72:73] neg_lo:[0,0,1] neg_hi:[0,0,1]
	v_mov_b32_e32 v74, v39
	v_pk_fma_f32 v[72:73], v[52:53], v[36:37], v[78:79] op_sel_hi:[1,0,1]
	v_pk_fma_f32 v[48:49], v[50:51], v[34:35], v[66:67] op_sel_hi:[1,0,1]
	v_mov_b32_e32 v33, v81
	v_pk_fma_f32 v[34:35], v[50:51], v[34:35], v[66:67] neg_lo:[0,0,1] neg_hi:[0,0,1]
	v_pk_mul_f32 v[68:69], v[68:69], v[74:75] op_sel_hi:[1,0]
	s_delay_alu instid0(VALU_DEP_4) | instskip(NEXT) | instid1(VALU_DEP_4)
	v_dual_mov_b32 v48, v43 :: v_dual_mov_b32 v35, v49
	v_pk_add_f32 v[32:33], v[32:33], 0 op_sel_hi:[1,0]
	v_pk_fma_f32 v[36:37], v[52:53], v[36:37], v[78:79] neg_lo:[0,0,1] neg_hi:[0,0,1]
	v_mov_b32_e32 v37, v73
	v_pk_fma_f32 v[50:51], v[54:55], v[38:39], v[68:69] op_sel_hi:[1,0,1]
	v_pk_mul_f32 v[48:49], v[70:71], v[48:49] op_sel_hi:[1,0]
	v_pk_add_f32 v[32:33], v[32:33], v[34:35]
	v_pk_fma_f32 v[34:35], v[56:57], v[40:41], v[82:83] op_sel_hi:[1,0,1]
	v_pk_fma_f32 v[38:39], v[54:55], v[38:39], v[68:69] neg_lo:[0,0,1] neg_hi:[0,0,1]
	v_mov_b32_e32 v39, v51
	v_pk_fma_f32 v[40:41], v[56:57], v[40:41], v[82:83] neg_lo:[0,0,1] neg_hi:[0,0,1]
	v_pk_add_f32 v[32:33], v[32:33], v[36:37]
	v_mov_b32_e32 v41, v35
	v_pk_fma_f32 v[34:35], v[58:59], v[42:43], v[48:49] op_sel_hi:[1,0,1]
	s_wait_loadcnt 0x1
	v_pk_mul_f32 v[36:37], v[60:61], v[44:45] op_sel:[1,1] op_sel_hi:[0,1]
	v_mov_b32_e32 v34, v47
	v_pk_add_f32 v[32:33], v[32:33], v[38:39]
	v_pk_fma_f32 v[42:43], v[58:59], v[42:43], v[48:49] neg_lo:[0,0,1] neg_hi:[0,0,1]
	v_mov_b32_e32 v43, v35
	v_pk_fma_f32 v[38:39], v[60:61], v[44:45], v[36:37] op_sel_hi:[1,0,1]
	v_pk_mul_f32 v[34:35], v[76:77], v[34:35] op_sel_hi:[1,0]
	v_pk_add_f32 v[32:33], v[32:33], v[40:41]
	v_pk_fma_f32 v[36:37], v[60:61], v[44:45], v[36:37] neg_lo:[0,0,1] neg_hi:[0,0,1]
	s_delay_alu instid0(VALU_DEP_4) | instskip(NEXT) | instid1(VALU_DEP_4)
	v_mov_b32_e32 v37, v39
	v_pk_fma_f32 v[38:39], v[62:63], v[46:47], v[34:35] op_sel_hi:[1,0,1]
	s_delay_alu instid0(VALU_DEP_4) | instskip(SKIP_1) | instid1(VALU_DEP_3)
	v_pk_add_f32 v[32:33], v[32:33], v[42:43]
	v_pk_fma_f32 v[34:35], v[62:63], v[46:47], v[34:35] neg_lo:[0,0,1] neg_hi:[0,0,1]
	v_mov_b32_e32 v35, v39
	s_delay_alu instid0(VALU_DEP_3) | instskip(NEXT) | instid1(VALU_DEP_1)
	v_pk_add_f32 v[32:33], v[32:33], v[36:37]
	v_pk_add_f32 v[32:33], v[32:33], v[34:35]
	s_wait_loadcnt 0x0
	s_delay_alu instid0(VALU_DEP_1)
	v_pk_add_f32 v[32:33], v[64:65], v[32:33] neg_lo:[0,1] neg_hi:[0,1]
	scratch_store_b64 off, v[32:33], off offset:48
	s_wait_xcnt 0x0
	v_cmpx_lt_u32_e32 5, v0
	s_cbranch_execz .LBB14_93
; %bb.92:
	scratch_load_b64 v[32:33], off, off offset:40
	v_mov_b64_e32 v[34:35], 0
	scratch_store_b64 off, v[34:35], off offset:40
	s_wait_loadcnt 0x0
	ds_store_b64 v1, v[32:33]
.LBB14_93:
	s_wait_xcnt 0x0
	s_or_b32 exec_lo, exec_lo, s0
	s_wait_storecnt_dscnt 0x0
	s_barrier_signal -1
	s_barrier_wait -1
	s_clause 0x5
	scratch_load_b128 v[32:35], off, off offset:48
	scratch_load_b128 v[36:39], off, off offset:64
	;; [unrolled: 1-line block ×4, first 2 shown]
	scratch_load_b64 v[64:65], off, off offset:112
	scratch_load_b64 v[66:67], off, off offset:40
	v_mov_b32_e32 v7, 0
	ds_load_b128 v[48:51], v7 offset:176
	ds_load_b128 v[52:55], v7 offset:192
	ds_load_b128 v[56:59], v7 offset:208
	ds_load_b128 v[60:63], v7 offset:224
	ds_load_b64 v[68:69], v7 offset:240
	s_mov_b32 s0, exec_lo
	s_wait_dscnt 0x4
	v_dual_mov_b32 v70, v51 :: v_dual_mov_b32 v71, v50
	s_wait_dscnt 0x1
	v_dual_mov_b32 v72, v55 :: v_dual_mov_b32 v77, v62
	v_dual_mov_b32 v73, v54 :: v_dual_mov_b32 v74, v59
	;; [unrolled: 1-line block ×3, first 2 shown]
	s_wait_loadcnt 0x5
	v_dual_mov_b32 v78, v35 :: v_dual_mul_f32 v79, v48, v33
	v_mul_f32_e32 v9, v49, v33
	s_wait_loadcnt 0x4
	v_pk_mul_f32 v[80:81], v[52:53], v[36:37] op_sel:[1,1] op_sel_hi:[0,1]
	v_mov_b32_e32 v82, v39
	s_wait_loadcnt 0x3
	v_pk_mul_f32 v[84:85], v[56:57], v[40:41] op_sel:[1,1] op_sel_hi:[0,1]
	v_pk_mul_f32 v[70:71], v[70:71], v[78:79] op_sel_hi:[1,0]
	v_dual_fmac_f32 v79, v49, v32 :: v_dual_fma_f32 v78, v48, v32, -v9
	v_mov_b32_e32 v32, v43
	v_pk_fma_f32 v[86:87], v[52:53], v[36:37], v[80:81] op_sel_hi:[1,0,1]
	s_delay_alu instid0(VALU_DEP_4)
	v_pk_fma_f32 v[48:49], v[50:51], v[34:35], v[70:71] op_sel_hi:[1,0,1]
	v_pk_fma_f32 v[34:35], v[50:51], v[34:35], v[70:71] neg_lo:[0,0,1] neg_hi:[0,0,1]
	v_pk_mul_f32 v[72:73], v[72:73], v[82:83] op_sel_hi:[1,0]
	v_pk_add_f32 v[78:79], v[78:79], 0 op_sel_hi:[1,0]
	v_pk_fma_f32 v[36:37], v[52:53], v[36:37], v[80:81] neg_lo:[0,0,1] neg_hi:[0,0,1]
	v_dual_mov_b32 v35, v49 :: v_dual_mov_b32 v37, v87
	s_delay_alu instid0(VALU_DEP_4) | instskip(SKIP_2) | instid1(VALU_DEP_4)
	v_pk_fma_f32 v[50:51], v[54:55], v[38:39], v[72:73] op_sel_hi:[1,0,1]
	v_pk_fma_f32 v[38:39], v[54:55], v[38:39], v[72:73] neg_lo:[0,0,1] neg_hi:[0,0,1]
	v_pk_fma_f32 v[52:53], v[56:57], v[40:41], v[84:85] op_sel_hi:[1,0,1]
	v_pk_add_f32 v[34:35], v[78:79], v[34:35]
	v_pk_mul_f32 v[32:33], v[74:75], v[32:33] op_sel_hi:[1,0]
	v_mov_b32_e32 v39, v51
	v_pk_fma_f32 v[40:41], v[56:57], v[40:41], v[84:85] neg_lo:[0,0,1] neg_hi:[0,0,1]
	s_wait_loadcnt 0x2
	v_pk_mul_f32 v[48:49], v[60:61], v[44:45] op_sel:[1,1] op_sel_hi:[0,1]
	v_pk_add_f32 v[34:35], v[34:35], v[36:37]
	v_mov_b32_e32 v36, v47
	v_pk_fma_f32 v[50:51], v[58:59], v[42:43], v[32:33] op_sel_hi:[1,0,1]
	v_mov_b32_e32 v41, v53
	v_pk_fma_f32 v[32:33], v[58:59], v[42:43], v[32:33] neg_lo:[0,0,1] neg_hi:[0,0,1]
	v_pk_add_f32 v[34:35], v[34:35], v[38:39]
	v_pk_fma_f32 v[38:39], v[60:61], v[44:45], v[48:49] op_sel_hi:[1,0,1]
	v_pk_mul_f32 v[36:37], v[76:77], v[36:37] op_sel_hi:[1,0]
	v_mov_b32_e32 v33, v51
	s_delay_alu instid0(VALU_DEP_4)
	v_pk_add_f32 v[34:35], v[34:35], v[40:41]
	v_pk_fma_f32 v[40:41], v[60:61], v[44:45], v[48:49] neg_lo:[0,0,1] neg_hi:[0,0,1]
	v_mov_b32_e32 v41, v39
	v_pk_fma_f32 v[38:39], v[62:63], v[46:47], v[36:37] op_sel_hi:[1,0,1]
	v_pk_fma_f32 v[36:37], v[62:63], v[46:47], v[36:37] neg_lo:[0,0,1] neg_hi:[0,0,1]
	v_pk_add_f32 v[32:33], v[34:35], v[32:33]
	s_wait_loadcnt_dscnt 0x100
	v_pk_mul_f32 v[34:35], v[68:69], v[64:65] op_sel:[1,1] op_sel_hi:[0,1]
	v_mov_b32_e32 v37, v39
	s_delay_alu instid0(VALU_DEP_3) | instskip(NEXT) | instid1(VALU_DEP_3)
	v_pk_add_f32 v[32:33], v[32:33], v[40:41]
	v_pk_fma_f32 v[38:39], v[68:69], v[64:65], v[34:35] op_sel_hi:[1,0,1]
	v_pk_fma_f32 v[34:35], v[68:69], v[64:65], v[34:35] neg_lo:[0,0,1] neg_hi:[0,0,1]
	s_delay_alu instid0(VALU_DEP_3) | instskip(NEXT) | instid1(VALU_DEP_3)
	v_pk_add_f32 v[32:33], v[32:33], v[36:37]
	v_mov_b32_e32 v35, v39
	s_delay_alu instid0(VALU_DEP_1) | instskip(SKIP_1) | instid1(VALU_DEP_1)
	v_pk_add_f32 v[32:33], v[32:33], v[34:35]
	s_wait_loadcnt 0x0
	v_pk_add_f32 v[32:33], v[66:67], v[32:33] neg_lo:[0,1] neg_hi:[0,1]
	scratch_store_b64 off, v[32:33], off offset:40
	s_wait_xcnt 0x0
	v_cmpx_lt_u32_e32 4, v0
	s_cbranch_execz .LBB14_95
; %bb.94:
	scratch_load_b64 v[32:33], off, off offset:32
	v_mov_b64_e32 v[34:35], 0
	scratch_store_b64 off, v[34:35], off offset:32
	s_wait_loadcnt 0x0
	ds_store_b64 v1, v[32:33]
.LBB14_95:
	s_wait_xcnt 0x0
	s_or_b32 exec_lo, exec_lo, s0
	s_wait_storecnt_dscnt 0x0
	s_barrier_signal -1
	s_barrier_wait -1
	s_clause 0x5
	scratch_load_b128 v[32:35], off, off offset:40
	scratch_load_b128 v[36:39], off, off offset:56
	;; [unrolled: 1-line block ×5, first 2 shown]
	scratch_load_b64 v[72:73], off, off offset:32
	ds_load_2addr_b64 v[52:55], v7 offset0:23 offset1:24
	ds_load_2addr_b64 v[56:59], v7 offset0:25 offset1:26
	;; [unrolled: 1-line block ×5, first 2 shown]
	s_mov_b32 s0, exec_lo
	s_wait_dscnt 0x4
	v_dual_mov_b32 v74, v55 :: v_dual_mov_b32 v75, v54
	s_wait_dscnt 0x3
	v_dual_mov_b32 v76, v59 :: v_dual_mov_b32 v77, v58
	;; [unrolled: 2-line block ×4, first 2 shown]
	s_wait_loadcnt_dscnt 0x500
	v_dual_mul_f32 v83, v68, v33 :: v_dual_mul_f32 v85, v70, v35
	v_dual_mul_f32 v7, v69, v33 :: v_dual_mul_f32 v9, v71, v35
	s_wait_loadcnt 0x4
	v_pk_mul_f32 v[86:87], v[52:53], v[36:37] op_sel:[1,1] op_sel_hi:[0,1]
	s_wait_loadcnt 0x3
	v_dual_mov_b32 v88, v39 :: v_dual_mov_b32 v92, v43
	v_dual_fmac_f32 v83, v69, v32 :: v_dual_fmac_f32 v85, v71, v34
	v_dual_fma_f32 v82, v68, v32, -v7 :: v_dual_fma_f32 v84, v70, v34, -v9
	v_pk_fma_f32 v[32:33], v[52:53], v[36:37], v[86:87] op_sel_hi:[1,0,1]
	s_delay_alu instid0(VALU_DEP_4) | instskip(SKIP_1) | instid1(VALU_DEP_4)
	v_pk_mul_f32 v[34:35], v[74:75], v[88:89] op_sel_hi:[1,0]
	v_pk_fma_f32 v[36:37], v[52:53], v[36:37], v[86:87] neg_lo:[0,0,1] neg_hi:[0,0,1]
	v_pk_add_f32 v[68:69], v[82:83], 0 op_sel_hi:[1,0]
	v_pk_mul_f32 v[90:91], v[56:57], v[40:41] op_sel:[1,1] op_sel_hi:[0,1]
	v_mov_b32_e32 v37, v33
	v_pk_fma_f32 v[32:33], v[54:55], v[38:39], v[34:35] op_sel_hi:[1,0,1]
	v_pk_fma_f32 v[34:35], v[54:55], v[38:39], v[34:35] neg_lo:[0,0,1] neg_hi:[0,0,1]
	v_pk_add_f32 v[52:53], v[68:69], v[84:85]
	v_pk_fma_f32 v[68:69], v[56:57], v[40:41], v[90:91] op_sel_hi:[1,0,1]
	v_pk_mul_f32 v[74:75], v[76:77], v[92:93] op_sel_hi:[1,0]
	v_mov_b32_e32 v35, v33
	s_wait_loadcnt 0x2
	v_pk_mul_f32 v[70:71], v[60:61], v[44:45] op_sel:[1,1] op_sel_hi:[0,1]
	v_pk_add_f32 v[32:33], v[52:53], v[36:37]
	v_mov_b32_e32 v36, v47
	v_pk_fma_f32 v[38:39], v[56:57], v[40:41], v[90:91] neg_lo:[0,0,1] neg_hi:[0,0,1]
	v_mov_b32_e32 v39, v69
	v_pk_fma_f32 v[40:41], v[58:59], v[42:43], v[74:75] op_sel_hi:[1,0,1]
	v_pk_add_f32 v[32:33], v[32:33], v[34:35]
	v_pk_fma_f32 v[34:35], v[60:61], v[44:45], v[70:71] op_sel_hi:[1,0,1]
	v_pk_mul_f32 v[36:37], v[78:79], v[36:37] op_sel_hi:[1,0]
	v_pk_fma_f32 v[42:43], v[58:59], v[42:43], v[74:75] neg_lo:[0,0,1] neg_hi:[0,0,1]
	v_mov_b32_e32 v43, v41
	v_pk_add_f32 v[32:33], v[32:33], v[38:39]
	v_pk_fma_f32 v[40:41], v[60:61], v[44:45], v[70:71] neg_lo:[0,0,1] neg_hi:[0,0,1]
	v_mov_b32_e32 v41, v35
	v_pk_fma_f32 v[34:35], v[62:63], v[46:47], v[36:37] op_sel_hi:[1,0,1]
	s_wait_loadcnt 0x1
	v_pk_mul_f32 v[38:39], v[64:65], v[48:49] op_sel:[1,1] op_sel_hi:[0,1]
	v_pk_add_f32 v[32:33], v[32:33], v[42:43]
	v_mov_b32_e32 v34, v51
	v_pk_fma_f32 v[36:37], v[62:63], v[46:47], v[36:37] neg_lo:[0,0,1] neg_hi:[0,0,1]
	v_mov_b32_e32 v37, v35
	v_pk_fma_f32 v[42:43], v[64:65], v[48:49], v[38:39] op_sel_hi:[1,0,1]
	v_pk_add_f32 v[32:33], v[32:33], v[40:41]
	v_pk_mul_f32 v[34:35], v[80:81], v[34:35] op_sel_hi:[1,0]
	v_pk_fma_f32 v[38:39], v[64:65], v[48:49], v[38:39] neg_lo:[0,0,1] neg_hi:[0,0,1]
	s_delay_alu instid0(VALU_DEP_3) | instskip(NEXT) | instid1(VALU_DEP_3)
	v_pk_add_f32 v[32:33], v[32:33], v[36:37]
	v_pk_fma_f32 v[36:37], v[66:67], v[50:51], v[34:35] op_sel_hi:[1,0,1]
	v_mov_b32_e32 v39, v43
	v_pk_fma_f32 v[34:35], v[66:67], v[50:51], v[34:35] neg_lo:[0,0,1] neg_hi:[0,0,1]
	s_delay_alu instid0(VALU_DEP_3) | instskip(NEXT) | instid1(VALU_DEP_3)
	v_mov_b32_e32 v35, v37
	v_pk_add_f32 v[32:33], v[32:33], v[38:39]
	s_delay_alu instid0(VALU_DEP_1) | instskip(SKIP_1) | instid1(VALU_DEP_1)
	v_pk_add_f32 v[32:33], v[32:33], v[34:35]
	s_wait_loadcnt 0x0
	v_pk_add_f32 v[32:33], v[72:73], v[32:33] neg_lo:[0,1] neg_hi:[0,1]
	scratch_store_b64 off, v[32:33], off offset:32
	s_wait_xcnt 0x0
	v_cmpx_lt_u32_e32 3, v0
	s_cbranch_execz .LBB14_97
; %bb.96:
	scratch_load_b64 v[32:33], off, off offset:24
	v_mov_b64_e32 v[34:35], 0
	scratch_store_b64 off, v[34:35], off offset:24
	s_wait_loadcnt 0x0
	ds_store_b64 v1, v[32:33]
.LBB14_97:
	s_wait_xcnt 0x0
	s_or_b32 exec_lo, exec_lo, s0
	s_wait_storecnt_dscnt 0x0
	s_barrier_signal -1
	s_barrier_wait -1
	s_clause 0x6
	scratch_load_b128 v[32:35], off, off offset:32
	scratch_load_b128 v[36:39], off, off offset:48
	;; [unrolled: 1-line block ×5, first 2 shown]
	scratch_load_b64 v[72:73], off, off offset:112
	scratch_load_b64 v[74:75], off, off offset:24
	v_mov_b32_e32 v7, 0
	ds_load_b128 v[52:55], v7 offset:176
	ds_load_b128 v[56:59], v7 offset:192
	;; [unrolled: 1-line block ×5, first 2 shown]
	ds_load_b64 v[76:77], v7 offset:240
	s_mov_b32 s0, exec_lo
	s_wait_dscnt 0x5
	v_dual_mov_b32 v78, v55 :: v_dual_mov_b32 v79, v54
	s_wait_dscnt 0x2
	v_dual_mov_b32 v80, v59 :: v_dual_mov_b32 v85, v66
	v_dual_mov_b32 v81, v58 :: v_dual_mov_b32 v82, v63
	;; [unrolled: 1-line block ×3, first 2 shown]
	s_wait_loadcnt_dscnt 0x601
	v_dual_mul_f32 v9, v68, v33 :: v_dual_mul_f32 v11, v69, v33
	v_dual_mul_f32 v13, v71, v35 :: v_dual_mul_f32 v87, v70, v35
	s_wait_loadcnt 0x5
	v_dual_mul_f32 v89, v52, v37 :: v_dual_mul_f32 v15, v53, v37
	s_wait_loadcnt 0x4
	v_dual_mov_b32 v88, v39 :: v_dual_mov_b32 v92, v43
	v_dual_fmac_f32 v9, v69, v32 :: v_dual_fma_f32 v11, v68, v32, -v11
	v_dual_fma_f32 v86, v70, v34, -v13 :: v_dual_fmac_f32 v87, v71, v34
	s_delay_alu instid0(VALU_DEP_3) | instskip(NEXT) | instid1(VALU_DEP_3)
	v_pk_mul_f32 v[32:33], v[78:79], v[88:89] op_sel_hi:[1,0]
	v_dual_add_f32 v35, 0, v9 :: v_dual_add_f32 v34, 0, v11
	s_wait_loadcnt 0x3
	v_mov_b32_e32 v68, v47
	v_pk_mul_f32 v[90:91], v[56:57], v[40:41] op_sel:[1,1] op_sel_hi:[0,1]
	v_dual_fmac_f32 v89, v53, v36 :: v_dual_fma_f32 v88, v52, v36, -v15
	v_pk_fma_f32 v[36:37], v[54:55], v[38:39], v[32:33] op_sel_hi:[1,0,1]
	v_pk_add_f32 v[34:35], v[34:35], v[86:87]
	v_pk_fma_f32 v[32:33], v[54:55], v[38:39], v[32:33] neg_lo:[0,0,1] neg_hi:[0,0,1]
	v_pk_fma_f32 v[52:53], v[56:57], v[40:41], v[90:91] op_sel_hi:[1,0,1]
	v_pk_mul_f32 v[70:71], v[80:81], v[92:93] op_sel_hi:[1,0]
	v_mov_b32_e32 v33, v37
	v_pk_add_f32 v[34:35], v[34:35], v[88:89]
	v_pk_fma_f32 v[38:39], v[56:57], v[40:41], v[90:91] neg_lo:[0,0,1] neg_hi:[0,0,1]
	v_pk_mul_f32 v[94:95], v[60:61], v[44:45] op_sel:[1,1] op_sel_hi:[0,1]
	v_mov_b32_e32 v39, v53
	v_pk_fma_f32 v[40:41], v[58:59], v[42:43], v[70:71] op_sel_hi:[1,0,1]
	v_pk_add_f32 v[32:33], v[34:35], v[32:33]
	v_pk_fma_f32 v[42:43], v[58:59], v[42:43], v[70:71] neg_lo:[0,0,1] neg_hi:[0,0,1]
	v_pk_fma_f32 v[34:35], v[60:61], v[44:45], v[94:95] op_sel_hi:[1,0,1]
	v_pk_mul_f32 v[52:53], v[82:83], v[68:69] op_sel_hi:[1,0]
	s_wait_loadcnt 0x2
	v_dual_mov_b32 v43, v41 :: v_dual_mov_b32 v34, v51
	v_pk_add_f32 v[32:33], v[32:33], v[38:39]
	v_pk_fma_f32 v[38:39], v[60:61], v[44:45], v[94:95] neg_lo:[0,0,1] neg_hi:[0,0,1]
	v_pk_mul_f32 v[36:37], v[64:65], v[48:49] op_sel:[1,1] op_sel_hi:[0,1]
	v_pk_fma_f32 v[40:41], v[62:63], v[46:47], v[52:53] op_sel_hi:[1,0,1]
	v_mov_b32_e32 v39, v35
	v_pk_add_f32 v[32:33], v[32:33], v[42:43]
	v_pk_fma_f32 v[44:45], v[62:63], v[46:47], v[52:53] neg_lo:[0,0,1] neg_hi:[0,0,1]
	v_pk_fma_f32 v[42:43], v[64:65], v[48:49], v[36:37] op_sel_hi:[1,0,1]
	v_pk_mul_f32 v[34:35], v[84:85], v[34:35] op_sel_hi:[1,0]
	v_mov_b32_e32 v45, v41
	v_pk_add_f32 v[32:33], v[32:33], v[38:39]
	v_pk_fma_f32 v[36:37], v[64:65], v[48:49], v[36:37] neg_lo:[0,0,1] neg_hi:[0,0,1]
	s_wait_loadcnt_dscnt 0x100
	v_pk_mul_f32 v[40:41], v[76:77], v[72:73] op_sel:[1,1] op_sel_hi:[0,1]
	v_pk_fma_f32 v[38:39], v[66:67], v[50:51], v[34:35] op_sel_hi:[1,0,1]
	v_mov_b32_e32 v37, v43
	v_pk_add_f32 v[32:33], v[32:33], v[44:45]
	v_pk_fma_f32 v[34:35], v[66:67], v[50:51], v[34:35] neg_lo:[0,0,1] neg_hi:[0,0,1]
	s_delay_alu instid0(VALU_DEP_4) | instskip(SKIP_1) | instid1(VALU_DEP_4)
	v_mov_b32_e32 v35, v39
	v_pk_fma_f32 v[38:39], v[76:77], v[72:73], v[40:41] neg_lo:[0,0,1] neg_hi:[0,0,1]
	v_pk_add_f32 v[32:33], v[32:33], v[36:37]
	v_pk_fma_f32 v[36:37], v[76:77], v[72:73], v[40:41] op_sel_hi:[1,0,1]
	s_delay_alu instid0(VALU_DEP_2) | instskip(NEXT) | instid1(VALU_DEP_2)
	v_pk_add_f32 v[32:33], v[32:33], v[34:35]
	v_mov_b32_e32 v39, v37
	s_delay_alu instid0(VALU_DEP_1) | instskip(SKIP_1) | instid1(VALU_DEP_1)
	v_pk_add_f32 v[32:33], v[32:33], v[38:39]
	s_wait_loadcnt 0x0
	v_pk_add_f32 v[32:33], v[74:75], v[32:33] neg_lo:[0,1] neg_hi:[0,1]
	scratch_store_b64 off, v[32:33], off offset:24
	s_wait_xcnt 0x0
	v_cmpx_lt_u32_e32 2, v0
	s_cbranch_execz .LBB14_99
; %bb.98:
	scratch_load_b64 v[32:33], off, off offset:16
	v_mov_b64_e32 v[34:35], 0
	scratch_store_b64 off, v[34:35], off offset:16
	s_wait_loadcnt 0x0
	ds_store_b64 v1, v[32:33]
.LBB14_99:
	s_wait_xcnt 0x0
	s_or_b32 exec_lo, exec_lo, s0
	s_wait_storecnt_dscnt 0x0
	s_barrier_signal -1
	s_barrier_wait -1
	s_clause 0x6
	scratch_load_b128 v[32:35], off, off offset:24
	scratch_load_b128 v[36:39], off, off offset:40
	;; [unrolled: 1-line block ×6, first 2 shown]
	scratch_load_b64 v[80:81], off, off offset:16
	ds_load_2addr_b64 v[56:59], v7 offset0:23 offset1:24
	ds_load_2addr_b64 v[60:63], v7 offset0:25 offset1:26
	;; [unrolled: 1-line block ×6, first 2 shown]
	s_mov_b32 s0, exec_lo
	s_wait_dscnt 0x5
	v_dual_mov_b32 v82, v59 :: v_dual_mov_b32 v83, v58
	s_wait_dscnt 0x4
	v_dual_mov_b32 v84, v63 :: v_dual_mov_b32 v85, v62
	;; [unrolled: 2-line block ×4, first 2 shown]
	s_wait_loadcnt_dscnt 0x601
	v_dual_mul_f32 v7, v72, v33 :: v_dual_mul_f32 v9, v74, v35
	v_dual_mul_f32 v11, v73, v33 :: v_dual_mul_f32 v13, v75, v35
	s_wait_loadcnt 0x4
	s_delay_alu instid0(VALU_DEP_2)
	v_dual_mov_b32 v96, v43 :: v_dual_fmac_f32 v7, v73, v32
	s_wait_dscnt 0x0
	v_dual_mul_f32 v91, v76, v37 :: v_dual_mul_f32 v93, v78, v39
	v_dual_fma_f32 v11, v72, v32, -v11 :: v_dual_fmac_f32 v9, v75, v34
	v_dual_mul_f32 v15, v77, v37 :: v_dual_mul_f32 v17, v79, v39
	v_dual_fma_f32 v13, v74, v34, -v13 :: v_dual_add_f32 v7, 0, v7
	s_wait_loadcnt 0x3
	s_delay_alu instid0(VALU_DEP_3) | instskip(SKIP_3) | instid1(VALU_DEP_4)
	v_dual_add_f32 v11, 0, v11 :: v_dual_mov_b32 v34, v47
	v_pk_mul_f32 v[94:95], v[56:57], v[40:41] op_sel:[1,1] op_sel_hi:[0,1]
	v_pk_mul_f32 v[32:33], v[60:61], v[44:45] op_sel:[1,1] op_sel_hi:[0,1]
	v_dual_fmac_f32 v91, v77, v36 :: v_dual_add_f32 v37, v7, v9
	v_dual_fma_f32 v90, v76, v36, -v15 :: v_dual_add_f32 v36, v11, v13
	v_fmac_f32_e32 v93, v79, v38
	v_fma_f32 v92, v78, v38, -v17
	v_pk_fma_f32 v[38:39], v[56:57], v[40:41], v[94:95] op_sel_hi:[1,0,1]
	v_pk_mul_f32 v[72:73], v[82:83], v[96:97] op_sel_hi:[1,0]
	v_pk_add_f32 v[36:37], v[36:37], v[90:91]
	v_pk_fma_f32 v[40:41], v[56:57], v[40:41], v[94:95] neg_lo:[0,0,1] neg_hi:[0,0,1]
	v_pk_fma_f32 v[56:57], v[60:61], v[44:45], v[32:33] op_sel_hi:[1,0,1]
	v_pk_fma_f32 v[32:33], v[60:61], v[44:45], v[32:33] neg_lo:[0,0,1] neg_hi:[0,0,1]
	v_mov_b32_e32 v41, v39
	v_pk_fma_f32 v[38:39], v[58:59], v[42:43], v[72:73] op_sel_hi:[1,0,1]
	v_pk_fma_f32 v[42:43], v[58:59], v[42:43], v[72:73] neg_lo:[0,0,1] neg_hi:[0,0,1]
	v_mov_b32_e32 v33, v57
	v_pk_add_f32 v[36:37], v[36:37], v[92:93]
	v_pk_mul_f32 v[34:35], v[84:85], v[34:35] op_sel_hi:[1,0]
	s_wait_loadcnt 0x2
	v_dual_mov_b32 v43, v39 :: v_dual_mov_b32 v38, v51
	v_pk_mul_f32 v[74:75], v[64:65], v[48:49] op_sel:[1,1] op_sel_hi:[0,1]
	v_pk_add_f32 v[36:37], v[36:37], v[40:41]
	v_pk_fma_f32 v[40:41], v[62:63], v[46:47], v[34:35] op_sel_hi:[1,0,1]
	v_pk_fma_f32 v[34:35], v[62:63], v[46:47], v[34:35] neg_lo:[0,0,1] neg_hi:[0,0,1]
	v_pk_mul_f32 v[38:39], v[86:87], v[38:39] op_sel_hi:[1,0]
	s_delay_alu instid0(VALU_DEP_4) | instskip(SKIP_3) | instid1(VALU_DEP_4)
	v_pk_add_f32 v[36:37], v[36:37], v[42:43]
	v_pk_fma_f32 v[42:43], v[64:65], v[48:49], v[74:75] op_sel_hi:[1,0,1]
	v_mov_b32_e32 v35, v41
	v_pk_fma_f32 v[40:41], v[64:65], v[48:49], v[74:75] neg_lo:[0,0,1] neg_hi:[0,0,1]
	v_pk_add_f32 v[32:33], v[36:37], v[32:33]
	s_wait_loadcnt 0x1
	v_pk_mul_f32 v[36:37], v[68:69], v[52:53] op_sel:[1,1] op_sel_hi:[0,1]
	v_mov_b32_e32 v41, v43
	v_pk_fma_f32 v[42:43], v[66:67], v[50:51], v[38:39] op_sel_hi:[1,0,1]
	v_pk_fma_f32 v[38:39], v[66:67], v[50:51], v[38:39] neg_lo:[0,0,1] neg_hi:[0,0,1]
	v_pk_add_f32 v[32:33], v[32:33], v[34:35]
	v_mov_b32_e32 v34, v55
	v_pk_fma_f32 v[44:45], v[68:69], v[52:53], v[36:37] op_sel_hi:[1,0,1]
	v_mov_b32_e32 v39, v43
	v_pk_fma_f32 v[36:37], v[68:69], v[52:53], v[36:37] neg_lo:[0,0,1] neg_hi:[0,0,1]
	v_pk_add_f32 v[32:33], v[32:33], v[40:41]
	v_pk_mul_f32 v[34:35], v[88:89], v[34:35] op_sel_hi:[1,0]
	s_delay_alu instid0(VALU_DEP_2) | instskip(NEXT) | instid1(VALU_DEP_2)
	v_pk_add_f32 v[32:33], v[32:33], v[38:39]
	v_pk_fma_f32 v[38:39], v[70:71], v[54:55], v[34:35] op_sel_hi:[1,0,1]
	v_mov_b32_e32 v37, v45
	v_pk_fma_f32 v[34:35], v[70:71], v[54:55], v[34:35] neg_lo:[0,0,1] neg_hi:[0,0,1]
	s_delay_alu instid0(VALU_DEP_3) | instskip(NEXT) | instid1(VALU_DEP_3)
	v_mov_b32_e32 v35, v39
	v_pk_add_f32 v[32:33], v[32:33], v[36:37]
	s_delay_alu instid0(VALU_DEP_1) | instskip(SKIP_1) | instid1(VALU_DEP_1)
	v_pk_add_f32 v[32:33], v[32:33], v[34:35]
	s_wait_loadcnt 0x0
	v_pk_add_f32 v[32:33], v[80:81], v[32:33] neg_lo:[0,1] neg_hi:[0,1]
	scratch_store_b64 off, v[32:33], off offset:16
	s_wait_xcnt 0x0
	v_cmpx_lt_u32_e32 1, v0
	s_cbranch_execz .LBB14_101
; %bb.100:
	scratch_load_b64 v[32:33], off, off offset:8
	v_mov_b64_e32 v[34:35], 0
	scratch_store_b64 off, v[34:35], off offset:8
	s_wait_loadcnt 0x0
	ds_store_b64 v1, v[32:33]
.LBB14_101:
	s_wait_xcnt 0x0
	s_or_b32 exec_lo, exec_lo, s0
	s_wait_storecnt_dscnt 0x0
	s_barrier_signal -1
	s_barrier_wait -1
	s_clause 0x7
	scratch_load_b128 v[34:37], off, off offset:16
	scratch_load_b128 v[38:41], off, off offset:32
	;; [unrolled: 1-line block ×6, first 2 shown]
	scratch_load_b64 v[82:83], off, off offset:112
	scratch_load_b64 v[84:85], off, off offset:8
	v_dual_mov_b32 v32, 0 :: v_dual_ashrrev_i32 v7, 31, v6
	ds_load_b128 v[58:61], v32 offset:176
	ds_load_b128 v[62:65], v32 offset:192
	;; [unrolled: 1-line block ×6, first 2 shown]
	ds_load_b64 v[86:87], v32 offset:240
	v_dual_ashrrev_i32 v25, 31, v24 :: v_dual_ashrrev_i32 v27, 31, v26
	v_dual_ashrrev_i32 v29, 31, v28 :: v_dual_ashrrev_i32 v31, 31, v30
	s_mov_b32 s0, exec_lo
	s_wait_dscnt 0x6
	v_dual_mov_b32 v88, v61 :: v_dual_mov_b32 v89, v60
	s_wait_dscnt 0x5
	v_dual_mov_b32 v90, v65 :: v_dual_mov_b32 v91, v64
	;; [unrolled: 2-line block ×4, first 2 shown]
	s_wait_loadcnt_dscnt 0x702
	v_dual_mul_f32 v9, v74, v35 :: v_dual_mul_f32 v11, v76, v37
	v_dual_mul_f32 v13, v75, v35 :: v_dual_mul_f32 v15, v77, v37
	s_wait_loadcnt 0x5
	s_delay_alu instid0(VALU_DEP_2)
	v_dual_mov_b32 v96, v45 :: v_dual_fmac_f32 v9, v75, v34
	s_wait_dscnt 0x1
	v_dual_mul_f32 v17, v81, v41 :: v_dual_mul_f32 v19, v78, v39
	s_wait_loadcnt 0x4
	v_dual_fma_f32 v13, v74, v34, -v13 :: v_dual_mov_b32 v74, v49
	v_dual_mul_f32 v35, v80, v41 :: v_dual_mul_f32 v21, v79, v39
	v_dual_fmac_f32 v11, v77, v36 :: v_dual_add_f32 v9, 0, v9
	s_delay_alu instid0(VALU_DEP_3) | instskip(SKIP_1) | instid1(VALU_DEP_4)
	v_dual_fma_f32 v15, v76, v36, -v15 :: v_dual_add_f32 v13, 0, v13
	v_dual_mul_f32 v37, v58, v43 :: v_dual_mul_f32 v23, v59, v43
	v_dual_fmac_f32 v19, v79, v38 :: v_dual_fma_f32 v21, v78, v38, -v21
	s_delay_alu instid0(VALU_DEP_4) | instskip(NEXT) | instid1(VALU_DEP_3)
	v_dual_add_f32 v9, v9, v11 :: v_dual_fma_f32 v34, v80, v40, -v17
	v_dual_add_f32 v11, v13, v15 :: v_dual_fmac_f32 v37, v59, v42
	v_fmac_f32_e32 v35, v81, v40
	v_pk_mul_f32 v[38:39], v[88:89], v[96:97] op_sel_hi:[1,0]
	s_delay_alu instid0(VALU_DEP_4) | instskip(NEXT) | instid1(VALU_DEP_4)
	v_dual_add_f32 v41, v9, v19 :: v_dual_fma_f32 v36, v58, v42, -v23
	v_add_f32_e32 v40, v11, v21
	v_pk_mul_f32 v[98:99], v[62:63], v[46:47] op_sel:[1,1] op_sel_hi:[0,1]
	s_delay_alu instid0(VALU_DEP_4)
	v_pk_fma_f32 v[42:43], v[60:61], v[44:45], v[38:39] op_sel_hi:[1,0,1]
	v_pk_fma_f32 v[38:39], v[60:61], v[44:45], v[38:39] neg_lo:[0,0,1] neg_hi:[0,0,1]
	s_wait_loadcnt 0x3
	v_mov_b32_e32 v78, v53
	v_pk_add_f32 v[34:35], v[40:41], v[34:35]
	v_pk_fma_f32 v[40:41], v[62:63], v[46:47], v[98:99] op_sel_hi:[1,0,1]
	v_pk_mul_f32 v[58:59], v[90:91], v[74:75] op_sel_hi:[1,0]
	v_mov_b32_e32 v39, v43
	v_pk_fma_f32 v[42:43], v[62:63], v[46:47], v[98:99] neg_lo:[0,0,1] neg_hi:[0,0,1]
	v_pk_add_f32 v[34:35], v[34:35], v[36:37]
	v_pk_mul_f32 v[76:77], v[66:67], v[50:51] op_sel:[1,1] op_sel_hi:[0,1]
	v_mov_b32_e32 v43, v41
	v_pk_fma_f32 v[40:41], v[64:65], v[48:49], v[58:59] op_sel_hi:[1,0,1]
	v_pk_fma_f32 v[46:47], v[64:65], v[48:49], v[58:59] neg_lo:[0,0,1] neg_hi:[0,0,1]
	v_pk_add_f32 v[34:35], v[34:35], v[38:39]
	v_pk_fma_f32 v[38:39], v[66:67], v[50:51], v[76:77] op_sel_hi:[1,0,1]
	v_pk_mul_f32 v[44:45], v[92:93], v[78:79] op_sel_hi:[1,0]
	v_mov_b32_e32 v47, v41
	v_pk_fma_f32 v[40:41], v[66:67], v[50:51], v[76:77] neg_lo:[0,0,1] neg_hi:[0,0,1]
	v_pk_add_f32 v[34:35], v[34:35], v[42:43]
	s_wait_loadcnt 0x2
	v_pk_mul_f32 v[36:37], v[70:71], v[54:55] op_sel:[1,1] op_sel_hi:[0,1]
	v_dual_mov_b32 v38, v57 :: v_dual_mov_b32 v41, v39
	v_pk_fma_f32 v[42:43], v[68:69], v[52:53], v[44:45] op_sel_hi:[1,0,1]
	v_pk_add_f32 v[34:35], v[34:35], v[46:47]
	v_pk_fma_f32 v[44:45], v[68:69], v[52:53], v[44:45] neg_lo:[0,0,1] neg_hi:[0,0,1]
	v_pk_fma_f32 v[46:47], v[70:71], v[54:55], v[36:37] op_sel_hi:[1,0,1]
	v_pk_mul_f32 v[38:39], v[94:95], v[38:39] op_sel_hi:[1,0]
	v_dual_mov_b32 v45, v43 :: v_dual_ashrrev_i32 v9, 31, v8
	v_pk_add_f32 v[34:35], v[34:35], v[40:41]
	v_pk_fma_f32 v[36:37], v[70:71], v[54:55], v[36:37] neg_lo:[0,0,1] neg_hi:[0,0,1]
	v_dual_mov_b32 v37, v47 :: v_dual_ashrrev_i32 v11, 31, v10
	v_pk_fma_f32 v[40:41], v[72:73], v[56:57], v[38:39] op_sel_hi:[1,0,1]
	s_delay_alu instid0(VALU_DEP_4)
	v_pk_add_f32 v[34:35], v[34:35], v[44:45]
	s_wait_loadcnt_dscnt 0x100
	v_pk_mul_f32 v[42:43], v[86:87], v[82:83] op_sel:[1,1] op_sel_hi:[0,1]
	v_pk_fma_f32 v[38:39], v[72:73], v[56:57], v[38:39] neg_lo:[0,0,1] neg_hi:[0,0,1]
	v_dual_ashrrev_i32 v13, 31, v12 :: v_dual_mov_b32 v39, v41
	v_pk_add_f32 v[34:35], v[34:35], v[36:37]
	s_delay_alu instid0(VALU_DEP_4)
	v_pk_fma_f32 v[36:37], v[86:87], v[82:83], v[42:43] op_sel_hi:[1,0,1]
	v_pk_fma_f32 v[40:41], v[86:87], v[82:83], v[42:43] neg_lo:[0,0,1] neg_hi:[0,0,1]
	v_dual_ashrrev_i32 v15, 31, v14 :: v_dual_ashrrev_i32 v17, 31, v16
	v_ashrrev_i32_e32 v19, 31, v18
	v_pk_add_f32 v[34:35], v[34:35], v[38:39]
	v_dual_mov_b32 v41, v37 :: v_dual_ashrrev_i32 v21, 31, v20
	v_ashrrev_i32_e32 v23, 31, v22
	s_delay_alu instid0(VALU_DEP_2) | instskip(SKIP_1) | instid1(VALU_DEP_1)
	v_pk_add_f32 v[34:35], v[34:35], v[40:41]
	s_wait_loadcnt 0x0
	v_pk_add_f32 v[34:35], v[84:85], v[34:35] neg_lo:[0,1] neg_hi:[0,1]
	scratch_store_b64 off, v[34:35], off offset:8
	s_wait_xcnt 0x0
	v_cmpx_ne_u32_e32 0, v0
	s_cbranch_execz .LBB14_103
; %bb.102:
	scratch_load_b64 v[34:35], off, off
	v_mov_b64_e32 v[36:37], 0
	scratch_store_b64 off, v[36:37], off
	s_wait_loadcnt 0x0
	ds_store_b64 v1, v[34:35]
.LBB14_103:
	s_wait_xcnt 0x0
	s_or_b32 exec_lo, exec_lo, s0
	s_wait_storecnt_dscnt 0x0
	s_barrier_signal -1
	s_barrier_wait -1
	s_clause 0x7
	scratch_load_b128 v[34:37], off, off offset:8
	scratch_load_b128 v[38:41], off, off offset:24
	;; [unrolled: 1-line block ×7, first 2 shown]
	scratch_load_b64 v[0:1], off, off
	ds_load_2addr_b64 v[62:65], v32 offset0:23 offset1:24
	ds_load_2addr_b64 v[66:69], v32 offset0:25 offset1:26
	;; [unrolled: 1-line block ×7, first 2 shown]
	s_and_b32 vcc_lo, exec_lo, s18
	s_wait_dscnt 0x6
	v_dual_mov_b32 v32, v65 :: v_dual_mov_b32 v33, v64
	s_wait_dscnt 0x5
	v_dual_mov_b32 v90, v69 :: v_dual_mov_b32 v91, v68
	;; [unrolled: 2-line block ×4, first 2 shown]
	s_wait_loadcnt_dscnt 0x702
	v_dual_mul_f32 v96, v78, v35 :: v_dual_mul_f32 v98, v80, v37
	v_dual_mul_f32 v35, v79, v35 :: v_dual_mul_f32 v37, v81, v37
	s_wait_loadcnt_dscnt 0x601
	v_dual_mul_f32 v102, v82, v39 :: v_dual_mul_f32 v103, v84, v41
	s_delay_alu instid0(VALU_DEP_2) | instskip(SKIP_3) | instid1(VALU_DEP_3)
	v_dual_fmac_f32 v96, v79, v34 :: v_dual_fma_f32 v35, v78, v34, -v35
	v_dual_mul_f32 v39, v83, v39 :: v_dual_mul_f32 v41, v85, v41
	s_wait_loadcnt 0x4
	v_dual_mov_b32 v34, v49 :: v_dual_fma_f32 v78, v80, v36, -v37
	v_dual_fmac_f32 v98, v81, v36 :: v_dual_add_f32 v35, 0, v35
	v_dual_add_f32 v79, 0, v96 :: v_dual_fmac_f32 v102, v83, v38
	s_wait_loadcnt 0x3
	v_dual_fma_f32 v39, v82, v38, -v39 :: v_dual_mov_b32 v38, v53
	s_delay_alu instid0(VALU_DEP_3) | instskip(NEXT) | instid1(VALU_DEP_3)
	v_dual_add_f32 v35, v35, v78 :: v_dual_fma_f32 v78, v84, v40, -v41
	v_dual_add_f32 v79, v79, v98 :: v_dual_fmac_f32 v103, v85, v40
	s_wait_dscnt 0x0
	v_dual_mul_f32 v97, v86, v43 :: v_dual_mul_f32 v99, v88, v45
	v_dual_mul_f32 v43, v87, v43 :: v_dual_mul_f32 v45, v89, v45
	v_pk_mul_f32 v[100:101], v[62:63], v[46:47] op_sel:[1,1] op_sel_hi:[0,1]
	s_delay_alu instid0(VALU_DEP_3) | instskip(NEXT) | instid1(VALU_DEP_3)
	v_dual_add_f32 v79, v79, v102 :: v_dual_fmac_f32 v99, v89, v44
	v_dual_add_f32 v35, v35, v39 :: v_dual_fma_f32 v96, v86, v42, -v43
	v_fmac_f32_e32 v97, v87, v42
	s_delay_alu instid0(VALU_DEP_3) | instskip(SKIP_1) | instid1(VALU_DEP_4)
	v_dual_add_f32 v43, v79, v103 :: v_dual_fma_f32 v98, v88, v44, -v45
	v_pk_fma_f32 v[44:45], v[62:63], v[46:47], v[100:101] op_sel_hi:[1,0,1]
	v_add_f32_e32 v42, v35, v78
	v_pk_fma_f32 v[46:47], v[62:63], v[46:47], v[100:101] neg_lo:[0,0,1] neg_hi:[0,0,1]
	v_pk_mul_f32 v[32:33], v[32:33], v[34:35] op_sel_hi:[1,0]
	v_pk_mul_f32 v[36:37], v[66:67], v[50:51] op_sel:[1,1] op_sel_hi:[0,1]
	v_mov_b32_e32 v47, v45
	v_pk_add_f32 v[34:35], v[42:43], v[96:97]
	v_pk_mul_f32 v[38:39], v[90:91], v[38:39] op_sel_hi:[1,0]
	v_pk_fma_f32 v[44:45], v[64:65], v[48:49], v[32:33] op_sel_hi:[1,0,1]
	v_pk_fma_f32 v[32:33], v[64:65], v[48:49], v[32:33] neg_lo:[0,0,1] neg_hi:[0,0,1]
	v_pk_fma_f32 v[62:63], v[66:67], v[50:51], v[36:37] op_sel_hi:[1,0,1]
	v_pk_add_f32 v[34:35], v[34:35], v[98:99]
	v_pk_fma_f32 v[36:37], v[66:67], v[50:51], v[36:37] neg_lo:[0,0,1] neg_hi:[0,0,1]
	v_mov_b32_e32 v33, v45
	s_wait_loadcnt 0x2
	v_pk_mul_f32 v[40:41], v[70:71], v[54:55] op_sel:[1,1] op_sel_hi:[0,1]
	v_mov_b32_e32 v42, v57
	v_pk_add_f32 v[34:35], v[34:35], v[46:47]
	v_mov_b32_e32 v37, v63
	v_pk_fma_f32 v[46:47], v[68:69], v[52:53], v[38:39] op_sel_hi:[1,0,1]
	v_pk_fma_f32 v[38:39], v[68:69], v[52:53], v[38:39] neg_lo:[0,0,1] neg_hi:[0,0,1]
	v_pk_mul_f32 v[42:43], v[92:93], v[42:43] op_sel_hi:[1,0]
	v_pk_add_f32 v[32:33], v[34:35], v[32:33]
	v_pk_fma_f32 v[34:35], v[70:71], v[54:55], v[40:41] op_sel_hi:[1,0,1]
	s_wait_loadcnt 0x1
	v_dual_mov_b32 v39, v47 :: v_dual_mov_b32 v34, v61
	v_pk_mul_f32 v[44:45], v[74:75], v[58:59] op_sel:[1,1] op_sel_hi:[0,1]
	v_pk_add_f32 v[32:33], v[32:33], v[36:37]
	v_pk_fma_f32 v[36:37], v[70:71], v[54:55], v[40:41] neg_lo:[0,0,1] neg_hi:[0,0,1]
	v_pk_fma_f32 v[40:41], v[72:73], v[56:57], v[42:43] op_sel_hi:[1,0,1]
	v_mov_b32_e32 v37, v35
	v_pk_fma_f32 v[42:43], v[72:73], v[56:57], v[42:43] neg_lo:[0,0,1] neg_hi:[0,0,1]
	v_pk_add_f32 v[32:33], v[32:33], v[38:39]
	v_pk_fma_f32 v[38:39], v[74:75], v[58:59], v[44:45] op_sel_hi:[1,0,1]
	v_pk_mul_f32 v[34:35], v[94:95], v[34:35] op_sel_hi:[1,0]
	v_mov_b32_e32 v43, v41
	s_delay_alu instid0(VALU_DEP_4)
	v_pk_add_f32 v[32:33], v[32:33], v[36:37]
	v_pk_fma_f32 v[36:37], v[74:75], v[58:59], v[44:45] neg_lo:[0,0,1] neg_hi:[0,0,1]
	v_mov_b32_e32 v37, v39
	v_pk_fma_f32 v[38:39], v[76:77], v[60:61], v[34:35] op_sel_hi:[1,0,1]
	v_pk_fma_f32 v[34:35], v[76:77], v[60:61], v[34:35] neg_lo:[0,0,1] neg_hi:[0,0,1]
	v_pk_add_f32 v[32:33], v[32:33], v[42:43]
	s_delay_alu instid0(VALU_DEP_3) | instskip(NEXT) | instid1(VALU_DEP_2)
	v_mov_b32_e32 v35, v39
	v_pk_add_f32 v[32:33], v[32:33], v[36:37]
	s_delay_alu instid0(VALU_DEP_1) | instskip(SKIP_1) | instid1(VALU_DEP_1)
	v_pk_add_f32 v[32:33], v[32:33], v[34:35]
	s_wait_loadcnt 0x0
	v_pk_add_f32 v[0:1], v[0:1], v[32:33] neg_lo:[0,1] neg_hi:[0,1]
	scratch_store_b64 off, v[0:1], off
	s_cbranch_vccz .LBB14_132
; %bb.104:
	s_wait_xcnt 0x0
	v_mov_b32_e32 v0, 0
	global_load_b32 v1, v0, s[2:3] offset:52
	s_wait_loadcnt 0x0
	v_cmp_ne_u32_e32 vcc_lo, 14, v1
	s_cbranch_vccz .LBB14_106
; %bb.105:
	v_lshlrev_b32_e32 v1, 3, v1
	scratch_load_b64 v[32:33], v1, off offset:-8
	scratch_load_b64 v[34:35], off, off offset:104
	s_wait_loadcnt 0x1
	scratch_store_b64 off, v[32:33], off offset:104
	s_wait_loadcnt 0x0
	scratch_store_b64 v1, v[34:35], off offset:-8
.LBB14_106:
	global_load_b32 v0, v0, s[2:3] offset:48
	s_wait_loadcnt 0x0
	v_cmp_eq_u32_e32 vcc_lo, 13, v0
	s_cbranch_vccnz .LBB14_108
; %bb.107:
	s_wait_xcnt 0x0
	v_lshlrev_b32_e32 v0, 3, v0
	s_delay_alu instid0(VALU_DEP_1)
	v_mov_b32_e32 v34, v0
	scratch_load_b64 v[0:1], v34, off offset:-8
	scratch_load_b64 v[32:33], off, off offset:96
	s_wait_loadcnt 0x1
	scratch_store_b64 off, v[0:1], off offset:96
	s_wait_loadcnt 0x0
	scratch_store_b64 v34, v[32:33], off offset:-8
.LBB14_108:
	s_wait_xcnt 0x0
	v_mov_b32_e32 v0, 0
	global_load_b32 v1, v0, s[2:3] offset:44
	s_wait_loadcnt 0x0
	v_cmp_eq_u32_e32 vcc_lo, 12, v1
	s_cbranch_vccnz .LBB14_110
; %bb.109:
	v_lshlrev_b32_e32 v1, 3, v1
	scratch_load_b64 v[32:33], v1, off offset:-8
	scratch_load_b64 v[34:35], off, off offset:88
	s_wait_loadcnt 0x1
	scratch_store_b64 off, v[32:33], off offset:88
	s_wait_loadcnt 0x0
	scratch_store_b64 v1, v[34:35], off offset:-8
.LBB14_110:
	global_load_b32 v0, v0, s[2:3] offset:40
	s_wait_loadcnt 0x0
	v_cmp_eq_u32_e32 vcc_lo, 11, v0
	s_cbranch_vccnz .LBB14_112
; %bb.111:
	s_wait_xcnt 0x0
	v_lshlrev_b32_e32 v0, 3, v0
	s_delay_alu instid0(VALU_DEP_1)
	v_mov_b32_e32 v34, v0
	scratch_load_b64 v[0:1], v34, off offset:-8
	scratch_load_b64 v[32:33], off, off offset:80
	s_wait_loadcnt 0x1
	scratch_store_b64 off, v[0:1], off offset:80
	s_wait_loadcnt 0x0
	scratch_store_b64 v34, v[32:33], off offset:-8
.LBB14_112:
	s_wait_xcnt 0x0
	v_mov_b32_e32 v0, 0
	global_load_b32 v1, v0, s[2:3] offset:36
	s_wait_loadcnt 0x0
	v_cmp_eq_u32_e32 vcc_lo, 10, v1
	s_cbranch_vccnz .LBB14_114
; %bb.113:
	v_lshlrev_b32_e32 v1, 3, v1
	scratch_load_b64 v[32:33], v1, off offset:-8
	scratch_load_b64 v[34:35], off, off offset:72
	s_wait_loadcnt 0x1
	scratch_store_b64 off, v[32:33], off offset:72
	s_wait_loadcnt 0x0
	scratch_store_b64 v1, v[34:35], off offset:-8
.LBB14_114:
	;; [unrolled: 31-line block ×6, first 2 shown]
	global_load_b32 v32, v0, s[2:3]
	scratch_load_b64 v[0:1], off, off
	s_wait_loadcnt 0x1
	v_cmp_eq_u32_e32 vcc_lo, 1, v32
	s_cbranch_vccnz .LBB14_132
; %bb.131:
	v_lshlrev_b32_e32 v32, 3, v32
	s_delay_alu instid0(VALU_DEP_1)
	v_mov_b32_e32 v34, v32
	scratch_load_b64 v[32:33], v34, off offset:-8
	s_wait_loadcnt 0x0
	scratch_store_b64 off, v[32:33], off
	scratch_store_b64 v34, v[0:1], off offset:-8
	scratch_load_b64 v[0:1], off, off
.LBB14_132:
	v_lshl_add_u64 v[32:33], v[6:7], 3, s[4:5]
	v_lshl_add_u64 v[34:35], v[8:9], 3, s[4:5]
	;; [unrolled: 1-line block ×4, first 2 shown]
	s_clause 0x6
	scratch_load_b128 v[28:31], off, off offset:8
	scratch_load_b128 v[36:39], off, off offset:24
	scratch_load_b128 v[40:43], off, off offset:40
	scratch_load_b128 v[44:47], off, off offset:56
	scratch_load_b128 v[48:51], off, off offset:72
	scratch_load_b128 v[52:55], off, off offset:88
	scratch_load_b128 v[56:59], off, off offset:104
	v_lshl_add_u64 v[10:11], v[10:11], 3, s[4:5]
	v_lshl_add_u64 v[12:13], v[12:13], 3, s[4:5]
	v_lshl_add_u64 v[14:15], v[14:15], 3, s[4:5]
	v_lshl_add_u64 v[16:17], v[16:17], 3, s[4:5]
	v_lshl_add_u64 v[18:19], v[18:19], 3, s[4:5]
	v_lshl_add_u64 v[20:21], v[20:21], 3, s[4:5]
	v_lshl_add_u64 v[22:23], v[22:23], 3, s[4:5]
	v_lshl_add_u64 v[24:25], v[24:25], 3, s[4:5]
	v_lshl_add_u64 v[26:27], v[26:27], 3, s[4:5]
	s_wait_loadcnt 0x7
	global_store_b64 v[2:3], v[0:1], off
	s_wait_loadcnt 0x6
	s_clause 0x1
	global_store_b64 v[4:5], v[28:29], off
	global_store_b64 v[32:33], v[30:31], off
	s_wait_loadcnt 0x5
	s_clause 0x1
	global_store_b64 v[34:35], v[36:37], off
	;; [unrolled: 4-line block ×7, first 2 shown]
	global_store_b64 v[8:9], v[58:59], off
	s_sendmsg sendmsg(MSG_DEALLOC_VGPRS)
	s_endpgm
	.section	.rodata,"a",@progbits
	.p2align	6, 0x0
	.amdhsa_kernel _ZN9rocsolver6v33100L18getri_kernel_smallILi15E19rocblas_complex_numIfEPS3_EEvT1_iilPiilS6_bb
		.amdhsa_group_segment_fixed_size 248
		.amdhsa_private_segment_fixed_size 128
		.amdhsa_kernarg_size 60
		.amdhsa_user_sgpr_count 2
		.amdhsa_user_sgpr_dispatch_ptr 0
		.amdhsa_user_sgpr_queue_ptr 0
		.amdhsa_user_sgpr_kernarg_segment_ptr 1
		.amdhsa_user_sgpr_dispatch_id 0
		.amdhsa_user_sgpr_kernarg_preload_length 0
		.amdhsa_user_sgpr_kernarg_preload_offset 0
		.amdhsa_user_sgpr_private_segment_size 0
		.amdhsa_wavefront_size32 1
		.amdhsa_uses_dynamic_stack 0
		.amdhsa_enable_private_segment 1
		.amdhsa_system_sgpr_workgroup_id_x 1
		.amdhsa_system_sgpr_workgroup_id_y 0
		.amdhsa_system_sgpr_workgroup_id_z 0
		.amdhsa_system_sgpr_workgroup_info 0
		.amdhsa_system_vgpr_workitem_id 0
		.amdhsa_next_free_vgpr 104
		.amdhsa_next_free_sgpr 19
		.amdhsa_named_barrier_count 0
		.amdhsa_reserve_vcc 1
		.amdhsa_float_round_mode_32 0
		.amdhsa_float_round_mode_16_64 0
		.amdhsa_float_denorm_mode_32 3
		.amdhsa_float_denorm_mode_16_64 3
		.amdhsa_fp16_overflow 0
		.amdhsa_memory_ordered 1
		.amdhsa_forward_progress 1
		.amdhsa_inst_pref_size 116
		.amdhsa_round_robin_scheduling 0
		.amdhsa_exception_fp_ieee_invalid_op 0
		.amdhsa_exception_fp_denorm_src 0
		.amdhsa_exception_fp_ieee_div_zero 0
		.amdhsa_exception_fp_ieee_overflow 0
		.amdhsa_exception_fp_ieee_underflow 0
		.amdhsa_exception_fp_ieee_inexact 0
		.amdhsa_exception_int_div_zero 0
	.end_amdhsa_kernel
	.section	.text._ZN9rocsolver6v33100L18getri_kernel_smallILi15E19rocblas_complex_numIfEPS3_EEvT1_iilPiilS6_bb,"axG",@progbits,_ZN9rocsolver6v33100L18getri_kernel_smallILi15E19rocblas_complex_numIfEPS3_EEvT1_iilPiilS6_bb,comdat
.Lfunc_end14:
	.size	_ZN9rocsolver6v33100L18getri_kernel_smallILi15E19rocblas_complex_numIfEPS3_EEvT1_iilPiilS6_bb, .Lfunc_end14-_ZN9rocsolver6v33100L18getri_kernel_smallILi15E19rocblas_complex_numIfEPS3_EEvT1_iilPiilS6_bb
                                        ; -- End function
	.set _ZN9rocsolver6v33100L18getri_kernel_smallILi15E19rocblas_complex_numIfEPS3_EEvT1_iilPiilS6_bb.num_vgpr, 104
	.set _ZN9rocsolver6v33100L18getri_kernel_smallILi15E19rocblas_complex_numIfEPS3_EEvT1_iilPiilS6_bb.num_agpr, 0
	.set _ZN9rocsolver6v33100L18getri_kernel_smallILi15E19rocblas_complex_numIfEPS3_EEvT1_iilPiilS6_bb.numbered_sgpr, 19
	.set _ZN9rocsolver6v33100L18getri_kernel_smallILi15E19rocblas_complex_numIfEPS3_EEvT1_iilPiilS6_bb.num_named_barrier, 0
	.set _ZN9rocsolver6v33100L18getri_kernel_smallILi15E19rocblas_complex_numIfEPS3_EEvT1_iilPiilS6_bb.private_seg_size, 128
	.set _ZN9rocsolver6v33100L18getri_kernel_smallILi15E19rocblas_complex_numIfEPS3_EEvT1_iilPiilS6_bb.uses_vcc, 1
	.set _ZN9rocsolver6v33100L18getri_kernel_smallILi15E19rocblas_complex_numIfEPS3_EEvT1_iilPiilS6_bb.uses_flat_scratch, 1
	.set _ZN9rocsolver6v33100L18getri_kernel_smallILi15E19rocblas_complex_numIfEPS3_EEvT1_iilPiilS6_bb.has_dyn_sized_stack, 0
	.set _ZN9rocsolver6v33100L18getri_kernel_smallILi15E19rocblas_complex_numIfEPS3_EEvT1_iilPiilS6_bb.has_recursion, 0
	.set _ZN9rocsolver6v33100L18getri_kernel_smallILi15E19rocblas_complex_numIfEPS3_EEvT1_iilPiilS6_bb.has_indirect_call, 0
	.section	.AMDGPU.csdata,"",@progbits
; Kernel info:
; codeLenInByte = 14728
; TotalNumSgprs: 21
; NumVgprs: 104
; ScratchSize: 128
; MemoryBound: 0
; FloatMode: 240
; IeeeMode: 1
; LDSByteSize: 248 bytes/workgroup (compile time only)
; SGPRBlocks: 0
; VGPRBlocks: 6
; NumSGPRsForWavesPerEU: 21
; NumVGPRsForWavesPerEU: 104
; NamedBarCnt: 0
; Occupancy: 9
; WaveLimiterHint : 1
; COMPUTE_PGM_RSRC2:SCRATCH_EN: 1
; COMPUTE_PGM_RSRC2:USER_SGPR: 2
; COMPUTE_PGM_RSRC2:TRAP_HANDLER: 0
; COMPUTE_PGM_RSRC2:TGID_X_EN: 1
; COMPUTE_PGM_RSRC2:TGID_Y_EN: 0
; COMPUTE_PGM_RSRC2:TGID_Z_EN: 0
; COMPUTE_PGM_RSRC2:TIDIG_COMP_CNT: 0
	.section	.text._ZN9rocsolver6v33100L18getri_kernel_smallILi16E19rocblas_complex_numIfEPS3_EEvT1_iilPiilS6_bb,"axG",@progbits,_ZN9rocsolver6v33100L18getri_kernel_smallILi16E19rocblas_complex_numIfEPS3_EEvT1_iilPiilS6_bb,comdat
	.globl	_ZN9rocsolver6v33100L18getri_kernel_smallILi16E19rocblas_complex_numIfEPS3_EEvT1_iilPiilS6_bb ; -- Begin function _ZN9rocsolver6v33100L18getri_kernel_smallILi16E19rocblas_complex_numIfEPS3_EEvT1_iilPiilS6_bb
	.p2align	8
	.type	_ZN9rocsolver6v33100L18getri_kernel_smallILi16E19rocblas_complex_numIfEPS3_EEvT1_iilPiilS6_bb,@function
_ZN9rocsolver6v33100L18getri_kernel_smallILi16E19rocblas_complex_numIfEPS3_EEvT1_iilPiilS6_bb: ; @_ZN9rocsolver6v33100L18getri_kernel_smallILi16E19rocblas_complex_numIfEPS3_EEvT1_iilPiilS6_bb
; %bb.0:
	s_mov_b32 s2, exec_lo
	v_cmpx_gt_u32_e32 16, v0
	s_cbranch_execz .LBB15_78
; %bb.1:
	s_clause 0x2
	s_load_b32 s2, s[0:1], 0x38
	s_load_b128 s[12:15], s[0:1], 0x10
	s_load_b128 s[4:7], s[0:1], 0x28
	s_getreg_b32 s9, hwreg(HW_REG_IB_STS2, 6, 4)
	s_wait_kmcnt 0x0
	s_bitcmp1_b32 s2, 8
	s_cselect_b32 s18, -1, 0
	s_bfe_u32 s3, ttmp6, 0x4000c
	s_and_b32 s8, ttmp6, 15
	s_add_co_i32 s3, s3, 1
	s_delay_alu instid0(SALU_CYCLE_1) | instskip(NEXT) | instid1(SALU_CYCLE_1)
	s_mul_i32 s3, ttmp9, s3
	s_add_co_i32 s8, s8, s3
	s_cmp_eq_u32 s9, 0
	s_cselect_b32 s16, ttmp9, s8
	s_bfe_u32 s2, s2, 0x10008
	s_ashr_i32 s17, s16, 31
	s_cmp_eq_u32 s2, 0
                                        ; implicit-def: $sgpr2_sgpr3
	s_cbranch_scc1 .LBB15_3
; %bb.2:
	s_load_b32 s2, s[0:1], 0x20
	s_mul_u64 s[4:5], s[4:5], s[16:17]
	s_delay_alu instid0(SALU_CYCLE_1) | instskip(NEXT) | instid1(SALU_CYCLE_1)
	s_lshl_b64 s[4:5], s[4:5], 2
	s_add_nc_u64 s[4:5], s[14:15], s[4:5]
	s_wait_kmcnt 0x0
	s_ashr_i32 s3, s2, 31
	s_delay_alu instid0(SALU_CYCLE_1) | instskip(NEXT) | instid1(SALU_CYCLE_1)
	s_lshl_b64 s[2:3], s[2:3], 2
	s_add_nc_u64 s[2:3], s[4:5], s[2:3]
.LBB15_3:
	s_clause 0x1
	s_load_b128 s[8:11], s[0:1], 0x0
	s_load_b32 s14, s[0:1], 0x38
	s_wait_xcnt 0x0
	s_mul_u64 s[0:1], s[12:13], s[16:17]
	v_lshlrev_b32_e32 v34, 3, v0
	s_lshl_b64 s[0:1], s[0:1], 3
	v_mov_b32_e32 v35, 0
	s_wait_kmcnt 0x0
	v_add3_u32 v6, s11, s11, v0
	s_ashr_i32 s5, s10, 31
	s_mov_b32 s4, s10
	s_add_nc_u64 s[0:1], s[8:9], s[0:1]
	s_lshl_b64 s[4:5], s[4:5], 3
	v_add_nc_u32_e32 v8, s11, v6
	s_add_nc_u64 s[4:5], s[0:1], s[4:5]
	s_ashr_i32 s1, s11, 31
	s_mov_b32 s0, s11
	s_bitcmp0_b32 s14, 0
	v_add_nc_u32_e32 v10, s11, v8
	v_add_nc_u64_e32 v[2:3], s[4:5], v[34:35]
	s_delay_alu instid0(VALU_DEP_2) | instskip(NEXT) | instid1(VALU_DEP_2)
	v_add_nc_u32_e32 v12, s11, v10
	v_lshl_add_u64 v[4:5], s[0:1], 3, v[2:3]
	s_mov_b32 s1, -1
	s_delay_alu instid0(VALU_DEP_2)
	v_add_nc_u32_e32 v14, s11, v12
	s_clause 0x1
	global_load_b64 v[36:37], v0, s[4:5] scale_offset
	global_load_b64 v[38:39], v[4:5], off
	v_add_nc_u32_e32 v16, s11, v14
	s_clause 0x3
	global_load_b64 v[40:41], v6, s[4:5] scale_offset
	global_load_b64 v[42:43], v8, s[4:5] scale_offset
	;; [unrolled: 1-line block ×4, first 2 shown]
	v_add_nc_u32_e32 v18, s11, v16
	s_delay_alu instid0(VALU_DEP_1) | instskip(NEXT) | instid1(VALU_DEP_1)
	v_add_nc_u32_e32 v20, s11, v18
	v_add_nc_u32_e32 v22, s11, v20
	s_delay_alu instid0(VALU_DEP_1) | instskip(NEXT) | instid1(VALU_DEP_1)
	v_add_nc_u32_e32 v24, s11, v22
	v_add_nc_u32_e32 v26, s11, v24
	s_clause 0x3
	global_load_b64 v[48:49], v14, s[4:5] scale_offset
	global_load_b64 v[50:51], v16, s[4:5] scale_offset
	;; [unrolled: 1-line block ×4, first 2 shown]
	v_add_nc_u32_e32 v28, s11, v26
	s_delay_alu instid0(VALU_DEP_1) | instskip(NEXT) | instid1(VALU_DEP_1)
	v_add_nc_u32_e32 v30, s11, v28
	v_add_nc_u32_e32 v32, s11, v30
	s_clause 0x5
	global_load_b64 v[56:57], v22, s[4:5] scale_offset
	global_load_b64 v[58:59], v24, s[4:5] scale_offset
	;; [unrolled: 1-line block ×6, first 2 shown]
	s_wait_loadcnt 0xe
	scratch_store_b128 off, v[36:39], off
	s_wait_loadcnt 0xc
	scratch_store_b128 off, v[40:43], off offset:16
	s_wait_loadcnt 0xa
	scratch_store_b128 off, v[44:47], off offset:32
	;; [unrolled: 2-line block ×7, first 2 shown]
	s_cbranch_scc1 .LBB15_76
; %bb.4:
	v_cmp_eq_u32_e64 s0, 0, v0
	s_wait_xcnt 0x0
	s_and_saveexec_b32 s1, s0
; %bb.5:
	v_mov_b32_e32 v1, 0
	ds_store_b32 v1, v1 offset:256
; %bb.6:
	s_or_b32 exec_lo, exec_lo, s1
	s_wait_storecnt_dscnt 0x0
	s_barrier_signal -1
	s_barrier_wait -1
	scratch_load_b64 v[36:37], v0, off scale_offset
	s_wait_loadcnt 0x0
	v_cmp_eq_f32_e32 vcc_lo, 0, v36
	v_cmp_eq_f32_e64 s1, 0, v37
	s_and_b32 s1, vcc_lo, s1
	s_delay_alu instid0(SALU_CYCLE_1)
	s_and_saveexec_b32 s8, s1
	s_cbranch_execz .LBB15_10
; %bb.7:
	v_mov_b32_e32 v1, 0
	s_mov_b32 s9, 0
	ds_load_b32 v7, v1 offset:256
	s_wait_dscnt 0x0
	v_readfirstlane_b32 s1, v7
	v_add_nc_u32_e32 v7, 1, v0
	s_cmp_eq_u32 s1, 0
	s_delay_alu instid0(VALU_DEP_1) | instskip(SKIP_1) | instid1(SALU_CYCLE_1)
	v_cmp_gt_i32_e32 vcc_lo, s1, v7
	s_cselect_b32 s10, -1, 0
	s_or_b32 s10, s10, vcc_lo
	s_delay_alu instid0(SALU_CYCLE_1)
	s_and_b32 exec_lo, exec_lo, s10
	s_cbranch_execz .LBB15_10
; %bb.8:
	v_mov_b32_e32 v9, s1
.LBB15_9:                               ; =>This Inner Loop Header: Depth=1
	ds_cmpstore_rtn_b32 v9, v1, v7, v9 offset:256
	s_wait_dscnt 0x0
	v_cmp_ne_u32_e32 vcc_lo, 0, v9
	v_cmp_le_i32_e64 s1, v9, v7
	s_and_b32 s1, vcc_lo, s1
	s_delay_alu instid0(SALU_CYCLE_1) | instskip(NEXT) | instid1(SALU_CYCLE_1)
	s_and_b32 s1, exec_lo, s1
	s_or_b32 s9, s1, s9
	s_delay_alu instid0(SALU_CYCLE_1)
	s_and_not1_b32 exec_lo, exec_lo, s9
	s_cbranch_execnz .LBB15_9
.LBB15_10:
	s_or_b32 exec_lo, exec_lo, s8
	v_mov_b32_e32 v1, 0
	s_barrier_signal -1
	s_barrier_wait -1
	ds_load_b32 v7, v1 offset:256
	s_and_saveexec_b32 s1, s0
	s_cbranch_execz .LBB15_12
; %bb.11:
	s_lshl_b64 s[8:9], s[16:17], 2
	s_delay_alu instid0(SALU_CYCLE_1)
	s_add_nc_u64 s[8:9], s[6:7], s[8:9]
	s_wait_dscnt 0x0
	global_store_b32 v1, v7, s[8:9]
.LBB15_12:
	s_wait_xcnt 0x0
	s_or_b32 exec_lo, exec_lo, s1
	s_wait_dscnt 0x0
	v_cmp_ne_u32_e32 vcc_lo, 0, v7
	s_mov_b32 s1, 0
	s_cbranch_vccnz .LBB15_76
; %bb.13:
	v_lshl_add_u32 v7, v0, 3, 0
                                        ; implicit-def: $vgpr39
                                        ; implicit-def: $vgpr40
	scratch_load_b64 v[36:37], v7, off
	s_wait_loadcnt 0x0
	v_cmp_ngt_f32_e64 s1, |v36|, |v37|
	s_wait_xcnt 0x0
	s_and_saveexec_b32 s8, s1
	s_delay_alu instid0(SALU_CYCLE_1)
	s_xor_b32 s1, exec_lo, s8
	s_cbranch_execz .LBB15_15
; %bb.14:
	v_div_scale_f32 v1, null, v37, v37, v36
	v_div_scale_f32 v13, vcc_lo, v36, v37, v36
	s_delay_alu instid0(VALU_DEP_2) | instskip(SKIP_1) | instid1(TRANS32_DEP_1)
	v_rcp_f32_e32 v9, v1
	v_nop
	v_fma_f32 v11, -v1, v9, 1.0
	s_delay_alu instid0(VALU_DEP_1) | instskip(NEXT) | instid1(VALU_DEP_1)
	v_fmac_f32_e32 v9, v11, v9
	v_mul_f32_e32 v11, v13, v9
	s_delay_alu instid0(VALU_DEP_1) | instskip(NEXT) | instid1(VALU_DEP_1)
	v_fma_f32 v15, -v1, v11, v13
	v_fmac_f32_e32 v11, v15, v9
	s_delay_alu instid0(VALU_DEP_1) | instskip(NEXT) | instid1(VALU_DEP_1)
	v_fma_f32 v1, -v1, v11, v13
	v_div_fmas_f32 v1, v1, v9, v11
	s_delay_alu instid0(VALU_DEP_1) | instskip(NEXT) | instid1(VALU_DEP_1)
	v_div_fixup_f32 v1, v1, v37, v36
	v_fmac_f32_e32 v37, v36, v1
	s_delay_alu instid0(VALU_DEP_1) | instskip(NEXT) | instid1(VALU_DEP_1)
	v_div_scale_f32 v9, null, v37, v37, -1.0
	v_rcp_f32_e32 v11, v9
	v_nop
	s_delay_alu instid0(TRANS32_DEP_1) | instskip(NEXT) | instid1(VALU_DEP_1)
	v_fma_f32 v13, -v9, v11, 1.0
	v_fmac_f32_e32 v11, v13, v11
	v_div_scale_f32 v13, vcc_lo, -1.0, v37, -1.0
	s_delay_alu instid0(VALU_DEP_1) | instskip(NEXT) | instid1(VALU_DEP_1)
	v_mul_f32_e32 v15, v13, v11
	v_fma_f32 v17, -v9, v15, v13
	s_delay_alu instid0(VALU_DEP_1) | instskip(NEXT) | instid1(VALU_DEP_1)
	v_fmac_f32_e32 v15, v17, v11
	v_fma_f32 v9, -v9, v15, v13
	s_delay_alu instid0(VALU_DEP_1) | instskip(NEXT) | instid1(VALU_DEP_1)
	v_div_fmas_f32 v9, v9, v11, v15
	v_div_fixup_f32 v39, v9, v37, -1.0
                                        ; implicit-def: $vgpr36_vgpr37
	s_delay_alu instid0(VALU_DEP_1) | instskip(NEXT) | instid1(VALU_DEP_1)
	v_mul_f32_e32 v40, v1, v39
	v_xor_b32_e32 v38, 0x80000000, v40
.LBB15_15:
	s_and_not1_saveexec_b32 s1, s1
	s_cbranch_execz .LBB15_17
; %bb.16:
	v_div_scale_f32 v1, null, v36, v36, v37
	v_div_scale_f32 v13, vcc_lo, v37, v36, v37
	s_delay_alu instid0(VALU_DEP_2) | instskip(SKIP_1) | instid1(TRANS32_DEP_1)
	v_rcp_f32_e32 v9, v1
	v_nop
	v_fma_f32 v11, -v1, v9, 1.0
	s_delay_alu instid0(VALU_DEP_1) | instskip(NEXT) | instid1(VALU_DEP_1)
	v_fmac_f32_e32 v9, v11, v9
	v_mul_f32_e32 v11, v13, v9
	s_delay_alu instid0(VALU_DEP_1) | instskip(NEXT) | instid1(VALU_DEP_1)
	v_fma_f32 v15, -v1, v11, v13
	v_fmac_f32_e32 v11, v15, v9
	s_delay_alu instid0(VALU_DEP_1) | instskip(NEXT) | instid1(VALU_DEP_1)
	v_fma_f32 v1, -v1, v11, v13
	v_div_fmas_f32 v1, v1, v9, v11
	s_delay_alu instid0(VALU_DEP_1) | instskip(NEXT) | instid1(VALU_DEP_1)
	v_div_fixup_f32 v1, v1, v36, v37
	v_fmac_f32_e32 v36, v37, v1
	s_delay_alu instid0(VALU_DEP_1) | instskip(SKIP_1) | instid1(VALU_DEP_2)
	v_div_scale_f32 v9, null, v36, v36, 1.0
	v_div_scale_f32 v15, vcc_lo, 1.0, v36, 1.0
	v_rcp_f32_e32 v11, v9
	v_nop
	s_delay_alu instid0(TRANS32_DEP_1) | instskip(NEXT) | instid1(VALU_DEP_1)
	v_fma_f32 v13, -v9, v11, 1.0
	v_fmac_f32_e32 v11, v13, v11
	s_delay_alu instid0(VALU_DEP_1) | instskip(NEXT) | instid1(VALU_DEP_1)
	v_mul_f32_e32 v13, v15, v11
	v_fma_f32 v17, -v9, v13, v15
	s_delay_alu instid0(VALU_DEP_1) | instskip(NEXT) | instid1(VALU_DEP_1)
	v_fmac_f32_e32 v13, v17, v11
	v_fma_f32 v9, -v9, v13, v15
	s_delay_alu instid0(VALU_DEP_1) | instskip(NEXT) | instid1(VALU_DEP_1)
	v_div_fmas_f32 v9, v9, v11, v13
	v_div_fixup_f32 v38, v9, v36, 1.0
	s_delay_alu instid0(VALU_DEP_1)
	v_xor_b32_e32 v40, 0x80000000, v38
	v_mul_f32_e64 v39, v1, -v38
.LBB15_17:
	s_or_b32 exec_lo, exec_lo, s1
	scratch_store_b64 v7, v[38:39], off
	scratch_load_b64 v[36:37], off, off offset:8
	v_xor_b32_e32 v41, 0x80000000, v39
	v_add_nc_u32_e32 v1, 0x80, v34
	s_wait_loadcnt 0x0
	ds_store_2addr_b64 v34, v[40:41], v[36:37] offset1:16
	s_wait_storecnt_dscnt 0x0
	s_barrier_signal -1
	s_barrier_wait -1
	s_wait_xcnt 0x0
	s_and_saveexec_b32 s1, s0
	s_cbranch_execz .LBB15_19
; %bb.18:
	scratch_load_b64 v[36:37], v7, off
	ds_load_b64 v[38:39], v1
	s_wait_loadcnt_dscnt 0x0
	v_pk_mul_f32 v[42:43], v[38:39], v[36:37] op_sel:[1,1] op_sel_hi:[0,1]
	s_delay_alu instid0(VALU_DEP_1) | instskip(SKIP_2) | instid1(VALU_DEP_3)
	v_pk_fma_f32 v[44:45], v[38:39], v[36:37], v[42:43] op_sel_hi:[1,0,1]
	v_mov_b32_e32 v9, 0
	v_pk_fma_f32 v[36:37], v[38:39], v[36:37], v[42:43] neg_lo:[0,0,1] neg_hi:[0,0,1]
	v_mov_b32_e32 v37, v45
	ds_load_b64 v[40:41], v9 offset:8
	v_pk_add_f32 v[36:37], v[36:37], 0 op_sel_hi:[1,0]
	s_wait_dscnt 0x0
	s_delay_alu instid0(VALU_DEP_1) | instskip(NEXT) | instid1(VALU_DEP_1)
	v_pk_mul_f32 v[38:39], v[36:37], v[40:41] op_sel:[1,1] op_sel_hi:[0,1]
	v_pk_fma_f32 v[42:43], v[36:37], v[40:41], v[38:39] op_sel_hi:[1,0,1]
	v_pk_fma_f32 v[36:37], v[36:37], v[40:41], v[38:39] neg_lo:[0,0,1] neg_hi:[0,0,1]
	s_delay_alu instid0(VALU_DEP_2)
	v_mov_b32_e32 v37, v43
	scratch_store_b64 off, v[36:37], off offset:8
.LBB15_19:
	s_wait_xcnt 0x0
	s_or_b32 exec_lo, exec_lo, s1
	s_wait_storecnt 0x0
	s_barrier_signal -1
	s_barrier_wait -1
	scratch_load_b64 v[36:37], off, off offset:16
	s_mov_b32 s1, exec_lo
	s_wait_loadcnt 0x0
	ds_store_b64 v1, v[36:37]
	s_wait_dscnt 0x0
	s_barrier_signal -1
	s_barrier_wait -1
	v_cmpx_gt_u32_e32 2, v0
	s_cbranch_execz .LBB15_23
; %bb.20:
	scratch_load_b64 v[36:37], v7, off
	ds_load_b64 v[38:39], v1
	s_wait_loadcnt_dscnt 0x0
	v_pk_mul_f32 v[40:41], v[38:39], v[36:37] op_sel:[1,1] op_sel_hi:[0,1]
	s_delay_alu instid0(VALU_DEP_1) | instskip(SKIP_1) | instid1(VALU_DEP_2)
	v_pk_fma_f32 v[42:43], v[38:39], v[36:37], v[40:41] op_sel_hi:[1,0,1]
	v_pk_fma_f32 v[36:37], v[38:39], v[36:37], v[40:41] neg_lo:[0,0,1] neg_hi:[0,0,1]
	v_mov_b32_e32 v37, v43
	s_delay_alu instid0(VALU_DEP_1)
	v_pk_add_f32 v[36:37], v[36:37], 0 op_sel_hi:[1,0]
	s_and_saveexec_b32 s8, s0
	s_cbranch_execz .LBB15_22
; %bb.21:
	scratch_load_b64 v[38:39], off, off offset:8
	v_mov_b32_e32 v7, 0
	ds_load_b64 v[40:41], v7 offset:136
	s_wait_loadcnt_dscnt 0x0
	v_pk_mul_f32 v[42:43], v[40:41], v[38:39] op_sel:[1,1] op_sel_hi:[0,1]
	s_delay_alu instid0(VALU_DEP_1) | instskip(SKIP_1) | instid1(VALU_DEP_2)
	v_pk_fma_f32 v[44:45], v[40:41], v[38:39], v[42:43] op_sel_hi:[1,0,1]
	v_pk_fma_f32 v[38:39], v[40:41], v[38:39], v[42:43] neg_lo:[0,0,1] neg_hi:[0,0,1]
	v_mov_b32_e32 v39, v45
	s_delay_alu instid0(VALU_DEP_1)
	v_pk_add_f32 v[36:37], v[36:37], v[38:39]
.LBB15_22:
	s_or_b32 exec_lo, exec_lo, s8
	v_mov_b32_e32 v7, 0
	ds_load_b64 v[38:39], v7 offset:16
	s_wait_dscnt 0x0
	v_pk_mul_f32 v[40:41], v[36:37], v[38:39] op_sel:[1,1] op_sel_hi:[0,1]
	s_delay_alu instid0(VALU_DEP_1) | instskip(SKIP_1) | instid1(VALU_DEP_2)
	v_pk_fma_f32 v[42:43], v[36:37], v[38:39], v[40:41] op_sel_hi:[1,0,1]
	v_pk_fma_f32 v[36:37], v[36:37], v[38:39], v[40:41] neg_lo:[0,0,1] neg_hi:[0,0,1]
	v_mov_b32_e32 v37, v43
	scratch_store_b64 off, v[36:37], off offset:16
.LBB15_23:
	s_wait_xcnt 0x0
	s_or_b32 exec_lo, exec_lo, s1
	s_wait_storecnt 0x0
	s_barrier_signal -1
	s_barrier_wait -1
	scratch_load_b64 v[36:37], off, off offset:24
	v_add_nc_u32_e32 v7, -1, v0
	s_mov_b32 s0, exec_lo
	s_wait_loadcnt 0x0
	ds_store_b64 v1, v[36:37]
	s_wait_dscnt 0x0
	s_barrier_signal -1
	s_barrier_wait -1
	v_cmpx_gt_u32_e32 3, v0
	s_cbranch_execz .LBB15_27
; %bb.24:
	v_dual_mov_b32 v36, 0 :: v_dual_add_nc_u32 v9, -1, v0
	v_add_nc_u32_e32 v11, 0x80, v34
	v_mov_b32_e32 v13, v34
	s_mov_b32 s1, 0
	s_delay_alu instid0(VALU_DEP_3)
	v_mov_b32_e32 v37, v36
.LBB15_25:                              ; =>This Inner Loop Header: Depth=1
	scratch_load_b64 v[38:39], v13, off
	ds_load_b64 v[40:41], v11
	s_wait_xcnt 0x0
	v_dual_add_nc_u32 v11, 8, v11 :: v_dual_add_nc_u32 v13, 8, v13
	s_wait_loadcnt_dscnt 0x0
	v_pk_mul_f32 v[42:43], v[40:41], v[38:39] op_sel:[1,1] op_sel_hi:[0,1]
	s_delay_alu instid0(VALU_DEP_1) | instskip(SKIP_2) | instid1(VALU_DEP_3)
	v_pk_fma_f32 v[44:45], v[40:41], v[38:39], v[42:43] op_sel_hi:[1,0,1]
	v_add_nc_u32_e32 v9, 1, v9
	v_pk_fma_f32 v[38:39], v[40:41], v[38:39], v[42:43] neg_lo:[0,0,1] neg_hi:[0,0,1]
	v_mov_b32_e32 v39, v45
	s_delay_alu instid0(VALU_DEP_3) | instskip(NEXT) | instid1(VALU_DEP_2)
	v_cmp_lt_u32_e32 vcc_lo, 1, v9
	v_pk_add_f32 v[36:37], v[36:37], v[38:39]
	s_or_b32 s1, vcc_lo, s1
	s_delay_alu instid0(SALU_CYCLE_1)
	s_and_not1_b32 exec_lo, exec_lo, s1
	s_cbranch_execnz .LBB15_25
; %bb.26:
	s_or_b32 exec_lo, exec_lo, s1
	v_mov_b32_e32 v9, 0
	ds_load_b64 v[38:39], v9 offset:24
	s_wait_dscnt 0x0
	v_pk_mul_f32 v[40:41], v[36:37], v[38:39] op_sel:[1,1] op_sel_hi:[0,1]
	s_delay_alu instid0(VALU_DEP_1) | instskip(SKIP_1) | instid1(VALU_DEP_2)
	v_pk_fma_f32 v[42:43], v[36:37], v[38:39], v[40:41] op_sel_hi:[1,0,1]
	v_pk_fma_f32 v[36:37], v[36:37], v[38:39], v[40:41] neg_lo:[0,0,1] neg_hi:[0,0,1]
	v_mov_b32_e32 v37, v43
	scratch_store_b64 off, v[36:37], off offset:24
.LBB15_27:
	s_wait_xcnt 0x0
	s_or_b32 exec_lo, exec_lo, s0
	s_wait_storecnt 0x0
	s_barrier_signal -1
	s_barrier_wait -1
	scratch_load_b64 v[36:37], off, off offset:32
	s_mov_b32 s0, exec_lo
	s_wait_loadcnt 0x0
	ds_store_b64 v1, v[36:37]
	s_wait_dscnt 0x0
	s_barrier_signal -1
	s_barrier_wait -1
	v_cmpx_gt_u32_e32 4, v0
	s_cbranch_execz .LBB15_31
; %bb.28:
	v_dual_mov_b32 v36, 0 :: v_dual_add_nc_u32 v9, -1, v0
	v_add_nc_u32_e32 v11, 0x80, v34
	v_mov_b32_e32 v13, v34
	s_mov_b32 s1, 0
	s_delay_alu instid0(VALU_DEP_3)
	v_mov_b32_e32 v37, v36
.LBB15_29:                              ; =>This Inner Loop Header: Depth=1
	scratch_load_b64 v[38:39], v13, off
	ds_load_b64 v[40:41], v11
	s_wait_xcnt 0x0
	v_dual_add_nc_u32 v11, 8, v11 :: v_dual_add_nc_u32 v13, 8, v13
	s_wait_loadcnt_dscnt 0x0
	v_pk_mul_f32 v[42:43], v[40:41], v[38:39] op_sel:[1,1] op_sel_hi:[0,1]
	s_delay_alu instid0(VALU_DEP_1) | instskip(SKIP_2) | instid1(VALU_DEP_3)
	v_pk_fma_f32 v[44:45], v[40:41], v[38:39], v[42:43] op_sel_hi:[1,0,1]
	v_add_nc_u32_e32 v9, 1, v9
	v_pk_fma_f32 v[38:39], v[40:41], v[38:39], v[42:43] neg_lo:[0,0,1] neg_hi:[0,0,1]
	v_mov_b32_e32 v39, v45
	s_delay_alu instid0(VALU_DEP_3) | instskip(NEXT) | instid1(VALU_DEP_2)
	v_cmp_lt_u32_e32 vcc_lo, 2, v9
	v_pk_add_f32 v[36:37], v[36:37], v[38:39]
	s_or_b32 s1, vcc_lo, s1
	s_delay_alu instid0(SALU_CYCLE_1)
	s_and_not1_b32 exec_lo, exec_lo, s1
	s_cbranch_execnz .LBB15_29
; %bb.30:
	s_or_b32 exec_lo, exec_lo, s1
	v_mov_b32_e32 v9, 0
	ds_load_b64 v[38:39], v9 offset:32
	s_wait_dscnt 0x0
	v_pk_mul_f32 v[40:41], v[36:37], v[38:39] op_sel:[1,1] op_sel_hi:[0,1]
	s_delay_alu instid0(VALU_DEP_1) | instskip(SKIP_1) | instid1(VALU_DEP_2)
	v_pk_fma_f32 v[42:43], v[36:37], v[38:39], v[40:41] op_sel_hi:[1,0,1]
	v_pk_fma_f32 v[36:37], v[36:37], v[38:39], v[40:41] neg_lo:[0,0,1] neg_hi:[0,0,1]
	v_mov_b32_e32 v37, v43
	scratch_store_b64 off, v[36:37], off offset:32
.LBB15_31:
	s_wait_xcnt 0x0
	s_or_b32 exec_lo, exec_lo, s0
	s_wait_storecnt 0x0
	s_barrier_signal -1
	s_barrier_wait -1
	scratch_load_b64 v[36:37], off, off offset:40
	;; [unrolled: 52-line block ×12, first 2 shown]
	s_mov_b32 s0, exec_lo
	s_wait_loadcnt 0x0
	ds_store_b64 v1, v[36:37]
	s_wait_dscnt 0x0
	s_barrier_signal -1
	s_barrier_wait -1
	v_cmpx_ne_u32_e32 15, v0
	s_cbranch_execz .LBB15_75
; %bb.72:
	v_dual_mov_b32 v36, 0 :: v_dual_mov_b32 v9, v34
	s_mov_b32 s1, 0
	s_delay_alu instid0(VALU_DEP_1)
	v_mov_b32_e32 v37, v36
.LBB15_73:                              ; =>This Inner Loop Header: Depth=1
	scratch_load_b64 v[34:35], v9, off
	ds_load_b64 v[38:39], v1
	v_add_nc_u32_e32 v1, 8, v1
	s_wait_xcnt 0x0
	v_add_nc_u32_e32 v9, 8, v9
	s_wait_loadcnt_dscnt 0x0
	v_pk_mul_f32 v[40:41], v[38:39], v[34:35] op_sel:[1,1] op_sel_hi:[0,1]
	s_delay_alu instid0(VALU_DEP_1) | instskip(SKIP_2) | instid1(VALU_DEP_3)
	v_pk_fma_f32 v[42:43], v[38:39], v[34:35], v[40:41] op_sel_hi:[1,0,1]
	v_add_nc_u32_e32 v7, 1, v7
	v_pk_fma_f32 v[34:35], v[38:39], v[34:35], v[40:41] neg_lo:[0,0,1] neg_hi:[0,0,1]
	v_mov_b32_e32 v35, v43
	s_delay_alu instid0(VALU_DEP_3) | instskip(NEXT) | instid1(VALU_DEP_2)
	v_cmp_lt_u32_e32 vcc_lo, 13, v7
	v_pk_add_f32 v[36:37], v[36:37], v[34:35]
	s_or_b32 s1, vcc_lo, s1
	s_delay_alu instid0(SALU_CYCLE_1)
	s_and_not1_b32 exec_lo, exec_lo, s1
	s_cbranch_execnz .LBB15_73
; %bb.74:
	s_or_b32 exec_lo, exec_lo, s1
	v_mov_b32_e32 v1, 0
	ds_load_b64 v[34:35], v1 offset:120
	s_wait_dscnt 0x0
	v_pk_mul_f32 v[38:39], v[36:37], v[34:35] op_sel:[1,1] op_sel_hi:[0,1]
	s_delay_alu instid0(VALU_DEP_1) | instskip(SKIP_1) | instid1(VALU_DEP_2)
	v_pk_fma_f32 v[40:41], v[36:37], v[34:35], v[38:39] op_sel_hi:[1,0,1]
	v_pk_fma_f32 v[34:35], v[36:37], v[34:35], v[38:39] neg_lo:[0,0,1] neg_hi:[0,0,1]
	v_mov_b32_e32 v35, v41
	scratch_store_b64 off, v[34:35], off offset:120
.LBB15_75:
	s_wait_xcnt 0x0
	s_or_b32 exec_lo, exec_lo, s0
	s_mov_b32 s1, -1
	s_wait_storecnt 0x0
	s_barrier_signal -1
	s_barrier_wait -1
.LBB15_76:
	s_and_b32 vcc_lo, exec_lo, s1
	s_cbranch_vccz .LBB15_78
; %bb.77:
	v_mov_b32_e32 v1, 0
	s_lshl_b64 s[0:1], s[16:17], 2
	s_delay_alu instid0(SALU_CYCLE_1)
	s_add_nc_u64 s[0:1], s[6:7], s[0:1]
	global_load_b32 v1, v1, s[0:1]
	s_wait_loadcnt 0x0
	v_cmp_ne_u32_e32 vcc_lo, 0, v1
	s_cbranch_vccz .LBB15_79
.LBB15_78:
	s_sendmsg sendmsg(MSG_DEALLOC_VGPRS)
	s_endpgm
.LBB15_79:
	s_wait_xcnt 0x0
	v_lshl_add_u32 v1, v0, 3, 0x80
	s_mov_b32 s0, exec_lo
	v_cmpx_eq_u32_e32 15, v0
	s_cbranch_execz .LBB15_81
; %bb.80:
	scratch_load_b64 v[34:35], off, off offset:112
	v_mov_b64_e32 v[36:37], 0
	scratch_store_b64 off, v[36:37], off offset:112
	s_wait_loadcnt 0x0
	ds_store_b64 v1, v[34:35]
.LBB15_81:
	s_wait_xcnt 0x0
	s_or_b32 exec_lo, exec_lo, s0
	s_wait_storecnt_dscnt 0x0
	s_barrier_signal -1
	s_barrier_wait -1
	s_clause 0x1
	scratch_load_b64 v[34:35], off, off offset:120
	scratch_load_b64 v[36:37], off, off offset:112
	v_mov_b32_e32 v7, 0
	s_mov_b32 s0, exec_lo
	ds_load_b64 v[38:39], v7 offset:248
	s_wait_loadcnt_dscnt 0x100
	v_pk_mul_f32 v[40:41], v[38:39], v[34:35] op_sel:[1,1] op_sel_hi:[0,1]
	s_delay_alu instid0(VALU_DEP_1) | instskip(SKIP_1) | instid1(VALU_DEP_2)
	v_pk_fma_f32 v[42:43], v[38:39], v[34:35], v[40:41] op_sel_hi:[1,0,1]
	v_pk_fma_f32 v[34:35], v[38:39], v[34:35], v[40:41] neg_lo:[0,0,1] neg_hi:[0,0,1]
	v_mov_b32_e32 v35, v43
	s_delay_alu instid0(VALU_DEP_1) | instskip(SKIP_1) | instid1(VALU_DEP_1)
	v_pk_add_f32 v[34:35], v[34:35], 0 op_sel_hi:[1,0]
	s_wait_loadcnt 0x0
	v_pk_add_f32 v[34:35], v[36:37], v[34:35] neg_lo:[0,1] neg_hi:[0,1]
	scratch_store_b64 off, v[34:35], off offset:112
	s_wait_xcnt 0x0
	v_cmpx_lt_u32_e32 13, v0
	s_cbranch_execz .LBB15_83
; %bb.82:
	scratch_load_b64 v[34:35], off, off offset:104
	v_mov_b64_e32 v[36:37], 0
	scratch_store_b64 off, v[36:37], off offset:104
	s_wait_loadcnt 0x0
	ds_store_b64 v1, v[34:35]
.LBB15_83:
	s_wait_xcnt 0x0
	s_or_b32 exec_lo, exec_lo, s0
	s_wait_storecnt_dscnt 0x0
	s_barrier_signal -1
	s_barrier_wait -1
	s_clause 0x1
	scratch_load_b128 v[34:37], off, off offset:112
	scratch_load_b64 v[42:43], off, off offset:104
	ds_load_b128 v[38:41], v7 offset:240
	s_mov_b32 s0, exec_lo
	s_wait_dscnt 0x0
	v_dual_mov_b32 v44, v41 :: v_dual_mov_b32 v45, v40
	s_wait_loadcnt 0x1
	v_pk_mul_f32 v[46:47], v[38:39], v[34:35] op_sel:[1,1] op_sel_hi:[0,1]
	s_delay_alu instid0(VALU_DEP_1) | instskip(SKIP_2) | instid1(VALU_DEP_3)
	v_pk_fma_f32 v[50:51], v[38:39], v[34:35], v[46:47] op_sel_hi:[1,0,1]
	v_mov_b32_e32 v48, v37
	v_pk_fma_f32 v[34:35], v[38:39], v[34:35], v[46:47] neg_lo:[0,0,1] neg_hi:[0,0,1]
	v_mov_b32_e32 v35, v51
	s_delay_alu instid0(VALU_DEP_3) | instskip(NEXT) | instid1(VALU_DEP_2)
	v_pk_mul_f32 v[44:45], v[44:45], v[48:49] op_sel_hi:[1,0]
	v_pk_add_f32 v[34:35], v[34:35], 0 op_sel_hi:[1,0]
	s_delay_alu instid0(VALU_DEP_2) | instskip(SKIP_1) | instid1(VALU_DEP_2)
	v_pk_fma_f32 v[38:39], v[40:41], v[36:37], v[44:45] op_sel_hi:[1,0,1]
	v_pk_fma_f32 v[36:37], v[40:41], v[36:37], v[44:45] neg_lo:[0,0,1] neg_hi:[0,0,1]
	v_mov_b32_e32 v37, v39
	s_delay_alu instid0(VALU_DEP_1) | instskip(SKIP_1) | instid1(VALU_DEP_1)
	v_pk_add_f32 v[34:35], v[34:35], v[36:37]
	s_wait_loadcnt 0x0
	v_pk_add_f32 v[34:35], v[42:43], v[34:35] neg_lo:[0,1] neg_hi:[0,1]
	scratch_store_b64 off, v[34:35], off offset:104
	s_wait_xcnt 0x0
	v_cmpx_lt_u32_e32 12, v0
	s_cbranch_execz .LBB15_85
; %bb.84:
	scratch_load_b64 v[34:35], off, off offset:96
	v_mov_b64_e32 v[36:37], 0
	scratch_store_b64 off, v[36:37], off offset:96
	s_wait_loadcnt 0x0
	ds_store_b64 v1, v[34:35]
.LBB15_85:
	s_wait_xcnt 0x0
	s_or_b32 exec_lo, exec_lo, s0
	s_wait_storecnt_dscnt 0x0
	s_barrier_signal -1
	s_barrier_wait -1
	s_clause 0x2
	scratch_load_b128 v[34:37], off, off offset:104
	scratch_load_b64 v[42:43], off, off offset:120
	scratch_load_b64 v[44:45], off, off offset:96
	v_mov_b32_e32 v7, 0
	ds_load_2addr_b64 v[38:41], v7 offset0:29 offset1:30
	ds_load_b64 v[46:47], v7 offset:248
	s_mov_b32 s0, exec_lo
	s_wait_dscnt 0x1
	v_dual_mov_b32 v48, v41 :: v_dual_mov_b32 v49, v40
	s_wait_loadcnt 0x2
	v_mov_b32_e32 v52, v37
	v_pk_mul_f32 v[50:51], v[38:39], v[34:35] op_sel:[1,1] op_sel_hi:[0,1]
	s_delay_alu instid0(VALU_DEP_2) | instskip(NEXT) | instid1(VALU_DEP_2)
	v_pk_mul_f32 v[48:49], v[48:49], v[52:53] op_sel_hi:[1,0]
	v_pk_fma_f32 v[54:55], v[38:39], v[34:35], v[50:51] op_sel_hi:[1,0,1]
	v_pk_fma_f32 v[34:35], v[38:39], v[34:35], v[50:51] neg_lo:[0,0,1] neg_hi:[0,0,1]
	s_wait_loadcnt_dscnt 0x100
	v_pk_mul_f32 v[50:51], v[46:47], v[42:43] op_sel:[1,1] op_sel_hi:[0,1]
	v_pk_fma_f32 v[38:39], v[40:41], v[36:37], v[48:49] op_sel_hi:[1,0,1]
	v_mov_b32_e32 v35, v55
	v_pk_fma_f32 v[36:37], v[40:41], v[36:37], v[48:49] neg_lo:[0,0,1] neg_hi:[0,0,1]
	s_delay_alu instid0(VALU_DEP_4) | instskip(NEXT) | instid1(VALU_DEP_4)
	v_pk_fma_f32 v[40:41], v[46:47], v[42:43], v[50:51] neg_lo:[0,0,1] neg_hi:[0,0,1]
	v_mov_b32_e32 v37, v39
	s_delay_alu instid0(VALU_DEP_4) | instskip(SKIP_1) | instid1(VALU_DEP_2)
	v_pk_add_f32 v[34:35], v[34:35], 0 op_sel_hi:[1,0]
	v_pk_fma_f32 v[38:39], v[46:47], v[42:43], v[50:51] op_sel_hi:[1,0,1]
	v_pk_add_f32 v[34:35], v[34:35], v[36:37]
	s_delay_alu instid0(VALU_DEP_2) | instskip(NEXT) | instid1(VALU_DEP_1)
	v_mov_b32_e32 v41, v39
	v_pk_add_f32 v[34:35], v[34:35], v[40:41]
	s_wait_loadcnt 0x0
	s_delay_alu instid0(VALU_DEP_1)
	v_pk_add_f32 v[34:35], v[44:45], v[34:35] neg_lo:[0,1] neg_hi:[0,1]
	scratch_store_b64 off, v[34:35], off offset:96
	s_wait_xcnt 0x0
	v_cmpx_lt_u32_e32 11, v0
	s_cbranch_execz .LBB15_87
; %bb.86:
	scratch_load_b64 v[34:35], off, off offset:88
	v_mov_b64_e32 v[36:37], 0
	scratch_store_b64 off, v[36:37], off offset:88
	s_wait_loadcnt 0x0
	ds_store_b64 v1, v[34:35]
.LBB15_87:
	s_wait_xcnt 0x0
	s_or_b32 exec_lo, exec_lo, s0
	s_wait_storecnt_dscnt 0x0
	s_barrier_signal -1
	s_barrier_wait -1
	s_clause 0x2
	scratch_load_b128 v[34:37], off, off offset:96
	scratch_load_b128 v[38:41], off, off offset:112
	scratch_load_b64 v[50:51], off, off offset:88
	ds_load_b128 v[42:45], v7 offset:224
	ds_load_b128 v[46:49], v7 offset:240
	s_mov_b32 s0, exec_lo
	s_wait_dscnt 0x1
	v_dual_mov_b32 v52, v45 :: v_dual_mov_b32 v53, v44
	s_wait_loadcnt_dscnt 0x200
	v_dual_mov_b32 v58, v49 :: v_dual_mov_b32 v56, v37
	v_pk_mul_f32 v[54:55], v[42:43], v[34:35] op_sel:[1,1] op_sel_hi:[0,1]
	s_delay_alu instid0(VALU_DEP_2) | instskip(NEXT) | instid1(VALU_DEP_2)
	v_pk_mul_f32 v[52:53], v[52:53], v[56:57] op_sel_hi:[1,0]
	v_pk_fma_f32 v[60:61], v[42:43], v[34:35], v[54:55] op_sel_hi:[1,0,1]
	v_pk_fma_f32 v[34:35], v[42:43], v[34:35], v[54:55] neg_lo:[0,0,1] neg_hi:[0,0,1]
	v_mov_b32_e32 v59, v48
	s_wait_loadcnt 0x1
	v_pk_mul_f32 v[56:57], v[46:47], v[38:39] op_sel:[1,1] op_sel_hi:[0,1]
	v_pk_fma_f32 v[42:43], v[44:45], v[36:37], v[52:53] op_sel_hi:[1,0,1]
	v_dual_mov_b32 v35, v61 :: v_dual_mov_b32 v42, v41
	v_pk_fma_f32 v[36:37], v[44:45], v[36:37], v[52:53] neg_lo:[0,0,1] neg_hi:[0,0,1]
	s_delay_alu instid0(VALU_DEP_4) | instskip(NEXT) | instid1(VALU_DEP_4)
	v_pk_fma_f32 v[54:55], v[46:47], v[38:39], v[56:57] op_sel_hi:[1,0,1]
	v_mov_b32_e32 v37, v43
	s_delay_alu instid0(VALU_DEP_4) | instskip(SKIP_2) | instid1(VALU_DEP_3)
	v_pk_add_f32 v[34:35], v[34:35], 0 op_sel_hi:[1,0]
	v_pk_mul_f32 v[42:43], v[58:59], v[42:43] op_sel_hi:[1,0]
	v_pk_fma_f32 v[38:39], v[46:47], v[38:39], v[56:57] neg_lo:[0,0,1] neg_hi:[0,0,1]
	v_pk_add_f32 v[34:35], v[34:35], v[36:37]
	s_delay_alu instid0(VALU_DEP_3) | instskip(SKIP_2) | instid1(VALU_DEP_3)
	v_pk_fma_f32 v[36:37], v[48:49], v[40:41], v[42:43] op_sel_hi:[1,0,1]
	v_mov_b32_e32 v39, v55
	v_pk_fma_f32 v[40:41], v[48:49], v[40:41], v[42:43] neg_lo:[0,0,1] neg_hi:[0,0,1]
	v_mov_b32_e32 v41, v37
	s_delay_alu instid0(VALU_DEP_3) | instskip(NEXT) | instid1(VALU_DEP_1)
	v_pk_add_f32 v[34:35], v[34:35], v[38:39]
	v_pk_add_f32 v[34:35], v[34:35], v[40:41]
	s_wait_loadcnt 0x0
	s_delay_alu instid0(VALU_DEP_1)
	v_pk_add_f32 v[34:35], v[50:51], v[34:35] neg_lo:[0,1] neg_hi:[0,1]
	scratch_store_b64 off, v[34:35], off offset:88
	s_wait_xcnt 0x0
	v_cmpx_lt_u32_e32 10, v0
	s_cbranch_execz .LBB15_89
; %bb.88:
	scratch_load_b64 v[34:35], off, off offset:80
	v_mov_b64_e32 v[36:37], 0
	scratch_store_b64 off, v[36:37], off offset:80
	s_wait_loadcnt 0x0
	ds_store_b64 v1, v[34:35]
.LBB15_89:
	s_wait_xcnt 0x0
	s_or_b32 exec_lo, exec_lo, s0
	s_wait_storecnt_dscnt 0x0
	s_barrier_signal -1
	s_barrier_wait -1
	s_clause 0x3
	scratch_load_b128 v[34:37], off, off offset:88
	scratch_load_b128 v[38:41], off, off offset:104
	scratch_load_b64 v[50:51], off, off offset:120
	scratch_load_b64 v[52:53], off, off offset:80
	v_mov_b32_e32 v7, 0
	ds_load_2addr_b64 v[42:45], v7 offset0:27 offset1:28
	ds_load_2addr_b64 v[46:49], v7 offset0:29 offset1:30
	s_mov_b32 s0, exec_lo
	s_wait_dscnt 0x1
	v_dual_mov_b32 v54, v45 :: v_dual_mov_b32 v55, v44
	ds_load_b64 v[60:61], v7 offset:248
	s_wait_dscnt 0x1
	v_dual_mov_b32 v62, v49 :: v_dual_mov_b32 v63, v48
	s_wait_loadcnt 0x3
	v_pk_mul_f32 v[56:57], v[42:43], v[34:35] op_sel:[1,1] op_sel_hi:[0,1]
	v_mov_b32_e32 v58, v37
	s_delay_alu instid0(VALU_DEP_2) | instskip(NEXT) | instid1(VALU_DEP_2)
	v_pk_fma_f32 v[64:65], v[42:43], v[34:35], v[56:57] op_sel_hi:[1,0,1]
	v_pk_mul_f32 v[54:55], v[54:55], v[58:59] op_sel_hi:[1,0]
	v_pk_fma_f32 v[34:35], v[42:43], v[34:35], v[56:57] neg_lo:[0,0,1] neg_hi:[0,0,1]
	s_wait_loadcnt 0x2
	v_pk_mul_f32 v[58:59], v[46:47], v[38:39] op_sel:[1,1] op_sel_hi:[0,1]
	v_dual_mov_b32 v64, v41 :: v_dual_mov_b32 v35, v65
	v_pk_fma_f32 v[42:43], v[44:45], v[36:37], v[54:55] op_sel_hi:[1,0,1]
	v_pk_fma_f32 v[36:37], v[44:45], v[36:37], v[54:55] neg_lo:[0,0,1] neg_hi:[0,0,1]
	s_delay_alu instid0(VALU_DEP_4) | instskip(NEXT) | instid1(VALU_DEP_4)
	v_pk_fma_f32 v[56:57], v[46:47], v[38:39], v[58:59] op_sel_hi:[1,0,1]
	v_pk_mul_f32 v[62:63], v[62:63], v[64:65] op_sel_hi:[1,0]
	v_pk_add_f32 v[34:35], v[34:35], 0 op_sel_hi:[1,0]
	v_mov_b32_e32 v37, v43
	v_pk_fma_f32 v[38:39], v[46:47], v[38:39], v[58:59] neg_lo:[0,0,1] neg_hi:[0,0,1]
	v_mov_b32_e32 v39, v57
	v_pk_fma_f32 v[42:43], v[48:49], v[40:41], v[62:63] op_sel_hi:[1,0,1]
	v_pk_fma_f32 v[40:41], v[48:49], v[40:41], v[62:63] neg_lo:[0,0,1] neg_hi:[0,0,1]
	v_pk_add_f32 v[34:35], v[34:35], v[36:37]
	s_wait_loadcnt_dscnt 0x100
	v_pk_mul_f32 v[36:37], v[60:61], v[50:51] op_sel:[1,1] op_sel_hi:[0,1]
	s_delay_alu instid0(VALU_DEP_2) | instskip(NEXT) | instid1(VALU_DEP_2)
	v_pk_add_f32 v[34:35], v[34:35], v[38:39]
	v_pk_fma_f32 v[38:39], v[60:61], v[50:51], v[36:37] op_sel_hi:[1,0,1]
	v_mov_b32_e32 v41, v43
	v_pk_fma_f32 v[36:37], v[60:61], v[50:51], v[36:37] neg_lo:[0,0,1] neg_hi:[0,0,1]
	s_delay_alu instid0(VALU_DEP_3) | instskip(NEXT) | instid1(VALU_DEP_3)
	v_mov_b32_e32 v37, v39
	v_pk_add_f32 v[34:35], v[34:35], v[40:41]
	s_delay_alu instid0(VALU_DEP_1) | instskip(SKIP_1) | instid1(VALU_DEP_1)
	v_pk_add_f32 v[34:35], v[34:35], v[36:37]
	s_wait_loadcnt 0x0
	v_pk_add_f32 v[34:35], v[52:53], v[34:35] neg_lo:[0,1] neg_hi:[0,1]
	scratch_store_b64 off, v[34:35], off offset:80
	s_wait_xcnt 0x0
	v_cmpx_lt_u32_e32 9, v0
	s_cbranch_execz .LBB15_91
; %bb.90:
	scratch_load_b64 v[34:35], off, off offset:72
	v_mov_b64_e32 v[36:37], 0
	scratch_store_b64 off, v[36:37], off offset:72
	s_wait_loadcnt 0x0
	ds_store_b64 v1, v[34:35]
.LBB15_91:
	s_wait_xcnt 0x0
	s_or_b32 exec_lo, exec_lo, s0
	s_wait_storecnt_dscnt 0x0
	s_barrier_signal -1
	s_barrier_wait -1
	s_clause 0x3
	scratch_load_b128 v[34:37], off, off offset:80
	scratch_load_b128 v[38:41], off, off offset:96
	;; [unrolled: 1-line block ×3, first 2 shown]
	scratch_load_b64 v[58:59], off, off offset:72
	ds_load_b128 v[46:49], v7 offset:208
	ds_load_b128 v[50:53], v7 offset:224
	;; [unrolled: 1-line block ×3, first 2 shown]
	s_mov_b32 s0, exec_lo
	s_wait_dscnt 0x2
	v_dual_mov_b32 v60, v49 :: v_dual_mov_b32 v61, v48
	s_wait_dscnt 0x1
	v_dual_mov_b32 v62, v53 :: v_dual_mov_b32 v63, v52
	;; [unrolled: 2-line block ×3, first 2 shown]
	s_wait_loadcnt 0x3
	v_pk_mul_f32 v[64:65], v[46:47], v[34:35] op_sel:[1,1] op_sel_hi:[0,1]
	v_mov_b32_e32 v66, v37
	s_delay_alu instid0(VALU_DEP_2) | instskip(NEXT) | instid1(VALU_DEP_2)
	v_pk_fma_f32 v[70:71], v[46:47], v[34:35], v[64:65] op_sel_hi:[1,0,1]
	v_pk_mul_f32 v[60:61], v[60:61], v[66:67] op_sel_hi:[1,0]
	v_pk_fma_f32 v[34:35], v[46:47], v[34:35], v[64:65] neg_lo:[0,0,1] neg_hi:[0,0,1]
	s_wait_loadcnt 0x2
	v_pk_mul_f32 v[66:67], v[50:51], v[38:39] op_sel:[1,1] op_sel_hi:[0,1]
	v_mov_b32_e32 v70, v41
	v_pk_fma_f32 v[46:47], v[48:49], v[36:37], v[60:61] op_sel_hi:[1,0,1]
	v_mov_b32_e32 v35, v71
	v_pk_fma_f32 v[36:37], v[48:49], v[36:37], v[60:61] neg_lo:[0,0,1] neg_hi:[0,0,1]
	v_pk_fma_f32 v[64:65], v[50:51], v[38:39], v[66:67] op_sel_hi:[1,0,1]
	v_pk_mul_f32 v[62:63], v[62:63], v[70:71] op_sel_hi:[1,0]
	v_mov_b32_e32 v37, v47
	v_pk_add_f32 v[34:35], v[34:35], 0 op_sel_hi:[1,0]
	v_pk_fma_f32 v[38:39], v[50:51], v[38:39], v[66:67] neg_lo:[0,0,1] neg_hi:[0,0,1]
	s_wait_loadcnt 0x1
	v_pk_mul_f32 v[46:47], v[54:55], v[42:43] op_sel:[1,1] op_sel_hi:[0,1]
	v_mov_b32_e32 v39, v65
	v_pk_fma_f32 v[48:49], v[52:53], v[40:41], v[62:63] op_sel_hi:[1,0,1]
	v_pk_add_f32 v[34:35], v[34:35], v[36:37]
	v_mov_b32_e32 v36, v45
	v_pk_fma_f32 v[40:41], v[52:53], v[40:41], v[62:63] neg_lo:[0,0,1] neg_hi:[0,0,1]
	v_pk_fma_f32 v[50:51], v[54:55], v[42:43], v[46:47] op_sel_hi:[1,0,1]
	v_mov_b32_e32 v41, v49
	v_pk_add_f32 v[34:35], v[34:35], v[38:39]
	v_pk_mul_f32 v[36:37], v[68:69], v[36:37] op_sel_hi:[1,0]
	v_pk_fma_f32 v[38:39], v[54:55], v[42:43], v[46:47] neg_lo:[0,0,1] neg_hi:[0,0,1]
	v_mov_b32_e32 v39, v51
	s_delay_alu instid0(VALU_DEP_4) | instskip(NEXT) | instid1(VALU_DEP_4)
	v_pk_add_f32 v[34:35], v[34:35], v[40:41]
	v_pk_fma_f32 v[40:41], v[56:57], v[44:45], v[36:37] op_sel_hi:[1,0,1]
	v_pk_fma_f32 v[36:37], v[56:57], v[44:45], v[36:37] neg_lo:[0,0,1] neg_hi:[0,0,1]
	s_delay_alu instid0(VALU_DEP_3) | instskip(NEXT) | instid1(VALU_DEP_3)
	v_pk_add_f32 v[34:35], v[34:35], v[38:39]
	v_mov_b32_e32 v37, v41
	s_delay_alu instid0(VALU_DEP_1) | instskip(SKIP_1) | instid1(VALU_DEP_1)
	v_pk_add_f32 v[34:35], v[34:35], v[36:37]
	s_wait_loadcnt 0x0
	v_pk_add_f32 v[34:35], v[58:59], v[34:35] neg_lo:[0,1] neg_hi:[0,1]
	scratch_store_b64 off, v[34:35], off offset:72
	s_wait_xcnt 0x0
	v_cmpx_lt_u32_e32 8, v0
	s_cbranch_execz .LBB15_93
; %bb.92:
	scratch_load_b64 v[34:35], off, off offset:64
	v_mov_b64_e32 v[36:37], 0
	scratch_store_b64 off, v[36:37], off offset:64
	s_wait_loadcnt 0x0
	ds_store_b64 v1, v[34:35]
.LBB15_93:
	s_wait_xcnt 0x0
	s_or_b32 exec_lo, exec_lo, s0
	s_wait_storecnt_dscnt 0x0
	s_barrier_signal -1
	s_barrier_wait -1
	s_clause 0x4
	scratch_load_b128 v[34:37], off, off offset:72
	scratch_load_b128 v[38:41], off, off offset:88
	;; [unrolled: 1-line block ×3, first 2 shown]
	scratch_load_b64 v[58:59], off, off offset:120
	scratch_load_b64 v[60:61], off, off offset:64
	v_mov_b32_e32 v7, 0
	ds_load_2addr_b64 v[46:49], v7 offset0:25 offset1:26
	ds_load_2addr_b64 v[50:53], v7 offset0:27 offset1:28
	;; [unrolled: 1-line block ×3, first 2 shown]
	ds_load_b64 v[62:63], v7 offset:248
	s_mov_b32 s0, exec_lo
	s_wait_dscnt 0x3
	v_dual_mov_b32 v64, v49 :: v_dual_mov_b32 v65, v48
	s_wait_dscnt 0x2
	v_dual_mov_b32 v66, v53 :: v_dual_mov_b32 v67, v52
	;; [unrolled: 2-line block ×3, first 2 shown]
	s_wait_loadcnt 0x4
	v_pk_mul_f32 v[68:69], v[46:47], v[34:35] op_sel:[1,1] op_sel_hi:[0,1]
	v_mov_b32_e32 v70, v37
	s_wait_loadcnt 0x3
	v_pk_mul_f32 v[74:75], v[50:51], v[38:39] op_sel:[1,1] op_sel_hi:[0,1]
	s_wait_loadcnt 0x2
	v_pk_mul_f32 v[78:79], v[54:55], v[42:43] op_sel:[1,1] op_sel_hi:[0,1]
	v_pk_fma_f32 v[76:77], v[46:47], v[34:35], v[68:69] op_sel_hi:[1,0,1]
	v_pk_mul_f32 v[64:65], v[64:65], v[70:71] op_sel_hi:[1,0]
	v_pk_fma_f32 v[34:35], v[46:47], v[34:35], v[68:69] neg_lo:[0,0,1] neg_hi:[0,0,1]
	v_mov_b32_e32 v70, v41
	v_pk_fma_f32 v[68:69], v[50:51], v[38:39], v[74:75] op_sel_hi:[1,0,1]
	v_mov_b32_e32 v35, v77
	v_pk_fma_f32 v[46:47], v[48:49], v[36:37], v[64:65] op_sel_hi:[1,0,1]
	v_pk_fma_f32 v[36:37], v[48:49], v[36:37], v[64:65] neg_lo:[0,0,1] neg_hi:[0,0,1]
	v_pk_mul_f32 v[66:67], v[66:67], v[70:71] op_sel_hi:[1,0]
	v_pk_fma_f32 v[38:39], v[50:51], v[38:39], v[74:75] neg_lo:[0,0,1] neg_hi:[0,0,1]
	v_pk_add_f32 v[34:35], v[34:35], 0 op_sel_hi:[1,0]
	v_dual_mov_b32 v37, v47 :: v_dual_mov_b32 v46, v45
	s_delay_alu instid0(VALU_DEP_4) | instskip(SKIP_2) | instid1(VALU_DEP_4)
	v_pk_fma_f32 v[48:49], v[52:53], v[40:41], v[66:67] op_sel_hi:[1,0,1]
	v_mov_b32_e32 v39, v69
	v_pk_fma_f32 v[40:41], v[52:53], v[40:41], v[66:67] neg_lo:[0,0,1] neg_hi:[0,0,1]
	v_pk_add_f32 v[34:35], v[34:35], v[36:37]
	v_pk_fma_f32 v[36:37], v[54:55], v[42:43], v[78:79] op_sel_hi:[1,0,1]
	v_pk_mul_f32 v[46:47], v[72:73], v[46:47] op_sel_hi:[1,0]
	v_mov_b32_e32 v41, v49
	s_delay_alu instid0(VALU_DEP_4)
	v_pk_add_f32 v[34:35], v[34:35], v[38:39]
	v_pk_fma_f32 v[38:39], v[54:55], v[42:43], v[78:79] neg_lo:[0,0,1] neg_hi:[0,0,1]
	v_mov_b32_e32 v39, v37
	v_pk_fma_f32 v[36:37], v[56:57], v[44:45], v[46:47] op_sel_hi:[1,0,1]
	v_pk_fma_f32 v[42:43], v[56:57], v[44:45], v[46:47] neg_lo:[0,0,1] neg_hi:[0,0,1]
	v_pk_add_f32 v[34:35], v[34:35], v[40:41]
	s_wait_loadcnt_dscnt 0x100
	v_pk_mul_f32 v[40:41], v[62:63], v[58:59] op_sel:[1,1] op_sel_hi:[0,1]
	v_mov_b32_e32 v43, v37
	s_delay_alu instid0(VALU_DEP_3) | instskip(NEXT) | instid1(VALU_DEP_3)
	v_pk_add_f32 v[34:35], v[34:35], v[38:39]
	v_pk_fma_f32 v[36:37], v[62:63], v[58:59], v[40:41] op_sel_hi:[1,0,1]
	v_pk_fma_f32 v[38:39], v[62:63], v[58:59], v[40:41] neg_lo:[0,0,1] neg_hi:[0,0,1]
	s_delay_alu instid0(VALU_DEP_3) | instskip(NEXT) | instid1(VALU_DEP_3)
	v_pk_add_f32 v[34:35], v[34:35], v[42:43]
	v_mov_b32_e32 v39, v37
	s_delay_alu instid0(VALU_DEP_1) | instskip(SKIP_1) | instid1(VALU_DEP_1)
	v_pk_add_f32 v[34:35], v[34:35], v[38:39]
	s_wait_loadcnt 0x0
	v_pk_add_f32 v[34:35], v[60:61], v[34:35] neg_lo:[0,1] neg_hi:[0,1]
	scratch_store_b64 off, v[34:35], off offset:64
	s_wait_xcnt 0x0
	v_cmpx_lt_u32_e32 7, v0
	s_cbranch_execz .LBB15_95
; %bb.94:
	scratch_load_b64 v[34:35], off, off offset:56
	v_mov_b64_e32 v[36:37], 0
	scratch_store_b64 off, v[36:37], off offset:56
	s_wait_loadcnt 0x0
	ds_store_b64 v1, v[34:35]
.LBB15_95:
	s_wait_xcnt 0x0
	s_or_b32 exec_lo, exec_lo, s0
	s_wait_storecnt_dscnt 0x0
	s_barrier_signal -1
	s_barrier_wait -1
	s_clause 0x4
	scratch_load_b128 v[34:37], off, off offset:64
	scratch_load_b128 v[38:41], off, off offset:80
	;; [unrolled: 1-line block ×4, first 2 shown]
	scratch_load_b64 v[66:67], off, off offset:56
	ds_load_b128 v[50:53], v7 offset:192
	ds_load_b128 v[54:57], v7 offset:208
	ds_load_b128 v[58:61], v7 offset:224
	ds_load_b128 v[62:65], v7 offset:240
	s_mov_b32 s0, exec_lo
	s_wait_dscnt 0x3
	v_dual_mov_b32 v68, v53 :: v_dual_mov_b32 v69, v52
	s_wait_dscnt 0x2
	v_dual_mov_b32 v70, v57 :: v_dual_mov_b32 v71, v56
	;; [unrolled: 2-line block ×3, first 2 shown]
	v_dual_mov_b32 v73, v60 :: v_dual_mov_b32 v78, v65
	s_wait_loadcnt 0x4
	v_mov_b32_e32 v76, v37
	v_pk_mul_f32 v[74:75], v[50:51], v[34:35] op_sel:[1,1] op_sel_hi:[0,1]
	s_wait_loadcnt 0x3
	v_pk_mul_f32 v[80:81], v[54:55], v[38:39] op_sel:[1,1] op_sel_hi:[0,1]
	s_wait_loadcnt 0x2
	v_pk_mul_f32 v[84:85], v[58:59], v[42:43] op_sel:[1,1] op_sel_hi:[0,1]
	v_pk_mul_f32 v[68:69], v[68:69], v[76:77] op_sel_hi:[1,0]
	v_pk_fma_f32 v[82:83], v[50:51], v[34:35], v[74:75] op_sel_hi:[1,0,1]
	v_pk_fma_f32 v[34:35], v[50:51], v[34:35], v[74:75] neg_lo:[0,0,1] neg_hi:[0,0,1]
	v_mov_b32_e32 v76, v41
	v_pk_fma_f32 v[74:75], v[54:55], v[38:39], v[80:81] op_sel_hi:[1,0,1]
	v_pk_fma_f32 v[50:51], v[52:53], v[36:37], v[68:69] op_sel_hi:[1,0,1]
	v_mov_b32_e32 v35, v83
	v_pk_fma_f32 v[36:37], v[52:53], v[36:37], v[68:69] neg_lo:[0,0,1] neg_hi:[0,0,1]
	v_pk_mul_f32 v[70:71], v[70:71], v[76:77] op_sel_hi:[1,0]
	s_delay_alu instid0(VALU_DEP_4) | instskip(NEXT) | instid1(VALU_DEP_4)
	v_dual_mov_b32 v50, v45 :: v_dual_mov_b32 v37, v51
	v_pk_add_f32 v[34:35], v[34:35], 0 op_sel_hi:[1,0]
	v_pk_fma_f32 v[38:39], v[54:55], v[38:39], v[80:81] neg_lo:[0,0,1] neg_hi:[0,0,1]
	v_mov_b32_e32 v39, v75
	v_pk_fma_f32 v[52:53], v[56:57], v[40:41], v[70:71] op_sel_hi:[1,0,1]
	v_pk_mul_f32 v[50:51], v[72:73], v[50:51] op_sel_hi:[1,0]
	v_pk_add_f32 v[34:35], v[34:35], v[36:37]
	v_pk_fma_f32 v[36:37], v[58:59], v[42:43], v[84:85] op_sel_hi:[1,0,1]
	v_pk_fma_f32 v[40:41], v[56:57], v[40:41], v[70:71] neg_lo:[0,0,1] neg_hi:[0,0,1]
	v_mov_b32_e32 v41, v53
	v_pk_fma_f32 v[42:43], v[58:59], v[42:43], v[84:85] neg_lo:[0,0,1] neg_hi:[0,0,1]
	v_pk_add_f32 v[34:35], v[34:35], v[38:39]
	v_mov_b32_e32 v43, v37
	v_pk_fma_f32 v[36:37], v[60:61], v[44:45], v[50:51] op_sel_hi:[1,0,1]
	s_wait_loadcnt 0x1
	v_pk_mul_f32 v[38:39], v[62:63], v[46:47] op_sel:[1,1] op_sel_hi:[0,1]
	v_mov_b32_e32 v36, v49
	v_pk_add_f32 v[34:35], v[34:35], v[40:41]
	v_pk_fma_f32 v[44:45], v[60:61], v[44:45], v[50:51] neg_lo:[0,0,1] neg_hi:[0,0,1]
	v_mov_b32_e32 v45, v37
	v_pk_fma_f32 v[40:41], v[62:63], v[46:47], v[38:39] op_sel_hi:[1,0,1]
	v_pk_mul_f32 v[36:37], v[78:79], v[36:37] op_sel_hi:[1,0]
	v_pk_add_f32 v[34:35], v[34:35], v[42:43]
	v_pk_fma_f32 v[38:39], v[62:63], v[46:47], v[38:39] neg_lo:[0,0,1] neg_hi:[0,0,1]
	s_delay_alu instid0(VALU_DEP_4) | instskip(NEXT) | instid1(VALU_DEP_4)
	v_mov_b32_e32 v39, v41
	v_pk_fma_f32 v[40:41], v[64:65], v[48:49], v[36:37] op_sel_hi:[1,0,1]
	s_delay_alu instid0(VALU_DEP_4) | instskip(SKIP_1) | instid1(VALU_DEP_3)
	v_pk_add_f32 v[34:35], v[34:35], v[44:45]
	v_pk_fma_f32 v[36:37], v[64:65], v[48:49], v[36:37] neg_lo:[0,0,1] neg_hi:[0,0,1]
	v_mov_b32_e32 v37, v41
	s_delay_alu instid0(VALU_DEP_3) | instskip(NEXT) | instid1(VALU_DEP_1)
	v_pk_add_f32 v[34:35], v[34:35], v[38:39]
	v_pk_add_f32 v[34:35], v[34:35], v[36:37]
	s_wait_loadcnt 0x0
	s_delay_alu instid0(VALU_DEP_1)
	v_pk_add_f32 v[34:35], v[66:67], v[34:35] neg_lo:[0,1] neg_hi:[0,1]
	scratch_store_b64 off, v[34:35], off offset:56
	s_wait_xcnt 0x0
	v_cmpx_lt_u32_e32 6, v0
	s_cbranch_execz .LBB15_97
; %bb.96:
	scratch_load_b64 v[34:35], off, off offset:48
	v_mov_b64_e32 v[36:37], 0
	scratch_store_b64 off, v[36:37], off offset:48
	s_wait_loadcnt 0x0
	ds_store_b64 v1, v[34:35]
.LBB15_97:
	s_wait_xcnt 0x0
	s_or_b32 exec_lo, exec_lo, s0
	s_wait_storecnt_dscnt 0x0
	s_barrier_signal -1
	s_barrier_wait -1
	s_clause 0x5
	scratch_load_b128 v[34:37], off, off offset:56
	scratch_load_b128 v[38:41], off, off offset:72
	;; [unrolled: 1-line block ×4, first 2 shown]
	scratch_load_b64 v[66:67], off, off offset:120
	scratch_load_b64 v[68:69], off, off offset:48
	v_mov_b32_e32 v7, 0
	ds_load_2addr_b64 v[50:53], v7 offset0:23 offset1:24
	ds_load_2addr_b64 v[54:57], v7 offset0:25 offset1:26
	;; [unrolled: 1-line block ×4, first 2 shown]
	ds_load_b64 v[70:71], v7 offset:248
	s_mov_b32 s0, exec_lo
	s_wait_dscnt 0x4
	v_dual_mov_b32 v72, v53 :: v_dual_mov_b32 v73, v52
	s_wait_dscnt 0x1
	v_dual_mov_b32 v74, v57 :: v_dual_mov_b32 v79, v64
	v_dual_mov_b32 v75, v56 :: v_dual_mov_b32 v76, v61
	;; [unrolled: 1-line block ×3, first 2 shown]
	s_wait_loadcnt 0x5
	v_dual_mov_b32 v80, v37 :: v_dual_mul_f32 v81, v50, v35
	v_mul_f32_e32 v9, v51, v35
	s_wait_loadcnt 0x4
	v_pk_mul_f32 v[82:83], v[54:55], v[38:39] op_sel:[1,1] op_sel_hi:[0,1]
	v_mov_b32_e32 v84, v41
	s_wait_loadcnt 0x3
	v_pk_mul_f32 v[86:87], v[58:59], v[42:43] op_sel:[1,1] op_sel_hi:[0,1]
	v_pk_mul_f32 v[72:73], v[72:73], v[80:81] op_sel_hi:[1,0]
	v_fmac_f32_e32 v81, v51, v34
	v_dual_fma_f32 v80, v50, v34, -v9 :: v_dual_mov_b32 v34, v45
	v_pk_fma_f32 v[88:89], v[54:55], v[38:39], v[82:83] op_sel_hi:[1,0,1]
	s_delay_alu instid0(VALU_DEP_4)
	v_pk_fma_f32 v[50:51], v[52:53], v[36:37], v[72:73] op_sel_hi:[1,0,1]
	v_pk_fma_f32 v[36:37], v[52:53], v[36:37], v[72:73] neg_lo:[0,0,1] neg_hi:[0,0,1]
	v_pk_mul_f32 v[74:75], v[74:75], v[84:85] op_sel_hi:[1,0]
	v_pk_add_f32 v[80:81], v[80:81], 0 op_sel_hi:[1,0]
	v_pk_fma_f32 v[38:39], v[54:55], v[38:39], v[82:83] neg_lo:[0,0,1] neg_hi:[0,0,1]
	v_dual_mov_b32 v37, v51 :: v_dual_mov_b32 v39, v89
	s_delay_alu instid0(VALU_DEP_4) | instskip(SKIP_2) | instid1(VALU_DEP_4)
	v_pk_fma_f32 v[52:53], v[56:57], v[40:41], v[74:75] op_sel_hi:[1,0,1]
	v_pk_fma_f32 v[40:41], v[56:57], v[40:41], v[74:75] neg_lo:[0,0,1] neg_hi:[0,0,1]
	v_pk_fma_f32 v[54:55], v[58:59], v[42:43], v[86:87] op_sel_hi:[1,0,1]
	v_pk_add_f32 v[36:37], v[80:81], v[36:37]
	v_pk_mul_f32 v[34:35], v[76:77], v[34:35] op_sel_hi:[1,0]
	v_mov_b32_e32 v41, v53
	v_pk_fma_f32 v[42:43], v[58:59], v[42:43], v[86:87] neg_lo:[0,0,1] neg_hi:[0,0,1]
	s_wait_loadcnt 0x2
	v_pk_mul_f32 v[50:51], v[62:63], v[46:47] op_sel:[1,1] op_sel_hi:[0,1]
	v_pk_add_f32 v[36:37], v[36:37], v[38:39]
	v_mov_b32_e32 v38, v49
	v_pk_fma_f32 v[52:53], v[60:61], v[44:45], v[34:35] op_sel_hi:[1,0,1]
	v_mov_b32_e32 v43, v55
	v_pk_fma_f32 v[34:35], v[60:61], v[44:45], v[34:35] neg_lo:[0,0,1] neg_hi:[0,0,1]
	v_pk_add_f32 v[36:37], v[36:37], v[40:41]
	v_pk_fma_f32 v[40:41], v[62:63], v[46:47], v[50:51] op_sel_hi:[1,0,1]
	v_pk_mul_f32 v[38:39], v[78:79], v[38:39] op_sel_hi:[1,0]
	v_mov_b32_e32 v35, v53
	s_delay_alu instid0(VALU_DEP_4)
	v_pk_add_f32 v[36:37], v[36:37], v[42:43]
	v_pk_fma_f32 v[42:43], v[62:63], v[46:47], v[50:51] neg_lo:[0,0,1] neg_hi:[0,0,1]
	v_mov_b32_e32 v43, v41
	v_pk_fma_f32 v[40:41], v[64:65], v[48:49], v[38:39] op_sel_hi:[1,0,1]
	v_pk_fma_f32 v[38:39], v[64:65], v[48:49], v[38:39] neg_lo:[0,0,1] neg_hi:[0,0,1]
	v_pk_add_f32 v[34:35], v[36:37], v[34:35]
	s_wait_loadcnt_dscnt 0x100
	v_pk_mul_f32 v[36:37], v[70:71], v[66:67] op_sel:[1,1] op_sel_hi:[0,1]
	v_mov_b32_e32 v39, v41
	s_delay_alu instid0(VALU_DEP_3) | instskip(NEXT) | instid1(VALU_DEP_3)
	v_pk_add_f32 v[34:35], v[34:35], v[42:43]
	v_pk_fma_f32 v[40:41], v[70:71], v[66:67], v[36:37] op_sel_hi:[1,0,1]
	v_pk_fma_f32 v[36:37], v[70:71], v[66:67], v[36:37] neg_lo:[0,0,1] neg_hi:[0,0,1]
	s_delay_alu instid0(VALU_DEP_3) | instskip(NEXT) | instid1(VALU_DEP_3)
	v_pk_add_f32 v[34:35], v[34:35], v[38:39]
	v_mov_b32_e32 v37, v41
	s_delay_alu instid0(VALU_DEP_1) | instskip(SKIP_1) | instid1(VALU_DEP_1)
	v_pk_add_f32 v[34:35], v[34:35], v[36:37]
	s_wait_loadcnt 0x0
	v_pk_add_f32 v[34:35], v[68:69], v[34:35] neg_lo:[0,1] neg_hi:[0,1]
	scratch_store_b64 off, v[34:35], off offset:48
	s_wait_xcnt 0x0
	v_cmpx_lt_u32_e32 5, v0
	s_cbranch_execz .LBB15_99
; %bb.98:
	scratch_load_b64 v[34:35], off, off offset:40
	v_mov_b64_e32 v[36:37], 0
	scratch_store_b64 off, v[36:37], off offset:40
	s_wait_loadcnt 0x0
	ds_store_b64 v1, v[34:35]
.LBB15_99:
	s_wait_xcnt 0x0
	s_or_b32 exec_lo, exec_lo, s0
	s_wait_storecnt_dscnt 0x0
	s_barrier_signal -1
	s_barrier_wait -1
	s_clause 0x5
	scratch_load_b128 v[34:37], off, off offset:48
	scratch_load_b128 v[38:41], off, off offset:64
	;; [unrolled: 1-line block ×5, first 2 shown]
	scratch_load_b64 v[74:75], off, off offset:40
	ds_load_b128 v[54:57], v7 offset:192
	ds_load_b128 v[58:61], v7 offset:208
	;; [unrolled: 1-line block ×5, first 2 shown]
	s_mov_b32 s0, exec_lo
	s_wait_dscnt 0x4
	v_dual_mov_b32 v76, v57 :: v_dual_mov_b32 v77, v56
	s_wait_dscnt 0x3
	v_dual_mov_b32 v78, v61 :: v_dual_mov_b32 v79, v60
	s_wait_dscnt 0x2
	v_dual_mov_b32 v80, v65 :: v_dual_mov_b32 v81, v64
	s_wait_dscnt 0x1
	v_dual_mov_b32 v82, v69 :: v_dual_mov_b32 v83, v68
	s_wait_loadcnt_dscnt 0x500
	v_dual_mul_f32 v85, v70, v35 :: v_dual_mul_f32 v87, v72, v37
	v_dual_mul_f32 v7, v71, v35 :: v_dual_mul_f32 v9, v73, v37
	s_wait_loadcnt 0x4
	v_pk_mul_f32 v[88:89], v[54:55], v[38:39] op_sel:[1,1] op_sel_hi:[0,1]
	s_wait_loadcnt 0x3
	v_dual_mov_b32 v90, v41 :: v_dual_mov_b32 v94, v45
	v_dual_fmac_f32 v85, v71, v34 :: v_dual_fma_f32 v84, v70, v34, -v7
	v_dual_fmac_f32 v87, v73, v36 :: v_dual_fma_f32 v86, v72, v36, -v9
	v_pk_fma_f32 v[34:35], v[54:55], v[38:39], v[88:89] op_sel_hi:[1,0,1]
	s_delay_alu instid0(VALU_DEP_4) | instskip(NEXT) | instid1(VALU_DEP_4)
	v_pk_mul_f32 v[36:37], v[76:77], v[90:91] op_sel_hi:[1,0]
	v_pk_add_f32 v[70:71], v[84:85], 0 op_sel_hi:[1,0]
	v_pk_fma_f32 v[38:39], v[54:55], v[38:39], v[88:89] neg_lo:[0,0,1] neg_hi:[0,0,1]
	v_pk_mul_f32 v[92:93], v[58:59], v[42:43] op_sel:[1,1] op_sel_hi:[0,1]
	v_mov_b32_e32 v39, v35
	v_pk_fma_f32 v[34:35], v[56:57], v[40:41], v[36:37] op_sel_hi:[1,0,1]
	v_pk_add_f32 v[54:55], v[70:71], v[86:87]
	v_pk_fma_f32 v[36:37], v[56:57], v[40:41], v[36:37] neg_lo:[0,0,1] neg_hi:[0,0,1]
	v_pk_fma_f32 v[70:71], v[58:59], v[42:43], v[92:93] op_sel_hi:[1,0,1]
	v_pk_mul_f32 v[76:77], v[78:79], v[94:95] op_sel_hi:[1,0]
	v_mov_b32_e32 v37, v35
	v_pk_add_f32 v[34:35], v[54:55], v[38:39]
	s_wait_loadcnt 0x2
	v_pk_mul_f32 v[72:73], v[62:63], v[46:47] op_sel:[1,1] op_sel_hi:[0,1]
	v_mov_b32_e32 v38, v49
	v_pk_fma_f32 v[40:41], v[58:59], v[42:43], v[92:93] neg_lo:[0,0,1] neg_hi:[0,0,1]
	v_mov_b32_e32 v41, v71
	v_pk_fma_f32 v[42:43], v[60:61], v[44:45], v[76:77] op_sel_hi:[1,0,1]
	v_pk_add_f32 v[34:35], v[34:35], v[36:37]
	v_pk_fma_f32 v[36:37], v[62:63], v[46:47], v[72:73] op_sel_hi:[1,0,1]
	v_pk_mul_f32 v[38:39], v[80:81], v[38:39] op_sel_hi:[1,0]
	v_pk_fma_f32 v[44:45], v[60:61], v[44:45], v[76:77] neg_lo:[0,0,1] neg_hi:[0,0,1]
	v_mov_b32_e32 v45, v43
	v_pk_add_f32 v[34:35], v[34:35], v[40:41]
	v_pk_fma_f32 v[42:43], v[62:63], v[46:47], v[72:73] neg_lo:[0,0,1] neg_hi:[0,0,1]
	v_mov_b32_e32 v43, v37
	v_pk_fma_f32 v[36:37], v[64:65], v[48:49], v[38:39] op_sel_hi:[1,0,1]
	s_wait_loadcnt 0x1
	v_pk_mul_f32 v[40:41], v[66:67], v[50:51] op_sel:[1,1] op_sel_hi:[0,1]
	v_pk_add_f32 v[34:35], v[34:35], v[44:45]
	v_mov_b32_e32 v36, v53
	v_pk_fma_f32 v[38:39], v[64:65], v[48:49], v[38:39] neg_lo:[0,0,1] neg_hi:[0,0,1]
	v_mov_b32_e32 v39, v37
	v_pk_fma_f32 v[44:45], v[66:67], v[50:51], v[40:41] op_sel_hi:[1,0,1]
	v_pk_add_f32 v[34:35], v[34:35], v[42:43]
	v_pk_mul_f32 v[36:37], v[82:83], v[36:37] op_sel_hi:[1,0]
	v_pk_fma_f32 v[40:41], v[66:67], v[50:51], v[40:41] neg_lo:[0,0,1] neg_hi:[0,0,1]
	s_delay_alu instid0(VALU_DEP_3) | instskip(NEXT) | instid1(VALU_DEP_3)
	v_pk_add_f32 v[34:35], v[34:35], v[38:39]
	v_pk_fma_f32 v[38:39], v[68:69], v[52:53], v[36:37] op_sel_hi:[1,0,1]
	v_mov_b32_e32 v41, v45
	v_pk_fma_f32 v[36:37], v[68:69], v[52:53], v[36:37] neg_lo:[0,0,1] neg_hi:[0,0,1]
	s_delay_alu instid0(VALU_DEP_3) | instskip(NEXT) | instid1(VALU_DEP_3)
	v_mov_b32_e32 v37, v39
	v_pk_add_f32 v[34:35], v[34:35], v[40:41]
	s_delay_alu instid0(VALU_DEP_1) | instskip(SKIP_1) | instid1(VALU_DEP_1)
	v_pk_add_f32 v[34:35], v[34:35], v[36:37]
	s_wait_loadcnt 0x0
	v_pk_add_f32 v[34:35], v[74:75], v[34:35] neg_lo:[0,1] neg_hi:[0,1]
	scratch_store_b64 off, v[34:35], off offset:40
	s_wait_xcnt 0x0
	v_cmpx_lt_u32_e32 4, v0
	s_cbranch_execz .LBB15_101
; %bb.100:
	scratch_load_b64 v[34:35], off, off offset:32
	v_mov_b64_e32 v[36:37], 0
	scratch_store_b64 off, v[36:37], off offset:32
	s_wait_loadcnt 0x0
	ds_store_b64 v1, v[34:35]
.LBB15_101:
	s_wait_xcnt 0x0
	s_or_b32 exec_lo, exec_lo, s0
	s_wait_storecnt_dscnt 0x0
	s_barrier_signal -1
	s_barrier_wait -1
	s_clause 0x6
	scratch_load_b128 v[34:37], off, off offset:40
	scratch_load_b128 v[38:41], off, off offset:56
	;; [unrolled: 1-line block ×5, first 2 shown]
	scratch_load_b64 v[74:75], off, off offset:120
	scratch_load_b64 v[76:77], off, off offset:32
	v_mov_b32_e32 v7, 0
	ds_load_2addr_b64 v[54:57], v7 offset0:23 offset1:24
	ds_load_2addr_b64 v[58:61], v7 offset0:25 offset1:26
	;; [unrolled: 1-line block ×5, first 2 shown]
	ds_load_b64 v[78:79], v7 offset:248
	s_mov_b32 s0, exec_lo
	s_wait_dscnt 0x5
	v_dual_mov_b32 v80, v57 :: v_dual_mov_b32 v81, v56
	s_wait_dscnt 0x2
	v_dual_mov_b32 v82, v61 :: v_dual_mov_b32 v87, v68
	v_dual_mov_b32 v83, v60 :: v_dual_mov_b32 v84, v65
	;; [unrolled: 1-line block ×3, first 2 shown]
	s_wait_loadcnt_dscnt 0x601
	v_dual_mul_f32 v9, v70, v35 :: v_dual_mul_f32 v11, v71, v35
	v_dual_mul_f32 v13, v73, v37 :: v_dual_mul_f32 v89, v72, v37
	s_wait_loadcnt 0x5
	v_dual_mul_f32 v91, v54, v39 :: v_dual_mul_f32 v15, v55, v39
	s_wait_loadcnt 0x4
	v_dual_mov_b32 v90, v41 :: v_dual_mov_b32 v94, v45
	v_dual_fmac_f32 v9, v71, v34 :: v_dual_fma_f32 v11, v70, v34, -v11
	v_fmac_f32_e32 v89, v73, v36
	v_pk_mul_f32 v[92:93], v[58:59], v[42:43] op_sel:[1,1] op_sel_hi:[0,1]
	s_delay_alu instid0(VALU_DEP_3)
	v_dual_fma_f32 v88, v72, v36, -v13 :: v_dual_add_f32 v37, 0, v9
	v_pk_mul_f32 v[34:35], v[80:81], v[90:91] op_sel_hi:[1,0]
	s_wait_loadcnt 0x3
	v_dual_add_f32 v36, 0, v11 :: v_dual_mov_b32 v70, v49
	v_fmac_f32_e32 v91, v55, v38
	v_fma_f32 v90, v54, v38, -v15
	v_pk_fma_f32 v[38:39], v[56:57], v[40:41], v[34:35] op_sel_hi:[1,0,1]
	s_delay_alu instid0(VALU_DEP_4) | instskip(SKIP_4) | instid1(VALU_DEP_4)
	v_pk_add_f32 v[36:37], v[36:37], v[88:89]
	v_pk_fma_f32 v[54:55], v[58:59], v[42:43], v[92:93] op_sel_hi:[1,0,1]
	v_pk_fma_f32 v[34:35], v[56:57], v[40:41], v[34:35] neg_lo:[0,0,1] neg_hi:[0,0,1]
	v_pk_fma_f32 v[40:41], v[58:59], v[42:43], v[92:93] neg_lo:[0,0,1] neg_hi:[0,0,1]
	v_pk_mul_f32 v[72:73], v[82:83], v[94:95] op_sel_hi:[1,0]
	v_dual_mov_b32 v35, v39 :: v_dual_mov_b32 v41, v55
	v_pk_add_f32 v[36:37], v[36:37], v[90:91]
	v_pk_mul_f32 v[96:97], v[62:63], v[46:47] op_sel:[1,1] op_sel_hi:[0,1]
	s_delay_alu instid0(VALU_DEP_4)
	v_pk_fma_f32 v[42:43], v[60:61], v[44:45], v[72:73] op_sel_hi:[1,0,1]
	v_pk_fma_f32 v[44:45], v[60:61], v[44:45], v[72:73] neg_lo:[0,0,1] neg_hi:[0,0,1]
	v_pk_mul_f32 v[54:55], v[84:85], v[70:71] op_sel_hi:[1,0]
	v_pk_add_f32 v[34:35], v[36:37], v[34:35]
	v_pk_fma_f32 v[36:37], v[62:63], v[46:47], v[96:97] op_sel_hi:[1,0,1]
	s_wait_loadcnt 0x2
	v_dual_mov_b32 v45, v43 :: v_dual_mov_b32 v36, v53
	v_pk_mul_f32 v[38:39], v[66:67], v[50:51] op_sel:[1,1] op_sel_hi:[0,1]
	v_pk_add_f32 v[34:35], v[34:35], v[40:41]
	v_pk_fma_f32 v[40:41], v[62:63], v[46:47], v[96:97] neg_lo:[0,0,1] neg_hi:[0,0,1]
	v_pk_fma_f32 v[42:43], v[64:65], v[48:49], v[54:55] op_sel_hi:[1,0,1]
	v_mov_b32_e32 v41, v37
	v_pk_fma_f32 v[46:47], v[64:65], v[48:49], v[54:55] neg_lo:[0,0,1] neg_hi:[0,0,1]
	v_pk_add_f32 v[34:35], v[34:35], v[44:45]
	v_pk_fma_f32 v[44:45], v[66:67], v[50:51], v[38:39] op_sel_hi:[1,0,1]
	v_pk_mul_f32 v[36:37], v[86:87], v[36:37] op_sel_hi:[1,0]
	v_mov_b32_e32 v47, v43
	v_pk_fma_f32 v[38:39], v[66:67], v[50:51], v[38:39] neg_lo:[0,0,1] neg_hi:[0,0,1]
	v_pk_add_f32 v[34:35], v[34:35], v[40:41]
	s_wait_loadcnt_dscnt 0x100
	v_pk_mul_f32 v[42:43], v[78:79], v[74:75] op_sel:[1,1] op_sel_hi:[0,1]
	v_pk_fma_f32 v[40:41], v[68:69], v[52:53], v[36:37] op_sel_hi:[1,0,1]
	v_mov_b32_e32 v39, v45
	v_pk_fma_f32 v[36:37], v[68:69], v[52:53], v[36:37] neg_lo:[0,0,1] neg_hi:[0,0,1]
	v_pk_add_f32 v[34:35], v[34:35], v[46:47]
	s_delay_alu instid0(VALU_DEP_4) | instskip(SKIP_1) | instid1(VALU_DEP_3)
	v_mov_b32_e32 v37, v41
	v_pk_fma_f32 v[40:41], v[78:79], v[74:75], v[42:43] neg_lo:[0,0,1] neg_hi:[0,0,1]
	v_pk_add_f32 v[34:35], v[34:35], v[38:39]
	v_pk_fma_f32 v[38:39], v[78:79], v[74:75], v[42:43] op_sel_hi:[1,0,1]
	s_delay_alu instid0(VALU_DEP_2) | instskip(NEXT) | instid1(VALU_DEP_2)
	v_pk_add_f32 v[34:35], v[34:35], v[36:37]
	v_mov_b32_e32 v41, v39
	s_delay_alu instid0(VALU_DEP_1) | instskip(SKIP_1) | instid1(VALU_DEP_1)
	v_pk_add_f32 v[34:35], v[34:35], v[40:41]
	s_wait_loadcnt 0x0
	v_pk_add_f32 v[34:35], v[76:77], v[34:35] neg_lo:[0,1] neg_hi:[0,1]
	scratch_store_b64 off, v[34:35], off offset:32
	s_wait_xcnt 0x0
	v_cmpx_lt_u32_e32 3, v0
	s_cbranch_execz .LBB15_103
; %bb.102:
	scratch_load_b64 v[34:35], off, off offset:24
	v_mov_b64_e32 v[36:37], 0
	scratch_store_b64 off, v[36:37], off offset:24
	s_wait_loadcnt 0x0
	ds_store_b64 v1, v[34:35]
.LBB15_103:
	s_wait_xcnt 0x0
	s_or_b32 exec_lo, exec_lo, s0
	s_wait_storecnt_dscnt 0x0
	s_barrier_signal -1
	s_barrier_wait -1
	s_clause 0x6
	scratch_load_b128 v[34:37], off, off offset:32
	scratch_load_b128 v[38:41], off, off offset:48
	;; [unrolled: 1-line block ×6, first 2 shown]
	scratch_load_b64 v[82:83], off, off offset:24
	ds_load_b128 v[58:61], v7 offset:192
	ds_load_b128 v[62:65], v7 offset:208
	;; [unrolled: 1-line block ×6, first 2 shown]
	s_mov_b32 s0, exec_lo
	s_wait_dscnt 0x5
	v_dual_mov_b32 v84, v61 :: v_dual_mov_b32 v85, v60
	s_wait_dscnt 0x4
	v_dual_mov_b32 v86, v65 :: v_dual_mov_b32 v87, v64
	;; [unrolled: 2-line block ×4, first 2 shown]
	s_wait_loadcnt_dscnt 0x601
	v_dual_mul_f32 v7, v74, v35 :: v_dual_mul_f32 v9, v76, v37
	v_dual_mul_f32 v11, v75, v35 :: v_dual_mul_f32 v13, v77, v37
	s_wait_loadcnt 0x4
	s_delay_alu instid0(VALU_DEP_2)
	v_dual_mov_b32 v98, v45 :: v_dual_fmac_f32 v7, v75, v34
	s_wait_dscnt 0x0
	v_dual_mul_f32 v93, v78, v39 :: v_dual_mul_f32 v95, v80, v41
	v_dual_fma_f32 v11, v74, v34, -v11 :: v_dual_fmac_f32 v9, v77, v36
	v_dual_mul_f32 v15, v79, v39 :: v_dual_mul_f32 v17, v81, v41
	v_dual_fma_f32 v13, v76, v36, -v13 :: v_dual_add_f32 v7, 0, v7
	s_wait_loadcnt 0x3
	s_delay_alu instid0(VALU_DEP_3) | instskip(SKIP_3) | instid1(VALU_DEP_4)
	v_dual_add_f32 v11, 0, v11 :: v_dual_mov_b32 v36, v49
	v_pk_mul_f32 v[96:97], v[58:59], v[42:43] op_sel:[1,1] op_sel_hi:[0,1]
	v_dual_fmac_f32 v93, v79, v38 :: v_dual_fma_f32 v92, v78, v38, -v15
	v_dual_add_f32 v39, v7, v9 :: v_dual_fmac_f32 v95, v81, v40
	v_dual_add_f32 v38, v11, v13 :: v_dual_fma_f32 v94, v80, v40, -v17
	s_delay_alu instid0(VALU_DEP_4) | instskip(SKIP_2) | instid1(VALU_DEP_4)
	v_pk_fma_f32 v[40:41], v[58:59], v[42:43], v[96:97] op_sel_hi:[1,0,1]
	v_pk_mul_f32 v[74:75], v[84:85], v[98:99] op_sel_hi:[1,0]
	v_pk_fma_f32 v[42:43], v[58:59], v[42:43], v[96:97] neg_lo:[0,0,1] neg_hi:[0,0,1]
	v_pk_add_f32 v[38:39], v[38:39], v[92:93]
	v_pk_mul_f32 v[34:35], v[62:63], v[46:47] op_sel:[1,1] op_sel_hi:[0,1]
	v_mov_b32_e32 v43, v41
	v_pk_fma_f32 v[40:41], v[60:61], v[44:45], v[74:75] op_sel_hi:[1,0,1]
	v_pk_fma_f32 v[44:45], v[60:61], v[44:45], v[74:75] neg_lo:[0,0,1] neg_hi:[0,0,1]
	v_pk_add_f32 v[38:39], v[38:39], v[94:95]
	v_pk_fma_f32 v[58:59], v[62:63], v[46:47], v[34:35] op_sel_hi:[1,0,1]
	v_pk_mul_f32 v[36:37], v[86:87], v[36:37] op_sel_hi:[1,0]
	v_mov_b32_e32 v45, v41
	v_pk_fma_f32 v[34:35], v[62:63], v[46:47], v[34:35] neg_lo:[0,0,1] neg_hi:[0,0,1]
	v_pk_add_f32 v[38:39], v[38:39], v[42:43]
	s_wait_loadcnt 0x2
	v_pk_mul_f32 v[76:77], v[66:67], v[50:51] op_sel:[1,1] op_sel_hi:[0,1]
	v_dual_mov_b32 v40, v53 :: v_dual_mov_b32 v35, v59
	v_pk_fma_f32 v[42:43], v[64:65], v[48:49], v[36:37] op_sel_hi:[1,0,1]
	v_pk_add_f32 v[38:39], v[38:39], v[44:45]
	v_pk_fma_f32 v[36:37], v[64:65], v[48:49], v[36:37] neg_lo:[0,0,1] neg_hi:[0,0,1]
	v_pk_fma_f32 v[44:45], v[66:67], v[50:51], v[76:77] op_sel_hi:[1,0,1]
	v_pk_mul_f32 v[40:41], v[88:89], v[40:41] op_sel_hi:[1,0]
	v_mov_b32_e32 v37, v43
	v_pk_add_f32 v[34:35], v[38:39], v[34:35]
	v_pk_fma_f32 v[42:43], v[66:67], v[50:51], v[76:77] neg_lo:[0,0,1] neg_hi:[0,0,1]
	s_wait_loadcnt 0x1
	v_pk_mul_f32 v[38:39], v[70:71], v[54:55] op_sel:[1,1] op_sel_hi:[0,1]
	v_mov_b32_e32 v43, v45
	v_pk_fma_f32 v[44:45], v[68:69], v[52:53], v[40:41] op_sel_hi:[1,0,1]
	v_pk_add_f32 v[34:35], v[34:35], v[36:37]
	v_mov_b32_e32 v36, v57
	v_pk_fma_f32 v[40:41], v[68:69], v[52:53], v[40:41] neg_lo:[0,0,1] neg_hi:[0,0,1]
	v_pk_fma_f32 v[46:47], v[70:71], v[54:55], v[38:39] op_sel_hi:[1,0,1]
	v_mov_b32_e32 v41, v45
	v_pk_add_f32 v[34:35], v[34:35], v[42:43]
	v_pk_mul_f32 v[36:37], v[90:91], v[36:37] op_sel_hi:[1,0]
	v_pk_fma_f32 v[38:39], v[70:71], v[54:55], v[38:39] neg_lo:[0,0,1] neg_hi:[0,0,1]
	s_delay_alu instid0(VALU_DEP_3) | instskip(NEXT) | instid1(VALU_DEP_3)
	v_pk_add_f32 v[34:35], v[34:35], v[40:41]
	v_pk_fma_f32 v[40:41], v[72:73], v[56:57], v[36:37] op_sel_hi:[1,0,1]
	v_mov_b32_e32 v39, v47
	v_pk_fma_f32 v[36:37], v[72:73], v[56:57], v[36:37] neg_lo:[0,0,1] neg_hi:[0,0,1]
	s_delay_alu instid0(VALU_DEP_3) | instskip(NEXT) | instid1(VALU_DEP_3)
	v_mov_b32_e32 v37, v41
	v_pk_add_f32 v[34:35], v[34:35], v[38:39]
	s_delay_alu instid0(VALU_DEP_1) | instskip(SKIP_1) | instid1(VALU_DEP_1)
	v_pk_add_f32 v[34:35], v[34:35], v[36:37]
	s_wait_loadcnt 0x0
	v_pk_add_f32 v[34:35], v[82:83], v[34:35] neg_lo:[0,1] neg_hi:[0,1]
	scratch_store_b64 off, v[34:35], off offset:24
	s_wait_xcnt 0x0
	v_cmpx_lt_u32_e32 2, v0
	s_cbranch_execz .LBB15_105
; %bb.104:
	scratch_load_b64 v[34:35], off, off offset:16
	v_mov_b64_e32 v[36:37], 0
	scratch_store_b64 off, v[36:37], off offset:16
	s_wait_loadcnt 0x0
	ds_store_b64 v1, v[34:35]
.LBB15_105:
	s_wait_xcnt 0x0
	s_or_b32 exec_lo, exec_lo, s0
	s_wait_storecnt_dscnt 0x0
	s_barrier_signal -1
	s_barrier_wait -1
	s_clause 0x7
	scratch_load_b128 v[34:37], off, off offset:24
	scratch_load_b128 v[38:41], off, off offset:40
	;; [unrolled: 1-line block ×6, first 2 shown]
	scratch_load_b64 v[82:83], off, off offset:120
	scratch_load_b64 v[84:85], off, off offset:16
	v_mov_b32_e32 v7, 0
	ds_load_2addr_b64 v[58:61], v7 offset0:23 offset1:24
	ds_load_2addr_b64 v[62:65], v7 offset0:25 offset1:26
	;; [unrolled: 1-line block ×6, first 2 shown]
	ds_load_b64 v[86:87], v7 offset:248
	s_mov_b32 s0, exec_lo
	s_wait_dscnt 0x6
	v_dual_mov_b32 v88, v61 :: v_dual_mov_b32 v89, v60
	s_wait_dscnt 0x3
	v_dual_mov_b32 v90, v65 :: v_dual_mov_b32 v95, v72
	v_dual_mov_b32 v91, v64 :: v_dual_mov_b32 v92, v69
	;; [unrolled: 1-line block ×3, first 2 shown]
	s_wait_loadcnt_dscnt 0x702
	v_dual_mul_f32 v9, v74, v35 :: v_dual_mul_f32 v15, v75, v35
	v_dual_mul_f32 v17, v77, v37 :: v_dual_mul_f32 v11, v76, v37
	s_wait_loadcnt_dscnt 0x601
	s_delay_alu instid0(VALU_DEP_2) | instskip(NEXT) | instid1(VALU_DEP_3)
	v_dual_mul_f32 v13, v78, v39 :: v_dual_fmac_f32 v9, v75, v34
	v_dual_fma_f32 v15, v74, v34, -v15 :: v_dual_mul_f32 v19, v79, v39
	v_mul_f32_e32 v21, v81, v41
	s_wait_loadcnt 0x4
	v_dual_mov_b32 v34, v49 :: v_dual_fma_f32 v17, v76, v36, -v17
	v_dual_fmac_f32 v11, v77, v36 :: v_dual_add_f32 v9, 0, v9
	v_dual_add_f32 v15, 0, v15 :: v_dual_fmac_f32 v13, v79, v38
	v_dual_mul_f32 v97, v80, v41 :: v_dual_mul_f32 v99, v58, v43
	v_dual_mul_f32 v23, v59, v43 :: v_dual_mov_b32 v98, v45
	s_delay_alu instid0(VALU_DEP_4) | instskip(NEXT) | instid1(VALU_DEP_3)
	v_dual_fma_f32 v19, v78, v38, -v19 :: v_dual_add_f32 v9, v9, v11
	v_dual_add_f32 v11, v15, v17 :: v_dual_fmac_f32 v97, v81, v40
	v_pk_mul_f32 v[100:101], v[62:63], v[46:47] op_sel:[1,1] op_sel_hi:[0,1]
	s_delay_alu instid0(VALU_DEP_3)
	v_dual_fma_f32 v96, v80, v40, -v21 :: v_dual_add_f32 v41, v9, v13
	v_pk_mul_f32 v[38:39], v[88:89], v[98:99] op_sel_hi:[1,0]
	s_wait_loadcnt 0x3
	v_dual_add_f32 v40, v11, v19 :: v_dual_mov_b32 v74, v53
	v_fmac_f32_e32 v99, v59, v42
	v_fma_f32 v98, v58, v42, -v23
	v_pk_fma_f32 v[42:43], v[60:61], v[44:45], v[38:39] op_sel_hi:[1,0,1]
	s_delay_alu instid0(VALU_DEP_4) | instskip(SKIP_4) | instid1(VALU_DEP_4)
	v_pk_add_f32 v[40:41], v[40:41], v[96:97]
	v_pk_fma_f32 v[58:59], v[62:63], v[46:47], v[100:101] op_sel_hi:[1,0,1]
	v_pk_fma_f32 v[38:39], v[60:61], v[44:45], v[38:39] neg_lo:[0,0,1] neg_hi:[0,0,1]
	v_pk_fma_f32 v[44:45], v[62:63], v[46:47], v[100:101] neg_lo:[0,0,1] neg_hi:[0,0,1]
	v_pk_mul_f32 v[34:35], v[90:91], v[34:35] op_sel_hi:[1,0]
	v_dual_mov_b32 v39, v43 :: v_dual_mov_b32 v45, v59
	v_pk_add_f32 v[40:41], v[40:41], v[98:99]
	v_pk_mul_f32 v[36:37], v[66:67], v[50:51] op_sel:[1,1] op_sel_hi:[0,1]
	s_delay_alu instid0(VALU_DEP_4)
	v_pk_fma_f32 v[46:47], v[64:65], v[48:49], v[34:35] op_sel_hi:[1,0,1]
	v_pk_fma_f32 v[34:35], v[64:65], v[48:49], v[34:35] neg_lo:[0,0,1] neg_hi:[0,0,1]
	v_pk_mul_f32 v[58:59], v[92:93], v[74:75] op_sel_hi:[1,0]
	v_pk_add_f32 v[38:39], v[40:41], v[38:39]
	v_pk_fma_f32 v[40:41], v[66:67], v[50:51], v[36:37] op_sel_hi:[1,0,1]
	s_wait_loadcnt 0x2
	v_dual_mov_b32 v35, v47 :: v_dual_mov_b32 v40, v57
	v_pk_fma_f32 v[36:37], v[66:67], v[50:51], v[36:37] neg_lo:[0,0,1] neg_hi:[0,0,1]
	v_pk_add_f32 v[38:39], v[38:39], v[44:45]
	v_pk_mul_f32 v[42:43], v[70:71], v[54:55] op_sel:[1,1] op_sel_hi:[0,1]
	v_pk_fma_f32 v[44:45], v[68:69], v[52:53], v[58:59] op_sel_hi:[1,0,1]
	v_mov_b32_e32 v37, v41
	v_pk_fma_f32 v[46:47], v[68:69], v[52:53], v[58:59] neg_lo:[0,0,1] neg_hi:[0,0,1]
	v_pk_add_f32 v[34:35], v[38:39], v[34:35]
	v_pk_fma_f32 v[38:39], v[70:71], v[54:55], v[42:43] op_sel_hi:[1,0,1]
	v_pk_mul_f32 v[40:41], v[94:95], v[40:41] op_sel_hi:[1,0]
	v_mov_b32_e32 v47, v45
	s_delay_alu instid0(VALU_DEP_4)
	v_pk_add_f32 v[34:35], v[34:35], v[36:37]
	v_pk_fma_f32 v[36:37], v[70:71], v[54:55], v[42:43] neg_lo:[0,0,1] neg_hi:[0,0,1]
	v_mov_b32_e32 v37, v39
	v_pk_fma_f32 v[38:39], v[72:73], v[56:57], v[40:41] op_sel_hi:[1,0,1]
	s_wait_loadcnt_dscnt 0x100
	v_pk_mul_f32 v[42:43], v[86:87], v[82:83] op_sel:[1,1] op_sel_hi:[0,1]
	v_pk_add_f32 v[34:35], v[34:35], v[46:47]
	v_pk_fma_f32 v[40:41], v[72:73], v[56:57], v[40:41] neg_lo:[0,0,1] neg_hi:[0,0,1]
	v_mov_b32_e32 v41, v39
	s_delay_alu instid0(VALU_DEP_4) | instskip(NEXT) | instid1(VALU_DEP_4)
	v_pk_fma_f32 v[38:39], v[86:87], v[82:83], v[42:43] neg_lo:[0,0,1] neg_hi:[0,0,1]
	v_pk_add_f32 v[34:35], v[34:35], v[36:37]
	v_pk_fma_f32 v[36:37], v[86:87], v[82:83], v[42:43] op_sel_hi:[1,0,1]
	s_delay_alu instid0(VALU_DEP_2) | instskip(NEXT) | instid1(VALU_DEP_2)
	v_pk_add_f32 v[34:35], v[34:35], v[40:41]
	v_mov_b32_e32 v39, v37
	s_delay_alu instid0(VALU_DEP_1) | instskip(SKIP_1) | instid1(VALU_DEP_1)
	v_pk_add_f32 v[34:35], v[34:35], v[38:39]
	s_wait_loadcnt 0x0
	v_pk_add_f32 v[34:35], v[84:85], v[34:35] neg_lo:[0,1] neg_hi:[0,1]
	scratch_store_b64 off, v[34:35], off offset:16
	s_wait_xcnt 0x0
	v_cmpx_lt_u32_e32 1, v0
	s_cbranch_execz .LBB15_107
; %bb.106:
	scratch_load_b64 v[34:35], off, off offset:8
	v_mov_b64_e32 v[36:37], 0
	scratch_store_b64 off, v[36:37], off offset:8
	s_wait_loadcnt 0x0
	ds_store_b64 v1, v[34:35]
.LBB15_107:
	s_wait_xcnt 0x0
	s_or_b32 exec_lo, exec_lo, s0
	s_wait_storecnt_dscnt 0x0
	s_barrier_signal -1
	s_barrier_wait -1
	s_clause 0x7
	scratch_load_b128 v[34:37], off, off offset:16
	scratch_load_b128 v[38:41], off, off offset:32
	;; [unrolled: 1-line block ×7, first 2 shown]
	scratch_load_b64 v[90:91], off, off offset:8
	ds_load_b128 v[62:65], v7 offset:192
	ds_load_b128 v[66:69], v7 offset:208
	;; [unrolled: 1-line block ×7, first 2 shown]
	v_ashrrev_i32_e32 v11, 31, v10
	v_dual_ashrrev_i32 v7, 31, v6 :: v_dual_ashrrev_i32 v9, 31, v8
	s_mov_b32 s0, exec_lo
	s_wait_dscnt 0x6
	v_dual_mov_b32 v92, v65 :: v_dual_ashrrev_i32 v33, 31, v32
	s_wait_dscnt 0x5
	v_dual_mov_b32 v93, v64 :: v_dual_mov_b32 v94, v69
	s_wait_dscnt 0x3
	v_dual_mov_b32 v99, v76 :: v_dual_mov_b32 v95, v68
	v_dual_mov_b32 v96, v73 :: v_dual_mov_b32 v97, v72
	s_wait_loadcnt_dscnt 0x702
	v_dual_mov_b32 v98, v77 :: v_dual_mul_f32 v13, v78, v35
	v_dual_mul_f32 v15, v80, v37 :: v_dual_mul_f32 v17, v79, v35
	s_wait_loadcnt_dscnt 0x601
	v_dual_mul_f32 v19, v81, v37 :: v_dual_mul_f32 v21, v82, v39
	s_delay_alu instid0(VALU_DEP_2) | instskip(NEXT) | instid1(VALU_DEP_2)
	v_dual_fmac_f32 v13, v79, v34 :: v_dual_fmac_f32 v15, v81, v36
	v_dual_fma_f32 v17, v78, v34, -v17 :: v_dual_fma_f32 v19, v80, v36, -v19
	v_dual_mul_f32 v23, v84, v41 :: v_dual_mul_f32 v25, v83, v39
	s_wait_loadcnt 0x4
	s_delay_alu instid0(VALU_DEP_3) | instskip(NEXT) | instid1(VALU_DEP_3)
	v_dual_add_f32 v13, 0, v13 :: v_dual_mov_b32 v80, v49
	v_add_f32_e32 v17, 0, v17
	s_wait_dscnt 0x0
	v_dual_mul_f32 v27, v85, v41 :: v_dual_mul_f32 v35, v86, v43
	v_dual_mul_f32 v37, v88, v45 :: v_dual_mul_f32 v29, v87, v43
	v_dual_mul_f32 v31, v89, v45 :: v_dual_fmac_f32 v21, v83, v38
	v_dual_fma_f32 v25, v82, v38, -v25 :: v_dual_add_f32 v13, v13, v15
	s_delay_alu instid0(VALU_DEP_3) | instskip(SKIP_1) | instid1(VALU_DEP_3)
	v_dual_add_f32 v15, v17, v19 :: v_dual_fma_f32 v34, v86, v42, -v29
	v_fmac_f32_e32 v23, v85, v40
	v_dual_fma_f32 v17, v84, v40, -v27 :: v_dual_add_f32 v13, v13, v21
	v_fmac_f32_e32 v35, v87, v42
	s_delay_alu instid0(VALU_DEP_4)
	v_add_f32_e32 v15, v15, v25
	v_pk_mul_f32 v[78:79], v[62:63], v[46:47] op_sel:[1,1] op_sel_hi:[0,1]
	s_wait_loadcnt 0x3
	v_mov_b32_e32 v40, v53
	v_dual_add_f32 v43, v13, v23 :: v_dual_fma_f32 v36, v88, v44, -v31
	v_dual_add_f32 v42, v15, v17 :: v_dual_fmac_f32 v37, v89, v44
	v_pk_fma_f32 v[44:45], v[62:63], v[46:47], v[78:79] op_sel_hi:[1,0,1]
	v_pk_mul_f32 v[80:81], v[92:93], v[80:81] op_sel_hi:[1,0]
	v_pk_fma_f32 v[46:47], v[62:63], v[46:47], v[78:79] neg_lo:[0,0,1] neg_hi:[0,0,1]
	s_delay_alu instid0(VALU_DEP_4)
	v_pk_add_f32 v[34:35], v[42:43], v[34:35]
	v_pk_mul_f32 v[38:39], v[66:67], v[50:51] op_sel:[1,1] op_sel_hi:[0,1]
	v_mov_b32_e32 v47, v45
	v_pk_fma_f32 v[44:45], v[64:65], v[48:49], v[80:81] op_sel_hi:[1,0,1]
	v_pk_fma_f32 v[48:49], v[64:65], v[48:49], v[80:81] neg_lo:[0,0,1] neg_hi:[0,0,1]
	v_pk_add_f32 v[34:35], v[34:35], v[36:37]
	v_pk_fma_f32 v[36:37], v[66:67], v[50:51], v[38:39] op_sel_hi:[1,0,1]
	v_pk_mul_f32 v[40:41], v[94:95], v[40:41] op_sel_hi:[1,0]
	v_mov_b32_e32 v49, v45
	v_pk_fma_f32 v[38:39], v[66:67], v[50:51], v[38:39] neg_lo:[0,0,1] neg_hi:[0,0,1]
	v_pk_add_f32 v[34:35], v[34:35], v[46:47]
	s_wait_loadcnt 0x2
	v_pk_mul_f32 v[42:43], v[70:71], v[54:55] op_sel:[1,1] op_sel_hi:[0,1]
	v_dual_mov_b32 v36, v57 :: v_dual_mov_b32 v39, v37
	v_pk_fma_f32 v[44:45], v[68:69], v[52:53], v[40:41] op_sel_hi:[1,0,1]
	v_pk_add_f32 v[34:35], v[34:35], v[48:49]
	v_pk_fma_f32 v[40:41], v[68:69], v[52:53], v[40:41] neg_lo:[0,0,1] neg_hi:[0,0,1]
	v_pk_fma_f32 v[46:47], v[70:71], v[54:55], v[42:43] op_sel_hi:[1,0,1]
	v_pk_mul_f32 v[36:37], v[96:97], v[36:37] op_sel_hi:[1,0]
	v_mov_b32_e32 v41, v45
	v_pk_add_f32 v[34:35], v[34:35], v[38:39]
	v_pk_fma_f32 v[42:43], v[70:71], v[54:55], v[42:43] neg_lo:[0,0,1] neg_hi:[0,0,1]
	s_wait_loadcnt 0x1
	v_pk_mul_f32 v[38:39], v[74:75], v[58:59] op_sel:[1,1] op_sel_hi:[0,1]
	v_mov_b32_e32 v43, v47
	v_pk_fma_f32 v[44:45], v[72:73], v[56:57], v[36:37] op_sel_hi:[1,0,1]
	v_pk_add_f32 v[34:35], v[34:35], v[40:41]
	v_mov_b32_e32 v40, v61
	v_pk_fma_f32 v[36:37], v[72:73], v[56:57], v[36:37] neg_lo:[0,0,1] neg_hi:[0,0,1]
	v_pk_fma_f32 v[46:47], v[74:75], v[58:59], v[38:39] op_sel_hi:[1,0,1]
	v_dual_mov_b32 v37, v45 :: v_dual_ashrrev_i32 v13, 31, v12
	v_pk_add_f32 v[34:35], v[34:35], v[42:43]
	v_pk_mul_f32 v[40:41], v[98:99], v[40:41] op_sel_hi:[1,0]
	v_pk_fma_f32 v[38:39], v[74:75], v[58:59], v[38:39] neg_lo:[0,0,1] neg_hi:[0,0,1]
	v_dual_mov_b32 v39, v47 :: v_dual_ashrrev_i32 v15, 31, v14
	s_delay_alu instid0(VALU_DEP_4) | instskip(NEXT) | instid1(VALU_DEP_4)
	v_pk_add_f32 v[34:35], v[34:35], v[36:37]
	v_pk_fma_f32 v[36:37], v[76:77], v[60:61], v[40:41] op_sel_hi:[1,0,1]
	v_pk_fma_f32 v[40:41], v[76:77], v[60:61], v[40:41] neg_lo:[0,0,1] neg_hi:[0,0,1]
	v_dual_ashrrev_i32 v17, 31, v16 :: v_dual_ashrrev_i32 v19, 31, v18
	v_ashrrev_i32_e32 v21, 31, v20
	v_pk_add_f32 v[34:35], v[34:35], v[38:39]
	v_dual_mov_b32 v41, v37 :: v_dual_ashrrev_i32 v23, 31, v22
	v_dual_ashrrev_i32 v25, 31, v24 :: v_dual_ashrrev_i32 v27, 31, v26
	v_ashrrev_i32_e32 v29, 31, v28
	s_delay_alu instid0(VALU_DEP_3) | instskip(SKIP_2) | instid1(VALU_DEP_2)
	v_pk_add_f32 v[34:35], v[34:35], v[40:41]
	v_ashrrev_i32_e32 v31, 31, v30
	s_wait_loadcnt 0x0
	v_pk_add_f32 v[34:35], v[90:91], v[34:35] neg_lo:[0,1] neg_hi:[0,1]
	scratch_store_b64 off, v[34:35], off offset:8
	s_wait_xcnt 0x0
	v_cmpx_ne_u32_e32 0, v0
	s_cbranch_execz .LBB15_109
; %bb.108:
	scratch_load_b64 v[34:35], off, off
	v_mov_b64_e32 v[36:37], 0
	scratch_store_b64 off, v[36:37], off
	s_wait_loadcnt 0x0
	ds_store_b64 v1, v[34:35]
.LBB15_109:
	s_wait_xcnt 0x0
	s_or_b32 exec_lo, exec_lo, s0
	s_wait_storecnt_dscnt 0x0
	s_barrier_signal -1
	s_barrier_wait -1
	s_clause 0x8
	scratch_load_b128 v[36:39], off, off offset:8
	scratch_load_b128 v[40:43], off, off offset:24
	;; [unrolled: 1-line block ×7, first 2 shown]
	scratch_load_b64 v[0:1], off, off offset:120
	scratch_load_b64 v[92:93], off, off
	v_mov_b32_e32 v34, 0
	ds_load_2addr_b64 v[64:67], v34 offset0:23 offset1:24
	ds_load_2addr_b64 v[68:71], v34 offset0:25 offset1:26
	;; [unrolled: 1-line block ×7, first 2 shown]
	ds_load_b64 v[94:95], v34 offset:248
	s_and_b32 vcc_lo, exec_lo, s18
	s_wait_dscnt 0x7
	v_dual_mov_b32 v96, v67 :: v_dual_mov_b32 v97, v66
	s_wait_dscnt 0x4
	v_dual_mov_b32 v98, v71 :: v_dual_mov_b32 v103, v78
	v_dual_mov_b32 v99, v70 :: v_dual_mov_b32 v100, v75
	;; [unrolled: 1-line block ×3, first 2 shown]
	s_wait_loadcnt_dscnt 0x803
	v_dual_mul_f32 v35, v80, v37 :: v_dual_mul_f32 v37, v81, v37
	s_wait_loadcnt_dscnt 0x702
	v_dual_mul_f32 v104, v82, v39 :: v_dual_mul_f32 v106, v84, v41
	;; [unrolled: 2-line block ×3, first 2 shown]
	v_dual_mul_f32 v39, v83, v39 :: v_dual_mul_f32 v49, v65, v49
	v_dual_fma_f32 v37, v80, v36, -v37 :: v_dual_fmac_f32 v35, v81, v36
	v_dual_mov_b32 v36, v51 :: v_dual_mul_f32 v41, v85, v41
	s_delay_alu instid0(VALU_DEP_3) | instskip(NEXT) | instid1(VALU_DEP_3)
	v_dual_fmac_f32 v104, v83, v38 :: v_dual_fma_f32 v80, v82, v38, -v39
	v_dual_add_f32 v35, 0, v35 :: v_dual_add_f32 v37, 0, v37
	v_dual_mul_f32 v108, v86, v43 :: v_dual_mul_f32 v109, v88, v45
	v_dual_mul_f32 v43, v87, v43 :: v_dual_fmac_f32 v106, v85, v40
	v_fma_f32 v41, v84, v40, -v41
	s_delay_alu instid0(VALU_DEP_4) | instskip(SKIP_3) | instid1(VALU_DEP_2)
	v_add_f32_e32 v35, v35, v104
	s_wait_loadcnt 0x4
	v_dual_add_f32 v37, v37, v80 :: v_dual_mov_b32 v40, v55
	v_dual_mul_f32 v45, v89, v45 :: v_dual_mul_f32 v47, v91, v47
	v_dual_fmac_f32 v108, v87, v42 :: v_dual_add_f32 v37, v37, v41
	v_fma_f32 v80, v86, v42, -v43
	v_dual_add_f32 v35, v35, v106 :: v_dual_fmac_f32 v109, v89, v44
	s_delay_alu instid0(VALU_DEP_4) | instskip(NEXT) | instid1(VALU_DEP_3)
	v_dual_fma_f32 v41, v88, v44, -v45 :: v_dual_fma_f32 v104, v90, v46, -v47
	v_dual_add_f32 v44, v37, v80 :: v_dual_fmac_f32 v105, v91, v46
	s_delay_alu instid0(VALU_DEP_3)
	v_add_f32_e32 v35, v35, v108
	v_pk_mul_f32 v[36:37], v[96:97], v[36:37] op_sel_hi:[1,0]
	v_pk_mul_f32 v[38:39], v[68:69], v[52:53] op_sel:[1,1] op_sel_hi:[0,1]
	s_wait_loadcnt 0x3
	v_dual_add_f32 v44, v44, v41 :: v_dual_mov_b32 v46, v59
	v_dual_fma_f32 v106, v64, v48, -v49 :: v_dual_add_f32 v45, v35, v109
	v_fmac_f32_e32 v107, v65, v48
	v_pk_fma_f32 v[48:49], v[66:67], v[50:51], v[36:37] op_sel_hi:[1,0,1]
	v_pk_fma_f32 v[36:37], v[66:67], v[50:51], v[36:37] neg_lo:[0,0,1] neg_hi:[0,0,1]
	v_pk_fma_f32 v[64:65], v[68:69], v[52:53], v[38:39] op_sel_hi:[1,0,1]
	v_pk_add_f32 v[44:45], v[44:45], v[104:105]
	v_pk_mul_f32 v[40:41], v[98:99], v[40:41] op_sel_hi:[1,0]
	v_mov_b32_e32 v37, v49
	v_pk_fma_f32 v[38:39], v[68:69], v[52:53], v[38:39] neg_lo:[0,0,1] neg_hi:[0,0,1]
	v_pk_mul_f32 v[42:43], v[72:73], v[56:57] op_sel:[1,1] op_sel_hi:[0,1]
	v_pk_add_f32 v[44:45], v[44:45], v[106:107]
	v_mov_b32_e32 v39, v65
	v_pk_fma_f32 v[50:51], v[70:71], v[54:55], v[40:41] op_sel_hi:[1,0,1]
	v_pk_fma_f32 v[40:41], v[70:71], v[54:55], v[40:41] neg_lo:[0,0,1] neg_hi:[0,0,1]
	v_pk_mul_f32 v[46:47], v[100:101], v[46:47] op_sel_hi:[1,0]
	v_pk_add_f32 v[36:37], v[44:45], v[36:37]
	v_pk_fma_f32 v[44:45], v[72:73], v[56:57], v[42:43] op_sel_hi:[1,0,1]
	v_mov_b32_e32 v41, v51
	v_pk_fma_f32 v[42:43], v[72:73], v[56:57], v[42:43] neg_lo:[0,0,1] neg_hi:[0,0,1]
	s_wait_loadcnt 0x2
	v_pk_mul_f32 v[48:49], v[76:77], v[60:61] op_sel:[1,1] op_sel_hi:[0,1]
	v_pk_add_f32 v[36:37], v[36:37], v[38:39]
	v_dual_mov_b32 v38, v63 :: v_dual_mov_b32 v43, v45
	v_pk_fma_f32 v[44:45], v[74:75], v[58:59], v[46:47] op_sel_hi:[1,0,1]
	v_pk_fma_f32 v[46:47], v[74:75], v[58:59], v[46:47] neg_lo:[0,0,1] neg_hi:[0,0,1]
	s_delay_alu instid0(VALU_DEP_4)
	v_pk_add_f32 v[36:37], v[36:37], v[40:41]
	v_pk_fma_f32 v[40:41], v[76:77], v[60:61], v[48:49] op_sel_hi:[1,0,1]
	v_pk_mul_f32 v[38:39], v[102:103], v[38:39] op_sel_hi:[1,0]
	v_mov_b32_e32 v47, v45
	v_pk_fma_f32 v[44:45], v[76:77], v[60:61], v[48:49] neg_lo:[0,0,1] neg_hi:[0,0,1]
	v_pk_add_f32 v[36:37], v[36:37], v[42:43]
	s_wait_loadcnt_dscnt 0x100
	v_pk_mul_f32 v[42:43], v[94:95], v[0:1] op_sel:[1,1] op_sel_hi:[0,1]
	v_mov_b32_e32 v45, v41
	v_pk_fma_f32 v[40:41], v[78:79], v[62:63], v[38:39] op_sel_hi:[1,0,1]
	v_pk_fma_f32 v[38:39], v[78:79], v[62:63], v[38:39] neg_lo:[0,0,1] neg_hi:[0,0,1]
	v_pk_add_f32 v[36:37], v[36:37], v[46:47]
	v_pk_fma_f32 v[46:47], v[94:95], v[0:1], v[42:43] op_sel_hi:[1,0,1]
	v_pk_fma_f32 v[0:1], v[94:95], v[0:1], v[42:43] neg_lo:[0,0,1] neg_hi:[0,0,1]
	v_mov_b32_e32 v39, v41
	s_delay_alu instid0(VALU_DEP_4) | instskip(NEXT) | instid1(VALU_DEP_4)
	v_pk_add_f32 v[36:37], v[36:37], v[44:45]
	v_mov_b32_e32 v1, v47
	s_delay_alu instid0(VALU_DEP_2) | instskip(NEXT) | instid1(VALU_DEP_1)
	v_pk_add_f32 v[36:37], v[36:37], v[38:39]
	v_pk_add_f32 v[0:1], v[36:37], v[0:1]
	s_wait_loadcnt 0x0
	s_delay_alu instid0(VALU_DEP_1)
	v_pk_add_f32 v[0:1], v[92:93], v[0:1] neg_lo:[0,1] neg_hi:[0,1]
	scratch_store_b64 off, v[0:1], off
	s_cbranch_vccz .LBB15_140
; %bb.110:
	global_load_b32 v0, v34, s[2:3] offset:56
	s_wait_loadcnt 0x0
	v_cmp_ne_u32_e32 vcc_lo, 15, v0
	s_cbranch_vccz .LBB15_112
; %bb.111:
	v_lshlrev_b32_e32 v0, 3, v0
	s_delay_alu instid0(VALU_DEP_1)
	v_mov_b32_e32 v36, v0
	scratch_load_b64 v[0:1], v36, off offset:-8
	scratch_load_b64 v[34:35], off, off offset:112
	s_wait_loadcnt 0x1
	scratch_store_b64 off, v[0:1], off offset:112
	s_wait_loadcnt 0x0
	scratch_store_b64 v36, v[34:35], off offset:-8
.LBB15_112:
	s_wait_xcnt 0x1
	v_mov_b32_e32 v0, 0
	global_load_b32 v1, v0, s[2:3] offset:52
	s_wait_loadcnt 0x0
	v_cmp_eq_u32_e32 vcc_lo, 14, v1
	s_cbranch_vccnz .LBB15_114
; %bb.113:
	v_lshlrev_b32_e32 v1, 3, v1
	scratch_load_b64 v[34:35], v1, off offset:-8
	scratch_load_b64 v[36:37], off, off offset:104
	s_wait_loadcnt 0x1
	scratch_store_b64 off, v[34:35], off offset:104
	s_wait_loadcnt 0x0
	scratch_store_b64 v1, v[36:37], off offset:-8
.LBB15_114:
	global_load_b32 v0, v0, s[2:3] offset:48
	s_wait_loadcnt 0x0
	v_cmp_eq_u32_e32 vcc_lo, 13, v0
	s_cbranch_vccnz .LBB15_116
; %bb.115:
	s_wait_xcnt 0x0
	v_lshlrev_b32_e32 v0, 3, v0
	s_delay_alu instid0(VALU_DEP_1)
	v_mov_b32_e32 v36, v0
	scratch_load_b64 v[0:1], v36, off offset:-8
	scratch_load_b64 v[34:35], off, off offset:96
	s_wait_loadcnt 0x1
	scratch_store_b64 off, v[0:1], off offset:96
	s_wait_loadcnt 0x0
	scratch_store_b64 v36, v[34:35], off offset:-8
.LBB15_116:
	s_wait_xcnt 0x0
	v_mov_b32_e32 v0, 0
	global_load_b32 v1, v0, s[2:3] offset:44
	s_wait_loadcnt 0x0
	v_cmp_eq_u32_e32 vcc_lo, 12, v1
	s_cbranch_vccnz .LBB15_118
; %bb.117:
	v_lshlrev_b32_e32 v1, 3, v1
	scratch_load_b64 v[34:35], v1, off offset:-8
	scratch_load_b64 v[36:37], off, off offset:88
	s_wait_loadcnt 0x1
	scratch_store_b64 off, v[34:35], off offset:88
	s_wait_loadcnt 0x0
	scratch_store_b64 v1, v[36:37], off offset:-8
.LBB15_118:
	global_load_b32 v0, v0, s[2:3] offset:40
	s_wait_loadcnt 0x0
	v_cmp_eq_u32_e32 vcc_lo, 11, v0
	s_cbranch_vccnz .LBB15_120
; %bb.119:
	s_wait_xcnt 0x0
	v_lshlrev_b32_e32 v0, 3, v0
	s_delay_alu instid0(VALU_DEP_1)
	v_mov_b32_e32 v36, v0
	scratch_load_b64 v[0:1], v36, off offset:-8
	scratch_load_b64 v[34:35], off, off offset:80
	s_wait_loadcnt 0x1
	scratch_store_b64 off, v[0:1], off offset:80
	s_wait_loadcnt 0x0
	scratch_store_b64 v36, v[34:35], off offset:-8
.LBB15_120:
	;; [unrolled: 31-line block ×6, first 2 shown]
	s_wait_xcnt 0x0
	v_mov_b32_e32 v0, 0
	global_load_b32 v1, v0, s[2:3] offset:4
	s_wait_loadcnt 0x0
	v_cmp_eq_u32_e32 vcc_lo, 2, v1
	s_cbranch_vccnz .LBB15_138
; %bb.137:
	v_lshlrev_b32_e32 v1, 3, v1
	scratch_load_b64 v[34:35], v1, off offset:-8
	scratch_load_b64 v[36:37], off, off offset:8
	s_wait_loadcnt 0x1
	scratch_store_b64 off, v[34:35], off offset:8
	s_wait_loadcnt 0x0
	scratch_store_b64 v1, v[36:37], off offset:-8
.LBB15_138:
	global_load_b32 v34, v0, s[2:3]
	scratch_load_b64 v[0:1], off, off
	s_wait_loadcnt 0x1
	v_cmp_eq_u32_e32 vcc_lo, 1, v34
	s_cbranch_vccnz .LBB15_140
; %bb.139:
	v_lshlrev_b32_e32 v34, 3, v34
	s_delay_alu instid0(VALU_DEP_1)
	v_mov_b32_e32 v36, v34
	scratch_load_b64 v[34:35], v36, off offset:-8
	s_wait_loadcnt 0x0
	scratch_store_b64 off, v[34:35], off
	scratch_store_b64 v36, v[0:1], off offset:-8
	scratch_load_b64 v[0:1], off, off
.LBB15_140:
	s_clause 0x7
	scratch_load_b128 v[34:37], off, off offset:8
	scratch_load_b128 v[38:41], off, off offset:24
	;; [unrolled: 1-line block ×7, first 2 shown]
	scratch_load_b64 v[62:63], off, off offset:120
	v_lshl_add_u64 v[6:7], v[6:7], 3, s[4:5]
	v_lshl_add_u64 v[8:9], v[8:9], 3, s[4:5]
	;; [unrolled: 1-line block ×14, first 2 shown]
	s_wait_loadcnt 0x8
	global_store_b64 v[2:3], v[0:1], off
	s_wait_loadcnt 0x7
	s_clause 0x1
	global_store_b64 v[4:5], v[34:35], off
	global_store_b64 v[6:7], v[36:37], off
	s_wait_loadcnt 0x6
	s_clause 0x1
	global_store_b64 v[8:9], v[38:39], off
	;; [unrolled: 4-line block ×7, first 2 shown]
	global_store_b64 v[30:31], v[60:61], off
	s_wait_loadcnt 0x0
	global_store_b64 v[32:33], v[62:63], off
	s_sendmsg sendmsg(MSG_DEALLOC_VGPRS)
	s_endpgm
	.section	.rodata,"a",@progbits
	.p2align	6, 0x0
	.amdhsa_kernel _ZN9rocsolver6v33100L18getri_kernel_smallILi16E19rocblas_complex_numIfEPS3_EEvT1_iilPiilS6_bb
		.amdhsa_group_segment_fixed_size 260
		.amdhsa_private_segment_fixed_size 144
		.amdhsa_kernarg_size 60
		.amdhsa_user_sgpr_count 2
		.amdhsa_user_sgpr_dispatch_ptr 0
		.amdhsa_user_sgpr_queue_ptr 0
		.amdhsa_user_sgpr_kernarg_segment_ptr 1
		.amdhsa_user_sgpr_dispatch_id 0
		.amdhsa_user_sgpr_kernarg_preload_length 0
		.amdhsa_user_sgpr_kernarg_preload_offset 0
		.amdhsa_user_sgpr_private_segment_size 0
		.amdhsa_wavefront_size32 1
		.amdhsa_uses_dynamic_stack 0
		.amdhsa_enable_private_segment 1
		.amdhsa_system_sgpr_workgroup_id_x 1
		.amdhsa_system_sgpr_workgroup_id_y 0
		.amdhsa_system_sgpr_workgroup_id_z 0
		.amdhsa_system_sgpr_workgroup_info 0
		.amdhsa_system_vgpr_workitem_id 0
		.amdhsa_next_free_vgpr 110
		.amdhsa_next_free_sgpr 19
		.amdhsa_named_barrier_count 0
		.amdhsa_reserve_vcc 1
		.amdhsa_float_round_mode_32 0
		.amdhsa_float_round_mode_16_64 0
		.amdhsa_float_denorm_mode_32 3
		.amdhsa_float_denorm_mode_16_64 3
		.amdhsa_fp16_overflow 0
		.amdhsa_memory_ordered 1
		.amdhsa_forward_progress 1
		.amdhsa_inst_pref_size 126
		.amdhsa_round_robin_scheduling 0
		.amdhsa_exception_fp_ieee_invalid_op 0
		.amdhsa_exception_fp_denorm_src 0
		.amdhsa_exception_fp_ieee_div_zero 0
		.amdhsa_exception_fp_ieee_overflow 0
		.amdhsa_exception_fp_ieee_underflow 0
		.amdhsa_exception_fp_ieee_inexact 0
		.amdhsa_exception_int_div_zero 0
	.end_amdhsa_kernel
	.section	.text._ZN9rocsolver6v33100L18getri_kernel_smallILi16E19rocblas_complex_numIfEPS3_EEvT1_iilPiilS6_bb,"axG",@progbits,_ZN9rocsolver6v33100L18getri_kernel_smallILi16E19rocblas_complex_numIfEPS3_EEvT1_iilPiilS6_bb,comdat
.Lfunc_end15:
	.size	_ZN9rocsolver6v33100L18getri_kernel_smallILi16E19rocblas_complex_numIfEPS3_EEvT1_iilPiilS6_bb, .Lfunc_end15-_ZN9rocsolver6v33100L18getri_kernel_smallILi16E19rocblas_complex_numIfEPS3_EEvT1_iilPiilS6_bb
                                        ; -- End function
	.set _ZN9rocsolver6v33100L18getri_kernel_smallILi16E19rocblas_complex_numIfEPS3_EEvT1_iilPiilS6_bb.num_vgpr, 110
	.set _ZN9rocsolver6v33100L18getri_kernel_smallILi16E19rocblas_complex_numIfEPS3_EEvT1_iilPiilS6_bb.num_agpr, 0
	.set _ZN9rocsolver6v33100L18getri_kernel_smallILi16E19rocblas_complex_numIfEPS3_EEvT1_iilPiilS6_bb.numbered_sgpr, 19
	.set _ZN9rocsolver6v33100L18getri_kernel_smallILi16E19rocblas_complex_numIfEPS3_EEvT1_iilPiilS6_bb.num_named_barrier, 0
	.set _ZN9rocsolver6v33100L18getri_kernel_smallILi16E19rocblas_complex_numIfEPS3_EEvT1_iilPiilS6_bb.private_seg_size, 144
	.set _ZN9rocsolver6v33100L18getri_kernel_smallILi16E19rocblas_complex_numIfEPS3_EEvT1_iilPiilS6_bb.uses_vcc, 1
	.set _ZN9rocsolver6v33100L18getri_kernel_smallILi16E19rocblas_complex_numIfEPS3_EEvT1_iilPiilS6_bb.uses_flat_scratch, 1
	.set _ZN9rocsolver6v33100L18getri_kernel_smallILi16E19rocblas_complex_numIfEPS3_EEvT1_iilPiilS6_bb.has_dyn_sized_stack, 0
	.set _ZN9rocsolver6v33100L18getri_kernel_smallILi16E19rocblas_complex_numIfEPS3_EEvT1_iilPiilS6_bb.has_recursion, 0
	.set _ZN9rocsolver6v33100L18getri_kernel_smallILi16E19rocblas_complex_numIfEPS3_EEvT1_iilPiilS6_bb.has_indirect_call, 0
	.section	.AMDGPU.csdata,"",@progbits
; Kernel info:
; codeLenInByte = 16064
; TotalNumSgprs: 21
; NumVgprs: 110
; ScratchSize: 144
; MemoryBound: 0
; FloatMode: 240
; IeeeMode: 1
; LDSByteSize: 260 bytes/workgroup (compile time only)
; SGPRBlocks: 0
; VGPRBlocks: 6
; NumSGPRsForWavesPerEU: 21
; NumVGPRsForWavesPerEU: 110
; NamedBarCnt: 0
; Occupancy: 9
; WaveLimiterHint : 1
; COMPUTE_PGM_RSRC2:SCRATCH_EN: 1
; COMPUTE_PGM_RSRC2:USER_SGPR: 2
; COMPUTE_PGM_RSRC2:TRAP_HANDLER: 0
; COMPUTE_PGM_RSRC2:TGID_X_EN: 1
; COMPUTE_PGM_RSRC2:TGID_Y_EN: 0
; COMPUTE_PGM_RSRC2:TGID_Z_EN: 0
; COMPUTE_PGM_RSRC2:TIDIG_COMP_CNT: 0
	.section	.text._ZN9rocsolver6v33100L18getri_kernel_smallILi17E19rocblas_complex_numIfEPS3_EEvT1_iilPiilS6_bb,"axG",@progbits,_ZN9rocsolver6v33100L18getri_kernel_smallILi17E19rocblas_complex_numIfEPS3_EEvT1_iilPiilS6_bb,comdat
	.globl	_ZN9rocsolver6v33100L18getri_kernel_smallILi17E19rocblas_complex_numIfEPS3_EEvT1_iilPiilS6_bb ; -- Begin function _ZN9rocsolver6v33100L18getri_kernel_smallILi17E19rocblas_complex_numIfEPS3_EEvT1_iilPiilS6_bb
	.p2align	8
	.type	_ZN9rocsolver6v33100L18getri_kernel_smallILi17E19rocblas_complex_numIfEPS3_EEvT1_iilPiilS6_bb,@function
_ZN9rocsolver6v33100L18getri_kernel_smallILi17E19rocblas_complex_numIfEPS3_EEvT1_iilPiilS6_bb: ; @_ZN9rocsolver6v33100L18getri_kernel_smallILi17E19rocblas_complex_numIfEPS3_EEvT1_iilPiilS6_bb
; %bb.0:
	s_mov_b32 s2, exec_lo
	v_cmpx_gt_u32_e32 17, v0
	s_cbranch_execz .LBB16_82
; %bb.1:
	s_clause 0x2
	s_load_b32 s2, s[0:1], 0x38
	s_load_b128 s[12:15], s[0:1], 0x10
	s_load_b128 s[4:7], s[0:1], 0x28
	s_getreg_b32 s9, hwreg(HW_REG_IB_STS2, 6, 4)
	s_wait_kmcnt 0x0
	s_bitcmp1_b32 s2, 8
	s_cselect_b32 s18, -1, 0
	s_bfe_u32 s3, ttmp6, 0x4000c
	s_and_b32 s8, ttmp6, 15
	s_add_co_i32 s3, s3, 1
	s_delay_alu instid0(SALU_CYCLE_1) | instskip(NEXT) | instid1(SALU_CYCLE_1)
	s_mul_i32 s3, ttmp9, s3
	s_add_co_i32 s8, s8, s3
	s_cmp_eq_u32 s9, 0
	s_cselect_b32 s16, ttmp9, s8
	s_bfe_u32 s2, s2, 0x10008
	s_ashr_i32 s17, s16, 31
	s_cmp_eq_u32 s2, 0
                                        ; implicit-def: $sgpr2_sgpr3
	s_cbranch_scc1 .LBB16_3
; %bb.2:
	s_load_b32 s2, s[0:1], 0x20
	s_mul_u64 s[4:5], s[4:5], s[16:17]
	s_delay_alu instid0(SALU_CYCLE_1) | instskip(NEXT) | instid1(SALU_CYCLE_1)
	s_lshl_b64 s[4:5], s[4:5], 2
	s_add_nc_u64 s[4:5], s[14:15], s[4:5]
	s_wait_kmcnt 0x0
	s_ashr_i32 s3, s2, 31
	s_delay_alu instid0(SALU_CYCLE_1) | instskip(NEXT) | instid1(SALU_CYCLE_1)
	s_lshl_b64 s[2:3], s[2:3], 2
	s_add_nc_u64 s[2:3], s[4:5], s[2:3]
.LBB16_3:
	s_clause 0x1
	s_load_b128 s[8:11], s[0:1], 0x0
	s_load_b32 s14, s[0:1], 0x38
	s_wait_xcnt 0x0
	s_mul_u64 s[0:1], s[12:13], s[16:17]
	v_lshlrev_b32_e32 v36, 3, v0
	s_lshl_b64 s[0:1], s[0:1], 3
	v_mov_b32_e32 v37, 0
	s_wait_kmcnt 0x0
	v_add3_u32 v6, s11, s11, v0
	s_ashr_i32 s5, s10, 31
	s_mov_b32 s4, s10
	s_add_nc_u64 s[0:1], s[8:9], s[0:1]
	s_lshl_b64 s[4:5], s[4:5], 3
	v_add_nc_u32_e32 v8, s11, v6
	s_add_nc_u64 s[4:5], s[0:1], s[4:5]
	s_ashr_i32 s1, s11, 31
	s_mov_b32 s0, s11
	s_bitcmp0_b32 s14, 0
	v_add_nc_u32_e32 v10, s11, v8
	v_add_nc_u64_e32 v[2:3], s[4:5], v[36:37]
	s_delay_alu instid0(VALU_DEP_2) | instskip(NEXT) | instid1(VALU_DEP_2)
	v_add_nc_u32_e32 v12, s11, v10
	v_lshl_add_u64 v[4:5], s[0:1], 3, v[2:3]
	s_mov_b32 s1, -1
	s_delay_alu instid0(VALU_DEP_2)
	v_add_nc_u32_e32 v14, s11, v12
	s_clause 0x1
	global_load_b64 v[38:39], v0, s[4:5] scale_offset
	global_load_b64 v[40:41], v[4:5], off
	v_add_nc_u32_e32 v16, s11, v14
	s_clause 0x3
	global_load_b64 v[42:43], v6, s[4:5] scale_offset
	global_load_b64 v[44:45], v8, s[4:5] scale_offset
	;; [unrolled: 1-line block ×4, first 2 shown]
	v_add_nc_u32_e32 v18, s11, v16
	s_delay_alu instid0(VALU_DEP_1) | instskip(NEXT) | instid1(VALU_DEP_1)
	v_add_nc_u32_e32 v20, s11, v18
	v_add_nc_u32_e32 v22, s11, v20
	s_delay_alu instid0(VALU_DEP_1) | instskip(NEXT) | instid1(VALU_DEP_1)
	v_add_nc_u32_e32 v24, s11, v22
	v_add_nc_u32_e32 v26, s11, v24
	s_clause 0x3
	global_load_b64 v[50:51], v14, s[4:5] scale_offset
	global_load_b64 v[52:53], v16, s[4:5] scale_offset
	;; [unrolled: 1-line block ×4, first 2 shown]
	v_add_nc_u32_e32 v28, s11, v26
	s_delay_alu instid0(VALU_DEP_1)
	v_add_nc_u32_e32 v30, s11, v28
	s_clause 0x3
	global_load_b64 v[58:59], v22, s[4:5] scale_offset
	global_load_b64 v[60:61], v24, s[4:5] scale_offset
	;; [unrolled: 1-line block ×4, first 2 shown]
	v_add_nc_u32_e32 v32, s11, v30
	s_delay_alu instid0(VALU_DEP_1)
	v_add_nc_u32_e32 v34, s11, v32
	s_clause 0x2
	global_load_b64 v[66:67], v30, s[4:5] scale_offset
	global_load_b64 v[68:69], v32, s[4:5] scale_offset
	global_load_b64 v[70:71], v34, s[4:5] scale_offset
	s_wait_loadcnt 0xf
	scratch_store_b128 off, v[38:41], off
	s_wait_loadcnt 0xd
	scratch_store_b128 off, v[42:45], off offset:16
	s_wait_loadcnt 0xb
	scratch_store_b128 off, v[46:49], off offset:32
	;; [unrolled: 2-line block ×7, first 2 shown]
	s_wait_loadcnt 0x0
	scratch_store_b64 off, v[70:71], off offset:128
	s_cbranch_scc1 .LBB16_80
; %bb.4:
	v_cmp_eq_u32_e64 s0, 0, v0
	s_wait_xcnt 0x0
	s_and_saveexec_b32 s1, s0
; %bb.5:
	v_mov_b32_e32 v1, 0
	ds_store_b32 v1, v1 offset:136
; %bb.6:
	s_or_b32 exec_lo, exec_lo, s1
	s_wait_storecnt_dscnt 0x0
	s_barrier_signal -1
	s_barrier_wait -1
	scratch_load_b64 v[38:39], v0, off scale_offset
	s_wait_loadcnt 0x0
	v_cmp_eq_f32_e32 vcc_lo, 0, v38
	v_cmp_eq_f32_e64 s1, 0, v39
	s_and_b32 s1, vcc_lo, s1
	s_delay_alu instid0(SALU_CYCLE_1)
	s_and_saveexec_b32 s8, s1
	s_cbranch_execz .LBB16_10
; %bb.7:
	v_mov_b32_e32 v1, 0
	s_mov_b32 s9, 0
	ds_load_b32 v7, v1 offset:136
	s_wait_dscnt 0x0
	v_readfirstlane_b32 s1, v7
	v_add_nc_u32_e32 v7, 1, v0
	s_cmp_eq_u32 s1, 0
	s_delay_alu instid0(VALU_DEP_1) | instskip(SKIP_1) | instid1(SALU_CYCLE_1)
	v_cmp_gt_i32_e32 vcc_lo, s1, v7
	s_cselect_b32 s10, -1, 0
	s_or_b32 s10, s10, vcc_lo
	s_delay_alu instid0(SALU_CYCLE_1)
	s_and_b32 exec_lo, exec_lo, s10
	s_cbranch_execz .LBB16_10
; %bb.8:
	v_mov_b32_e32 v9, s1
.LBB16_9:                               ; =>This Inner Loop Header: Depth=1
	ds_cmpstore_rtn_b32 v9, v1, v7, v9 offset:136
	s_wait_dscnt 0x0
	v_cmp_ne_u32_e32 vcc_lo, 0, v9
	v_cmp_le_i32_e64 s1, v9, v7
	s_and_b32 s1, vcc_lo, s1
	s_delay_alu instid0(SALU_CYCLE_1) | instskip(NEXT) | instid1(SALU_CYCLE_1)
	s_and_b32 s1, exec_lo, s1
	s_or_b32 s9, s1, s9
	s_delay_alu instid0(SALU_CYCLE_1)
	s_and_not1_b32 exec_lo, exec_lo, s9
	s_cbranch_execnz .LBB16_9
.LBB16_10:
	s_or_b32 exec_lo, exec_lo, s8
	v_mov_b32_e32 v1, 0
	s_barrier_signal -1
	s_barrier_wait -1
	ds_load_b32 v7, v1 offset:136
	s_and_saveexec_b32 s1, s0
	s_cbranch_execz .LBB16_12
; %bb.11:
	s_lshl_b64 s[8:9], s[16:17], 2
	s_delay_alu instid0(SALU_CYCLE_1)
	s_add_nc_u64 s[8:9], s[6:7], s[8:9]
	s_wait_dscnt 0x0
	global_store_b32 v1, v7, s[8:9]
.LBB16_12:
	s_wait_xcnt 0x0
	s_or_b32 exec_lo, exec_lo, s1
	s_wait_dscnt 0x0
	v_cmp_ne_u32_e32 vcc_lo, 0, v7
	s_mov_b32 s1, 0
	s_cbranch_vccnz .LBB16_80
; %bb.13:
	v_lshl_add_u32 v7, v0, 3, 0
                                        ; implicit-def: $vgpr41
                                        ; implicit-def: $vgpr42
	scratch_load_b64 v[38:39], v7, off
	s_wait_loadcnt 0x0
	v_cmp_ngt_f32_e64 s1, |v38|, |v39|
	s_wait_xcnt 0x0
	s_and_saveexec_b32 s8, s1
	s_delay_alu instid0(SALU_CYCLE_1)
	s_xor_b32 s1, exec_lo, s8
	s_cbranch_execz .LBB16_15
; %bb.14:
	v_div_scale_f32 v1, null, v39, v39, v38
	v_div_scale_f32 v13, vcc_lo, v38, v39, v38
	s_delay_alu instid0(VALU_DEP_2) | instskip(SKIP_1) | instid1(TRANS32_DEP_1)
	v_rcp_f32_e32 v9, v1
	v_nop
	v_fma_f32 v11, -v1, v9, 1.0
	s_delay_alu instid0(VALU_DEP_1) | instskip(NEXT) | instid1(VALU_DEP_1)
	v_fmac_f32_e32 v9, v11, v9
	v_mul_f32_e32 v11, v13, v9
	s_delay_alu instid0(VALU_DEP_1) | instskip(NEXT) | instid1(VALU_DEP_1)
	v_fma_f32 v15, -v1, v11, v13
	v_fmac_f32_e32 v11, v15, v9
	s_delay_alu instid0(VALU_DEP_1) | instskip(NEXT) | instid1(VALU_DEP_1)
	v_fma_f32 v1, -v1, v11, v13
	v_div_fmas_f32 v1, v1, v9, v11
	s_delay_alu instid0(VALU_DEP_1) | instskip(NEXT) | instid1(VALU_DEP_1)
	v_div_fixup_f32 v1, v1, v39, v38
	v_fmac_f32_e32 v39, v38, v1
	s_delay_alu instid0(VALU_DEP_1) | instskip(NEXT) | instid1(VALU_DEP_1)
	v_div_scale_f32 v9, null, v39, v39, -1.0
	v_rcp_f32_e32 v11, v9
	v_nop
	s_delay_alu instid0(TRANS32_DEP_1) | instskip(NEXT) | instid1(VALU_DEP_1)
	v_fma_f32 v13, -v9, v11, 1.0
	v_fmac_f32_e32 v11, v13, v11
	v_div_scale_f32 v13, vcc_lo, -1.0, v39, -1.0
	s_delay_alu instid0(VALU_DEP_1) | instskip(NEXT) | instid1(VALU_DEP_1)
	v_mul_f32_e32 v15, v13, v11
	v_fma_f32 v17, -v9, v15, v13
	s_delay_alu instid0(VALU_DEP_1) | instskip(NEXT) | instid1(VALU_DEP_1)
	v_fmac_f32_e32 v15, v17, v11
	v_fma_f32 v9, -v9, v15, v13
	s_delay_alu instid0(VALU_DEP_1) | instskip(NEXT) | instid1(VALU_DEP_1)
	v_div_fmas_f32 v9, v9, v11, v15
	v_div_fixup_f32 v41, v9, v39, -1.0
                                        ; implicit-def: $vgpr38_vgpr39
	s_delay_alu instid0(VALU_DEP_1) | instskip(NEXT) | instid1(VALU_DEP_1)
	v_mul_f32_e32 v42, v1, v41
	v_xor_b32_e32 v40, 0x80000000, v42
.LBB16_15:
	s_and_not1_saveexec_b32 s1, s1
	s_cbranch_execz .LBB16_17
; %bb.16:
	v_div_scale_f32 v1, null, v38, v38, v39
	v_div_scale_f32 v13, vcc_lo, v39, v38, v39
	s_delay_alu instid0(VALU_DEP_2) | instskip(SKIP_1) | instid1(TRANS32_DEP_1)
	v_rcp_f32_e32 v9, v1
	v_nop
	v_fma_f32 v11, -v1, v9, 1.0
	s_delay_alu instid0(VALU_DEP_1) | instskip(NEXT) | instid1(VALU_DEP_1)
	v_fmac_f32_e32 v9, v11, v9
	v_mul_f32_e32 v11, v13, v9
	s_delay_alu instid0(VALU_DEP_1) | instskip(NEXT) | instid1(VALU_DEP_1)
	v_fma_f32 v15, -v1, v11, v13
	v_fmac_f32_e32 v11, v15, v9
	s_delay_alu instid0(VALU_DEP_1) | instskip(NEXT) | instid1(VALU_DEP_1)
	v_fma_f32 v1, -v1, v11, v13
	v_div_fmas_f32 v1, v1, v9, v11
	s_delay_alu instid0(VALU_DEP_1) | instskip(NEXT) | instid1(VALU_DEP_1)
	v_div_fixup_f32 v1, v1, v38, v39
	v_fmac_f32_e32 v38, v39, v1
	s_delay_alu instid0(VALU_DEP_1) | instskip(SKIP_1) | instid1(VALU_DEP_2)
	v_div_scale_f32 v9, null, v38, v38, 1.0
	v_div_scale_f32 v15, vcc_lo, 1.0, v38, 1.0
	v_rcp_f32_e32 v11, v9
	v_nop
	s_delay_alu instid0(TRANS32_DEP_1) | instskip(NEXT) | instid1(VALU_DEP_1)
	v_fma_f32 v13, -v9, v11, 1.0
	v_fmac_f32_e32 v11, v13, v11
	s_delay_alu instid0(VALU_DEP_1) | instskip(NEXT) | instid1(VALU_DEP_1)
	v_mul_f32_e32 v13, v15, v11
	v_fma_f32 v17, -v9, v13, v15
	s_delay_alu instid0(VALU_DEP_1) | instskip(NEXT) | instid1(VALU_DEP_1)
	v_fmac_f32_e32 v13, v17, v11
	v_fma_f32 v9, -v9, v13, v15
	s_delay_alu instid0(VALU_DEP_1) | instskip(NEXT) | instid1(VALU_DEP_1)
	v_div_fmas_f32 v9, v9, v11, v13
	v_div_fixup_f32 v40, v9, v38, 1.0
	s_delay_alu instid0(VALU_DEP_1)
	v_xor_b32_e32 v42, 0x80000000, v40
	v_mul_f32_e64 v41, v1, -v40
.LBB16_17:
	s_or_b32 exec_lo, exec_lo, s1
	scratch_store_b64 v7, v[40:41], off
	scratch_load_b64 v[38:39], off, off offset:8
	v_xor_b32_e32 v43, 0x80000000, v41
	v_add_nc_u32_e32 v1, 0x90, v36
	s_wait_loadcnt 0x0
	ds_store_2addr_b64 v36, v[42:43], v[38:39] offset1:18
	s_wait_storecnt_dscnt 0x0
	s_barrier_signal -1
	s_barrier_wait -1
	s_wait_xcnt 0x0
	s_and_saveexec_b32 s1, s0
	s_cbranch_execz .LBB16_19
; %bb.18:
	scratch_load_b64 v[38:39], v7, off
	ds_load_b64 v[40:41], v1
	s_wait_loadcnt_dscnt 0x0
	v_pk_mul_f32 v[44:45], v[40:41], v[38:39] op_sel:[1,1] op_sel_hi:[0,1]
	s_delay_alu instid0(VALU_DEP_1) | instskip(SKIP_2) | instid1(VALU_DEP_3)
	v_pk_fma_f32 v[46:47], v[40:41], v[38:39], v[44:45] op_sel_hi:[1,0,1]
	v_mov_b32_e32 v9, 0
	v_pk_fma_f32 v[38:39], v[40:41], v[38:39], v[44:45] neg_lo:[0,0,1] neg_hi:[0,0,1]
	v_mov_b32_e32 v39, v47
	ds_load_b64 v[42:43], v9 offset:8
	v_pk_add_f32 v[38:39], v[38:39], 0 op_sel_hi:[1,0]
	s_wait_dscnt 0x0
	s_delay_alu instid0(VALU_DEP_1) | instskip(NEXT) | instid1(VALU_DEP_1)
	v_pk_mul_f32 v[40:41], v[38:39], v[42:43] op_sel:[1,1] op_sel_hi:[0,1]
	v_pk_fma_f32 v[44:45], v[38:39], v[42:43], v[40:41] op_sel_hi:[1,0,1]
	v_pk_fma_f32 v[38:39], v[38:39], v[42:43], v[40:41] neg_lo:[0,0,1] neg_hi:[0,0,1]
	s_delay_alu instid0(VALU_DEP_2)
	v_mov_b32_e32 v39, v45
	scratch_store_b64 off, v[38:39], off offset:8
.LBB16_19:
	s_wait_xcnt 0x0
	s_or_b32 exec_lo, exec_lo, s1
	s_wait_storecnt 0x0
	s_barrier_signal -1
	s_barrier_wait -1
	scratch_load_b64 v[38:39], off, off offset:16
	s_mov_b32 s1, exec_lo
	s_wait_loadcnt 0x0
	ds_store_b64 v1, v[38:39]
	s_wait_dscnt 0x0
	s_barrier_signal -1
	s_barrier_wait -1
	v_cmpx_gt_u32_e32 2, v0
	s_cbranch_execz .LBB16_23
; %bb.20:
	scratch_load_b64 v[38:39], v7, off
	ds_load_b64 v[40:41], v1
	s_wait_loadcnt_dscnt 0x0
	v_pk_mul_f32 v[42:43], v[40:41], v[38:39] op_sel:[1,1] op_sel_hi:[0,1]
	s_delay_alu instid0(VALU_DEP_1) | instskip(SKIP_1) | instid1(VALU_DEP_2)
	v_pk_fma_f32 v[44:45], v[40:41], v[38:39], v[42:43] op_sel_hi:[1,0,1]
	v_pk_fma_f32 v[38:39], v[40:41], v[38:39], v[42:43] neg_lo:[0,0,1] neg_hi:[0,0,1]
	v_mov_b32_e32 v39, v45
	s_delay_alu instid0(VALU_DEP_1)
	v_pk_add_f32 v[38:39], v[38:39], 0 op_sel_hi:[1,0]
	s_and_saveexec_b32 s8, s0
	s_cbranch_execz .LBB16_22
; %bb.21:
	scratch_load_b64 v[40:41], off, off offset:8
	v_mov_b32_e32 v7, 0
	ds_load_b64 v[42:43], v7 offset:152
	s_wait_loadcnt_dscnt 0x0
	v_pk_mul_f32 v[44:45], v[42:43], v[40:41] op_sel:[1,1] op_sel_hi:[0,1]
	s_delay_alu instid0(VALU_DEP_1) | instskip(SKIP_1) | instid1(VALU_DEP_2)
	v_pk_fma_f32 v[46:47], v[42:43], v[40:41], v[44:45] op_sel_hi:[1,0,1]
	v_pk_fma_f32 v[40:41], v[42:43], v[40:41], v[44:45] neg_lo:[0,0,1] neg_hi:[0,0,1]
	v_mov_b32_e32 v41, v47
	s_delay_alu instid0(VALU_DEP_1)
	v_pk_add_f32 v[38:39], v[38:39], v[40:41]
.LBB16_22:
	s_or_b32 exec_lo, exec_lo, s8
	v_mov_b32_e32 v7, 0
	ds_load_b64 v[40:41], v7 offset:16
	s_wait_dscnt 0x0
	v_pk_mul_f32 v[42:43], v[38:39], v[40:41] op_sel:[1,1] op_sel_hi:[0,1]
	s_delay_alu instid0(VALU_DEP_1) | instskip(SKIP_1) | instid1(VALU_DEP_2)
	v_pk_fma_f32 v[44:45], v[38:39], v[40:41], v[42:43] op_sel_hi:[1,0,1]
	v_pk_fma_f32 v[38:39], v[38:39], v[40:41], v[42:43] neg_lo:[0,0,1] neg_hi:[0,0,1]
	v_mov_b32_e32 v39, v45
	scratch_store_b64 off, v[38:39], off offset:16
.LBB16_23:
	s_wait_xcnt 0x0
	s_or_b32 exec_lo, exec_lo, s1
	s_wait_storecnt 0x0
	s_barrier_signal -1
	s_barrier_wait -1
	scratch_load_b64 v[38:39], off, off offset:24
	v_add_nc_u32_e32 v7, -1, v0
	s_mov_b32 s0, exec_lo
	s_wait_loadcnt 0x0
	ds_store_b64 v1, v[38:39]
	s_wait_dscnt 0x0
	s_barrier_signal -1
	s_barrier_wait -1
	v_cmpx_gt_u32_e32 3, v0
	s_cbranch_execz .LBB16_27
; %bb.24:
	v_dual_mov_b32 v38, 0 :: v_dual_add_nc_u32 v9, -1, v0
	v_add_nc_u32_e32 v11, 0x90, v36
	v_mov_b32_e32 v13, v36
	s_mov_b32 s1, 0
	s_delay_alu instid0(VALU_DEP_3)
	v_mov_b32_e32 v39, v38
.LBB16_25:                              ; =>This Inner Loop Header: Depth=1
	scratch_load_b64 v[40:41], v13, off
	ds_load_b64 v[42:43], v11
	s_wait_xcnt 0x0
	v_dual_add_nc_u32 v11, 8, v11 :: v_dual_add_nc_u32 v13, 8, v13
	s_wait_loadcnt_dscnt 0x0
	v_pk_mul_f32 v[44:45], v[42:43], v[40:41] op_sel:[1,1] op_sel_hi:[0,1]
	s_delay_alu instid0(VALU_DEP_1) | instskip(SKIP_2) | instid1(VALU_DEP_3)
	v_pk_fma_f32 v[46:47], v[42:43], v[40:41], v[44:45] op_sel_hi:[1,0,1]
	v_add_nc_u32_e32 v9, 1, v9
	v_pk_fma_f32 v[40:41], v[42:43], v[40:41], v[44:45] neg_lo:[0,0,1] neg_hi:[0,0,1]
	v_mov_b32_e32 v41, v47
	s_delay_alu instid0(VALU_DEP_3) | instskip(NEXT) | instid1(VALU_DEP_2)
	v_cmp_lt_u32_e32 vcc_lo, 1, v9
	v_pk_add_f32 v[38:39], v[38:39], v[40:41]
	s_or_b32 s1, vcc_lo, s1
	s_delay_alu instid0(SALU_CYCLE_1)
	s_and_not1_b32 exec_lo, exec_lo, s1
	s_cbranch_execnz .LBB16_25
; %bb.26:
	s_or_b32 exec_lo, exec_lo, s1
	v_mov_b32_e32 v9, 0
	ds_load_b64 v[40:41], v9 offset:24
	s_wait_dscnt 0x0
	v_pk_mul_f32 v[42:43], v[38:39], v[40:41] op_sel:[1,1] op_sel_hi:[0,1]
	s_delay_alu instid0(VALU_DEP_1) | instskip(SKIP_1) | instid1(VALU_DEP_2)
	v_pk_fma_f32 v[44:45], v[38:39], v[40:41], v[42:43] op_sel_hi:[1,0,1]
	v_pk_fma_f32 v[38:39], v[38:39], v[40:41], v[42:43] neg_lo:[0,0,1] neg_hi:[0,0,1]
	v_mov_b32_e32 v39, v45
	scratch_store_b64 off, v[38:39], off offset:24
.LBB16_27:
	s_wait_xcnt 0x0
	s_or_b32 exec_lo, exec_lo, s0
	s_wait_storecnt 0x0
	s_barrier_signal -1
	s_barrier_wait -1
	scratch_load_b64 v[38:39], off, off offset:32
	s_mov_b32 s0, exec_lo
	s_wait_loadcnt 0x0
	ds_store_b64 v1, v[38:39]
	s_wait_dscnt 0x0
	s_barrier_signal -1
	s_barrier_wait -1
	v_cmpx_gt_u32_e32 4, v0
	s_cbranch_execz .LBB16_31
; %bb.28:
	v_dual_mov_b32 v38, 0 :: v_dual_add_nc_u32 v9, -1, v0
	v_add_nc_u32_e32 v11, 0x90, v36
	v_mov_b32_e32 v13, v36
	s_mov_b32 s1, 0
	s_delay_alu instid0(VALU_DEP_3)
	v_mov_b32_e32 v39, v38
.LBB16_29:                              ; =>This Inner Loop Header: Depth=1
	scratch_load_b64 v[40:41], v13, off
	ds_load_b64 v[42:43], v11
	s_wait_xcnt 0x0
	v_dual_add_nc_u32 v11, 8, v11 :: v_dual_add_nc_u32 v13, 8, v13
	s_wait_loadcnt_dscnt 0x0
	v_pk_mul_f32 v[44:45], v[42:43], v[40:41] op_sel:[1,1] op_sel_hi:[0,1]
	s_delay_alu instid0(VALU_DEP_1) | instskip(SKIP_2) | instid1(VALU_DEP_3)
	v_pk_fma_f32 v[46:47], v[42:43], v[40:41], v[44:45] op_sel_hi:[1,0,1]
	v_add_nc_u32_e32 v9, 1, v9
	v_pk_fma_f32 v[40:41], v[42:43], v[40:41], v[44:45] neg_lo:[0,0,1] neg_hi:[0,0,1]
	v_mov_b32_e32 v41, v47
	s_delay_alu instid0(VALU_DEP_3) | instskip(NEXT) | instid1(VALU_DEP_2)
	v_cmp_lt_u32_e32 vcc_lo, 2, v9
	v_pk_add_f32 v[38:39], v[38:39], v[40:41]
	s_or_b32 s1, vcc_lo, s1
	s_delay_alu instid0(SALU_CYCLE_1)
	s_and_not1_b32 exec_lo, exec_lo, s1
	s_cbranch_execnz .LBB16_29
; %bb.30:
	s_or_b32 exec_lo, exec_lo, s1
	v_mov_b32_e32 v9, 0
	ds_load_b64 v[40:41], v9 offset:32
	s_wait_dscnt 0x0
	v_pk_mul_f32 v[42:43], v[38:39], v[40:41] op_sel:[1,1] op_sel_hi:[0,1]
	s_delay_alu instid0(VALU_DEP_1) | instskip(SKIP_1) | instid1(VALU_DEP_2)
	v_pk_fma_f32 v[44:45], v[38:39], v[40:41], v[42:43] op_sel_hi:[1,0,1]
	v_pk_fma_f32 v[38:39], v[38:39], v[40:41], v[42:43] neg_lo:[0,0,1] neg_hi:[0,0,1]
	v_mov_b32_e32 v39, v45
	scratch_store_b64 off, v[38:39], off offset:32
.LBB16_31:
	s_wait_xcnt 0x0
	s_or_b32 exec_lo, exec_lo, s0
	s_wait_storecnt 0x0
	s_barrier_signal -1
	s_barrier_wait -1
	scratch_load_b64 v[38:39], off, off offset:40
	s_mov_b32 s0, exec_lo
	s_wait_loadcnt 0x0
	ds_store_b64 v1, v[38:39]
	s_wait_dscnt 0x0
	s_barrier_signal -1
	s_barrier_wait -1
	v_cmpx_gt_u32_e32 5, v0
	s_cbranch_execz .LBB16_35
; %bb.32:
	v_dual_mov_b32 v38, 0 :: v_dual_add_nc_u32 v9, -1, v0
	v_add_nc_u32_e32 v11, 0x90, v36
	v_mov_b32_e32 v13, v36
	s_mov_b32 s1, 0
	s_delay_alu instid0(VALU_DEP_3)
	v_mov_b32_e32 v39, v38
.LBB16_33:                              ; =>This Inner Loop Header: Depth=1
	scratch_load_b64 v[40:41], v13, off
	ds_load_b64 v[42:43], v11
	s_wait_xcnt 0x0
	v_dual_add_nc_u32 v11, 8, v11 :: v_dual_add_nc_u32 v13, 8, v13
	s_wait_loadcnt_dscnt 0x0
	v_pk_mul_f32 v[44:45], v[42:43], v[40:41] op_sel:[1,1] op_sel_hi:[0,1]
	s_delay_alu instid0(VALU_DEP_1) | instskip(SKIP_2) | instid1(VALU_DEP_3)
	v_pk_fma_f32 v[46:47], v[42:43], v[40:41], v[44:45] op_sel_hi:[1,0,1]
	v_add_nc_u32_e32 v9, 1, v9
	v_pk_fma_f32 v[40:41], v[42:43], v[40:41], v[44:45] neg_lo:[0,0,1] neg_hi:[0,0,1]
	v_mov_b32_e32 v41, v47
	s_delay_alu instid0(VALU_DEP_3) | instskip(NEXT) | instid1(VALU_DEP_2)
	v_cmp_lt_u32_e32 vcc_lo, 3, v9
	v_pk_add_f32 v[38:39], v[38:39], v[40:41]
	s_or_b32 s1, vcc_lo, s1
	s_delay_alu instid0(SALU_CYCLE_1)
	s_and_not1_b32 exec_lo, exec_lo, s1
	s_cbranch_execnz .LBB16_33
; %bb.34:
	s_or_b32 exec_lo, exec_lo, s1
	v_mov_b32_e32 v9, 0
	ds_load_b64 v[40:41], v9 offset:40
	s_wait_dscnt 0x0
	v_pk_mul_f32 v[42:43], v[38:39], v[40:41] op_sel:[1,1] op_sel_hi:[0,1]
	s_delay_alu instid0(VALU_DEP_1) | instskip(SKIP_1) | instid1(VALU_DEP_2)
	v_pk_fma_f32 v[44:45], v[38:39], v[40:41], v[42:43] op_sel_hi:[1,0,1]
	v_pk_fma_f32 v[38:39], v[38:39], v[40:41], v[42:43] neg_lo:[0,0,1] neg_hi:[0,0,1]
	v_mov_b32_e32 v39, v45
	scratch_store_b64 off, v[38:39], off offset:40
.LBB16_35:
	s_wait_xcnt 0x0
	s_or_b32 exec_lo, exec_lo, s0
	s_wait_storecnt 0x0
	s_barrier_signal -1
	s_barrier_wait -1
	scratch_load_b64 v[38:39], off, off offset:48
	s_mov_b32 s0, exec_lo
	s_wait_loadcnt 0x0
	ds_store_b64 v1, v[38:39]
	s_wait_dscnt 0x0
	s_barrier_signal -1
	s_barrier_wait -1
	v_cmpx_gt_u32_e32 6, v0
	s_cbranch_execz .LBB16_39
; %bb.36:
	v_dual_mov_b32 v38, 0 :: v_dual_add_nc_u32 v9, -1, v0
	v_add_nc_u32_e32 v11, 0x90, v36
	v_mov_b32_e32 v13, v36
	s_mov_b32 s1, 0
	s_delay_alu instid0(VALU_DEP_3)
	v_mov_b32_e32 v39, v38
.LBB16_37:                              ; =>This Inner Loop Header: Depth=1
	scratch_load_b64 v[40:41], v13, off
	ds_load_b64 v[42:43], v11
	s_wait_xcnt 0x0
	v_dual_add_nc_u32 v11, 8, v11 :: v_dual_add_nc_u32 v13, 8, v13
	s_wait_loadcnt_dscnt 0x0
	v_pk_mul_f32 v[44:45], v[42:43], v[40:41] op_sel:[1,1] op_sel_hi:[0,1]
	s_delay_alu instid0(VALU_DEP_1) | instskip(SKIP_2) | instid1(VALU_DEP_3)
	v_pk_fma_f32 v[46:47], v[42:43], v[40:41], v[44:45] op_sel_hi:[1,0,1]
	v_add_nc_u32_e32 v9, 1, v9
	v_pk_fma_f32 v[40:41], v[42:43], v[40:41], v[44:45] neg_lo:[0,0,1] neg_hi:[0,0,1]
	v_mov_b32_e32 v41, v47
	s_delay_alu instid0(VALU_DEP_3) | instskip(NEXT) | instid1(VALU_DEP_2)
	v_cmp_lt_u32_e32 vcc_lo, 4, v9
	v_pk_add_f32 v[38:39], v[38:39], v[40:41]
	s_or_b32 s1, vcc_lo, s1
	s_delay_alu instid0(SALU_CYCLE_1)
	s_and_not1_b32 exec_lo, exec_lo, s1
	s_cbranch_execnz .LBB16_37
; %bb.38:
	s_or_b32 exec_lo, exec_lo, s1
	v_mov_b32_e32 v9, 0
	ds_load_b64 v[40:41], v9 offset:48
	s_wait_dscnt 0x0
	v_pk_mul_f32 v[42:43], v[38:39], v[40:41] op_sel:[1,1] op_sel_hi:[0,1]
	s_delay_alu instid0(VALU_DEP_1) | instskip(SKIP_1) | instid1(VALU_DEP_2)
	v_pk_fma_f32 v[44:45], v[38:39], v[40:41], v[42:43] op_sel_hi:[1,0,1]
	v_pk_fma_f32 v[38:39], v[38:39], v[40:41], v[42:43] neg_lo:[0,0,1] neg_hi:[0,0,1]
	v_mov_b32_e32 v39, v45
	scratch_store_b64 off, v[38:39], off offset:48
.LBB16_39:
	s_wait_xcnt 0x0
	s_or_b32 exec_lo, exec_lo, s0
	s_wait_storecnt 0x0
	s_barrier_signal -1
	s_barrier_wait -1
	scratch_load_b64 v[38:39], off, off offset:56
	s_mov_b32 s0, exec_lo
	s_wait_loadcnt 0x0
	ds_store_b64 v1, v[38:39]
	s_wait_dscnt 0x0
	s_barrier_signal -1
	s_barrier_wait -1
	v_cmpx_gt_u32_e32 7, v0
	s_cbranch_execz .LBB16_43
; %bb.40:
	v_dual_mov_b32 v38, 0 :: v_dual_add_nc_u32 v9, -1, v0
	v_add_nc_u32_e32 v11, 0x90, v36
	v_mov_b32_e32 v13, v36
	s_mov_b32 s1, 0
	s_delay_alu instid0(VALU_DEP_3)
	v_mov_b32_e32 v39, v38
.LBB16_41:                              ; =>This Inner Loop Header: Depth=1
	scratch_load_b64 v[40:41], v13, off
	ds_load_b64 v[42:43], v11
	s_wait_xcnt 0x0
	v_dual_add_nc_u32 v11, 8, v11 :: v_dual_add_nc_u32 v13, 8, v13
	s_wait_loadcnt_dscnt 0x0
	v_pk_mul_f32 v[44:45], v[42:43], v[40:41] op_sel:[1,1] op_sel_hi:[0,1]
	s_delay_alu instid0(VALU_DEP_1) | instskip(SKIP_2) | instid1(VALU_DEP_3)
	v_pk_fma_f32 v[46:47], v[42:43], v[40:41], v[44:45] op_sel_hi:[1,0,1]
	v_add_nc_u32_e32 v9, 1, v9
	v_pk_fma_f32 v[40:41], v[42:43], v[40:41], v[44:45] neg_lo:[0,0,1] neg_hi:[0,0,1]
	v_mov_b32_e32 v41, v47
	s_delay_alu instid0(VALU_DEP_3) | instskip(NEXT) | instid1(VALU_DEP_2)
	v_cmp_lt_u32_e32 vcc_lo, 5, v9
	v_pk_add_f32 v[38:39], v[38:39], v[40:41]
	s_or_b32 s1, vcc_lo, s1
	s_delay_alu instid0(SALU_CYCLE_1)
	s_and_not1_b32 exec_lo, exec_lo, s1
	s_cbranch_execnz .LBB16_41
; %bb.42:
	s_or_b32 exec_lo, exec_lo, s1
	v_mov_b32_e32 v9, 0
	ds_load_b64 v[40:41], v9 offset:56
	s_wait_dscnt 0x0
	v_pk_mul_f32 v[42:43], v[38:39], v[40:41] op_sel:[1,1] op_sel_hi:[0,1]
	s_delay_alu instid0(VALU_DEP_1) | instskip(SKIP_1) | instid1(VALU_DEP_2)
	v_pk_fma_f32 v[44:45], v[38:39], v[40:41], v[42:43] op_sel_hi:[1,0,1]
	v_pk_fma_f32 v[38:39], v[38:39], v[40:41], v[42:43] neg_lo:[0,0,1] neg_hi:[0,0,1]
	v_mov_b32_e32 v39, v45
	scratch_store_b64 off, v[38:39], off offset:56
.LBB16_43:
	s_wait_xcnt 0x0
	s_or_b32 exec_lo, exec_lo, s0
	s_wait_storecnt 0x0
	s_barrier_signal -1
	s_barrier_wait -1
	scratch_load_b64 v[38:39], off, off offset:64
	s_mov_b32 s0, exec_lo
	s_wait_loadcnt 0x0
	ds_store_b64 v1, v[38:39]
	s_wait_dscnt 0x0
	s_barrier_signal -1
	s_barrier_wait -1
	v_cmpx_gt_u32_e32 8, v0
	s_cbranch_execz .LBB16_47
; %bb.44:
	v_dual_mov_b32 v38, 0 :: v_dual_add_nc_u32 v9, -1, v0
	v_add_nc_u32_e32 v11, 0x90, v36
	v_mov_b32_e32 v13, v36
	s_mov_b32 s1, 0
	s_delay_alu instid0(VALU_DEP_3)
	v_mov_b32_e32 v39, v38
.LBB16_45:                              ; =>This Inner Loop Header: Depth=1
	scratch_load_b64 v[40:41], v13, off
	ds_load_b64 v[42:43], v11
	s_wait_xcnt 0x0
	v_dual_add_nc_u32 v11, 8, v11 :: v_dual_add_nc_u32 v13, 8, v13
	s_wait_loadcnt_dscnt 0x0
	v_pk_mul_f32 v[44:45], v[42:43], v[40:41] op_sel:[1,1] op_sel_hi:[0,1]
	s_delay_alu instid0(VALU_DEP_1) | instskip(SKIP_2) | instid1(VALU_DEP_3)
	v_pk_fma_f32 v[46:47], v[42:43], v[40:41], v[44:45] op_sel_hi:[1,0,1]
	v_add_nc_u32_e32 v9, 1, v9
	v_pk_fma_f32 v[40:41], v[42:43], v[40:41], v[44:45] neg_lo:[0,0,1] neg_hi:[0,0,1]
	v_mov_b32_e32 v41, v47
	s_delay_alu instid0(VALU_DEP_3) | instskip(NEXT) | instid1(VALU_DEP_2)
	v_cmp_lt_u32_e32 vcc_lo, 6, v9
	v_pk_add_f32 v[38:39], v[38:39], v[40:41]
	s_or_b32 s1, vcc_lo, s1
	s_delay_alu instid0(SALU_CYCLE_1)
	s_and_not1_b32 exec_lo, exec_lo, s1
	s_cbranch_execnz .LBB16_45
; %bb.46:
	s_or_b32 exec_lo, exec_lo, s1
	v_mov_b32_e32 v9, 0
	ds_load_b64 v[40:41], v9 offset:64
	s_wait_dscnt 0x0
	v_pk_mul_f32 v[42:43], v[38:39], v[40:41] op_sel:[1,1] op_sel_hi:[0,1]
	s_delay_alu instid0(VALU_DEP_1) | instskip(SKIP_1) | instid1(VALU_DEP_2)
	v_pk_fma_f32 v[44:45], v[38:39], v[40:41], v[42:43] op_sel_hi:[1,0,1]
	v_pk_fma_f32 v[38:39], v[38:39], v[40:41], v[42:43] neg_lo:[0,0,1] neg_hi:[0,0,1]
	v_mov_b32_e32 v39, v45
	scratch_store_b64 off, v[38:39], off offset:64
.LBB16_47:
	s_wait_xcnt 0x0
	s_or_b32 exec_lo, exec_lo, s0
	s_wait_storecnt 0x0
	s_barrier_signal -1
	s_barrier_wait -1
	scratch_load_b64 v[38:39], off, off offset:72
	s_mov_b32 s0, exec_lo
	s_wait_loadcnt 0x0
	ds_store_b64 v1, v[38:39]
	s_wait_dscnt 0x0
	s_barrier_signal -1
	s_barrier_wait -1
	v_cmpx_gt_u32_e32 9, v0
	s_cbranch_execz .LBB16_51
; %bb.48:
	v_dual_mov_b32 v38, 0 :: v_dual_add_nc_u32 v9, -1, v0
	v_add_nc_u32_e32 v11, 0x90, v36
	v_mov_b32_e32 v13, v36
	s_mov_b32 s1, 0
	s_delay_alu instid0(VALU_DEP_3)
	v_mov_b32_e32 v39, v38
.LBB16_49:                              ; =>This Inner Loop Header: Depth=1
	scratch_load_b64 v[40:41], v13, off
	ds_load_b64 v[42:43], v11
	s_wait_xcnt 0x0
	v_dual_add_nc_u32 v11, 8, v11 :: v_dual_add_nc_u32 v13, 8, v13
	s_wait_loadcnt_dscnt 0x0
	v_pk_mul_f32 v[44:45], v[42:43], v[40:41] op_sel:[1,1] op_sel_hi:[0,1]
	s_delay_alu instid0(VALU_DEP_1) | instskip(SKIP_2) | instid1(VALU_DEP_3)
	v_pk_fma_f32 v[46:47], v[42:43], v[40:41], v[44:45] op_sel_hi:[1,0,1]
	v_add_nc_u32_e32 v9, 1, v9
	v_pk_fma_f32 v[40:41], v[42:43], v[40:41], v[44:45] neg_lo:[0,0,1] neg_hi:[0,0,1]
	v_mov_b32_e32 v41, v47
	s_delay_alu instid0(VALU_DEP_3) | instskip(NEXT) | instid1(VALU_DEP_2)
	v_cmp_lt_u32_e32 vcc_lo, 7, v9
	v_pk_add_f32 v[38:39], v[38:39], v[40:41]
	s_or_b32 s1, vcc_lo, s1
	s_delay_alu instid0(SALU_CYCLE_1)
	s_and_not1_b32 exec_lo, exec_lo, s1
	s_cbranch_execnz .LBB16_49
; %bb.50:
	s_or_b32 exec_lo, exec_lo, s1
	v_mov_b32_e32 v9, 0
	ds_load_b64 v[40:41], v9 offset:72
	s_wait_dscnt 0x0
	v_pk_mul_f32 v[42:43], v[38:39], v[40:41] op_sel:[1,1] op_sel_hi:[0,1]
	s_delay_alu instid0(VALU_DEP_1) | instskip(SKIP_1) | instid1(VALU_DEP_2)
	v_pk_fma_f32 v[44:45], v[38:39], v[40:41], v[42:43] op_sel_hi:[1,0,1]
	v_pk_fma_f32 v[38:39], v[38:39], v[40:41], v[42:43] neg_lo:[0,0,1] neg_hi:[0,0,1]
	v_mov_b32_e32 v39, v45
	scratch_store_b64 off, v[38:39], off offset:72
.LBB16_51:
	s_wait_xcnt 0x0
	s_or_b32 exec_lo, exec_lo, s0
	s_wait_storecnt 0x0
	s_barrier_signal -1
	s_barrier_wait -1
	scratch_load_b64 v[38:39], off, off offset:80
	s_mov_b32 s0, exec_lo
	s_wait_loadcnt 0x0
	ds_store_b64 v1, v[38:39]
	s_wait_dscnt 0x0
	s_barrier_signal -1
	s_barrier_wait -1
	v_cmpx_gt_u32_e32 10, v0
	s_cbranch_execz .LBB16_55
; %bb.52:
	v_dual_mov_b32 v38, 0 :: v_dual_add_nc_u32 v9, -1, v0
	v_add_nc_u32_e32 v11, 0x90, v36
	v_mov_b32_e32 v13, v36
	s_mov_b32 s1, 0
	s_delay_alu instid0(VALU_DEP_3)
	v_mov_b32_e32 v39, v38
.LBB16_53:                              ; =>This Inner Loop Header: Depth=1
	scratch_load_b64 v[40:41], v13, off
	ds_load_b64 v[42:43], v11
	s_wait_xcnt 0x0
	v_dual_add_nc_u32 v11, 8, v11 :: v_dual_add_nc_u32 v13, 8, v13
	s_wait_loadcnt_dscnt 0x0
	v_pk_mul_f32 v[44:45], v[42:43], v[40:41] op_sel:[1,1] op_sel_hi:[0,1]
	s_delay_alu instid0(VALU_DEP_1) | instskip(SKIP_2) | instid1(VALU_DEP_3)
	v_pk_fma_f32 v[46:47], v[42:43], v[40:41], v[44:45] op_sel_hi:[1,0,1]
	v_add_nc_u32_e32 v9, 1, v9
	v_pk_fma_f32 v[40:41], v[42:43], v[40:41], v[44:45] neg_lo:[0,0,1] neg_hi:[0,0,1]
	v_mov_b32_e32 v41, v47
	s_delay_alu instid0(VALU_DEP_3) | instskip(NEXT) | instid1(VALU_DEP_2)
	v_cmp_lt_u32_e32 vcc_lo, 8, v9
	v_pk_add_f32 v[38:39], v[38:39], v[40:41]
	s_or_b32 s1, vcc_lo, s1
	s_delay_alu instid0(SALU_CYCLE_1)
	s_and_not1_b32 exec_lo, exec_lo, s1
	s_cbranch_execnz .LBB16_53
; %bb.54:
	s_or_b32 exec_lo, exec_lo, s1
	v_mov_b32_e32 v9, 0
	ds_load_b64 v[40:41], v9 offset:80
	s_wait_dscnt 0x0
	v_pk_mul_f32 v[42:43], v[38:39], v[40:41] op_sel:[1,1] op_sel_hi:[0,1]
	s_delay_alu instid0(VALU_DEP_1) | instskip(SKIP_1) | instid1(VALU_DEP_2)
	v_pk_fma_f32 v[44:45], v[38:39], v[40:41], v[42:43] op_sel_hi:[1,0,1]
	v_pk_fma_f32 v[38:39], v[38:39], v[40:41], v[42:43] neg_lo:[0,0,1] neg_hi:[0,0,1]
	v_mov_b32_e32 v39, v45
	scratch_store_b64 off, v[38:39], off offset:80
.LBB16_55:
	s_wait_xcnt 0x0
	s_or_b32 exec_lo, exec_lo, s0
	s_wait_storecnt 0x0
	s_barrier_signal -1
	s_barrier_wait -1
	scratch_load_b64 v[38:39], off, off offset:88
	s_mov_b32 s0, exec_lo
	s_wait_loadcnt 0x0
	ds_store_b64 v1, v[38:39]
	s_wait_dscnt 0x0
	s_barrier_signal -1
	s_barrier_wait -1
	v_cmpx_gt_u32_e32 11, v0
	s_cbranch_execz .LBB16_59
; %bb.56:
	v_dual_mov_b32 v38, 0 :: v_dual_add_nc_u32 v9, -1, v0
	v_add_nc_u32_e32 v11, 0x90, v36
	v_mov_b32_e32 v13, v36
	s_mov_b32 s1, 0
	s_delay_alu instid0(VALU_DEP_3)
	v_mov_b32_e32 v39, v38
.LBB16_57:                              ; =>This Inner Loop Header: Depth=1
	scratch_load_b64 v[40:41], v13, off
	ds_load_b64 v[42:43], v11
	s_wait_xcnt 0x0
	v_dual_add_nc_u32 v11, 8, v11 :: v_dual_add_nc_u32 v13, 8, v13
	s_wait_loadcnt_dscnt 0x0
	v_pk_mul_f32 v[44:45], v[42:43], v[40:41] op_sel:[1,1] op_sel_hi:[0,1]
	s_delay_alu instid0(VALU_DEP_1) | instskip(SKIP_2) | instid1(VALU_DEP_3)
	v_pk_fma_f32 v[46:47], v[42:43], v[40:41], v[44:45] op_sel_hi:[1,0,1]
	v_add_nc_u32_e32 v9, 1, v9
	v_pk_fma_f32 v[40:41], v[42:43], v[40:41], v[44:45] neg_lo:[0,0,1] neg_hi:[0,0,1]
	v_mov_b32_e32 v41, v47
	s_delay_alu instid0(VALU_DEP_3) | instskip(NEXT) | instid1(VALU_DEP_2)
	v_cmp_lt_u32_e32 vcc_lo, 9, v9
	v_pk_add_f32 v[38:39], v[38:39], v[40:41]
	s_or_b32 s1, vcc_lo, s1
	s_delay_alu instid0(SALU_CYCLE_1)
	s_and_not1_b32 exec_lo, exec_lo, s1
	s_cbranch_execnz .LBB16_57
; %bb.58:
	s_or_b32 exec_lo, exec_lo, s1
	v_mov_b32_e32 v9, 0
	ds_load_b64 v[40:41], v9 offset:88
	s_wait_dscnt 0x0
	v_pk_mul_f32 v[42:43], v[38:39], v[40:41] op_sel:[1,1] op_sel_hi:[0,1]
	s_delay_alu instid0(VALU_DEP_1) | instskip(SKIP_1) | instid1(VALU_DEP_2)
	v_pk_fma_f32 v[44:45], v[38:39], v[40:41], v[42:43] op_sel_hi:[1,0,1]
	v_pk_fma_f32 v[38:39], v[38:39], v[40:41], v[42:43] neg_lo:[0,0,1] neg_hi:[0,0,1]
	v_mov_b32_e32 v39, v45
	scratch_store_b64 off, v[38:39], off offset:88
.LBB16_59:
	s_wait_xcnt 0x0
	s_or_b32 exec_lo, exec_lo, s0
	s_wait_storecnt 0x0
	s_barrier_signal -1
	s_barrier_wait -1
	scratch_load_b64 v[38:39], off, off offset:96
	s_mov_b32 s0, exec_lo
	s_wait_loadcnt 0x0
	ds_store_b64 v1, v[38:39]
	s_wait_dscnt 0x0
	s_barrier_signal -1
	s_barrier_wait -1
	v_cmpx_gt_u32_e32 12, v0
	s_cbranch_execz .LBB16_63
; %bb.60:
	v_dual_mov_b32 v38, 0 :: v_dual_add_nc_u32 v9, -1, v0
	v_add_nc_u32_e32 v11, 0x90, v36
	v_mov_b32_e32 v13, v36
	s_mov_b32 s1, 0
	s_delay_alu instid0(VALU_DEP_3)
	v_mov_b32_e32 v39, v38
.LBB16_61:                              ; =>This Inner Loop Header: Depth=1
	scratch_load_b64 v[40:41], v13, off
	ds_load_b64 v[42:43], v11
	s_wait_xcnt 0x0
	v_dual_add_nc_u32 v11, 8, v11 :: v_dual_add_nc_u32 v13, 8, v13
	s_wait_loadcnt_dscnt 0x0
	v_pk_mul_f32 v[44:45], v[42:43], v[40:41] op_sel:[1,1] op_sel_hi:[0,1]
	s_delay_alu instid0(VALU_DEP_1) | instskip(SKIP_2) | instid1(VALU_DEP_3)
	v_pk_fma_f32 v[46:47], v[42:43], v[40:41], v[44:45] op_sel_hi:[1,0,1]
	v_add_nc_u32_e32 v9, 1, v9
	v_pk_fma_f32 v[40:41], v[42:43], v[40:41], v[44:45] neg_lo:[0,0,1] neg_hi:[0,0,1]
	v_mov_b32_e32 v41, v47
	s_delay_alu instid0(VALU_DEP_3) | instskip(NEXT) | instid1(VALU_DEP_2)
	v_cmp_lt_u32_e32 vcc_lo, 10, v9
	v_pk_add_f32 v[38:39], v[38:39], v[40:41]
	s_or_b32 s1, vcc_lo, s1
	s_delay_alu instid0(SALU_CYCLE_1)
	s_and_not1_b32 exec_lo, exec_lo, s1
	s_cbranch_execnz .LBB16_61
; %bb.62:
	s_or_b32 exec_lo, exec_lo, s1
	v_mov_b32_e32 v9, 0
	ds_load_b64 v[40:41], v9 offset:96
	s_wait_dscnt 0x0
	v_pk_mul_f32 v[42:43], v[38:39], v[40:41] op_sel:[1,1] op_sel_hi:[0,1]
	s_delay_alu instid0(VALU_DEP_1) | instskip(SKIP_1) | instid1(VALU_DEP_2)
	v_pk_fma_f32 v[44:45], v[38:39], v[40:41], v[42:43] op_sel_hi:[1,0,1]
	v_pk_fma_f32 v[38:39], v[38:39], v[40:41], v[42:43] neg_lo:[0,0,1] neg_hi:[0,0,1]
	v_mov_b32_e32 v39, v45
	scratch_store_b64 off, v[38:39], off offset:96
.LBB16_63:
	s_wait_xcnt 0x0
	s_or_b32 exec_lo, exec_lo, s0
	s_wait_storecnt 0x0
	s_barrier_signal -1
	s_barrier_wait -1
	scratch_load_b64 v[38:39], off, off offset:104
	s_mov_b32 s0, exec_lo
	s_wait_loadcnt 0x0
	ds_store_b64 v1, v[38:39]
	s_wait_dscnt 0x0
	s_barrier_signal -1
	s_barrier_wait -1
	v_cmpx_gt_u32_e32 13, v0
	s_cbranch_execz .LBB16_67
; %bb.64:
	v_dual_mov_b32 v38, 0 :: v_dual_add_nc_u32 v9, -1, v0
	v_add_nc_u32_e32 v11, 0x90, v36
	v_mov_b32_e32 v13, v36
	s_mov_b32 s1, 0
	s_delay_alu instid0(VALU_DEP_3)
	v_mov_b32_e32 v39, v38
.LBB16_65:                              ; =>This Inner Loop Header: Depth=1
	scratch_load_b64 v[40:41], v13, off
	ds_load_b64 v[42:43], v11
	s_wait_xcnt 0x0
	v_dual_add_nc_u32 v11, 8, v11 :: v_dual_add_nc_u32 v13, 8, v13
	s_wait_loadcnt_dscnt 0x0
	v_pk_mul_f32 v[44:45], v[42:43], v[40:41] op_sel:[1,1] op_sel_hi:[0,1]
	s_delay_alu instid0(VALU_DEP_1) | instskip(SKIP_2) | instid1(VALU_DEP_3)
	v_pk_fma_f32 v[46:47], v[42:43], v[40:41], v[44:45] op_sel_hi:[1,0,1]
	v_add_nc_u32_e32 v9, 1, v9
	v_pk_fma_f32 v[40:41], v[42:43], v[40:41], v[44:45] neg_lo:[0,0,1] neg_hi:[0,0,1]
	v_mov_b32_e32 v41, v47
	s_delay_alu instid0(VALU_DEP_3) | instskip(NEXT) | instid1(VALU_DEP_2)
	v_cmp_lt_u32_e32 vcc_lo, 11, v9
	v_pk_add_f32 v[38:39], v[38:39], v[40:41]
	s_or_b32 s1, vcc_lo, s1
	s_delay_alu instid0(SALU_CYCLE_1)
	s_and_not1_b32 exec_lo, exec_lo, s1
	s_cbranch_execnz .LBB16_65
; %bb.66:
	s_or_b32 exec_lo, exec_lo, s1
	v_mov_b32_e32 v9, 0
	ds_load_b64 v[40:41], v9 offset:104
	s_wait_dscnt 0x0
	v_pk_mul_f32 v[42:43], v[38:39], v[40:41] op_sel:[1,1] op_sel_hi:[0,1]
	s_delay_alu instid0(VALU_DEP_1) | instskip(SKIP_1) | instid1(VALU_DEP_2)
	v_pk_fma_f32 v[44:45], v[38:39], v[40:41], v[42:43] op_sel_hi:[1,0,1]
	v_pk_fma_f32 v[38:39], v[38:39], v[40:41], v[42:43] neg_lo:[0,0,1] neg_hi:[0,0,1]
	v_mov_b32_e32 v39, v45
	scratch_store_b64 off, v[38:39], off offset:104
.LBB16_67:
	s_wait_xcnt 0x0
	s_or_b32 exec_lo, exec_lo, s0
	s_wait_storecnt 0x0
	s_barrier_signal -1
	s_barrier_wait -1
	scratch_load_b64 v[38:39], off, off offset:112
	s_mov_b32 s0, exec_lo
	s_wait_loadcnt 0x0
	ds_store_b64 v1, v[38:39]
	s_wait_dscnt 0x0
	s_barrier_signal -1
	s_barrier_wait -1
	v_cmpx_gt_u32_e32 14, v0
	s_cbranch_execz .LBB16_71
; %bb.68:
	v_dual_mov_b32 v38, 0 :: v_dual_add_nc_u32 v9, -1, v0
	v_add_nc_u32_e32 v11, 0x90, v36
	v_mov_b32_e32 v13, v36
	s_mov_b32 s1, 0
	s_delay_alu instid0(VALU_DEP_3)
	v_mov_b32_e32 v39, v38
.LBB16_69:                              ; =>This Inner Loop Header: Depth=1
	scratch_load_b64 v[40:41], v13, off
	ds_load_b64 v[42:43], v11
	s_wait_xcnt 0x0
	v_dual_add_nc_u32 v11, 8, v11 :: v_dual_add_nc_u32 v13, 8, v13
	s_wait_loadcnt_dscnt 0x0
	v_pk_mul_f32 v[44:45], v[42:43], v[40:41] op_sel:[1,1] op_sel_hi:[0,1]
	s_delay_alu instid0(VALU_DEP_1) | instskip(SKIP_2) | instid1(VALU_DEP_3)
	v_pk_fma_f32 v[46:47], v[42:43], v[40:41], v[44:45] op_sel_hi:[1,0,1]
	v_add_nc_u32_e32 v9, 1, v9
	v_pk_fma_f32 v[40:41], v[42:43], v[40:41], v[44:45] neg_lo:[0,0,1] neg_hi:[0,0,1]
	v_mov_b32_e32 v41, v47
	s_delay_alu instid0(VALU_DEP_3) | instskip(NEXT) | instid1(VALU_DEP_2)
	v_cmp_lt_u32_e32 vcc_lo, 12, v9
	v_pk_add_f32 v[38:39], v[38:39], v[40:41]
	s_or_b32 s1, vcc_lo, s1
	s_delay_alu instid0(SALU_CYCLE_1)
	s_and_not1_b32 exec_lo, exec_lo, s1
	s_cbranch_execnz .LBB16_69
; %bb.70:
	s_or_b32 exec_lo, exec_lo, s1
	v_mov_b32_e32 v9, 0
	ds_load_b64 v[40:41], v9 offset:112
	s_wait_dscnt 0x0
	v_pk_mul_f32 v[42:43], v[38:39], v[40:41] op_sel:[1,1] op_sel_hi:[0,1]
	s_delay_alu instid0(VALU_DEP_1) | instskip(SKIP_1) | instid1(VALU_DEP_2)
	v_pk_fma_f32 v[44:45], v[38:39], v[40:41], v[42:43] op_sel_hi:[1,0,1]
	v_pk_fma_f32 v[38:39], v[38:39], v[40:41], v[42:43] neg_lo:[0,0,1] neg_hi:[0,0,1]
	v_mov_b32_e32 v39, v45
	scratch_store_b64 off, v[38:39], off offset:112
.LBB16_71:
	s_wait_xcnt 0x0
	s_or_b32 exec_lo, exec_lo, s0
	s_wait_storecnt 0x0
	s_barrier_signal -1
	s_barrier_wait -1
	scratch_load_b64 v[38:39], off, off offset:120
	s_mov_b32 s0, exec_lo
	s_wait_loadcnt 0x0
	ds_store_b64 v1, v[38:39]
	s_wait_dscnt 0x0
	s_barrier_signal -1
	s_barrier_wait -1
	v_cmpx_gt_u32_e32 15, v0
	s_cbranch_execz .LBB16_75
; %bb.72:
	v_dual_mov_b32 v38, 0 :: v_dual_add_nc_u32 v9, -1, v0
	v_add_nc_u32_e32 v11, 0x90, v36
	v_mov_b32_e32 v13, v36
	s_mov_b32 s1, 0
	s_delay_alu instid0(VALU_DEP_3)
	v_mov_b32_e32 v39, v38
.LBB16_73:                              ; =>This Inner Loop Header: Depth=1
	scratch_load_b64 v[40:41], v13, off
	ds_load_b64 v[42:43], v11
	s_wait_xcnt 0x0
	v_dual_add_nc_u32 v11, 8, v11 :: v_dual_add_nc_u32 v13, 8, v13
	s_wait_loadcnt_dscnt 0x0
	v_pk_mul_f32 v[44:45], v[42:43], v[40:41] op_sel:[1,1] op_sel_hi:[0,1]
	s_delay_alu instid0(VALU_DEP_1) | instskip(SKIP_2) | instid1(VALU_DEP_3)
	v_pk_fma_f32 v[46:47], v[42:43], v[40:41], v[44:45] op_sel_hi:[1,0,1]
	v_add_nc_u32_e32 v9, 1, v9
	v_pk_fma_f32 v[40:41], v[42:43], v[40:41], v[44:45] neg_lo:[0,0,1] neg_hi:[0,0,1]
	v_mov_b32_e32 v41, v47
	s_delay_alu instid0(VALU_DEP_3) | instskip(NEXT) | instid1(VALU_DEP_2)
	v_cmp_lt_u32_e32 vcc_lo, 13, v9
	v_pk_add_f32 v[38:39], v[38:39], v[40:41]
	s_or_b32 s1, vcc_lo, s1
	s_delay_alu instid0(SALU_CYCLE_1)
	s_and_not1_b32 exec_lo, exec_lo, s1
	s_cbranch_execnz .LBB16_73
; %bb.74:
	s_or_b32 exec_lo, exec_lo, s1
	v_mov_b32_e32 v9, 0
	ds_load_b64 v[40:41], v9 offset:120
	s_wait_dscnt 0x0
	v_pk_mul_f32 v[42:43], v[38:39], v[40:41] op_sel:[1,1] op_sel_hi:[0,1]
	s_delay_alu instid0(VALU_DEP_1) | instskip(SKIP_1) | instid1(VALU_DEP_2)
	v_pk_fma_f32 v[44:45], v[38:39], v[40:41], v[42:43] op_sel_hi:[1,0,1]
	v_pk_fma_f32 v[38:39], v[38:39], v[40:41], v[42:43] neg_lo:[0,0,1] neg_hi:[0,0,1]
	v_mov_b32_e32 v39, v45
	scratch_store_b64 off, v[38:39], off offset:120
.LBB16_75:
	s_wait_xcnt 0x0
	s_or_b32 exec_lo, exec_lo, s0
	s_wait_storecnt 0x0
	s_barrier_signal -1
	s_barrier_wait -1
	scratch_load_b64 v[38:39], off, off offset:128
	s_mov_b32 s0, exec_lo
	s_wait_loadcnt 0x0
	ds_store_b64 v1, v[38:39]
	s_wait_dscnt 0x0
	s_barrier_signal -1
	s_barrier_wait -1
	v_cmpx_ne_u32_e32 16, v0
	s_cbranch_execz .LBB16_79
; %bb.76:
	v_dual_mov_b32 v38, 0 :: v_dual_mov_b32 v9, v36
	s_mov_b32 s1, 0
	s_delay_alu instid0(VALU_DEP_1)
	v_mov_b32_e32 v39, v38
.LBB16_77:                              ; =>This Inner Loop Header: Depth=1
	scratch_load_b64 v[36:37], v9, off
	ds_load_b64 v[40:41], v1
	v_add_nc_u32_e32 v1, 8, v1
	s_wait_xcnt 0x0
	v_add_nc_u32_e32 v9, 8, v9
	s_wait_loadcnt_dscnt 0x0
	v_pk_mul_f32 v[42:43], v[40:41], v[36:37] op_sel:[1,1] op_sel_hi:[0,1]
	s_delay_alu instid0(VALU_DEP_1) | instskip(SKIP_2) | instid1(VALU_DEP_3)
	v_pk_fma_f32 v[44:45], v[40:41], v[36:37], v[42:43] op_sel_hi:[1,0,1]
	v_add_nc_u32_e32 v7, 1, v7
	v_pk_fma_f32 v[36:37], v[40:41], v[36:37], v[42:43] neg_lo:[0,0,1] neg_hi:[0,0,1]
	v_mov_b32_e32 v37, v45
	s_delay_alu instid0(VALU_DEP_3) | instskip(NEXT) | instid1(VALU_DEP_2)
	v_cmp_lt_u32_e32 vcc_lo, 14, v7
	v_pk_add_f32 v[38:39], v[38:39], v[36:37]
	s_or_b32 s1, vcc_lo, s1
	s_delay_alu instid0(SALU_CYCLE_1)
	s_and_not1_b32 exec_lo, exec_lo, s1
	s_cbranch_execnz .LBB16_77
; %bb.78:
	s_or_b32 exec_lo, exec_lo, s1
	v_mov_b32_e32 v1, 0
	ds_load_b64 v[36:37], v1 offset:128
	s_wait_dscnt 0x0
	v_pk_mul_f32 v[40:41], v[38:39], v[36:37] op_sel:[1,1] op_sel_hi:[0,1]
	s_delay_alu instid0(VALU_DEP_1) | instskip(SKIP_1) | instid1(VALU_DEP_2)
	v_pk_fma_f32 v[42:43], v[38:39], v[36:37], v[40:41] op_sel_hi:[1,0,1]
	v_pk_fma_f32 v[36:37], v[38:39], v[36:37], v[40:41] neg_lo:[0,0,1] neg_hi:[0,0,1]
	v_mov_b32_e32 v37, v43
	scratch_store_b64 off, v[36:37], off offset:128
.LBB16_79:
	s_wait_xcnt 0x0
	s_or_b32 exec_lo, exec_lo, s0
	s_mov_b32 s1, -1
	s_wait_storecnt 0x0
	s_barrier_signal -1
	s_barrier_wait -1
.LBB16_80:
	s_and_b32 vcc_lo, exec_lo, s1
	s_cbranch_vccz .LBB16_82
; %bb.81:
	v_mov_b32_e32 v1, 0
	s_lshl_b64 s[0:1], s[16:17], 2
	s_delay_alu instid0(SALU_CYCLE_1)
	s_add_nc_u64 s[0:1], s[6:7], s[0:1]
	global_load_b32 v1, v1, s[0:1]
	s_wait_loadcnt 0x0
	v_cmp_ne_u32_e32 vcc_lo, 0, v1
	s_cbranch_vccz .LBB16_83
.LBB16_82:
	s_sendmsg sendmsg(MSG_DEALLOC_VGPRS)
	s_endpgm
.LBB16_83:
	s_wait_xcnt 0x0
	v_lshl_add_u32 v1, v0, 3, 0x90
	s_mov_b32 s0, exec_lo
	v_cmpx_eq_u32_e32 16, v0
	s_cbranch_execz .LBB16_85
; %bb.84:
	scratch_load_b64 v[36:37], off, off offset:120
	v_mov_b64_e32 v[38:39], 0
	scratch_store_b64 off, v[38:39], off offset:120
	s_wait_loadcnt 0x0
	ds_store_b64 v1, v[36:37]
.LBB16_85:
	s_wait_xcnt 0x0
	s_or_b32 exec_lo, exec_lo, s0
	s_wait_storecnt_dscnt 0x0
	s_barrier_signal -1
	s_barrier_wait -1
	s_clause 0x1
	scratch_load_b64 v[36:37], off, off offset:128
	scratch_load_b64 v[38:39], off, off offset:120
	v_mov_b32_e32 v7, 0
	s_mov_b32 s0, exec_lo
	ds_load_b64 v[40:41], v7 offset:272
	s_wait_loadcnt_dscnt 0x100
	v_pk_mul_f32 v[42:43], v[40:41], v[36:37] op_sel:[1,1] op_sel_hi:[0,1]
	s_delay_alu instid0(VALU_DEP_1) | instskip(SKIP_1) | instid1(VALU_DEP_2)
	v_pk_fma_f32 v[44:45], v[40:41], v[36:37], v[42:43] op_sel_hi:[1,0,1]
	v_pk_fma_f32 v[36:37], v[40:41], v[36:37], v[42:43] neg_lo:[0,0,1] neg_hi:[0,0,1]
	v_mov_b32_e32 v37, v45
	s_delay_alu instid0(VALU_DEP_1) | instskip(SKIP_1) | instid1(VALU_DEP_1)
	v_pk_add_f32 v[36:37], v[36:37], 0 op_sel_hi:[1,0]
	s_wait_loadcnt 0x0
	v_pk_add_f32 v[36:37], v[38:39], v[36:37] neg_lo:[0,1] neg_hi:[0,1]
	scratch_store_b64 off, v[36:37], off offset:120
	s_wait_xcnt 0x0
	v_cmpx_lt_u32_e32 14, v0
	s_cbranch_execz .LBB16_87
; %bb.86:
	scratch_load_b64 v[36:37], off, off offset:112
	v_mov_b64_e32 v[38:39], 0
	scratch_store_b64 off, v[38:39], off offset:112
	s_wait_loadcnt 0x0
	ds_store_b64 v1, v[36:37]
.LBB16_87:
	s_wait_xcnt 0x0
	s_or_b32 exec_lo, exec_lo, s0
	s_wait_storecnt_dscnt 0x0
	s_barrier_signal -1
	s_barrier_wait -1
	s_clause 0x1
	scratch_load_b128 v[36:39], off, off offset:120
	scratch_load_b64 v[44:45], off, off offset:112
	ds_load_2addr_b64 v[40:43], v7 offset0:33 offset1:34
	s_mov_b32 s0, exec_lo
	s_wait_dscnt 0x0
	v_dual_mov_b32 v46, v43 :: v_dual_mov_b32 v47, v42
	s_wait_loadcnt 0x1
	v_pk_mul_f32 v[48:49], v[40:41], v[36:37] op_sel:[1,1] op_sel_hi:[0,1]
	s_delay_alu instid0(VALU_DEP_1) | instskip(SKIP_2) | instid1(VALU_DEP_3)
	v_pk_fma_f32 v[52:53], v[40:41], v[36:37], v[48:49] op_sel_hi:[1,0,1]
	v_mov_b32_e32 v50, v39
	v_pk_fma_f32 v[36:37], v[40:41], v[36:37], v[48:49] neg_lo:[0,0,1] neg_hi:[0,0,1]
	v_mov_b32_e32 v37, v53
	s_delay_alu instid0(VALU_DEP_3) | instskip(NEXT) | instid1(VALU_DEP_2)
	v_pk_mul_f32 v[46:47], v[46:47], v[50:51] op_sel_hi:[1,0]
	v_pk_add_f32 v[36:37], v[36:37], 0 op_sel_hi:[1,0]
	s_delay_alu instid0(VALU_DEP_2) | instskip(SKIP_1) | instid1(VALU_DEP_2)
	v_pk_fma_f32 v[40:41], v[42:43], v[38:39], v[46:47] op_sel_hi:[1,0,1]
	v_pk_fma_f32 v[38:39], v[42:43], v[38:39], v[46:47] neg_lo:[0,0,1] neg_hi:[0,0,1]
	v_mov_b32_e32 v39, v41
	s_delay_alu instid0(VALU_DEP_1) | instskip(SKIP_1) | instid1(VALU_DEP_1)
	v_pk_add_f32 v[36:37], v[36:37], v[38:39]
	s_wait_loadcnt 0x0
	v_pk_add_f32 v[36:37], v[44:45], v[36:37] neg_lo:[0,1] neg_hi:[0,1]
	scratch_store_b64 off, v[36:37], off offset:112
	s_wait_xcnt 0x0
	v_cmpx_lt_u32_e32 13, v0
	s_cbranch_execz .LBB16_89
; %bb.88:
	scratch_load_b64 v[36:37], off, off offset:104
	v_mov_b64_e32 v[38:39], 0
	scratch_store_b64 off, v[38:39], off offset:104
	s_wait_loadcnt 0x0
	ds_store_b64 v1, v[36:37]
.LBB16_89:
	s_wait_xcnt 0x0
	s_or_b32 exec_lo, exec_lo, s0
	s_wait_storecnt_dscnt 0x0
	s_barrier_signal -1
	s_barrier_wait -1
	s_clause 0x2
	scratch_load_b128 v[36:39], off, off offset:112
	scratch_load_b64 v[44:45], off, off offset:128
	scratch_load_b64 v[46:47], off, off offset:104
	v_mov_b32_e32 v7, 0
	ds_load_b128 v[40:43], v7 offset:256
	ds_load_b64 v[48:49], v7 offset:272
	s_mov_b32 s0, exec_lo
	s_wait_dscnt 0x1
	v_dual_mov_b32 v50, v43 :: v_dual_mov_b32 v51, v42
	s_wait_loadcnt 0x2
	v_mov_b32_e32 v54, v39
	v_pk_mul_f32 v[52:53], v[40:41], v[36:37] op_sel:[1,1] op_sel_hi:[0,1]
	s_delay_alu instid0(VALU_DEP_2) | instskip(NEXT) | instid1(VALU_DEP_2)
	v_pk_mul_f32 v[50:51], v[50:51], v[54:55] op_sel_hi:[1,0]
	v_pk_fma_f32 v[56:57], v[40:41], v[36:37], v[52:53] op_sel_hi:[1,0,1]
	v_pk_fma_f32 v[36:37], v[40:41], v[36:37], v[52:53] neg_lo:[0,0,1] neg_hi:[0,0,1]
	s_wait_loadcnt_dscnt 0x100
	v_pk_mul_f32 v[52:53], v[48:49], v[44:45] op_sel:[1,1] op_sel_hi:[0,1]
	v_pk_fma_f32 v[40:41], v[42:43], v[38:39], v[50:51] op_sel_hi:[1,0,1]
	v_mov_b32_e32 v37, v57
	v_pk_fma_f32 v[38:39], v[42:43], v[38:39], v[50:51] neg_lo:[0,0,1] neg_hi:[0,0,1]
	s_delay_alu instid0(VALU_DEP_4) | instskip(NEXT) | instid1(VALU_DEP_4)
	v_pk_fma_f32 v[42:43], v[48:49], v[44:45], v[52:53] neg_lo:[0,0,1] neg_hi:[0,0,1]
	v_mov_b32_e32 v39, v41
	s_delay_alu instid0(VALU_DEP_4) | instskip(SKIP_1) | instid1(VALU_DEP_2)
	v_pk_add_f32 v[36:37], v[36:37], 0 op_sel_hi:[1,0]
	v_pk_fma_f32 v[40:41], v[48:49], v[44:45], v[52:53] op_sel_hi:[1,0,1]
	v_pk_add_f32 v[36:37], v[36:37], v[38:39]
	s_delay_alu instid0(VALU_DEP_2) | instskip(NEXT) | instid1(VALU_DEP_1)
	v_mov_b32_e32 v43, v41
	v_pk_add_f32 v[36:37], v[36:37], v[42:43]
	s_wait_loadcnt 0x0
	s_delay_alu instid0(VALU_DEP_1)
	v_pk_add_f32 v[36:37], v[46:47], v[36:37] neg_lo:[0,1] neg_hi:[0,1]
	scratch_store_b64 off, v[36:37], off offset:104
	s_wait_xcnt 0x0
	v_cmpx_lt_u32_e32 12, v0
	s_cbranch_execz .LBB16_91
; %bb.90:
	scratch_load_b64 v[36:37], off, off offset:96
	v_mov_b64_e32 v[38:39], 0
	scratch_store_b64 off, v[38:39], off offset:96
	s_wait_loadcnt 0x0
	ds_store_b64 v1, v[36:37]
.LBB16_91:
	s_wait_xcnt 0x0
	s_or_b32 exec_lo, exec_lo, s0
	s_wait_storecnt_dscnt 0x0
	s_barrier_signal -1
	s_barrier_wait -1
	s_clause 0x2
	scratch_load_b128 v[36:39], off, off offset:104
	scratch_load_b128 v[40:43], off, off offset:120
	scratch_load_b64 v[52:53], off, off offset:96
	ds_load_2addr_b64 v[44:47], v7 offset0:31 offset1:32
	ds_load_2addr_b64 v[48:51], v7 offset0:33 offset1:34
	s_mov_b32 s0, exec_lo
	s_wait_dscnt 0x1
	v_dual_mov_b32 v54, v47 :: v_dual_mov_b32 v55, v46
	s_wait_loadcnt_dscnt 0x200
	v_dual_mov_b32 v60, v51 :: v_dual_mov_b32 v58, v39
	v_pk_mul_f32 v[56:57], v[44:45], v[36:37] op_sel:[1,1] op_sel_hi:[0,1]
	s_delay_alu instid0(VALU_DEP_2) | instskip(NEXT) | instid1(VALU_DEP_2)
	v_pk_mul_f32 v[54:55], v[54:55], v[58:59] op_sel_hi:[1,0]
	v_pk_fma_f32 v[62:63], v[44:45], v[36:37], v[56:57] op_sel_hi:[1,0,1]
	v_pk_fma_f32 v[36:37], v[44:45], v[36:37], v[56:57] neg_lo:[0,0,1] neg_hi:[0,0,1]
	v_mov_b32_e32 v61, v50
	s_wait_loadcnt 0x1
	v_pk_mul_f32 v[58:59], v[48:49], v[40:41] op_sel:[1,1] op_sel_hi:[0,1]
	v_pk_fma_f32 v[44:45], v[46:47], v[38:39], v[54:55] op_sel_hi:[1,0,1]
	v_dual_mov_b32 v37, v63 :: v_dual_mov_b32 v44, v43
	v_pk_fma_f32 v[38:39], v[46:47], v[38:39], v[54:55] neg_lo:[0,0,1] neg_hi:[0,0,1]
	s_delay_alu instid0(VALU_DEP_4) | instskip(NEXT) | instid1(VALU_DEP_4)
	v_pk_fma_f32 v[56:57], v[48:49], v[40:41], v[58:59] op_sel_hi:[1,0,1]
	v_mov_b32_e32 v39, v45
	s_delay_alu instid0(VALU_DEP_4) | instskip(SKIP_2) | instid1(VALU_DEP_3)
	v_pk_add_f32 v[36:37], v[36:37], 0 op_sel_hi:[1,0]
	v_pk_mul_f32 v[44:45], v[60:61], v[44:45] op_sel_hi:[1,0]
	v_pk_fma_f32 v[40:41], v[48:49], v[40:41], v[58:59] neg_lo:[0,0,1] neg_hi:[0,0,1]
	v_pk_add_f32 v[36:37], v[36:37], v[38:39]
	s_delay_alu instid0(VALU_DEP_3) | instskip(SKIP_2) | instid1(VALU_DEP_3)
	v_pk_fma_f32 v[38:39], v[50:51], v[42:43], v[44:45] op_sel_hi:[1,0,1]
	v_mov_b32_e32 v41, v57
	v_pk_fma_f32 v[42:43], v[50:51], v[42:43], v[44:45] neg_lo:[0,0,1] neg_hi:[0,0,1]
	v_mov_b32_e32 v43, v39
	s_delay_alu instid0(VALU_DEP_3) | instskip(NEXT) | instid1(VALU_DEP_1)
	v_pk_add_f32 v[36:37], v[36:37], v[40:41]
	v_pk_add_f32 v[36:37], v[36:37], v[42:43]
	s_wait_loadcnt 0x0
	s_delay_alu instid0(VALU_DEP_1)
	v_pk_add_f32 v[36:37], v[52:53], v[36:37] neg_lo:[0,1] neg_hi:[0,1]
	scratch_store_b64 off, v[36:37], off offset:96
	s_wait_xcnt 0x0
	v_cmpx_lt_u32_e32 11, v0
	s_cbranch_execz .LBB16_93
; %bb.92:
	scratch_load_b64 v[36:37], off, off offset:88
	v_mov_b64_e32 v[38:39], 0
	scratch_store_b64 off, v[38:39], off offset:88
	s_wait_loadcnt 0x0
	ds_store_b64 v1, v[36:37]
.LBB16_93:
	s_wait_xcnt 0x0
	s_or_b32 exec_lo, exec_lo, s0
	s_wait_storecnt_dscnt 0x0
	s_barrier_signal -1
	s_barrier_wait -1
	s_clause 0x3
	scratch_load_b128 v[36:39], off, off offset:96
	scratch_load_b128 v[40:43], off, off offset:112
	scratch_load_b64 v[52:53], off, off offset:128
	scratch_load_b64 v[54:55], off, off offset:88
	v_mov_b32_e32 v7, 0
	ds_load_b128 v[44:47], v7 offset:240
	ds_load_b128 v[48:51], v7 offset:256
	s_mov_b32 s0, exec_lo
	s_wait_dscnt 0x1
	v_dual_mov_b32 v56, v47 :: v_dual_mov_b32 v57, v46
	ds_load_b64 v[62:63], v7 offset:272
	s_wait_dscnt 0x1
	v_dual_mov_b32 v64, v51 :: v_dual_mov_b32 v65, v50
	s_wait_loadcnt 0x3
	v_pk_mul_f32 v[58:59], v[44:45], v[36:37] op_sel:[1,1] op_sel_hi:[0,1]
	v_mov_b32_e32 v60, v39
	s_delay_alu instid0(VALU_DEP_2) | instskip(NEXT) | instid1(VALU_DEP_2)
	v_pk_fma_f32 v[66:67], v[44:45], v[36:37], v[58:59] op_sel_hi:[1,0,1]
	v_pk_mul_f32 v[56:57], v[56:57], v[60:61] op_sel_hi:[1,0]
	v_pk_fma_f32 v[36:37], v[44:45], v[36:37], v[58:59] neg_lo:[0,0,1] neg_hi:[0,0,1]
	s_wait_loadcnt 0x2
	v_pk_mul_f32 v[60:61], v[48:49], v[40:41] op_sel:[1,1] op_sel_hi:[0,1]
	v_dual_mov_b32 v66, v43 :: v_dual_mov_b32 v37, v67
	v_pk_fma_f32 v[44:45], v[46:47], v[38:39], v[56:57] op_sel_hi:[1,0,1]
	v_pk_fma_f32 v[38:39], v[46:47], v[38:39], v[56:57] neg_lo:[0,0,1] neg_hi:[0,0,1]
	s_delay_alu instid0(VALU_DEP_4) | instskip(NEXT) | instid1(VALU_DEP_4)
	v_pk_fma_f32 v[58:59], v[48:49], v[40:41], v[60:61] op_sel_hi:[1,0,1]
	v_pk_mul_f32 v[64:65], v[64:65], v[66:67] op_sel_hi:[1,0]
	v_pk_add_f32 v[36:37], v[36:37], 0 op_sel_hi:[1,0]
	v_mov_b32_e32 v39, v45
	v_pk_fma_f32 v[40:41], v[48:49], v[40:41], v[60:61] neg_lo:[0,0,1] neg_hi:[0,0,1]
	v_mov_b32_e32 v41, v59
	v_pk_fma_f32 v[44:45], v[50:51], v[42:43], v[64:65] op_sel_hi:[1,0,1]
	v_pk_fma_f32 v[42:43], v[50:51], v[42:43], v[64:65] neg_lo:[0,0,1] neg_hi:[0,0,1]
	v_pk_add_f32 v[36:37], v[36:37], v[38:39]
	s_wait_loadcnt_dscnt 0x100
	v_pk_mul_f32 v[38:39], v[62:63], v[52:53] op_sel:[1,1] op_sel_hi:[0,1]
	s_delay_alu instid0(VALU_DEP_2) | instskip(NEXT) | instid1(VALU_DEP_2)
	v_pk_add_f32 v[36:37], v[36:37], v[40:41]
	v_pk_fma_f32 v[40:41], v[62:63], v[52:53], v[38:39] op_sel_hi:[1,0,1]
	v_mov_b32_e32 v43, v45
	v_pk_fma_f32 v[38:39], v[62:63], v[52:53], v[38:39] neg_lo:[0,0,1] neg_hi:[0,0,1]
	s_delay_alu instid0(VALU_DEP_3) | instskip(NEXT) | instid1(VALU_DEP_3)
	v_mov_b32_e32 v39, v41
	v_pk_add_f32 v[36:37], v[36:37], v[42:43]
	s_delay_alu instid0(VALU_DEP_1) | instskip(SKIP_1) | instid1(VALU_DEP_1)
	v_pk_add_f32 v[36:37], v[36:37], v[38:39]
	s_wait_loadcnt 0x0
	v_pk_add_f32 v[36:37], v[54:55], v[36:37] neg_lo:[0,1] neg_hi:[0,1]
	scratch_store_b64 off, v[36:37], off offset:88
	s_wait_xcnt 0x0
	v_cmpx_lt_u32_e32 10, v0
	s_cbranch_execz .LBB16_95
; %bb.94:
	scratch_load_b64 v[36:37], off, off offset:80
	v_mov_b64_e32 v[38:39], 0
	scratch_store_b64 off, v[38:39], off offset:80
	s_wait_loadcnt 0x0
	ds_store_b64 v1, v[36:37]
.LBB16_95:
	s_wait_xcnt 0x0
	s_or_b32 exec_lo, exec_lo, s0
	s_wait_storecnt_dscnt 0x0
	s_barrier_signal -1
	s_barrier_wait -1
	s_clause 0x3
	scratch_load_b128 v[36:39], off, off offset:88
	scratch_load_b128 v[40:43], off, off offset:104
	;; [unrolled: 1-line block ×3, first 2 shown]
	scratch_load_b64 v[60:61], off, off offset:80
	ds_load_2addr_b64 v[48:51], v7 offset0:29 offset1:30
	ds_load_2addr_b64 v[52:55], v7 offset0:31 offset1:32
	;; [unrolled: 1-line block ×3, first 2 shown]
	s_mov_b32 s0, exec_lo
	s_wait_dscnt 0x2
	v_dual_mov_b32 v62, v51 :: v_dual_mov_b32 v63, v50
	s_wait_dscnt 0x1
	v_dual_mov_b32 v64, v55 :: v_dual_mov_b32 v65, v54
	;; [unrolled: 2-line block ×3, first 2 shown]
	s_wait_loadcnt 0x3
	v_pk_mul_f32 v[66:67], v[48:49], v[36:37] op_sel:[1,1] op_sel_hi:[0,1]
	v_mov_b32_e32 v68, v39
	s_delay_alu instid0(VALU_DEP_2) | instskip(NEXT) | instid1(VALU_DEP_2)
	v_pk_fma_f32 v[72:73], v[48:49], v[36:37], v[66:67] op_sel_hi:[1,0,1]
	v_pk_mul_f32 v[62:63], v[62:63], v[68:69] op_sel_hi:[1,0]
	v_pk_fma_f32 v[36:37], v[48:49], v[36:37], v[66:67] neg_lo:[0,0,1] neg_hi:[0,0,1]
	s_wait_loadcnt 0x2
	v_pk_mul_f32 v[68:69], v[52:53], v[40:41] op_sel:[1,1] op_sel_hi:[0,1]
	v_mov_b32_e32 v72, v43
	v_pk_fma_f32 v[48:49], v[50:51], v[38:39], v[62:63] op_sel_hi:[1,0,1]
	v_mov_b32_e32 v37, v73
	v_pk_fma_f32 v[38:39], v[50:51], v[38:39], v[62:63] neg_lo:[0,0,1] neg_hi:[0,0,1]
	v_pk_fma_f32 v[66:67], v[52:53], v[40:41], v[68:69] op_sel_hi:[1,0,1]
	v_pk_mul_f32 v[64:65], v[64:65], v[72:73] op_sel_hi:[1,0]
	v_mov_b32_e32 v39, v49
	v_pk_add_f32 v[36:37], v[36:37], 0 op_sel_hi:[1,0]
	v_pk_fma_f32 v[40:41], v[52:53], v[40:41], v[68:69] neg_lo:[0,0,1] neg_hi:[0,0,1]
	s_wait_loadcnt 0x1
	v_pk_mul_f32 v[48:49], v[56:57], v[44:45] op_sel:[1,1] op_sel_hi:[0,1]
	v_mov_b32_e32 v41, v67
	v_pk_fma_f32 v[50:51], v[54:55], v[42:43], v[64:65] op_sel_hi:[1,0,1]
	v_pk_add_f32 v[36:37], v[36:37], v[38:39]
	v_mov_b32_e32 v38, v47
	v_pk_fma_f32 v[42:43], v[54:55], v[42:43], v[64:65] neg_lo:[0,0,1] neg_hi:[0,0,1]
	v_pk_fma_f32 v[52:53], v[56:57], v[44:45], v[48:49] op_sel_hi:[1,0,1]
	v_mov_b32_e32 v43, v51
	v_pk_add_f32 v[36:37], v[36:37], v[40:41]
	v_pk_mul_f32 v[38:39], v[70:71], v[38:39] op_sel_hi:[1,0]
	v_pk_fma_f32 v[40:41], v[56:57], v[44:45], v[48:49] neg_lo:[0,0,1] neg_hi:[0,0,1]
	v_mov_b32_e32 v41, v53
	s_delay_alu instid0(VALU_DEP_4) | instskip(NEXT) | instid1(VALU_DEP_4)
	v_pk_add_f32 v[36:37], v[36:37], v[42:43]
	v_pk_fma_f32 v[42:43], v[58:59], v[46:47], v[38:39] op_sel_hi:[1,0,1]
	v_pk_fma_f32 v[38:39], v[58:59], v[46:47], v[38:39] neg_lo:[0,0,1] neg_hi:[0,0,1]
	s_delay_alu instid0(VALU_DEP_3) | instskip(NEXT) | instid1(VALU_DEP_3)
	v_pk_add_f32 v[36:37], v[36:37], v[40:41]
	v_mov_b32_e32 v39, v43
	s_delay_alu instid0(VALU_DEP_1) | instskip(SKIP_1) | instid1(VALU_DEP_1)
	v_pk_add_f32 v[36:37], v[36:37], v[38:39]
	s_wait_loadcnt 0x0
	v_pk_add_f32 v[36:37], v[60:61], v[36:37] neg_lo:[0,1] neg_hi:[0,1]
	scratch_store_b64 off, v[36:37], off offset:80
	s_wait_xcnt 0x0
	v_cmpx_lt_u32_e32 9, v0
	s_cbranch_execz .LBB16_97
; %bb.96:
	scratch_load_b64 v[36:37], off, off offset:72
	v_mov_b64_e32 v[38:39], 0
	scratch_store_b64 off, v[38:39], off offset:72
	s_wait_loadcnt 0x0
	ds_store_b64 v1, v[36:37]
.LBB16_97:
	s_wait_xcnt 0x0
	s_or_b32 exec_lo, exec_lo, s0
	s_wait_storecnt_dscnt 0x0
	s_barrier_signal -1
	s_barrier_wait -1
	s_clause 0x4
	scratch_load_b128 v[36:39], off, off offset:80
	scratch_load_b128 v[40:43], off, off offset:96
	;; [unrolled: 1-line block ×3, first 2 shown]
	scratch_load_b64 v[60:61], off, off offset:128
	scratch_load_b64 v[62:63], off, off offset:72
	v_mov_b32_e32 v7, 0
	ds_load_b128 v[48:51], v7 offset:224
	ds_load_b128 v[52:55], v7 offset:240
	ds_load_b128 v[56:59], v7 offset:256
	ds_load_b64 v[64:65], v7 offset:272
	s_mov_b32 s0, exec_lo
	s_wait_dscnt 0x3
	v_dual_mov_b32 v66, v51 :: v_dual_mov_b32 v67, v50
	s_wait_dscnt 0x2
	v_dual_mov_b32 v68, v55 :: v_dual_mov_b32 v69, v54
	s_wait_dscnt 0x1
	v_dual_mov_b32 v74, v59 :: v_dual_mov_b32 v75, v58
	s_wait_loadcnt 0x4
	v_pk_mul_f32 v[70:71], v[48:49], v[36:37] op_sel:[1,1] op_sel_hi:[0,1]
	v_mov_b32_e32 v72, v39
	s_wait_loadcnt 0x3
	v_pk_mul_f32 v[76:77], v[52:53], v[40:41] op_sel:[1,1] op_sel_hi:[0,1]
	s_wait_loadcnt 0x2
	v_pk_mul_f32 v[80:81], v[56:57], v[44:45] op_sel:[1,1] op_sel_hi:[0,1]
	v_pk_fma_f32 v[78:79], v[48:49], v[36:37], v[70:71] op_sel_hi:[1,0,1]
	v_pk_mul_f32 v[66:67], v[66:67], v[72:73] op_sel_hi:[1,0]
	v_pk_fma_f32 v[36:37], v[48:49], v[36:37], v[70:71] neg_lo:[0,0,1] neg_hi:[0,0,1]
	v_mov_b32_e32 v72, v43
	v_pk_fma_f32 v[70:71], v[52:53], v[40:41], v[76:77] op_sel_hi:[1,0,1]
	v_mov_b32_e32 v37, v79
	v_pk_fma_f32 v[48:49], v[50:51], v[38:39], v[66:67] op_sel_hi:[1,0,1]
	v_pk_fma_f32 v[38:39], v[50:51], v[38:39], v[66:67] neg_lo:[0,0,1] neg_hi:[0,0,1]
	v_pk_mul_f32 v[68:69], v[68:69], v[72:73] op_sel_hi:[1,0]
	v_pk_fma_f32 v[40:41], v[52:53], v[40:41], v[76:77] neg_lo:[0,0,1] neg_hi:[0,0,1]
	v_pk_add_f32 v[36:37], v[36:37], 0 op_sel_hi:[1,0]
	v_dual_mov_b32 v39, v49 :: v_dual_mov_b32 v48, v47
	s_delay_alu instid0(VALU_DEP_4) | instskip(SKIP_2) | instid1(VALU_DEP_4)
	v_pk_fma_f32 v[50:51], v[54:55], v[42:43], v[68:69] op_sel_hi:[1,0,1]
	v_mov_b32_e32 v41, v71
	v_pk_fma_f32 v[42:43], v[54:55], v[42:43], v[68:69] neg_lo:[0,0,1] neg_hi:[0,0,1]
	v_pk_add_f32 v[36:37], v[36:37], v[38:39]
	v_pk_fma_f32 v[38:39], v[56:57], v[44:45], v[80:81] op_sel_hi:[1,0,1]
	v_pk_mul_f32 v[48:49], v[74:75], v[48:49] op_sel_hi:[1,0]
	v_mov_b32_e32 v43, v51
	s_delay_alu instid0(VALU_DEP_4)
	v_pk_add_f32 v[36:37], v[36:37], v[40:41]
	v_pk_fma_f32 v[40:41], v[56:57], v[44:45], v[80:81] neg_lo:[0,0,1] neg_hi:[0,0,1]
	v_mov_b32_e32 v41, v39
	v_pk_fma_f32 v[38:39], v[58:59], v[46:47], v[48:49] op_sel_hi:[1,0,1]
	v_pk_fma_f32 v[44:45], v[58:59], v[46:47], v[48:49] neg_lo:[0,0,1] neg_hi:[0,0,1]
	v_pk_add_f32 v[36:37], v[36:37], v[42:43]
	s_wait_loadcnt_dscnt 0x100
	v_pk_mul_f32 v[42:43], v[64:65], v[60:61] op_sel:[1,1] op_sel_hi:[0,1]
	v_mov_b32_e32 v45, v39
	s_delay_alu instid0(VALU_DEP_3) | instskip(NEXT) | instid1(VALU_DEP_3)
	v_pk_add_f32 v[36:37], v[36:37], v[40:41]
	v_pk_fma_f32 v[38:39], v[64:65], v[60:61], v[42:43] op_sel_hi:[1,0,1]
	v_pk_fma_f32 v[40:41], v[64:65], v[60:61], v[42:43] neg_lo:[0,0,1] neg_hi:[0,0,1]
	s_delay_alu instid0(VALU_DEP_3) | instskip(NEXT) | instid1(VALU_DEP_3)
	v_pk_add_f32 v[36:37], v[36:37], v[44:45]
	v_mov_b32_e32 v41, v39
	s_delay_alu instid0(VALU_DEP_1) | instskip(SKIP_1) | instid1(VALU_DEP_1)
	v_pk_add_f32 v[36:37], v[36:37], v[40:41]
	s_wait_loadcnt 0x0
	v_pk_add_f32 v[36:37], v[62:63], v[36:37] neg_lo:[0,1] neg_hi:[0,1]
	scratch_store_b64 off, v[36:37], off offset:72
	s_wait_xcnt 0x0
	v_cmpx_lt_u32_e32 8, v0
	s_cbranch_execz .LBB16_99
; %bb.98:
	scratch_load_b64 v[36:37], off, off offset:64
	v_mov_b64_e32 v[38:39], 0
	scratch_store_b64 off, v[38:39], off offset:64
	s_wait_loadcnt 0x0
	ds_store_b64 v1, v[36:37]
.LBB16_99:
	s_wait_xcnt 0x0
	s_or_b32 exec_lo, exec_lo, s0
	s_wait_storecnt_dscnt 0x0
	s_barrier_signal -1
	s_barrier_wait -1
	s_clause 0x4
	scratch_load_b128 v[36:39], off, off offset:72
	scratch_load_b128 v[40:43], off, off offset:88
	;; [unrolled: 1-line block ×4, first 2 shown]
	scratch_load_b64 v[68:69], off, off offset:64
	ds_load_2addr_b64 v[52:55], v7 offset0:27 offset1:28
	ds_load_2addr_b64 v[56:59], v7 offset0:29 offset1:30
	ds_load_2addr_b64 v[60:63], v7 offset0:31 offset1:32
	ds_load_2addr_b64 v[64:67], v7 offset0:33 offset1:34
	s_mov_b32 s0, exec_lo
	s_wait_dscnt 0x3
	v_dual_mov_b32 v70, v55 :: v_dual_mov_b32 v71, v54
	s_wait_dscnt 0x2
	v_dual_mov_b32 v72, v59 :: v_dual_mov_b32 v73, v58
	;; [unrolled: 2-line block ×3, first 2 shown]
	v_dual_mov_b32 v75, v62 :: v_dual_mov_b32 v80, v67
	s_wait_loadcnt 0x4
	v_mov_b32_e32 v78, v39
	v_pk_mul_f32 v[76:77], v[52:53], v[36:37] op_sel:[1,1] op_sel_hi:[0,1]
	s_wait_loadcnt 0x3
	v_pk_mul_f32 v[82:83], v[56:57], v[40:41] op_sel:[1,1] op_sel_hi:[0,1]
	s_wait_loadcnt 0x2
	v_pk_mul_f32 v[86:87], v[60:61], v[44:45] op_sel:[1,1] op_sel_hi:[0,1]
	v_pk_mul_f32 v[70:71], v[70:71], v[78:79] op_sel_hi:[1,0]
	v_pk_fma_f32 v[84:85], v[52:53], v[36:37], v[76:77] op_sel_hi:[1,0,1]
	v_pk_fma_f32 v[36:37], v[52:53], v[36:37], v[76:77] neg_lo:[0,0,1] neg_hi:[0,0,1]
	v_mov_b32_e32 v78, v43
	v_pk_fma_f32 v[76:77], v[56:57], v[40:41], v[82:83] op_sel_hi:[1,0,1]
	v_pk_fma_f32 v[52:53], v[54:55], v[38:39], v[70:71] op_sel_hi:[1,0,1]
	v_mov_b32_e32 v37, v85
	v_pk_fma_f32 v[38:39], v[54:55], v[38:39], v[70:71] neg_lo:[0,0,1] neg_hi:[0,0,1]
	v_pk_mul_f32 v[72:73], v[72:73], v[78:79] op_sel_hi:[1,0]
	s_delay_alu instid0(VALU_DEP_4) | instskip(NEXT) | instid1(VALU_DEP_4)
	v_dual_mov_b32 v52, v47 :: v_dual_mov_b32 v39, v53
	v_pk_add_f32 v[36:37], v[36:37], 0 op_sel_hi:[1,0]
	v_pk_fma_f32 v[40:41], v[56:57], v[40:41], v[82:83] neg_lo:[0,0,1] neg_hi:[0,0,1]
	v_mov_b32_e32 v41, v77
	v_pk_fma_f32 v[54:55], v[58:59], v[42:43], v[72:73] op_sel_hi:[1,0,1]
	v_pk_mul_f32 v[52:53], v[74:75], v[52:53] op_sel_hi:[1,0]
	v_pk_add_f32 v[36:37], v[36:37], v[38:39]
	v_pk_fma_f32 v[38:39], v[60:61], v[44:45], v[86:87] op_sel_hi:[1,0,1]
	v_pk_fma_f32 v[42:43], v[58:59], v[42:43], v[72:73] neg_lo:[0,0,1] neg_hi:[0,0,1]
	v_mov_b32_e32 v43, v55
	v_pk_fma_f32 v[44:45], v[60:61], v[44:45], v[86:87] neg_lo:[0,0,1] neg_hi:[0,0,1]
	v_pk_add_f32 v[36:37], v[36:37], v[40:41]
	v_mov_b32_e32 v45, v39
	v_pk_fma_f32 v[38:39], v[62:63], v[46:47], v[52:53] op_sel_hi:[1,0,1]
	s_wait_loadcnt 0x1
	v_pk_mul_f32 v[40:41], v[64:65], v[48:49] op_sel:[1,1] op_sel_hi:[0,1]
	v_mov_b32_e32 v38, v51
	v_pk_add_f32 v[36:37], v[36:37], v[42:43]
	v_pk_fma_f32 v[46:47], v[62:63], v[46:47], v[52:53] neg_lo:[0,0,1] neg_hi:[0,0,1]
	v_mov_b32_e32 v47, v39
	v_pk_fma_f32 v[42:43], v[64:65], v[48:49], v[40:41] op_sel_hi:[1,0,1]
	v_pk_mul_f32 v[38:39], v[80:81], v[38:39] op_sel_hi:[1,0]
	v_pk_add_f32 v[36:37], v[36:37], v[44:45]
	v_pk_fma_f32 v[40:41], v[64:65], v[48:49], v[40:41] neg_lo:[0,0,1] neg_hi:[0,0,1]
	s_delay_alu instid0(VALU_DEP_4) | instskip(NEXT) | instid1(VALU_DEP_4)
	v_mov_b32_e32 v41, v43
	v_pk_fma_f32 v[42:43], v[66:67], v[50:51], v[38:39] op_sel_hi:[1,0,1]
	s_delay_alu instid0(VALU_DEP_4) | instskip(SKIP_1) | instid1(VALU_DEP_3)
	v_pk_add_f32 v[36:37], v[36:37], v[46:47]
	v_pk_fma_f32 v[38:39], v[66:67], v[50:51], v[38:39] neg_lo:[0,0,1] neg_hi:[0,0,1]
	v_mov_b32_e32 v39, v43
	s_delay_alu instid0(VALU_DEP_3) | instskip(NEXT) | instid1(VALU_DEP_1)
	v_pk_add_f32 v[36:37], v[36:37], v[40:41]
	v_pk_add_f32 v[36:37], v[36:37], v[38:39]
	s_wait_loadcnt 0x0
	s_delay_alu instid0(VALU_DEP_1)
	v_pk_add_f32 v[36:37], v[68:69], v[36:37] neg_lo:[0,1] neg_hi:[0,1]
	scratch_store_b64 off, v[36:37], off offset:64
	s_wait_xcnt 0x0
	v_cmpx_lt_u32_e32 7, v0
	s_cbranch_execz .LBB16_101
; %bb.100:
	scratch_load_b64 v[36:37], off, off offset:56
	v_mov_b64_e32 v[38:39], 0
	scratch_store_b64 off, v[38:39], off offset:56
	s_wait_loadcnt 0x0
	ds_store_b64 v1, v[36:37]
.LBB16_101:
	s_wait_xcnt 0x0
	s_or_b32 exec_lo, exec_lo, s0
	s_wait_storecnt_dscnt 0x0
	s_barrier_signal -1
	s_barrier_wait -1
	s_clause 0x5
	scratch_load_b128 v[36:39], off, off offset:64
	scratch_load_b128 v[40:43], off, off offset:80
	;; [unrolled: 1-line block ×4, first 2 shown]
	scratch_load_b64 v[68:69], off, off offset:128
	scratch_load_b64 v[70:71], off, off offset:56
	v_mov_b32_e32 v7, 0
	ds_load_b128 v[52:55], v7 offset:208
	ds_load_b128 v[56:59], v7 offset:224
	;; [unrolled: 1-line block ×4, first 2 shown]
	ds_load_b64 v[72:73], v7 offset:272
	s_mov_b32 s0, exec_lo
	s_wait_dscnt 0x4
	v_dual_mov_b32 v74, v55 :: v_dual_mov_b32 v75, v54
	s_wait_dscnt 0x1
	v_dual_mov_b32 v76, v59 :: v_dual_mov_b32 v81, v66
	v_dual_mov_b32 v77, v58 :: v_dual_mov_b32 v78, v63
	;; [unrolled: 1-line block ×3, first 2 shown]
	s_wait_loadcnt 0x5
	v_dual_mov_b32 v82, v39 :: v_dual_mul_f32 v83, v52, v37
	v_mul_f32_e32 v9, v53, v37
	s_wait_loadcnt 0x4
	v_pk_mul_f32 v[84:85], v[56:57], v[40:41] op_sel:[1,1] op_sel_hi:[0,1]
	v_mov_b32_e32 v86, v43
	s_wait_loadcnt 0x3
	v_pk_mul_f32 v[88:89], v[60:61], v[44:45] op_sel:[1,1] op_sel_hi:[0,1]
	v_pk_mul_f32 v[74:75], v[74:75], v[82:83] op_sel_hi:[1,0]
	v_dual_fmac_f32 v83, v53, v36 :: v_dual_fma_f32 v82, v52, v36, -v9
	v_mov_b32_e32 v36, v47
	v_pk_fma_f32 v[90:91], v[56:57], v[40:41], v[84:85] op_sel_hi:[1,0,1]
	s_delay_alu instid0(VALU_DEP_4)
	v_pk_fma_f32 v[52:53], v[54:55], v[38:39], v[74:75] op_sel_hi:[1,0,1]
	v_pk_fma_f32 v[38:39], v[54:55], v[38:39], v[74:75] neg_lo:[0,0,1] neg_hi:[0,0,1]
	v_pk_mul_f32 v[76:77], v[76:77], v[86:87] op_sel_hi:[1,0]
	v_pk_add_f32 v[82:83], v[82:83], 0 op_sel_hi:[1,0]
	v_pk_fma_f32 v[40:41], v[56:57], v[40:41], v[84:85] neg_lo:[0,0,1] neg_hi:[0,0,1]
	v_dual_mov_b32 v39, v53 :: v_dual_mov_b32 v41, v91
	s_delay_alu instid0(VALU_DEP_4) | instskip(SKIP_2) | instid1(VALU_DEP_4)
	v_pk_fma_f32 v[54:55], v[58:59], v[42:43], v[76:77] op_sel_hi:[1,0,1]
	v_pk_fma_f32 v[42:43], v[58:59], v[42:43], v[76:77] neg_lo:[0,0,1] neg_hi:[0,0,1]
	v_pk_fma_f32 v[56:57], v[60:61], v[44:45], v[88:89] op_sel_hi:[1,0,1]
	v_pk_add_f32 v[38:39], v[82:83], v[38:39]
	v_pk_mul_f32 v[36:37], v[78:79], v[36:37] op_sel_hi:[1,0]
	v_mov_b32_e32 v43, v55
	v_pk_fma_f32 v[44:45], v[60:61], v[44:45], v[88:89] neg_lo:[0,0,1] neg_hi:[0,0,1]
	s_wait_loadcnt 0x2
	v_pk_mul_f32 v[52:53], v[64:65], v[48:49] op_sel:[1,1] op_sel_hi:[0,1]
	v_pk_add_f32 v[38:39], v[38:39], v[40:41]
	v_mov_b32_e32 v40, v51
	v_pk_fma_f32 v[54:55], v[62:63], v[46:47], v[36:37] op_sel_hi:[1,0,1]
	v_mov_b32_e32 v45, v57
	v_pk_fma_f32 v[36:37], v[62:63], v[46:47], v[36:37] neg_lo:[0,0,1] neg_hi:[0,0,1]
	v_pk_add_f32 v[38:39], v[38:39], v[42:43]
	v_pk_fma_f32 v[42:43], v[64:65], v[48:49], v[52:53] op_sel_hi:[1,0,1]
	v_pk_mul_f32 v[40:41], v[80:81], v[40:41] op_sel_hi:[1,0]
	v_mov_b32_e32 v37, v55
	s_delay_alu instid0(VALU_DEP_4)
	v_pk_add_f32 v[38:39], v[38:39], v[44:45]
	v_pk_fma_f32 v[44:45], v[64:65], v[48:49], v[52:53] neg_lo:[0,0,1] neg_hi:[0,0,1]
	v_mov_b32_e32 v45, v43
	v_pk_fma_f32 v[42:43], v[66:67], v[50:51], v[40:41] op_sel_hi:[1,0,1]
	v_pk_fma_f32 v[40:41], v[66:67], v[50:51], v[40:41] neg_lo:[0,0,1] neg_hi:[0,0,1]
	v_pk_add_f32 v[36:37], v[38:39], v[36:37]
	s_wait_loadcnt_dscnt 0x100
	v_pk_mul_f32 v[38:39], v[72:73], v[68:69] op_sel:[1,1] op_sel_hi:[0,1]
	v_mov_b32_e32 v41, v43
	s_delay_alu instid0(VALU_DEP_3) | instskip(NEXT) | instid1(VALU_DEP_3)
	v_pk_add_f32 v[36:37], v[36:37], v[44:45]
	v_pk_fma_f32 v[42:43], v[72:73], v[68:69], v[38:39] op_sel_hi:[1,0,1]
	v_pk_fma_f32 v[38:39], v[72:73], v[68:69], v[38:39] neg_lo:[0,0,1] neg_hi:[0,0,1]
	s_delay_alu instid0(VALU_DEP_3) | instskip(NEXT) | instid1(VALU_DEP_3)
	v_pk_add_f32 v[36:37], v[36:37], v[40:41]
	v_mov_b32_e32 v39, v43
	s_delay_alu instid0(VALU_DEP_1) | instskip(SKIP_1) | instid1(VALU_DEP_1)
	v_pk_add_f32 v[36:37], v[36:37], v[38:39]
	s_wait_loadcnt 0x0
	v_pk_add_f32 v[36:37], v[70:71], v[36:37] neg_lo:[0,1] neg_hi:[0,1]
	scratch_store_b64 off, v[36:37], off offset:56
	s_wait_xcnt 0x0
	v_cmpx_lt_u32_e32 6, v0
	s_cbranch_execz .LBB16_103
; %bb.102:
	scratch_load_b64 v[36:37], off, off offset:48
	v_mov_b64_e32 v[38:39], 0
	scratch_store_b64 off, v[38:39], off offset:48
	s_wait_loadcnt 0x0
	ds_store_b64 v1, v[36:37]
.LBB16_103:
	s_wait_xcnt 0x0
	s_or_b32 exec_lo, exec_lo, s0
	s_wait_storecnt_dscnt 0x0
	s_barrier_signal -1
	s_barrier_wait -1
	s_clause 0x5
	scratch_load_b128 v[36:39], off, off offset:56
	scratch_load_b128 v[40:43], off, off offset:72
	;; [unrolled: 1-line block ×5, first 2 shown]
	scratch_load_b64 v[76:77], off, off offset:48
	ds_load_2addr_b64 v[56:59], v7 offset0:27 offset1:28
	ds_load_2addr_b64 v[60:63], v7 offset0:29 offset1:30
	;; [unrolled: 1-line block ×5, first 2 shown]
	s_mov_b32 s0, exec_lo
	s_wait_dscnt 0x4
	v_dual_mov_b32 v78, v59 :: v_dual_mov_b32 v79, v58
	s_wait_dscnt 0x3
	v_dual_mov_b32 v80, v63 :: v_dual_mov_b32 v81, v62
	;; [unrolled: 2-line block ×4, first 2 shown]
	s_wait_loadcnt_dscnt 0x500
	v_dual_mul_f32 v87, v72, v37 :: v_dual_mul_f32 v89, v74, v39
	v_dual_mul_f32 v7, v73, v37 :: v_dual_mul_f32 v9, v75, v39
	s_wait_loadcnt 0x4
	v_pk_mul_f32 v[90:91], v[56:57], v[40:41] op_sel:[1,1] op_sel_hi:[0,1]
	s_wait_loadcnt 0x3
	v_dual_mov_b32 v92, v43 :: v_dual_mov_b32 v96, v47
	v_dual_fmac_f32 v87, v73, v36 :: v_dual_fmac_f32 v89, v75, v38
	v_dual_fma_f32 v86, v72, v36, -v7 :: v_dual_fma_f32 v88, v74, v38, -v9
	v_pk_fma_f32 v[36:37], v[56:57], v[40:41], v[90:91] op_sel_hi:[1,0,1]
	s_delay_alu instid0(VALU_DEP_4) | instskip(SKIP_1) | instid1(VALU_DEP_4)
	v_pk_mul_f32 v[38:39], v[78:79], v[92:93] op_sel_hi:[1,0]
	v_pk_fma_f32 v[40:41], v[56:57], v[40:41], v[90:91] neg_lo:[0,0,1] neg_hi:[0,0,1]
	v_pk_add_f32 v[72:73], v[86:87], 0 op_sel_hi:[1,0]
	v_pk_mul_f32 v[94:95], v[60:61], v[44:45] op_sel:[1,1] op_sel_hi:[0,1]
	v_mov_b32_e32 v41, v37
	v_pk_fma_f32 v[36:37], v[58:59], v[42:43], v[38:39] op_sel_hi:[1,0,1]
	v_pk_fma_f32 v[38:39], v[58:59], v[42:43], v[38:39] neg_lo:[0,0,1] neg_hi:[0,0,1]
	v_pk_add_f32 v[56:57], v[72:73], v[88:89]
	v_pk_fma_f32 v[72:73], v[60:61], v[44:45], v[94:95] op_sel_hi:[1,0,1]
	v_pk_mul_f32 v[78:79], v[80:81], v[96:97] op_sel_hi:[1,0]
	v_mov_b32_e32 v39, v37
	s_wait_loadcnt 0x2
	v_pk_mul_f32 v[74:75], v[64:65], v[48:49] op_sel:[1,1] op_sel_hi:[0,1]
	v_pk_add_f32 v[36:37], v[56:57], v[40:41]
	v_mov_b32_e32 v40, v51
	v_pk_fma_f32 v[42:43], v[60:61], v[44:45], v[94:95] neg_lo:[0,0,1] neg_hi:[0,0,1]
	v_mov_b32_e32 v43, v73
	v_pk_fma_f32 v[44:45], v[62:63], v[46:47], v[78:79] op_sel_hi:[1,0,1]
	v_pk_add_f32 v[36:37], v[36:37], v[38:39]
	v_pk_fma_f32 v[38:39], v[64:65], v[48:49], v[74:75] op_sel_hi:[1,0,1]
	v_pk_mul_f32 v[40:41], v[82:83], v[40:41] op_sel_hi:[1,0]
	v_pk_fma_f32 v[46:47], v[62:63], v[46:47], v[78:79] neg_lo:[0,0,1] neg_hi:[0,0,1]
	v_mov_b32_e32 v47, v45
	v_pk_add_f32 v[36:37], v[36:37], v[42:43]
	v_pk_fma_f32 v[44:45], v[64:65], v[48:49], v[74:75] neg_lo:[0,0,1] neg_hi:[0,0,1]
	v_mov_b32_e32 v45, v39
	v_pk_fma_f32 v[38:39], v[66:67], v[50:51], v[40:41] op_sel_hi:[1,0,1]
	s_wait_loadcnt 0x1
	v_pk_mul_f32 v[42:43], v[68:69], v[52:53] op_sel:[1,1] op_sel_hi:[0,1]
	v_pk_add_f32 v[36:37], v[36:37], v[46:47]
	v_mov_b32_e32 v38, v55
	v_pk_fma_f32 v[40:41], v[66:67], v[50:51], v[40:41] neg_lo:[0,0,1] neg_hi:[0,0,1]
	v_mov_b32_e32 v41, v39
	v_pk_fma_f32 v[46:47], v[68:69], v[52:53], v[42:43] op_sel_hi:[1,0,1]
	v_pk_add_f32 v[36:37], v[36:37], v[44:45]
	v_pk_mul_f32 v[38:39], v[84:85], v[38:39] op_sel_hi:[1,0]
	v_pk_fma_f32 v[42:43], v[68:69], v[52:53], v[42:43] neg_lo:[0,0,1] neg_hi:[0,0,1]
	s_delay_alu instid0(VALU_DEP_3) | instskip(NEXT) | instid1(VALU_DEP_3)
	v_pk_add_f32 v[36:37], v[36:37], v[40:41]
	v_pk_fma_f32 v[40:41], v[70:71], v[54:55], v[38:39] op_sel_hi:[1,0,1]
	v_mov_b32_e32 v43, v47
	v_pk_fma_f32 v[38:39], v[70:71], v[54:55], v[38:39] neg_lo:[0,0,1] neg_hi:[0,0,1]
	s_delay_alu instid0(VALU_DEP_3) | instskip(NEXT) | instid1(VALU_DEP_3)
	v_mov_b32_e32 v39, v41
	v_pk_add_f32 v[36:37], v[36:37], v[42:43]
	s_delay_alu instid0(VALU_DEP_1) | instskip(SKIP_1) | instid1(VALU_DEP_1)
	v_pk_add_f32 v[36:37], v[36:37], v[38:39]
	s_wait_loadcnt 0x0
	v_pk_add_f32 v[36:37], v[76:77], v[36:37] neg_lo:[0,1] neg_hi:[0,1]
	scratch_store_b64 off, v[36:37], off offset:48
	s_wait_xcnt 0x0
	v_cmpx_lt_u32_e32 5, v0
	s_cbranch_execz .LBB16_105
; %bb.104:
	scratch_load_b64 v[36:37], off, off offset:40
	v_mov_b64_e32 v[38:39], 0
	scratch_store_b64 off, v[38:39], off offset:40
	s_wait_loadcnt 0x0
	ds_store_b64 v1, v[36:37]
.LBB16_105:
	s_wait_xcnt 0x0
	s_or_b32 exec_lo, exec_lo, s0
	s_wait_storecnt_dscnt 0x0
	s_barrier_signal -1
	s_barrier_wait -1
	s_clause 0x6
	scratch_load_b128 v[36:39], off, off offset:48
	scratch_load_b128 v[40:43], off, off offset:64
	;; [unrolled: 1-line block ×5, first 2 shown]
	scratch_load_b64 v[76:77], off, off offset:128
	scratch_load_b64 v[78:79], off, off offset:40
	v_mov_b32_e32 v7, 0
	ds_load_b128 v[56:59], v7 offset:208
	ds_load_b128 v[60:63], v7 offset:224
	;; [unrolled: 1-line block ×5, first 2 shown]
	ds_load_b64 v[80:81], v7 offset:272
	s_mov_b32 s0, exec_lo
	s_wait_dscnt 0x5
	v_dual_mov_b32 v82, v59 :: v_dual_mov_b32 v83, v58
	s_wait_dscnt 0x2
	v_dual_mov_b32 v84, v63 :: v_dual_mov_b32 v89, v70
	v_dual_mov_b32 v85, v62 :: v_dual_mov_b32 v86, v67
	;; [unrolled: 1-line block ×3, first 2 shown]
	s_wait_loadcnt_dscnt 0x601
	v_dual_mul_f32 v9, v72, v37 :: v_dual_mul_f32 v11, v73, v37
	v_dual_mul_f32 v13, v75, v39 :: v_dual_mul_f32 v91, v74, v39
	s_wait_loadcnt 0x5
	v_dual_mul_f32 v93, v56, v41 :: v_dual_mul_f32 v15, v57, v41
	s_wait_loadcnt 0x4
	v_dual_mov_b32 v92, v43 :: v_dual_mov_b32 v96, v47
	v_dual_fmac_f32 v9, v73, v36 :: v_dual_fma_f32 v11, v72, v36, -v11
	v_dual_fma_f32 v90, v74, v38, -v13 :: v_dual_fmac_f32 v91, v75, v38
	s_delay_alu instid0(VALU_DEP_3) | instskip(NEXT) | instid1(VALU_DEP_3)
	v_pk_mul_f32 v[36:37], v[82:83], v[92:93] op_sel_hi:[1,0]
	v_dual_add_f32 v39, 0, v9 :: v_dual_add_f32 v38, 0, v11
	s_wait_loadcnt 0x3
	v_mov_b32_e32 v72, v51
	v_pk_mul_f32 v[94:95], v[60:61], v[44:45] op_sel:[1,1] op_sel_hi:[0,1]
	v_dual_fmac_f32 v93, v57, v40 :: v_dual_fma_f32 v92, v56, v40, -v15
	v_pk_fma_f32 v[40:41], v[58:59], v[42:43], v[36:37] op_sel_hi:[1,0,1]
	v_pk_add_f32 v[38:39], v[38:39], v[90:91]
	v_pk_fma_f32 v[36:37], v[58:59], v[42:43], v[36:37] neg_lo:[0,0,1] neg_hi:[0,0,1]
	v_pk_fma_f32 v[56:57], v[60:61], v[44:45], v[94:95] op_sel_hi:[1,0,1]
	v_pk_mul_f32 v[74:75], v[84:85], v[96:97] op_sel_hi:[1,0]
	v_mov_b32_e32 v37, v41
	v_pk_add_f32 v[38:39], v[38:39], v[92:93]
	v_pk_fma_f32 v[42:43], v[60:61], v[44:45], v[94:95] neg_lo:[0,0,1] neg_hi:[0,0,1]
	v_pk_mul_f32 v[98:99], v[64:65], v[48:49] op_sel:[1,1] op_sel_hi:[0,1]
	v_mov_b32_e32 v43, v57
	v_pk_fma_f32 v[44:45], v[62:63], v[46:47], v[74:75] op_sel_hi:[1,0,1]
	v_pk_add_f32 v[36:37], v[38:39], v[36:37]
	v_pk_fma_f32 v[46:47], v[62:63], v[46:47], v[74:75] neg_lo:[0,0,1] neg_hi:[0,0,1]
	v_pk_fma_f32 v[38:39], v[64:65], v[48:49], v[98:99] op_sel_hi:[1,0,1]
	v_pk_mul_f32 v[56:57], v[86:87], v[72:73] op_sel_hi:[1,0]
	s_wait_loadcnt 0x2
	v_dual_mov_b32 v47, v45 :: v_dual_mov_b32 v38, v55
	v_pk_add_f32 v[36:37], v[36:37], v[42:43]
	v_pk_fma_f32 v[42:43], v[64:65], v[48:49], v[98:99] neg_lo:[0,0,1] neg_hi:[0,0,1]
	v_pk_mul_f32 v[40:41], v[68:69], v[52:53] op_sel:[1,1] op_sel_hi:[0,1]
	v_pk_fma_f32 v[44:45], v[66:67], v[50:51], v[56:57] op_sel_hi:[1,0,1]
	v_mov_b32_e32 v43, v39
	v_pk_add_f32 v[36:37], v[36:37], v[46:47]
	v_pk_fma_f32 v[48:49], v[66:67], v[50:51], v[56:57] neg_lo:[0,0,1] neg_hi:[0,0,1]
	v_pk_fma_f32 v[46:47], v[68:69], v[52:53], v[40:41] op_sel_hi:[1,0,1]
	v_pk_mul_f32 v[38:39], v[88:89], v[38:39] op_sel_hi:[1,0]
	v_mov_b32_e32 v49, v45
	v_pk_add_f32 v[36:37], v[36:37], v[42:43]
	v_pk_fma_f32 v[40:41], v[68:69], v[52:53], v[40:41] neg_lo:[0,0,1] neg_hi:[0,0,1]
	s_wait_loadcnt_dscnt 0x100
	v_pk_mul_f32 v[44:45], v[80:81], v[76:77] op_sel:[1,1] op_sel_hi:[0,1]
	v_pk_fma_f32 v[42:43], v[70:71], v[54:55], v[38:39] op_sel_hi:[1,0,1]
	v_mov_b32_e32 v41, v47
	v_pk_add_f32 v[36:37], v[36:37], v[48:49]
	v_pk_fma_f32 v[38:39], v[70:71], v[54:55], v[38:39] neg_lo:[0,0,1] neg_hi:[0,0,1]
	s_delay_alu instid0(VALU_DEP_4) | instskip(SKIP_1) | instid1(VALU_DEP_4)
	v_mov_b32_e32 v39, v43
	v_pk_fma_f32 v[42:43], v[80:81], v[76:77], v[44:45] neg_lo:[0,0,1] neg_hi:[0,0,1]
	v_pk_add_f32 v[36:37], v[36:37], v[40:41]
	v_pk_fma_f32 v[40:41], v[80:81], v[76:77], v[44:45] op_sel_hi:[1,0,1]
	s_delay_alu instid0(VALU_DEP_2) | instskip(NEXT) | instid1(VALU_DEP_2)
	v_pk_add_f32 v[36:37], v[36:37], v[38:39]
	v_mov_b32_e32 v43, v41
	s_delay_alu instid0(VALU_DEP_1) | instskip(SKIP_1) | instid1(VALU_DEP_1)
	v_pk_add_f32 v[36:37], v[36:37], v[42:43]
	s_wait_loadcnt 0x0
	v_pk_add_f32 v[36:37], v[78:79], v[36:37] neg_lo:[0,1] neg_hi:[0,1]
	scratch_store_b64 off, v[36:37], off offset:40
	s_wait_xcnt 0x0
	v_cmpx_lt_u32_e32 4, v0
	s_cbranch_execz .LBB16_107
; %bb.106:
	scratch_load_b64 v[36:37], off, off offset:32
	v_mov_b64_e32 v[38:39], 0
	scratch_store_b64 off, v[38:39], off offset:32
	s_wait_loadcnt 0x0
	ds_store_b64 v1, v[36:37]
.LBB16_107:
	s_wait_xcnt 0x0
	s_or_b32 exec_lo, exec_lo, s0
	s_wait_storecnt_dscnt 0x0
	s_barrier_signal -1
	s_barrier_wait -1
	s_clause 0x6
	scratch_load_b128 v[36:39], off, off offset:40
	scratch_load_b128 v[40:43], off, off offset:56
	scratch_load_b128 v[44:47], off, off offset:72
	scratch_load_b128 v[48:51], off, off offset:88
	scratch_load_b128 v[52:55], off, off offset:104
	scratch_load_b128 v[56:59], off, off offset:120
	scratch_load_b64 v[84:85], off, off offset:32
	ds_load_2addr_b64 v[60:63], v7 offset0:27 offset1:28
	ds_load_2addr_b64 v[64:67], v7 offset0:29 offset1:30
	ds_load_2addr_b64 v[68:71], v7 offset0:31 offset1:32
	ds_load_2addr_b64 v[72:75], v7 offset0:33 offset1:34
	ds_load_2addr_b64 v[76:79], v7 offset0:23 offset1:24
	ds_load_2addr_b64 v[80:83], v7 offset0:25 offset1:26
	s_mov_b32 s0, exec_lo
	s_wait_dscnt 0x5
	v_dual_mov_b32 v86, v63 :: v_dual_mov_b32 v87, v62
	s_wait_dscnt 0x4
	v_dual_mov_b32 v88, v67 :: v_dual_mov_b32 v89, v66
	;; [unrolled: 2-line block ×4, first 2 shown]
	s_wait_loadcnt_dscnt 0x601
	v_dual_mul_f32 v7, v76, v37 :: v_dual_mul_f32 v9, v78, v39
	v_dual_mul_f32 v11, v77, v37 :: v_dual_mul_f32 v13, v79, v39
	s_wait_loadcnt 0x4
	s_delay_alu instid0(VALU_DEP_2)
	v_dual_mov_b32 v100, v47 :: v_dual_fmac_f32 v7, v77, v36
	s_wait_dscnt 0x0
	v_dual_mul_f32 v95, v80, v41 :: v_dual_mul_f32 v97, v82, v43
	v_dual_fma_f32 v11, v76, v36, -v11 :: v_dual_fmac_f32 v9, v79, v38
	v_dual_mul_f32 v15, v81, v41 :: v_dual_mul_f32 v17, v83, v43
	v_dual_fma_f32 v13, v78, v38, -v13 :: v_dual_add_f32 v7, 0, v7
	s_wait_loadcnt 0x3
	s_delay_alu instid0(VALU_DEP_3) | instskip(SKIP_3) | instid1(VALU_DEP_4)
	v_dual_add_f32 v11, 0, v11 :: v_dual_mov_b32 v38, v51
	v_pk_mul_f32 v[98:99], v[60:61], v[44:45] op_sel:[1,1] op_sel_hi:[0,1]
	v_pk_mul_f32 v[36:37], v[64:65], v[48:49] op_sel:[1,1] op_sel_hi:[0,1]
	v_dual_fmac_f32 v95, v81, v40 :: v_dual_add_f32 v41, v7, v9
	v_dual_fma_f32 v94, v80, v40, -v15 :: v_dual_add_f32 v40, v11, v13
	v_fmac_f32_e32 v97, v83, v42
	v_fma_f32 v96, v82, v42, -v17
	v_pk_fma_f32 v[42:43], v[60:61], v[44:45], v[98:99] op_sel_hi:[1,0,1]
	v_pk_mul_f32 v[76:77], v[86:87], v[100:101] op_sel_hi:[1,0]
	v_pk_add_f32 v[40:41], v[40:41], v[94:95]
	v_pk_fma_f32 v[44:45], v[60:61], v[44:45], v[98:99] neg_lo:[0,0,1] neg_hi:[0,0,1]
	v_pk_fma_f32 v[60:61], v[64:65], v[48:49], v[36:37] op_sel_hi:[1,0,1]
	v_pk_fma_f32 v[36:37], v[64:65], v[48:49], v[36:37] neg_lo:[0,0,1] neg_hi:[0,0,1]
	v_mov_b32_e32 v45, v43
	v_pk_fma_f32 v[42:43], v[62:63], v[46:47], v[76:77] op_sel_hi:[1,0,1]
	v_pk_fma_f32 v[46:47], v[62:63], v[46:47], v[76:77] neg_lo:[0,0,1] neg_hi:[0,0,1]
	v_mov_b32_e32 v37, v61
	v_pk_add_f32 v[40:41], v[40:41], v[96:97]
	v_pk_mul_f32 v[38:39], v[88:89], v[38:39] op_sel_hi:[1,0]
	s_wait_loadcnt 0x2
	v_dual_mov_b32 v47, v43 :: v_dual_mov_b32 v42, v55
	v_pk_mul_f32 v[78:79], v[68:69], v[52:53] op_sel:[1,1] op_sel_hi:[0,1]
	v_pk_add_f32 v[40:41], v[40:41], v[44:45]
	v_pk_fma_f32 v[44:45], v[66:67], v[50:51], v[38:39] op_sel_hi:[1,0,1]
	v_pk_fma_f32 v[38:39], v[66:67], v[50:51], v[38:39] neg_lo:[0,0,1] neg_hi:[0,0,1]
	v_pk_mul_f32 v[42:43], v[90:91], v[42:43] op_sel_hi:[1,0]
	s_delay_alu instid0(VALU_DEP_4) | instskip(SKIP_3) | instid1(VALU_DEP_4)
	v_pk_add_f32 v[40:41], v[40:41], v[46:47]
	v_pk_fma_f32 v[46:47], v[68:69], v[52:53], v[78:79] op_sel_hi:[1,0,1]
	v_mov_b32_e32 v39, v45
	v_pk_fma_f32 v[44:45], v[68:69], v[52:53], v[78:79] neg_lo:[0,0,1] neg_hi:[0,0,1]
	v_pk_add_f32 v[36:37], v[40:41], v[36:37]
	s_wait_loadcnt 0x1
	v_pk_mul_f32 v[40:41], v[72:73], v[56:57] op_sel:[1,1] op_sel_hi:[0,1]
	v_mov_b32_e32 v45, v47
	v_pk_fma_f32 v[46:47], v[70:71], v[54:55], v[42:43] op_sel_hi:[1,0,1]
	v_pk_fma_f32 v[42:43], v[70:71], v[54:55], v[42:43] neg_lo:[0,0,1] neg_hi:[0,0,1]
	v_pk_add_f32 v[36:37], v[36:37], v[38:39]
	v_mov_b32_e32 v38, v59
	v_pk_fma_f32 v[48:49], v[72:73], v[56:57], v[40:41] op_sel_hi:[1,0,1]
	v_mov_b32_e32 v43, v47
	v_pk_fma_f32 v[40:41], v[72:73], v[56:57], v[40:41] neg_lo:[0,0,1] neg_hi:[0,0,1]
	v_pk_add_f32 v[36:37], v[36:37], v[44:45]
	v_pk_mul_f32 v[38:39], v[92:93], v[38:39] op_sel_hi:[1,0]
	s_delay_alu instid0(VALU_DEP_2) | instskip(NEXT) | instid1(VALU_DEP_2)
	v_pk_add_f32 v[36:37], v[36:37], v[42:43]
	v_pk_fma_f32 v[42:43], v[74:75], v[58:59], v[38:39] op_sel_hi:[1,0,1]
	v_mov_b32_e32 v41, v49
	v_pk_fma_f32 v[38:39], v[74:75], v[58:59], v[38:39] neg_lo:[0,0,1] neg_hi:[0,0,1]
	s_delay_alu instid0(VALU_DEP_3) | instskip(NEXT) | instid1(VALU_DEP_3)
	v_mov_b32_e32 v39, v43
	v_pk_add_f32 v[36:37], v[36:37], v[40:41]
	s_delay_alu instid0(VALU_DEP_1) | instskip(SKIP_1) | instid1(VALU_DEP_1)
	v_pk_add_f32 v[36:37], v[36:37], v[38:39]
	s_wait_loadcnt 0x0
	v_pk_add_f32 v[36:37], v[84:85], v[36:37] neg_lo:[0,1] neg_hi:[0,1]
	scratch_store_b64 off, v[36:37], off offset:32
	s_wait_xcnt 0x0
	v_cmpx_lt_u32_e32 3, v0
	s_cbranch_execz .LBB16_109
; %bb.108:
	scratch_load_b64 v[36:37], off, off offset:24
	v_mov_b64_e32 v[38:39], 0
	scratch_store_b64 off, v[38:39], off offset:24
	s_wait_loadcnt 0x0
	ds_store_b64 v1, v[36:37]
.LBB16_109:
	s_wait_xcnt 0x0
	s_or_b32 exec_lo, exec_lo, s0
	s_wait_storecnt_dscnt 0x0
	s_barrier_signal -1
	s_barrier_wait -1
	s_clause 0x7
	scratch_load_b128 v[36:39], off, off offset:32
	scratch_load_b128 v[40:43], off, off offset:48
	;; [unrolled: 1-line block ×6, first 2 shown]
	scratch_load_b64 v[84:85], off, off offset:128
	scratch_load_b64 v[86:87], off, off offset:24
	v_mov_b32_e32 v7, 0
	ds_load_b128 v[60:63], v7 offset:208
	ds_load_b128 v[64:67], v7 offset:224
	;; [unrolled: 1-line block ×6, first 2 shown]
	ds_load_b64 v[88:89], v7 offset:272
	s_mov_b32 s0, exec_lo
	s_wait_dscnt 0x6
	v_dual_mov_b32 v90, v63 :: v_dual_mov_b32 v91, v62
	s_wait_dscnt 0x3
	v_dual_mov_b32 v92, v67 :: v_dual_mov_b32 v97, v74
	v_dual_mov_b32 v93, v66 :: v_dual_mov_b32 v94, v71
	;; [unrolled: 1-line block ×3, first 2 shown]
	s_wait_loadcnt_dscnt 0x702
	v_dual_mul_f32 v9, v76, v37 :: v_dual_mul_f32 v15, v77, v37
	v_dual_mul_f32 v17, v79, v39 :: v_dual_mul_f32 v11, v78, v39
	s_wait_loadcnt_dscnt 0x601
	s_delay_alu instid0(VALU_DEP_2) | instskip(NEXT) | instid1(VALU_DEP_3)
	v_dual_mul_f32 v13, v80, v41 :: v_dual_fmac_f32 v9, v77, v36
	v_dual_fma_f32 v15, v76, v36, -v15 :: v_dual_mul_f32 v19, v81, v41
	v_mul_f32_e32 v21, v83, v43
	s_wait_loadcnt 0x4
	v_dual_mov_b32 v36, v51 :: v_dual_fma_f32 v17, v78, v38, -v17
	v_dual_fmac_f32 v11, v79, v38 :: v_dual_add_f32 v9, 0, v9
	v_dual_add_f32 v15, 0, v15 :: v_dual_fmac_f32 v13, v81, v40
	v_dual_mul_f32 v99, v82, v43 :: v_dual_mul_f32 v101, v60, v45
	v_dual_mul_f32 v23, v61, v45 :: v_dual_mov_b32 v100, v47
	s_delay_alu instid0(VALU_DEP_4) | instskip(NEXT) | instid1(VALU_DEP_4)
	v_dual_fma_f32 v19, v80, v40, -v19 :: v_dual_add_f32 v9, v9, v11
	v_dual_add_f32 v11, v15, v17 :: v_dual_fma_f32 v98, v82, v42, -v21
	s_delay_alu instid0(VALU_DEP_4) | instskip(NEXT) | instid1(VALU_DEP_4)
	v_fmac_f32_e32 v99, v83, v42
	v_pk_mul_f32 v[40:41], v[90:91], v[100:101] op_sel_hi:[1,0]
	s_delay_alu instid0(VALU_DEP_3)
	v_dual_add_f32 v43, v9, v13 :: v_dual_add_f32 v42, v11, v19
	v_fmac_f32_e32 v101, v61, v44
	v_pk_mul_f32 v[102:103], v[64:65], v[48:49] op_sel:[1,1] op_sel_hi:[0,1]
	s_wait_loadcnt 0x3
	v_dual_mov_b32 v76, v55 :: v_dual_fma_f32 v100, v60, v44, -v23
	v_pk_fma_f32 v[44:45], v[62:63], v[46:47], v[40:41] op_sel_hi:[1,0,1]
	v_pk_add_f32 v[42:43], v[42:43], v[98:99]
	v_pk_fma_f32 v[40:41], v[62:63], v[46:47], v[40:41] neg_lo:[0,0,1] neg_hi:[0,0,1]
	v_pk_fma_f32 v[60:61], v[64:65], v[48:49], v[102:103] op_sel_hi:[1,0,1]
	v_pk_mul_f32 v[36:37], v[92:93], v[36:37] op_sel_hi:[1,0]
	v_mov_b32_e32 v41, v45
	v_pk_add_f32 v[42:43], v[42:43], v[100:101]
	v_pk_fma_f32 v[46:47], v[64:65], v[48:49], v[102:103] neg_lo:[0,0,1] neg_hi:[0,0,1]
	v_pk_mul_f32 v[38:39], v[68:69], v[52:53] op_sel:[1,1] op_sel_hi:[0,1]
	v_mov_b32_e32 v47, v61
	v_pk_fma_f32 v[48:49], v[66:67], v[50:51], v[36:37] op_sel_hi:[1,0,1]
	v_pk_add_f32 v[40:41], v[42:43], v[40:41]
	v_pk_fma_f32 v[36:37], v[66:67], v[50:51], v[36:37] neg_lo:[0,0,1] neg_hi:[0,0,1]
	v_pk_fma_f32 v[42:43], v[68:69], v[52:53], v[38:39] op_sel_hi:[1,0,1]
	v_pk_mul_f32 v[60:61], v[94:95], v[76:77] op_sel_hi:[1,0]
	s_wait_loadcnt 0x2
	v_dual_mov_b32 v37, v49 :: v_dual_mov_b32 v42, v59
	v_pk_add_f32 v[40:41], v[40:41], v[46:47]
	v_pk_fma_f32 v[38:39], v[68:69], v[52:53], v[38:39] neg_lo:[0,0,1] neg_hi:[0,0,1]
	v_pk_mul_f32 v[44:45], v[72:73], v[56:57] op_sel:[1,1] op_sel_hi:[0,1]
	v_pk_fma_f32 v[46:47], v[70:71], v[54:55], v[60:61] op_sel_hi:[1,0,1]
	v_mov_b32_e32 v39, v43
	v_pk_add_f32 v[36:37], v[40:41], v[36:37]
	v_pk_fma_f32 v[48:49], v[70:71], v[54:55], v[60:61] neg_lo:[0,0,1] neg_hi:[0,0,1]
	v_pk_fma_f32 v[40:41], v[72:73], v[56:57], v[44:45] op_sel_hi:[1,0,1]
	v_pk_mul_f32 v[42:43], v[96:97], v[42:43] op_sel_hi:[1,0]
	v_mov_b32_e32 v49, v47
	v_pk_add_f32 v[36:37], v[36:37], v[38:39]
	v_pk_fma_f32 v[38:39], v[72:73], v[56:57], v[44:45] neg_lo:[0,0,1] neg_hi:[0,0,1]
	v_mov_b32_e32 v39, v41
	v_pk_fma_f32 v[40:41], v[74:75], v[58:59], v[42:43] op_sel_hi:[1,0,1]
	s_wait_loadcnt_dscnt 0x100
	v_pk_mul_f32 v[44:45], v[88:89], v[84:85] op_sel:[1,1] op_sel_hi:[0,1]
	v_pk_add_f32 v[36:37], v[36:37], v[48:49]
	v_pk_fma_f32 v[42:43], v[74:75], v[58:59], v[42:43] neg_lo:[0,0,1] neg_hi:[0,0,1]
	v_mov_b32_e32 v43, v41
	s_delay_alu instid0(VALU_DEP_4) | instskip(NEXT) | instid1(VALU_DEP_4)
	v_pk_fma_f32 v[40:41], v[88:89], v[84:85], v[44:45] neg_lo:[0,0,1] neg_hi:[0,0,1]
	v_pk_add_f32 v[36:37], v[36:37], v[38:39]
	v_pk_fma_f32 v[38:39], v[88:89], v[84:85], v[44:45] op_sel_hi:[1,0,1]
	s_delay_alu instid0(VALU_DEP_2) | instskip(NEXT) | instid1(VALU_DEP_2)
	v_pk_add_f32 v[36:37], v[36:37], v[42:43]
	v_mov_b32_e32 v41, v39
	s_delay_alu instid0(VALU_DEP_1) | instskip(SKIP_1) | instid1(VALU_DEP_1)
	v_pk_add_f32 v[36:37], v[36:37], v[40:41]
	s_wait_loadcnt 0x0
	v_pk_add_f32 v[36:37], v[86:87], v[36:37] neg_lo:[0,1] neg_hi:[0,1]
	scratch_store_b64 off, v[36:37], off offset:24
	s_wait_xcnt 0x0
	v_cmpx_lt_u32_e32 2, v0
	s_cbranch_execz .LBB16_111
; %bb.110:
	scratch_load_b64 v[36:37], off, off offset:16
	v_mov_b64_e32 v[38:39], 0
	scratch_store_b64 off, v[38:39], off offset:16
	s_wait_loadcnt 0x0
	ds_store_b64 v1, v[36:37]
.LBB16_111:
	s_wait_xcnt 0x0
	s_or_b32 exec_lo, exec_lo, s0
	s_wait_storecnt_dscnt 0x0
	s_barrier_signal -1
	s_barrier_wait -1
	s_clause 0x7
	scratch_load_b128 v[36:39], off, off offset:24
	scratch_load_b128 v[40:43], off, off offset:40
	;; [unrolled: 1-line block ×7, first 2 shown]
	scratch_load_b64 v[92:93], off, off offset:16
	ds_load_2addr_b64 v[64:67], v7 offset0:27 offset1:28
	ds_load_2addr_b64 v[68:71], v7 offset0:29 offset1:30
	;; [unrolled: 1-line block ×7, first 2 shown]
	s_mov_b32 s0, exec_lo
	s_wait_dscnt 0x6
	v_dual_mov_b32 v94, v67 :: v_dual_mov_b32 v95, v66
	s_wait_dscnt 0x5
	v_dual_mov_b32 v96, v71 :: v_dual_mov_b32 v97, v70
	;; [unrolled: 2-line block ×4, first 2 shown]
	s_wait_loadcnt_dscnt 0x702
	v_dual_mul_f32 v7, v80, v37 :: v_dual_mul_f32 v9, v82, v39
	v_dual_mul_f32 v15, v81, v37 :: v_dual_mul_f32 v17, v83, v39
	s_wait_loadcnt_dscnt 0x601
	v_dual_mul_f32 v11, v84, v41 :: v_dual_mul_f32 v13, v86, v43
	s_delay_alu instid0(VALU_DEP_3) | instskip(NEXT) | instid1(VALU_DEP_3)
	v_dual_fmac_f32 v7, v81, v36 :: v_dual_fmac_f32 v9, v83, v38
	v_dual_fma_f32 v15, v80, v36, -v15 :: v_dual_fma_f32 v17, v82, v38, -v17
	v_dual_mul_f32 v19, v85, v41 :: v_dual_mul_f32 v21, v87, v43
	s_wait_loadcnt 0x4
	s_delay_alu instid0(VALU_DEP_3) | instskip(NEXT) | instid1(VALU_DEP_3)
	v_dual_add_f32 v7, 0, v7 :: v_dual_mov_b32 v38, v51
	v_dual_add_f32 v15, 0, v15 :: v_dual_fmac_f32 v11, v85, v40
	s_delay_alu instid0(VALU_DEP_2) | instskip(SKIP_2) | instid1(VALU_DEP_3)
	v_dual_fma_f32 v19, v84, v40, -v19 :: v_dual_add_f32 v7, v7, v9
	s_wait_dscnt 0x0
	v_dual_mul_f32 v103, v88, v45 :: v_dual_mul_f32 v105, v90, v47
	v_dual_add_f32 v9, v15, v17 :: v_dual_fma_f32 v15, v86, v42, -v21
	v_dual_mul_f32 v23, v89, v45 :: v_dual_mul_f32 v25, v91, v47
	s_delay_alu instid0(VALU_DEP_2) | instskip(NEXT) | instid1(VALU_DEP_4)
	v_dual_fmac_f32 v13, v87, v42 :: v_dual_add_f32 v9, v9, v19
	v_dual_add_f32 v7, v7, v11 :: v_dual_fmac_f32 v103, v89, v44
	v_pk_mul_f32 v[36:37], v[64:65], v[48:49] op_sel:[1,1] op_sel_hi:[0,1]
	s_wait_loadcnt 0x3
	v_pk_mul_f32 v[40:41], v[68:69], v[52:53] op_sel:[1,1] op_sel_hi:[0,1]
	v_dual_mov_b32 v42, v55 :: v_dual_fma_f32 v102, v88, v44, -v23
	v_dual_add_f32 v45, v7, v13 :: v_dual_add_f32 v44, v9, v15
	v_fmac_f32_e32 v105, v91, v46
	v_fma_f32 v104, v90, v46, -v25
	v_pk_fma_f32 v[46:47], v[64:65], v[48:49], v[36:37] op_sel_hi:[1,0,1]
	v_pk_mul_f32 v[38:39], v[94:95], v[38:39] op_sel_hi:[1,0]
	v_pk_add_f32 v[44:45], v[44:45], v[102:103]
	v_pk_fma_f32 v[36:37], v[64:65], v[48:49], v[36:37] neg_lo:[0,0,1] neg_hi:[0,0,1]
	v_pk_fma_f32 v[48:49], v[68:69], v[52:53], v[40:41] op_sel_hi:[1,0,1]
	v_pk_fma_f32 v[40:41], v[68:69], v[52:53], v[40:41] neg_lo:[0,0,1] neg_hi:[0,0,1]
	v_mov_b32_e32 v37, v47
	v_pk_fma_f32 v[46:47], v[66:67], v[50:51], v[38:39] op_sel_hi:[1,0,1]
	v_pk_fma_f32 v[38:39], v[66:67], v[50:51], v[38:39] neg_lo:[0,0,1] neg_hi:[0,0,1]
	v_mov_b32_e32 v41, v49
	v_pk_add_f32 v[44:45], v[44:45], v[104:105]
	v_pk_mul_f32 v[42:43], v[96:97], v[42:43] op_sel_hi:[1,0]
	v_mov_b32_e32 v39, v47
	s_wait_loadcnt 0x2
	v_pk_mul_f32 v[80:81], v[72:73], v[56:57] op_sel:[1,1] op_sel_hi:[0,1]
	v_pk_add_f32 v[36:37], v[44:45], v[36:37]
	v_mov_b32_e32 v44, v59
	v_pk_fma_f32 v[46:47], v[70:71], v[54:55], v[42:43] op_sel_hi:[1,0,1]
	v_pk_fma_f32 v[42:43], v[70:71], v[54:55], v[42:43] neg_lo:[0,0,1] neg_hi:[0,0,1]
	s_delay_alu instid0(VALU_DEP_4)
	v_pk_add_f32 v[36:37], v[36:37], v[38:39]
	v_pk_fma_f32 v[38:39], v[72:73], v[56:57], v[80:81] op_sel_hi:[1,0,1]
	v_pk_mul_f32 v[44:45], v[98:99], v[44:45] op_sel_hi:[1,0]
	v_mov_b32_e32 v43, v47
	v_pk_fma_f32 v[46:47], v[72:73], v[56:57], v[80:81] neg_lo:[0,0,1] neg_hi:[0,0,1]
	v_pk_add_f32 v[36:37], v[36:37], v[40:41]
	v_mov_b32_e32 v47, v39
	v_pk_fma_f32 v[38:39], v[74:75], v[58:59], v[44:45] op_sel_hi:[1,0,1]
	s_wait_loadcnt 0x1
	v_pk_mul_f32 v[40:41], v[76:77], v[60:61] op_sel:[1,1] op_sel_hi:[0,1]
	v_mov_b32_e32 v38, v63
	v_pk_add_f32 v[36:37], v[36:37], v[42:43]
	v_pk_fma_f32 v[44:45], v[74:75], v[58:59], v[44:45] neg_lo:[0,0,1] neg_hi:[0,0,1]
	v_mov_b32_e32 v45, v39
	v_pk_fma_f32 v[42:43], v[76:77], v[60:61], v[40:41] op_sel_hi:[1,0,1]
	v_pk_mul_f32 v[38:39], v[100:101], v[38:39] op_sel_hi:[1,0]
	v_pk_add_f32 v[36:37], v[36:37], v[46:47]
	v_pk_fma_f32 v[40:41], v[76:77], v[60:61], v[40:41] neg_lo:[0,0,1] neg_hi:[0,0,1]
	s_delay_alu instid0(VALU_DEP_4) | instskip(NEXT) | instid1(VALU_DEP_4)
	v_mov_b32_e32 v41, v43
	v_pk_fma_f32 v[42:43], v[78:79], v[62:63], v[38:39] op_sel_hi:[1,0,1]
	s_delay_alu instid0(VALU_DEP_4) | instskip(SKIP_1) | instid1(VALU_DEP_3)
	v_pk_add_f32 v[36:37], v[36:37], v[44:45]
	v_pk_fma_f32 v[38:39], v[78:79], v[62:63], v[38:39] neg_lo:[0,0,1] neg_hi:[0,0,1]
	v_mov_b32_e32 v39, v43
	s_delay_alu instid0(VALU_DEP_3) | instskip(NEXT) | instid1(VALU_DEP_1)
	v_pk_add_f32 v[36:37], v[36:37], v[40:41]
	v_pk_add_f32 v[36:37], v[36:37], v[38:39]
	s_wait_loadcnt 0x0
	s_delay_alu instid0(VALU_DEP_1)
	v_pk_add_f32 v[36:37], v[92:93], v[36:37] neg_lo:[0,1] neg_hi:[0,1]
	scratch_store_b64 off, v[36:37], off offset:16
	s_wait_xcnt 0x0
	v_cmpx_lt_u32_e32 1, v0
	s_cbranch_execz .LBB16_113
; %bb.112:
	scratch_load_b64 v[36:37], off, off offset:8
	v_mov_b64_e32 v[38:39], 0
	scratch_store_b64 off, v[38:39], off offset:8
	s_wait_loadcnt 0x0
	ds_store_b64 v1, v[36:37]
.LBB16_113:
	s_wait_xcnt 0x0
	s_or_b32 exec_lo, exec_lo, s0
	s_wait_storecnt_dscnt 0x0
	s_barrier_signal -1
	s_barrier_wait -1
	s_clause 0x8
	scratch_load_b128 v[38:41], off, off offset:16
	scratch_load_b128 v[42:45], off, off offset:32
	;; [unrolled: 1-line block ×7, first 2 shown]
	scratch_load_b64 v[94:95], off, off offset:128
	scratch_load_b64 v[96:97], off, off offset:8
	v_dual_mov_b32 v36, 0 :: v_dual_ashrrev_i32 v7, 31, v6
	ds_load_b128 v[66:69], v36 offset:208
	ds_load_b128 v[70:73], v36 offset:224
	;; [unrolled: 1-line block ×7, first 2 shown]
	ds_load_b64 v[98:99], v36 offset:272
	v_dual_ashrrev_i32 v9, 31, v8 :: v_dual_ashrrev_i32 v11, 31, v10
	s_mov_b32 s0, exec_lo
	s_wait_dscnt 0x7
	v_dual_mov_b32 v100, v69 :: v_dual_mov_b32 v101, v68
	s_wait_dscnt 0x6
	v_dual_mov_b32 v102, v73 :: v_dual_mov_b32 v103, v72
	;; [unrolled: 2-line block ×4, first 2 shown]
	s_wait_loadcnt_dscnt 0x803
	v_dual_mul_f32 v13, v82, v39 :: v_dual_mul_f32 v15, v84, v41
	v_dual_mul_f32 v21, v83, v39 :: v_dual_mul_f32 v23, v85, v41
	s_wait_loadcnt_dscnt 0x702
	v_dual_mul_f32 v17, v86, v43 :: v_dual_mul_f32 v19, v88, v45
	s_delay_alu instid0(VALU_DEP_3) | instskip(NEXT) | instid1(VALU_DEP_3)
	v_fmac_f32_e32 v13, v83, v38
	v_dual_fma_f32 v21, v82, v38, -v21 :: v_dual_fmac_f32 v15, v85, v40
	v_dual_mul_f32 v25, v87, v43 :: v_dual_mul_f32 v27, v89, v45
	s_wait_loadcnt 0x5
	v_dual_mov_b32 v82, v53 :: v_dual_fma_f32 v23, v84, v40, -v23
	v_add_f32_e32 v13, 0, v13
	v_dual_add_f32 v21, 0, v21 :: v_dual_fmac_f32 v17, v87, v42
	s_wait_dscnt 0x1
	v_dual_fma_f32 v25, v86, v42, -v25 :: v_dual_mul_f32 v29, v93, v49
	v_mul_f32_e32 v31, v90, v47
	v_add_f32_e32 v13, v13, v15
	v_dual_add_f32 v15, v21, v23 :: v_dual_fma_f32 v21, v88, v44, -v27
	v_dual_mul_f32 v39, v92, v49 :: v_dual_mul_f32 v33, v91, v47
	s_wait_loadcnt 0x4
	s_delay_alu instid0(VALU_DEP_2) | instskip(SKIP_2) | instid1(VALU_DEP_3)
	v_dual_mov_b32 v42, v57 :: v_dual_add_f32 v15, v15, v25
	v_fmac_f32_e32 v19, v89, v44
	v_dual_add_f32 v13, v13, v17 :: v_dual_fmac_f32 v31, v91, v46
	v_dual_fma_f32 v17, v90, v46, -v33 :: v_dual_add_f32 v15, v15, v21
	v_dual_mul_f32 v41, v66, v51 :: v_dual_mul_f32 v35, v67, v51
	s_delay_alu instid0(VALU_DEP_3) | instskip(SKIP_3) | instid1(VALU_DEP_4)
	v_add_f32_e32 v13, v13, v19
	v_pk_mul_f32 v[84:85], v[70:71], v[54:55] op_sel:[1,1] op_sel_hi:[0,1]
	v_dual_fma_f32 v38, v92, v48, -v29 :: v_dual_fmac_f32 v39, v93, v48
	v_pk_mul_f32 v[46:47], v[100:101], v[82:83] op_sel_hi:[1,0]
	v_dual_add_f32 v49, v13, v31 :: v_dual_add_f32 v48, v15, v17
	s_wait_loadcnt 0x3
	v_dual_mov_b32 v82, v61 :: v_dual_fma_f32 v40, v66, v50, -v35
	v_pk_mul_f32 v[42:43], v[102:103], v[42:43] op_sel_hi:[1,0]
	v_pk_mul_f32 v[44:45], v[74:75], v[58:59] op_sel:[1,1] op_sel_hi:[0,1]
	v_pk_add_f32 v[38:39], v[48:49], v[38:39]
	v_pk_fma_f32 v[48:49], v[70:71], v[54:55], v[84:85] op_sel_hi:[1,0,1]
	v_fmac_f32_e32 v41, v67, v50
	v_pk_fma_f32 v[50:51], v[68:69], v[52:53], v[46:47] op_sel_hi:[1,0,1]
	v_pk_fma_f32 v[46:47], v[68:69], v[52:53], v[46:47] neg_lo:[0,0,1] neg_hi:[0,0,1]
	v_pk_mul_f32 v[52:53], v[104:105], v[82:83] op_sel_hi:[1,0]
	v_ashrrev_i32_e32 v13, 31, v12
	v_dual_ashrrev_i32 v21, 31, v20 :: v_dual_ashrrev_i32 v23, 31, v22
	v_mov_b32_e32 v47, v51
	v_pk_fma_f32 v[50:51], v[70:71], v[54:55], v[84:85] neg_lo:[0,0,1] neg_hi:[0,0,1]
	v_mov_b32_e32 v51, v49
	v_pk_add_f32 v[38:39], v[38:39], v[40:41]
	v_pk_fma_f32 v[48:49], v[72:73], v[56:57], v[42:43] op_sel_hi:[1,0,1]
	v_pk_fma_f32 v[42:43], v[72:73], v[56:57], v[42:43] neg_lo:[0,0,1] neg_hi:[0,0,1]
	s_wait_loadcnt 0x2
	v_pk_mul_f32 v[40:41], v[78:79], v[62:63] op_sel:[1,1] op_sel_hi:[0,1]
	v_dual_ashrrev_i32 v15, 31, v14 :: v_dual_ashrrev_i32 v25, 31, v24
	v_dual_ashrrev_i32 v27, 31, v26 :: v_dual_mov_b32 v43, v49
	v_pk_add_f32 v[38:39], v[38:39], v[46:47]
	v_pk_fma_f32 v[46:47], v[74:75], v[58:59], v[44:45] op_sel_hi:[1,0,1]
	v_pk_fma_f32 v[44:45], v[74:75], v[58:59], v[44:45] neg_lo:[0,0,1] neg_hi:[0,0,1]
	v_mov_b32_e32 v46, v65
	v_pk_fma_f32 v[48:49], v[76:77], v[60:61], v[52:53] op_sel_hi:[1,0,1]
	v_pk_add_f32 v[38:39], v[38:39], v[50:51]
	v_mov_b32_e32 v45, v47
	v_pk_fma_f32 v[50:51], v[76:77], v[60:61], v[52:53] neg_lo:[0,0,1] neg_hi:[0,0,1]
	v_pk_mul_f32 v[46:47], v[106:107], v[46:47] op_sel_hi:[1,0]
	v_mov_b32_e32 v51, v49
	v_pk_add_f32 v[38:39], v[38:39], v[42:43]
	v_pk_fma_f32 v[42:43], v[78:79], v[62:63], v[40:41] op_sel_hi:[1,0,1]
	v_pk_fma_f32 v[40:41], v[78:79], v[62:63], v[40:41] neg_lo:[0,0,1] neg_hi:[0,0,1]
	v_ashrrev_i32_e32 v17, 31, v16
	v_dual_ashrrev_i32 v29, 31, v28 :: v_dual_ashrrev_i32 v31, 31, v30
	v_pk_add_f32 v[38:39], v[38:39], v[44:45]
	v_mov_b32_e32 v41, v43
	v_pk_fma_f32 v[42:43], v[80:81], v[64:65], v[46:47] op_sel_hi:[1,0,1]
	s_wait_loadcnt_dscnt 0x100
	v_pk_mul_f32 v[44:45], v[98:99], v[94:95] op_sel:[1,1] op_sel_hi:[0,1]
	v_pk_fma_f32 v[46:47], v[80:81], v[64:65], v[46:47] neg_lo:[0,0,1] neg_hi:[0,0,1]
	v_pk_add_f32 v[38:39], v[38:39], v[50:51]
	v_dual_ashrrev_i32 v33, 31, v32 :: v_dual_ashrrev_i32 v35, 31, v34
	v_mov_b32_e32 v47, v43
	v_pk_fma_f32 v[42:43], v[98:99], v[94:95], v[44:45] neg_lo:[0,0,1] neg_hi:[0,0,1]
	s_delay_alu instid0(VALU_DEP_4) | instskip(SKIP_2) | instid1(VALU_DEP_3)
	v_pk_add_f32 v[38:39], v[38:39], v[40:41]
	v_pk_fma_f32 v[40:41], v[98:99], v[94:95], v[44:45] op_sel_hi:[1,0,1]
	v_ashrrev_i32_e32 v19, 31, v18
	v_pk_add_f32 v[38:39], v[38:39], v[46:47]
	s_delay_alu instid0(VALU_DEP_3) | instskip(NEXT) | instid1(VALU_DEP_1)
	v_mov_b32_e32 v43, v41
	v_pk_add_f32 v[38:39], v[38:39], v[42:43]
	s_wait_loadcnt 0x0
	s_delay_alu instid0(VALU_DEP_1)
	v_pk_add_f32 v[38:39], v[96:97], v[38:39] neg_lo:[0,1] neg_hi:[0,1]
	scratch_store_b64 off, v[38:39], off offset:8
	s_wait_xcnt 0x0
	v_cmpx_ne_u32_e32 0, v0
	s_cbranch_execz .LBB16_115
; %bb.114:
	scratch_load_b64 v[38:39], off, off
	v_mov_b64_e32 v[40:41], 0
	scratch_store_b64 off, v[40:41], off
	s_wait_loadcnt 0x0
	ds_store_b64 v1, v[38:39]
.LBB16_115:
	s_wait_xcnt 0x0
	s_or_b32 exec_lo, exec_lo, s0
	s_wait_storecnt_dscnt 0x0
	s_barrier_signal -1
	s_barrier_wait -1
	s_clause 0x8
	scratch_load_b128 v[38:41], off, off offset:8
	scratch_load_b128 v[42:45], off, off offset:24
	;; [unrolled: 1-line block ×8, first 2 shown]
	scratch_load_b64 v[0:1], off, off
	ds_load_2addr_b64 v[70:73], v36 offset0:27 offset1:28
	ds_load_2addr_b64 v[74:77], v36 offset0:29 offset1:30
	;; [unrolled: 1-line block ×8, first 2 shown]
	s_and_b32 vcc_lo, exec_lo, s18
	s_wait_dscnt 0x7
	v_dual_mov_b32 v36, v73 :: v_dual_mov_b32 v37, v72
	s_wait_dscnt 0x6
	v_dual_mov_b32 v102, v77 :: v_dual_mov_b32 v103, v76
	;; [unrolled: 2-line block ×4, first 2 shown]
	s_wait_loadcnt_dscnt 0x803
	v_dual_mul_f32 v108, v86, v39 :: v_dual_mul_f32 v110, v88, v41
	v_dual_mul_f32 v39, v87, v39 :: v_dual_mul_f32 v41, v89, v41
	s_wait_loadcnt_dscnt 0x702
	v_dual_mul_f32 v112, v90, v43 :: v_dual_mul_f32 v113, v92, v45
	s_wait_loadcnt_dscnt 0x500
	v_dual_fmac_f32 v108, v87, v38 :: v_dual_mul_f32 v109, v98, v51
	v_dual_mul_f32 v111, v100, v53 :: v_dual_mul_f32 v51, v99, v51
	v_dual_fma_f32 v38, v86, v38, -v39 :: v_dual_mul_f32 v53, v101, v53
	v_dual_fmac_f32 v110, v89, v40 :: v_dual_fma_f32 v40, v88, v40, -v41
	s_delay_alu instid0(VALU_DEP_2) | instskip(SKIP_2) | instid1(VALU_DEP_3)
	v_dual_add_f32 v41, 0, v108 :: v_dual_add_f32 v86, 0, v38
	v_dual_mul_f32 v43, v91, v43 :: v_dual_mul_f32 v45, v93, v45
	v_fmac_f32_e32 v112, v91, v42
	v_dual_add_f32 v41, v41, v110 :: v_dual_mul_f32 v114, v94, v47
	v_dual_mul_f32 v115, v96, v49 :: v_dual_mul_f32 v47, v95, v47
	s_delay_alu instid0(VALU_DEP_4)
	v_dual_mul_f32 v49, v97, v49 :: v_dual_fma_f32 v42, v90, v42, -v43
	v_add_f32_e32 v43, v86, v40
	v_fmac_f32_e32 v113, v93, v44
	v_dual_add_f32 v41, v41, v112 :: v_dual_fmac_f32 v114, v95, v46
	s_wait_loadcnt 0x4
	v_dual_mov_b32 v40, v57 :: v_dual_fma_f32 v44, v92, v44, -v45
	v_add_f32_e32 v45, v43, v42
	s_delay_alu instid0(VALU_DEP_3) | instskip(SKIP_1) | instid1(VALU_DEP_3)
	v_dual_fma_f32 v46, v94, v46, -v47 :: v_dual_add_f32 v41, v41, v113
	v_pk_mul_f32 v[38:39], v[70:71], v[54:55] op_sel:[1,1] op_sel_hi:[0,1]
	v_dual_fmac_f32 v109, v99, v50 :: v_dual_add_f32 v45, v45, v44
	s_delay_alu instid0(VALU_DEP_3) | instskip(SKIP_1) | instid1(VALU_DEP_4)
	v_dual_fma_f32 v110, v100, v52, -v53 :: v_dual_add_f32 v41, v41, v114
	v_fma_f32 v108, v98, v50, -v51
	v_pk_fma_f32 v[50:51], v[70:71], v[54:55], v[38:39] op_sel_hi:[1,0,1]
	v_pk_fma_f32 v[38:39], v[70:71], v[54:55], v[38:39] neg_lo:[0,0,1] neg_hi:[0,0,1]
	s_wait_loadcnt 0x3
	v_mov_b32_e32 v44, v61
	v_pk_mul_f32 v[36:37], v[36:37], v[40:41] op_sel_hi:[1,0]
	v_dual_fmac_f32 v115, v97, v48 :: v_dual_mov_b32 v39, v51
	v_fma_f32 v48, v96, v48, -v49
	v_fmac_f32_e32 v111, v101, v52
	s_delay_alu instid0(VALU_DEP_4) | instskip(SKIP_4) | instid1(VALU_DEP_4)
	v_pk_fma_f32 v[50:51], v[72:73], v[56:57], v[36:37] op_sel_hi:[1,0,1]
	v_add_f32_e32 v45, v45, v46
	v_pk_fma_f32 v[36:37], v[72:73], v[56:57], v[36:37] neg_lo:[0,0,1] neg_hi:[0,0,1]
	v_add_f32_e32 v49, v41, v115
	v_pk_mul_f32 v[42:43], v[74:75], v[58:59] op_sel:[1,1] op_sel_hi:[0,1]
	v_dual_mov_b32 v37, v51 :: v_dual_add_f32 v48, v45, v48
	v_pk_mul_f32 v[44:45], v[102:103], v[44:45] op_sel_hi:[1,0]
	s_wait_loadcnt 0x2
	v_pk_mul_f32 v[46:47], v[78:79], v[62:63] op_sel:[1,1] op_sel_hi:[0,1]
	v_pk_fma_f32 v[52:53], v[74:75], v[58:59], v[42:43] op_sel_hi:[1,0,1]
	v_pk_fma_f32 v[42:43], v[74:75], v[58:59], v[42:43] neg_lo:[0,0,1] neg_hi:[0,0,1]
	v_pk_fma_f32 v[50:51], v[76:77], v[60:61], v[44:45] op_sel_hi:[1,0,1]
	v_pk_fma_f32 v[44:45], v[76:77], v[60:61], v[44:45] neg_lo:[0,0,1] neg_hi:[0,0,1]
	s_delay_alu instid0(VALU_DEP_2) | instskip(SKIP_2) | instid1(VALU_DEP_2)
	v_dual_mov_b32 v43, v53 :: v_dual_mov_b32 v45, v51
	v_pk_add_f32 v[40:41], v[48:49], v[108:109]
	v_mov_b32_e32 v48, v65
	v_pk_add_f32 v[40:41], v[40:41], v[110:111]
	s_delay_alu instid0(VALU_DEP_2) | instskip(NEXT) | instid1(VALU_DEP_2)
	v_pk_mul_f32 v[48:49], v[104:105], v[48:49] op_sel_hi:[1,0]
	v_pk_add_f32 v[38:39], v[40:41], v[38:39]
	s_wait_loadcnt 0x1
	v_pk_mul_f32 v[40:41], v[82:83], v[66:67] op_sel:[1,1] op_sel_hi:[0,1]
	s_delay_alu instid0(VALU_DEP_2) | instskip(SKIP_1) | instid1(VALU_DEP_2)
	v_pk_add_f32 v[36:37], v[38:39], v[36:37]
	v_pk_fma_f32 v[38:39], v[78:79], v[62:63], v[46:47] op_sel_hi:[1,0,1]
	v_pk_add_f32 v[36:37], v[36:37], v[42:43]
	v_pk_fma_f32 v[42:43], v[78:79], v[62:63], v[46:47] neg_lo:[0,0,1] neg_hi:[0,0,1]
	s_delay_alu instid0(VALU_DEP_3)
	v_mov_b32_e32 v43, v39
	v_pk_fma_f32 v[46:47], v[80:81], v[64:65], v[48:49] op_sel_hi:[1,0,1]
	v_mov_b32_e32 v38, v69
	v_pk_add_f32 v[36:37], v[36:37], v[44:45]
	v_pk_fma_f32 v[48:49], v[80:81], v[64:65], v[48:49] neg_lo:[0,0,1] neg_hi:[0,0,1]
	v_pk_fma_f32 v[44:45], v[82:83], v[66:67], v[40:41] op_sel_hi:[1,0,1]
	v_mov_b32_e32 v49, v47
	v_pk_mul_f32 v[38:39], v[106:107], v[38:39] op_sel_hi:[1,0]
	v_pk_add_f32 v[36:37], v[36:37], v[42:43]
	v_pk_fma_f32 v[40:41], v[82:83], v[66:67], v[40:41] neg_lo:[0,0,1] neg_hi:[0,0,1]
	s_delay_alu instid0(VALU_DEP_3) | instskip(SKIP_1) | instid1(VALU_DEP_4)
	v_pk_fma_f32 v[42:43], v[84:85], v[68:69], v[38:39] op_sel_hi:[1,0,1]
	v_mov_b32_e32 v41, v45
	v_pk_add_f32 v[36:37], v[36:37], v[48:49]
	v_pk_fma_f32 v[38:39], v[84:85], v[68:69], v[38:39] neg_lo:[0,0,1] neg_hi:[0,0,1]
	s_delay_alu instid0(VALU_DEP_4) | instskip(NEXT) | instid1(VALU_DEP_3)
	v_mov_b32_e32 v39, v43
	v_pk_add_f32 v[36:37], v[36:37], v[40:41]
	s_delay_alu instid0(VALU_DEP_1) | instskip(SKIP_1) | instid1(VALU_DEP_1)
	v_pk_add_f32 v[36:37], v[36:37], v[38:39]
	s_wait_loadcnt 0x0
	v_pk_add_f32 v[0:1], v[0:1], v[36:37] neg_lo:[0,1] neg_hi:[0,1]
	scratch_store_b64 off, v[0:1], off
	s_cbranch_vccz .LBB16_148
; %bb.116:
	s_wait_xcnt 0x0
	v_mov_b32_e32 v0, 0
	global_load_b32 v1, v0, s[2:3] offset:60
	s_wait_loadcnt 0x0
	v_cmp_ne_u32_e32 vcc_lo, 16, v1
	s_cbranch_vccz .LBB16_118
; %bb.117:
	v_lshlrev_b32_e32 v1, 3, v1
	scratch_load_b64 v[36:37], v1, off offset:-8
	scratch_load_b64 v[38:39], off, off offset:120
	s_wait_loadcnt 0x1
	scratch_store_b64 off, v[36:37], off offset:120
	s_wait_loadcnt 0x0
	scratch_store_b64 v1, v[38:39], off offset:-8
.LBB16_118:
	global_load_b32 v0, v0, s[2:3] offset:56
	s_wait_loadcnt 0x0
	v_cmp_eq_u32_e32 vcc_lo, 15, v0
	s_cbranch_vccnz .LBB16_120
; %bb.119:
	s_wait_xcnt 0x0
	v_lshlrev_b32_e32 v0, 3, v0
	s_delay_alu instid0(VALU_DEP_1)
	v_mov_b32_e32 v38, v0
	scratch_load_b64 v[0:1], v38, off offset:-8
	scratch_load_b64 v[36:37], off, off offset:112
	s_wait_loadcnt 0x1
	scratch_store_b64 off, v[0:1], off offset:112
	s_wait_loadcnt 0x0
	scratch_store_b64 v38, v[36:37], off offset:-8
.LBB16_120:
	s_wait_xcnt 0x0
	v_mov_b32_e32 v0, 0
	global_load_b32 v1, v0, s[2:3] offset:52
	s_wait_loadcnt 0x0
	v_cmp_eq_u32_e32 vcc_lo, 14, v1
	s_cbranch_vccnz .LBB16_122
; %bb.121:
	v_lshlrev_b32_e32 v1, 3, v1
	scratch_load_b64 v[36:37], v1, off offset:-8
	scratch_load_b64 v[38:39], off, off offset:104
	s_wait_loadcnt 0x1
	scratch_store_b64 off, v[36:37], off offset:104
	s_wait_loadcnt 0x0
	scratch_store_b64 v1, v[38:39], off offset:-8
.LBB16_122:
	global_load_b32 v0, v0, s[2:3] offset:48
	s_wait_loadcnt 0x0
	v_cmp_eq_u32_e32 vcc_lo, 13, v0
	s_cbranch_vccnz .LBB16_124
; %bb.123:
	s_wait_xcnt 0x0
	v_lshlrev_b32_e32 v0, 3, v0
	s_delay_alu instid0(VALU_DEP_1)
	v_mov_b32_e32 v38, v0
	scratch_load_b64 v[0:1], v38, off offset:-8
	scratch_load_b64 v[36:37], off, off offset:96
	s_wait_loadcnt 0x1
	scratch_store_b64 off, v[0:1], off offset:96
	s_wait_loadcnt 0x0
	scratch_store_b64 v38, v[36:37], off offset:-8
.LBB16_124:
	s_wait_xcnt 0x0
	v_mov_b32_e32 v0, 0
	global_load_b32 v1, v0, s[2:3] offset:44
	s_wait_loadcnt 0x0
	v_cmp_eq_u32_e32 vcc_lo, 12, v1
	s_cbranch_vccnz .LBB16_126
; %bb.125:
	v_lshlrev_b32_e32 v1, 3, v1
	scratch_load_b64 v[36:37], v1, off offset:-8
	scratch_load_b64 v[38:39], off, off offset:88
	s_wait_loadcnt 0x1
	scratch_store_b64 off, v[36:37], off offset:88
	s_wait_loadcnt 0x0
	scratch_store_b64 v1, v[38:39], off offset:-8
.LBB16_126:
	;; [unrolled: 31-line block ×7, first 2 shown]
	global_load_b32 v36, v0, s[2:3]
	scratch_load_b64 v[0:1], off, off
	s_wait_loadcnt 0x1
	v_cmp_eq_u32_e32 vcc_lo, 1, v36
	s_cbranch_vccnz .LBB16_148
; %bb.147:
	v_lshlrev_b32_e32 v36, 3, v36
	s_delay_alu instid0(VALU_DEP_1)
	v_mov_b32_e32 v38, v36
	scratch_load_b64 v[36:37], v38, off offset:-8
	s_wait_loadcnt 0x0
	scratch_store_b64 off, v[36:37], off
	scratch_store_b64 v38, v[0:1], off offset:-8
	scratch_load_b64 v[0:1], off, off
.LBB16_148:
	v_lshl_add_u64 v[36:37], v[6:7], 3, s[4:5]
	v_lshl_add_u64 v[38:39], v[8:9], 3, s[4:5]
	;; [unrolled: 1-line block ×4, first 2 shown]
	s_clause 0x7
	scratch_load_b128 v[32:35], off, off offset:8
	scratch_load_b128 v[40:43], off, off offset:24
	;; [unrolled: 1-line block ×8, first 2 shown]
	v_lshl_add_u64 v[10:11], v[10:11], 3, s[4:5]
	v_lshl_add_u64 v[12:13], v[12:13], 3, s[4:5]
	;; [unrolled: 1-line block ×11, first 2 shown]
	s_wait_loadcnt 0x8
	global_store_b64 v[2:3], v[0:1], off
	s_wait_loadcnt 0x7
	s_clause 0x1
	global_store_b64 v[4:5], v[32:33], off
	global_store_b64 v[36:37], v[34:35], off
	s_wait_loadcnt 0x6
	s_clause 0x1
	global_store_b64 v[38:39], v[40:41], off
	;; [unrolled: 4-line block ×8, first 2 shown]
	global_store_b64 v[8:9], v[66:67], off
	s_sendmsg sendmsg(MSG_DEALLOC_VGPRS)
	s_endpgm
	.section	.rodata,"a",@progbits
	.p2align	6, 0x0
	.amdhsa_kernel _ZN9rocsolver6v33100L18getri_kernel_smallILi17E19rocblas_complex_numIfEPS3_EEvT1_iilPiilS6_bb
		.amdhsa_group_segment_fixed_size 280
		.amdhsa_private_segment_fixed_size 144
		.amdhsa_kernarg_size 60
		.amdhsa_user_sgpr_count 2
		.amdhsa_user_sgpr_dispatch_ptr 0
		.amdhsa_user_sgpr_queue_ptr 0
		.amdhsa_user_sgpr_kernarg_segment_ptr 1
		.amdhsa_user_sgpr_dispatch_id 0
		.amdhsa_user_sgpr_kernarg_preload_length 0
		.amdhsa_user_sgpr_kernarg_preload_offset 0
		.amdhsa_user_sgpr_private_segment_size 0
		.amdhsa_wavefront_size32 1
		.amdhsa_uses_dynamic_stack 0
		.amdhsa_enable_private_segment 1
		.amdhsa_system_sgpr_workgroup_id_x 1
		.amdhsa_system_sgpr_workgroup_id_y 0
		.amdhsa_system_sgpr_workgroup_id_z 0
		.amdhsa_system_sgpr_workgroup_info 0
		.amdhsa_system_vgpr_workitem_id 0
		.amdhsa_next_free_vgpr 116
		.amdhsa_next_free_sgpr 19
		.amdhsa_named_barrier_count 0
		.amdhsa_reserve_vcc 1
		.amdhsa_float_round_mode_32 0
		.amdhsa_float_round_mode_16_64 0
		.amdhsa_float_denorm_mode_32 3
		.amdhsa_float_denorm_mode_16_64 3
		.amdhsa_fp16_overflow 0
		.amdhsa_memory_ordered 1
		.amdhsa_forward_progress 1
		.amdhsa_inst_pref_size 137
		.amdhsa_round_robin_scheduling 0
		.amdhsa_exception_fp_ieee_invalid_op 0
		.amdhsa_exception_fp_denorm_src 0
		.amdhsa_exception_fp_ieee_div_zero 0
		.amdhsa_exception_fp_ieee_overflow 0
		.amdhsa_exception_fp_ieee_underflow 0
		.amdhsa_exception_fp_ieee_inexact 0
		.amdhsa_exception_int_div_zero 0
	.end_amdhsa_kernel
	.section	.text._ZN9rocsolver6v33100L18getri_kernel_smallILi17E19rocblas_complex_numIfEPS3_EEvT1_iilPiilS6_bb,"axG",@progbits,_ZN9rocsolver6v33100L18getri_kernel_smallILi17E19rocblas_complex_numIfEPS3_EEvT1_iilPiilS6_bb,comdat
.Lfunc_end16:
	.size	_ZN9rocsolver6v33100L18getri_kernel_smallILi17E19rocblas_complex_numIfEPS3_EEvT1_iilPiilS6_bb, .Lfunc_end16-_ZN9rocsolver6v33100L18getri_kernel_smallILi17E19rocblas_complex_numIfEPS3_EEvT1_iilPiilS6_bb
                                        ; -- End function
	.set _ZN9rocsolver6v33100L18getri_kernel_smallILi17E19rocblas_complex_numIfEPS3_EEvT1_iilPiilS6_bb.num_vgpr, 116
	.set _ZN9rocsolver6v33100L18getri_kernel_smallILi17E19rocblas_complex_numIfEPS3_EEvT1_iilPiilS6_bb.num_agpr, 0
	.set _ZN9rocsolver6v33100L18getri_kernel_smallILi17E19rocblas_complex_numIfEPS3_EEvT1_iilPiilS6_bb.numbered_sgpr, 19
	.set _ZN9rocsolver6v33100L18getri_kernel_smallILi17E19rocblas_complex_numIfEPS3_EEvT1_iilPiilS6_bb.num_named_barrier, 0
	.set _ZN9rocsolver6v33100L18getri_kernel_smallILi17E19rocblas_complex_numIfEPS3_EEvT1_iilPiilS6_bb.private_seg_size, 144
	.set _ZN9rocsolver6v33100L18getri_kernel_smallILi17E19rocblas_complex_numIfEPS3_EEvT1_iilPiilS6_bb.uses_vcc, 1
	.set _ZN9rocsolver6v33100L18getri_kernel_smallILi17E19rocblas_complex_numIfEPS3_EEvT1_iilPiilS6_bb.uses_flat_scratch, 1
	.set _ZN9rocsolver6v33100L18getri_kernel_smallILi17E19rocblas_complex_numIfEPS3_EEvT1_iilPiilS6_bb.has_dyn_sized_stack, 0
	.set _ZN9rocsolver6v33100L18getri_kernel_smallILi17E19rocblas_complex_numIfEPS3_EEvT1_iilPiilS6_bb.has_recursion, 0
	.set _ZN9rocsolver6v33100L18getri_kernel_smallILi17E19rocblas_complex_numIfEPS3_EEvT1_iilPiilS6_bb.has_indirect_call, 0
	.section	.AMDGPU.csdata,"",@progbits
; Kernel info:
; codeLenInByte = 17452
; TotalNumSgprs: 21
; NumVgprs: 116
; ScratchSize: 144
; MemoryBound: 0
; FloatMode: 240
; IeeeMode: 1
; LDSByteSize: 280 bytes/workgroup (compile time only)
; SGPRBlocks: 0
; VGPRBlocks: 7
; NumSGPRsForWavesPerEU: 21
; NumVGPRsForWavesPerEU: 116
; NamedBarCnt: 0
; Occupancy: 8
; WaveLimiterHint : 1
; COMPUTE_PGM_RSRC2:SCRATCH_EN: 1
; COMPUTE_PGM_RSRC2:USER_SGPR: 2
; COMPUTE_PGM_RSRC2:TRAP_HANDLER: 0
; COMPUTE_PGM_RSRC2:TGID_X_EN: 1
; COMPUTE_PGM_RSRC2:TGID_Y_EN: 0
; COMPUTE_PGM_RSRC2:TGID_Z_EN: 0
; COMPUTE_PGM_RSRC2:TIDIG_COMP_CNT: 0
	.section	.text._ZN9rocsolver6v33100L18getri_kernel_smallILi18E19rocblas_complex_numIfEPS3_EEvT1_iilPiilS6_bb,"axG",@progbits,_ZN9rocsolver6v33100L18getri_kernel_smallILi18E19rocblas_complex_numIfEPS3_EEvT1_iilPiilS6_bb,comdat
	.globl	_ZN9rocsolver6v33100L18getri_kernel_smallILi18E19rocblas_complex_numIfEPS3_EEvT1_iilPiilS6_bb ; -- Begin function _ZN9rocsolver6v33100L18getri_kernel_smallILi18E19rocblas_complex_numIfEPS3_EEvT1_iilPiilS6_bb
	.p2align	8
	.type	_ZN9rocsolver6v33100L18getri_kernel_smallILi18E19rocblas_complex_numIfEPS3_EEvT1_iilPiilS6_bb,@function
_ZN9rocsolver6v33100L18getri_kernel_smallILi18E19rocblas_complex_numIfEPS3_EEvT1_iilPiilS6_bb: ; @_ZN9rocsolver6v33100L18getri_kernel_smallILi18E19rocblas_complex_numIfEPS3_EEvT1_iilPiilS6_bb
; %bb.0:
	s_mov_b32 s2, exec_lo
	v_cmpx_gt_u32_e32 18, v0
	s_cbranch_execz .LBB17_86
; %bb.1:
	s_clause 0x2
	s_load_b32 s2, s[0:1], 0x38
	s_load_b128 s[12:15], s[0:1], 0x10
	s_load_b128 s[4:7], s[0:1], 0x28
	s_getreg_b32 s9, hwreg(HW_REG_IB_STS2, 6, 4)
	s_wait_kmcnt 0x0
	s_bitcmp1_b32 s2, 8
	s_cselect_b32 s18, -1, 0
	s_bfe_u32 s3, ttmp6, 0x4000c
	s_and_b32 s8, ttmp6, 15
	s_add_co_i32 s3, s3, 1
	s_delay_alu instid0(SALU_CYCLE_1) | instskip(NEXT) | instid1(SALU_CYCLE_1)
	s_mul_i32 s3, ttmp9, s3
	s_add_co_i32 s8, s8, s3
	s_cmp_eq_u32 s9, 0
	s_cselect_b32 s16, ttmp9, s8
	s_bfe_u32 s2, s2, 0x10008
	s_ashr_i32 s17, s16, 31
	s_cmp_eq_u32 s2, 0
                                        ; implicit-def: $sgpr2_sgpr3
	s_cbranch_scc1 .LBB17_3
; %bb.2:
	s_load_b32 s2, s[0:1], 0x20
	s_mul_u64 s[4:5], s[4:5], s[16:17]
	s_delay_alu instid0(SALU_CYCLE_1) | instskip(NEXT) | instid1(SALU_CYCLE_1)
	s_lshl_b64 s[4:5], s[4:5], 2
	s_add_nc_u64 s[4:5], s[14:15], s[4:5]
	s_wait_kmcnt 0x0
	s_ashr_i32 s3, s2, 31
	s_delay_alu instid0(SALU_CYCLE_1) | instskip(NEXT) | instid1(SALU_CYCLE_1)
	s_lshl_b64 s[2:3], s[2:3], 2
	s_add_nc_u64 s[2:3], s[4:5], s[2:3]
.LBB17_3:
	s_clause 0x1
	s_load_b128 s[8:11], s[0:1], 0x0
	s_load_b32 s14, s[0:1], 0x38
	s_wait_xcnt 0x0
	s_mul_u64 s[0:1], s[12:13], s[16:17]
	s_delay_alu instid0(SALU_CYCLE_1)
	s_lshl_b64 s[0:1], s[0:1], 3
	s_wait_kmcnt 0x0
	v_add3_u32 v6, s11, s11, v0
	s_ashr_i32 s5, s10, 31
	s_mov_b32 s4, s10
	s_add_nc_u64 s[0:1], s[8:9], s[0:1]
	s_lshl_b64 s[4:5], s[4:5], 3
	v_add_nc_u32_e32 v8, s11, v6
	s_add_nc_u64 s[4:5], s[0:1], s[4:5]
	s_ashr_i32 s1, s11, 31
	s_mov_b32 s0, s11
	s_bitcmp0_b32 s14, 0
	v_add_nc_u32_e32 v10, s11, v8
	s_delay_alu instid0(VALU_DEP_1) | instskip(NEXT) | instid1(VALU_DEP_1)
	v_add_nc_u32_e32 v12, s11, v10
	v_add_nc_u32_e32 v14, s11, v12
	s_delay_alu instid0(VALU_DEP_1) | instskip(NEXT) | instid1(VALU_DEP_1)
	v_add_nc_u32_e32 v16, s11, v14
	v_add_nc_u32_e32 v18, s11, v16
	s_delay_alu instid0(VALU_DEP_1) | instskip(NEXT) | instid1(VALU_DEP_1)
	v_dual_lshlrev_b32 v38, 3, v0 :: v_dual_add_nc_u32 v20, s11, v18
	v_dual_mov_b32 v39, 0 :: v_dual_add_nc_u32 v22, s11, v20
	s_delay_alu instid0(VALU_DEP_1) | instskip(NEXT) | instid1(VALU_DEP_2)
	v_add_nc_u64_e32 v[2:3], s[4:5], v[38:39]
	v_add_nc_u32_e32 v24, s11, v22
	s_delay_alu instid0(VALU_DEP_2) | instskip(SKIP_1) | instid1(VALU_DEP_2)
	v_lshl_add_u64 v[4:5], s[0:1], 3, v[2:3]
	s_mov_b32 s1, -1
	v_add_nc_u32_e32 v26, s11, v24
	s_clause 0x9
	global_load_b64 v[40:41], v0, s[4:5] scale_offset
	global_load_b64 v[42:43], v[4:5], off
	global_load_b64 v[44:45], v6, s[4:5] scale_offset
	global_load_b64 v[46:47], v8, s[4:5] scale_offset
	;; [unrolled: 1-line block ×8, first 2 shown]
	v_add_nc_u32_e32 v28, s11, v26
	s_delay_alu instid0(VALU_DEP_1) | instskip(NEXT) | instid1(VALU_DEP_1)
	v_add_nc_u32_e32 v30, s11, v28
	v_add_nc_u32_e32 v32, s11, v30
	s_delay_alu instid0(VALU_DEP_1)
	v_add_nc_u32_e32 v34, s11, v32
	s_clause 0x3
	global_load_b64 v[60:61], v22, s[4:5] scale_offset
	global_load_b64 v[62:63], v24, s[4:5] scale_offset
	;; [unrolled: 1-line block ×4, first 2 shown]
	v_add_nc_u32_e32 v36, s11, v34
	s_clause 0x3
	global_load_b64 v[68:69], v30, s[4:5] scale_offset
	global_load_b64 v[70:71], v32, s[4:5] scale_offset
	;; [unrolled: 1-line block ×4, first 2 shown]
	s_wait_loadcnt 0x10
	scratch_store_b128 off, v[40:43], off
	s_wait_loadcnt 0xe
	scratch_store_b128 off, v[44:47], off offset:16
	s_wait_loadcnt 0xc
	scratch_store_b128 off, v[48:51], off offset:32
	;; [unrolled: 2-line block ×8, first 2 shown]
	s_cbranch_scc1 .LBB17_84
; %bb.4:
	v_cmp_eq_u32_e64 s0, 0, v0
	s_wait_xcnt 0x0
	s_and_saveexec_b32 s1, s0
; %bb.5:
	v_mov_b32_e32 v1, 0
	ds_store_b32 v1, v1 offset:288
; %bb.6:
	s_or_b32 exec_lo, exec_lo, s1
	s_wait_storecnt_dscnt 0x0
	s_barrier_signal -1
	s_barrier_wait -1
	scratch_load_b64 v[40:41], v0, off scale_offset
	s_wait_loadcnt 0x0
	v_cmp_eq_f32_e32 vcc_lo, 0, v40
	v_cmp_eq_f32_e64 s1, 0, v41
	s_and_b32 s1, vcc_lo, s1
	s_delay_alu instid0(SALU_CYCLE_1)
	s_and_saveexec_b32 s8, s1
	s_cbranch_execz .LBB17_10
; %bb.7:
	v_mov_b32_e32 v1, 0
	s_mov_b32 s9, 0
	ds_load_b32 v7, v1 offset:288
	s_wait_dscnt 0x0
	v_readfirstlane_b32 s1, v7
	v_add_nc_u32_e32 v7, 1, v0
	s_cmp_eq_u32 s1, 0
	s_delay_alu instid0(VALU_DEP_1) | instskip(SKIP_1) | instid1(SALU_CYCLE_1)
	v_cmp_gt_i32_e32 vcc_lo, s1, v7
	s_cselect_b32 s10, -1, 0
	s_or_b32 s10, s10, vcc_lo
	s_delay_alu instid0(SALU_CYCLE_1)
	s_and_b32 exec_lo, exec_lo, s10
	s_cbranch_execz .LBB17_10
; %bb.8:
	v_mov_b32_e32 v9, s1
.LBB17_9:                               ; =>This Inner Loop Header: Depth=1
	ds_cmpstore_rtn_b32 v9, v1, v7, v9 offset:288
	s_wait_dscnt 0x0
	v_cmp_ne_u32_e32 vcc_lo, 0, v9
	v_cmp_le_i32_e64 s1, v9, v7
	s_and_b32 s1, vcc_lo, s1
	s_delay_alu instid0(SALU_CYCLE_1) | instskip(NEXT) | instid1(SALU_CYCLE_1)
	s_and_b32 s1, exec_lo, s1
	s_or_b32 s9, s1, s9
	s_delay_alu instid0(SALU_CYCLE_1)
	s_and_not1_b32 exec_lo, exec_lo, s9
	s_cbranch_execnz .LBB17_9
.LBB17_10:
	s_or_b32 exec_lo, exec_lo, s8
	v_mov_b32_e32 v1, 0
	s_barrier_signal -1
	s_barrier_wait -1
	ds_load_b32 v7, v1 offset:288
	s_and_saveexec_b32 s1, s0
	s_cbranch_execz .LBB17_12
; %bb.11:
	s_lshl_b64 s[8:9], s[16:17], 2
	s_delay_alu instid0(SALU_CYCLE_1)
	s_add_nc_u64 s[8:9], s[6:7], s[8:9]
	s_wait_dscnt 0x0
	global_store_b32 v1, v7, s[8:9]
.LBB17_12:
	s_wait_xcnt 0x0
	s_or_b32 exec_lo, exec_lo, s1
	s_wait_dscnt 0x0
	v_cmp_ne_u32_e32 vcc_lo, 0, v7
	s_mov_b32 s1, 0
	s_cbranch_vccnz .LBB17_84
; %bb.13:
	v_lshl_add_u32 v7, v0, 3, 0
                                        ; implicit-def: $vgpr43
                                        ; implicit-def: $vgpr44
	scratch_load_b64 v[40:41], v7, off
	s_wait_loadcnt 0x0
	v_cmp_ngt_f32_e64 s1, |v40|, |v41|
	s_wait_xcnt 0x0
	s_and_saveexec_b32 s8, s1
	s_delay_alu instid0(SALU_CYCLE_1)
	s_xor_b32 s1, exec_lo, s8
	s_cbranch_execz .LBB17_15
; %bb.14:
	v_div_scale_f32 v1, null, v41, v41, v40
	v_div_scale_f32 v13, vcc_lo, v40, v41, v40
	s_delay_alu instid0(VALU_DEP_2) | instskip(SKIP_1) | instid1(TRANS32_DEP_1)
	v_rcp_f32_e32 v9, v1
	v_nop
	v_fma_f32 v11, -v1, v9, 1.0
	s_delay_alu instid0(VALU_DEP_1) | instskip(NEXT) | instid1(VALU_DEP_1)
	v_fmac_f32_e32 v9, v11, v9
	v_mul_f32_e32 v11, v13, v9
	s_delay_alu instid0(VALU_DEP_1) | instskip(NEXT) | instid1(VALU_DEP_1)
	v_fma_f32 v15, -v1, v11, v13
	v_fmac_f32_e32 v11, v15, v9
	s_delay_alu instid0(VALU_DEP_1) | instskip(NEXT) | instid1(VALU_DEP_1)
	v_fma_f32 v1, -v1, v11, v13
	v_div_fmas_f32 v1, v1, v9, v11
	s_delay_alu instid0(VALU_DEP_1) | instskip(NEXT) | instid1(VALU_DEP_1)
	v_div_fixup_f32 v1, v1, v41, v40
	v_fmac_f32_e32 v41, v40, v1
	s_delay_alu instid0(VALU_DEP_1) | instskip(NEXT) | instid1(VALU_DEP_1)
	v_div_scale_f32 v9, null, v41, v41, -1.0
	v_rcp_f32_e32 v11, v9
	v_nop
	s_delay_alu instid0(TRANS32_DEP_1) | instskip(NEXT) | instid1(VALU_DEP_1)
	v_fma_f32 v13, -v9, v11, 1.0
	v_fmac_f32_e32 v11, v13, v11
	v_div_scale_f32 v13, vcc_lo, -1.0, v41, -1.0
	s_delay_alu instid0(VALU_DEP_1) | instskip(NEXT) | instid1(VALU_DEP_1)
	v_mul_f32_e32 v15, v13, v11
	v_fma_f32 v17, -v9, v15, v13
	s_delay_alu instid0(VALU_DEP_1) | instskip(NEXT) | instid1(VALU_DEP_1)
	v_fmac_f32_e32 v15, v17, v11
	v_fma_f32 v9, -v9, v15, v13
	s_delay_alu instid0(VALU_DEP_1) | instskip(NEXT) | instid1(VALU_DEP_1)
	v_div_fmas_f32 v9, v9, v11, v15
	v_div_fixup_f32 v43, v9, v41, -1.0
                                        ; implicit-def: $vgpr40_vgpr41
	s_delay_alu instid0(VALU_DEP_1) | instskip(NEXT) | instid1(VALU_DEP_1)
	v_mul_f32_e32 v44, v1, v43
	v_xor_b32_e32 v42, 0x80000000, v44
.LBB17_15:
	s_and_not1_saveexec_b32 s1, s1
	s_cbranch_execz .LBB17_17
; %bb.16:
	v_div_scale_f32 v1, null, v40, v40, v41
	v_div_scale_f32 v13, vcc_lo, v41, v40, v41
	s_delay_alu instid0(VALU_DEP_2) | instskip(SKIP_1) | instid1(TRANS32_DEP_1)
	v_rcp_f32_e32 v9, v1
	v_nop
	v_fma_f32 v11, -v1, v9, 1.0
	s_delay_alu instid0(VALU_DEP_1) | instskip(NEXT) | instid1(VALU_DEP_1)
	v_fmac_f32_e32 v9, v11, v9
	v_mul_f32_e32 v11, v13, v9
	s_delay_alu instid0(VALU_DEP_1) | instskip(NEXT) | instid1(VALU_DEP_1)
	v_fma_f32 v15, -v1, v11, v13
	v_fmac_f32_e32 v11, v15, v9
	s_delay_alu instid0(VALU_DEP_1) | instskip(NEXT) | instid1(VALU_DEP_1)
	v_fma_f32 v1, -v1, v11, v13
	v_div_fmas_f32 v1, v1, v9, v11
	s_delay_alu instid0(VALU_DEP_1) | instskip(NEXT) | instid1(VALU_DEP_1)
	v_div_fixup_f32 v1, v1, v40, v41
	v_fmac_f32_e32 v40, v41, v1
	s_delay_alu instid0(VALU_DEP_1) | instskip(SKIP_1) | instid1(VALU_DEP_2)
	v_div_scale_f32 v9, null, v40, v40, 1.0
	v_div_scale_f32 v15, vcc_lo, 1.0, v40, 1.0
	v_rcp_f32_e32 v11, v9
	v_nop
	s_delay_alu instid0(TRANS32_DEP_1) | instskip(NEXT) | instid1(VALU_DEP_1)
	v_fma_f32 v13, -v9, v11, 1.0
	v_fmac_f32_e32 v11, v13, v11
	s_delay_alu instid0(VALU_DEP_1) | instskip(NEXT) | instid1(VALU_DEP_1)
	v_mul_f32_e32 v13, v15, v11
	v_fma_f32 v17, -v9, v13, v15
	s_delay_alu instid0(VALU_DEP_1) | instskip(NEXT) | instid1(VALU_DEP_1)
	v_fmac_f32_e32 v13, v17, v11
	v_fma_f32 v9, -v9, v13, v15
	s_delay_alu instid0(VALU_DEP_1) | instskip(NEXT) | instid1(VALU_DEP_1)
	v_div_fmas_f32 v9, v9, v11, v13
	v_div_fixup_f32 v42, v9, v40, 1.0
	s_delay_alu instid0(VALU_DEP_1)
	v_xor_b32_e32 v44, 0x80000000, v42
	v_mul_f32_e64 v43, v1, -v42
.LBB17_17:
	s_or_b32 exec_lo, exec_lo, s1
	scratch_store_b64 v7, v[42:43], off
	scratch_load_b64 v[40:41], off, off offset:8
	v_xor_b32_e32 v45, 0x80000000, v43
	v_add_nc_u32_e32 v1, 0x90, v38
	s_wait_loadcnt 0x0
	ds_store_2addr_b64 v38, v[44:45], v[40:41] offset1:18
	s_wait_storecnt_dscnt 0x0
	s_barrier_signal -1
	s_barrier_wait -1
	s_wait_xcnt 0x0
	s_and_saveexec_b32 s1, s0
	s_cbranch_execz .LBB17_19
; %bb.18:
	scratch_load_b64 v[40:41], v7, off
	ds_load_b64 v[42:43], v1
	s_wait_loadcnt_dscnt 0x0
	v_pk_mul_f32 v[46:47], v[42:43], v[40:41] op_sel:[1,1] op_sel_hi:[0,1]
	s_delay_alu instid0(VALU_DEP_1) | instskip(SKIP_2) | instid1(VALU_DEP_3)
	v_pk_fma_f32 v[48:49], v[42:43], v[40:41], v[46:47] op_sel_hi:[1,0,1]
	v_mov_b32_e32 v9, 0
	v_pk_fma_f32 v[40:41], v[42:43], v[40:41], v[46:47] neg_lo:[0,0,1] neg_hi:[0,0,1]
	v_mov_b32_e32 v41, v49
	ds_load_b64 v[44:45], v9 offset:8
	v_pk_add_f32 v[40:41], v[40:41], 0 op_sel_hi:[1,0]
	s_wait_dscnt 0x0
	s_delay_alu instid0(VALU_DEP_1) | instskip(NEXT) | instid1(VALU_DEP_1)
	v_pk_mul_f32 v[42:43], v[40:41], v[44:45] op_sel:[1,1] op_sel_hi:[0,1]
	v_pk_fma_f32 v[46:47], v[40:41], v[44:45], v[42:43] op_sel_hi:[1,0,1]
	v_pk_fma_f32 v[40:41], v[40:41], v[44:45], v[42:43] neg_lo:[0,0,1] neg_hi:[0,0,1]
	s_delay_alu instid0(VALU_DEP_2)
	v_mov_b32_e32 v41, v47
	scratch_store_b64 off, v[40:41], off offset:8
.LBB17_19:
	s_wait_xcnt 0x0
	s_or_b32 exec_lo, exec_lo, s1
	s_wait_storecnt 0x0
	s_barrier_signal -1
	s_barrier_wait -1
	scratch_load_b64 v[40:41], off, off offset:16
	s_mov_b32 s1, exec_lo
	s_wait_loadcnt 0x0
	ds_store_b64 v1, v[40:41]
	s_wait_dscnt 0x0
	s_barrier_signal -1
	s_barrier_wait -1
	v_cmpx_gt_u32_e32 2, v0
	s_cbranch_execz .LBB17_23
; %bb.20:
	scratch_load_b64 v[40:41], v7, off
	ds_load_b64 v[42:43], v1
	s_wait_loadcnt_dscnt 0x0
	v_pk_mul_f32 v[44:45], v[42:43], v[40:41] op_sel:[1,1] op_sel_hi:[0,1]
	s_delay_alu instid0(VALU_DEP_1) | instskip(SKIP_1) | instid1(VALU_DEP_2)
	v_pk_fma_f32 v[46:47], v[42:43], v[40:41], v[44:45] op_sel_hi:[1,0,1]
	v_pk_fma_f32 v[40:41], v[42:43], v[40:41], v[44:45] neg_lo:[0,0,1] neg_hi:[0,0,1]
	v_mov_b32_e32 v41, v47
	s_delay_alu instid0(VALU_DEP_1)
	v_pk_add_f32 v[40:41], v[40:41], 0 op_sel_hi:[1,0]
	s_and_saveexec_b32 s8, s0
	s_cbranch_execz .LBB17_22
; %bb.21:
	scratch_load_b64 v[42:43], off, off offset:8
	v_mov_b32_e32 v7, 0
	ds_load_b64 v[44:45], v7 offset:152
	s_wait_loadcnt_dscnt 0x0
	v_pk_mul_f32 v[46:47], v[44:45], v[42:43] op_sel:[1,1] op_sel_hi:[0,1]
	s_delay_alu instid0(VALU_DEP_1) | instskip(SKIP_1) | instid1(VALU_DEP_2)
	v_pk_fma_f32 v[48:49], v[44:45], v[42:43], v[46:47] op_sel_hi:[1,0,1]
	v_pk_fma_f32 v[42:43], v[44:45], v[42:43], v[46:47] neg_lo:[0,0,1] neg_hi:[0,0,1]
	v_mov_b32_e32 v43, v49
	s_delay_alu instid0(VALU_DEP_1)
	v_pk_add_f32 v[40:41], v[40:41], v[42:43]
.LBB17_22:
	s_or_b32 exec_lo, exec_lo, s8
	v_mov_b32_e32 v7, 0
	ds_load_b64 v[42:43], v7 offset:16
	s_wait_dscnt 0x0
	v_pk_mul_f32 v[44:45], v[40:41], v[42:43] op_sel:[1,1] op_sel_hi:[0,1]
	s_delay_alu instid0(VALU_DEP_1) | instskip(SKIP_1) | instid1(VALU_DEP_2)
	v_pk_fma_f32 v[46:47], v[40:41], v[42:43], v[44:45] op_sel_hi:[1,0,1]
	v_pk_fma_f32 v[40:41], v[40:41], v[42:43], v[44:45] neg_lo:[0,0,1] neg_hi:[0,0,1]
	v_mov_b32_e32 v41, v47
	scratch_store_b64 off, v[40:41], off offset:16
.LBB17_23:
	s_wait_xcnt 0x0
	s_or_b32 exec_lo, exec_lo, s1
	s_wait_storecnt 0x0
	s_barrier_signal -1
	s_barrier_wait -1
	scratch_load_b64 v[40:41], off, off offset:24
	v_add_nc_u32_e32 v7, -1, v0
	s_mov_b32 s0, exec_lo
	s_wait_loadcnt 0x0
	ds_store_b64 v1, v[40:41]
	s_wait_dscnt 0x0
	s_barrier_signal -1
	s_barrier_wait -1
	v_cmpx_gt_u32_e32 3, v0
	s_cbranch_execz .LBB17_27
; %bb.24:
	v_dual_mov_b32 v40, 0 :: v_dual_add_nc_u32 v9, -1, v0
	v_add_nc_u32_e32 v11, 0x90, v38
	v_mov_b32_e32 v13, v38
	s_mov_b32 s1, 0
	s_delay_alu instid0(VALU_DEP_3)
	v_mov_b32_e32 v41, v40
.LBB17_25:                              ; =>This Inner Loop Header: Depth=1
	scratch_load_b64 v[42:43], v13, off
	ds_load_b64 v[44:45], v11
	s_wait_xcnt 0x0
	v_dual_add_nc_u32 v11, 8, v11 :: v_dual_add_nc_u32 v13, 8, v13
	s_wait_loadcnt_dscnt 0x0
	v_pk_mul_f32 v[46:47], v[44:45], v[42:43] op_sel:[1,1] op_sel_hi:[0,1]
	s_delay_alu instid0(VALU_DEP_1) | instskip(SKIP_2) | instid1(VALU_DEP_3)
	v_pk_fma_f32 v[48:49], v[44:45], v[42:43], v[46:47] op_sel_hi:[1,0,1]
	v_add_nc_u32_e32 v9, 1, v9
	v_pk_fma_f32 v[42:43], v[44:45], v[42:43], v[46:47] neg_lo:[0,0,1] neg_hi:[0,0,1]
	v_mov_b32_e32 v43, v49
	s_delay_alu instid0(VALU_DEP_3) | instskip(NEXT) | instid1(VALU_DEP_2)
	v_cmp_lt_u32_e32 vcc_lo, 1, v9
	v_pk_add_f32 v[40:41], v[40:41], v[42:43]
	s_or_b32 s1, vcc_lo, s1
	s_delay_alu instid0(SALU_CYCLE_1)
	s_and_not1_b32 exec_lo, exec_lo, s1
	s_cbranch_execnz .LBB17_25
; %bb.26:
	s_or_b32 exec_lo, exec_lo, s1
	v_mov_b32_e32 v9, 0
	ds_load_b64 v[42:43], v9 offset:24
	s_wait_dscnt 0x0
	v_pk_mul_f32 v[44:45], v[40:41], v[42:43] op_sel:[1,1] op_sel_hi:[0,1]
	s_delay_alu instid0(VALU_DEP_1) | instskip(SKIP_1) | instid1(VALU_DEP_2)
	v_pk_fma_f32 v[46:47], v[40:41], v[42:43], v[44:45] op_sel_hi:[1,0,1]
	v_pk_fma_f32 v[40:41], v[40:41], v[42:43], v[44:45] neg_lo:[0,0,1] neg_hi:[0,0,1]
	v_mov_b32_e32 v41, v47
	scratch_store_b64 off, v[40:41], off offset:24
.LBB17_27:
	s_wait_xcnt 0x0
	s_or_b32 exec_lo, exec_lo, s0
	s_wait_storecnt 0x0
	s_barrier_signal -1
	s_barrier_wait -1
	scratch_load_b64 v[40:41], off, off offset:32
	s_mov_b32 s0, exec_lo
	s_wait_loadcnt 0x0
	ds_store_b64 v1, v[40:41]
	s_wait_dscnt 0x0
	s_barrier_signal -1
	s_barrier_wait -1
	v_cmpx_gt_u32_e32 4, v0
	s_cbranch_execz .LBB17_31
; %bb.28:
	v_dual_mov_b32 v40, 0 :: v_dual_add_nc_u32 v9, -1, v0
	v_add_nc_u32_e32 v11, 0x90, v38
	v_mov_b32_e32 v13, v38
	s_mov_b32 s1, 0
	s_delay_alu instid0(VALU_DEP_3)
	v_mov_b32_e32 v41, v40
.LBB17_29:                              ; =>This Inner Loop Header: Depth=1
	scratch_load_b64 v[42:43], v13, off
	ds_load_b64 v[44:45], v11
	s_wait_xcnt 0x0
	v_dual_add_nc_u32 v11, 8, v11 :: v_dual_add_nc_u32 v13, 8, v13
	s_wait_loadcnt_dscnt 0x0
	v_pk_mul_f32 v[46:47], v[44:45], v[42:43] op_sel:[1,1] op_sel_hi:[0,1]
	s_delay_alu instid0(VALU_DEP_1) | instskip(SKIP_2) | instid1(VALU_DEP_3)
	v_pk_fma_f32 v[48:49], v[44:45], v[42:43], v[46:47] op_sel_hi:[1,0,1]
	v_add_nc_u32_e32 v9, 1, v9
	v_pk_fma_f32 v[42:43], v[44:45], v[42:43], v[46:47] neg_lo:[0,0,1] neg_hi:[0,0,1]
	v_mov_b32_e32 v43, v49
	s_delay_alu instid0(VALU_DEP_3) | instskip(NEXT) | instid1(VALU_DEP_2)
	v_cmp_lt_u32_e32 vcc_lo, 2, v9
	v_pk_add_f32 v[40:41], v[40:41], v[42:43]
	s_or_b32 s1, vcc_lo, s1
	s_delay_alu instid0(SALU_CYCLE_1)
	s_and_not1_b32 exec_lo, exec_lo, s1
	s_cbranch_execnz .LBB17_29
; %bb.30:
	s_or_b32 exec_lo, exec_lo, s1
	v_mov_b32_e32 v9, 0
	ds_load_b64 v[42:43], v9 offset:32
	s_wait_dscnt 0x0
	v_pk_mul_f32 v[44:45], v[40:41], v[42:43] op_sel:[1,1] op_sel_hi:[0,1]
	s_delay_alu instid0(VALU_DEP_1) | instskip(SKIP_1) | instid1(VALU_DEP_2)
	v_pk_fma_f32 v[46:47], v[40:41], v[42:43], v[44:45] op_sel_hi:[1,0,1]
	v_pk_fma_f32 v[40:41], v[40:41], v[42:43], v[44:45] neg_lo:[0,0,1] neg_hi:[0,0,1]
	v_mov_b32_e32 v41, v47
	scratch_store_b64 off, v[40:41], off offset:32
.LBB17_31:
	s_wait_xcnt 0x0
	s_or_b32 exec_lo, exec_lo, s0
	s_wait_storecnt 0x0
	s_barrier_signal -1
	s_barrier_wait -1
	scratch_load_b64 v[40:41], off, off offset:40
	;; [unrolled: 52-line block ×14, first 2 shown]
	s_mov_b32 s0, exec_lo
	s_wait_loadcnt 0x0
	ds_store_b64 v1, v[40:41]
	s_wait_dscnt 0x0
	s_barrier_signal -1
	s_barrier_wait -1
	v_cmpx_ne_u32_e32 17, v0
	s_cbranch_execz .LBB17_83
; %bb.80:
	v_dual_mov_b32 v40, 0 :: v_dual_mov_b32 v9, v38
	s_mov_b32 s1, 0
	s_delay_alu instid0(VALU_DEP_1)
	v_mov_b32_e32 v41, v40
.LBB17_81:                              ; =>This Inner Loop Header: Depth=1
	scratch_load_b64 v[38:39], v9, off
	ds_load_b64 v[42:43], v1
	v_add_nc_u32_e32 v1, 8, v1
	s_wait_xcnt 0x0
	v_add_nc_u32_e32 v9, 8, v9
	s_wait_loadcnt_dscnt 0x0
	v_pk_mul_f32 v[44:45], v[42:43], v[38:39] op_sel:[1,1] op_sel_hi:[0,1]
	s_delay_alu instid0(VALU_DEP_1) | instskip(SKIP_2) | instid1(VALU_DEP_3)
	v_pk_fma_f32 v[46:47], v[42:43], v[38:39], v[44:45] op_sel_hi:[1,0,1]
	v_add_nc_u32_e32 v7, 1, v7
	v_pk_fma_f32 v[38:39], v[42:43], v[38:39], v[44:45] neg_lo:[0,0,1] neg_hi:[0,0,1]
	v_mov_b32_e32 v39, v47
	s_delay_alu instid0(VALU_DEP_3) | instskip(NEXT) | instid1(VALU_DEP_2)
	v_cmp_lt_u32_e32 vcc_lo, 15, v7
	v_pk_add_f32 v[40:41], v[40:41], v[38:39]
	s_or_b32 s1, vcc_lo, s1
	s_delay_alu instid0(SALU_CYCLE_1)
	s_and_not1_b32 exec_lo, exec_lo, s1
	s_cbranch_execnz .LBB17_81
; %bb.82:
	s_or_b32 exec_lo, exec_lo, s1
	v_mov_b32_e32 v1, 0
	ds_load_b64 v[38:39], v1 offset:136
	s_wait_dscnt 0x0
	v_pk_mul_f32 v[42:43], v[40:41], v[38:39] op_sel:[1,1] op_sel_hi:[0,1]
	s_delay_alu instid0(VALU_DEP_1) | instskip(SKIP_1) | instid1(VALU_DEP_2)
	v_pk_fma_f32 v[44:45], v[40:41], v[38:39], v[42:43] op_sel_hi:[1,0,1]
	v_pk_fma_f32 v[38:39], v[40:41], v[38:39], v[42:43] neg_lo:[0,0,1] neg_hi:[0,0,1]
	v_mov_b32_e32 v39, v45
	scratch_store_b64 off, v[38:39], off offset:136
.LBB17_83:
	s_wait_xcnt 0x0
	s_or_b32 exec_lo, exec_lo, s0
	s_mov_b32 s1, -1
	s_wait_storecnt 0x0
	s_barrier_signal -1
	s_barrier_wait -1
.LBB17_84:
	s_and_b32 vcc_lo, exec_lo, s1
	s_cbranch_vccz .LBB17_86
; %bb.85:
	v_mov_b32_e32 v1, 0
	s_lshl_b64 s[0:1], s[16:17], 2
	s_delay_alu instid0(SALU_CYCLE_1)
	s_add_nc_u64 s[0:1], s[6:7], s[0:1]
	global_load_b32 v1, v1, s[0:1]
	s_wait_loadcnt 0x0
	v_cmp_ne_u32_e32 vcc_lo, 0, v1
	s_cbranch_vccz .LBB17_87
.LBB17_86:
	s_sendmsg sendmsg(MSG_DEALLOC_VGPRS)
	s_endpgm
.LBB17_87:
	s_wait_xcnt 0x0
	v_lshl_add_u32 v1, v0, 3, 0x90
	s_mov_b32 s0, exec_lo
	v_cmpx_eq_u32_e32 17, v0
	s_cbranch_execz .LBB17_89
; %bb.88:
	scratch_load_b64 v[38:39], off, off offset:128
	v_mov_b64_e32 v[40:41], 0
	scratch_store_b64 off, v[40:41], off offset:128
	s_wait_loadcnt 0x0
	ds_store_b64 v1, v[38:39]
.LBB17_89:
	s_wait_xcnt 0x0
	s_or_b32 exec_lo, exec_lo, s0
	s_wait_storecnt_dscnt 0x0
	s_barrier_signal -1
	s_barrier_wait -1
	s_clause 0x1
	scratch_load_b64 v[38:39], off, off offset:136
	scratch_load_b64 v[40:41], off, off offset:128
	v_mov_b32_e32 v7, 0
	s_mov_b32 s0, exec_lo
	ds_load_b64 v[42:43], v7 offset:280
	s_wait_loadcnt_dscnt 0x100
	v_pk_mul_f32 v[44:45], v[42:43], v[38:39] op_sel:[1,1] op_sel_hi:[0,1]
	s_delay_alu instid0(VALU_DEP_1) | instskip(SKIP_1) | instid1(VALU_DEP_2)
	v_pk_fma_f32 v[46:47], v[42:43], v[38:39], v[44:45] op_sel_hi:[1,0,1]
	v_pk_fma_f32 v[38:39], v[42:43], v[38:39], v[44:45] neg_lo:[0,0,1] neg_hi:[0,0,1]
	v_mov_b32_e32 v39, v47
	s_delay_alu instid0(VALU_DEP_1) | instskip(SKIP_1) | instid1(VALU_DEP_1)
	v_pk_add_f32 v[38:39], v[38:39], 0 op_sel_hi:[1,0]
	s_wait_loadcnt 0x0
	v_pk_add_f32 v[38:39], v[40:41], v[38:39] neg_lo:[0,1] neg_hi:[0,1]
	scratch_store_b64 off, v[38:39], off offset:128
	s_wait_xcnt 0x0
	v_cmpx_lt_u32_e32 15, v0
	s_cbranch_execz .LBB17_91
; %bb.90:
	scratch_load_b64 v[38:39], off, off offset:120
	v_mov_b64_e32 v[40:41], 0
	scratch_store_b64 off, v[40:41], off offset:120
	s_wait_loadcnt 0x0
	ds_store_b64 v1, v[38:39]
.LBB17_91:
	s_wait_xcnt 0x0
	s_or_b32 exec_lo, exec_lo, s0
	s_wait_storecnt_dscnt 0x0
	s_barrier_signal -1
	s_barrier_wait -1
	s_clause 0x1
	scratch_load_b128 v[38:41], off, off offset:128
	scratch_load_b64 v[46:47], off, off offset:120
	ds_load_b128 v[42:45], v7 offset:272
	s_mov_b32 s0, exec_lo
	s_wait_dscnt 0x0
	v_dual_mov_b32 v48, v45 :: v_dual_mov_b32 v49, v44
	s_wait_loadcnt 0x1
	v_pk_mul_f32 v[50:51], v[42:43], v[38:39] op_sel:[1,1] op_sel_hi:[0,1]
	s_delay_alu instid0(VALU_DEP_1) | instskip(SKIP_2) | instid1(VALU_DEP_3)
	v_pk_fma_f32 v[54:55], v[42:43], v[38:39], v[50:51] op_sel_hi:[1,0,1]
	v_mov_b32_e32 v52, v41
	v_pk_fma_f32 v[38:39], v[42:43], v[38:39], v[50:51] neg_lo:[0,0,1] neg_hi:[0,0,1]
	v_mov_b32_e32 v39, v55
	s_delay_alu instid0(VALU_DEP_3) | instskip(NEXT) | instid1(VALU_DEP_2)
	v_pk_mul_f32 v[48:49], v[48:49], v[52:53] op_sel_hi:[1,0]
	v_pk_add_f32 v[38:39], v[38:39], 0 op_sel_hi:[1,0]
	s_delay_alu instid0(VALU_DEP_2) | instskip(SKIP_1) | instid1(VALU_DEP_2)
	v_pk_fma_f32 v[42:43], v[44:45], v[40:41], v[48:49] op_sel_hi:[1,0,1]
	v_pk_fma_f32 v[40:41], v[44:45], v[40:41], v[48:49] neg_lo:[0,0,1] neg_hi:[0,0,1]
	v_mov_b32_e32 v41, v43
	s_delay_alu instid0(VALU_DEP_1) | instskip(SKIP_1) | instid1(VALU_DEP_1)
	v_pk_add_f32 v[38:39], v[38:39], v[40:41]
	s_wait_loadcnt 0x0
	v_pk_add_f32 v[38:39], v[46:47], v[38:39] neg_lo:[0,1] neg_hi:[0,1]
	scratch_store_b64 off, v[38:39], off offset:120
	s_wait_xcnt 0x0
	v_cmpx_lt_u32_e32 14, v0
	s_cbranch_execz .LBB17_93
; %bb.92:
	scratch_load_b64 v[38:39], off, off offset:112
	v_mov_b64_e32 v[40:41], 0
	scratch_store_b64 off, v[40:41], off offset:112
	s_wait_loadcnt 0x0
	ds_store_b64 v1, v[38:39]
.LBB17_93:
	s_wait_xcnt 0x0
	s_or_b32 exec_lo, exec_lo, s0
	s_wait_storecnt_dscnt 0x0
	s_barrier_signal -1
	s_barrier_wait -1
	s_clause 0x2
	scratch_load_b128 v[38:41], off, off offset:120
	scratch_load_b64 v[46:47], off, off offset:136
	scratch_load_b64 v[48:49], off, off offset:112
	v_mov_b32_e32 v7, 0
	ds_load_2addr_b64 v[42:45], v7 offset0:33 offset1:34
	ds_load_b64 v[50:51], v7 offset:280
	s_mov_b32 s0, exec_lo
	s_wait_dscnt 0x1
	v_dual_mov_b32 v52, v45 :: v_dual_mov_b32 v53, v44
	s_wait_loadcnt 0x2
	v_mov_b32_e32 v56, v41
	v_pk_mul_f32 v[54:55], v[42:43], v[38:39] op_sel:[1,1] op_sel_hi:[0,1]
	s_delay_alu instid0(VALU_DEP_2) | instskip(NEXT) | instid1(VALU_DEP_2)
	v_pk_mul_f32 v[52:53], v[52:53], v[56:57] op_sel_hi:[1,0]
	v_pk_fma_f32 v[58:59], v[42:43], v[38:39], v[54:55] op_sel_hi:[1,0,1]
	v_pk_fma_f32 v[38:39], v[42:43], v[38:39], v[54:55] neg_lo:[0,0,1] neg_hi:[0,0,1]
	s_wait_loadcnt_dscnt 0x100
	v_pk_mul_f32 v[54:55], v[50:51], v[46:47] op_sel:[1,1] op_sel_hi:[0,1]
	v_pk_fma_f32 v[42:43], v[44:45], v[40:41], v[52:53] op_sel_hi:[1,0,1]
	v_mov_b32_e32 v39, v59
	v_pk_fma_f32 v[40:41], v[44:45], v[40:41], v[52:53] neg_lo:[0,0,1] neg_hi:[0,0,1]
	s_delay_alu instid0(VALU_DEP_4) | instskip(NEXT) | instid1(VALU_DEP_4)
	v_pk_fma_f32 v[44:45], v[50:51], v[46:47], v[54:55] neg_lo:[0,0,1] neg_hi:[0,0,1]
	v_mov_b32_e32 v41, v43
	s_delay_alu instid0(VALU_DEP_4) | instskip(SKIP_1) | instid1(VALU_DEP_2)
	v_pk_add_f32 v[38:39], v[38:39], 0 op_sel_hi:[1,0]
	v_pk_fma_f32 v[42:43], v[50:51], v[46:47], v[54:55] op_sel_hi:[1,0,1]
	v_pk_add_f32 v[38:39], v[38:39], v[40:41]
	s_delay_alu instid0(VALU_DEP_2) | instskip(NEXT) | instid1(VALU_DEP_1)
	v_mov_b32_e32 v45, v43
	v_pk_add_f32 v[38:39], v[38:39], v[44:45]
	s_wait_loadcnt 0x0
	s_delay_alu instid0(VALU_DEP_1)
	v_pk_add_f32 v[38:39], v[48:49], v[38:39] neg_lo:[0,1] neg_hi:[0,1]
	scratch_store_b64 off, v[38:39], off offset:112
	s_wait_xcnt 0x0
	v_cmpx_lt_u32_e32 13, v0
	s_cbranch_execz .LBB17_95
; %bb.94:
	scratch_load_b64 v[38:39], off, off offset:104
	v_mov_b64_e32 v[40:41], 0
	scratch_store_b64 off, v[40:41], off offset:104
	s_wait_loadcnt 0x0
	ds_store_b64 v1, v[38:39]
.LBB17_95:
	s_wait_xcnt 0x0
	s_or_b32 exec_lo, exec_lo, s0
	s_wait_storecnt_dscnt 0x0
	s_barrier_signal -1
	s_barrier_wait -1
	s_clause 0x2
	scratch_load_b128 v[38:41], off, off offset:112
	scratch_load_b128 v[42:45], off, off offset:128
	scratch_load_b64 v[54:55], off, off offset:104
	ds_load_b128 v[46:49], v7 offset:256
	ds_load_b128 v[50:53], v7 offset:272
	s_mov_b32 s0, exec_lo
	s_wait_dscnt 0x1
	v_dual_mov_b32 v56, v49 :: v_dual_mov_b32 v57, v48
	s_wait_loadcnt_dscnt 0x200
	v_dual_mov_b32 v62, v53 :: v_dual_mov_b32 v60, v41
	v_pk_mul_f32 v[58:59], v[46:47], v[38:39] op_sel:[1,1] op_sel_hi:[0,1]
	s_delay_alu instid0(VALU_DEP_2) | instskip(NEXT) | instid1(VALU_DEP_2)
	v_pk_mul_f32 v[56:57], v[56:57], v[60:61] op_sel_hi:[1,0]
	v_pk_fma_f32 v[64:65], v[46:47], v[38:39], v[58:59] op_sel_hi:[1,0,1]
	v_pk_fma_f32 v[38:39], v[46:47], v[38:39], v[58:59] neg_lo:[0,0,1] neg_hi:[0,0,1]
	v_mov_b32_e32 v63, v52
	s_wait_loadcnt 0x1
	v_pk_mul_f32 v[60:61], v[50:51], v[42:43] op_sel:[1,1] op_sel_hi:[0,1]
	v_pk_fma_f32 v[46:47], v[48:49], v[40:41], v[56:57] op_sel_hi:[1,0,1]
	v_dual_mov_b32 v39, v65 :: v_dual_mov_b32 v46, v45
	v_pk_fma_f32 v[40:41], v[48:49], v[40:41], v[56:57] neg_lo:[0,0,1] neg_hi:[0,0,1]
	s_delay_alu instid0(VALU_DEP_4) | instskip(NEXT) | instid1(VALU_DEP_4)
	v_pk_fma_f32 v[58:59], v[50:51], v[42:43], v[60:61] op_sel_hi:[1,0,1]
	v_mov_b32_e32 v41, v47
	s_delay_alu instid0(VALU_DEP_4) | instskip(SKIP_2) | instid1(VALU_DEP_3)
	v_pk_add_f32 v[38:39], v[38:39], 0 op_sel_hi:[1,0]
	v_pk_mul_f32 v[46:47], v[62:63], v[46:47] op_sel_hi:[1,0]
	v_pk_fma_f32 v[42:43], v[50:51], v[42:43], v[60:61] neg_lo:[0,0,1] neg_hi:[0,0,1]
	v_pk_add_f32 v[38:39], v[38:39], v[40:41]
	s_delay_alu instid0(VALU_DEP_3) | instskip(SKIP_2) | instid1(VALU_DEP_3)
	v_pk_fma_f32 v[40:41], v[52:53], v[44:45], v[46:47] op_sel_hi:[1,0,1]
	v_mov_b32_e32 v43, v59
	v_pk_fma_f32 v[44:45], v[52:53], v[44:45], v[46:47] neg_lo:[0,0,1] neg_hi:[0,0,1]
	v_mov_b32_e32 v45, v41
	s_delay_alu instid0(VALU_DEP_3) | instskip(NEXT) | instid1(VALU_DEP_1)
	v_pk_add_f32 v[38:39], v[38:39], v[42:43]
	v_pk_add_f32 v[38:39], v[38:39], v[44:45]
	s_wait_loadcnt 0x0
	s_delay_alu instid0(VALU_DEP_1)
	v_pk_add_f32 v[38:39], v[54:55], v[38:39] neg_lo:[0,1] neg_hi:[0,1]
	scratch_store_b64 off, v[38:39], off offset:104
	s_wait_xcnt 0x0
	v_cmpx_lt_u32_e32 12, v0
	s_cbranch_execz .LBB17_97
; %bb.96:
	scratch_load_b64 v[38:39], off, off offset:96
	v_mov_b64_e32 v[40:41], 0
	scratch_store_b64 off, v[40:41], off offset:96
	s_wait_loadcnt 0x0
	ds_store_b64 v1, v[38:39]
.LBB17_97:
	s_wait_xcnt 0x0
	s_or_b32 exec_lo, exec_lo, s0
	s_wait_storecnt_dscnt 0x0
	s_barrier_signal -1
	s_barrier_wait -1
	s_clause 0x3
	scratch_load_b128 v[38:41], off, off offset:104
	scratch_load_b128 v[42:45], off, off offset:120
	scratch_load_b64 v[54:55], off, off offset:136
	scratch_load_b64 v[56:57], off, off offset:96
	v_mov_b32_e32 v7, 0
	ds_load_2addr_b64 v[46:49], v7 offset0:31 offset1:32
	ds_load_2addr_b64 v[50:53], v7 offset0:33 offset1:34
	s_mov_b32 s0, exec_lo
	s_wait_dscnt 0x1
	v_dual_mov_b32 v58, v49 :: v_dual_mov_b32 v59, v48
	ds_load_b64 v[64:65], v7 offset:280
	s_wait_dscnt 0x1
	v_dual_mov_b32 v66, v53 :: v_dual_mov_b32 v67, v52
	s_wait_loadcnt 0x3
	v_pk_mul_f32 v[60:61], v[46:47], v[38:39] op_sel:[1,1] op_sel_hi:[0,1]
	v_mov_b32_e32 v62, v41
	s_delay_alu instid0(VALU_DEP_2) | instskip(NEXT) | instid1(VALU_DEP_2)
	v_pk_fma_f32 v[68:69], v[46:47], v[38:39], v[60:61] op_sel_hi:[1,0,1]
	v_pk_mul_f32 v[58:59], v[58:59], v[62:63] op_sel_hi:[1,0]
	v_pk_fma_f32 v[38:39], v[46:47], v[38:39], v[60:61] neg_lo:[0,0,1] neg_hi:[0,0,1]
	s_wait_loadcnt 0x2
	v_pk_mul_f32 v[62:63], v[50:51], v[42:43] op_sel:[1,1] op_sel_hi:[0,1]
	v_dual_mov_b32 v68, v45 :: v_dual_mov_b32 v39, v69
	v_pk_fma_f32 v[46:47], v[48:49], v[40:41], v[58:59] op_sel_hi:[1,0,1]
	v_pk_fma_f32 v[40:41], v[48:49], v[40:41], v[58:59] neg_lo:[0,0,1] neg_hi:[0,0,1]
	s_delay_alu instid0(VALU_DEP_4) | instskip(NEXT) | instid1(VALU_DEP_4)
	v_pk_fma_f32 v[60:61], v[50:51], v[42:43], v[62:63] op_sel_hi:[1,0,1]
	v_pk_mul_f32 v[66:67], v[66:67], v[68:69] op_sel_hi:[1,0]
	v_pk_add_f32 v[38:39], v[38:39], 0 op_sel_hi:[1,0]
	v_mov_b32_e32 v41, v47
	v_pk_fma_f32 v[42:43], v[50:51], v[42:43], v[62:63] neg_lo:[0,0,1] neg_hi:[0,0,1]
	v_mov_b32_e32 v43, v61
	v_pk_fma_f32 v[46:47], v[52:53], v[44:45], v[66:67] op_sel_hi:[1,0,1]
	v_pk_fma_f32 v[44:45], v[52:53], v[44:45], v[66:67] neg_lo:[0,0,1] neg_hi:[0,0,1]
	v_pk_add_f32 v[38:39], v[38:39], v[40:41]
	s_wait_loadcnt_dscnt 0x100
	v_pk_mul_f32 v[40:41], v[64:65], v[54:55] op_sel:[1,1] op_sel_hi:[0,1]
	s_delay_alu instid0(VALU_DEP_2) | instskip(NEXT) | instid1(VALU_DEP_2)
	v_pk_add_f32 v[38:39], v[38:39], v[42:43]
	v_pk_fma_f32 v[42:43], v[64:65], v[54:55], v[40:41] op_sel_hi:[1,0,1]
	v_mov_b32_e32 v45, v47
	v_pk_fma_f32 v[40:41], v[64:65], v[54:55], v[40:41] neg_lo:[0,0,1] neg_hi:[0,0,1]
	s_delay_alu instid0(VALU_DEP_3) | instskip(NEXT) | instid1(VALU_DEP_3)
	v_mov_b32_e32 v41, v43
	v_pk_add_f32 v[38:39], v[38:39], v[44:45]
	s_delay_alu instid0(VALU_DEP_1) | instskip(SKIP_1) | instid1(VALU_DEP_1)
	v_pk_add_f32 v[38:39], v[38:39], v[40:41]
	s_wait_loadcnt 0x0
	v_pk_add_f32 v[38:39], v[56:57], v[38:39] neg_lo:[0,1] neg_hi:[0,1]
	scratch_store_b64 off, v[38:39], off offset:96
	s_wait_xcnt 0x0
	v_cmpx_lt_u32_e32 11, v0
	s_cbranch_execz .LBB17_99
; %bb.98:
	scratch_load_b64 v[38:39], off, off offset:88
	v_mov_b64_e32 v[40:41], 0
	scratch_store_b64 off, v[40:41], off offset:88
	s_wait_loadcnt 0x0
	ds_store_b64 v1, v[38:39]
.LBB17_99:
	s_wait_xcnt 0x0
	s_or_b32 exec_lo, exec_lo, s0
	s_wait_storecnt_dscnt 0x0
	s_barrier_signal -1
	s_barrier_wait -1
	s_clause 0x3
	scratch_load_b128 v[38:41], off, off offset:96
	scratch_load_b128 v[42:45], off, off offset:112
	;; [unrolled: 1-line block ×3, first 2 shown]
	scratch_load_b64 v[62:63], off, off offset:88
	ds_load_b128 v[50:53], v7 offset:240
	ds_load_b128 v[54:57], v7 offset:256
	;; [unrolled: 1-line block ×3, first 2 shown]
	s_mov_b32 s0, exec_lo
	s_wait_dscnt 0x2
	v_dual_mov_b32 v64, v53 :: v_dual_mov_b32 v65, v52
	s_wait_dscnt 0x1
	v_dual_mov_b32 v66, v57 :: v_dual_mov_b32 v67, v56
	;; [unrolled: 2-line block ×3, first 2 shown]
	s_wait_loadcnt 0x3
	v_pk_mul_f32 v[68:69], v[50:51], v[38:39] op_sel:[1,1] op_sel_hi:[0,1]
	v_mov_b32_e32 v70, v41
	s_delay_alu instid0(VALU_DEP_2) | instskip(NEXT) | instid1(VALU_DEP_2)
	v_pk_fma_f32 v[74:75], v[50:51], v[38:39], v[68:69] op_sel_hi:[1,0,1]
	v_pk_mul_f32 v[64:65], v[64:65], v[70:71] op_sel_hi:[1,0]
	v_pk_fma_f32 v[38:39], v[50:51], v[38:39], v[68:69] neg_lo:[0,0,1] neg_hi:[0,0,1]
	s_wait_loadcnt 0x2
	v_pk_mul_f32 v[70:71], v[54:55], v[42:43] op_sel:[1,1] op_sel_hi:[0,1]
	v_mov_b32_e32 v74, v45
	v_pk_fma_f32 v[50:51], v[52:53], v[40:41], v[64:65] op_sel_hi:[1,0,1]
	v_mov_b32_e32 v39, v75
	v_pk_fma_f32 v[40:41], v[52:53], v[40:41], v[64:65] neg_lo:[0,0,1] neg_hi:[0,0,1]
	v_pk_fma_f32 v[68:69], v[54:55], v[42:43], v[70:71] op_sel_hi:[1,0,1]
	v_pk_mul_f32 v[66:67], v[66:67], v[74:75] op_sel_hi:[1,0]
	v_mov_b32_e32 v41, v51
	v_pk_add_f32 v[38:39], v[38:39], 0 op_sel_hi:[1,0]
	v_pk_fma_f32 v[42:43], v[54:55], v[42:43], v[70:71] neg_lo:[0,0,1] neg_hi:[0,0,1]
	s_wait_loadcnt 0x1
	v_pk_mul_f32 v[50:51], v[58:59], v[46:47] op_sel:[1,1] op_sel_hi:[0,1]
	v_mov_b32_e32 v43, v69
	v_pk_fma_f32 v[52:53], v[56:57], v[44:45], v[66:67] op_sel_hi:[1,0,1]
	v_pk_add_f32 v[38:39], v[38:39], v[40:41]
	v_mov_b32_e32 v40, v49
	v_pk_fma_f32 v[44:45], v[56:57], v[44:45], v[66:67] neg_lo:[0,0,1] neg_hi:[0,0,1]
	v_pk_fma_f32 v[54:55], v[58:59], v[46:47], v[50:51] op_sel_hi:[1,0,1]
	v_mov_b32_e32 v45, v53
	v_pk_add_f32 v[38:39], v[38:39], v[42:43]
	v_pk_mul_f32 v[40:41], v[72:73], v[40:41] op_sel_hi:[1,0]
	v_pk_fma_f32 v[42:43], v[58:59], v[46:47], v[50:51] neg_lo:[0,0,1] neg_hi:[0,0,1]
	v_mov_b32_e32 v43, v55
	s_delay_alu instid0(VALU_DEP_4) | instskip(NEXT) | instid1(VALU_DEP_4)
	v_pk_add_f32 v[38:39], v[38:39], v[44:45]
	v_pk_fma_f32 v[44:45], v[60:61], v[48:49], v[40:41] op_sel_hi:[1,0,1]
	v_pk_fma_f32 v[40:41], v[60:61], v[48:49], v[40:41] neg_lo:[0,0,1] neg_hi:[0,0,1]
	s_delay_alu instid0(VALU_DEP_3) | instskip(NEXT) | instid1(VALU_DEP_3)
	v_pk_add_f32 v[38:39], v[38:39], v[42:43]
	v_mov_b32_e32 v41, v45
	s_delay_alu instid0(VALU_DEP_1) | instskip(SKIP_1) | instid1(VALU_DEP_1)
	v_pk_add_f32 v[38:39], v[38:39], v[40:41]
	s_wait_loadcnt 0x0
	v_pk_add_f32 v[38:39], v[62:63], v[38:39] neg_lo:[0,1] neg_hi:[0,1]
	scratch_store_b64 off, v[38:39], off offset:88
	s_wait_xcnt 0x0
	v_cmpx_lt_u32_e32 10, v0
	s_cbranch_execz .LBB17_101
; %bb.100:
	scratch_load_b64 v[38:39], off, off offset:80
	v_mov_b64_e32 v[40:41], 0
	scratch_store_b64 off, v[40:41], off offset:80
	s_wait_loadcnt 0x0
	ds_store_b64 v1, v[38:39]
.LBB17_101:
	s_wait_xcnt 0x0
	s_or_b32 exec_lo, exec_lo, s0
	s_wait_storecnt_dscnt 0x0
	s_barrier_signal -1
	s_barrier_wait -1
	s_clause 0x4
	scratch_load_b128 v[38:41], off, off offset:88
	scratch_load_b128 v[42:45], off, off offset:104
	;; [unrolled: 1-line block ×3, first 2 shown]
	scratch_load_b64 v[62:63], off, off offset:136
	scratch_load_b64 v[64:65], off, off offset:80
	v_mov_b32_e32 v7, 0
	ds_load_2addr_b64 v[50:53], v7 offset0:29 offset1:30
	ds_load_2addr_b64 v[54:57], v7 offset0:31 offset1:32
	;; [unrolled: 1-line block ×3, first 2 shown]
	ds_load_b64 v[66:67], v7 offset:280
	s_mov_b32 s0, exec_lo
	s_wait_dscnt 0x3
	v_dual_mov_b32 v68, v53 :: v_dual_mov_b32 v69, v52
	s_wait_dscnt 0x2
	v_dual_mov_b32 v70, v57 :: v_dual_mov_b32 v71, v56
	;; [unrolled: 2-line block ×3, first 2 shown]
	s_wait_loadcnt 0x4
	v_pk_mul_f32 v[72:73], v[50:51], v[38:39] op_sel:[1,1] op_sel_hi:[0,1]
	v_mov_b32_e32 v74, v41
	s_wait_loadcnt 0x3
	v_pk_mul_f32 v[78:79], v[54:55], v[42:43] op_sel:[1,1] op_sel_hi:[0,1]
	s_wait_loadcnt 0x2
	v_pk_mul_f32 v[82:83], v[58:59], v[46:47] op_sel:[1,1] op_sel_hi:[0,1]
	v_pk_fma_f32 v[80:81], v[50:51], v[38:39], v[72:73] op_sel_hi:[1,0,1]
	v_pk_mul_f32 v[68:69], v[68:69], v[74:75] op_sel_hi:[1,0]
	v_pk_fma_f32 v[38:39], v[50:51], v[38:39], v[72:73] neg_lo:[0,0,1] neg_hi:[0,0,1]
	v_mov_b32_e32 v74, v45
	v_pk_fma_f32 v[72:73], v[54:55], v[42:43], v[78:79] op_sel_hi:[1,0,1]
	v_mov_b32_e32 v39, v81
	v_pk_fma_f32 v[50:51], v[52:53], v[40:41], v[68:69] op_sel_hi:[1,0,1]
	v_pk_fma_f32 v[40:41], v[52:53], v[40:41], v[68:69] neg_lo:[0,0,1] neg_hi:[0,0,1]
	v_pk_mul_f32 v[70:71], v[70:71], v[74:75] op_sel_hi:[1,0]
	v_pk_fma_f32 v[42:43], v[54:55], v[42:43], v[78:79] neg_lo:[0,0,1] neg_hi:[0,0,1]
	v_pk_add_f32 v[38:39], v[38:39], 0 op_sel_hi:[1,0]
	v_dual_mov_b32 v41, v51 :: v_dual_mov_b32 v50, v49
	s_delay_alu instid0(VALU_DEP_4) | instskip(SKIP_2) | instid1(VALU_DEP_4)
	v_pk_fma_f32 v[52:53], v[56:57], v[44:45], v[70:71] op_sel_hi:[1,0,1]
	v_mov_b32_e32 v43, v73
	v_pk_fma_f32 v[44:45], v[56:57], v[44:45], v[70:71] neg_lo:[0,0,1] neg_hi:[0,0,1]
	v_pk_add_f32 v[38:39], v[38:39], v[40:41]
	v_pk_fma_f32 v[40:41], v[58:59], v[46:47], v[82:83] op_sel_hi:[1,0,1]
	v_pk_mul_f32 v[50:51], v[76:77], v[50:51] op_sel_hi:[1,0]
	v_mov_b32_e32 v45, v53
	s_delay_alu instid0(VALU_DEP_4)
	v_pk_add_f32 v[38:39], v[38:39], v[42:43]
	v_pk_fma_f32 v[42:43], v[58:59], v[46:47], v[82:83] neg_lo:[0,0,1] neg_hi:[0,0,1]
	v_mov_b32_e32 v43, v41
	v_pk_fma_f32 v[40:41], v[60:61], v[48:49], v[50:51] op_sel_hi:[1,0,1]
	v_pk_fma_f32 v[46:47], v[60:61], v[48:49], v[50:51] neg_lo:[0,0,1] neg_hi:[0,0,1]
	v_pk_add_f32 v[38:39], v[38:39], v[44:45]
	s_wait_loadcnt_dscnt 0x100
	v_pk_mul_f32 v[44:45], v[66:67], v[62:63] op_sel:[1,1] op_sel_hi:[0,1]
	v_mov_b32_e32 v47, v41
	s_delay_alu instid0(VALU_DEP_3) | instskip(NEXT) | instid1(VALU_DEP_3)
	v_pk_add_f32 v[38:39], v[38:39], v[42:43]
	v_pk_fma_f32 v[40:41], v[66:67], v[62:63], v[44:45] op_sel_hi:[1,0,1]
	v_pk_fma_f32 v[42:43], v[66:67], v[62:63], v[44:45] neg_lo:[0,0,1] neg_hi:[0,0,1]
	s_delay_alu instid0(VALU_DEP_3) | instskip(NEXT) | instid1(VALU_DEP_3)
	v_pk_add_f32 v[38:39], v[38:39], v[46:47]
	v_mov_b32_e32 v43, v41
	s_delay_alu instid0(VALU_DEP_1) | instskip(SKIP_1) | instid1(VALU_DEP_1)
	v_pk_add_f32 v[38:39], v[38:39], v[42:43]
	s_wait_loadcnt 0x0
	v_pk_add_f32 v[38:39], v[64:65], v[38:39] neg_lo:[0,1] neg_hi:[0,1]
	scratch_store_b64 off, v[38:39], off offset:80
	s_wait_xcnt 0x0
	v_cmpx_lt_u32_e32 9, v0
	s_cbranch_execz .LBB17_103
; %bb.102:
	scratch_load_b64 v[38:39], off, off offset:72
	v_mov_b64_e32 v[40:41], 0
	scratch_store_b64 off, v[40:41], off offset:72
	s_wait_loadcnt 0x0
	ds_store_b64 v1, v[38:39]
.LBB17_103:
	s_wait_xcnt 0x0
	s_or_b32 exec_lo, exec_lo, s0
	s_wait_storecnt_dscnt 0x0
	s_barrier_signal -1
	s_barrier_wait -1
	s_clause 0x4
	scratch_load_b128 v[38:41], off, off offset:80
	scratch_load_b128 v[42:45], off, off offset:96
	;; [unrolled: 1-line block ×4, first 2 shown]
	scratch_load_b64 v[70:71], off, off offset:72
	ds_load_b128 v[54:57], v7 offset:224
	ds_load_b128 v[58:61], v7 offset:240
	;; [unrolled: 1-line block ×4, first 2 shown]
	s_mov_b32 s0, exec_lo
	s_wait_dscnt 0x3
	v_dual_mov_b32 v72, v57 :: v_dual_mov_b32 v73, v56
	s_wait_dscnt 0x2
	v_dual_mov_b32 v74, v61 :: v_dual_mov_b32 v75, v60
	;; [unrolled: 2-line block ×3, first 2 shown]
	v_dual_mov_b32 v77, v64 :: v_dual_mov_b32 v82, v69
	s_wait_loadcnt 0x4
	v_mov_b32_e32 v80, v41
	v_pk_mul_f32 v[78:79], v[54:55], v[38:39] op_sel:[1,1] op_sel_hi:[0,1]
	s_wait_loadcnt 0x3
	v_pk_mul_f32 v[84:85], v[58:59], v[42:43] op_sel:[1,1] op_sel_hi:[0,1]
	s_wait_loadcnt 0x2
	v_pk_mul_f32 v[88:89], v[62:63], v[46:47] op_sel:[1,1] op_sel_hi:[0,1]
	v_pk_mul_f32 v[72:73], v[72:73], v[80:81] op_sel_hi:[1,0]
	v_pk_fma_f32 v[86:87], v[54:55], v[38:39], v[78:79] op_sel_hi:[1,0,1]
	v_pk_fma_f32 v[38:39], v[54:55], v[38:39], v[78:79] neg_lo:[0,0,1] neg_hi:[0,0,1]
	v_mov_b32_e32 v80, v45
	v_pk_fma_f32 v[78:79], v[58:59], v[42:43], v[84:85] op_sel_hi:[1,0,1]
	v_pk_fma_f32 v[54:55], v[56:57], v[40:41], v[72:73] op_sel_hi:[1,0,1]
	v_mov_b32_e32 v39, v87
	v_pk_fma_f32 v[40:41], v[56:57], v[40:41], v[72:73] neg_lo:[0,0,1] neg_hi:[0,0,1]
	v_pk_mul_f32 v[74:75], v[74:75], v[80:81] op_sel_hi:[1,0]
	s_delay_alu instid0(VALU_DEP_4) | instskip(NEXT) | instid1(VALU_DEP_4)
	v_dual_mov_b32 v54, v49 :: v_dual_mov_b32 v41, v55
	v_pk_add_f32 v[38:39], v[38:39], 0 op_sel_hi:[1,0]
	v_pk_fma_f32 v[42:43], v[58:59], v[42:43], v[84:85] neg_lo:[0,0,1] neg_hi:[0,0,1]
	v_mov_b32_e32 v43, v79
	v_pk_fma_f32 v[56:57], v[60:61], v[44:45], v[74:75] op_sel_hi:[1,0,1]
	v_pk_mul_f32 v[54:55], v[76:77], v[54:55] op_sel_hi:[1,0]
	v_pk_add_f32 v[38:39], v[38:39], v[40:41]
	v_pk_fma_f32 v[40:41], v[62:63], v[46:47], v[88:89] op_sel_hi:[1,0,1]
	v_pk_fma_f32 v[44:45], v[60:61], v[44:45], v[74:75] neg_lo:[0,0,1] neg_hi:[0,0,1]
	v_mov_b32_e32 v45, v57
	v_pk_fma_f32 v[46:47], v[62:63], v[46:47], v[88:89] neg_lo:[0,0,1] neg_hi:[0,0,1]
	v_pk_add_f32 v[38:39], v[38:39], v[42:43]
	v_mov_b32_e32 v47, v41
	v_pk_fma_f32 v[40:41], v[64:65], v[48:49], v[54:55] op_sel_hi:[1,0,1]
	s_wait_loadcnt 0x1
	v_pk_mul_f32 v[42:43], v[66:67], v[50:51] op_sel:[1,1] op_sel_hi:[0,1]
	v_mov_b32_e32 v40, v53
	v_pk_add_f32 v[38:39], v[38:39], v[44:45]
	v_pk_fma_f32 v[48:49], v[64:65], v[48:49], v[54:55] neg_lo:[0,0,1] neg_hi:[0,0,1]
	v_mov_b32_e32 v49, v41
	v_pk_fma_f32 v[44:45], v[66:67], v[50:51], v[42:43] op_sel_hi:[1,0,1]
	v_pk_mul_f32 v[40:41], v[82:83], v[40:41] op_sel_hi:[1,0]
	v_pk_add_f32 v[38:39], v[38:39], v[46:47]
	v_pk_fma_f32 v[42:43], v[66:67], v[50:51], v[42:43] neg_lo:[0,0,1] neg_hi:[0,0,1]
	s_delay_alu instid0(VALU_DEP_4) | instskip(NEXT) | instid1(VALU_DEP_4)
	v_mov_b32_e32 v43, v45
	v_pk_fma_f32 v[44:45], v[68:69], v[52:53], v[40:41] op_sel_hi:[1,0,1]
	s_delay_alu instid0(VALU_DEP_4) | instskip(SKIP_1) | instid1(VALU_DEP_3)
	v_pk_add_f32 v[38:39], v[38:39], v[48:49]
	v_pk_fma_f32 v[40:41], v[68:69], v[52:53], v[40:41] neg_lo:[0,0,1] neg_hi:[0,0,1]
	v_mov_b32_e32 v41, v45
	s_delay_alu instid0(VALU_DEP_3) | instskip(NEXT) | instid1(VALU_DEP_1)
	v_pk_add_f32 v[38:39], v[38:39], v[42:43]
	v_pk_add_f32 v[38:39], v[38:39], v[40:41]
	s_wait_loadcnt 0x0
	s_delay_alu instid0(VALU_DEP_1)
	v_pk_add_f32 v[38:39], v[70:71], v[38:39] neg_lo:[0,1] neg_hi:[0,1]
	scratch_store_b64 off, v[38:39], off offset:72
	s_wait_xcnt 0x0
	v_cmpx_lt_u32_e32 8, v0
	s_cbranch_execz .LBB17_105
; %bb.104:
	scratch_load_b64 v[38:39], off, off offset:64
	v_mov_b64_e32 v[40:41], 0
	scratch_store_b64 off, v[40:41], off offset:64
	s_wait_loadcnt 0x0
	ds_store_b64 v1, v[38:39]
.LBB17_105:
	s_wait_xcnt 0x0
	s_or_b32 exec_lo, exec_lo, s0
	s_wait_storecnt_dscnt 0x0
	s_barrier_signal -1
	s_barrier_wait -1
	s_clause 0x5
	scratch_load_b128 v[38:41], off, off offset:72
	scratch_load_b128 v[42:45], off, off offset:88
	;; [unrolled: 1-line block ×4, first 2 shown]
	scratch_load_b64 v[70:71], off, off offset:136
	scratch_load_b64 v[72:73], off, off offset:64
	v_mov_b32_e32 v7, 0
	ds_load_2addr_b64 v[54:57], v7 offset0:27 offset1:28
	ds_load_2addr_b64 v[58:61], v7 offset0:29 offset1:30
	;; [unrolled: 1-line block ×4, first 2 shown]
	ds_load_b64 v[74:75], v7 offset:280
	s_mov_b32 s0, exec_lo
	s_wait_dscnt 0x4
	v_dual_mov_b32 v76, v57 :: v_dual_mov_b32 v77, v56
	s_wait_dscnt 0x1
	v_dual_mov_b32 v78, v61 :: v_dual_mov_b32 v83, v68
	v_dual_mov_b32 v79, v60 :: v_dual_mov_b32 v80, v65
	;; [unrolled: 1-line block ×3, first 2 shown]
	s_wait_loadcnt 0x5
	v_dual_mov_b32 v84, v41 :: v_dual_mul_f32 v85, v54, v39
	v_mul_f32_e32 v9, v55, v39
	s_wait_loadcnt 0x4
	v_pk_mul_f32 v[86:87], v[58:59], v[42:43] op_sel:[1,1] op_sel_hi:[0,1]
	v_mov_b32_e32 v88, v45
	s_wait_loadcnt 0x3
	v_pk_mul_f32 v[90:91], v[62:63], v[46:47] op_sel:[1,1] op_sel_hi:[0,1]
	v_pk_mul_f32 v[76:77], v[76:77], v[84:85] op_sel_hi:[1,0]
	v_fmac_f32_e32 v85, v55, v38
	v_dual_fma_f32 v84, v54, v38, -v9 :: v_dual_mov_b32 v38, v49
	v_pk_fma_f32 v[92:93], v[58:59], v[42:43], v[86:87] op_sel_hi:[1,0,1]
	s_delay_alu instid0(VALU_DEP_4)
	v_pk_fma_f32 v[54:55], v[56:57], v[40:41], v[76:77] op_sel_hi:[1,0,1]
	v_pk_fma_f32 v[40:41], v[56:57], v[40:41], v[76:77] neg_lo:[0,0,1] neg_hi:[0,0,1]
	v_pk_mul_f32 v[78:79], v[78:79], v[88:89] op_sel_hi:[1,0]
	v_pk_add_f32 v[84:85], v[84:85], 0 op_sel_hi:[1,0]
	v_pk_fma_f32 v[42:43], v[58:59], v[42:43], v[86:87] neg_lo:[0,0,1] neg_hi:[0,0,1]
	v_dual_mov_b32 v41, v55 :: v_dual_mov_b32 v43, v93
	s_delay_alu instid0(VALU_DEP_4) | instskip(SKIP_2) | instid1(VALU_DEP_4)
	v_pk_fma_f32 v[56:57], v[60:61], v[44:45], v[78:79] op_sel_hi:[1,0,1]
	v_pk_fma_f32 v[44:45], v[60:61], v[44:45], v[78:79] neg_lo:[0,0,1] neg_hi:[0,0,1]
	v_pk_fma_f32 v[58:59], v[62:63], v[46:47], v[90:91] op_sel_hi:[1,0,1]
	v_pk_add_f32 v[40:41], v[84:85], v[40:41]
	v_pk_mul_f32 v[38:39], v[80:81], v[38:39] op_sel_hi:[1,0]
	v_mov_b32_e32 v45, v57
	v_pk_fma_f32 v[46:47], v[62:63], v[46:47], v[90:91] neg_lo:[0,0,1] neg_hi:[0,0,1]
	s_wait_loadcnt 0x2
	v_pk_mul_f32 v[54:55], v[66:67], v[50:51] op_sel:[1,1] op_sel_hi:[0,1]
	v_pk_add_f32 v[40:41], v[40:41], v[42:43]
	v_mov_b32_e32 v42, v53
	v_pk_fma_f32 v[56:57], v[64:65], v[48:49], v[38:39] op_sel_hi:[1,0,1]
	v_mov_b32_e32 v47, v59
	v_pk_fma_f32 v[38:39], v[64:65], v[48:49], v[38:39] neg_lo:[0,0,1] neg_hi:[0,0,1]
	v_pk_add_f32 v[40:41], v[40:41], v[44:45]
	v_pk_fma_f32 v[44:45], v[66:67], v[50:51], v[54:55] op_sel_hi:[1,0,1]
	v_pk_mul_f32 v[42:43], v[82:83], v[42:43] op_sel_hi:[1,0]
	v_mov_b32_e32 v39, v57
	s_delay_alu instid0(VALU_DEP_4)
	v_pk_add_f32 v[40:41], v[40:41], v[46:47]
	v_pk_fma_f32 v[46:47], v[66:67], v[50:51], v[54:55] neg_lo:[0,0,1] neg_hi:[0,0,1]
	v_mov_b32_e32 v47, v45
	v_pk_fma_f32 v[44:45], v[68:69], v[52:53], v[42:43] op_sel_hi:[1,0,1]
	v_pk_fma_f32 v[42:43], v[68:69], v[52:53], v[42:43] neg_lo:[0,0,1] neg_hi:[0,0,1]
	v_pk_add_f32 v[38:39], v[40:41], v[38:39]
	s_wait_loadcnt_dscnt 0x100
	v_pk_mul_f32 v[40:41], v[74:75], v[70:71] op_sel:[1,1] op_sel_hi:[0,1]
	v_mov_b32_e32 v43, v45
	s_delay_alu instid0(VALU_DEP_3) | instskip(NEXT) | instid1(VALU_DEP_3)
	v_pk_add_f32 v[38:39], v[38:39], v[46:47]
	v_pk_fma_f32 v[44:45], v[74:75], v[70:71], v[40:41] op_sel_hi:[1,0,1]
	v_pk_fma_f32 v[40:41], v[74:75], v[70:71], v[40:41] neg_lo:[0,0,1] neg_hi:[0,0,1]
	s_delay_alu instid0(VALU_DEP_3) | instskip(NEXT) | instid1(VALU_DEP_3)
	v_pk_add_f32 v[38:39], v[38:39], v[42:43]
	v_mov_b32_e32 v41, v45
	s_delay_alu instid0(VALU_DEP_1) | instskip(SKIP_1) | instid1(VALU_DEP_1)
	v_pk_add_f32 v[38:39], v[38:39], v[40:41]
	s_wait_loadcnt 0x0
	v_pk_add_f32 v[38:39], v[72:73], v[38:39] neg_lo:[0,1] neg_hi:[0,1]
	scratch_store_b64 off, v[38:39], off offset:64
	s_wait_xcnt 0x0
	v_cmpx_lt_u32_e32 7, v0
	s_cbranch_execz .LBB17_107
; %bb.106:
	scratch_load_b64 v[38:39], off, off offset:56
	v_mov_b64_e32 v[40:41], 0
	scratch_store_b64 off, v[40:41], off offset:56
	s_wait_loadcnt 0x0
	ds_store_b64 v1, v[38:39]
.LBB17_107:
	s_wait_xcnt 0x0
	s_or_b32 exec_lo, exec_lo, s0
	s_wait_storecnt_dscnt 0x0
	s_barrier_signal -1
	s_barrier_wait -1
	s_clause 0x5
	scratch_load_b128 v[38:41], off, off offset:64
	scratch_load_b128 v[42:45], off, off offset:80
	;; [unrolled: 1-line block ×5, first 2 shown]
	scratch_load_b64 v[78:79], off, off offset:56
	ds_load_b128 v[58:61], v7 offset:224
	ds_load_b128 v[62:65], v7 offset:240
	;; [unrolled: 1-line block ×5, first 2 shown]
	s_mov_b32 s0, exec_lo
	s_wait_dscnt 0x4
	v_dual_mov_b32 v80, v61 :: v_dual_mov_b32 v81, v60
	s_wait_dscnt 0x3
	v_dual_mov_b32 v82, v65 :: v_dual_mov_b32 v83, v64
	;; [unrolled: 2-line block ×4, first 2 shown]
	s_wait_loadcnt_dscnt 0x500
	v_dual_mul_f32 v89, v74, v39 :: v_dual_mul_f32 v91, v76, v41
	v_dual_mul_f32 v7, v75, v39 :: v_dual_mul_f32 v9, v77, v41
	s_wait_loadcnt 0x4
	v_pk_mul_f32 v[92:93], v[58:59], v[42:43] op_sel:[1,1] op_sel_hi:[0,1]
	s_wait_loadcnt 0x3
	v_dual_mov_b32 v94, v45 :: v_dual_mov_b32 v98, v49
	v_dual_fmac_f32 v89, v75, v38 :: v_dual_fma_f32 v88, v74, v38, -v7
	v_dual_fmac_f32 v91, v77, v40 :: v_dual_fma_f32 v90, v76, v40, -v9
	v_pk_fma_f32 v[38:39], v[58:59], v[42:43], v[92:93] op_sel_hi:[1,0,1]
	s_delay_alu instid0(VALU_DEP_4) | instskip(NEXT) | instid1(VALU_DEP_4)
	v_pk_mul_f32 v[40:41], v[80:81], v[94:95] op_sel_hi:[1,0]
	v_pk_add_f32 v[74:75], v[88:89], 0 op_sel_hi:[1,0]
	v_pk_fma_f32 v[42:43], v[58:59], v[42:43], v[92:93] neg_lo:[0,0,1] neg_hi:[0,0,1]
	v_pk_mul_f32 v[96:97], v[62:63], v[46:47] op_sel:[1,1] op_sel_hi:[0,1]
	v_mov_b32_e32 v43, v39
	v_pk_fma_f32 v[38:39], v[60:61], v[44:45], v[40:41] op_sel_hi:[1,0,1]
	v_pk_add_f32 v[58:59], v[74:75], v[90:91]
	v_pk_fma_f32 v[40:41], v[60:61], v[44:45], v[40:41] neg_lo:[0,0,1] neg_hi:[0,0,1]
	v_pk_fma_f32 v[74:75], v[62:63], v[46:47], v[96:97] op_sel_hi:[1,0,1]
	v_pk_mul_f32 v[80:81], v[82:83], v[98:99] op_sel_hi:[1,0]
	v_mov_b32_e32 v41, v39
	v_pk_add_f32 v[38:39], v[58:59], v[42:43]
	s_wait_loadcnt 0x2
	v_pk_mul_f32 v[76:77], v[66:67], v[50:51] op_sel:[1,1] op_sel_hi:[0,1]
	v_mov_b32_e32 v42, v53
	v_pk_fma_f32 v[44:45], v[62:63], v[46:47], v[96:97] neg_lo:[0,0,1] neg_hi:[0,0,1]
	v_mov_b32_e32 v45, v75
	v_pk_fma_f32 v[46:47], v[64:65], v[48:49], v[80:81] op_sel_hi:[1,0,1]
	v_pk_add_f32 v[38:39], v[38:39], v[40:41]
	v_pk_fma_f32 v[40:41], v[66:67], v[50:51], v[76:77] op_sel_hi:[1,0,1]
	v_pk_mul_f32 v[42:43], v[84:85], v[42:43] op_sel_hi:[1,0]
	v_pk_fma_f32 v[48:49], v[64:65], v[48:49], v[80:81] neg_lo:[0,0,1] neg_hi:[0,0,1]
	v_mov_b32_e32 v49, v47
	v_pk_add_f32 v[38:39], v[38:39], v[44:45]
	v_pk_fma_f32 v[46:47], v[66:67], v[50:51], v[76:77] neg_lo:[0,0,1] neg_hi:[0,0,1]
	v_mov_b32_e32 v47, v41
	v_pk_fma_f32 v[40:41], v[68:69], v[52:53], v[42:43] op_sel_hi:[1,0,1]
	s_wait_loadcnt 0x1
	v_pk_mul_f32 v[44:45], v[70:71], v[54:55] op_sel:[1,1] op_sel_hi:[0,1]
	v_pk_add_f32 v[38:39], v[38:39], v[48:49]
	v_mov_b32_e32 v40, v57
	v_pk_fma_f32 v[42:43], v[68:69], v[52:53], v[42:43] neg_lo:[0,0,1] neg_hi:[0,0,1]
	v_mov_b32_e32 v43, v41
	v_pk_fma_f32 v[48:49], v[70:71], v[54:55], v[44:45] op_sel_hi:[1,0,1]
	v_pk_add_f32 v[38:39], v[38:39], v[46:47]
	v_pk_mul_f32 v[40:41], v[86:87], v[40:41] op_sel_hi:[1,0]
	v_pk_fma_f32 v[44:45], v[70:71], v[54:55], v[44:45] neg_lo:[0,0,1] neg_hi:[0,0,1]
	s_delay_alu instid0(VALU_DEP_3) | instskip(NEXT) | instid1(VALU_DEP_3)
	v_pk_add_f32 v[38:39], v[38:39], v[42:43]
	v_pk_fma_f32 v[42:43], v[72:73], v[56:57], v[40:41] op_sel_hi:[1,0,1]
	v_mov_b32_e32 v45, v49
	v_pk_fma_f32 v[40:41], v[72:73], v[56:57], v[40:41] neg_lo:[0,0,1] neg_hi:[0,0,1]
	s_delay_alu instid0(VALU_DEP_3) | instskip(NEXT) | instid1(VALU_DEP_3)
	v_mov_b32_e32 v41, v43
	v_pk_add_f32 v[38:39], v[38:39], v[44:45]
	s_delay_alu instid0(VALU_DEP_1) | instskip(SKIP_1) | instid1(VALU_DEP_1)
	v_pk_add_f32 v[38:39], v[38:39], v[40:41]
	s_wait_loadcnt 0x0
	v_pk_add_f32 v[38:39], v[78:79], v[38:39] neg_lo:[0,1] neg_hi:[0,1]
	scratch_store_b64 off, v[38:39], off offset:56
	s_wait_xcnt 0x0
	v_cmpx_lt_u32_e32 6, v0
	s_cbranch_execz .LBB17_109
; %bb.108:
	scratch_load_b64 v[38:39], off, off offset:48
	v_mov_b64_e32 v[40:41], 0
	scratch_store_b64 off, v[40:41], off offset:48
	s_wait_loadcnt 0x0
	ds_store_b64 v1, v[38:39]
.LBB17_109:
	s_wait_xcnt 0x0
	s_or_b32 exec_lo, exec_lo, s0
	s_wait_storecnt_dscnt 0x0
	s_barrier_signal -1
	s_barrier_wait -1
	s_clause 0x6
	scratch_load_b128 v[38:41], off, off offset:56
	scratch_load_b128 v[42:45], off, off offset:72
	;; [unrolled: 1-line block ×5, first 2 shown]
	scratch_load_b64 v[78:79], off, off offset:136
	scratch_load_b64 v[80:81], off, off offset:48
	v_mov_b32_e32 v7, 0
	ds_load_2addr_b64 v[58:61], v7 offset0:27 offset1:28
	ds_load_2addr_b64 v[62:65], v7 offset0:29 offset1:30
	;; [unrolled: 1-line block ×5, first 2 shown]
	ds_load_b64 v[82:83], v7 offset:280
	s_mov_b32 s0, exec_lo
	s_wait_dscnt 0x5
	v_dual_mov_b32 v84, v61 :: v_dual_mov_b32 v85, v60
	s_wait_dscnt 0x2
	v_dual_mov_b32 v86, v65 :: v_dual_mov_b32 v91, v72
	v_dual_mov_b32 v87, v64 :: v_dual_mov_b32 v88, v69
	;; [unrolled: 1-line block ×3, first 2 shown]
	s_wait_loadcnt_dscnt 0x601
	v_dual_mul_f32 v9, v74, v39 :: v_dual_mul_f32 v11, v75, v39
	v_dual_mul_f32 v13, v77, v41 :: v_dual_mul_f32 v93, v76, v41
	s_wait_loadcnt 0x5
	v_dual_mul_f32 v95, v58, v43 :: v_dual_mul_f32 v15, v59, v43
	s_wait_loadcnt 0x4
	v_dual_mov_b32 v94, v45 :: v_dual_mov_b32 v98, v49
	v_dual_fmac_f32 v9, v75, v38 :: v_dual_fma_f32 v11, v74, v38, -v11
	v_fmac_f32_e32 v93, v77, v40
	v_pk_mul_f32 v[96:97], v[62:63], v[46:47] op_sel:[1,1] op_sel_hi:[0,1]
	s_delay_alu instid0(VALU_DEP_3)
	v_dual_fma_f32 v92, v76, v40, -v13 :: v_dual_add_f32 v41, 0, v9
	v_pk_mul_f32 v[38:39], v[84:85], v[94:95] op_sel_hi:[1,0]
	s_wait_loadcnt 0x3
	v_dual_add_f32 v40, 0, v11 :: v_dual_mov_b32 v74, v53
	v_fmac_f32_e32 v95, v59, v42
	v_fma_f32 v94, v58, v42, -v15
	v_pk_fma_f32 v[42:43], v[60:61], v[44:45], v[38:39] op_sel_hi:[1,0,1]
	s_delay_alu instid0(VALU_DEP_4) | instskip(SKIP_4) | instid1(VALU_DEP_4)
	v_pk_add_f32 v[40:41], v[40:41], v[92:93]
	v_pk_fma_f32 v[58:59], v[62:63], v[46:47], v[96:97] op_sel_hi:[1,0,1]
	v_pk_fma_f32 v[38:39], v[60:61], v[44:45], v[38:39] neg_lo:[0,0,1] neg_hi:[0,0,1]
	v_pk_fma_f32 v[44:45], v[62:63], v[46:47], v[96:97] neg_lo:[0,0,1] neg_hi:[0,0,1]
	v_pk_mul_f32 v[76:77], v[86:87], v[98:99] op_sel_hi:[1,0]
	v_dual_mov_b32 v39, v43 :: v_dual_mov_b32 v45, v59
	v_pk_add_f32 v[40:41], v[40:41], v[94:95]
	v_pk_mul_f32 v[100:101], v[66:67], v[50:51] op_sel:[1,1] op_sel_hi:[0,1]
	s_delay_alu instid0(VALU_DEP_4)
	v_pk_fma_f32 v[46:47], v[64:65], v[48:49], v[76:77] op_sel_hi:[1,0,1]
	v_pk_fma_f32 v[48:49], v[64:65], v[48:49], v[76:77] neg_lo:[0,0,1] neg_hi:[0,0,1]
	v_pk_mul_f32 v[58:59], v[88:89], v[74:75] op_sel_hi:[1,0]
	v_pk_add_f32 v[38:39], v[40:41], v[38:39]
	v_pk_fma_f32 v[40:41], v[66:67], v[50:51], v[100:101] op_sel_hi:[1,0,1]
	s_wait_loadcnt 0x2
	v_dual_mov_b32 v49, v47 :: v_dual_mov_b32 v40, v57
	v_pk_mul_f32 v[42:43], v[70:71], v[54:55] op_sel:[1,1] op_sel_hi:[0,1]
	v_pk_add_f32 v[38:39], v[38:39], v[44:45]
	v_pk_fma_f32 v[44:45], v[66:67], v[50:51], v[100:101] neg_lo:[0,0,1] neg_hi:[0,0,1]
	v_pk_fma_f32 v[46:47], v[68:69], v[52:53], v[58:59] op_sel_hi:[1,0,1]
	v_mov_b32_e32 v45, v41
	v_pk_fma_f32 v[50:51], v[68:69], v[52:53], v[58:59] neg_lo:[0,0,1] neg_hi:[0,0,1]
	v_pk_add_f32 v[38:39], v[38:39], v[48:49]
	v_pk_fma_f32 v[48:49], v[70:71], v[54:55], v[42:43] op_sel_hi:[1,0,1]
	v_pk_mul_f32 v[40:41], v[90:91], v[40:41] op_sel_hi:[1,0]
	v_mov_b32_e32 v51, v47
	v_pk_fma_f32 v[42:43], v[70:71], v[54:55], v[42:43] neg_lo:[0,0,1] neg_hi:[0,0,1]
	v_pk_add_f32 v[38:39], v[38:39], v[44:45]
	s_wait_loadcnt_dscnt 0x100
	v_pk_mul_f32 v[46:47], v[82:83], v[78:79] op_sel:[1,1] op_sel_hi:[0,1]
	v_pk_fma_f32 v[44:45], v[72:73], v[56:57], v[40:41] op_sel_hi:[1,0,1]
	v_mov_b32_e32 v43, v49
	v_pk_fma_f32 v[40:41], v[72:73], v[56:57], v[40:41] neg_lo:[0,0,1] neg_hi:[0,0,1]
	v_pk_add_f32 v[38:39], v[38:39], v[50:51]
	s_delay_alu instid0(VALU_DEP_4) | instskip(SKIP_1) | instid1(VALU_DEP_3)
	v_mov_b32_e32 v41, v45
	v_pk_fma_f32 v[44:45], v[82:83], v[78:79], v[46:47] neg_lo:[0,0,1] neg_hi:[0,0,1]
	v_pk_add_f32 v[38:39], v[38:39], v[42:43]
	v_pk_fma_f32 v[42:43], v[82:83], v[78:79], v[46:47] op_sel_hi:[1,0,1]
	s_delay_alu instid0(VALU_DEP_2) | instskip(NEXT) | instid1(VALU_DEP_2)
	v_pk_add_f32 v[38:39], v[38:39], v[40:41]
	v_mov_b32_e32 v45, v43
	s_delay_alu instid0(VALU_DEP_1) | instskip(SKIP_1) | instid1(VALU_DEP_1)
	v_pk_add_f32 v[38:39], v[38:39], v[44:45]
	s_wait_loadcnt 0x0
	v_pk_add_f32 v[38:39], v[80:81], v[38:39] neg_lo:[0,1] neg_hi:[0,1]
	scratch_store_b64 off, v[38:39], off offset:48
	s_wait_xcnt 0x0
	v_cmpx_lt_u32_e32 5, v0
	s_cbranch_execz .LBB17_111
; %bb.110:
	scratch_load_b64 v[38:39], off, off offset:40
	v_mov_b64_e32 v[40:41], 0
	scratch_store_b64 off, v[40:41], off offset:40
	s_wait_loadcnt 0x0
	ds_store_b64 v1, v[38:39]
.LBB17_111:
	s_wait_xcnt 0x0
	s_or_b32 exec_lo, exec_lo, s0
	s_wait_storecnt_dscnt 0x0
	s_barrier_signal -1
	s_barrier_wait -1
	s_clause 0x6
	scratch_load_b128 v[38:41], off, off offset:48
	scratch_load_b128 v[42:45], off, off offset:64
	scratch_load_b128 v[46:49], off, off offset:80
	scratch_load_b128 v[50:53], off, off offset:96
	scratch_load_b128 v[54:57], off, off offset:112
	scratch_load_b128 v[58:61], off, off offset:128
	scratch_load_b64 v[86:87], off, off offset:40
	ds_load_b128 v[62:65], v7 offset:224
	ds_load_b128 v[66:69], v7 offset:240
	;; [unrolled: 1-line block ×6, first 2 shown]
	s_mov_b32 s0, exec_lo
	s_wait_dscnt 0x5
	v_dual_mov_b32 v88, v65 :: v_dual_mov_b32 v89, v64
	s_wait_dscnt 0x4
	v_dual_mov_b32 v90, v69 :: v_dual_mov_b32 v91, v68
	;; [unrolled: 2-line block ×4, first 2 shown]
	s_wait_loadcnt_dscnt 0x601
	v_dual_mul_f32 v7, v78, v39 :: v_dual_mul_f32 v9, v80, v41
	v_dual_mul_f32 v11, v79, v39 :: v_dual_mul_f32 v13, v81, v41
	s_wait_loadcnt 0x4
	s_delay_alu instid0(VALU_DEP_2)
	v_dual_mov_b32 v102, v49 :: v_dual_fmac_f32 v7, v79, v38
	s_wait_dscnt 0x0
	v_dual_mul_f32 v97, v82, v43 :: v_dual_mul_f32 v99, v84, v45
	v_dual_fma_f32 v11, v78, v38, -v11 :: v_dual_fmac_f32 v9, v81, v40
	v_dual_mul_f32 v15, v83, v43 :: v_dual_mul_f32 v17, v85, v45
	v_dual_fma_f32 v13, v80, v40, -v13 :: v_dual_add_f32 v7, 0, v7
	s_wait_loadcnt 0x3
	s_delay_alu instid0(VALU_DEP_3) | instskip(SKIP_3) | instid1(VALU_DEP_4)
	v_dual_add_f32 v11, 0, v11 :: v_dual_mov_b32 v40, v53
	v_pk_mul_f32 v[100:101], v[62:63], v[46:47] op_sel:[1,1] op_sel_hi:[0,1]
	v_dual_fmac_f32 v97, v83, v42 :: v_dual_fma_f32 v96, v82, v42, -v15
	v_dual_add_f32 v43, v7, v9 :: v_dual_fmac_f32 v99, v85, v44
	v_dual_add_f32 v42, v11, v13 :: v_dual_fma_f32 v98, v84, v44, -v17
	s_delay_alu instid0(VALU_DEP_4) | instskip(SKIP_2) | instid1(VALU_DEP_4)
	v_pk_fma_f32 v[44:45], v[62:63], v[46:47], v[100:101] op_sel_hi:[1,0,1]
	v_pk_mul_f32 v[78:79], v[88:89], v[102:103] op_sel_hi:[1,0]
	v_pk_fma_f32 v[46:47], v[62:63], v[46:47], v[100:101] neg_lo:[0,0,1] neg_hi:[0,0,1]
	v_pk_add_f32 v[42:43], v[42:43], v[96:97]
	v_pk_mul_f32 v[38:39], v[66:67], v[50:51] op_sel:[1,1] op_sel_hi:[0,1]
	v_mov_b32_e32 v47, v45
	v_pk_fma_f32 v[44:45], v[64:65], v[48:49], v[78:79] op_sel_hi:[1,0,1]
	v_pk_fma_f32 v[48:49], v[64:65], v[48:49], v[78:79] neg_lo:[0,0,1] neg_hi:[0,0,1]
	v_pk_add_f32 v[42:43], v[42:43], v[98:99]
	v_pk_fma_f32 v[62:63], v[66:67], v[50:51], v[38:39] op_sel_hi:[1,0,1]
	v_pk_mul_f32 v[40:41], v[90:91], v[40:41] op_sel_hi:[1,0]
	v_mov_b32_e32 v49, v45
	v_pk_fma_f32 v[38:39], v[66:67], v[50:51], v[38:39] neg_lo:[0,0,1] neg_hi:[0,0,1]
	v_pk_add_f32 v[42:43], v[42:43], v[46:47]
	s_wait_loadcnt 0x2
	v_pk_mul_f32 v[80:81], v[70:71], v[54:55] op_sel:[1,1] op_sel_hi:[0,1]
	v_dual_mov_b32 v44, v57 :: v_dual_mov_b32 v39, v63
	v_pk_fma_f32 v[46:47], v[68:69], v[52:53], v[40:41] op_sel_hi:[1,0,1]
	v_pk_add_f32 v[42:43], v[42:43], v[48:49]
	v_pk_fma_f32 v[40:41], v[68:69], v[52:53], v[40:41] neg_lo:[0,0,1] neg_hi:[0,0,1]
	v_pk_fma_f32 v[48:49], v[70:71], v[54:55], v[80:81] op_sel_hi:[1,0,1]
	v_pk_mul_f32 v[44:45], v[92:93], v[44:45] op_sel_hi:[1,0]
	v_mov_b32_e32 v41, v47
	v_pk_add_f32 v[38:39], v[42:43], v[38:39]
	v_pk_fma_f32 v[46:47], v[70:71], v[54:55], v[80:81] neg_lo:[0,0,1] neg_hi:[0,0,1]
	s_wait_loadcnt 0x1
	v_pk_mul_f32 v[42:43], v[74:75], v[58:59] op_sel:[1,1] op_sel_hi:[0,1]
	v_mov_b32_e32 v47, v49
	v_pk_fma_f32 v[48:49], v[72:73], v[56:57], v[44:45] op_sel_hi:[1,0,1]
	v_pk_add_f32 v[38:39], v[38:39], v[40:41]
	v_mov_b32_e32 v40, v61
	v_pk_fma_f32 v[44:45], v[72:73], v[56:57], v[44:45] neg_lo:[0,0,1] neg_hi:[0,0,1]
	v_pk_fma_f32 v[50:51], v[74:75], v[58:59], v[42:43] op_sel_hi:[1,0,1]
	v_mov_b32_e32 v45, v49
	v_pk_add_f32 v[38:39], v[38:39], v[46:47]
	v_pk_mul_f32 v[40:41], v[94:95], v[40:41] op_sel_hi:[1,0]
	v_pk_fma_f32 v[42:43], v[74:75], v[58:59], v[42:43] neg_lo:[0,0,1] neg_hi:[0,0,1]
	s_delay_alu instid0(VALU_DEP_3) | instskip(NEXT) | instid1(VALU_DEP_3)
	v_pk_add_f32 v[38:39], v[38:39], v[44:45]
	v_pk_fma_f32 v[44:45], v[76:77], v[60:61], v[40:41] op_sel_hi:[1,0,1]
	v_mov_b32_e32 v43, v51
	v_pk_fma_f32 v[40:41], v[76:77], v[60:61], v[40:41] neg_lo:[0,0,1] neg_hi:[0,0,1]
	s_delay_alu instid0(VALU_DEP_3) | instskip(NEXT) | instid1(VALU_DEP_3)
	v_mov_b32_e32 v41, v45
	v_pk_add_f32 v[38:39], v[38:39], v[42:43]
	s_delay_alu instid0(VALU_DEP_1) | instskip(SKIP_1) | instid1(VALU_DEP_1)
	v_pk_add_f32 v[38:39], v[38:39], v[40:41]
	s_wait_loadcnt 0x0
	v_pk_add_f32 v[38:39], v[86:87], v[38:39] neg_lo:[0,1] neg_hi:[0,1]
	scratch_store_b64 off, v[38:39], off offset:40
	s_wait_xcnt 0x0
	v_cmpx_lt_u32_e32 4, v0
	s_cbranch_execz .LBB17_113
; %bb.112:
	scratch_load_b64 v[38:39], off, off offset:32
	v_mov_b64_e32 v[40:41], 0
	scratch_store_b64 off, v[40:41], off offset:32
	s_wait_loadcnt 0x0
	ds_store_b64 v1, v[38:39]
.LBB17_113:
	s_wait_xcnt 0x0
	s_or_b32 exec_lo, exec_lo, s0
	s_wait_storecnt_dscnt 0x0
	s_barrier_signal -1
	s_barrier_wait -1
	s_clause 0x7
	scratch_load_b128 v[38:41], off, off offset:40
	scratch_load_b128 v[42:45], off, off offset:56
	;; [unrolled: 1-line block ×6, first 2 shown]
	scratch_load_b64 v[86:87], off, off offset:136
	scratch_load_b64 v[88:89], off, off offset:32
	v_mov_b32_e32 v7, 0
	ds_load_2addr_b64 v[62:65], v7 offset0:27 offset1:28
	ds_load_2addr_b64 v[66:69], v7 offset0:29 offset1:30
	;; [unrolled: 1-line block ×6, first 2 shown]
	ds_load_b64 v[90:91], v7 offset:280
	s_mov_b32 s0, exec_lo
	s_wait_dscnt 0x6
	v_dual_mov_b32 v92, v65 :: v_dual_mov_b32 v93, v64
	s_wait_dscnt 0x3
	v_dual_mov_b32 v94, v69 :: v_dual_mov_b32 v99, v76
	v_dual_mov_b32 v95, v68 :: v_dual_mov_b32 v96, v73
	;; [unrolled: 1-line block ×3, first 2 shown]
	s_wait_loadcnt_dscnt 0x702
	v_dual_mul_f32 v9, v78, v39 :: v_dual_mul_f32 v15, v79, v39
	v_dual_mul_f32 v17, v81, v41 :: v_dual_mul_f32 v11, v80, v41
	s_wait_loadcnt_dscnt 0x601
	s_delay_alu instid0(VALU_DEP_2) | instskip(NEXT) | instid1(VALU_DEP_3)
	v_dual_mul_f32 v13, v82, v43 :: v_dual_fmac_f32 v9, v79, v38
	v_dual_fma_f32 v15, v78, v38, -v15 :: v_dual_mul_f32 v19, v83, v43
	v_mul_f32_e32 v21, v85, v45
	s_wait_loadcnt 0x4
	v_dual_mov_b32 v38, v53 :: v_dual_fma_f32 v17, v80, v40, -v17
	v_dual_fmac_f32 v11, v81, v40 :: v_dual_add_f32 v9, 0, v9
	v_dual_add_f32 v15, 0, v15 :: v_dual_fmac_f32 v13, v83, v42
	v_dual_mul_f32 v101, v84, v45 :: v_dual_mul_f32 v103, v62, v47
	v_dual_mul_f32 v23, v63, v47 :: v_dual_mov_b32 v102, v49
	s_delay_alu instid0(VALU_DEP_4) | instskip(NEXT) | instid1(VALU_DEP_3)
	v_dual_fma_f32 v19, v82, v42, -v19 :: v_dual_add_f32 v9, v9, v11
	v_dual_add_f32 v11, v15, v17 :: v_dual_fmac_f32 v101, v85, v44
	v_pk_mul_f32 v[104:105], v[66:67], v[50:51] op_sel:[1,1] op_sel_hi:[0,1]
	s_delay_alu instid0(VALU_DEP_3)
	v_dual_fma_f32 v100, v84, v44, -v21 :: v_dual_add_f32 v45, v9, v13
	v_pk_mul_f32 v[42:43], v[92:93], v[102:103] op_sel_hi:[1,0]
	s_wait_loadcnt 0x3
	v_dual_add_f32 v44, v11, v19 :: v_dual_mov_b32 v78, v57
	v_fmac_f32_e32 v103, v63, v46
	v_fma_f32 v102, v62, v46, -v23
	v_pk_fma_f32 v[46:47], v[64:65], v[48:49], v[42:43] op_sel_hi:[1,0,1]
	s_delay_alu instid0(VALU_DEP_4) | instskip(SKIP_4) | instid1(VALU_DEP_4)
	v_pk_add_f32 v[44:45], v[44:45], v[100:101]
	v_pk_fma_f32 v[62:63], v[66:67], v[50:51], v[104:105] op_sel_hi:[1,0,1]
	v_pk_fma_f32 v[42:43], v[64:65], v[48:49], v[42:43] neg_lo:[0,0,1] neg_hi:[0,0,1]
	v_pk_fma_f32 v[48:49], v[66:67], v[50:51], v[104:105] neg_lo:[0,0,1] neg_hi:[0,0,1]
	v_pk_mul_f32 v[38:39], v[94:95], v[38:39] op_sel_hi:[1,0]
	v_dual_mov_b32 v43, v47 :: v_dual_mov_b32 v49, v63
	v_pk_add_f32 v[44:45], v[44:45], v[102:103]
	v_pk_mul_f32 v[40:41], v[70:71], v[54:55] op_sel:[1,1] op_sel_hi:[0,1]
	s_delay_alu instid0(VALU_DEP_4)
	v_pk_fma_f32 v[50:51], v[68:69], v[52:53], v[38:39] op_sel_hi:[1,0,1]
	v_pk_fma_f32 v[38:39], v[68:69], v[52:53], v[38:39] neg_lo:[0,0,1] neg_hi:[0,0,1]
	v_pk_mul_f32 v[62:63], v[96:97], v[78:79] op_sel_hi:[1,0]
	v_pk_add_f32 v[42:43], v[44:45], v[42:43]
	v_pk_fma_f32 v[44:45], v[70:71], v[54:55], v[40:41] op_sel_hi:[1,0,1]
	s_wait_loadcnt 0x2
	v_dual_mov_b32 v39, v51 :: v_dual_mov_b32 v44, v61
	v_pk_fma_f32 v[40:41], v[70:71], v[54:55], v[40:41] neg_lo:[0,0,1] neg_hi:[0,0,1]
	v_pk_add_f32 v[42:43], v[42:43], v[48:49]
	v_pk_mul_f32 v[46:47], v[74:75], v[58:59] op_sel:[1,1] op_sel_hi:[0,1]
	v_pk_fma_f32 v[48:49], v[72:73], v[56:57], v[62:63] op_sel_hi:[1,0,1]
	v_mov_b32_e32 v41, v45
	v_pk_fma_f32 v[50:51], v[72:73], v[56:57], v[62:63] neg_lo:[0,0,1] neg_hi:[0,0,1]
	v_pk_add_f32 v[38:39], v[42:43], v[38:39]
	v_pk_fma_f32 v[42:43], v[74:75], v[58:59], v[46:47] op_sel_hi:[1,0,1]
	v_pk_mul_f32 v[44:45], v[98:99], v[44:45] op_sel_hi:[1,0]
	v_mov_b32_e32 v51, v49
	s_delay_alu instid0(VALU_DEP_4)
	v_pk_add_f32 v[38:39], v[38:39], v[40:41]
	v_pk_fma_f32 v[40:41], v[74:75], v[58:59], v[46:47] neg_lo:[0,0,1] neg_hi:[0,0,1]
	v_mov_b32_e32 v41, v43
	v_pk_fma_f32 v[42:43], v[76:77], v[60:61], v[44:45] op_sel_hi:[1,0,1]
	s_wait_loadcnt_dscnt 0x100
	v_pk_mul_f32 v[46:47], v[90:91], v[86:87] op_sel:[1,1] op_sel_hi:[0,1]
	v_pk_add_f32 v[38:39], v[38:39], v[50:51]
	v_pk_fma_f32 v[44:45], v[76:77], v[60:61], v[44:45] neg_lo:[0,0,1] neg_hi:[0,0,1]
	v_mov_b32_e32 v45, v43
	s_delay_alu instid0(VALU_DEP_4) | instskip(NEXT) | instid1(VALU_DEP_4)
	v_pk_fma_f32 v[42:43], v[90:91], v[86:87], v[46:47] neg_lo:[0,0,1] neg_hi:[0,0,1]
	v_pk_add_f32 v[38:39], v[38:39], v[40:41]
	v_pk_fma_f32 v[40:41], v[90:91], v[86:87], v[46:47] op_sel_hi:[1,0,1]
	s_delay_alu instid0(VALU_DEP_2) | instskip(NEXT) | instid1(VALU_DEP_2)
	v_pk_add_f32 v[38:39], v[38:39], v[44:45]
	v_mov_b32_e32 v43, v41
	s_delay_alu instid0(VALU_DEP_1) | instskip(SKIP_1) | instid1(VALU_DEP_1)
	v_pk_add_f32 v[38:39], v[38:39], v[42:43]
	s_wait_loadcnt 0x0
	v_pk_add_f32 v[38:39], v[88:89], v[38:39] neg_lo:[0,1] neg_hi:[0,1]
	scratch_store_b64 off, v[38:39], off offset:32
	s_wait_xcnt 0x0
	v_cmpx_lt_u32_e32 3, v0
	s_cbranch_execz .LBB17_115
; %bb.114:
	scratch_load_b64 v[38:39], off, off offset:24
	v_mov_b64_e32 v[40:41], 0
	scratch_store_b64 off, v[40:41], off offset:24
	s_wait_loadcnt 0x0
	ds_store_b64 v1, v[38:39]
.LBB17_115:
	s_wait_xcnt 0x0
	s_or_b32 exec_lo, exec_lo, s0
	s_wait_storecnt_dscnt 0x0
	s_barrier_signal -1
	s_barrier_wait -1
	s_clause 0x7
	scratch_load_b128 v[38:41], off, off offset:32
	scratch_load_b128 v[42:45], off, off offset:48
	;; [unrolled: 1-line block ×7, first 2 shown]
	scratch_load_b64 v[94:95], off, off offset:24
	ds_load_b128 v[66:69], v7 offset:224
	ds_load_b128 v[70:73], v7 offset:240
	;; [unrolled: 1-line block ×7, first 2 shown]
	s_mov_b32 s0, exec_lo
	s_wait_dscnt 0x6
	v_dual_mov_b32 v96, v69 :: v_dual_mov_b32 v97, v68
	s_wait_dscnt 0x5
	v_dual_mov_b32 v98, v73 :: v_dual_mov_b32 v99, v72
	;; [unrolled: 2-line block ×4, first 2 shown]
	s_wait_loadcnt_dscnt 0x702
	v_dual_mul_f32 v7, v82, v39 :: v_dual_mul_f32 v9, v84, v41
	v_dual_mul_f32 v15, v83, v39 :: v_dual_mul_f32 v17, v85, v41
	s_wait_loadcnt_dscnt 0x601
	v_dual_mul_f32 v11, v86, v43 :: v_dual_mul_f32 v13, v88, v45
	s_delay_alu instid0(VALU_DEP_3) | instskip(NEXT) | instid1(VALU_DEP_3)
	v_dual_fmac_f32 v7, v83, v38 :: v_dual_fmac_f32 v9, v85, v40
	v_dual_fma_f32 v15, v82, v38, -v15 :: v_dual_fma_f32 v17, v84, v40, -v17
	v_dual_mul_f32 v19, v87, v43 :: v_dual_mul_f32 v21, v89, v45
	s_wait_loadcnt 0x4
	s_delay_alu instid0(VALU_DEP_3) | instskip(NEXT) | instid1(VALU_DEP_3)
	v_dual_add_f32 v7, 0, v7 :: v_dual_mov_b32 v40, v53
	v_dual_add_f32 v15, 0, v15 :: v_dual_fmac_f32 v11, v87, v42
	s_delay_alu instid0(VALU_DEP_2) | instskip(SKIP_2) | instid1(VALU_DEP_3)
	v_dual_fma_f32 v19, v86, v42, -v19 :: v_dual_add_f32 v7, v7, v9
	s_wait_dscnt 0x0
	v_dual_mul_f32 v105, v90, v47 :: v_dual_mul_f32 v107, v92, v49
	v_dual_add_f32 v9, v15, v17 :: v_dual_fmac_f32 v13, v89, v44
	v_dual_mul_f32 v23, v91, v47 :: v_dual_mul_f32 v25, v93, v49
	v_dual_fma_f32 v15, v88, v44, -v21 :: v_dual_add_f32 v7, v7, v11
	s_delay_alu instid0(VALU_DEP_3) | instskip(SKIP_3) | instid1(VALU_DEP_3)
	v_dual_add_f32 v9, v9, v19 :: v_dual_fmac_f32 v105, v91, v46
	v_pk_mul_f32 v[38:39], v[66:67], v[50:51] op_sel:[1,1] op_sel_hi:[0,1]
	s_wait_loadcnt 0x3
	v_dual_mov_b32 v44, v57 :: v_dual_fma_f32 v104, v90, v46, -v23
	v_dual_add_f32 v47, v7, v13 :: v_dual_add_f32 v46, v9, v15
	v_dual_fmac_f32 v107, v93, v48 :: v_dual_fma_f32 v106, v92, v48, -v25
	v_pk_fma_f32 v[48:49], v[66:67], v[50:51], v[38:39] op_sel_hi:[1,0,1]
	v_pk_mul_f32 v[40:41], v[96:97], v[40:41] op_sel_hi:[1,0]
	s_delay_alu instid0(VALU_DEP_4)
	v_pk_add_f32 v[46:47], v[46:47], v[104:105]
	v_pk_fma_f32 v[38:39], v[66:67], v[50:51], v[38:39] neg_lo:[0,0,1] neg_hi:[0,0,1]
	v_pk_mul_f32 v[42:43], v[70:71], v[54:55] op_sel:[1,1] op_sel_hi:[0,1]
	v_mov_b32_e32 v39, v49
	v_pk_fma_f32 v[48:49], v[68:69], v[52:53], v[40:41] op_sel_hi:[1,0,1]
	v_pk_add_f32 v[46:47], v[46:47], v[106:107]
	v_pk_fma_f32 v[40:41], v[68:69], v[52:53], v[40:41] neg_lo:[0,0,1] neg_hi:[0,0,1]
	v_pk_fma_f32 v[50:51], v[70:71], v[54:55], v[42:43] op_sel_hi:[1,0,1]
	v_pk_mul_f32 v[44:45], v[98:99], v[44:45] op_sel_hi:[1,0]
	v_mov_b32_e32 v41, v49
	v_pk_add_f32 v[38:39], v[46:47], v[38:39]
	s_wait_loadcnt 0x2
	v_pk_mul_f32 v[82:83], v[74:75], v[58:59] op_sel:[1,1] op_sel_hi:[0,1]
	v_mov_b32_e32 v46, v61
	v_pk_fma_f32 v[42:43], v[70:71], v[54:55], v[42:43] neg_lo:[0,0,1] neg_hi:[0,0,1]
	v_mov_b32_e32 v43, v51
	v_pk_fma_f32 v[48:49], v[72:73], v[56:57], v[44:45] op_sel_hi:[1,0,1]
	v_pk_add_f32 v[38:39], v[38:39], v[40:41]
	v_pk_fma_f32 v[40:41], v[74:75], v[58:59], v[82:83] op_sel_hi:[1,0,1]
	v_pk_mul_f32 v[46:47], v[100:101], v[46:47] op_sel_hi:[1,0]
	v_pk_fma_f32 v[44:45], v[72:73], v[56:57], v[44:45] neg_lo:[0,0,1] neg_hi:[0,0,1]
	v_mov_b32_e32 v45, v49
	v_pk_add_f32 v[38:39], v[38:39], v[42:43]
	v_pk_fma_f32 v[48:49], v[74:75], v[58:59], v[82:83] neg_lo:[0,0,1] neg_hi:[0,0,1]
	v_mov_b32_e32 v49, v41
	v_pk_fma_f32 v[40:41], v[76:77], v[60:61], v[46:47] op_sel_hi:[1,0,1]
	s_wait_loadcnt 0x1
	v_pk_mul_f32 v[42:43], v[78:79], v[62:63] op_sel:[1,1] op_sel_hi:[0,1]
	v_pk_add_f32 v[38:39], v[38:39], v[44:45]
	v_mov_b32_e32 v40, v65
	v_pk_fma_f32 v[46:47], v[76:77], v[60:61], v[46:47] neg_lo:[0,0,1] neg_hi:[0,0,1]
	v_mov_b32_e32 v47, v41
	v_pk_fma_f32 v[44:45], v[78:79], v[62:63], v[42:43] op_sel_hi:[1,0,1]
	v_pk_add_f32 v[38:39], v[38:39], v[48:49]
	v_pk_mul_f32 v[40:41], v[102:103], v[40:41] op_sel_hi:[1,0]
	v_pk_fma_f32 v[42:43], v[78:79], v[62:63], v[42:43] neg_lo:[0,0,1] neg_hi:[0,0,1]
	s_delay_alu instid0(VALU_DEP_4) | instskip(NEXT) | instid1(VALU_DEP_4)
	v_mov_b32_e32 v43, v45
	v_pk_add_f32 v[38:39], v[38:39], v[46:47]
	s_delay_alu instid0(VALU_DEP_4) | instskip(SKIP_1) | instid1(VALU_DEP_2)
	v_pk_fma_f32 v[44:45], v[80:81], v[64:65], v[40:41] op_sel_hi:[1,0,1]
	v_pk_fma_f32 v[40:41], v[80:81], v[64:65], v[40:41] neg_lo:[0,0,1] neg_hi:[0,0,1]
	v_mov_b32_e32 v41, v45
	s_delay_alu instid0(VALU_DEP_4) | instskip(NEXT) | instid1(VALU_DEP_1)
	v_pk_add_f32 v[38:39], v[38:39], v[42:43]
	v_pk_add_f32 v[38:39], v[38:39], v[40:41]
	s_wait_loadcnt 0x0
	s_delay_alu instid0(VALU_DEP_1)
	v_pk_add_f32 v[38:39], v[94:95], v[38:39] neg_lo:[0,1] neg_hi:[0,1]
	scratch_store_b64 off, v[38:39], off offset:24
	s_wait_xcnt 0x0
	v_cmpx_lt_u32_e32 2, v0
	s_cbranch_execz .LBB17_117
; %bb.116:
	scratch_load_b64 v[38:39], off, off offset:16
	v_mov_b64_e32 v[40:41], 0
	scratch_store_b64 off, v[40:41], off offset:16
	s_wait_loadcnt 0x0
	ds_store_b64 v1, v[38:39]
.LBB17_117:
	s_wait_xcnt 0x0
	s_or_b32 exec_lo, exec_lo, s0
	s_wait_storecnt_dscnt 0x0
	s_barrier_signal -1
	s_barrier_wait -1
	s_clause 0x8
	scratch_load_b128 v[38:41], off, off offset:24
	scratch_load_b128 v[42:45], off, off offset:40
	;; [unrolled: 1-line block ×7, first 2 shown]
	scratch_load_b64 v[94:95], off, off offset:136
	scratch_load_b64 v[96:97], off, off offset:16
	v_mov_b32_e32 v15, 0
	ds_load_2addr_b64 v[66:69], v15 offset0:27 offset1:28
	ds_load_2addr_b64 v[70:73], v15 offset0:29 offset1:30
	;; [unrolled: 1-line block ×7, first 2 shown]
	ds_load_b64 v[98:99], v15 offset:280
	s_mov_b32 s0, exec_lo
	s_wait_dscnt 0x7
	v_dual_mov_b32 v100, v69 :: v_dual_mov_b32 v101, v68
	s_wait_dscnt 0x4
	v_dual_mov_b32 v102, v73 :: v_dual_mov_b32 v107, v80
	v_dual_mov_b32 v103, v72 :: v_dual_mov_b32 v104, v77
	;; [unrolled: 1-line block ×3, first 2 shown]
	s_wait_loadcnt_dscnt 0x803
	v_dual_mul_f32 v7, v82, v39 :: v_dual_mul_f32 v19, v83, v39
	v_dual_mul_f32 v21, v85, v41 :: v_dual_mul_f32 v9, v84, v41
	s_wait_loadcnt_dscnt 0x702
	v_mul_f32_e32 v11, v86, v43
	s_wait_loadcnt 0x5
	v_dual_mul_f32 v31, v67, v51 :: v_dual_fma_f32 v19, v82, v38, -v19
	v_dual_fmac_f32 v7, v83, v38 :: v_dual_mov_b32 v38, v53
	v_dual_mul_f32 v23, v87, v43 :: v_dual_mul_f32 v25, v89, v45
	s_delay_alu instid0(VALU_DEP_2) | instskip(NEXT) | instid1(VALU_DEP_4)
	v_dual_fmac_f32 v9, v85, v40 :: v_dual_add_f32 v7, 0, v7
	v_dual_fma_f32 v21, v84, v40, -v21 :: v_dual_add_f32 v19, 0, v19
	s_wait_dscnt 0x1
	v_dual_mul_f32 v13, v88, v45 :: v_dual_mul_f32 v17, v90, v47
	v_fmac_f32_e32 v11, v87, v42
	v_dual_fma_f32 v23, v86, v42, -v23 :: v_dual_add_f32 v7, v7, v9
	s_delay_alu instid0(VALU_DEP_3)
	v_dual_add_f32 v9, v19, v21 :: v_dual_fmac_f32 v13, v89, v44
	v_dual_mul_f32 v27, v91, v47 :: v_dual_mul_f32 v29, v93, v49
	s_wait_loadcnt 0x4
	v_dual_mov_b32 v42, v57 :: v_dual_fma_f32 v19, v88, v44, -v25
	v_add_f32_e32 v7, v7, v11
	v_dual_add_f32 v9, v9, v23 :: v_dual_fmac_f32 v17, v91, v46
	v_dual_mul_f32 v109, v92, v49 :: v_dual_mul_f32 v111, v66, v51
	s_delay_alu instid0(VALU_DEP_3) | instskip(NEXT) | instid1(VALU_DEP_3)
	v_dual_fma_f32 v11, v90, v46, -v27 :: v_dual_add_f32 v7, v7, v13
	v_dual_add_f32 v9, v9, v19 :: v_dual_fma_f32 v108, v92, v48, -v29
	s_delay_alu instid0(VALU_DEP_3) | instskip(SKIP_1) | instid1(VALU_DEP_3)
	v_fmac_f32_e32 v109, v93, v48
	v_pk_mul_f32 v[38:39], v[100:101], v[38:39] op_sel_hi:[1,0]
	v_dual_add_f32 v47, v7, v17 :: v_dual_add_f32 v46, v9, v11
	v_fmac_f32_e32 v111, v67, v50
	v_pk_mul_f32 v[40:41], v[70:71], v[54:55] op_sel:[1,1] op_sel_hi:[0,1]
	s_wait_loadcnt 0x3
	v_dual_mov_b32 v48, v61 :: v_dual_fma_f32 v110, v66, v50, -v31
	v_pk_fma_f32 v[50:51], v[68:69], v[52:53], v[38:39] op_sel_hi:[1,0,1]
	v_pk_add_f32 v[46:47], v[46:47], v[108:109]
	v_pk_fma_f32 v[38:39], v[68:69], v[52:53], v[38:39] neg_lo:[0,0,1] neg_hi:[0,0,1]
	v_pk_fma_f32 v[66:67], v[70:71], v[54:55], v[40:41] op_sel_hi:[1,0,1]
	v_pk_mul_f32 v[42:43], v[102:103], v[42:43] op_sel_hi:[1,0]
	v_mov_b32_e32 v39, v51
	v_pk_add_f32 v[46:47], v[46:47], v[110:111]
	v_pk_fma_f32 v[40:41], v[70:71], v[54:55], v[40:41] neg_lo:[0,0,1] neg_hi:[0,0,1]
	v_pk_mul_f32 v[44:45], v[74:75], v[58:59] op_sel:[1,1] op_sel_hi:[0,1]
	v_mov_b32_e32 v41, v67
	v_pk_fma_f32 v[52:53], v[72:73], v[56:57], v[42:43] op_sel_hi:[1,0,1]
	v_pk_add_f32 v[38:39], v[46:47], v[38:39]
	v_pk_fma_f32 v[42:43], v[72:73], v[56:57], v[42:43] neg_lo:[0,0,1] neg_hi:[0,0,1]
	v_pk_fma_f32 v[46:47], v[74:75], v[58:59], v[44:45] op_sel_hi:[1,0,1]
	v_pk_mul_f32 v[48:49], v[104:105], v[48:49] op_sel_hi:[1,0]
	v_mov_b32_e32 v43, v53
	v_pk_add_f32 v[38:39], v[38:39], v[40:41]
	v_pk_fma_f32 v[44:45], v[74:75], v[58:59], v[44:45] neg_lo:[0,0,1] neg_hi:[0,0,1]
	s_wait_loadcnt 0x2
	v_pk_mul_f32 v[50:51], v[78:79], v[62:63] op_sel:[1,1] op_sel_hi:[0,1]
	v_dual_mov_b32 v40, v65 :: v_dual_mov_b32 v45, v47
	v_pk_fma_f32 v[46:47], v[76:77], v[60:61], v[48:49] op_sel_hi:[1,0,1]
	v_pk_add_f32 v[38:39], v[38:39], v[42:43]
	v_pk_fma_f32 v[48:49], v[76:77], v[60:61], v[48:49] neg_lo:[0,0,1] neg_hi:[0,0,1]
	v_pk_fma_f32 v[42:43], v[78:79], v[62:63], v[50:51] op_sel_hi:[1,0,1]
	v_pk_mul_f32 v[40:41], v[106:107], v[40:41] op_sel_hi:[1,0]
	v_mov_b32_e32 v49, v47
	v_pk_add_f32 v[38:39], v[38:39], v[44:45]
	v_pk_fma_f32 v[44:45], v[78:79], v[62:63], v[50:51] neg_lo:[0,0,1] neg_hi:[0,0,1]
	v_mov_b32_e32 v45, v43
	v_pk_fma_f32 v[42:43], v[80:81], v[64:65], v[40:41] op_sel_hi:[1,0,1]
	s_wait_loadcnt_dscnt 0x100
	v_pk_mul_f32 v[46:47], v[98:99], v[94:95] op_sel:[1,1] op_sel_hi:[0,1]
	v_pk_add_f32 v[38:39], v[38:39], v[48:49]
	v_pk_fma_f32 v[40:41], v[80:81], v[64:65], v[40:41] neg_lo:[0,0,1] neg_hi:[0,0,1]
	v_mov_b32_e32 v41, v43
	s_delay_alu instid0(VALU_DEP_4) | instskip(NEXT) | instid1(VALU_DEP_4)
	v_pk_fma_f32 v[42:43], v[98:99], v[94:95], v[46:47] op_sel_hi:[1,0,1]
	v_pk_add_f32 v[38:39], v[38:39], v[44:45]
	v_pk_fma_f32 v[44:45], v[98:99], v[94:95], v[46:47] neg_lo:[0,0,1] neg_hi:[0,0,1]
	s_delay_alu instid0(VALU_DEP_3) | instskip(NEXT) | instid1(VALU_DEP_3)
	v_mov_b32_e32 v45, v43
	v_pk_add_f32 v[38:39], v[38:39], v[40:41]
	s_delay_alu instid0(VALU_DEP_1) | instskip(SKIP_1) | instid1(VALU_DEP_1)
	v_pk_add_f32 v[38:39], v[38:39], v[44:45]
	s_wait_loadcnt 0x0
	v_pk_add_f32 v[38:39], v[96:97], v[38:39] neg_lo:[0,1] neg_hi:[0,1]
	scratch_store_b64 off, v[38:39], off offset:16
	s_wait_xcnt 0x0
	v_cmpx_lt_u32_e32 1, v0
	s_cbranch_execz .LBB17_119
; %bb.118:
	scratch_load_b64 v[38:39], off, off offset:8
	v_mov_b64_e32 v[40:41], 0
	scratch_store_b64 off, v[40:41], off offset:8
	s_wait_loadcnt 0x0
	ds_store_b64 v1, v[38:39]
.LBB17_119:
	s_wait_xcnt 0x0
	s_or_b32 exec_lo, exec_lo, s0
	s_wait_storecnt_dscnt 0x0
	s_barrier_signal -1
	s_barrier_wait -1
	s_clause 0x8
	scratch_load_b128 v[38:41], off, off offset:16
	scratch_load_b128 v[42:45], off, off offset:32
	;; [unrolled: 1-line block ×8, first 2 shown]
	scratch_load_b64 v[102:103], off, off offset:8
	ds_load_b128 v[70:73], v15 offset:224
	ds_load_b128 v[74:77], v15 offset:240
	;; [unrolled: 1-line block ×8, first 2 shown]
	v_ashrrev_i32_e32 v15, 31, v14
	v_dual_ashrrev_i32 v7, 31, v6 :: v_dual_ashrrev_i32 v9, 31, v8
	v_dual_ashrrev_i32 v11, 31, v10 :: v_dual_ashrrev_i32 v13, 31, v12
	s_mov_b32 s0, exec_lo
	s_wait_dscnt 0x7
	v_dual_mov_b32 v104, v73 :: v_dual_mov_b32 v105, v72
	s_wait_dscnt 0x4
	v_dual_mov_b32 v106, v77 :: v_dual_mov_b32 v111, v84
	v_dual_mov_b32 v107, v76 :: v_dual_mov_b32 v108, v81
	;; [unrolled: 1-line block ×3, first 2 shown]
	s_wait_loadcnt_dscnt 0x803
	v_dual_mul_f32 v17, v86, v39 :: v_dual_mul_f32 v19, v88, v41
	v_dual_mul_f32 v21, v87, v39 :: v_dual_mul_f32 v23, v89, v41
	s_wait_loadcnt_dscnt 0x702
	v_dual_mul_f32 v25, v90, v43 :: v_dual_mul_f32 v27, v92, v45
	v_mul_f32_e32 v29, v91, v43
	s_wait_loadcnt_dscnt 0x601
	v_dual_mul_f32 v31, v94, v47 :: v_dual_mul_f32 v33, v93, v45
	v_dual_mul_f32 v45, v97, v49 :: v_dual_fmac_f32 v17, v87, v38
	s_wait_loadcnt_dscnt 0x500
	v_dual_fma_f32 v21, v86, v38, -v21 :: v_dual_mul_f32 v38, v99, v51
	v_fmac_f32_e32 v19, v89, v40
	s_delay_alu instid0(VALU_DEP_3) | instskip(NEXT) | instid1(VALU_DEP_3)
	v_dual_fma_f32 v23, v88, v40, -v23 :: v_dual_add_f32 v17, 0, v17
	v_add_f32_e32 v21, 0, v21
	v_dual_mul_f32 v40, v101, v53 :: v_dual_fmac_f32 v25, v91, v42
	s_delay_alu instid0(VALU_DEP_3) | instskip(NEXT) | instid1(VALU_DEP_3)
	v_dual_fma_f32 v29, v90, v42, -v29 :: v_dual_add_f32 v17, v17, v19
	v_dual_add_f32 v19, v21, v23 :: v_dual_fma_f32 v21, v92, v44, -v33
	v_dual_mul_f32 v41, v100, v53 :: v_dual_mul_f32 v37, v95, v47
	s_delay_alu instid0(VALU_DEP_2) | instskip(NEXT) | instid1(VALU_DEP_4)
	v_dual_fmac_f32 v27, v93, v44 :: v_dual_add_f32 v19, v19, v29
	v_dual_add_f32 v17, v17, v25 :: v_dual_fmac_f32 v31, v95, v46
	v_dual_mul_f32 v35, v96, v49 :: v_dual_mul_f32 v39, v98, v51
	s_wait_loadcnt 0x4
	v_dual_mov_b32 v44, v57 :: v_dual_fma_f32 v23, v94, v46, -v37
	s_delay_alu instid0(VALU_DEP_3) | instskip(NEXT) | instid1(VALU_DEP_3)
	v_dual_add_f32 v17, v17, v27 :: v_dual_add_f32 v19, v19, v21
	v_dual_fmac_f32 v35, v97, v48 :: v_dual_fma_f32 v21, v96, v48, -v45
	v_pk_mul_f32 v[42:43], v[70:71], v[54:55] op_sel:[1,1] op_sel_hi:[0,1]
	s_delay_alu instid0(VALU_DEP_3) | instskip(SKIP_2) | instid1(VALU_DEP_2)
	v_dual_add_f32 v17, v17, v31 :: v_dual_fmac_f32 v39, v99, v50
	s_wait_loadcnt 0x3
	v_dual_add_f32 v19, v19, v23 :: v_dual_mov_b32 v48, v61
	v_dual_fma_f32 v38, v98, v50, -v38 :: v_dual_add_f32 v51, v17, v35
	s_delay_alu instid0(VALU_DEP_2)
	v_dual_fmac_f32 v41, v101, v52 :: v_dual_add_f32 v50, v19, v21
	v_fma_f32 v40, v100, v52, -v40
	v_pk_fma_f32 v[52:53], v[70:71], v[54:55], v[42:43] op_sel_hi:[1,0,1]
	v_pk_mul_f32 v[44:45], v[104:105], v[44:45] op_sel_hi:[1,0]
	v_pk_fma_f32 v[42:43], v[70:71], v[54:55], v[42:43] neg_lo:[0,0,1] neg_hi:[0,0,1]
	v_pk_add_f32 v[38:39], v[50:51], v[38:39]
	v_pk_mul_f32 v[46:47], v[74:75], v[58:59] op_sel:[1,1] op_sel_hi:[0,1]
	v_mov_b32_e32 v43, v53
	v_pk_fma_f32 v[52:53], v[72:73], v[56:57], v[44:45] op_sel_hi:[1,0,1]
	v_pk_fma_f32 v[44:45], v[72:73], v[56:57], v[44:45] neg_lo:[0,0,1] neg_hi:[0,0,1]
	v_pk_add_f32 v[38:39], v[38:39], v[40:41]
	v_pk_fma_f32 v[40:41], v[74:75], v[58:59], v[46:47] op_sel_hi:[1,0,1]
	v_pk_mul_f32 v[48:49], v[106:107], v[48:49] op_sel_hi:[1,0]
	s_wait_loadcnt 0x2
	v_dual_mov_b32 v45, v53 :: v_dual_mov_b32 v40, v65
	v_pk_add_f32 v[38:39], v[38:39], v[42:43]
	v_pk_mul_f32 v[50:51], v[78:79], v[62:63] op_sel:[1,1] op_sel_hi:[0,1]
	v_pk_fma_f32 v[42:43], v[74:75], v[58:59], v[46:47] neg_lo:[0,0,1] neg_hi:[0,0,1]
	v_pk_fma_f32 v[46:47], v[76:77], v[60:61], v[48:49] op_sel_hi:[1,0,1]
	v_mov_b32_e32 v43, v41
	v_pk_add_f32 v[38:39], v[38:39], v[44:45]
	v_pk_fma_f32 v[44:45], v[78:79], v[62:63], v[50:51] op_sel_hi:[1,0,1]
	v_pk_mul_f32 v[40:41], v[108:109], v[40:41] op_sel_hi:[1,0]
	v_pk_fma_f32 v[48:49], v[76:77], v[60:61], v[48:49] neg_lo:[0,0,1] neg_hi:[0,0,1]
	v_mov_b32_e32 v49, v47
	v_pk_add_f32 v[38:39], v[38:39], v[42:43]
	v_pk_fma_f32 v[46:47], v[78:79], v[62:63], v[50:51] neg_lo:[0,0,1] neg_hi:[0,0,1]
	v_mov_b32_e32 v47, v45
	v_pk_fma_f32 v[44:45], v[80:81], v[64:65], v[40:41] op_sel_hi:[1,0,1]
	s_wait_loadcnt 0x1
	v_pk_mul_f32 v[42:43], v[82:83], v[66:67] op_sel:[1,1] op_sel_hi:[0,1]
	v_pk_add_f32 v[38:39], v[38:39], v[48:49]
	v_mov_b32_e32 v44, v69
	v_pk_fma_f32 v[40:41], v[80:81], v[64:65], v[40:41] neg_lo:[0,0,1] neg_hi:[0,0,1]
	v_dual_mov_b32 v41, v45 :: v_dual_ashrrev_i32 v17, 31, v16
	v_pk_fma_f32 v[48:49], v[82:83], v[66:67], v[42:43] op_sel_hi:[1,0,1]
	v_pk_add_f32 v[38:39], v[38:39], v[46:47]
	v_pk_mul_f32 v[44:45], v[110:111], v[44:45] op_sel_hi:[1,0]
	v_pk_fma_f32 v[42:43], v[82:83], v[66:67], v[42:43] neg_lo:[0,0,1] neg_hi:[0,0,1]
	s_delay_alu instid0(VALU_DEP_4) | instskip(NEXT) | instid1(VALU_DEP_4)
	v_dual_ashrrev_i32 v19, 31, v18 :: v_dual_mov_b32 v43, v49
	v_pk_add_f32 v[38:39], v[38:39], v[40:41]
	s_delay_alu instid0(VALU_DEP_4)
	v_pk_fma_f32 v[40:41], v[84:85], v[68:69], v[44:45] op_sel_hi:[1,0,1]
	v_pk_fma_f32 v[44:45], v[84:85], v[68:69], v[44:45] neg_lo:[0,0,1] neg_hi:[0,0,1]
	v_dual_ashrrev_i32 v21, 31, v20 :: v_dual_ashrrev_i32 v23, 31, v22
	v_ashrrev_i32_e32 v25, 31, v24
	v_pk_add_f32 v[38:39], v[38:39], v[42:43]
	v_dual_mov_b32 v45, v41 :: v_dual_ashrrev_i32 v27, 31, v26
	v_dual_ashrrev_i32 v29, 31, v28 :: v_dual_ashrrev_i32 v31, 31, v30
	v_ashrrev_i32_e32 v33, 31, v32
	s_delay_alu instid0(VALU_DEP_3) | instskip(SKIP_2) | instid1(VALU_DEP_2)
	v_pk_add_f32 v[38:39], v[38:39], v[44:45]
	v_dual_ashrrev_i32 v35, 31, v34 :: v_dual_ashrrev_i32 v37, 31, v36
	s_wait_loadcnt 0x0
	v_pk_add_f32 v[38:39], v[102:103], v[38:39] neg_lo:[0,1] neg_hi:[0,1]
	scratch_store_b64 off, v[38:39], off offset:8
	s_wait_xcnt 0x0
	v_cmpx_ne_u32_e32 0, v0
	s_cbranch_execz .LBB17_121
; %bb.120:
	scratch_load_b64 v[38:39], off, off
	v_mov_b64_e32 v[40:41], 0
	scratch_store_b64 off, v[40:41], off
	s_wait_loadcnt 0x0
	ds_store_b64 v1, v[38:39]
.LBB17_121:
	s_wait_xcnt 0x0
	s_or_b32 exec_lo, exec_lo, s0
	s_wait_storecnt_dscnt 0x0
	s_barrier_signal -1
	s_barrier_wait -1
	s_clause 0x9
	scratch_load_b128 v[40:43], off, off offset:8
	scratch_load_b128 v[44:47], off, off offset:24
	;; [unrolled: 1-line block ×8, first 2 shown]
	scratch_load_b64 v[0:1], off, off offset:136
	scratch_load_b64 v[104:105], off, off
	v_mov_b32_e32 v38, 0
	ds_load_2addr_b64 v[72:75], v38 offset0:27 offset1:28
	ds_load_2addr_b64 v[76:79], v38 offset0:29 offset1:30
	;; [unrolled: 1-line block ×8, first 2 shown]
	ds_load_b64 v[106:107], v38 offset:280
	s_and_b32 vcc_lo, exec_lo, s18
	s_wait_dscnt 0x8
	v_dual_mov_b32 v108, v75 :: v_dual_mov_b32 v109, v74
	s_wait_dscnt 0x5
	v_dual_mov_b32 v110, v79 :: v_dual_mov_b32 v115, v86
	v_dual_mov_b32 v111, v78 :: v_dual_mov_b32 v112, v83
	;; [unrolled: 1-line block ×3, first 2 shown]
	s_wait_loadcnt_dscnt 0x904
	v_dual_mul_f32 v39, v88, v41 :: v_dual_mul_f32 v41, v89, v41
	s_wait_loadcnt_dscnt 0x803
	v_dual_mul_f32 v116, v90, v43 :: v_dual_mul_f32 v118, v92, v45
	;; [unrolled: 2-line block ×3, first 2 shown]
	v_dual_mul_f32 v43, v91, v43 :: v_dual_mul_f32 v53, v101, v53
	v_dual_fmac_f32 v39, v89, v40 :: v_dual_fma_f32 v40, v88, v40, -v41
	v_dual_mul_f32 v45, v93, v45 :: v_dual_mul_f32 v41, v103, v55
	s_delay_alu instid0(VALU_DEP_3) | instskip(NEXT) | instid1(VALU_DEP_3)
	v_dual_fmac_f32 v116, v91, v42 :: v_dual_fma_f32 v42, v90, v42, -v43
	v_dual_add_f32 v39, 0, v39 :: v_dual_add_f32 v40, 0, v40
	v_dual_mul_f32 v120, v94, v47 :: v_dual_mul_f32 v121, v96, v49
	s_wait_loadcnt 0x5
	v_dual_mul_f32 v117, v102, v55 :: v_dual_mul_f32 v119, v72, v57
	v_dual_mul_f32 v47, v95, v47 :: v_dual_mul_f32 v55, v73, v57
	v_dual_fma_f32 v43, v92, v44, -v45 :: v_dual_fmac_f32 v118, v93, v44
	v_dual_add_f32 v42, v40, v42 :: v_dual_add_f32 v39, v39, v116
	s_delay_alu instid0(VALU_DEP_3) | instskip(SKIP_1) | instid1(VALU_DEP_3)
	v_dual_fma_f32 v44, v94, v46, -v47 :: v_dual_mul_f32 v49, v97, v49
	v_mul_f32_e32 v51, v99, v51
	v_dual_mov_b32 v40, v59 :: v_dual_add_f32 v45, v42, v43
	v_dual_fmac_f32 v120, v95, v46 :: v_dual_fmac_f32 v121, v97, v48
	s_delay_alu instid0(VALU_DEP_4) | instskip(SKIP_1) | instid1(VALU_DEP_3)
	v_dual_add_f32 v39, v39, v118 :: v_dual_fma_f32 v46, v96, v48, -v49
	s_wait_loadcnt 0x4
	v_dual_add_f32 v45, v45, v44 :: v_dual_mov_b32 v44, v63
	v_dual_fmac_f32 v122, v99, v50 :: v_dual_fmac_f32 v123, v101, v52
	s_delay_alu instid0(VALU_DEP_3) | instskip(NEXT) | instid1(VALU_DEP_3)
	v_dual_add_f32 v39, v39, v120 :: v_dual_fma_f32 v48, v98, v50, -v51
	v_add_f32_e32 v45, v45, v46
	v_pk_mul_f32 v[42:43], v[76:77], v[60:61] op_sel:[1,1] op_sel_hi:[0,1]
	v_fmac_f32_e32 v117, v103, v54
	s_delay_alu instid0(VALU_DEP_4) | instskip(NEXT) | instid1(VALU_DEP_4)
	v_dual_add_f32 v39, v39, v121 :: v_dual_fma_f32 v50, v100, v52, -v53
	v_add_f32_e32 v45, v45, v48
	s_wait_loadcnt 0x3
	v_pk_mul_f32 v[46:47], v[80:81], v[64:65] op_sel:[1,1] op_sel_hi:[0,1]
	s_delay_alu instid0(VALU_DEP_3) | instskip(SKIP_3) | instid1(VALU_DEP_4)
	v_add_f32_e32 v39, v39, v122
	v_fma_f32 v116, v102, v54, -v41
	v_pk_mul_f32 v[40:41], v[108:109], v[40:41] op_sel_hi:[1,0]
	v_dual_add_f32 v48, v45, v50 :: v_dual_mov_b32 v50, v67
	v_add_f32_e32 v49, v39, v123
	v_pk_mul_f32 v[44:45], v[110:111], v[44:45] op_sel_hi:[1,0]
	s_delay_alu instid0(VALU_DEP_4)
	v_pk_fma_f32 v[52:53], v[74:75], v[58:59], v[40:41] op_sel_hi:[1,0,1]
	v_fma_f32 v118, v72, v56, -v55
	v_pk_fma_f32 v[54:55], v[76:77], v[60:61], v[42:43] op_sel_hi:[1,0,1]
	v_fmac_f32_e32 v119, v73, v56
	v_pk_add_f32 v[48:49], v[48:49], v[116:117]
	v_pk_fma_f32 v[40:41], v[74:75], v[58:59], v[40:41] neg_lo:[0,0,1] neg_hi:[0,0,1]
	v_pk_fma_f32 v[42:43], v[76:77], v[60:61], v[42:43] neg_lo:[0,0,1] neg_hi:[0,0,1]
	v_dual_mov_b32 v41, v53 :: v_dual_mov_b32 v43, v55
	s_delay_alu instid0(VALU_DEP_4)
	v_pk_add_f32 v[48:49], v[48:49], v[118:119]
	v_pk_fma_f32 v[54:55], v[78:79], v[62:63], v[44:45] op_sel_hi:[1,0,1]
	v_pk_fma_f32 v[44:45], v[78:79], v[62:63], v[44:45] neg_lo:[0,0,1] neg_hi:[0,0,1]
	v_pk_mul_f32 v[50:51], v[112:113], v[50:51] op_sel_hi:[1,0]
	s_wait_loadcnt 0x2
	v_pk_mul_f32 v[52:53], v[84:85], v[68:69] op_sel:[1,1] op_sel_hi:[0,1]
	v_pk_add_f32 v[40:41], v[48:49], v[40:41]
	v_pk_fma_f32 v[48:49], v[80:81], v[64:65], v[46:47] op_sel_hi:[1,0,1]
	v_mov_b32_e32 v45, v55
	v_pk_fma_f32 v[46:47], v[80:81], v[64:65], v[46:47] neg_lo:[0,0,1] neg_hi:[0,0,1]
	s_delay_alu instid0(VALU_DEP_4) | instskip(NEXT) | instid1(VALU_DEP_4)
	v_pk_add_f32 v[40:41], v[40:41], v[42:43]
	v_dual_mov_b32 v42, v71 :: v_dual_mov_b32 v47, v49
	v_pk_fma_f32 v[48:49], v[82:83], v[66:67], v[50:51] op_sel_hi:[1,0,1]
	v_pk_fma_f32 v[50:51], v[82:83], v[66:67], v[50:51] neg_lo:[0,0,1] neg_hi:[0,0,1]
	s_delay_alu instid0(VALU_DEP_4)
	v_pk_add_f32 v[40:41], v[40:41], v[44:45]
	v_pk_fma_f32 v[44:45], v[84:85], v[68:69], v[52:53] op_sel_hi:[1,0,1]
	v_pk_mul_f32 v[42:43], v[114:115], v[42:43] op_sel_hi:[1,0]
	v_mov_b32_e32 v51, v49
	v_pk_fma_f32 v[48:49], v[84:85], v[68:69], v[52:53] neg_lo:[0,0,1] neg_hi:[0,0,1]
	v_pk_add_f32 v[40:41], v[40:41], v[46:47]
	s_wait_loadcnt_dscnt 0x100
	v_pk_mul_f32 v[46:47], v[106:107], v[0:1] op_sel:[1,1] op_sel_hi:[0,1]
	v_mov_b32_e32 v49, v45
	v_pk_fma_f32 v[44:45], v[86:87], v[70:71], v[42:43] op_sel_hi:[1,0,1]
	v_pk_fma_f32 v[42:43], v[86:87], v[70:71], v[42:43] neg_lo:[0,0,1] neg_hi:[0,0,1]
	v_pk_add_f32 v[40:41], v[40:41], v[50:51]
	v_pk_fma_f32 v[50:51], v[106:107], v[0:1], v[46:47] op_sel_hi:[1,0,1]
	v_pk_fma_f32 v[0:1], v[106:107], v[0:1], v[46:47] neg_lo:[0,0,1] neg_hi:[0,0,1]
	v_mov_b32_e32 v43, v45
	s_delay_alu instid0(VALU_DEP_4) | instskip(NEXT) | instid1(VALU_DEP_4)
	v_pk_add_f32 v[40:41], v[40:41], v[48:49]
	v_mov_b32_e32 v1, v51
	s_delay_alu instid0(VALU_DEP_2) | instskip(NEXT) | instid1(VALU_DEP_1)
	v_pk_add_f32 v[40:41], v[40:41], v[42:43]
	v_pk_add_f32 v[0:1], v[40:41], v[0:1]
	s_wait_loadcnt 0x0
	s_delay_alu instid0(VALU_DEP_1)
	v_pk_add_f32 v[0:1], v[104:105], v[0:1] neg_lo:[0,1] neg_hi:[0,1]
	scratch_store_b64 off, v[0:1], off
	s_cbranch_vccz .LBB17_156
; %bb.122:
	global_load_b32 v0, v38, s[2:3] offset:64
	s_wait_loadcnt 0x0
	v_cmp_ne_u32_e32 vcc_lo, 17, v0
	s_cbranch_vccz .LBB17_124
; %bb.123:
	v_lshlrev_b32_e32 v0, 3, v0
	s_delay_alu instid0(VALU_DEP_1)
	v_mov_b32_e32 v40, v0
	scratch_load_b64 v[0:1], v40, off offset:-8
	scratch_load_b64 v[38:39], off, off offset:128
	s_wait_loadcnt 0x1
	scratch_store_b64 off, v[0:1], off offset:128
	s_wait_loadcnt 0x0
	scratch_store_b64 v40, v[38:39], off offset:-8
.LBB17_124:
	s_wait_xcnt 0x1
	v_mov_b32_e32 v0, 0
	global_load_b32 v1, v0, s[2:3] offset:60
	s_wait_loadcnt 0x0
	v_cmp_eq_u32_e32 vcc_lo, 16, v1
	s_cbranch_vccnz .LBB17_126
; %bb.125:
	v_lshlrev_b32_e32 v1, 3, v1
	scratch_load_b64 v[38:39], v1, off offset:-8
	scratch_load_b64 v[40:41], off, off offset:120
	s_wait_loadcnt 0x1
	scratch_store_b64 off, v[38:39], off offset:120
	s_wait_loadcnt 0x0
	scratch_store_b64 v1, v[40:41], off offset:-8
.LBB17_126:
	global_load_b32 v0, v0, s[2:3] offset:56
	s_wait_loadcnt 0x0
	v_cmp_eq_u32_e32 vcc_lo, 15, v0
	s_cbranch_vccnz .LBB17_128
; %bb.127:
	s_wait_xcnt 0x0
	v_lshlrev_b32_e32 v0, 3, v0
	s_delay_alu instid0(VALU_DEP_1)
	v_mov_b32_e32 v40, v0
	scratch_load_b64 v[0:1], v40, off offset:-8
	scratch_load_b64 v[38:39], off, off offset:112
	s_wait_loadcnt 0x1
	scratch_store_b64 off, v[0:1], off offset:112
	s_wait_loadcnt 0x0
	scratch_store_b64 v40, v[38:39], off offset:-8
.LBB17_128:
	s_wait_xcnt 0x0
	v_mov_b32_e32 v0, 0
	global_load_b32 v1, v0, s[2:3] offset:52
	s_wait_loadcnt 0x0
	v_cmp_eq_u32_e32 vcc_lo, 14, v1
	s_cbranch_vccnz .LBB17_130
; %bb.129:
	v_lshlrev_b32_e32 v1, 3, v1
	scratch_load_b64 v[38:39], v1, off offset:-8
	scratch_load_b64 v[40:41], off, off offset:104
	s_wait_loadcnt 0x1
	scratch_store_b64 off, v[38:39], off offset:104
	s_wait_loadcnt 0x0
	scratch_store_b64 v1, v[40:41], off offset:-8
.LBB17_130:
	global_load_b32 v0, v0, s[2:3] offset:48
	s_wait_loadcnt 0x0
	v_cmp_eq_u32_e32 vcc_lo, 13, v0
	s_cbranch_vccnz .LBB17_132
; %bb.131:
	s_wait_xcnt 0x0
	v_lshlrev_b32_e32 v0, 3, v0
	s_delay_alu instid0(VALU_DEP_1)
	v_mov_b32_e32 v40, v0
	scratch_load_b64 v[0:1], v40, off offset:-8
	scratch_load_b64 v[38:39], off, off offset:96
	s_wait_loadcnt 0x1
	scratch_store_b64 off, v[0:1], off offset:96
	s_wait_loadcnt 0x0
	scratch_store_b64 v40, v[38:39], off offset:-8
.LBB17_132:
	;; [unrolled: 31-line block ×7, first 2 shown]
	s_wait_xcnt 0x0
	v_mov_b32_e32 v0, 0
	global_load_b32 v1, v0, s[2:3] offset:4
	s_wait_loadcnt 0x0
	v_cmp_eq_u32_e32 vcc_lo, 2, v1
	s_cbranch_vccnz .LBB17_154
; %bb.153:
	v_lshlrev_b32_e32 v1, 3, v1
	scratch_load_b64 v[38:39], v1, off offset:-8
	scratch_load_b64 v[40:41], off, off offset:8
	s_wait_loadcnt 0x1
	scratch_store_b64 off, v[38:39], off offset:8
	s_wait_loadcnt 0x0
	scratch_store_b64 v1, v[40:41], off offset:-8
.LBB17_154:
	global_load_b32 v38, v0, s[2:3]
	scratch_load_b64 v[0:1], off, off
	s_wait_loadcnt 0x1
	v_cmp_eq_u32_e32 vcc_lo, 1, v38
	s_cbranch_vccnz .LBB17_156
; %bb.155:
	v_lshlrev_b32_e32 v38, 3, v38
	s_delay_alu instid0(VALU_DEP_1)
	v_mov_b32_e32 v40, v38
	scratch_load_b64 v[38:39], v40, off offset:-8
	s_wait_loadcnt 0x0
	scratch_store_b64 off, v[38:39], off
	scratch_store_b64 v40, v[0:1], off offset:-8
	scratch_load_b64 v[0:1], off, off
.LBB17_156:
	s_clause 0x8
	scratch_load_b128 v[38:41], off, off offset:8
	scratch_load_b128 v[42:45], off, off offset:24
	;; [unrolled: 1-line block ×8, first 2 shown]
	scratch_load_b64 v[70:71], off, off offset:136
	v_lshl_add_u64 v[6:7], v[6:7], 3, s[4:5]
	v_lshl_add_u64 v[8:9], v[8:9], 3, s[4:5]
	;; [unrolled: 1-line block ×16, first 2 shown]
	s_wait_loadcnt 0x9
	global_store_b64 v[2:3], v[0:1], off
	s_wait_loadcnt 0x8
	s_clause 0x1
	global_store_b64 v[4:5], v[38:39], off
	global_store_b64 v[6:7], v[40:41], off
	s_wait_loadcnt 0x7
	s_clause 0x1
	global_store_b64 v[8:9], v[42:43], off
	;; [unrolled: 4-line block ×8, first 2 shown]
	global_store_b64 v[34:35], v[68:69], off
	s_wait_loadcnt 0x0
	global_store_b64 v[36:37], v[70:71], off
	s_sendmsg sendmsg(MSG_DEALLOC_VGPRS)
	s_endpgm
	.section	.rodata,"a",@progbits
	.p2align	6, 0x0
	.amdhsa_kernel _ZN9rocsolver6v33100L18getri_kernel_smallILi18E19rocblas_complex_numIfEPS3_EEvT1_iilPiilS6_bb
		.amdhsa_group_segment_fixed_size 292
		.amdhsa_private_segment_fixed_size 160
		.amdhsa_kernarg_size 60
		.amdhsa_user_sgpr_count 2
		.amdhsa_user_sgpr_dispatch_ptr 0
		.amdhsa_user_sgpr_queue_ptr 0
		.amdhsa_user_sgpr_kernarg_segment_ptr 1
		.amdhsa_user_sgpr_dispatch_id 0
		.amdhsa_user_sgpr_kernarg_preload_length 0
		.amdhsa_user_sgpr_kernarg_preload_offset 0
		.amdhsa_user_sgpr_private_segment_size 0
		.amdhsa_wavefront_size32 1
		.amdhsa_uses_dynamic_stack 0
		.amdhsa_enable_private_segment 1
		.amdhsa_system_sgpr_workgroup_id_x 1
		.amdhsa_system_sgpr_workgroup_id_y 0
		.amdhsa_system_sgpr_workgroup_id_z 0
		.amdhsa_system_sgpr_workgroup_info 0
		.amdhsa_system_vgpr_workitem_id 0
		.amdhsa_next_free_vgpr 124
		.amdhsa_next_free_sgpr 19
		.amdhsa_named_barrier_count 0
		.amdhsa_reserve_vcc 1
		.amdhsa_float_round_mode_32 0
		.amdhsa_float_round_mode_16_64 0
		.amdhsa_float_denorm_mode_32 3
		.amdhsa_float_denorm_mode_16_64 3
		.amdhsa_fp16_overflow 0
		.amdhsa_memory_ordered 1
		.amdhsa_forward_progress 1
		.amdhsa_inst_pref_size 148
		.amdhsa_round_robin_scheduling 0
		.amdhsa_exception_fp_ieee_invalid_op 0
		.amdhsa_exception_fp_denorm_src 0
		.amdhsa_exception_fp_ieee_div_zero 0
		.amdhsa_exception_fp_ieee_overflow 0
		.amdhsa_exception_fp_ieee_underflow 0
		.amdhsa_exception_fp_ieee_inexact 0
		.amdhsa_exception_int_div_zero 0
	.end_amdhsa_kernel
	.section	.text._ZN9rocsolver6v33100L18getri_kernel_smallILi18E19rocblas_complex_numIfEPS3_EEvT1_iilPiilS6_bb,"axG",@progbits,_ZN9rocsolver6v33100L18getri_kernel_smallILi18E19rocblas_complex_numIfEPS3_EEvT1_iilPiilS6_bb,comdat
.Lfunc_end17:
	.size	_ZN9rocsolver6v33100L18getri_kernel_smallILi18E19rocblas_complex_numIfEPS3_EEvT1_iilPiilS6_bb, .Lfunc_end17-_ZN9rocsolver6v33100L18getri_kernel_smallILi18E19rocblas_complex_numIfEPS3_EEvT1_iilPiilS6_bb
                                        ; -- End function
	.set _ZN9rocsolver6v33100L18getri_kernel_smallILi18E19rocblas_complex_numIfEPS3_EEvT1_iilPiilS6_bb.num_vgpr, 124
	.set _ZN9rocsolver6v33100L18getri_kernel_smallILi18E19rocblas_complex_numIfEPS3_EEvT1_iilPiilS6_bb.num_agpr, 0
	.set _ZN9rocsolver6v33100L18getri_kernel_smallILi18E19rocblas_complex_numIfEPS3_EEvT1_iilPiilS6_bb.numbered_sgpr, 19
	.set _ZN9rocsolver6v33100L18getri_kernel_smallILi18E19rocblas_complex_numIfEPS3_EEvT1_iilPiilS6_bb.num_named_barrier, 0
	.set _ZN9rocsolver6v33100L18getri_kernel_smallILi18E19rocblas_complex_numIfEPS3_EEvT1_iilPiilS6_bb.private_seg_size, 160
	.set _ZN9rocsolver6v33100L18getri_kernel_smallILi18E19rocblas_complex_numIfEPS3_EEvT1_iilPiilS6_bb.uses_vcc, 1
	.set _ZN9rocsolver6v33100L18getri_kernel_smallILi18E19rocblas_complex_numIfEPS3_EEvT1_iilPiilS6_bb.uses_flat_scratch, 1
	.set _ZN9rocsolver6v33100L18getri_kernel_smallILi18E19rocblas_complex_numIfEPS3_EEvT1_iilPiilS6_bb.has_dyn_sized_stack, 0
	.set _ZN9rocsolver6v33100L18getri_kernel_smallILi18E19rocblas_complex_numIfEPS3_EEvT1_iilPiilS6_bb.has_recursion, 0
	.set _ZN9rocsolver6v33100L18getri_kernel_smallILi18E19rocblas_complex_numIfEPS3_EEvT1_iilPiilS6_bb.has_indirect_call, 0
	.section	.AMDGPU.csdata,"",@progbits
; Kernel info:
; codeLenInByte = 18928
; TotalNumSgprs: 21
; NumVgprs: 124
; ScratchSize: 160
; MemoryBound: 0
; FloatMode: 240
; IeeeMode: 1
; LDSByteSize: 292 bytes/workgroup (compile time only)
; SGPRBlocks: 0
; VGPRBlocks: 7
; NumSGPRsForWavesPerEU: 21
; NumVGPRsForWavesPerEU: 124
; NamedBarCnt: 0
; Occupancy: 8
; WaveLimiterHint : 1
; COMPUTE_PGM_RSRC2:SCRATCH_EN: 1
; COMPUTE_PGM_RSRC2:USER_SGPR: 2
; COMPUTE_PGM_RSRC2:TRAP_HANDLER: 0
; COMPUTE_PGM_RSRC2:TGID_X_EN: 1
; COMPUTE_PGM_RSRC2:TGID_Y_EN: 0
; COMPUTE_PGM_RSRC2:TGID_Z_EN: 0
; COMPUTE_PGM_RSRC2:TIDIG_COMP_CNT: 0
	.section	.text._ZN9rocsolver6v33100L18getri_kernel_smallILi19E19rocblas_complex_numIfEPS3_EEvT1_iilPiilS6_bb,"axG",@progbits,_ZN9rocsolver6v33100L18getri_kernel_smallILi19E19rocblas_complex_numIfEPS3_EEvT1_iilPiilS6_bb,comdat
	.globl	_ZN9rocsolver6v33100L18getri_kernel_smallILi19E19rocblas_complex_numIfEPS3_EEvT1_iilPiilS6_bb ; -- Begin function _ZN9rocsolver6v33100L18getri_kernel_smallILi19E19rocblas_complex_numIfEPS3_EEvT1_iilPiilS6_bb
	.p2align	8
	.type	_ZN9rocsolver6v33100L18getri_kernel_smallILi19E19rocblas_complex_numIfEPS3_EEvT1_iilPiilS6_bb,@function
_ZN9rocsolver6v33100L18getri_kernel_smallILi19E19rocblas_complex_numIfEPS3_EEvT1_iilPiilS6_bb: ; @_ZN9rocsolver6v33100L18getri_kernel_smallILi19E19rocblas_complex_numIfEPS3_EEvT1_iilPiilS6_bb
; %bb.0:
	s_mov_b32 s2, exec_lo
	v_cmpx_gt_u32_e32 19, v0
	s_cbranch_execz .LBB18_90
; %bb.1:
	s_clause 0x2
	s_load_b32 s2, s[0:1], 0x38
	s_load_b128 s[12:15], s[0:1], 0x10
	s_load_b128 s[4:7], s[0:1], 0x28
	s_getreg_b32 s9, hwreg(HW_REG_IB_STS2, 6, 4)
	s_wait_kmcnt 0x0
	s_bitcmp1_b32 s2, 8
	s_cselect_b32 s18, -1, 0
	s_bfe_u32 s3, ttmp6, 0x4000c
	s_and_b32 s8, ttmp6, 15
	s_add_co_i32 s3, s3, 1
	s_delay_alu instid0(SALU_CYCLE_1) | instskip(NEXT) | instid1(SALU_CYCLE_1)
	s_mul_i32 s3, ttmp9, s3
	s_add_co_i32 s8, s8, s3
	s_cmp_eq_u32 s9, 0
	s_cselect_b32 s16, ttmp9, s8
	s_bfe_u32 s2, s2, 0x10008
	s_ashr_i32 s17, s16, 31
	s_cmp_eq_u32 s2, 0
                                        ; implicit-def: $sgpr2_sgpr3
	s_cbranch_scc1 .LBB18_3
; %bb.2:
	s_load_b32 s2, s[0:1], 0x20
	s_mul_u64 s[4:5], s[4:5], s[16:17]
	s_delay_alu instid0(SALU_CYCLE_1) | instskip(NEXT) | instid1(SALU_CYCLE_1)
	s_lshl_b64 s[4:5], s[4:5], 2
	s_add_nc_u64 s[4:5], s[14:15], s[4:5]
	s_wait_kmcnt 0x0
	s_ashr_i32 s3, s2, 31
	s_delay_alu instid0(SALU_CYCLE_1) | instskip(NEXT) | instid1(SALU_CYCLE_1)
	s_lshl_b64 s[2:3], s[2:3], 2
	s_add_nc_u64 s[2:3], s[4:5], s[2:3]
.LBB18_3:
	s_clause 0x1
	s_load_b128 s[8:11], s[0:1], 0x0
	s_load_b32 s14, s[0:1], 0x38
	s_wait_xcnt 0x0
	s_mul_u64 s[0:1], s[12:13], s[16:17]
	v_lshlrev_b32_e32 v40, 3, v0
	s_lshl_b64 s[0:1], s[0:1], 3
	v_mov_b32_e32 v41, 0
	s_wait_kmcnt 0x0
	v_add3_u32 v4, s11, s11, v0
	s_ashr_i32 s5, s10, 31
	s_mov_b32 s4, s10
	s_add_nc_u64 s[0:1], s[8:9], s[0:1]
	s_lshl_b64 s[4:5], s[4:5], 3
	v_add_nc_u32_e32 v6, s11, v4
	s_add_nc_u64 s[4:5], s[0:1], s[4:5]
	s_ashr_i32 s1, s11, 31
	s_mov_b32 s0, s11
	s_bitcmp0_b32 s14, 0
	v_add_nc_u32_e32 v10, s11, v6
	v_add_nc_u64_e32 v[2:3], s[4:5], v[40:41]
	s_delay_alu instid0(VALU_DEP_2) | instskip(NEXT) | instid1(VALU_DEP_2)
	v_add_nc_u32_e32 v12, s11, v10
	v_lshl_add_u64 v[8:9], s[0:1], 3, v[2:3]
	s_mov_b32 s1, -1
	s_delay_alu instid0(VALU_DEP_2)
	v_add_nc_u32_e32 v14, s11, v12
	s_clause 0x5
	global_load_b64 v[42:43], v0, s[4:5] scale_offset
	global_load_b64 v[44:45], v[8:9], off
	global_load_b64 v[46:47], v4, s[4:5] scale_offset
	global_load_b64 v[48:49], v6, s[4:5] scale_offset
	;; [unrolled: 1-line block ×4, first 2 shown]
	v_add_nc_u32_e32 v16, s11, v14
	s_delay_alu instid0(VALU_DEP_1) | instskip(NEXT) | instid1(VALU_DEP_1)
	v_add_nc_u32_e32 v18, s11, v16
	v_add_nc_u32_e32 v20, s11, v18
	s_delay_alu instid0(VALU_DEP_1) | instskip(NEXT) | instid1(VALU_DEP_1)
	v_add_nc_u32_e32 v22, s11, v20
	v_add_nc_u32_e32 v24, s11, v22
	s_delay_alu instid0(VALU_DEP_1)
	v_add_nc_u32_e32 v26, s11, v24
	s_clause 0x3
	global_load_b64 v[54:55], v14, s[4:5] scale_offset
	global_load_b64 v[56:57], v16, s[4:5] scale_offset
	;; [unrolled: 1-line block ×4, first 2 shown]
	v_add_nc_u32_e32 v28, s11, v26
	s_delay_alu instid0(VALU_DEP_1)
	v_add_nc_u32_e32 v30, s11, v28
	s_clause 0x3
	global_load_b64 v[62:63], v22, s[4:5] scale_offset
	global_load_b64 v[64:65], v24, s[4:5] scale_offset
	;; [unrolled: 1-line block ×4, first 2 shown]
	v_add_nc_u32_e32 v32, s11, v30
	s_delay_alu instid0(VALU_DEP_1) | instskip(NEXT) | instid1(VALU_DEP_1)
	v_add_nc_u32_e32 v34, s11, v32
	v_add_nc_u32_e32 v36, s11, v34
	s_delay_alu instid0(VALU_DEP_1)
	v_add_nc_u32_e32 v38, s11, v36
	s_clause 0x4
	global_load_b64 v[70:71], v30, s[4:5] scale_offset
	global_load_b64 v[72:73], v32, s[4:5] scale_offset
	;; [unrolled: 1-line block ×5, first 2 shown]
	s_wait_loadcnt 0x11
	scratch_store_b128 off, v[42:45], off
	s_wait_loadcnt 0xf
	scratch_store_b128 off, v[46:49], off offset:16
	s_wait_loadcnt 0xd
	scratch_store_b128 off, v[50:53], off offset:32
	s_wait_loadcnt 0xb
	scratch_store_b128 off, v[54:57], off offset:48
	s_wait_loadcnt 0x9
	scratch_store_b128 off, v[58:61], off offset:64
	s_wait_loadcnt 0x7
	scratch_store_b128 off, v[62:65], off offset:80
	s_wait_loadcnt 0x5
	scratch_store_b128 off, v[66:69], off offset:96
	s_wait_loadcnt 0x3
	scratch_store_b128 off, v[70:73], off offset:112
	s_wait_loadcnt 0x1
	scratch_store_b128 off, v[74:77], off offset:128
	s_wait_loadcnt 0x0
	scratch_store_b64 off, v[78:79], off offset:144
	s_cbranch_scc1 .LBB18_88
; %bb.4:
	v_cmp_eq_u32_e64 s0, 0, v0
	s_wait_xcnt 0x0
	s_and_saveexec_b32 s1, s0
; %bb.5:
	v_mov_b32_e32 v1, 0
	ds_store_b32 v1, v1 offset:152
; %bb.6:
	s_or_b32 exec_lo, exec_lo, s1
	s_wait_storecnt_dscnt 0x0
	s_barrier_signal -1
	s_barrier_wait -1
	scratch_load_b64 v[42:43], v0, off scale_offset
	s_wait_loadcnt 0x0
	v_cmp_eq_f32_e32 vcc_lo, 0, v42
	v_cmp_eq_f32_e64 s1, 0, v43
	s_and_b32 s1, vcc_lo, s1
	s_delay_alu instid0(SALU_CYCLE_1)
	s_and_saveexec_b32 s8, s1
	s_cbranch_execz .LBB18_10
; %bb.7:
	v_mov_b32_e32 v1, 0
	s_mov_b32 s9, 0
	ds_load_b32 v5, v1 offset:152
	s_wait_dscnt 0x0
	v_readfirstlane_b32 s1, v5
	v_add_nc_u32_e32 v5, 1, v0
	s_cmp_eq_u32 s1, 0
	s_delay_alu instid0(VALU_DEP_1) | instskip(SKIP_1) | instid1(SALU_CYCLE_1)
	v_cmp_gt_i32_e32 vcc_lo, s1, v5
	s_cselect_b32 s10, -1, 0
	s_or_b32 s10, s10, vcc_lo
	s_delay_alu instid0(SALU_CYCLE_1)
	s_and_b32 exec_lo, exec_lo, s10
	s_cbranch_execz .LBB18_10
; %bb.8:
	v_mov_b32_e32 v7, s1
.LBB18_9:                               ; =>This Inner Loop Header: Depth=1
	ds_cmpstore_rtn_b32 v7, v1, v5, v7 offset:152
	s_wait_dscnt 0x0
	v_cmp_ne_u32_e32 vcc_lo, 0, v7
	v_cmp_le_i32_e64 s1, v7, v5
	s_and_b32 s1, vcc_lo, s1
	s_delay_alu instid0(SALU_CYCLE_1) | instskip(NEXT) | instid1(SALU_CYCLE_1)
	s_and_b32 s1, exec_lo, s1
	s_or_b32 s9, s1, s9
	s_delay_alu instid0(SALU_CYCLE_1)
	s_and_not1_b32 exec_lo, exec_lo, s9
	s_cbranch_execnz .LBB18_9
.LBB18_10:
	s_or_b32 exec_lo, exec_lo, s8
	v_mov_b32_e32 v1, 0
	s_barrier_signal -1
	s_barrier_wait -1
	ds_load_b32 v5, v1 offset:152
	s_and_saveexec_b32 s1, s0
	s_cbranch_execz .LBB18_12
; %bb.11:
	s_lshl_b64 s[8:9], s[16:17], 2
	s_delay_alu instid0(SALU_CYCLE_1)
	s_add_nc_u64 s[8:9], s[6:7], s[8:9]
	s_wait_dscnt 0x0
	global_store_b32 v1, v5, s[8:9]
.LBB18_12:
	s_wait_xcnt 0x0
	s_or_b32 exec_lo, exec_lo, s1
	s_wait_dscnt 0x0
	v_cmp_ne_u32_e32 vcc_lo, 0, v5
	s_mov_b32 s1, 0
	s_cbranch_vccnz .LBB18_88
; %bb.13:
	v_lshl_add_u32 v5, v0, 3, 0
                                        ; implicit-def: $vgpr45
                                        ; implicit-def: $vgpr46
	scratch_load_b64 v[42:43], v5, off
	s_wait_loadcnt 0x0
	v_cmp_ngt_f32_e64 s1, |v42|, |v43|
	s_wait_xcnt 0x0
	s_and_saveexec_b32 s8, s1
	s_delay_alu instid0(SALU_CYCLE_1)
	s_xor_b32 s1, exec_lo, s8
	s_cbranch_execz .LBB18_15
; %bb.14:
	v_div_scale_f32 v1, null, v43, v43, v42
	v_div_scale_f32 v13, vcc_lo, v42, v43, v42
	s_delay_alu instid0(VALU_DEP_2) | instskip(SKIP_1) | instid1(TRANS32_DEP_1)
	v_rcp_f32_e32 v7, v1
	v_nop
	v_fma_f32 v11, -v1, v7, 1.0
	s_delay_alu instid0(VALU_DEP_1) | instskip(NEXT) | instid1(VALU_DEP_1)
	v_fmac_f32_e32 v7, v11, v7
	v_mul_f32_e32 v11, v13, v7
	s_delay_alu instid0(VALU_DEP_1) | instskip(NEXT) | instid1(VALU_DEP_1)
	v_fma_f32 v15, -v1, v11, v13
	v_fmac_f32_e32 v11, v15, v7
	s_delay_alu instid0(VALU_DEP_1) | instskip(NEXT) | instid1(VALU_DEP_1)
	v_fma_f32 v1, -v1, v11, v13
	v_div_fmas_f32 v1, v1, v7, v11
	s_delay_alu instid0(VALU_DEP_1) | instskip(NEXT) | instid1(VALU_DEP_1)
	v_div_fixup_f32 v1, v1, v43, v42
	v_fmac_f32_e32 v43, v42, v1
	s_delay_alu instid0(VALU_DEP_1) | instskip(NEXT) | instid1(VALU_DEP_1)
	v_div_scale_f32 v7, null, v43, v43, -1.0
	v_rcp_f32_e32 v11, v7
	v_nop
	s_delay_alu instid0(TRANS32_DEP_1) | instskip(NEXT) | instid1(VALU_DEP_1)
	v_fma_f32 v13, -v7, v11, 1.0
	v_fmac_f32_e32 v11, v13, v11
	v_div_scale_f32 v13, vcc_lo, -1.0, v43, -1.0
	s_delay_alu instid0(VALU_DEP_1) | instskip(NEXT) | instid1(VALU_DEP_1)
	v_mul_f32_e32 v15, v13, v11
	v_fma_f32 v17, -v7, v15, v13
	s_delay_alu instid0(VALU_DEP_1) | instskip(NEXT) | instid1(VALU_DEP_1)
	v_fmac_f32_e32 v15, v17, v11
	v_fma_f32 v7, -v7, v15, v13
	s_delay_alu instid0(VALU_DEP_1) | instskip(NEXT) | instid1(VALU_DEP_1)
	v_div_fmas_f32 v7, v7, v11, v15
	v_div_fixup_f32 v45, v7, v43, -1.0
                                        ; implicit-def: $vgpr42_vgpr43
	s_delay_alu instid0(VALU_DEP_1) | instskip(NEXT) | instid1(VALU_DEP_1)
	v_mul_f32_e32 v46, v1, v45
	v_xor_b32_e32 v44, 0x80000000, v46
.LBB18_15:
	s_and_not1_saveexec_b32 s1, s1
	s_cbranch_execz .LBB18_17
; %bb.16:
	v_div_scale_f32 v1, null, v42, v42, v43
	v_div_scale_f32 v13, vcc_lo, v43, v42, v43
	s_delay_alu instid0(VALU_DEP_2) | instskip(SKIP_1) | instid1(TRANS32_DEP_1)
	v_rcp_f32_e32 v7, v1
	v_nop
	v_fma_f32 v11, -v1, v7, 1.0
	s_delay_alu instid0(VALU_DEP_1) | instskip(NEXT) | instid1(VALU_DEP_1)
	v_fmac_f32_e32 v7, v11, v7
	v_mul_f32_e32 v11, v13, v7
	s_delay_alu instid0(VALU_DEP_1) | instskip(NEXT) | instid1(VALU_DEP_1)
	v_fma_f32 v15, -v1, v11, v13
	v_fmac_f32_e32 v11, v15, v7
	s_delay_alu instid0(VALU_DEP_1) | instskip(NEXT) | instid1(VALU_DEP_1)
	v_fma_f32 v1, -v1, v11, v13
	v_div_fmas_f32 v1, v1, v7, v11
	s_delay_alu instid0(VALU_DEP_1) | instskip(NEXT) | instid1(VALU_DEP_1)
	v_div_fixup_f32 v1, v1, v42, v43
	v_fmac_f32_e32 v42, v43, v1
	s_delay_alu instid0(VALU_DEP_1) | instskip(SKIP_1) | instid1(VALU_DEP_2)
	v_div_scale_f32 v7, null, v42, v42, 1.0
	v_div_scale_f32 v15, vcc_lo, 1.0, v42, 1.0
	v_rcp_f32_e32 v11, v7
	v_nop
	s_delay_alu instid0(TRANS32_DEP_1) | instskip(NEXT) | instid1(VALU_DEP_1)
	v_fma_f32 v13, -v7, v11, 1.0
	v_fmac_f32_e32 v11, v13, v11
	s_delay_alu instid0(VALU_DEP_1) | instskip(NEXT) | instid1(VALU_DEP_1)
	v_mul_f32_e32 v13, v15, v11
	v_fma_f32 v17, -v7, v13, v15
	s_delay_alu instid0(VALU_DEP_1) | instskip(NEXT) | instid1(VALU_DEP_1)
	v_fmac_f32_e32 v13, v17, v11
	v_fma_f32 v7, -v7, v13, v15
	s_delay_alu instid0(VALU_DEP_1) | instskip(NEXT) | instid1(VALU_DEP_1)
	v_div_fmas_f32 v7, v7, v11, v13
	v_div_fixup_f32 v44, v7, v42, 1.0
	s_delay_alu instid0(VALU_DEP_1)
	v_xor_b32_e32 v46, 0x80000000, v44
	v_mul_f32_e64 v45, v1, -v44
.LBB18_17:
	s_or_b32 exec_lo, exec_lo, s1
	scratch_store_b64 v5, v[44:45], off
	scratch_load_b64 v[42:43], off, off offset:8
	v_xor_b32_e32 v47, 0x80000000, v45
	v_add_nc_u32_e32 v1, 0xa0, v40
	s_wait_loadcnt 0x0
	ds_store_2addr_b64 v40, v[46:47], v[42:43] offset1:20
	s_wait_storecnt_dscnt 0x0
	s_barrier_signal -1
	s_barrier_wait -1
	s_wait_xcnt 0x0
	s_and_saveexec_b32 s1, s0
	s_cbranch_execz .LBB18_19
; %bb.18:
	scratch_load_b64 v[42:43], v5, off
	ds_load_b64 v[44:45], v1
	s_wait_loadcnt_dscnt 0x0
	v_pk_mul_f32 v[48:49], v[44:45], v[42:43] op_sel:[1,1] op_sel_hi:[0,1]
	s_delay_alu instid0(VALU_DEP_1) | instskip(SKIP_2) | instid1(VALU_DEP_3)
	v_pk_fma_f32 v[50:51], v[44:45], v[42:43], v[48:49] op_sel_hi:[1,0,1]
	v_mov_b32_e32 v7, 0
	v_pk_fma_f32 v[42:43], v[44:45], v[42:43], v[48:49] neg_lo:[0,0,1] neg_hi:[0,0,1]
	v_mov_b32_e32 v43, v51
	ds_load_b64 v[46:47], v7 offset:8
	v_pk_add_f32 v[42:43], v[42:43], 0 op_sel_hi:[1,0]
	s_wait_dscnt 0x0
	s_delay_alu instid0(VALU_DEP_1) | instskip(NEXT) | instid1(VALU_DEP_1)
	v_pk_mul_f32 v[44:45], v[42:43], v[46:47] op_sel:[1,1] op_sel_hi:[0,1]
	v_pk_fma_f32 v[48:49], v[42:43], v[46:47], v[44:45] op_sel_hi:[1,0,1]
	v_pk_fma_f32 v[42:43], v[42:43], v[46:47], v[44:45] neg_lo:[0,0,1] neg_hi:[0,0,1]
	s_delay_alu instid0(VALU_DEP_2)
	v_mov_b32_e32 v43, v49
	scratch_store_b64 off, v[42:43], off offset:8
.LBB18_19:
	s_wait_xcnt 0x0
	s_or_b32 exec_lo, exec_lo, s1
	s_wait_storecnt 0x0
	s_barrier_signal -1
	s_barrier_wait -1
	scratch_load_b64 v[42:43], off, off offset:16
	s_mov_b32 s1, exec_lo
	s_wait_loadcnt 0x0
	ds_store_b64 v1, v[42:43]
	s_wait_dscnt 0x0
	s_barrier_signal -1
	s_barrier_wait -1
	v_cmpx_gt_u32_e32 2, v0
	s_cbranch_execz .LBB18_23
; %bb.20:
	scratch_load_b64 v[42:43], v5, off
	ds_load_b64 v[44:45], v1
	s_wait_loadcnt_dscnt 0x0
	v_pk_mul_f32 v[46:47], v[44:45], v[42:43] op_sel:[1,1] op_sel_hi:[0,1]
	s_delay_alu instid0(VALU_DEP_1) | instskip(SKIP_1) | instid1(VALU_DEP_2)
	v_pk_fma_f32 v[48:49], v[44:45], v[42:43], v[46:47] op_sel_hi:[1,0,1]
	v_pk_fma_f32 v[42:43], v[44:45], v[42:43], v[46:47] neg_lo:[0,0,1] neg_hi:[0,0,1]
	v_mov_b32_e32 v43, v49
	s_delay_alu instid0(VALU_DEP_1)
	v_pk_add_f32 v[42:43], v[42:43], 0 op_sel_hi:[1,0]
	s_and_saveexec_b32 s8, s0
	s_cbranch_execz .LBB18_22
; %bb.21:
	scratch_load_b64 v[44:45], off, off offset:8
	v_mov_b32_e32 v5, 0
	ds_load_b64 v[46:47], v5 offset:168
	s_wait_loadcnt_dscnt 0x0
	v_pk_mul_f32 v[48:49], v[46:47], v[44:45] op_sel:[1,1] op_sel_hi:[0,1]
	s_delay_alu instid0(VALU_DEP_1) | instskip(SKIP_1) | instid1(VALU_DEP_2)
	v_pk_fma_f32 v[50:51], v[46:47], v[44:45], v[48:49] op_sel_hi:[1,0,1]
	v_pk_fma_f32 v[44:45], v[46:47], v[44:45], v[48:49] neg_lo:[0,0,1] neg_hi:[0,0,1]
	v_mov_b32_e32 v45, v51
	s_delay_alu instid0(VALU_DEP_1)
	v_pk_add_f32 v[42:43], v[42:43], v[44:45]
.LBB18_22:
	s_or_b32 exec_lo, exec_lo, s8
	v_mov_b32_e32 v5, 0
	ds_load_b64 v[44:45], v5 offset:16
	s_wait_dscnt 0x0
	v_pk_mul_f32 v[46:47], v[42:43], v[44:45] op_sel:[1,1] op_sel_hi:[0,1]
	s_delay_alu instid0(VALU_DEP_1) | instskip(SKIP_1) | instid1(VALU_DEP_2)
	v_pk_fma_f32 v[48:49], v[42:43], v[44:45], v[46:47] op_sel_hi:[1,0,1]
	v_pk_fma_f32 v[42:43], v[42:43], v[44:45], v[46:47] neg_lo:[0,0,1] neg_hi:[0,0,1]
	v_mov_b32_e32 v43, v49
	scratch_store_b64 off, v[42:43], off offset:16
.LBB18_23:
	s_wait_xcnt 0x0
	s_or_b32 exec_lo, exec_lo, s1
	s_wait_storecnt 0x0
	s_barrier_signal -1
	s_barrier_wait -1
	scratch_load_b64 v[42:43], off, off offset:24
	v_add_nc_u32_e32 v5, -1, v0
	s_mov_b32 s0, exec_lo
	s_wait_loadcnt 0x0
	ds_store_b64 v1, v[42:43]
	s_wait_dscnt 0x0
	s_barrier_signal -1
	s_barrier_wait -1
	v_cmpx_gt_u32_e32 3, v0
	s_cbranch_execz .LBB18_27
; %bb.24:
	v_dual_mov_b32 v42, 0 :: v_dual_add_nc_u32 v7, -1, v0
	v_add_nc_u32_e32 v11, 0xa0, v40
	v_mov_b32_e32 v13, v40
	s_mov_b32 s1, 0
	s_delay_alu instid0(VALU_DEP_3)
	v_mov_b32_e32 v43, v42
.LBB18_25:                              ; =>This Inner Loop Header: Depth=1
	scratch_load_b64 v[44:45], v13, off
	ds_load_b64 v[46:47], v11
	s_wait_xcnt 0x0
	v_dual_add_nc_u32 v11, 8, v11 :: v_dual_add_nc_u32 v13, 8, v13
	s_wait_loadcnt_dscnt 0x0
	v_pk_mul_f32 v[48:49], v[46:47], v[44:45] op_sel:[1,1] op_sel_hi:[0,1]
	s_delay_alu instid0(VALU_DEP_1) | instskip(SKIP_2) | instid1(VALU_DEP_3)
	v_pk_fma_f32 v[50:51], v[46:47], v[44:45], v[48:49] op_sel_hi:[1,0,1]
	v_add_nc_u32_e32 v7, 1, v7
	v_pk_fma_f32 v[44:45], v[46:47], v[44:45], v[48:49] neg_lo:[0,0,1] neg_hi:[0,0,1]
	v_mov_b32_e32 v45, v51
	s_delay_alu instid0(VALU_DEP_3) | instskip(NEXT) | instid1(VALU_DEP_2)
	v_cmp_lt_u32_e32 vcc_lo, 1, v7
	v_pk_add_f32 v[42:43], v[42:43], v[44:45]
	s_or_b32 s1, vcc_lo, s1
	s_delay_alu instid0(SALU_CYCLE_1)
	s_and_not1_b32 exec_lo, exec_lo, s1
	s_cbranch_execnz .LBB18_25
; %bb.26:
	s_or_b32 exec_lo, exec_lo, s1
	v_mov_b32_e32 v7, 0
	ds_load_b64 v[44:45], v7 offset:24
	s_wait_dscnt 0x0
	v_pk_mul_f32 v[46:47], v[42:43], v[44:45] op_sel:[1,1] op_sel_hi:[0,1]
	s_delay_alu instid0(VALU_DEP_1) | instskip(SKIP_1) | instid1(VALU_DEP_2)
	v_pk_fma_f32 v[48:49], v[42:43], v[44:45], v[46:47] op_sel_hi:[1,0,1]
	v_pk_fma_f32 v[42:43], v[42:43], v[44:45], v[46:47] neg_lo:[0,0,1] neg_hi:[0,0,1]
	v_mov_b32_e32 v43, v49
	scratch_store_b64 off, v[42:43], off offset:24
.LBB18_27:
	s_wait_xcnt 0x0
	s_or_b32 exec_lo, exec_lo, s0
	s_wait_storecnt 0x0
	s_barrier_signal -1
	s_barrier_wait -1
	scratch_load_b64 v[42:43], off, off offset:32
	s_mov_b32 s0, exec_lo
	s_wait_loadcnt 0x0
	ds_store_b64 v1, v[42:43]
	s_wait_dscnt 0x0
	s_barrier_signal -1
	s_barrier_wait -1
	v_cmpx_gt_u32_e32 4, v0
	s_cbranch_execz .LBB18_31
; %bb.28:
	v_dual_mov_b32 v42, 0 :: v_dual_add_nc_u32 v7, -1, v0
	v_add_nc_u32_e32 v11, 0xa0, v40
	v_mov_b32_e32 v13, v40
	s_mov_b32 s1, 0
	s_delay_alu instid0(VALU_DEP_3)
	v_mov_b32_e32 v43, v42
.LBB18_29:                              ; =>This Inner Loop Header: Depth=1
	scratch_load_b64 v[44:45], v13, off
	ds_load_b64 v[46:47], v11
	s_wait_xcnt 0x0
	v_dual_add_nc_u32 v11, 8, v11 :: v_dual_add_nc_u32 v13, 8, v13
	s_wait_loadcnt_dscnt 0x0
	v_pk_mul_f32 v[48:49], v[46:47], v[44:45] op_sel:[1,1] op_sel_hi:[0,1]
	s_delay_alu instid0(VALU_DEP_1) | instskip(SKIP_2) | instid1(VALU_DEP_3)
	v_pk_fma_f32 v[50:51], v[46:47], v[44:45], v[48:49] op_sel_hi:[1,0,1]
	v_add_nc_u32_e32 v7, 1, v7
	v_pk_fma_f32 v[44:45], v[46:47], v[44:45], v[48:49] neg_lo:[0,0,1] neg_hi:[0,0,1]
	v_mov_b32_e32 v45, v51
	s_delay_alu instid0(VALU_DEP_3) | instskip(NEXT) | instid1(VALU_DEP_2)
	v_cmp_lt_u32_e32 vcc_lo, 2, v7
	v_pk_add_f32 v[42:43], v[42:43], v[44:45]
	s_or_b32 s1, vcc_lo, s1
	s_delay_alu instid0(SALU_CYCLE_1)
	s_and_not1_b32 exec_lo, exec_lo, s1
	s_cbranch_execnz .LBB18_29
; %bb.30:
	s_or_b32 exec_lo, exec_lo, s1
	v_mov_b32_e32 v7, 0
	ds_load_b64 v[44:45], v7 offset:32
	s_wait_dscnt 0x0
	v_pk_mul_f32 v[46:47], v[42:43], v[44:45] op_sel:[1,1] op_sel_hi:[0,1]
	s_delay_alu instid0(VALU_DEP_1) | instskip(SKIP_1) | instid1(VALU_DEP_2)
	v_pk_fma_f32 v[48:49], v[42:43], v[44:45], v[46:47] op_sel_hi:[1,0,1]
	v_pk_fma_f32 v[42:43], v[42:43], v[44:45], v[46:47] neg_lo:[0,0,1] neg_hi:[0,0,1]
	v_mov_b32_e32 v43, v49
	scratch_store_b64 off, v[42:43], off offset:32
.LBB18_31:
	s_wait_xcnt 0x0
	s_or_b32 exec_lo, exec_lo, s0
	s_wait_storecnt 0x0
	s_barrier_signal -1
	s_barrier_wait -1
	scratch_load_b64 v[42:43], off, off offset:40
	;; [unrolled: 52-line block ×15, first 2 shown]
	s_mov_b32 s0, exec_lo
	s_wait_loadcnt 0x0
	ds_store_b64 v1, v[42:43]
	s_wait_dscnt 0x0
	s_barrier_signal -1
	s_barrier_wait -1
	v_cmpx_ne_u32_e32 18, v0
	s_cbranch_execz .LBB18_87
; %bb.84:
	v_dual_mov_b32 v42, 0 :: v_dual_mov_b32 v7, v40
	s_mov_b32 s1, 0
	s_delay_alu instid0(VALU_DEP_1)
	v_mov_b32_e32 v43, v42
.LBB18_85:                              ; =>This Inner Loop Header: Depth=1
	scratch_load_b64 v[40:41], v7, off
	ds_load_b64 v[44:45], v1
	s_wait_xcnt 0x0
	v_dual_add_nc_u32 v1, 8, v1 :: v_dual_add_nc_u32 v7, 8, v7
	s_wait_loadcnt_dscnt 0x0
	v_pk_mul_f32 v[46:47], v[44:45], v[40:41] op_sel:[1,1] op_sel_hi:[0,1]
	s_delay_alu instid0(VALU_DEP_1) | instskip(SKIP_2) | instid1(VALU_DEP_3)
	v_pk_fma_f32 v[48:49], v[44:45], v[40:41], v[46:47] op_sel_hi:[1,0,1]
	v_add_nc_u32_e32 v5, 1, v5
	v_pk_fma_f32 v[40:41], v[44:45], v[40:41], v[46:47] neg_lo:[0,0,1] neg_hi:[0,0,1]
	v_mov_b32_e32 v41, v49
	s_delay_alu instid0(VALU_DEP_3) | instskip(NEXT) | instid1(VALU_DEP_2)
	v_cmp_lt_u32_e32 vcc_lo, 16, v5
	v_pk_add_f32 v[42:43], v[42:43], v[40:41]
	s_or_b32 s1, vcc_lo, s1
	s_delay_alu instid0(SALU_CYCLE_1)
	s_and_not1_b32 exec_lo, exec_lo, s1
	s_cbranch_execnz .LBB18_85
; %bb.86:
	s_or_b32 exec_lo, exec_lo, s1
	v_mov_b32_e32 v1, 0
	ds_load_b64 v[40:41], v1 offset:144
	s_wait_dscnt 0x0
	v_pk_mul_f32 v[44:45], v[42:43], v[40:41] op_sel:[1,1] op_sel_hi:[0,1]
	s_delay_alu instid0(VALU_DEP_1) | instskip(SKIP_1) | instid1(VALU_DEP_2)
	v_pk_fma_f32 v[46:47], v[42:43], v[40:41], v[44:45] op_sel_hi:[1,0,1]
	v_pk_fma_f32 v[40:41], v[42:43], v[40:41], v[44:45] neg_lo:[0,0,1] neg_hi:[0,0,1]
	v_mov_b32_e32 v41, v47
	scratch_store_b64 off, v[40:41], off offset:144
.LBB18_87:
	s_wait_xcnt 0x0
	s_or_b32 exec_lo, exec_lo, s0
	s_mov_b32 s1, -1
	s_wait_storecnt 0x0
	s_barrier_signal -1
	s_barrier_wait -1
.LBB18_88:
	s_and_b32 vcc_lo, exec_lo, s1
	s_cbranch_vccz .LBB18_90
; %bb.89:
	v_mov_b32_e32 v1, 0
	s_lshl_b64 s[0:1], s[16:17], 2
	s_delay_alu instid0(SALU_CYCLE_1)
	s_add_nc_u64 s[0:1], s[6:7], s[0:1]
	global_load_b32 v1, v1, s[0:1]
	s_wait_loadcnt 0x0
	v_cmp_ne_u32_e32 vcc_lo, 0, v1
	s_cbranch_vccz .LBB18_91
.LBB18_90:
	s_sendmsg sendmsg(MSG_DEALLOC_VGPRS)
	s_endpgm
.LBB18_91:
	s_wait_xcnt 0x0
	v_lshl_add_u32 v1, v0, 3, 0xa0
	s_mov_b32 s0, exec_lo
	v_cmpx_eq_u32_e32 18, v0
	s_cbranch_execz .LBB18_93
; %bb.92:
	scratch_load_b64 v[40:41], off, off offset:136
	v_mov_b64_e32 v[42:43], 0
	scratch_store_b64 off, v[42:43], off offset:136
	s_wait_loadcnt 0x0
	ds_store_b64 v1, v[40:41]
.LBB18_93:
	s_wait_xcnt 0x0
	s_or_b32 exec_lo, exec_lo, s0
	s_wait_storecnt_dscnt 0x0
	s_barrier_signal -1
	s_barrier_wait -1
	s_clause 0x1
	scratch_load_b64 v[40:41], off, off offset:144
	scratch_load_b64 v[42:43], off, off offset:136
	v_mov_b32_e32 v5, 0
	s_mov_b32 s0, exec_lo
	ds_load_b64 v[44:45], v5 offset:304
	s_wait_loadcnt_dscnt 0x100
	v_pk_mul_f32 v[46:47], v[44:45], v[40:41] op_sel:[1,1] op_sel_hi:[0,1]
	s_delay_alu instid0(VALU_DEP_1) | instskip(SKIP_1) | instid1(VALU_DEP_2)
	v_pk_fma_f32 v[48:49], v[44:45], v[40:41], v[46:47] op_sel_hi:[1,0,1]
	v_pk_fma_f32 v[40:41], v[44:45], v[40:41], v[46:47] neg_lo:[0,0,1] neg_hi:[0,0,1]
	v_mov_b32_e32 v41, v49
	s_delay_alu instid0(VALU_DEP_1) | instskip(SKIP_1) | instid1(VALU_DEP_1)
	v_pk_add_f32 v[40:41], v[40:41], 0 op_sel_hi:[1,0]
	s_wait_loadcnt 0x0
	v_pk_add_f32 v[40:41], v[42:43], v[40:41] neg_lo:[0,1] neg_hi:[0,1]
	scratch_store_b64 off, v[40:41], off offset:136
	s_wait_xcnt 0x0
	v_cmpx_lt_u32_e32 16, v0
	s_cbranch_execz .LBB18_95
; %bb.94:
	scratch_load_b64 v[40:41], off, off offset:128
	v_mov_b64_e32 v[42:43], 0
	scratch_store_b64 off, v[42:43], off offset:128
	s_wait_loadcnt 0x0
	ds_store_b64 v1, v[40:41]
.LBB18_95:
	s_wait_xcnt 0x0
	s_or_b32 exec_lo, exec_lo, s0
	s_wait_storecnt_dscnt 0x0
	s_barrier_signal -1
	s_barrier_wait -1
	s_clause 0x1
	scratch_load_b128 v[40:43], off, off offset:136
	scratch_load_b64 v[48:49], off, off offset:128
	ds_load_2addr_b64 v[44:47], v5 offset0:37 offset1:38
	s_mov_b32 s0, exec_lo
	s_wait_dscnt 0x0
	v_dual_mov_b32 v50, v47 :: v_dual_mov_b32 v51, v46
	s_wait_loadcnt 0x1
	v_pk_mul_f32 v[52:53], v[44:45], v[40:41] op_sel:[1,1] op_sel_hi:[0,1]
	s_delay_alu instid0(VALU_DEP_1) | instskip(SKIP_2) | instid1(VALU_DEP_3)
	v_pk_fma_f32 v[56:57], v[44:45], v[40:41], v[52:53] op_sel_hi:[1,0,1]
	v_mov_b32_e32 v54, v43
	v_pk_fma_f32 v[40:41], v[44:45], v[40:41], v[52:53] neg_lo:[0,0,1] neg_hi:[0,0,1]
	v_mov_b32_e32 v41, v57
	s_delay_alu instid0(VALU_DEP_3) | instskip(NEXT) | instid1(VALU_DEP_2)
	v_pk_mul_f32 v[50:51], v[50:51], v[54:55] op_sel_hi:[1,0]
	v_pk_add_f32 v[40:41], v[40:41], 0 op_sel_hi:[1,0]
	s_delay_alu instid0(VALU_DEP_2) | instskip(SKIP_1) | instid1(VALU_DEP_2)
	v_pk_fma_f32 v[44:45], v[46:47], v[42:43], v[50:51] op_sel_hi:[1,0,1]
	v_pk_fma_f32 v[42:43], v[46:47], v[42:43], v[50:51] neg_lo:[0,0,1] neg_hi:[0,0,1]
	v_mov_b32_e32 v43, v45
	s_delay_alu instid0(VALU_DEP_1) | instskip(SKIP_1) | instid1(VALU_DEP_1)
	v_pk_add_f32 v[40:41], v[40:41], v[42:43]
	s_wait_loadcnt 0x0
	v_pk_add_f32 v[40:41], v[48:49], v[40:41] neg_lo:[0,1] neg_hi:[0,1]
	scratch_store_b64 off, v[40:41], off offset:128
	s_wait_xcnt 0x0
	v_cmpx_lt_u32_e32 15, v0
	s_cbranch_execz .LBB18_97
; %bb.96:
	scratch_load_b64 v[40:41], off, off offset:120
	v_mov_b64_e32 v[42:43], 0
	scratch_store_b64 off, v[42:43], off offset:120
	s_wait_loadcnt 0x0
	ds_store_b64 v1, v[40:41]
.LBB18_97:
	s_wait_xcnt 0x0
	s_or_b32 exec_lo, exec_lo, s0
	s_wait_storecnt_dscnt 0x0
	s_barrier_signal -1
	s_barrier_wait -1
	s_clause 0x2
	scratch_load_b128 v[40:43], off, off offset:128
	scratch_load_b64 v[48:49], off, off offset:144
	scratch_load_b64 v[50:51], off, off offset:120
	v_mov_b32_e32 v5, 0
	ds_load_b128 v[44:47], v5 offset:288
	ds_load_b64 v[52:53], v5 offset:304
	s_mov_b32 s0, exec_lo
	s_wait_dscnt 0x1
	v_dual_mov_b32 v54, v47 :: v_dual_mov_b32 v55, v46
	s_wait_loadcnt 0x2
	v_mov_b32_e32 v58, v43
	v_pk_mul_f32 v[56:57], v[44:45], v[40:41] op_sel:[1,1] op_sel_hi:[0,1]
	s_delay_alu instid0(VALU_DEP_2) | instskip(NEXT) | instid1(VALU_DEP_2)
	v_pk_mul_f32 v[54:55], v[54:55], v[58:59] op_sel_hi:[1,0]
	v_pk_fma_f32 v[60:61], v[44:45], v[40:41], v[56:57] op_sel_hi:[1,0,1]
	v_pk_fma_f32 v[40:41], v[44:45], v[40:41], v[56:57] neg_lo:[0,0,1] neg_hi:[0,0,1]
	s_wait_loadcnt_dscnt 0x100
	v_pk_mul_f32 v[56:57], v[52:53], v[48:49] op_sel:[1,1] op_sel_hi:[0,1]
	v_pk_fma_f32 v[44:45], v[46:47], v[42:43], v[54:55] op_sel_hi:[1,0,1]
	v_mov_b32_e32 v41, v61
	v_pk_fma_f32 v[42:43], v[46:47], v[42:43], v[54:55] neg_lo:[0,0,1] neg_hi:[0,0,1]
	s_delay_alu instid0(VALU_DEP_4) | instskip(NEXT) | instid1(VALU_DEP_4)
	v_pk_fma_f32 v[46:47], v[52:53], v[48:49], v[56:57] neg_lo:[0,0,1] neg_hi:[0,0,1]
	v_mov_b32_e32 v43, v45
	s_delay_alu instid0(VALU_DEP_4) | instskip(SKIP_1) | instid1(VALU_DEP_2)
	v_pk_add_f32 v[40:41], v[40:41], 0 op_sel_hi:[1,0]
	v_pk_fma_f32 v[44:45], v[52:53], v[48:49], v[56:57] op_sel_hi:[1,0,1]
	v_pk_add_f32 v[40:41], v[40:41], v[42:43]
	s_delay_alu instid0(VALU_DEP_2) | instskip(NEXT) | instid1(VALU_DEP_1)
	v_mov_b32_e32 v47, v45
	v_pk_add_f32 v[40:41], v[40:41], v[46:47]
	s_wait_loadcnt 0x0
	s_delay_alu instid0(VALU_DEP_1)
	v_pk_add_f32 v[40:41], v[50:51], v[40:41] neg_lo:[0,1] neg_hi:[0,1]
	scratch_store_b64 off, v[40:41], off offset:120
	s_wait_xcnt 0x0
	v_cmpx_lt_u32_e32 14, v0
	s_cbranch_execz .LBB18_99
; %bb.98:
	scratch_load_b64 v[40:41], off, off offset:112
	v_mov_b64_e32 v[42:43], 0
	scratch_store_b64 off, v[42:43], off offset:112
	s_wait_loadcnt 0x0
	ds_store_b64 v1, v[40:41]
.LBB18_99:
	s_wait_xcnt 0x0
	s_or_b32 exec_lo, exec_lo, s0
	s_wait_storecnt_dscnt 0x0
	s_barrier_signal -1
	s_barrier_wait -1
	s_clause 0x2
	scratch_load_b128 v[40:43], off, off offset:120
	scratch_load_b128 v[44:47], off, off offset:136
	scratch_load_b64 v[56:57], off, off offset:112
	ds_load_2addr_b64 v[48:51], v5 offset0:35 offset1:36
	ds_load_2addr_b64 v[52:55], v5 offset0:37 offset1:38
	s_mov_b32 s0, exec_lo
	s_wait_dscnt 0x1
	v_dual_mov_b32 v58, v51 :: v_dual_mov_b32 v59, v50
	s_wait_loadcnt_dscnt 0x200
	v_dual_mov_b32 v64, v55 :: v_dual_mov_b32 v62, v43
	v_pk_mul_f32 v[60:61], v[48:49], v[40:41] op_sel:[1,1] op_sel_hi:[0,1]
	s_delay_alu instid0(VALU_DEP_2) | instskip(NEXT) | instid1(VALU_DEP_2)
	v_pk_mul_f32 v[58:59], v[58:59], v[62:63] op_sel_hi:[1,0]
	v_pk_fma_f32 v[66:67], v[48:49], v[40:41], v[60:61] op_sel_hi:[1,0,1]
	v_pk_fma_f32 v[40:41], v[48:49], v[40:41], v[60:61] neg_lo:[0,0,1] neg_hi:[0,0,1]
	v_mov_b32_e32 v65, v54
	s_wait_loadcnt 0x1
	v_pk_mul_f32 v[62:63], v[52:53], v[44:45] op_sel:[1,1] op_sel_hi:[0,1]
	v_pk_fma_f32 v[48:49], v[50:51], v[42:43], v[58:59] op_sel_hi:[1,0,1]
	v_dual_mov_b32 v41, v67 :: v_dual_mov_b32 v48, v47
	v_pk_fma_f32 v[42:43], v[50:51], v[42:43], v[58:59] neg_lo:[0,0,1] neg_hi:[0,0,1]
	s_delay_alu instid0(VALU_DEP_4) | instskip(NEXT) | instid1(VALU_DEP_4)
	v_pk_fma_f32 v[60:61], v[52:53], v[44:45], v[62:63] op_sel_hi:[1,0,1]
	v_mov_b32_e32 v43, v49
	s_delay_alu instid0(VALU_DEP_4) | instskip(SKIP_2) | instid1(VALU_DEP_3)
	v_pk_add_f32 v[40:41], v[40:41], 0 op_sel_hi:[1,0]
	v_pk_mul_f32 v[48:49], v[64:65], v[48:49] op_sel_hi:[1,0]
	v_pk_fma_f32 v[44:45], v[52:53], v[44:45], v[62:63] neg_lo:[0,0,1] neg_hi:[0,0,1]
	v_pk_add_f32 v[40:41], v[40:41], v[42:43]
	s_delay_alu instid0(VALU_DEP_3) | instskip(SKIP_2) | instid1(VALU_DEP_3)
	v_pk_fma_f32 v[42:43], v[54:55], v[46:47], v[48:49] op_sel_hi:[1,0,1]
	v_mov_b32_e32 v45, v61
	v_pk_fma_f32 v[46:47], v[54:55], v[46:47], v[48:49] neg_lo:[0,0,1] neg_hi:[0,0,1]
	v_mov_b32_e32 v47, v43
	s_delay_alu instid0(VALU_DEP_3) | instskip(NEXT) | instid1(VALU_DEP_1)
	v_pk_add_f32 v[40:41], v[40:41], v[44:45]
	v_pk_add_f32 v[40:41], v[40:41], v[46:47]
	s_wait_loadcnt 0x0
	s_delay_alu instid0(VALU_DEP_1)
	v_pk_add_f32 v[40:41], v[56:57], v[40:41] neg_lo:[0,1] neg_hi:[0,1]
	scratch_store_b64 off, v[40:41], off offset:112
	s_wait_xcnt 0x0
	v_cmpx_lt_u32_e32 13, v0
	s_cbranch_execz .LBB18_101
; %bb.100:
	scratch_load_b64 v[40:41], off, off offset:104
	v_mov_b64_e32 v[42:43], 0
	scratch_store_b64 off, v[42:43], off offset:104
	s_wait_loadcnt 0x0
	ds_store_b64 v1, v[40:41]
.LBB18_101:
	s_wait_xcnt 0x0
	s_or_b32 exec_lo, exec_lo, s0
	s_wait_storecnt_dscnt 0x0
	s_barrier_signal -1
	s_barrier_wait -1
	s_clause 0x3
	scratch_load_b128 v[40:43], off, off offset:112
	scratch_load_b128 v[44:47], off, off offset:128
	scratch_load_b64 v[56:57], off, off offset:144
	scratch_load_b64 v[58:59], off, off offset:104
	v_mov_b32_e32 v5, 0
	ds_load_b128 v[48:51], v5 offset:272
	ds_load_b128 v[52:55], v5 offset:288
	s_mov_b32 s0, exec_lo
	s_wait_dscnt 0x1
	v_dual_mov_b32 v60, v51 :: v_dual_mov_b32 v61, v50
	ds_load_b64 v[66:67], v5 offset:304
	s_wait_dscnt 0x1
	v_dual_mov_b32 v68, v55 :: v_dual_mov_b32 v69, v54
	s_wait_loadcnt 0x3
	v_pk_mul_f32 v[62:63], v[48:49], v[40:41] op_sel:[1,1] op_sel_hi:[0,1]
	v_mov_b32_e32 v64, v43
	s_delay_alu instid0(VALU_DEP_2) | instskip(NEXT) | instid1(VALU_DEP_2)
	v_pk_fma_f32 v[70:71], v[48:49], v[40:41], v[62:63] op_sel_hi:[1,0,1]
	v_pk_mul_f32 v[60:61], v[60:61], v[64:65] op_sel_hi:[1,0]
	v_pk_fma_f32 v[40:41], v[48:49], v[40:41], v[62:63] neg_lo:[0,0,1] neg_hi:[0,0,1]
	s_wait_loadcnt 0x2
	v_pk_mul_f32 v[64:65], v[52:53], v[44:45] op_sel:[1,1] op_sel_hi:[0,1]
	v_dual_mov_b32 v70, v47 :: v_dual_mov_b32 v41, v71
	v_pk_fma_f32 v[48:49], v[50:51], v[42:43], v[60:61] op_sel_hi:[1,0,1]
	v_pk_fma_f32 v[42:43], v[50:51], v[42:43], v[60:61] neg_lo:[0,0,1] neg_hi:[0,0,1]
	s_delay_alu instid0(VALU_DEP_4) | instskip(NEXT) | instid1(VALU_DEP_4)
	v_pk_fma_f32 v[62:63], v[52:53], v[44:45], v[64:65] op_sel_hi:[1,0,1]
	v_pk_mul_f32 v[68:69], v[68:69], v[70:71] op_sel_hi:[1,0]
	v_pk_add_f32 v[40:41], v[40:41], 0 op_sel_hi:[1,0]
	v_mov_b32_e32 v43, v49
	v_pk_fma_f32 v[44:45], v[52:53], v[44:45], v[64:65] neg_lo:[0,0,1] neg_hi:[0,0,1]
	v_mov_b32_e32 v45, v63
	v_pk_fma_f32 v[48:49], v[54:55], v[46:47], v[68:69] op_sel_hi:[1,0,1]
	v_pk_fma_f32 v[46:47], v[54:55], v[46:47], v[68:69] neg_lo:[0,0,1] neg_hi:[0,0,1]
	v_pk_add_f32 v[40:41], v[40:41], v[42:43]
	s_wait_loadcnt_dscnt 0x100
	v_pk_mul_f32 v[42:43], v[66:67], v[56:57] op_sel:[1,1] op_sel_hi:[0,1]
	s_delay_alu instid0(VALU_DEP_2) | instskip(NEXT) | instid1(VALU_DEP_2)
	v_pk_add_f32 v[40:41], v[40:41], v[44:45]
	v_pk_fma_f32 v[44:45], v[66:67], v[56:57], v[42:43] op_sel_hi:[1,0,1]
	v_mov_b32_e32 v47, v49
	v_pk_fma_f32 v[42:43], v[66:67], v[56:57], v[42:43] neg_lo:[0,0,1] neg_hi:[0,0,1]
	s_delay_alu instid0(VALU_DEP_3) | instskip(NEXT) | instid1(VALU_DEP_3)
	v_mov_b32_e32 v43, v45
	v_pk_add_f32 v[40:41], v[40:41], v[46:47]
	s_delay_alu instid0(VALU_DEP_1) | instskip(SKIP_1) | instid1(VALU_DEP_1)
	v_pk_add_f32 v[40:41], v[40:41], v[42:43]
	s_wait_loadcnt 0x0
	v_pk_add_f32 v[40:41], v[58:59], v[40:41] neg_lo:[0,1] neg_hi:[0,1]
	scratch_store_b64 off, v[40:41], off offset:104
	s_wait_xcnt 0x0
	v_cmpx_lt_u32_e32 12, v0
	s_cbranch_execz .LBB18_103
; %bb.102:
	scratch_load_b64 v[40:41], off, off offset:96
	v_mov_b64_e32 v[42:43], 0
	scratch_store_b64 off, v[42:43], off offset:96
	s_wait_loadcnt 0x0
	ds_store_b64 v1, v[40:41]
.LBB18_103:
	s_wait_xcnt 0x0
	s_or_b32 exec_lo, exec_lo, s0
	s_wait_storecnt_dscnt 0x0
	s_barrier_signal -1
	s_barrier_wait -1
	s_clause 0x3
	scratch_load_b128 v[40:43], off, off offset:104
	scratch_load_b128 v[44:47], off, off offset:120
	;; [unrolled: 1-line block ×3, first 2 shown]
	scratch_load_b64 v[64:65], off, off offset:96
	ds_load_2addr_b64 v[52:55], v5 offset0:33 offset1:34
	ds_load_2addr_b64 v[56:59], v5 offset0:35 offset1:36
	;; [unrolled: 1-line block ×3, first 2 shown]
	s_mov_b32 s0, exec_lo
	s_wait_dscnt 0x2
	v_dual_mov_b32 v66, v55 :: v_dual_mov_b32 v67, v54
	s_wait_dscnt 0x1
	v_dual_mov_b32 v68, v59 :: v_dual_mov_b32 v69, v58
	s_wait_dscnt 0x0
	v_dual_mov_b32 v74, v63 :: v_dual_mov_b32 v75, v62
	s_wait_loadcnt 0x3
	v_pk_mul_f32 v[70:71], v[52:53], v[40:41] op_sel:[1,1] op_sel_hi:[0,1]
	v_mov_b32_e32 v72, v43
	s_delay_alu instid0(VALU_DEP_2) | instskip(NEXT) | instid1(VALU_DEP_2)
	v_pk_fma_f32 v[76:77], v[52:53], v[40:41], v[70:71] op_sel_hi:[1,0,1]
	v_pk_mul_f32 v[66:67], v[66:67], v[72:73] op_sel_hi:[1,0]
	v_pk_fma_f32 v[40:41], v[52:53], v[40:41], v[70:71] neg_lo:[0,0,1] neg_hi:[0,0,1]
	s_wait_loadcnt 0x2
	v_pk_mul_f32 v[72:73], v[56:57], v[44:45] op_sel:[1,1] op_sel_hi:[0,1]
	v_mov_b32_e32 v76, v47
	v_pk_fma_f32 v[52:53], v[54:55], v[42:43], v[66:67] op_sel_hi:[1,0,1]
	v_mov_b32_e32 v41, v77
	v_pk_fma_f32 v[42:43], v[54:55], v[42:43], v[66:67] neg_lo:[0,0,1] neg_hi:[0,0,1]
	v_pk_fma_f32 v[70:71], v[56:57], v[44:45], v[72:73] op_sel_hi:[1,0,1]
	v_pk_mul_f32 v[68:69], v[68:69], v[76:77] op_sel_hi:[1,0]
	v_mov_b32_e32 v43, v53
	v_pk_add_f32 v[40:41], v[40:41], 0 op_sel_hi:[1,0]
	v_pk_fma_f32 v[44:45], v[56:57], v[44:45], v[72:73] neg_lo:[0,0,1] neg_hi:[0,0,1]
	s_wait_loadcnt 0x1
	v_pk_mul_f32 v[52:53], v[60:61], v[48:49] op_sel:[1,1] op_sel_hi:[0,1]
	v_mov_b32_e32 v45, v71
	v_pk_fma_f32 v[54:55], v[58:59], v[46:47], v[68:69] op_sel_hi:[1,0,1]
	v_pk_add_f32 v[40:41], v[40:41], v[42:43]
	v_mov_b32_e32 v42, v51
	v_pk_fma_f32 v[46:47], v[58:59], v[46:47], v[68:69] neg_lo:[0,0,1] neg_hi:[0,0,1]
	v_pk_fma_f32 v[56:57], v[60:61], v[48:49], v[52:53] op_sel_hi:[1,0,1]
	v_mov_b32_e32 v47, v55
	v_pk_add_f32 v[40:41], v[40:41], v[44:45]
	v_pk_mul_f32 v[42:43], v[74:75], v[42:43] op_sel_hi:[1,0]
	v_pk_fma_f32 v[44:45], v[60:61], v[48:49], v[52:53] neg_lo:[0,0,1] neg_hi:[0,0,1]
	v_mov_b32_e32 v45, v57
	s_delay_alu instid0(VALU_DEP_4) | instskip(NEXT) | instid1(VALU_DEP_4)
	v_pk_add_f32 v[40:41], v[40:41], v[46:47]
	v_pk_fma_f32 v[46:47], v[62:63], v[50:51], v[42:43] op_sel_hi:[1,0,1]
	v_pk_fma_f32 v[42:43], v[62:63], v[50:51], v[42:43] neg_lo:[0,0,1] neg_hi:[0,0,1]
	s_delay_alu instid0(VALU_DEP_3) | instskip(NEXT) | instid1(VALU_DEP_3)
	v_pk_add_f32 v[40:41], v[40:41], v[44:45]
	v_mov_b32_e32 v43, v47
	s_delay_alu instid0(VALU_DEP_1) | instskip(SKIP_1) | instid1(VALU_DEP_1)
	v_pk_add_f32 v[40:41], v[40:41], v[42:43]
	s_wait_loadcnt 0x0
	v_pk_add_f32 v[40:41], v[64:65], v[40:41] neg_lo:[0,1] neg_hi:[0,1]
	scratch_store_b64 off, v[40:41], off offset:96
	s_wait_xcnt 0x0
	v_cmpx_lt_u32_e32 11, v0
	s_cbranch_execz .LBB18_105
; %bb.104:
	scratch_load_b64 v[40:41], off, off offset:88
	v_mov_b64_e32 v[42:43], 0
	scratch_store_b64 off, v[42:43], off offset:88
	s_wait_loadcnt 0x0
	ds_store_b64 v1, v[40:41]
.LBB18_105:
	s_wait_xcnt 0x0
	s_or_b32 exec_lo, exec_lo, s0
	s_wait_storecnt_dscnt 0x0
	s_barrier_signal -1
	s_barrier_wait -1
	s_clause 0x4
	scratch_load_b128 v[40:43], off, off offset:96
	scratch_load_b128 v[44:47], off, off offset:112
	;; [unrolled: 1-line block ×3, first 2 shown]
	scratch_load_b64 v[64:65], off, off offset:144
	scratch_load_b64 v[66:67], off, off offset:88
	v_mov_b32_e32 v5, 0
	ds_load_b128 v[52:55], v5 offset:256
	ds_load_b128 v[56:59], v5 offset:272
	ds_load_b128 v[60:63], v5 offset:288
	ds_load_b64 v[68:69], v5 offset:304
	s_mov_b32 s0, exec_lo
	s_wait_dscnt 0x3
	v_dual_mov_b32 v70, v55 :: v_dual_mov_b32 v71, v54
	s_wait_dscnt 0x2
	v_dual_mov_b32 v72, v59 :: v_dual_mov_b32 v73, v58
	;; [unrolled: 2-line block ×3, first 2 shown]
	s_wait_loadcnt 0x4
	v_pk_mul_f32 v[74:75], v[52:53], v[40:41] op_sel:[1,1] op_sel_hi:[0,1]
	v_mov_b32_e32 v76, v43
	s_wait_loadcnt 0x3
	v_pk_mul_f32 v[80:81], v[56:57], v[44:45] op_sel:[1,1] op_sel_hi:[0,1]
	s_wait_loadcnt 0x2
	v_pk_mul_f32 v[84:85], v[60:61], v[48:49] op_sel:[1,1] op_sel_hi:[0,1]
	v_pk_fma_f32 v[82:83], v[52:53], v[40:41], v[74:75] op_sel_hi:[1,0,1]
	v_pk_mul_f32 v[70:71], v[70:71], v[76:77] op_sel_hi:[1,0]
	v_pk_fma_f32 v[40:41], v[52:53], v[40:41], v[74:75] neg_lo:[0,0,1] neg_hi:[0,0,1]
	v_mov_b32_e32 v76, v47
	v_pk_fma_f32 v[74:75], v[56:57], v[44:45], v[80:81] op_sel_hi:[1,0,1]
	v_mov_b32_e32 v41, v83
	v_pk_fma_f32 v[52:53], v[54:55], v[42:43], v[70:71] op_sel_hi:[1,0,1]
	v_pk_fma_f32 v[42:43], v[54:55], v[42:43], v[70:71] neg_lo:[0,0,1] neg_hi:[0,0,1]
	v_pk_mul_f32 v[72:73], v[72:73], v[76:77] op_sel_hi:[1,0]
	v_pk_fma_f32 v[44:45], v[56:57], v[44:45], v[80:81] neg_lo:[0,0,1] neg_hi:[0,0,1]
	v_pk_add_f32 v[40:41], v[40:41], 0 op_sel_hi:[1,0]
	v_dual_mov_b32 v43, v53 :: v_dual_mov_b32 v52, v51
	s_delay_alu instid0(VALU_DEP_4) | instskip(SKIP_2) | instid1(VALU_DEP_4)
	v_pk_fma_f32 v[54:55], v[58:59], v[46:47], v[72:73] op_sel_hi:[1,0,1]
	v_mov_b32_e32 v45, v75
	v_pk_fma_f32 v[46:47], v[58:59], v[46:47], v[72:73] neg_lo:[0,0,1] neg_hi:[0,0,1]
	v_pk_add_f32 v[40:41], v[40:41], v[42:43]
	v_pk_fma_f32 v[42:43], v[60:61], v[48:49], v[84:85] op_sel_hi:[1,0,1]
	v_pk_mul_f32 v[52:53], v[78:79], v[52:53] op_sel_hi:[1,0]
	v_mov_b32_e32 v47, v55
	s_delay_alu instid0(VALU_DEP_4)
	v_pk_add_f32 v[40:41], v[40:41], v[44:45]
	v_pk_fma_f32 v[44:45], v[60:61], v[48:49], v[84:85] neg_lo:[0,0,1] neg_hi:[0,0,1]
	v_mov_b32_e32 v45, v43
	v_pk_fma_f32 v[42:43], v[62:63], v[50:51], v[52:53] op_sel_hi:[1,0,1]
	v_pk_fma_f32 v[48:49], v[62:63], v[50:51], v[52:53] neg_lo:[0,0,1] neg_hi:[0,0,1]
	v_pk_add_f32 v[40:41], v[40:41], v[46:47]
	s_wait_loadcnt_dscnt 0x100
	v_pk_mul_f32 v[46:47], v[68:69], v[64:65] op_sel:[1,1] op_sel_hi:[0,1]
	v_mov_b32_e32 v49, v43
	s_delay_alu instid0(VALU_DEP_3) | instskip(NEXT) | instid1(VALU_DEP_3)
	v_pk_add_f32 v[40:41], v[40:41], v[44:45]
	v_pk_fma_f32 v[42:43], v[68:69], v[64:65], v[46:47] op_sel_hi:[1,0,1]
	v_pk_fma_f32 v[44:45], v[68:69], v[64:65], v[46:47] neg_lo:[0,0,1] neg_hi:[0,0,1]
	s_delay_alu instid0(VALU_DEP_3) | instskip(NEXT) | instid1(VALU_DEP_3)
	v_pk_add_f32 v[40:41], v[40:41], v[48:49]
	v_mov_b32_e32 v45, v43
	s_delay_alu instid0(VALU_DEP_1) | instskip(SKIP_1) | instid1(VALU_DEP_1)
	v_pk_add_f32 v[40:41], v[40:41], v[44:45]
	s_wait_loadcnt 0x0
	v_pk_add_f32 v[40:41], v[66:67], v[40:41] neg_lo:[0,1] neg_hi:[0,1]
	scratch_store_b64 off, v[40:41], off offset:88
	s_wait_xcnt 0x0
	v_cmpx_lt_u32_e32 10, v0
	s_cbranch_execz .LBB18_107
; %bb.106:
	scratch_load_b64 v[40:41], off, off offset:80
	v_mov_b64_e32 v[42:43], 0
	scratch_store_b64 off, v[42:43], off offset:80
	s_wait_loadcnt 0x0
	ds_store_b64 v1, v[40:41]
.LBB18_107:
	s_wait_xcnt 0x0
	s_or_b32 exec_lo, exec_lo, s0
	s_wait_storecnt_dscnt 0x0
	s_barrier_signal -1
	s_barrier_wait -1
	s_clause 0x4
	scratch_load_b128 v[40:43], off, off offset:88
	scratch_load_b128 v[44:47], off, off offset:104
	scratch_load_b128 v[48:51], off, off offset:120
	scratch_load_b128 v[52:55], off, off offset:136
	scratch_load_b64 v[72:73], off, off offset:80
	ds_load_2addr_b64 v[56:59], v5 offset0:31 offset1:32
	ds_load_2addr_b64 v[60:63], v5 offset0:33 offset1:34
	ds_load_2addr_b64 v[64:67], v5 offset0:35 offset1:36
	ds_load_2addr_b64 v[68:71], v5 offset0:37 offset1:38
	s_mov_b32 s0, exec_lo
	s_wait_dscnt 0x3
	v_dual_mov_b32 v74, v59 :: v_dual_mov_b32 v75, v58
	s_wait_dscnt 0x2
	v_dual_mov_b32 v76, v63 :: v_dual_mov_b32 v77, v62
	;; [unrolled: 2-line block ×3, first 2 shown]
	v_dual_mov_b32 v79, v66 :: v_dual_mov_b32 v84, v71
	s_wait_loadcnt 0x4
	v_mov_b32_e32 v82, v43
	v_pk_mul_f32 v[80:81], v[56:57], v[40:41] op_sel:[1,1] op_sel_hi:[0,1]
	s_wait_loadcnt 0x3
	v_pk_mul_f32 v[86:87], v[60:61], v[44:45] op_sel:[1,1] op_sel_hi:[0,1]
	s_wait_loadcnt 0x2
	v_pk_mul_f32 v[90:91], v[64:65], v[48:49] op_sel:[1,1] op_sel_hi:[0,1]
	v_pk_mul_f32 v[74:75], v[74:75], v[82:83] op_sel_hi:[1,0]
	v_pk_fma_f32 v[88:89], v[56:57], v[40:41], v[80:81] op_sel_hi:[1,0,1]
	v_pk_fma_f32 v[40:41], v[56:57], v[40:41], v[80:81] neg_lo:[0,0,1] neg_hi:[0,0,1]
	v_mov_b32_e32 v82, v47
	v_pk_fma_f32 v[80:81], v[60:61], v[44:45], v[86:87] op_sel_hi:[1,0,1]
	v_pk_fma_f32 v[56:57], v[58:59], v[42:43], v[74:75] op_sel_hi:[1,0,1]
	v_mov_b32_e32 v41, v89
	v_pk_fma_f32 v[42:43], v[58:59], v[42:43], v[74:75] neg_lo:[0,0,1] neg_hi:[0,0,1]
	v_pk_mul_f32 v[76:77], v[76:77], v[82:83] op_sel_hi:[1,0]
	s_delay_alu instid0(VALU_DEP_4) | instskip(NEXT) | instid1(VALU_DEP_4)
	v_dual_mov_b32 v56, v51 :: v_dual_mov_b32 v43, v57
	v_pk_add_f32 v[40:41], v[40:41], 0 op_sel_hi:[1,0]
	v_pk_fma_f32 v[44:45], v[60:61], v[44:45], v[86:87] neg_lo:[0,0,1] neg_hi:[0,0,1]
	v_mov_b32_e32 v45, v81
	v_pk_fma_f32 v[58:59], v[62:63], v[46:47], v[76:77] op_sel_hi:[1,0,1]
	v_pk_mul_f32 v[56:57], v[78:79], v[56:57] op_sel_hi:[1,0]
	v_pk_add_f32 v[40:41], v[40:41], v[42:43]
	v_pk_fma_f32 v[42:43], v[64:65], v[48:49], v[90:91] op_sel_hi:[1,0,1]
	v_pk_fma_f32 v[46:47], v[62:63], v[46:47], v[76:77] neg_lo:[0,0,1] neg_hi:[0,0,1]
	v_mov_b32_e32 v47, v59
	v_pk_fma_f32 v[48:49], v[64:65], v[48:49], v[90:91] neg_lo:[0,0,1] neg_hi:[0,0,1]
	v_pk_add_f32 v[40:41], v[40:41], v[44:45]
	v_mov_b32_e32 v49, v43
	v_pk_fma_f32 v[42:43], v[66:67], v[50:51], v[56:57] op_sel_hi:[1,0,1]
	s_wait_loadcnt 0x1
	v_pk_mul_f32 v[44:45], v[68:69], v[52:53] op_sel:[1,1] op_sel_hi:[0,1]
	v_mov_b32_e32 v42, v55
	v_pk_add_f32 v[40:41], v[40:41], v[46:47]
	v_pk_fma_f32 v[50:51], v[66:67], v[50:51], v[56:57] neg_lo:[0,0,1] neg_hi:[0,0,1]
	v_mov_b32_e32 v51, v43
	v_pk_fma_f32 v[46:47], v[68:69], v[52:53], v[44:45] op_sel_hi:[1,0,1]
	v_pk_mul_f32 v[42:43], v[84:85], v[42:43] op_sel_hi:[1,0]
	v_pk_add_f32 v[40:41], v[40:41], v[48:49]
	v_pk_fma_f32 v[44:45], v[68:69], v[52:53], v[44:45] neg_lo:[0,0,1] neg_hi:[0,0,1]
	s_delay_alu instid0(VALU_DEP_4) | instskip(NEXT) | instid1(VALU_DEP_4)
	v_mov_b32_e32 v45, v47
	v_pk_fma_f32 v[46:47], v[70:71], v[54:55], v[42:43] op_sel_hi:[1,0,1]
	s_delay_alu instid0(VALU_DEP_4) | instskip(SKIP_1) | instid1(VALU_DEP_3)
	v_pk_add_f32 v[40:41], v[40:41], v[50:51]
	v_pk_fma_f32 v[42:43], v[70:71], v[54:55], v[42:43] neg_lo:[0,0,1] neg_hi:[0,0,1]
	v_mov_b32_e32 v43, v47
	s_delay_alu instid0(VALU_DEP_3) | instskip(NEXT) | instid1(VALU_DEP_1)
	v_pk_add_f32 v[40:41], v[40:41], v[44:45]
	v_pk_add_f32 v[40:41], v[40:41], v[42:43]
	s_wait_loadcnt 0x0
	s_delay_alu instid0(VALU_DEP_1)
	v_pk_add_f32 v[40:41], v[72:73], v[40:41] neg_lo:[0,1] neg_hi:[0,1]
	scratch_store_b64 off, v[40:41], off offset:80
	s_wait_xcnt 0x0
	v_cmpx_lt_u32_e32 9, v0
	s_cbranch_execz .LBB18_109
; %bb.108:
	scratch_load_b64 v[40:41], off, off offset:72
	v_mov_b64_e32 v[42:43], 0
	scratch_store_b64 off, v[42:43], off offset:72
	s_wait_loadcnt 0x0
	ds_store_b64 v1, v[40:41]
.LBB18_109:
	s_wait_xcnt 0x0
	s_or_b32 exec_lo, exec_lo, s0
	s_wait_storecnt_dscnt 0x0
	s_barrier_signal -1
	s_barrier_wait -1
	s_clause 0x5
	scratch_load_b128 v[40:43], off, off offset:80
	scratch_load_b128 v[44:47], off, off offset:96
	;; [unrolled: 1-line block ×4, first 2 shown]
	scratch_load_b64 v[72:73], off, off offset:144
	scratch_load_b64 v[74:75], off, off offset:72
	v_mov_b32_e32 v5, 0
	ds_load_b128 v[56:59], v5 offset:240
	ds_load_b128 v[60:63], v5 offset:256
	;; [unrolled: 1-line block ×4, first 2 shown]
	ds_load_b64 v[76:77], v5 offset:304
	s_mov_b32 s0, exec_lo
	s_wait_dscnt 0x4
	v_dual_mov_b32 v78, v59 :: v_dual_mov_b32 v79, v58
	s_wait_dscnt 0x1
	v_dual_mov_b32 v80, v63 :: v_dual_mov_b32 v85, v70
	v_dual_mov_b32 v81, v62 :: v_dual_mov_b32 v82, v67
	;; [unrolled: 1-line block ×3, first 2 shown]
	s_wait_loadcnt 0x5
	v_dual_mov_b32 v86, v43 :: v_dual_mul_f32 v87, v56, v41
	v_mul_f32_e32 v7, v57, v41
	s_wait_loadcnt 0x4
	v_pk_mul_f32 v[88:89], v[60:61], v[44:45] op_sel:[1,1] op_sel_hi:[0,1]
	v_mov_b32_e32 v90, v47
	s_wait_loadcnt 0x3
	v_pk_mul_f32 v[92:93], v[64:65], v[48:49] op_sel:[1,1] op_sel_hi:[0,1]
	v_pk_mul_f32 v[78:79], v[78:79], v[86:87] op_sel_hi:[1,0]
	v_fmac_f32_e32 v87, v57, v40
	v_dual_fma_f32 v86, v56, v40, -v7 :: v_dual_mov_b32 v40, v51
	v_pk_fma_f32 v[94:95], v[60:61], v[44:45], v[88:89] op_sel_hi:[1,0,1]
	s_delay_alu instid0(VALU_DEP_4)
	v_pk_fma_f32 v[56:57], v[58:59], v[42:43], v[78:79] op_sel_hi:[1,0,1]
	v_pk_fma_f32 v[42:43], v[58:59], v[42:43], v[78:79] neg_lo:[0,0,1] neg_hi:[0,0,1]
	v_pk_mul_f32 v[80:81], v[80:81], v[90:91] op_sel_hi:[1,0]
	v_pk_add_f32 v[86:87], v[86:87], 0 op_sel_hi:[1,0]
	v_pk_fma_f32 v[44:45], v[60:61], v[44:45], v[88:89] neg_lo:[0,0,1] neg_hi:[0,0,1]
	v_dual_mov_b32 v43, v57 :: v_dual_mov_b32 v45, v95
	s_delay_alu instid0(VALU_DEP_4) | instskip(SKIP_2) | instid1(VALU_DEP_4)
	v_pk_fma_f32 v[58:59], v[62:63], v[46:47], v[80:81] op_sel_hi:[1,0,1]
	v_pk_fma_f32 v[46:47], v[62:63], v[46:47], v[80:81] neg_lo:[0,0,1] neg_hi:[0,0,1]
	v_pk_fma_f32 v[60:61], v[64:65], v[48:49], v[92:93] op_sel_hi:[1,0,1]
	v_pk_add_f32 v[42:43], v[86:87], v[42:43]
	v_pk_mul_f32 v[40:41], v[82:83], v[40:41] op_sel_hi:[1,0]
	v_mov_b32_e32 v47, v59
	v_pk_fma_f32 v[48:49], v[64:65], v[48:49], v[92:93] neg_lo:[0,0,1] neg_hi:[0,0,1]
	s_wait_loadcnt 0x2
	v_pk_mul_f32 v[56:57], v[68:69], v[52:53] op_sel:[1,1] op_sel_hi:[0,1]
	v_pk_add_f32 v[42:43], v[42:43], v[44:45]
	v_mov_b32_e32 v44, v55
	v_pk_fma_f32 v[58:59], v[66:67], v[50:51], v[40:41] op_sel_hi:[1,0,1]
	v_mov_b32_e32 v49, v61
	v_pk_fma_f32 v[40:41], v[66:67], v[50:51], v[40:41] neg_lo:[0,0,1] neg_hi:[0,0,1]
	v_pk_add_f32 v[42:43], v[42:43], v[46:47]
	v_pk_fma_f32 v[46:47], v[68:69], v[52:53], v[56:57] op_sel_hi:[1,0,1]
	v_pk_mul_f32 v[44:45], v[84:85], v[44:45] op_sel_hi:[1,0]
	v_mov_b32_e32 v41, v59
	s_delay_alu instid0(VALU_DEP_4)
	v_pk_add_f32 v[42:43], v[42:43], v[48:49]
	v_pk_fma_f32 v[48:49], v[68:69], v[52:53], v[56:57] neg_lo:[0,0,1] neg_hi:[0,0,1]
	v_mov_b32_e32 v49, v47
	v_pk_fma_f32 v[46:47], v[70:71], v[54:55], v[44:45] op_sel_hi:[1,0,1]
	v_pk_fma_f32 v[44:45], v[70:71], v[54:55], v[44:45] neg_lo:[0,0,1] neg_hi:[0,0,1]
	v_pk_add_f32 v[40:41], v[42:43], v[40:41]
	s_wait_loadcnt_dscnt 0x100
	v_pk_mul_f32 v[42:43], v[76:77], v[72:73] op_sel:[1,1] op_sel_hi:[0,1]
	v_mov_b32_e32 v45, v47
	s_delay_alu instid0(VALU_DEP_3) | instskip(NEXT) | instid1(VALU_DEP_3)
	v_pk_add_f32 v[40:41], v[40:41], v[48:49]
	v_pk_fma_f32 v[46:47], v[76:77], v[72:73], v[42:43] op_sel_hi:[1,0,1]
	v_pk_fma_f32 v[42:43], v[76:77], v[72:73], v[42:43] neg_lo:[0,0,1] neg_hi:[0,0,1]
	s_delay_alu instid0(VALU_DEP_3) | instskip(NEXT) | instid1(VALU_DEP_3)
	v_pk_add_f32 v[40:41], v[40:41], v[44:45]
	v_mov_b32_e32 v43, v47
	s_delay_alu instid0(VALU_DEP_1) | instskip(SKIP_1) | instid1(VALU_DEP_1)
	v_pk_add_f32 v[40:41], v[40:41], v[42:43]
	s_wait_loadcnt 0x0
	v_pk_add_f32 v[40:41], v[74:75], v[40:41] neg_lo:[0,1] neg_hi:[0,1]
	scratch_store_b64 off, v[40:41], off offset:72
	s_wait_xcnt 0x0
	v_cmpx_lt_u32_e32 8, v0
	s_cbranch_execz .LBB18_111
; %bb.110:
	scratch_load_b64 v[40:41], off, off offset:64
	v_mov_b64_e32 v[42:43], 0
	scratch_store_b64 off, v[42:43], off offset:64
	s_wait_loadcnt 0x0
	ds_store_b64 v1, v[40:41]
.LBB18_111:
	s_wait_xcnt 0x0
	s_or_b32 exec_lo, exec_lo, s0
	s_wait_storecnt_dscnt 0x0
	s_barrier_signal -1
	s_barrier_wait -1
	s_clause 0x5
	scratch_load_b128 v[40:43], off, off offset:72
	scratch_load_b128 v[44:47], off, off offset:88
	;; [unrolled: 1-line block ×5, first 2 shown]
	scratch_load_b64 v[80:81], off, off offset:64
	ds_load_2addr_b64 v[60:63], v5 offset0:31 offset1:32
	ds_load_2addr_b64 v[64:67], v5 offset0:33 offset1:34
	;; [unrolled: 1-line block ×5, first 2 shown]
	s_mov_b32 s0, exec_lo
	s_wait_dscnt 0x4
	v_dual_mov_b32 v82, v63 :: v_dual_mov_b32 v83, v62
	s_wait_dscnt 0x3
	v_dual_mov_b32 v84, v67 :: v_dual_mov_b32 v85, v66
	;; [unrolled: 2-line block ×4, first 2 shown]
	s_wait_loadcnt_dscnt 0x500
	v_dual_mul_f32 v91, v76, v41 :: v_dual_mul_f32 v93, v78, v43
	v_dual_mul_f32 v5, v77, v41 :: v_dual_mul_f32 v7, v79, v43
	s_wait_loadcnt 0x4
	v_pk_mul_f32 v[94:95], v[60:61], v[44:45] op_sel:[1,1] op_sel_hi:[0,1]
	s_wait_loadcnt 0x3
	v_dual_mov_b32 v96, v47 :: v_dual_mov_b32 v100, v51
	v_dual_fmac_f32 v91, v77, v40 :: v_dual_fma_f32 v90, v76, v40, -v5
	v_dual_fmac_f32 v93, v79, v42 :: v_dual_fma_f32 v92, v78, v42, -v7
	v_pk_fma_f32 v[40:41], v[60:61], v[44:45], v[94:95] op_sel_hi:[1,0,1]
	s_delay_alu instid0(VALU_DEP_4) | instskip(NEXT) | instid1(VALU_DEP_4)
	v_pk_mul_f32 v[42:43], v[82:83], v[96:97] op_sel_hi:[1,0]
	v_pk_add_f32 v[76:77], v[90:91], 0 op_sel_hi:[1,0]
	v_pk_fma_f32 v[44:45], v[60:61], v[44:45], v[94:95] neg_lo:[0,0,1] neg_hi:[0,0,1]
	v_pk_mul_f32 v[98:99], v[64:65], v[48:49] op_sel:[1,1] op_sel_hi:[0,1]
	v_mov_b32_e32 v45, v41
	v_pk_fma_f32 v[40:41], v[62:63], v[46:47], v[42:43] op_sel_hi:[1,0,1]
	v_pk_add_f32 v[60:61], v[76:77], v[92:93]
	v_pk_fma_f32 v[42:43], v[62:63], v[46:47], v[42:43] neg_lo:[0,0,1] neg_hi:[0,0,1]
	v_pk_fma_f32 v[76:77], v[64:65], v[48:49], v[98:99] op_sel_hi:[1,0,1]
	v_pk_mul_f32 v[82:83], v[84:85], v[100:101] op_sel_hi:[1,0]
	v_mov_b32_e32 v43, v41
	v_pk_add_f32 v[40:41], v[60:61], v[44:45]
	s_wait_loadcnt 0x2
	v_pk_mul_f32 v[78:79], v[68:69], v[52:53] op_sel:[1,1] op_sel_hi:[0,1]
	v_mov_b32_e32 v44, v55
	v_pk_fma_f32 v[46:47], v[64:65], v[48:49], v[98:99] neg_lo:[0,0,1] neg_hi:[0,0,1]
	v_mov_b32_e32 v47, v77
	v_pk_fma_f32 v[48:49], v[66:67], v[50:51], v[82:83] op_sel_hi:[1,0,1]
	v_pk_add_f32 v[40:41], v[40:41], v[42:43]
	v_pk_fma_f32 v[42:43], v[68:69], v[52:53], v[78:79] op_sel_hi:[1,0,1]
	v_pk_mul_f32 v[44:45], v[86:87], v[44:45] op_sel_hi:[1,0]
	v_pk_fma_f32 v[50:51], v[66:67], v[50:51], v[82:83] neg_lo:[0,0,1] neg_hi:[0,0,1]
	v_mov_b32_e32 v51, v49
	v_pk_add_f32 v[40:41], v[40:41], v[46:47]
	v_pk_fma_f32 v[48:49], v[68:69], v[52:53], v[78:79] neg_lo:[0,0,1] neg_hi:[0,0,1]
	v_mov_b32_e32 v49, v43
	v_pk_fma_f32 v[42:43], v[70:71], v[54:55], v[44:45] op_sel_hi:[1,0,1]
	s_wait_loadcnt 0x1
	v_pk_mul_f32 v[46:47], v[72:73], v[56:57] op_sel:[1,1] op_sel_hi:[0,1]
	v_pk_add_f32 v[40:41], v[40:41], v[50:51]
	v_mov_b32_e32 v42, v59
	v_pk_fma_f32 v[44:45], v[70:71], v[54:55], v[44:45] neg_lo:[0,0,1] neg_hi:[0,0,1]
	v_mov_b32_e32 v45, v43
	v_pk_fma_f32 v[50:51], v[72:73], v[56:57], v[46:47] op_sel_hi:[1,0,1]
	v_pk_add_f32 v[40:41], v[40:41], v[48:49]
	v_pk_mul_f32 v[42:43], v[88:89], v[42:43] op_sel_hi:[1,0]
	v_pk_fma_f32 v[46:47], v[72:73], v[56:57], v[46:47] neg_lo:[0,0,1] neg_hi:[0,0,1]
	s_delay_alu instid0(VALU_DEP_3) | instskip(NEXT) | instid1(VALU_DEP_3)
	v_pk_add_f32 v[40:41], v[40:41], v[44:45]
	v_pk_fma_f32 v[44:45], v[74:75], v[58:59], v[42:43] op_sel_hi:[1,0,1]
	v_mov_b32_e32 v47, v51
	v_pk_fma_f32 v[42:43], v[74:75], v[58:59], v[42:43] neg_lo:[0,0,1] neg_hi:[0,0,1]
	s_delay_alu instid0(VALU_DEP_3) | instskip(NEXT) | instid1(VALU_DEP_3)
	v_mov_b32_e32 v43, v45
	v_pk_add_f32 v[40:41], v[40:41], v[46:47]
	s_delay_alu instid0(VALU_DEP_1) | instskip(SKIP_1) | instid1(VALU_DEP_1)
	v_pk_add_f32 v[40:41], v[40:41], v[42:43]
	s_wait_loadcnt 0x0
	v_pk_add_f32 v[40:41], v[80:81], v[40:41] neg_lo:[0,1] neg_hi:[0,1]
	scratch_store_b64 off, v[40:41], off offset:64
	s_wait_xcnt 0x0
	v_cmpx_lt_u32_e32 7, v0
	s_cbranch_execz .LBB18_113
; %bb.112:
	scratch_load_b64 v[40:41], off, off offset:56
	v_mov_b64_e32 v[42:43], 0
	scratch_store_b64 off, v[42:43], off offset:56
	s_wait_loadcnt 0x0
	ds_store_b64 v1, v[40:41]
.LBB18_113:
	s_wait_xcnt 0x0
	s_or_b32 exec_lo, exec_lo, s0
	s_wait_storecnt_dscnt 0x0
	s_barrier_signal -1
	s_barrier_wait -1
	s_clause 0x6
	scratch_load_b128 v[40:43], off, off offset:64
	scratch_load_b128 v[44:47], off, off offset:80
	scratch_load_b128 v[48:51], off, off offset:96
	scratch_load_b128 v[52:55], off, off offset:112
	scratch_load_b128 v[56:59], off, off offset:128
	scratch_load_b64 v[80:81], off, off offset:144
	scratch_load_b64 v[82:83], off, off offset:56
	v_mov_b32_e32 v5, 0
	ds_load_b128 v[60:63], v5 offset:240
	ds_load_b128 v[64:67], v5 offset:256
	;; [unrolled: 1-line block ×5, first 2 shown]
	ds_load_b64 v[84:85], v5 offset:304
	s_mov_b32 s0, exec_lo
	s_wait_dscnt 0x5
	v_dual_mov_b32 v86, v63 :: v_dual_mov_b32 v87, v62
	s_wait_dscnt 0x2
	v_dual_mov_b32 v88, v67 :: v_dual_mov_b32 v93, v74
	v_dual_mov_b32 v89, v66 :: v_dual_mov_b32 v90, v71
	;; [unrolled: 1-line block ×3, first 2 shown]
	s_wait_loadcnt_dscnt 0x601
	v_dual_mul_f32 v7, v76, v41 :: v_dual_mul_f32 v11, v77, v41
	v_dual_mul_f32 v13, v79, v43 :: v_dual_mul_f32 v95, v78, v43
	s_wait_loadcnt 0x5
	v_dual_mul_f32 v97, v60, v45 :: v_dual_mul_f32 v15, v61, v45
	s_wait_loadcnt 0x4
	v_dual_mov_b32 v96, v47 :: v_dual_mov_b32 v100, v51
	v_fmac_f32_e32 v7, v77, v40
	v_dual_fma_f32 v11, v76, v40, -v11 :: v_dual_fma_f32 v94, v78, v42, -v13
	v_fmac_f32_e32 v95, v79, v42
	s_delay_alu instid0(VALU_DEP_4) | instskip(NEXT) | instid1(VALU_DEP_4)
	v_pk_mul_f32 v[40:41], v[86:87], v[96:97] op_sel_hi:[1,0]
	v_add_f32_e32 v43, 0, v7
	s_wait_loadcnt 0x3
	v_dual_add_f32 v42, 0, v11 :: v_dual_mov_b32 v76, v55
	v_pk_mul_f32 v[98:99], v[64:65], v[48:49] op_sel:[1,1] op_sel_hi:[0,1]
	v_dual_fmac_f32 v97, v61, v44 :: v_dual_fma_f32 v96, v60, v44, -v15
	v_pk_fma_f32 v[44:45], v[62:63], v[46:47], v[40:41] op_sel_hi:[1,0,1]
	s_delay_alu instid0(VALU_DEP_4)
	v_pk_add_f32 v[42:43], v[42:43], v[94:95]
	v_pk_fma_f32 v[40:41], v[62:63], v[46:47], v[40:41] neg_lo:[0,0,1] neg_hi:[0,0,1]
	v_pk_fma_f32 v[60:61], v[64:65], v[48:49], v[98:99] op_sel_hi:[1,0,1]
	v_pk_mul_f32 v[78:79], v[88:89], v[100:101] op_sel_hi:[1,0]
	v_mov_b32_e32 v41, v45
	v_pk_add_f32 v[42:43], v[42:43], v[96:97]
	v_pk_fma_f32 v[46:47], v[64:65], v[48:49], v[98:99] neg_lo:[0,0,1] neg_hi:[0,0,1]
	v_pk_mul_f32 v[102:103], v[68:69], v[52:53] op_sel:[1,1] op_sel_hi:[0,1]
	v_mov_b32_e32 v47, v61
	v_pk_fma_f32 v[48:49], v[66:67], v[50:51], v[78:79] op_sel_hi:[1,0,1]
	v_pk_add_f32 v[40:41], v[42:43], v[40:41]
	v_pk_fma_f32 v[50:51], v[66:67], v[50:51], v[78:79] neg_lo:[0,0,1] neg_hi:[0,0,1]
	v_pk_fma_f32 v[42:43], v[68:69], v[52:53], v[102:103] op_sel_hi:[1,0,1]
	v_pk_mul_f32 v[60:61], v[90:91], v[76:77] op_sel_hi:[1,0]
	s_wait_loadcnt 0x2
	v_dual_mov_b32 v51, v49 :: v_dual_mov_b32 v42, v59
	v_pk_add_f32 v[40:41], v[40:41], v[46:47]
	v_pk_fma_f32 v[46:47], v[68:69], v[52:53], v[102:103] neg_lo:[0,0,1] neg_hi:[0,0,1]
	v_pk_mul_f32 v[44:45], v[72:73], v[56:57] op_sel:[1,1] op_sel_hi:[0,1]
	v_pk_fma_f32 v[48:49], v[70:71], v[54:55], v[60:61] op_sel_hi:[1,0,1]
	v_mov_b32_e32 v47, v43
	v_pk_add_f32 v[40:41], v[40:41], v[50:51]
	v_pk_fma_f32 v[52:53], v[70:71], v[54:55], v[60:61] neg_lo:[0,0,1] neg_hi:[0,0,1]
	v_pk_fma_f32 v[50:51], v[72:73], v[56:57], v[44:45] op_sel_hi:[1,0,1]
	v_pk_mul_f32 v[42:43], v[92:93], v[42:43] op_sel_hi:[1,0]
	v_mov_b32_e32 v53, v49
	v_pk_add_f32 v[40:41], v[40:41], v[46:47]
	v_pk_fma_f32 v[44:45], v[72:73], v[56:57], v[44:45] neg_lo:[0,0,1] neg_hi:[0,0,1]
	s_wait_loadcnt_dscnt 0x100
	v_pk_mul_f32 v[48:49], v[84:85], v[80:81] op_sel:[1,1] op_sel_hi:[0,1]
	v_pk_fma_f32 v[46:47], v[74:75], v[58:59], v[42:43] op_sel_hi:[1,0,1]
	v_mov_b32_e32 v45, v51
	v_pk_add_f32 v[40:41], v[40:41], v[52:53]
	v_pk_fma_f32 v[42:43], v[74:75], v[58:59], v[42:43] neg_lo:[0,0,1] neg_hi:[0,0,1]
	s_delay_alu instid0(VALU_DEP_4) | instskip(SKIP_1) | instid1(VALU_DEP_4)
	v_mov_b32_e32 v43, v47
	v_pk_fma_f32 v[46:47], v[84:85], v[80:81], v[48:49] neg_lo:[0,0,1] neg_hi:[0,0,1]
	v_pk_add_f32 v[40:41], v[40:41], v[44:45]
	v_pk_fma_f32 v[44:45], v[84:85], v[80:81], v[48:49] op_sel_hi:[1,0,1]
	s_delay_alu instid0(VALU_DEP_2) | instskip(NEXT) | instid1(VALU_DEP_2)
	v_pk_add_f32 v[40:41], v[40:41], v[42:43]
	v_mov_b32_e32 v47, v45
	s_delay_alu instid0(VALU_DEP_1) | instskip(SKIP_1) | instid1(VALU_DEP_1)
	v_pk_add_f32 v[40:41], v[40:41], v[46:47]
	s_wait_loadcnt 0x0
	v_pk_add_f32 v[40:41], v[82:83], v[40:41] neg_lo:[0,1] neg_hi:[0,1]
	scratch_store_b64 off, v[40:41], off offset:56
	s_wait_xcnt 0x0
	v_cmpx_lt_u32_e32 6, v0
	s_cbranch_execz .LBB18_115
; %bb.114:
	scratch_load_b64 v[40:41], off, off offset:48
	v_mov_b64_e32 v[42:43], 0
	scratch_store_b64 off, v[42:43], off offset:48
	s_wait_loadcnt 0x0
	ds_store_b64 v1, v[40:41]
.LBB18_115:
	s_wait_xcnt 0x0
	s_or_b32 exec_lo, exec_lo, s0
	s_wait_storecnt_dscnt 0x0
	s_barrier_signal -1
	s_barrier_wait -1
	s_clause 0x6
	scratch_load_b128 v[40:43], off, off offset:56
	scratch_load_b128 v[44:47], off, off offset:72
	;; [unrolled: 1-line block ×6, first 2 shown]
	scratch_load_b64 v[88:89], off, off offset:48
	ds_load_2addr_b64 v[64:67], v5 offset0:31 offset1:32
	ds_load_2addr_b64 v[68:71], v5 offset0:33 offset1:34
	;; [unrolled: 1-line block ×6, first 2 shown]
	s_mov_b32 s0, exec_lo
	s_wait_dscnt 0x5
	v_dual_mov_b32 v90, v67 :: v_dual_mov_b32 v91, v66
	s_wait_dscnt 0x4
	v_dual_mov_b32 v92, v71 :: v_dual_mov_b32 v93, v70
	;; [unrolled: 2-line block ×4, first 2 shown]
	s_wait_loadcnt_dscnt 0x601
	v_dual_mul_f32 v5, v80, v41 :: v_dual_mul_f32 v7, v82, v43
	v_dual_mul_f32 v11, v81, v41 :: v_dual_mul_f32 v13, v83, v43
	s_wait_loadcnt 0x4
	s_delay_alu instid0(VALU_DEP_2)
	v_dual_mov_b32 v104, v51 :: v_dual_fmac_f32 v5, v81, v40
	s_wait_dscnt 0x0
	v_dual_mul_f32 v99, v84, v45 :: v_dual_mul_f32 v101, v86, v47
	v_dual_fma_f32 v11, v80, v40, -v11 :: v_dual_fma_f32 v13, v82, v42, -v13
	v_dual_mul_f32 v15, v85, v45 :: v_dual_mul_f32 v17, v87, v47
	v_dual_fmac_f32 v7, v83, v42 :: v_dual_add_f32 v5, 0, v5
	s_wait_loadcnt 0x3
	s_delay_alu instid0(VALU_DEP_3)
	v_dual_add_f32 v11, 0, v11 :: v_dual_mov_b32 v42, v55
	v_pk_mul_f32 v[102:103], v[64:65], v[48:49] op_sel:[1,1] op_sel_hi:[0,1]
	v_pk_mul_f32 v[40:41], v[68:69], v[52:53] op_sel:[1,1] op_sel_hi:[0,1]
	v_fmac_f32_e32 v99, v85, v44
	v_dual_fma_f32 v98, v84, v44, -v15 :: v_dual_add_f32 v45, v5, v7
	v_add_f32_e32 v44, v11, v13
	v_fmac_f32_e32 v101, v87, v46
	v_fma_f32 v100, v86, v46, -v17
	v_pk_fma_f32 v[46:47], v[64:65], v[48:49], v[102:103] op_sel_hi:[1,0,1]
	v_pk_mul_f32 v[80:81], v[90:91], v[104:105] op_sel_hi:[1,0]
	v_pk_add_f32 v[44:45], v[44:45], v[98:99]
	v_pk_fma_f32 v[48:49], v[64:65], v[48:49], v[102:103] neg_lo:[0,0,1] neg_hi:[0,0,1]
	v_pk_fma_f32 v[64:65], v[68:69], v[52:53], v[40:41] op_sel_hi:[1,0,1]
	v_pk_fma_f32 v[40:41], v[68:69], v[52:53], v[40:41] neg_lo:[0,0,1] neg_hi:[0,0,1]
	v_mov_b32_e32 v49, v47
	v_pk_fma_f32 v[46:47], v[66:67], v[50:51], v[80:81] op_sel_hi:[1,0,1]
	v_pk_fma_f32 v[50:51], v[66:67], v[50:51], v[80:81] neg_lo:[0,0,1] neg_hi:[0,0,1]
	v_mov_b32_e32 v41, v65
	v_pk_add_f32 v[44:45], v[44:45], v[100:101]
	v_pk_mul_f32 v[42:43], v[92:93], v[42:43] op_sel_hi:[1,0]
	s_wait_loadcnt 0x2
	v_dual_mov_b32 v51, v47 :: v_dual_mov_b32 v46, v59
	v_pk_mul_f32 v[82:83], v[72:73], v[56:57] op_sel:[1,1] op_sel_hi:[0,1]
	v_pk_add_f32 v[44:45], v[44:45], v[48:49]
	v_pk_fma_f32 v[48:49], v[70:71], v[54:55], v[42:43] op_sel_hi:[1,0,1]
	v_pk_fma_f32 v[42:43], v[70:71], v[54:55], v[42:43] neg_lo:[0,0,1] neg_hi:[0,0,1]
	v_pk_mul_f32 v[46:47], v[94:95], v[46:47] op_sel_hi:[1,0]
	s_delay_alu instid0(VALU_DEP_4) | instskip(SKIP_3) | instid1(VALU_DEP_4)
	v_pk_add_f32 v[44:45], v[44:45], v[50:51]
	v_pk_fma_f32 v[50:51], v[72:73], v[56:57], v[82:83] op_sel_hi:[1,0,1]
	v_mov_b32_e32 v43, v49
	v_pk_fma_f32 v[48:49], v[72:73], v[56:57], v[82:83] neg_lo:[0,0,1] neg_hi:[0,0,1]
	v_pk_add_f32 v[40:41], v[44:45], v[40:41]
	s_wait_loadcnt 0x1
	v_pk_mul_f32 v[44:45], v[76:77], v[60:61] op_sel:[1,1] op_sel_hi:[0,1]
	v_mov_b32_e32 v49, v51
	v_pk_fma_f32 v[50:51], v[74:75], v[58:59], v[46:47] op_sel_hi:[1,0,1]
	v_pk_fma_f32 v[46:47], v[74:75], v[58:59], v[46:47] neg_lo:[0,0,1] neg_hi:[0,0,1]
	v_pk_add_f32 v[40:41], v[40:41], v[42:43]
	v_mov_b32_e32 v42, v63
	v_pk_fma_f32 v[52:53], v[76:77], v[60:61], v[44:45] op_sel_hi:[1,0,1]
	v_mov_b32_e32 v47, v51
	v_pk_fma_f32 v[44:45], v[76:77], v[60:61], v[44:45] neg_lo:[0,0,1] neg_hi:[0,0,1]
	v_pk_add_f32 v[40:41], v[40:41], v[48:49]
	v_pk_mul_f32 v[42:43], v[96:97], v[42:43] op_sel_hi:[1,0]
	s_delay_alu instid0(VALU_DEP_2) | instskip(NEXT) | instid1(VALU_DEP_2)
	v_pk_add_f32 v[40:41], v[40:41], v[46:47]
	v_pk_fma_f32 v[46:47], v[78:79], v[62:63], v[42:43] op_sel_hi:[1,0,1]
	v_mov_b32_e32 v45, v53
	v_pk_fma_f32 v[42:43], v[78:79], v[62:63], v[42:43] neg_lo:[0,0,1] neg_hi:[0,0,1]
	s_delay_alu instid0(VALU_DEP_3) | instskip(NEXT) | instid1(VALU_DEP_3)
	v_mov_b32_e32 v43, v47
	v_pk_add_f32 v[40:41], v[40:41], v[44:45]
	s_delay_alu instid0(VALU_DEP_1) | instskip(SKIP_1) | instid1(VALU_DEP_1)
	v_pk_add_f32 v[40:41], v[40:41], v[42:43]
	s_wait_loadcnt 0x0
	v_pk_add_f32 v[40:41], v[88:89], v[40:41] neg_lo:[0,1] neg_hi:[0,1]
	scratch_store_b64 off, v[40:41], off offset:48
	s_wait_xcnt 0x0
	v_cmpx_lt_u32_e32 5, v0
	s_cbranch_execz .LBB18_117
; %bb.116:
	scratch_load_b64 v[40:41], off, off offset:40
	v_mov_b64_e32 v[42:43], 0
	scratch_store_b64 off, v[42:43], off offset:40
	s_wait_loadcnt 0x0
	ds_store_b64 v1, v[40:41]
.LBB18_117:
	s_wait_xcnt 0x0
	s_or_b32 exec_lo, exec_lo, s0
	s_wait_storecnt_dscnt 0x0
	s_barrier_signal -1
	s_barrier_wait -1
	s_clause 0x7
	scratch_load_b128 v[40:43], off, off offset:48
	scratch_load_b128 v[44:47], off, off offset:64
	;; [unrolled: 1-line block ×6, first 2 shown]
	scratch_load_b64 v[88:89], off, off offset:144
	scratch_load_b64 v[90:91], off, off offset:40
	v_mov_b32_e32 v5, 0
	ds_load_b128 v[64:67], v5 offset:240
	ds_load_b128 v[68:71], v5 offset:256
	;; [unrolled: 1-line block ×6, first 2 shown]
	ds_load_b64 v[92:93], v5 offset:304
	s_mov_b32 s0, exec_lo
	s_wait_dscnt 0x6
	v_dual_mov_b32 v94, v67 :: v_dual_mov_b32 v95, v66
	s_wait_dscnt 0x3
	v_dual_mov_b32 v96, v71 :: v_dual_mov_b32 v101, v78
	v_dual_mov_b32 v97, v70 :: v_dual_mov_b32 v98, v75
	v_dual_mov_b32 v99, v74 :: v_dual_mov_b32 v100, v79
	s_wait_loadcnt_dscnt 0x702
	v_dual_mul_f32 v7, v80, v41 :: v_dual_mul_f32 v15, v81, v41
	v_dual_mul_f32 v17, v83, v43 :: v_dual_mul_f32 v11, v82, v43
	s_wait_loadcnt_dscnt 0x601
	s_delay_alu instid0(VALU_DEP_2) | instskip(NEXT) | instid1(VALU_DEP_2)
	v_dual_mul_f32 v13, v84, v45 :: v_dual_fmac_f32 v7, v81, v40
	v_dual_fma_f32 v15, v80, v40, -v15 :: v_dual_fma_f32 v17, v82, v42, -v17
	s_wait_loadcnt 0x5
	v_dual_mul_f32 v103, v86, v47 :: v_dual_mul_f32 v105, v64, v49
	v_dual_mul_f32 v19, v85, v45 :: v_dual_mul_f32 v21, v87, v47
	v_dual_mul_f32 v23, v65, v49 :: v_dual_mov_b32 v104, v51
	s_wait_loadcnt 0x4
	v_mov_b32_e32 v40, v55
	v_dual_fmac_f32 v11, v83, v42 :: v_dual_add_f32 v7, 0, v7
	v_dual_add_f32 v15, 0, v15 :: v_dual_fmac_f32 v13, v85, v44
	v_fma_f32 v19, v84, v44, -v19
	v_pk_mul_f32 v[44:45], v[94:95], v[104:105] op_sel_hi:[1,0]
	s_delay_alu instid0(VALU_DEP_4) | instskip(NEXT) | instid1(VALU_DEP_4)
	v_add_f32_e32 v7, v7, v11
	v_dual_add_f32 v11, v15, v17 :: v_dual_fma_f32 v102, v86, v46, -v21
	v_dual_fmac_f32 v103, v87, v46 :: v_dual_fmac_f32 v105, v65, v48
	s_delay_alu instid0(VALU_DEP_3) | instskip(SKIP_1) | instid1(VALU_DEP_4)
	v_dual_add_f32 v47, v7, v13 :: v_dual_fma_f32 v104, v64, v48, -v23
	v_pk_fma_f32 v[48:49], v[66:67], v[50:51], v[44:45] op_sel_hi:[1,0,1]
	v_add_f32_e32 v46, v11, v19
	v_pk_fma_f32 v[44:45], v[66:67], v[50:51], v[44:45] neg_lo:[0,0,1] neg_hi:[0,0,1]
	v_pk_mul_f32 v[106:107], v[68:69], v[52:53] op_sel:[1,1] op_sel_hi:[0,1]
	v_pk_mul_f32 v[40:41], v[96:97], v[40:41] op_sel_hi:[1,0]
	v_mov_b32_e32 v45, v49
	v_pk_add_f32 v[46:47], v[46:47], v[102:103]
	s_wait_loadcnt 0x3
	v_pk_mul_f32 v[42:43], v[72:73], v[56:57] op_sel:[1,1] op_sel_hi:[0,1]
	v_pk_fma_f32 v[64:65], v[68:69], v[52:53], v[106:107] op_sel_hi:[1,0,1]
	v_pk_fma_f32 v[50:51], v[68:69], v[52:53], v[106:107] neg_lo:[0,0,1] neg_hi:[0,0,1]
	v_mov_b32_e32 v80, v59
	v_pk_add_f32 v[46:47], v[46:47], v[104:105]
	v_pk_fma_f32 v[52:53], v[70:71], v[54:55], v[40:41] op_sel_hi:[1,0,1]
	v_mov_b32_e32 v51, v65
	v_pk_fma_f32 v[40:41], v[70:71], v[54:55], v[40:41] neg_lo:[0,0,1] neg_hi:[0,0,1]
	v_pk_mul_f32 v[64:65], v[98:99], v[80:81] op_sel_hi:[1,0]
	v_pk_add_f32 v[44:45], v[46:47], v[44:45]
	v_pk_fma_f32 v[46:47], v[72:73], v[56:57], v[42:43] op_sel_hi:[1,0,1]
	s_wait_loadcnt 0x2
	v_dual_mov_b32 v41, v53 :: v_dual_mov_b32 v46, v63
	v_pk_fma_f32 v[42:43], v[72:73], v[56:57], v[42:43] neg_lo:[0,0,1] neg_hi:[0,0,1]
	v_pk_add_f32 v[44:45], v[44:45], v[50:51]
	v_pk_mul_f32 v[48:49], v[76:77], v[60:61] op_sel:[1,1] op_sel_hi:[0,1]
	v_pk_fma_f32 v[50:51], v[74:75], v[58:59], v[64:65] op_sel_hi:[1,0,1]
	v_mov_b32_e32 v43, v47
	v_pk_fma_f32 v[52:53], v[74:75], v[58:59], v[64:65] neg_lo:[0,0,1] neg_hi:[0,0,1]
	v_pk_add_f32 v[40:41], v[44:45], v[40:41]
	v_pk_fma_f32 v[44:45], v[76:77], v[60:61], v[48:49] op_sel_hi:[1,0,1]
	v_pk_mul_f32 v[46:47], v[100:101], v[46:47] op_sel_hi:[1,0]
	v_mov_b32_e32 v53, v51
	s_delay_alu instid0(VALU_DEP_4)
	v_pk_add_f32 v[40:41], v[40:41], v[42:43]
	v_pk_fma_f32 v[42:43], v[76:77], v[60:61], v[48:49] neg_lo:[0,0,1] neg_hi:[0,0,1]
	v_mov_b32_e32 v43, v45
	v_pk_fma_f32 v[44:45], v[78:79], v[62:63], v[46:47] op_sel_hi:[1,0,1]
	s_wait_loadcnt_dscnt 0x100
	v_pk_mul_f32 v[48:49], v[92:93], v[88:89] op_sel:[1,1] op_sel_hi:[0,1]
	v_pk_add_f32 v[40:41], v[40:41], v[52:53]
	v_pk_fma_f32 v[46:47], v[78:79], v[62:63], v[46:47] neg_lo:[0,0,1] neg_hi:[0,0,1]
	v_mov_b32_e32 v47, v45
	s_delay_alu instid0(VALU_DEP_4) | instskip(NEXT) | instid1(VALU_DEP_4)
	v_pk_fma_f32 v[44:45], v[92:93], v[88:89], v[48:49] neg_lo:[0,0,1] neg_hi:[0,0,1]
	v_pk_add_f32 v[40:41], v[40:41], v[42:43]
	v_pk_fma_f32 v[42:43], v[92:93], v[88:89], v[48:49] op_sel_hi:[1,0,1]
	s_delay_alu instid0(VALU_DEP_2) | instskip(NEXT) | instid1(VALU_DEP_2)
	v_pk_add_f32 v[40:41], v[40:41], v[46:47]
	v_mov_b32_e32 v45, v43
	s_delay_alu instid0(VALU_DEP_1) | instskip(SKIP_1) | instid1(VALU_DEP_1)
	v_pk_add_f32 v[40:41], v[40:41], v[44:45]
	s_wait_loadcnt 0x0
	v_pk_add_f32 v[40:41], v[90:91], v[40:41] neg_lo:[0,1] neg_hi:[0,1]
	scratch_store_b64 off, v[40:41], off offset:40
	s_wait_xcnt 0x0
	v_cmpx_lt_u32_e32 4, v0
	s_cbranch_execz .LBB18_119
; %bb.118:
	scratch_load_b64 v[40:41], off, off offset:32
	v_mov_b64_e32 v[42:43], 0
	scratch_store_b64 off, v[42:43], off offset:32
	s_wait_loadcnt 0x0
	ds_store_b64 v1, v[40:41]
.LBB18_119:
	s_wait_xcnt 0x0
	s_or_b32 exec_lo, exec_lo, s0
	s_wait_storecnt_dscnt 0x0
	s_barrier_signal -1
	s_barrier_wait -1
	s_clause 0x7
	scratch_load_b128 v[40:43], off, off offset:40
	scratch_load_b128 v[44:47], off, off offset:56
	;; [unrolled: 1-line block ×7, first 2 shown]
	scratch_load_b64 v[96:97], off, off offset:32
	ds_load_2addr_b64 v[68:71], v5 offset0:31 offset1:32
	ds_load_2addr_b64 v[72:75], v5 offset0:33 offset1:34
	;; [unrolled: 1-line block ×7, first 2 shown]
	s_mov_b32 s0, exec_lo
	s_wait_dscnt 0x6
	v_dual_mov_b32 v98, v71 :: v_dual_mov_b32 v99, v70
	s_wait_dscnt 0x5
	v_dual_mov_b32 v100, v75 :: v_dual_mov_b32 v101, v74
	;; [unrolled: 2-line block ×4, first 2 shown]
	s_wait_loadcnt_dscnt 0x702
	v_dual_mul_f32 v5, v84, v41 :: v_dual_mul_f32 v7, v86, v43
	v_dual_mul_f32 v15, v85, v41 :: v_dual_mul_f32 v17, v87, v43
	s_wait_loadcnt_dscnt 0x601
	v_dual_mul_f32 v11, v88, v45 :: v_dual_mul_f32 v13, v90, v47
	s_delay_alu instid0(VALU_DEP_2) | instskip(SKIP_2) | instid1(VALU_DEP_3)
	v_dual_fmac_f32 v5, v85, v40 :: v_dual_fma_f32 v15, v84, v40, -v15
	v_dual_mul_f32 v19, v89, v45 :: v_dual_mul_f32 v21, v91, v47
	v_dual_fmac_f32 v7, v87, v42 :: v_dual_fma_f32 v17, v86, v42, -v17
	v_dual_add_f32 v5, 0, v5 :: v_dual_add_f32 v15, 0, v15
	s_wait_loadcnt 0x4
	v_dual_mov_b32 v42, v55 :: v_dual_fmac_f32 v11, v89, v44
	s_delay_alu instid0(VALU_DEP_2) | instskip(NEXT) | instid1(VALU_DEP_3)
	v_dual_fma_f32 v19, v88, v44, -v19 :: v_dual_add_f32 v5, v5, v7
	v_dual_add_f32 v7, v15, v17 :: v_dual_fma_f32 v15, v90, v46, -v21
	s_wait_dscnt 0x0
	v_dual_mul_f32 v107, v92, v49 :: v_dual_mul_f32 v109, v94, v51
	v_dual_mul_f32 v23, v93, v49 :: v_dual_mul_f32 v25, v95, v51
	v_dual_fmac_f32 v13, v91, v46 :: v_dual_add_f32 v5, v5, v11
	s_delay_alu instid0(VALU_DEP_3)
	v_dual_add_f32 v7, v7, v19 :: v_dual_fmac_f32 v107, v93, v48
	v_pk_mul_f32 v[40:41], v[68:69], v[52:53] op_sel:[1,1] op_sel_hi:[0,1]
	s_wait_loadcnt 0x3
	v_pk_mul_f32 v[44:45], v[72:73], v[56:57] op_sel:[1,1] op_sel_hi:[0,1]
	v_dual_mov_b32 v46, v59 :: v_dual_fma_f32 v106, v92, v48, -v23
	v_dual_add_f32 v49, v5, v13 :: v_dual_add_f32 v48, v7, v15
	v_fmac_f32_e32 v109, v95, v50
	v_fma_f32 v108, v94, v50, -v25
	v_pk_fma_f32 v[50:51], v[68:69], v[52:53], v[40:41] op_sel_hi:[1,0,1]
	v_pk_mul_f32 v[42:43], v[98:99], v[42:43] op_sel_hi:[1,0]
	v_pk_add_f32 v[48:49], v[48:49], v[106:107]
	v_pk_fma_f32 v[40:41], v[68:69], v[52:53], v[40:41] neg_lo:[0,0,1] neg_hi:[0,0,1]
	v_pk_fma_f32 v[52:53], v[72:73], v[56:57], v[44:45] op_sel_hi:[1,0,1]
	v_pk_fma_f32 v[44:45], v[72:73], v[56:57], v[44:45] neg_lo:[0,0,1] neg_hi:[0,0,1]
	v_mov_b32_e32 v41, v51
	v_pk_fma_f32 v[50:51], v[70:71], v[54:55], v[42:43] op_sel_hi:[1,0,1]
	v_pk_fma_f32 v[42:43], v[70:71], v[54:55], v[42:43] neg_lo:[0,0,1] neg_hi:[0,0,1]
	v_mov_b32_e32 v45, v53
	v_pk_add_f32 v[48:49], v[48:49], v[108:109]
	v_pk_mul_f32 v[46:47], v[100:101], v[46:47] op_sel_hi:[1,0]
	v_mov_b32_e32 v43, v51
	s_wait_loadcnt 0x2
	v_pk_mul_f32 v[84:85], v[76:77], v[60:61] op_sel:[1,1] op_sel_hi:[0,1]
	v_pk_add_f32 v[40:41], v[48:49], v[40:41]
	v_mov_b32_e32 v48, v63
	v_pk_fma_f32 v[50:51], v[74:75], v[58:59], v[46:47] op_sel_hi:[1,0,1]
	v_pk_fma_f32 v[46:47], v[74:75], v[58:59], v[46:47] neg_lo:[0,0,1] neg_hi:[0,0,1]
	s_delay_alu instid0(VALU_DEP_4)
	v_pk_add_f32 v[40:41], v[40:41], v[42:43]
	v_pk_fma_f32 v[42:43], v[76:77], v[60:61], v[84:85] op_sel_hi:[1,0,1]
	v_pk_mul_f32 v[48:49], v[102:103], v[48:49] op_sel_hi:[1,0]
	v_mov_b32_e32 v47, v51
	v_pk_fma_f32 v[50:51], v[76:77], v[60:61], v[84:85] neg_lo:[0,0,1] neg_hi:[0,0,1]
	v_pk_add_f32 v[40:41], v[40:41], v[44:45]
	v_mov_b32_e32 v51, v43
	v_pk_fma_f32 v[42:43], v[78:79], v[62:63], v[48:49] op_sel_hi:[1,0,1]
	s_wait_loadcnt 0x1
	v_pk_mul_f32 v[44:45], v[80:81], v[64:65] op_sel:[1,1] op_sel_hi:[0,1]
	v_mov_b32_e32 v42, v67
	v_pk_add_f32 v[40:41], v[40:41], v[46:47]
	v_pk_fma_f32 v[48:49], v[78:79], v[62:63], v[48:49] neg_lo:[0,0,1] neg_hi:[0,0,1]
	v_mov_b32_e32 v49, v43
	v_pk_fma_f32 v[46:47], v[80:81], v[64:65], v[44:45] op_sel_hi:[1,0,1]
	v_pk_mul_f32 v[42:43], v[104:105], v[42:43] op_sel_hi:[1,0]
	v_pk_add_f32 v[40:41], v[40:41], v[50:51]
	v_pk_fma_f32 v[44:45], v[80:81], v[64:65], v[44:45] neg_lo:[0,0,1] neg_hi:[0,0,1]
	s_delay_alu instid0(VALU_DEP_4) | instskip(NEXT) | instid1(VALU_DEP_4)
	v_mov_b32_e32 v45, v47
	v_pk_fma_f32 v[46:47], v[82:83], v[66:67], v[42:43] op_sel_hi:[1,0,1]
	s_delay_alu instid0(VALU_DEP_4) | instskip(SKIP_1) | instid1(VALU_DEP_3)
	v_pk_add_f32 v[40:41], v[40:41], v[48:49]
	v_pk_fma_f32 v[42:43], v[82:83], v[66:67], v[42:43] neg_lo:[0,0,1] neg_hi:[0,0,1]
	v_mov_b32_e32 v43, v47
	s_delay_alu instid0(VALU_DEP_3) | instskip(NEXT) | instid1(VALU_DEP_1)
	v_pk_add_f32 v[40:41], v[40:41], v[44:45]
	v_pk_add_f32 v[40:41], v[40:41], v[42:43]
	s_wait_loadcnt 0x0
	s_delay_alu instid0(VALU_DEP_1)
	v_pk_add_f32 v[40:41], v[96:97], v[40:41] neg_lo:[0,1] neg_hi:[0,1]
	scratch_store_b64 off, v[40:41], off offset:32
	s_wait_xcnt 0x0
	v_cmpx_lt_u32_e32 3, v0
	s_cbranch_execz .LBB18_121
; %bb.120:
	scratch_load_b64 v[40:41], off, off offset:24
	v_mov_b64_e32 v[42:43], 0
	scratch_store_b64 off, v[42:43], off offset:24
	s_wait_loadcnt 0x0
	ds_store_b64 v1, v[40:41]
.LBB18_121:
	s_wait_xcnt 0x0
	s_or_b32 exec_lo, exec_lo, s0
	s_wait_storecnt_dscnt 0x0
	s_barrier_signal -1
	s_barrier_wait -1
	s_clause 0x8
	scratch_load_b128 v[40:43], off, off offset:32
	scratch_load_b128 v[44:47], off, off offset:48
	;; [unrolled: 1-line block ×7, first 2 shown]
	scratch_load_b64 v[96:97], off, off offset:144
	scratch_load_b64 v[98:99], off, off offset:24
	v_mov_b32_e32 v5, 0
	ds_load_b128 v[68:71], v5 offset:240
	ds_load_b128 v[72:75], v5 offset:256
	;; [unrolled: 1-line block ×7, first 2 shown]
	ds_load_b64 v[100:101], v5 offset:304
	s_mov_b32 s0, exec_lo
	s_wait_dscnt 0x7
	v_dual_mov_b32 v102, v71 :: v_dual_mov_b32 v103, v70
	s_wait_dscnt 0x4
	v_dual_mov_b32 v104, v75 :: v_dual_mov_b32 v109, v82
	v_dual_mov_b32 v105, v74 :: v_dual_mov_b32 v106, v79
	;; [unrolled: 1-line block ×3, first 2 shown]
	s_wait_loadcnt_dscnt 0x803
	v_dual_mul_f32 v7, v84, v41 :: v_dual_mul_f32 v19, v85, v41
	v_dual_mul_f32 v21, v87, v43 :: v_dual_mul_f32 v11, v86, v43
	s_wait_loadcnt_dscnt 0x702
	v_mul_f32_e32 v13, v88, v45
	s_wait_loadcnt 0x5
	v_dual_mul_f32 v31, v69, v53 :: v_dual_fma_f32 v19, v84, v40, -v19
	v_dual_fmac_f32 v7, v85, v40 :: v_dual_mov_b32 v40, v55
	v_dual_mul_f32 v23, v89, v45 :: v_dual_mul_f32 v25, v91, v47
	v_dual_fmac_f32 v11, v87, v42 :: v_dual_fma_f32 v21, v86, v42, -v21
	s_delay_alu instid0(VALU_DEP_3) | instskip(NEXT) | instid1(VALU_DEP_3)
	v_dual_add_f32 v7, 0, v7 :: v_dual_fmac_f32 v13, v89, v44
	v_dual_add_f32 v19, 0, v19 :: v_dual_fma_f32 v23, v88, v44, -v23
	s_wait_dscnt 0x1
	v_dual_mul_f32 v15, v90, v47 :: v_dual_mul_f32 v17, v92, v49
	s_delay_alu instid0(VALU_DEP_3) | instskip(NEXT) | instid1(VALU_DEP_3)
	v_add_f32_e32 v7, v7, v11
	v_dual_add_f32 v11, v19, v21 :: v_dual_mul_f32 v111, v94, v51
	v_mul_f32_e32 v113, v68, v53
	v_dual_mul_f32 v27, v93, v49 :: v_dual_mul_f32 v29, v95, v51
	s_wait_loadcnt 0x4
	v_pk_mul_f32 v[42:43], v[72:73], v[56:57] op_sel:[1,1] op_sel_hi:[0,1]
	s_delay_alu instid0(VALU_DEP_3)
	v_dual_fmac_f32 v15, v91, v46 :: v_dual_fmac_f32 v113, v69, v52
	v_dual_fma_f32 v19, v90, v46, -v25 :: v_dual_add_f32 v7, v7, v13
	v_fma_f32 v110, v94, v50, -v29
	v_dual_fmac_f32 v17, v93, v48 :: v_dual_add_f32 v11, v11, v23
	v_fma_f32 v112, v68, v52, -v31
	v_pk_mul_f32 v[40:41], v[102:103], v[40:41] op_sel_hi:[1,0]
	v_dual_mov_b32 v44, v59 :: v_dual_fma_f32 v13, v92, v48, -v27
	v_pk_fma_f32 v[68:69], v[72:73], v[56:57], v[42:43] op_sel_hi:[1,0,1]
	v_add_f32_e32 v11, v11, v19
	s_delay_alu instid0(VALU_DEP_4) | instskip(SKIP_3) | instid1(VALU_DEP_4)
	v_pk_fma_f32 v[52:53], v[70:71], v[54:55], v[40:41] op_sel_hi:[1,0,1]
	v_add_f32_e32 v7, v7, v15
	v_pk_fma_f32 v[40:41], v[70:71], v[54:55], v[40:41] neg_lo:[0,0,1] neg_hi:[0,0,1]
	v_pk_fma_f32 v[42:43], v[72:73], v[56:57], v[42:43] neg_lo:[0,0,1] neg_hi:[0,0,1]
	v_dual_fmac_f32 v111, v95, v50 :: v_dual_mov_b32 v41, v53
	s_delay_alu instid0(VALU_DEP_4)
	v_dual_add_f32 v49, v7, v17 :: v_dual_mov_b32 v43, v69
	v_add_f32_e32 v48, v11, v13
	v_pk_mul_f32 v[44:45], v[104:105], v[44:45] op_sel_hi:[1,0]
	s_wait_loadcnt 0x3
	v_pk_mul_f32 v[46:47], v[76:77], v[60:61] op_sel:[1,1] op_sel_hi:[0,1]
	s_wait_loadcnt 0x2
	v_pk_mul_f32 v[52:53], v[80:81], v[64:65] op_sel:[1,1] op_sel_hi:[0,1]
	v_pk_add_f32 v[48:49], v[48:49], v[110:111]
	v_pk_fma_f32 v[54:55], v[74:75], v[58:59], v[44:45] op_sel_hi:[1,0,1]
	v_mov_b32_e32 v50, v63
	v_pk_fma_f32 v[44:45], v[74:75], v[58:59], v[44:45] neg_lo:[0,0,1] neg_hi:[0,0,1]
	s_delay_alu instid0(VALU_DEP_4) | instskip(NEXT) | instid1(VALU_DEP_4)
	v_pk_add_f32 v[48:49], v[48:49], v[112:113]
	v_mov_b32_e32 v45, v55
	s_delay_alu instid0(VALU_DEP_4) | instskip(NEXT) | instid1(VALU_DEP_3)
	v_pk_mul_f32 v[50:51], v[106:107], v[50:51] op_sel_hi:[1,0]
	v_pk_add_f32 v[40:41], v[48:49], v[40:41]
	v_pk_fma_f32 v[48:49], v[76:77], v[60:61], v[46:47] op_sel_hi:[1,0,1]
	v_pk_fma_f32 v[46:47], v[76:77], v[60:61], v[46:47] neg_lo:[0,0,1] neg_hi:[0,0,1]
	s_delay_alu instid0(VALU_DEP_3) | instskip(NEXT) | instid1(VALU_DEP_3)
	v_pk_add_f32 v[40:41], v[40:41], v[42:43]
	v_dual_mov_b32 v42, v67 :: v_dual_mov_b32 v47, v49
	v_pk_fma_f32 v[48:49], v[78:79], v[62:63], v[50:51] op_sel_hi:[1,0,1]
	v_pk_fma_f32 v[50:51], v[78:79], v[62:63], v[50:51] neg_lo:[0,0,1] neg_hi:[0,0,1]
	s_delay_alu instid0(VALU_DEP_4)
	v_pk_add_f32 v[40:41], v[40:41], v[44:45]
	v_pk_fma_f32 v[44:45], v[80:81], v[64:65], v[52:53] op_sel_hi:[1,0,1]
	v_pk_mul_f32 v[42:43], v[108:109], v[42:43] op_sel_hi:[1,0]
	v_mov_b32_e32 v51, v49
	s_wait_loadcnt_dscnt 0x100
	v_pk_mul_f32 v[48:49], v[100:101], v[96:97] op_sel:[1,1] op_sel_hi:[0,1]
	v_pk_add_f32 v[40:41], v[40:41], v[46:47]
	v_pk_fma_f32 v[46:47], v[80:81], v[64:65], v[52:53] neg_lo:[0,0,1] neg_hi:[0,0,1]
	v_mov_b32_e32 v47, v45
	v_pk_fma_f32 v[44:45], v[82:83], v[66:67], v[42:43] op_sel_hi:[1,0,1]
	v_pk_fma_f32 v[42:43], v[82:83], v[66:67], v[42:43] neg_lo:[0,0,1] neg_hi:[0,0,1]
	v_pk_add_f32 v[40:41], v[40:41], v[50:51]
	s_delay_alu instid0(VALU_DEP_3) | instskip(SKIP_1) | instid1(VALU_DEP_3)
	v_mov_b32_e32 v43, v45
	v_pk_fma_f32 v[44:45], v[100:101], v[96:97], v[48:49] op_sel_hi:[1,0,1]
	v_pk_add_f32 v[40:41], v[40:41], v[46:47]
	v_pk_fma_f32 v[46:47], v[100:101], v[96:97], v[48:49] neg_lo:[0,0,1] neg_hi:[0,0,1]
	s_delay_alu instid0(VALU_DEP_3) | instskip(NEXT) | instid1(VALU_DEP_3)
	v_mov_b32_e32 v47, v45
	v_pk_add_f32 v[40:41], v[40:41], v[42:43]
	s_delay_alu instid0(VALU_DEP_1) | instskip(SKIP_1) | instid1(VALU_DEP_1)
	v_pk_add_f32 v[40:41], v[40:41], v[46:47]
	s_wait_loadcnt 0x0
	v_pk_add_f32 v[40:41], v[98:99], v[40:41] neg_lo:[0,1] neg_hi:[0,1]
	scratch_store_b64 off, v[40:41], off offset:24
	s_wait_xcnt 0x0
	v_cmpx_lt_u32_e32 2, v0
	s_cbranch_execz .LBB18_123
; %bb.122:
	scratch_load_b64 v[40:41], off, off offset:16
	v_mov_b64_e32 v[42:43], 0
	scratch_store_b64 off, v[42:43], off offset:16
	s_wait_loadcnt 0x0
	ds_store_b64 v1, v[40:41]
.LBB18_123:
	s_wait_xcnt 0x0
	s_or_b32 exec_lo, exec_lo, s0
	s_wait_storecnt_dscnt 0x0
	s_barrier_signal -1
	s_barrier_wait -1
	s_clause 0x8
	scratch_load_b128 v[40:43], off, off offset:24
	scratch_load_b128 v[44:47], off, off offset:40
	;; [unrolled: 1-line block ×8, first 2 shown]
	scratch_load_b64 v[104:105], off, off offset:16
	ds_load_2addr_b64 v[72:75], v5 offset0:31 offset1:32
	ds_load_2addr_b64 v[76:79], v5 offset0:33 offset1:34
	;; [unrolled: 1-line block ×8, first 2 shown]
	s_mov_b32 s0, exec_lo
	s_wait_dscnt 0x7
	v_dual_mov_b32 v106, v75 :: v_dual_mov_b32 v107, v74
	s_wait_dscnt 0x6
	v_dual_mov_b32 v108, v79 :: v_dual_mov_b32 v109, v78
	;; [unrolled: 2-line block ×4, first 2 shown]
	s_wait_loadcnt_dscnt 0x803
	v_dual_mul_f32 v5, v88, v41 :: v_dual_mul_f32 v7, v90, v43
	v_dual_mul_f32 v19, v89, v41 :: v_dual_mul_f32 v21, v91, v43
	s_wait_loadcnt_dscnt 0x702
	v_dual_mul_f32 v11, v92, v45 :: v_dual_mul_f32 v13, v94, v47
	s_delay_alu instid0(VALU_DEP_2) | instskip(SKIP_3) | instid1(VALU_DEP_3)
	v_dual_fmac_f32 v5, v89, v40 :: v_dual_fma_f32 v19, v88, v40, -v19
	v_dual_mul_f32 v23, v93, v45 :: v_dual_mul_f32 v25, v95, v47
	s_wait_loadcnt_dscnt 0x500
	v_dual_mul_f32 v31, v101, v53 :: v_dual_fmac_f32 v7, v91, v42
	v_dual_fma_f32 v21, v90, v42, -v21 :: v_dual_add_f32 v5, 0, v5
	v_dual_add_f32 v19, 0, v19 :: v_dual_fmac_f32 v11, v93, v44
	v_dual_mul_f32 v33, v103, v55 :: v_dual_fma_f32 v23, v92, v44, -v23
	s_delay_alu instid0(VALU_DEP_2) | instskip(SKIP_2) | instid1(VALU_DEP_3)
	v_dual_add_f32 v5, v5, v7 :: v_dual_add_f32 v7, v19, v21
	v_dual_mul_f32 v15, v96, v49 :: v_dual_mul_f32 v17, v98, v51
	v_dual_mul_f32 v27, v97, v49 :: v_dual_mul_f32 v29, v99, v51
	v_dual_fmac_f32 v13, v95, v46 :: v_dual_add_f32 v5, v5, v11
	s_delay_alu instid0(VALU_DEP_4) | instskip(SKIP_2) | instid1(VALU_DEP_3)
	v_dual_fma_f32 v19, v94, v46, -v25 :: v_dual_add_f32 v7, v7, v23
	s_wait_loadcnt 0x4
	v_dual_mov_b32 v42, v59 :: v_dual_fmac_f32 v15, v97, v48
	v_dual_fma_f32 v11, v96, v48, -v27 :: v_dual_add_f32 v5, v5, v13
	s_delay_alu instid0(VALU_DEP_3) | instskip(SKIP_1) | instid1(VALU_DEP_3)
	v_dual_add_f32 v7, v7, v19 :: v_dual_fma_f32 v13, v98, v50, -v29
	v_dual_mul_f32 v115, v100, v53 :: v_dual_mul_f32 v117, v102, v55
	v_dual_fmac_f32 v17, v99, v50 :: v_dual_add_f32 v5, v5, v15
	s_delay_alu instid0(VALU_DEP_2)
	v_dual_add_f32 v7, v7, v11 :: v_dual_fmac_f32 v115, v101, v52
	v_pk_mul_f32 v[40:41], v[72:73], v[56:57] op_sel:[1,1] op_sel_hi:[0,1]
	s_wait_loadcnt 0x3
	v_dual_mov_b32 v46, v63 :: v_dual_fma_f32 v114, v100, v52, -v31
	v_dual_add_f32 v49, v5, v17 :: v_dual_fmac_f32 v117, v103, v54
	v_dual_add_f32 v48, v7, v13 :: v_dual_fma_f32 v116, v102, v54, -v33
	v_pk_fma_f32 v[50:51], v[72:73], v[56:57], v[40:41] op_sel_hi:[1,0,1]
	v_pk_mul_f32 v[42:43], v[106:107], v[42:43] op_sel_hi:[1,0]
	v_pk_fma_f32 v[40:41], v[72:73], v[56:57], v[40:41] neg_lo:[0,0,1] neg_hi:[0,0,1]
	s_delay_alu instid0(VALU_DEP_4)
	v_pk_add_f32 v[48:49], v[48:49], v[114:115]
	v_pk_mul_f32 v[44:45], v[76:77], v[60:61] op_sel:[1,1] op_sel_hi:[0,1]
	v_mov_b32_e32 v41, v51
	v_pk_fma_f32 v[50:51], v[74:75], v[58:59], v[42:43] op_sel_hi:[1,0,1]
	v_pk_fma_f32 v[42:43], v[74:75], v[58:59], v[42:43] neg_lo:[0,0,1] neg_hi:[0,0,1]
	v_pk_add_f32 v[48:49], v[48:49], v[116:117]
	v_pk_fma_f32 v[54:55], v[76:77], v[60:61], v[44:45] op_sel_hi:[1,0,1]
	v_pk_mul_f32 v[46:47], v[108:109], v[46:47] op_sel_hi:[1,0]
	v_mov_b32_e32 v43, v51
	s_wait_loadcnt 0x2
	v_pk_mul_f32 v[52:53], v[80:81], v[64:65] op_sel:[1,1] op_sel_hi:[0,1]
	v_pk_add_f32 v[40:41], v[48:49], v[40:41]
	v_mov_b32_e32 v48, v67
	v_pk_fma_f32 v[44:45], v[76:77], v[60:61], v[44:45] neg_lo:[0,0,1] neg_hi:[0,0,1]
	v_mov_b32_e32 v45, v55
	v_pk_fma_f32 v[50:51], v[78:79], v[62:63], v[46:47] op_sel_hi:[1,0,1]
	v_pk_add_f32 v[40:41], v[40:41], v[42:43]
	v_pk_fma_f32 v[42:43], v[80:81], v[64:65], v[52:53] op_sel_hi:[1,0,1]
	v_pk_mul_f32 v[48:49], v[110:111], v[48:49] op_sel_hi:[1,0]
	v_pk_fma_f32 v[46:47], v[78:79], v[62:63], v[46:47] neg_lo:[0,0,1] neg_hi:[0,0,1]
	v_mov_b32_e32 v47, v51
	v_pk_add_f32 v[40:41], v[40:41], v[44:45]
	v_pk_fma_f32 v[50:51], v[80:81], v[64:65], v[52:53] neg_lo:[0,0,1] neg_hi:[0,0,1]
	v_mov_b32_e32 v51, v43
	v_pk_fma_f32 v[42:43], v[82:83], v[66:67], v[48:49] op_sel_hi:[1,0,1]
	s_wait_loadcnt 0x1
	v_pk_mul_f32 v[44:45], v[84:85], v[68:69] op_sel:[1,1] op_sel_hi:[0,1]
	v_pk_add_f32 v[40:41], v[40:41], v[46:47]
	v_mov_b32_e32 v42, v71
	v_pk_fma_f32 v[48:49], v[82:83], v[66:67], v[48:49] neg_lo:[0,0,1] neg_hi:[0,0,1]
	v_mov_b32_e32 v49, v43
	v_pk_fma_f32 v[46:47], v[84:85], v[68:69], v[44:45] op_sel_hi:[1,0,1]
	v_pk_add_f32 v[40:41], v[40:41], v[50:51]
	v_pk_mul_f32 v[42:43], v[112:113], v[42:43] op_sel_hi:[1,0]
	v_pk_fma_f32 v[44:45], v[84:85], v[68:69], v[44:45] neg_lo:[0,0,1] neg_hi:[0,0,1]
	s_delay_alu instid0(VALU_DEP_4) | instskip(NEXT) | instid1(VALU_DEP_4)
	v_mov_b32_e32 v45, v47
	v_pk_add_f32 v[40:41], v[40:41], v[48:49]
	s_delay_alu instid0(VALU_DEP_4) | instskip(SKIP_1) | instid1(VALU_DEP_2)
	v_pk_fma_f32 v[46:47], v[86:87], v[70:71], v[42:43] op_sel_hi:[1,0,1]
	v_pk_fma_f32 v[42:43], v[86:87], v[70:71], v[42:43] neg_lo:[0,0,1] neg_hi:[0,0,1]
	v_mov_b32_e32 v43, v47
	s_delay_alu instid0(VALU_DEP_4) | instskip(NEXT) | instid1(VALU_DEP_1)
	v_pk_add_f32 v[40:41], v[40:41], v[44:45]
	v_pk_add_f32 v[40:41], v[40:41], v[42:43]
	s_wait_loadcnt 0x0
	s_delay_alu instid0(VALU_DEP_1)
	v_pk_add_f32 v[40:41], v[104:105], v[40:41] neg_lo:[0,1] neg_hi:[0,1]
	scratch_store_b64 off, v[40:41], off offset:16
	s_wait_xcnt 0x0
	v_cmpx_lt_u32_e32 1, v0
	s_cbranch_execz .LBB18_125
; %bb.124:
	scratch_load_b64 v[40:41], off, off offset:8
	v_mov_b64_e32 v[42:43], 0
	scratch_store_b64 off, v[42:43], off offset:8
	s_wait_loadcnt 0x0
	ds_store_b64 v1, v[40:41]
.LBB18_125:
	s_wait_xcnt 0x0
	s_or_b32 exec_lo, exec_lo, s0
	s_wait_storecnt_dscnt 0x0
	s_barrier_signal -1
	s_barrier_wait -1
	s_clause 0x9
	scratch_load_b128 v[42:45], off, off offset:16
	scratch_load_b128 v[46:49], off, off offset:32
	;; [unrolled: 1-line block ×8, first 2 shown]
	scratch_load_b64 v[106:107], off, off offset:144
	scratch_load_b64 v[108:109], off, off offset:8
	v_dual_mov_b32 v40, 0 :: v_dual_ashrrev_i32 v5, 31, v4
	ds_load_b128 v[74:77], v40 offset:240
	ds_load_b128 v[78:81], v40 offset:256
	;; [unrolled: 1-line block ×8, first 2 shown]
	ds_load_b64 v[110:111], v40 offset:304
	v_ashrrev_i32_e32 v11, 31, v10
	v_ashrrev_i32_e32 v15, 31, v14
	v_dual_ashrrev_i32 v7, 31, v6 :: v_dual_ashrrev_i32 v13, 31, v12
	s_mov_b32 s0, exec_lo
	s_wait_dscnt 0x8
	v_dual_mov_b32 v112, v77 :: v_dual_mov_b32 v113, v76
	s_wait_dscnt 0x7
	v_dual_mov_b32 v114, v81 :: v_dual_mov_b32 v115, v80
	;; [unrolled: 2-line block ×4, first 2 shown]
	s_wait_loadcnt_dscnt 0x904
	v_dual_mul_f32 v17, v90, v43 :: v_dual_mul_f32 v19, v92, v45
	v_dual_mul_f32 v21, v91, v43 :: v_dual_mul_f32 v23, v93, v45
	s_wait_loadcnt_dscnt 0x803
	v_dual_mul_f32 v25, v94, v47 :: v_dual_mul_f32 v27, v96, v49
	v_dual_mul_f32 v29, v95, v47 :: v_dual_mul_f32 v31, v97, v49
	s_wait_loadcnt 0x5
	v_dual_mul_f32 v45, v74, v59 :: v_dual_fmac_f32 v17, v91, v42
	s_wait_dscnt 0x1
	v_dual_mul_f32 v49, v103, v55 :: v_dual_fma_f32 v21, v90, v42, -v21
	v_dual_mul_f32 v42, v105, v57 :: v_dual_fma_f32 v23, v92, v44, -v23
	s_delay_alu instid0(VALU_DEP_3) | instskip(NEXT) | instid1(VALU_DEP_3)
	v_dual_fmac_f32 v19, v93, v44 :: v_dual_add_f32 v17, 0, v17
	v_dual_add_f32 v21, 0, v21 :: v_dual_mul_f32 v39, v99, v51
	v_dual_mul_f32 v43, v104, v57 :: v_dual_mul_f32 v57, v75, v59
	s_delay_alu instid0(VALU_DEP_3) | instskip(NEXT) | instid1(VALU_DEP_3)
	v_dual_fmac_f32 v25, v95, v46 :: v_dual_add_f32 v17, v17, v19
	v_dual_fma_f32 v29, v94, v46, -v29 :: v_dual_add_f32 v19, v21, v23
	v_dual_mul_f32 v33, v98, v51 :: v_dual_mul_f32 v35, v100, v53
	v_dual_mov_b32 v44, v61 :: v_dual_fma_f32 v21, v96, v48, -v31
	s_delay_alu instid0(VALU_DEP_3) | instskip(NEXT) | instid1(VALU_DEP_3)
	v_dual_fmac_f32 v27, v97, v48 :: v_dual_add_f32 v19, v19, v29
	v_dual_add_f32 v17, v17, v25 :: v_dual_fmac_f32 v33, v99, v50
	v_dual_mul_f32 v37, v102, v55 :: v_dual_mul_f32 v41, v101, v53
	s_delay_alu instid0(VALU_DEP_2) | instskip(SKIP_2) | instid1(VALU_DEP_3)
	v_dual_fma_f32 v23, v98, v50, -v39 :: v_dual_add_f32 v17, v17, v27
	s_wait_loadcnt 0x4
	v_dual_add_f32 v19, v19, v21 :: v_dual_mov_b32 v48, v65
	v_dual_fmac_f32 v35, v101, v52 :: v_dual_fma_f32 v21, v100, v52, -v41
	s_delay_alu instid0(VALU_DEP_2) | instskip(SKIP_2) | instid1(VALU_DEP_3)
	v_dual_add_f32 v17, v17, v33 :: v_dual_add_f32 v19, v19, v23
	v_fmac_f32_e32 v37, v103, v54
	v_dual_fma_f32 v23, v102, v54, -v49 :: v_dual_fmac_f32 v43, v105, v56
	v_dual_fma_f32 v42, v104, v56, -v42 :: v_dual_add_f32 v17, v17, v35
	s_delay_alu instid0(VALU_DEP_4)
	v_add_f32_e32 v19, v19, v21
	v_pk_mul_f32 v[52:53], v[112:113], v[44:45] op_sel_hi:[1,0]
	v_pk_mul_f32 v[46:47], v[78:79], v[62:63] op_sel:[1,1] op_sel_hi:[0,1]
	s_wait_loadcnt 0x3
	v_dual_mov_b32 v56, v69 :: v_dual_fmac_f32 v45, v75, v58
	v_dual_add_f32 v55, v17, v37 :: v_dual_add_f32 v54, v19, v23
	v_fma_f32 v44, v74, v58, -v57
	v_pk_fma_f32 v[58:59], v[76:77], v[60:61], v[52:53] op_sel_hi:[1,0,1]
	v_pk_fma_f32 v[52:53], v[76:77], v[60:61], v[52:53] neg_lo:[0,0,1] neg_hi:[0,0,1]
	v_pk_mul_f32 v[48:49], v[114:115], v[48:49] op_sel_hi:[1,0]
	v_pk_add_f32 v[42:43], v[54:55], v[42:43]
	v_pk_fma_f32 v[54:55], v[78:79], v[62:63], v[46:47] op_sel_hi:[1,0,1]
	v_mov_b32_e32 v53, v59
	v_pk_fma_f32 v[46:47], v[78:79], v[62:63], v[46:47] neg_lo:[0,0,1] neg_hi:[0,0,1]
	v_pk_mul_f32 v[50:51], v[82:83], v[66:67] op_sel:[1,1] op_sel_hi:[0,1]
	v_pk_add_f32 v[42:43], v[42:43], v[44:45]
	v_mov_b32_e32 v47, v55
	v_pk_fma_f32 v[54:55], v[80:81], v[64:65], v[48:49] op_sel_hi:[1,0,1]
	v_pk_fma_f32 v[48:49], v[80:81], v[64:65], v[48:49] neg_lo:[0,0,1] neg_hi:[0,0,1]
	v_pk_mul_f32 v[56:57], v[116:117], v[56:57] op_sel_hi:[1,0]
	v_pk_add_f32 v[42:43], v[42:43], v[52:53]
	v_pk_fma_f32 v[52:53], v[82:83], v[66:67], v[50:51] op_sel_hi:[1,0,1]
	v_mov_b32_e32 v49, v55
	v_pk_fma_f32 v[50:51], v[82:83], v[66:67], v[50:51] neg_lo:[0,0,1] neg_hi:[0,0,1]
	s_wait_loadcnt 0x2
	v_pk_mul_f32 v[44:45], v[86:87], v[70:71] op_sel:[1,1] op_sel_hi:[0,1]
	v_pk_add_f32 v[42:43], v[42:43], v[46:47]
	v_dual_mov_b32 v46, v73 :: v_dual_mov_b32 v51, v53
	v_pk_fma_f32 v[52:53], v[84:85], v[68:69], v[56:57] op_sel_hi:[1,0,1]
	v_pk_fma_f32 v[54:55], v[84:85], v[68:69], v[56:57] neg_lo:[0,0,1] neg_hi:[0,0,1]
	s_delay_alu instid0(VALU_DEP_4) | instskip(SKIP_3) | instid1(VALU_DEP_4)
	v_pk_add_f32 v[42:43], v[42:43], v[48:49]
	v_pk_fma_f32 v[48:49], v[86:87], v[70:71], v[44:45] op_sel_hi:[1,0,1]
	v_pk_mul_f32 v[46:47], v[118:119], v[46:47] op_sel_hi:[1,0]
	v_dual_mov_b32 v55, v53 :: v_dual_ashrrev_i32 v17, 31, v16
	v_pk_add_f32 v[42:43], v[42:43], v[50:51]
	v_pk_fma_f32 v[44:45], v[86:87], v[70:71], v[44:45] neg_lo:[0,0,1] neg_hi:[0,0,1]
	v_dual_mov_b32 v45, v49 :: v_dual_ashrrev_i32 v19, 31, v18
	v_pk_fma_f32 v[48:49], v[88:89], v[72:73], v[46:47] op_sel_hi:[1,0,1]
	s_delay_alu instid0(VALU_DEP_4)
	v_pk_add_f32 v[42:43], v[42:43], v[54:55]
	s_wait_loadcnt_dscnt 0x100
	v_pk_mul_f32 v[50:51], v[110:111], v[106:107] op_sel:[1,1] op_sel_hi:[0,1]
	v_pk_fma_f32 v[46:47], v[88:89], v[72:73], v[46:47] neg_lo:[0,0,1] neg_hi:[0,0,1]
	v_dual_ashrrev_i32 v21, 31, v20 :: v_dual_mov_b32 v47, v49
	v_pk_add_f32 v[42:43], v[42:43], v[44:45]
	s_delay_alu instid0(VALU_DEP_4)
	v_pk_fma_f32 v[44:45], v[110:111], v[106:107], v[50:51] op_sel_hi:[1,0,1]
	v_pk_fma_f32 v[48:49], v[110:111], v[106:107], v[50:51] neg_lo:[0,0,1] neg_hi:[0,0,1]
	v_dual_ashrrev_i32 v23, 31, v22 :: v_dual_ashrrev_i32 v25, 31, v24
	v_ashrrev_i32_e32 v27, 31, v26
	v_pk_add_f32 v[42:43], v[42:43], v[46:47]
	v_dual_mov_b32 v49, v45 :: v_dual_ashrrev_i32 v29, 31, v28
	v_dual_ashrrev_i32 v31, 31, v30 :: v_dual_ashrrev_i32 v33, 31, v32
	v_ashrrev_i32_e32 v35, 31, v34
	s_delay_alu instid0(VALU_DEP_3) | instskip(SKIP_2) | instid1(VALU_DEP_2)
	v_pk_add_f32 v[42:43], v[42:43], v[48:49]
	v_dual_ashrrev_i32 v37, 31, v36 :: v_dual_ashrrev_i32 v39, 31, v38
	s_wait_loadcnt 0x0
	v_pk_add_f32 v[42:43], v[108:109], v[42:43] neg_lo:[0,1] neg_hi:[0,1]
	scratch_store_b64 off, v[42:43], off offset:8
	s_wait_xcnt 0x0
	v_cmpx_ne_u32_e32 0, v0
	s_cbranch_execz .LBB18_127
; %bb.126:
	scratch_load_b64 v[42:43], off, off
	v_mov_b64_e32 v[44:45], 0
	scratch_store_b64 off, v[44:45], off
	s_wait_loadcnt 0x0
	ds_store_b64 v1, v[42:43]
.LBB18_127:
	s_wait_xcnt 0x0
	s_or_b32 exec_lo, exec_lo, s0
	s_wait_storecnt_dscnt 0x0
	s_barrier_signal -1
	s_barrier_wait -1
	s_clause 0x9
	scratch_load_b128 v[42:45], off, off offset:8
	scratch_load_b128 v[46:49], off, off offset:24
	;; [unrolled: 1-line block ×9, first 2 shown]
	scratch_load_b64 v[0:1], off, off
	ds_load_2addr_b64 v[78:81], v40 offset0:31 offset1:32
	ds_load_2addr_b64 v[82:85], v40 offset0:33 offset1:34
	;; [unrolled: 1-line block ×9, first 2 shown]
	s_and_b32 vcc_lo, exec_lo, s18
	s_wait_dscnt 0x8
	v_dual_mov_b32 v40, v81 :: v_dual_mov_b32 v41, v80
	s_wait_dscnt 0x7
	v_dual_mov_b32 v114, v85 :: v_dual_mov_b32 v115, v84
	;; [unrolled: 2-line block ×4, first 2 shown]
	s_wait_loadcnt_dscnt 0x904
	v_dual_mul_f32 v120, v94, v43 :: v_dual_mul_f32 v122, v96, v45
	v_dual_mul_f32 v43, v95, v43 :: v_dual_mul_f32 v45, v97, v45
	s_wait_loadcnt_dscnt 0x601
	v_dual_mul_f32 v128, v106, v55 :: v_dual_mul_f32 v129, v108, v57
	v_mul_f32_e32 v55, v107, v55
	v_dual_fmac_f32 v120, v95, v42 :: v_dual_mul_f32 v57, v109, v57
	v_fma_f32 v42, v94, v42, -v43
	v_dual_mul_f32 v124, v98, v47 :: v_dual_mul_f32 v125, v100, v49
	v_dual_mul_f32 v47, v99, v47 :: v_dual_mul_f32 v49, v101, v49
	v_dual_fmac_f32 v122, v97, v44 :: v_dual_fma_f32 v43, v96, v44, -v45
	s_delay_alu instid0(VALU_DEP_4) | instskip(SKIP_3) | instid1(VALU_DEP_3)
	v_dual_add_f32 v44, 0, v120 :: v_dual_add_f32 v42, 0, v42
	s_wait_loadcnt_dscnt 0x500
	v_mul_f32_e32 v45, v111, v59
	v_dual_fmac_f32 v124, v99, v46 :: v_dual_fma_f32 v46, v98, v46, -v47
	v_dual_add_f32 v44, v44, v122 :: v_dual_add_f32 v42, v42, v43
	v_dual_mul_f32 v126, v102, v51 :: v_dual_mul_f32 v127, v104, v53
	v_dual_mul_f32 v121, v110, v59 :: v_dual_mul_f32 v123, v112, v61
	;; [unrolled: 1-line block ×3, first 2 shown]
	v_mul_f32_e32 v59, v113, v61
	v_dual_fmac_f32 v125, v101, v48 :: v_dual_add_f32 v46, v42, v46
	v_dual_fma_f32 v47, v100, v48, -v49 :: v_dual_fmac_f32 v126, v103, v50
	s_delay_alu instid0(VALU_DEP_4) | instskip(SKIP_1) | instid1(VALU_DEP_2)
	v_dual_add_f32 v44, v44, v124 :: v_dual_fma_f32 v48, v102, v50, -v51
	v_dual_fmac_f32 v127, v105, v52 :: v_dual_fmac_f32 v128, v107, v54
	v_dual_add_f32 v46, v46, v47 :: v_dual_add_f32 v49, v44, v125
	s_wait_loadcnt 0x4
	v_dual_mov_b32 v44, v65 :: v_dual_fma_f32 v50, v104, v52, -v53
	v_pk_mul_f32 v[42:43], v[78:79], v[62:63] op_sel:[1,1] op_sel_hi:[0,1]
	s_delay_alu instid0(VALU_DEP_3) | instskip(SKIP_3) | instid1(VALU_DEP_4)
	v_dual_add_f32 v48, v46, v48 :: v_dual_add_f32 v49, v49, v126
	v_fma_f32 v51, v106, v54, -v55
	v_fmac_f32_e32 v121, v111, v58
	v_dual_fma_f32 v120, v110, v58, -v45 :: v_dual_fmac_f32 v123, v113, v60
	v_dual_add_f32 v49, v49, v127 :: v_dual_add_f32 v50, v48, v50
	s_wait_loadcnt 0x3
	v_mov_b32_e32 v48, v69
	v_fmac_f32_e32 v129, v109, v56
	v_fma_f32 v122, v112, v60, -v59
	v_dual_add_f32 v49, v49, v128 :: v_dual_add_f32 v54, v50, v51
	v_fma_f32 v52, v108, v56, -v57
	v_pk_mul_f32 v[40:41], v[40:41], v[44:45] op_sel_hi:[1,0]
	v_pk_mul_f32 v[46:47], v[82:83], v[66:67] op_sel:[1,1] op_sel_hi:[0,1]
	s_delay_alu instid0(VALU_DEP_4)
	v_add_f32_e32 v53, v49, v129
	v_pk_mul_f32 v[48:49], v[114:115], v[48:49] op_sel_hi:[1,0]
	v_add_f32_e32 v52, v54, v52
	v_pk_fma_f32 v[54:55], v[78:79], v[62:63], v[42:43] op_sel_hi:[1,0,1]
	v_pk_fma_f32 v[42:43], v[78:79], v[62:63], v[42:43] neg_lo:[0,0,1] neg_hi:[0,0,1]
	v_pk_fma_f32 v[56:57], v[82:83], v[66:67], v[46:47] op_sel_hi:[1,0,1]
	v_pk_fma_f32 v[46:47], v[82:83], v[66:67], v[46:47] neg_lo:[0,0,1] neg_hi:[0,0,1]
	s_wait_loadcnt 0x2
	v_pk_mul_f32 v[50:51], v[86:87], v[70:71] op_sel:[1,1] op_sel_hi:[0,1]
	v_mov_b32_e32 v43, v55
	v_pk_add_f32 v[44:45], v[52:53], v[120:121]
	v_mov_b32_e32 v52, v73
	v_pk_fma_f32 v[54:55], v[80:81], v[64:65], v[40:41] op_sel_hi:[1,0,1]
	v_pk_fma_f32 v[40:41], v[80:81], v[64:65], v[40:41] neg_lo:[0,0,1] neg_hi:[0,0,1]
	v_mov_b32_e32 v47, v57
	v_pk_add_f32 v[44:45], v[44:45], v[122:123]
	v_pk_mul_f32 v[52:53], v[116:117], v[52:53] op_sel_hi:[1,0]
	v_mov_b32_e32 v41, v55
	v_pk_fma_f32 v[54:55], v[84:85], v[68:69], v[48:49] op_sel_hi:[1,0,1]
	v_pk_fma_f32 v[48:49], v[84:85], v[68:69], v[48:49] neg_lo:[0,0,1] neg_hi:[0,0,1]
	v_pk_add_f32 v[42:43], v[44:45], v[42:43]
	s_wait_loadcnt 0x1
	v_pk_mul_f32 v[44:45], v[90:91], v[74:75] op_sel:[1,1] op_sel_hi:[0,1]
	v_mov_b32_e32 v49, v55
	s_delay_alu instid0(VALU_DEP_3) | instskip(SKIP_2) | instid1(VALU_DEP_3)
	v_pk_add_f32 v[40:41], v[42:43], v[40:41]
	v_pk_fma_f32 v[42:43], v[86:87], v[70:71], v[50:51] op_sel_hi:[1,0,1]
	v_mov_b32_e32 v42, v77
	v_pk_add_f32 v[40:41], v[40:41], v[46:47]
	v_pk_fma_f32 v[46:47], v[86:87], v[70:71], v[50:51] neg_lo:[0,0,1] neg_hi:[0,0,1]
	v_pk_fma_f32 v[50:51], v[88:89], v[72:73], v[52:53] op_sel_hi:[1,0,1]
	v_mov_b32_e32 v47, v43
	v_pk_fma_f32 v[52:53], v[88:89], v[72:73], v[52:53] neg_lo:[0,0,1] neg_hi:[0,0,1]
	v_pk_add_f32 v[40:41], v[40:41], v[48:49]
	v_pk_fma_f32 v[48:49], v[90:91], v[74:75], v[44:45] op_sel_hi:[1,0,1]
	v_pk_mul_f32 v[42:43], v[118:119], v[42:43] op_sel_hi:[1,0]
	v_mov_b32_e32 v53, v51
	v_pk_fma_f32 v[44:45], v[90:91], v[74:75], v[44:45] neg_lo:[0,0,1] neg_hi:[0,0,1]
	v_pk_add_f32 v[40:41], v[40:41], v[46:47]
	s_delay_alu instid0(VALU_DEP_4) | instskip(SKIP_2) | instid1(VALU_DEP_4)
	v_pk_fma_f32 v[46:47], v[92:93], v[76:77], v[42:43] op_sel_hi:[1,0,1]
	v_mov_b32_e32 v45, v49
	v_pk_fma_f32 v[42:43], v[92:93], v[76:77], v[42:43] neg_lo:[0,0,1] neg_hi:[0,0,1]
	v_pk_add_f32 v[40:41], v[40:41], v[52:53]
	s_delay_alu instid0(VALU_DEP_4) | instskip(NEXT) | instid1(VALU_DEP_2)
	v_mov_b32_e32 v43, v47
	v_pk_add_f32 v[40:41], v[40:41], v[44:45]
	s_delay_alu instid0(VALU_DEP_1) | instskip(SKIP_1) | instid1(VALU_DEP_1)
	v_pk_add_f32 v[40:41], v[40:41], v[42:43]
	s_wait_loadcnt 0x0
	v_pk_add_f32 v[0:1], v[0:1], v[40:41] neg_lo:[0,1] neg_hi:[0,1]
	scratch_store_b64 off, v[0:1], off
	s_cbranch_vccz .LBB18_164
; %bb.128:
	s_wait_xcnt 0x0
	v_mov_b32_e32 v0, 0
	global_load_b32 v1, v0, s[2:3] offset:68
	s_wait_loadcnt 0x0
	v_cmp_ne_u32_e32 vcc_lo, 18, v1
	s_cbranch_vccz .LBB18_130
; %bb.129:
	v_lshlrev_b32_e32 v1, 3, v1
	scratch_load_b64 v[40:41], v1, off offset:-8
	scratch_load_b64 v[42:43], off, off offset:136
	s_wait_loadcnt 0x1
	scratch_store_b64 off, v[40:41], off offset:136
	s_wait_loadcnt 0x0
	scratch_store_b64 v1, v[42:43], off offset:-8
.LBB18_130:
	global_load_b32 v0, v0, s[2:3] offset:64
	s_wait_loadcnt 0x0
	v_cmp_eq_u32_e32 vcc_lo, 17, v0
	s_cbranch_vccnz .LBB18_132
; %bb.131:
	s_wait_xcnt 0x0
	v_lshlrev_b32_e32 v0, 3, v0
	s_delay_alu instid0(VALU_DEP_1)
	v_mov_b32_e32 v42, v0
	scratch_load_b64 v[0:1], v42, off offset:-8
	scratch_load_b64 v[40:41], off, off offset:128
	s_wait_loadcnt 0x1
	scratch_store_b64 off, v[0:1], off offset:128
	s_wait_loadcnt 0x0
	scratch_store_b64 v42, v[40:41], off offset:-8
.LBB18_132:
	s_wait_xcnt 0x0
	v_mov_b32_e32 v0, 0
	global_load_b32 v1, v0, s[2:3] offset:60
	s_wait_loadcnt 0x0
	v_cmp_eq_u32_e32 vcc_lo, 16, v1
	s_cbranch_vccnz .LBB18_134
; %bb.133:
	v_lshlrev_b32_e32 v1, 3, v1
	scratch_load_b64 v[40:41], v1, off offset:-8
	scratch_load_b64 v[42:43], off, off offset:120
	s_wait_loadcnt 0x1
	scratch_store_b64 off, v[40:41], off offset:120
	s_wait_loadcnt 0x0
	scratch_store_b64 v1, v[42:43], off offset:-8
.LBB18_134:
	global_load_b32 v0, v0, s[2:3] offset:56
	s_wait_loadcnt 0x0
	v_cmp_eq_u32_e32 vcc_lo, 15, v0
	s_cbranch_vccnz .LBB18_136
; %bb.135:
	s_wait_xcnt 0x0
	v_lshlrev_b32_e32 v0, 3, v0
	s_delay_alu instid0(VALU_DEP_1)
	v_mov_b32_e32 v42, v0
	scratch_load_b64 v[0:1], v42, off offset:-8
	scratch_load_b64 v[40:41], off, off offset:112
	s_wait_loadcnt 0x1
	scratch_store_b64 off, v[0:1], off offset:112
	s_wait_loadcnt 0x0
	scratch_store_b64 v42, v[40:41], off offset:-8
.LBB18_136:
	s_wait_xcnt 0x0
	v_mov_b32_e32 v0, 0
	global_load_b32 v1, v0, s[2:3] offset:52
	s_wait_loadcnt 0x0
	v_cmp_eq_u32_e32 vcc_lo, 14, v1
	s_cbranch_vccnz .LBB18_138
; %bb.137:
	v_lshlrev_b32_e32 v1, 3, v1
	scratch_load_b64 v[40:41], v1, off offset:-8
	scratch_load_b64 v[42:43], off, off offset:104
	s_wait_loadcnt 0x1
	scratch_store_b64 off, v[40:41], off offset:104
	s_wait_loadcnt 0x0
	scratch_store_b64 v1, v[42:43], off offset:-8
.LBB18_138:
	;; [unrolled: 31-line block ×8, first 2 shown]
	global_load_b32 v40, v0, s[2:3]
	scratch_load_b64 v[0:1], off, off
	s_wait_loadcnt 0x1
	v_cmp_eq_u32_e32 vcc_lo, 1, v40
	s_cbranch_vccnz .LBB18_164
; %bb.163:
	v_lshlrev_b32_e32 v40, 3, v40
	s_delay_alu instid0(VALU_DEP_1)
	v_mov_b32_e32 v42, v40
	scratch_load_b64 v[40:41], v42, off offset:-8
	s_wait_loadcnt 0x0
	scratch_store_b64 off, v[40:41], off
	scratch_store_b64 v42, v[0:1], off offset:-8
	scratch_load_b64 v[0:1], off, off
.LBB18_164:
	v_lshl_add_u64 v[40:41], v[4:5], 3, s[4:5]
	v_lshl_add_u64 v[42:43], v[6:7], 3, s[4:5]
	;; [unrolled: 1-line block ×4, first 2 shown]
	s_clause 0x8
	scratch_load_b128 v[36:39], off, off offset:8
	scratch_load_b128 v[44:47], off, off offset:24
	;; [unrolled: 1-line block ×9, first 2 shown]
	v_lshl_add_u64 v[10:11], v[10:11], 3, s[4:5]
	v_lshl_add_u64 v[12:13], v[12:13], 3, s[4:5]
	;; [unrolled: 1-line block ×13, first 2 shown]
	s_wait_loadcnt 0x9
	global_store_b64 v[2:3], v[0:1], off
	s_wait_loadcnt 0x8
	s_clause 0x1
	global_store_b64 v[8:9], v[36:37], off
	global_store_b64 v[40:41], v[38:39], off
	s_wait_loadcnt 0x7
	s_clause 0x1
	global_store_b64 v[42:43], v[44:45], off
	;; [unrolled: 4-line block ×9, first 2 shown]
	global_store_b64 v[6:7], v[74:75], off
	s_sendmsg sendmsg(MSG_DEALLOC_VGPRS)
	s_endpgm
	.section	.rodata,"a",@progbits
	.p2align	6, 0x0
	.amdhsa_kernel _ZN9rocsolver6v33100L18getri_kernel_smallILi19E19rocblas_complex_numIfEPS3_EEvT1_iilPiilS6_bb
		.amdhsa_group_segment_fixed_size 312
		.amdhsa_private_segment_fixed_size 160
		.amdhsa_kernarg_size 60
		.amdhsa_user_sgpr_count 2
		.amdhsa_user_sgpr_dispatch_ptr 0
		.amdhsa_user_sgpr_queue_ptr 0
		.amdhsa_user_sgpr_kernarg_segment_ptr 1
		.amdhsa_user_sgpr_dispatch_id 0
		.amdhsa_user_sgpr_kernarg_preload_length 0
		.amdhsa_user_sgpr_kernarg_preload_offset 0
		.amdhsa_user_sgpr_private_segment_size 0
		.amdhsa_wavefront_size32 1
		.amdhsa_uses_dynamic_stack 0
		.amdhsa_enable_private_segment 1
		.amdhsa_system_sgpr_workgroup_id_x 1
		.amdhsa_system_sgpr_workgroup_id_y 0
		.amdhsa_system_sgpr_workgroup_id_z 0
		.amdhsa_system_sgpr_workgroup_info 0
		.amdhsa_system_vgpr_workitem_id 0
		.amdhsa_next_free_vgpr 130
		.amdhsa_next_free_sgpr 19
		.amdhsa_named_barrier_count 0
		.amdhsa_reserve_vcc 1
		.amdhsa_float_round_mode_32 0
		.amdhsa_float_round_mode_16_64 0
		.amdhsa_float_denorm_mode_32 3
		.amdhsa_float_denorm_mode_16_64 3
		.amdhsa_fp16_overflow 0
		.amdhsa_memory_ordered 1
		.amdhsa_forward_progress 1
		.amdhsa_inst_pref_size 160
		.amdhsa_round_robin_scheduling 0
		.amdhsa_exception_fp_ieee_invalid_op 0
		.amdhsa_exception_fp_denorm_src 0
		.amdhsa_exception_fp_ieee_div_zero 0
		.amdhsa_exception_fp_ieee_overflow 0
		.amdhsa_exception_fp_ieee_underflow 0
		.amdhsa_exception_fp_ieee_inexact 0
		.amdhsa_exception_int_div_zero 0
	.end_amdhsa_kernel
	.section	.text._ZN9rocsolver6v33100L18getri_kernel_smallILi19E19rocblas_complex_numIfEPS3_EEvT1_iilPiilS6_bb,"axG",@progbits,_ZN9rocsolver6v33100L18getri_kernel_smallILi19E19rocblas_complex_numIfEPS3_EEvT1_iilPiilS6_bb,comdat
.Lfunc_end18:
	.size	_ZN9rocsolver6v33100L18getri_kernel_smallILi19E19rocblas_complex_numIfEPS3_EEvT1_iilPiilS6_bb, .Lfunc_end18-_ZN9rocsolver6v33100L18getri_kernel_smallILi19E19rocblas_complex_numIfEPS3_EEvT1_iilPiilS6_bb
                                        ; -- End function
	.set _ZN9rocsolver6v33100L18getri_kernel_smallILi19E19rocblas_complex_numIfEPS3_EEvT1_iilPiilS6_bb.num_vgpr, 130
	.set _ZN9rocsolver6v33100L18getri_kernel_smallILi19E19rocblas_complex_numIfEPS3_EEvT1_iilPiilS6_bb.num_agpr, 0
	.set _ZN9rocsolver6v33100L18getri_kernel_smallILi19E19rocblas_complex_numIfEPS3_EEvT1_iilPiilS6_bb.numbered_sgpr, 19
	.set _ZN9rocsolver6v33100L18getri_kernel_smallILi19E19rocblas_complex_numIfEPS3_EEvT1_iilPiilS6_bb.num_named_barrier, 0
	.set _ZN9rocsolver6v33100L18getri_kernel_smallILi19E19rocblas_complex_numIfEPS3_EEvT1_iilPiilS6_bb.private_seg_size, 160
	.set _ZN9rocsolver6v33100L18getri_kernel_smallILi19E19rocblas_complex_numIfEPS3_EEvT1_iilPiilS6_bb.uses_vcc, 1
	.set _ZN9rocsolver6v33100L18getri_kernel_smallILi19E19rocblas_complex_numIfEPS3_EEvT1_iilPiilS6_bb.uses_flat_scratch, 1
	.set _ZN9rocsolver6v33100L18getri_kernel_smallILi19E19rocblas_complex_numIfEPS3_EEvT1_iilPiilS6_bb.has_dyn_sized_stack, 0
	.set _ZN9rocsolver6v33100L18getri_kernel_smallILi19E19rocblas_complex_numIfEPS3_EEvT1_iilPiilS6_bb.has_recursion, 0
	.set _ZN9rocsolver6v33100L18getri_kernel_smallILi19E19rocblas_complex_numIfEPS3_EEvT1_iilPiilS6_bb.has_indirect_call, 0
	.section	.AMDGPU.csdata,"",@progbits
; Kernel info:
; codeLenInByte = 20412
; TotalNumSgprs: 21
; NumVgprs: 130
; ScratchSize: 160
; MemoryBound: 0
; FloatMode: 240
; IeeeMode: 1
; LDSByteSize: 312 bytes/workgroup (compile time only)
; SGPRBlocks: 0
; VGPRBlocks: 8
; NumSGPRsForWavesPerEU: 21
; NumVGPRsForWavesPerEU: 130
; NamedBarCnt: 0
; Occupancy: 7
; WaveLimiterHint : 1
; COMPUTE_PGM_RSRC2:SCRATCH_EN: 1
; COMPUTE_PGM_RSRC2:USER_SGPR: 2
; COMPUTE_PGM_RSRC2:TRAP_HANDLER: 0
; COMPUTE_PGM_RSRC2:TGID_X_EN: 1
; COMPUTE_PGM_RSRC2:TGID_Y_EN: 0
; COMPUTE_PGM_RSRC2:TGID_Z_EN: 0
; COMPUTE_PGM_RSRC2:TIDIG_COMP_CNT: 0
	.section	.text._ZN9rocsolver6v33100L18getri_kernel_smallILi20E19rocblas_complex_numIfEPS3_EEvT1_iilPiilS6_bb,"axG",@progbits,_ZN9rocsolver6v33100L18getri_kernel_smallILi20E19rocblas_complex_numIfEPS3_EEvT1_iilPiilS6_bb,comdat
	.globl	_ZN9rocsolver6v33100L18getri_kernel_smallILi20E19rocblas_complex_numIfEPS3_EEvT1_iilPiilS6_bb ; -- Begin function _ZN9rocsolver6v33100L18getri_kernel_smallILi20E19rocblas_complex_numIfEPS3_EEvT1_iilPiilS6_bb
	.p2align	8
	.type	_ZN9rocsolver6v33100L18getri_kernel_smallILi20E19rocblas_complex_numIfEPS3_EEvT1_iilPiilS6_bb,@function
_ZN9rocsolver6v33100L18getri_kernel_smallILi20E19rocblas_complex_numIfEPS3_EEvT1_iilPiilS6_bb: ; @_ZN9rocsolver6v33100L18getri_kernel_smallILi20E19rocblas_complex_numIfEPS3_EEvT1_iilPiilS6_bb
; %bb.0:
	s_mov_b32 s2, exec_lo
	v_cmpx_gt_u32_e32 20, v0
	s_cbranch_execz .LBB19_94
; %bb.1:
	s_clause 0x2
	s_load_b32 s2, s[0:1], 0x38
	s_load_b128 s[12:15], s[0:1], 0x10
	s_load_b128 s[4:7], s[0:1], 0x28
	s_getreg_b32 s9, hwreg(HW_REG_IB_STS2, 6, 4)
	s_wait_kmcnt 0x0
	s_bitcmp1_b32 s2, 8
	s_cselect_b32 s18, -1, 0
	s_bfe_u32 s3, ttmp6, 0x4000c
	s_and_b32 s8, ttmp6, 15
	s_add_co_i32 s3, s3, 1
	s_delay_alu instid0(SALU_CYCLE_1) | instskip(NEXT) | instid1(SALU_CYCLE_1)
	s_mul_i32 s3, ttmp9, s3
	s_add_co_i32 s8, s8, s3
	s_cmp_eq_u32 s9, 0
	s_cselect_b32 s16, ttmp9, s8
	s_bfe_u32 s2, s2, 0x10008
	s_ashr_i32 s17, s16, 31
	s_cmp_eq_u32 s2, 0
                                        ; implicit-def: $sgpr2_sgpr3
	s_cbranch_scc1 .LBB19_3
; %bb.2:
	s_load_b32 s2, s[0:1], 0x20
	s_mul_u64 s[4:5], s[4:5], s[16:17]
	s_delay_alu instid0(SALU_CYCLE_1) | instskip(NEXT) | instid1(SALU_CYCLE_1)
	s_lshl_b64 s[4:5], s[4:5], 2
	s_add_nc_u64 s[4:5], s[14:15], s[4:5]
	s_wait_kmcnt 0x0
	s_ashr_i32 s3, s2, 31
	s_delay_alu instid0(SALU_CYCLE_1) | instskip(NEXT) | instid1(SALU_CYCLE_1)
	s_lshl_b64 s[2:3], s[2:3], 2
	s_add_nc_u64 s[2:3], s[4:5], s[2:3]
.LBB19_3:
	s_clause 0x1
	s_load_b128 s[8:11], s[0:1], 0x0
	s_load_b32 s14, s[0:1], 0x38
	s_wait_xcnt 0x0
	s_mul_u64 s[0:1], s[12:13], s[16:17]
	v_mov_b32_e32 v43, 0
	s_lshl_b64 s[0:1], s[0:1], 3
	s_wait_kmcnt 0x0
	v_add3_u32 v4, s11, s11, v0
	s_ashr_i32 s5, s10, 31
	s_mov_b32 s4, s10
	s_add_nc_u64 s[0:1], s[8:9], s[0:1]
	s_lshl_b64 s[4:5], s[4:5], 3
	v_add_nc_u32_e32 v8, s11, v4
	s_add_nc_u64 s[4:5], s[0:1], s[4:5]
	s_ashr_i32 s1, s11, 31
	s_mov_b32 s0, s11
	s_bitcmp0_b32 s14, 0
	v_add_nc_u32_e32 v10, s11, v8
	s_delay_alu instid0(VALU_DEP_1) | instskip(NEXT) | instid1(VALU_DEP_1)
	v_add_nc_u32_e32 v12, s11, v10
	v_add_nc_u32_e32 v14, s11, v12
	s_delay_alu instid0(VALU_DEP_1) | instskip(NEXT) | instid1(VALU_DEP_1)
	v_add_nc_u32_e32 v16, s11, v14
	;; [unrolled: 3-line block ×4, first 2 shown]
	v_add_nc_u32_e32 v26, s11, v24
	s_delay_alu instid0(VALU_DEP_1) | instskip(NEXT) | instid1(VALU_DEP_1)
	v_dual_lshlrev_b32 v42, 3, v0 :: v_dual_add_nc_u32 v28, s11, v26
	v_add_nc_u64_e32 v[2:3], s[4:5], v[42:43]
	s_delay_alu instid0(VALU_DEP_2) | instskip(NEXT) | instid1(VALU_DEP_2)
	v_add_nc_u32_e32 v30, s11, v28
	v_lshl_add_u64 v[6:7], s[0:1], 3, v[2:3]
	s_mov_b32 s1, -1
	s_delay_alu instid0(VALU_DEP_2)
	v_add_nc_u32_e32 v32, s11, v30
	s_clause 0x9
	global_load_b64 v[44:45], v0, s[4:5] scale_offset
	global_load_b64 v[46:47], v[6:7], off
	global_load_b64 v[48:49], v4, s[4:5] scale_offset
	global_load_b64 v[50:51], v8, s[4:5] scale_offset
	;; [unrolled: 1-line block ×8, first 2 shown]
	v_add_nc_u32_e32 v34, s11, v32
	s_clause 0x3
	global_load_b64 v[64:65], v22, s[4:5] scale_offset
	global_load_b64 v[66:67], v24, s[4:5] scale_offset
	;; [unrolled: 1-line block ×4, first 2 shown]
	v_add_nc_u32_e32 v36, s11, v34
	s_delay_alu instid0(VALU_DEP_1) | instskip(NEXT) | instid1(VALU_DEP_1)
	v_add_nc_u32_e32 v38, s11, v36
	v_add_nc_u32_e32 v40, s11, v38
	s_clause 0x5
	global_load_b64 v[72:73], v30, s[4:5] scale_offset
	global_load_b64 v[74:75], v32, s[4:5] scale_offset
	;; [unrolled: 1-line block ×6, first 2 shown]
	s_wait_loadcnt 0x12
	scratch_store_b128 off, v[44:47], off
	s_wait_loadcnt 0x10
	scratch_store_b128 off, v[48:51], off offset:16
	s_wait_loadcnt 0xe
	scratch_store_b128 off, v[52:55], off offset:32
	;; [unrolled: 2-line block ×9, first 2 shown]
	s_cbranch_scc1 .LBB19_92
; %bb.4:
	v_cmp_eq_u32_e64 s0, 0, v0
	s_wait_xcnt 0x0
	s_and_saveexec_b32 s1, s0
; %bb.5:
	v_mov_b32_e32 v1, 0
	ds_store_b32 v1, v1 offset:320
; %bb.6:
	s_or_b32 exec_lo, exec_lo, s1
	s_wait_storecnt_dscnt 0x0
	s_barrier_signal -1
	s_barrier_wait -1
	scratch_load_b64 v[44:45], v0, off scale_offset
	s_wait_loadcnt 0x0
	v_cmp_eq_f32_e32 vcc_lo, 0, v44
	v_cmp_eq_f32_e64 s1, 0, v45
	s_and_b32 s1, vcc_lo, s1
	s_delay_alu instid0(SALU_CYCLE_1)
	s_and_saveexec_b32 s8, s1
	s_cbranch_execz .LBB19_10
; %bb.7:
	v_mov_b32_e32 v1, 0
	s_mov_b32 s9, 0
	ds_load_b32 v5, v1 offset:320
	s_wait_dscnt 0x0
	v_readfirstlane_b32 s1, v5
	v_add_nc_u32_e32 v5, 1, v0
	s_cmp_eq_u32 s1, 0
	s_delay_alu instid0(VALU_DEP_1) | instskip(SKIP_1) | instid1(SALU_CYCLE_1)
	v_cmp_gt_i32_e32 vcc_lo, s1, v5
	s_cselect_b32 s10, -1, 0
	s_or_b32 s10, s10, vcc_lo
	s_delay_alu instid0(SALU_CYCLE_1)
	s_and_b32 exec_lo, exec_lo, s10
	s_cbranch_execz .LBB19_10
; %bb.8:
	v_mov_b32_e32 v9, s1
.LBB19_9:                               ; =>This Inner Loop Header: Depth=1
	ds_cmpstore_rtn_b32 v9, v1, v5, v9 offset:320
	s_wait_dscnt 0x0
	v_cmp_ne_u32_e32 vcc_lo, 0, v9
	v_cmp_le_i32_e64 s1, v9, v5
	s_and_b32 s1, vcc_lo, s1
	s_delay_alu instid0(SALU_CYCLE_1) | instskip(NEXT) | instid1(SALU_CYCLE_1)
	s_and_b32 s1, exec_lo, s1
	s_or_b32 s9, s1, s9
	s_delay_alu instid0(SALU_CYCLE_1)
	s_and_not1_b32 exec_lo, exec_lo, s9
	s_cbranch_execnz .LBB19_9
.LBB19_10:
	s_or_b32 exec_lo, exec_lo, s8
	v_mov_b32_e32 v1, 0
	s_barrier_signal -1
	s_barrier_wait -1
	ds_load_b32 v5, v1 offset:320
	s_and_saveexec_b32 s1, s0
	s_cbranch_execz .LBB19_12
; %bb.11:
	s_lshl_b64 s[8:9], s[16:17], 2
	s_delay_alu instid0(SALU_CYCLE_1)
	s_add_nc_u64 s[8:9], s[6:7], s[8:9]
	s_wait_dscnt 0x0
	global_store_b32 v1, v5, s[8:9]
.LBB19_12:
	s_wait_xcnt 0x0
	s_or_b32 exec_lo, exec_lo, s1
	s_wait_dscnt 0x0
	v_cmp_ne_u32_e32 vcc_lo, 0, v5
	s_mov_b32 s1, 0
	s_cbranch_vccnz .LBB19_92
; %bb.13:
	v_lshl_add_u32 v5, v0, 3, 0
                                        ; implicit-def: $vgpr47
                                        ; implicit-def: $vgpr48
	scratch_load_b64 v[44:45], v5, off
	s_wait_loadcnt 0x0
	v_cmp_ngt_f32_e64 s1, |v44|, |v45|
	s_wait_xcnt 0x0
	s_and_saveexec_b32 s8, s1
	s_delay_alu instid0(SALU_CYCLE_1)
	s_xor_b32 s1, exec_lo, s8
	s_cbranch_execz .LBB19_15
; %bb.14:
	v_div_scale_f32 v1, null, v45, v45, v44
	v_div_scale_f32 v13, vcc_lo, v44, v45, v44
	s_delay_alu instid0(VALU_DEP_2) | instskip(SKIP_1) | instid1(TRANS32_DEP_1)
	v_rcp_f32_e32 v9, v1
	v_nop
	v_fma_f32 v11, -v1, v9, 1.0
	s_delay_alu instid0(VALU_DEP_1) | instskip(NEXT) | instid1(VALU_DEP_1)
	v_fmac_f32_e32 v9, v11, v9
	v_mul_f32_e32 v11, v13, v9
	s_delay_alu instid0(VALU_DEP_1) | instskip(NEXT) | instid1(VALU_DEP_1)
	v_fma_f32 v15, -v1, v11, v13
	v_fmac_f32_e32 v11, v15, v9
	s_delay_alu instid0(VALU_DEP_1) | instskip(NEXT) | instid1(VALU_DEP_1)
	v_fma_f32 v1, -v1, v11, v13
	v_div_fmas_f32 v1, v1, v9, v11
	s_delay_alu instid0(VALU_DEP_1) | instskip(NEXT) | instid1(VALU_DEP_1)
	v_div_fixup_f32 v1, v1, v45, v44
	v_fmac_f32_e32 v45, v44, v1
	s_delay_alu instid0(VALU_DEP_1) | instskip(NEXT) | instid1(VALU_DEP_1)
	v_div_scale_f32 v9, null, v45, v45, -1.0
	v_rcp_f32_e32 v11, v9
	v_nop
	s_delay_alu instid0(TRANS32_DEP_1) | instskip(NEXT) | instid1(VALU_DEP_1)
	v_fma_f32 v13, -v9, v11, 1.0
	v_fmac_f32_e32 v11, v13, v11
	v_div_scale_f32 v13, vcc_lo, -1.0, v45, -1.0
	s_delay_alu instid0(VALU_DEP_1) | instskip(NEXT) | instid1(VALU_DEP_1)
	v_mul_f32_e32 v15, v13, v11
	v_fma_f32 v17, -v9, v15, v13
	s_delay_alu instid0(VALU_DEP_1) | instskip(NEXT) | instid1(VALU_DEP_1)
	v_fmac_f32_e32 v15, v17, v11
	v_fma_f32 v9, -v9, v15, v13
	s_delay_alu instid0(VALU_DEP_1) | instskip(NEXT) | instid1(VALU_DEP_1)
	v_div_fmas_f32 v9, v9, v11, v15
	v_div_fixup_f32 v47, v9, v45, -1.0
                                        ; implicit-def: $vgpr44_vgpr45
	s_delay_alu instid0(VALU_DEP_1) | instskip(NEXT) | instid1(VALU_DEP_1)
	v_mul_f32_e32 v48, v1, v47
	v_xor_b32_e32 v46, 0x80000000, v48
.LBB19_15:
	s_and_not1_saveexec_b32 s1, s1
	s_cbranch_execz .LBB19_17
; %bb.16:
	v_div_scale_f32 v1, null, v44, v44, v45
	v_div_scale_f32 v13, vcc_lo, v45, v44, v45
	s_delay_alu instid0(VALU_DEP_2) | instskip(SKIP_1) | instid1(TRANS32_DEP_1)
	v_rcp_f32_e32 v9, v1
	v_nop
	v_fma_f32 v11, -v1, v9, 1.0
	s_delay_alu instid0(VALU_DEP_1) | instskip(NEXT) | instid1(VALU_DEP_1)
	v_fmac_f32_e32 v9, v11, v9
	v_mul_f32_e32 v11, v13, v9
	s_delay_alu instid0(VALU_DEP_1) | instskip(NEXT) | instid1(VALU_DEP_1)
	v_fma_f32 v15, -v1, v11, v13
	v_fmac_f32_e32 v11, v15, v9
	s_delay_alu instid0(VALU_DEP_1) | instskip(NEXT) | instid1(VALU_DEP_1)
	v_fma_f32 v1, -v1, v11, v13
	v_div_fmas_f32 v1, v1, v9, v11
	s_delay_alu instid0(VALU_DEP_1) | instskip(NEXT) | instid1(VALU_DEP_1)
	v_div_fixup_f32 v1, v1, v44, v45
	v_fmac_f32_e32 v44, v45, v1
	s_delay_alu instid0(VALU_DEP_1) | instskip(SKIP_1) | instid1(VALU_DEP_2)
	v_div_scale_f32 v9, null, v44, v44, 1.0
	v_div_scale_f32 v15, vcc_lo, 1.0, v44, 1.0
	v_rcp_f32_e32 v11, v9
	v_nop
	s_delay_alu instid0(TRANS32_DEP_1) | instskip(NEXT) | instid1(VALU_DEP_1)
	v_fma_f32 v13, -v9, v11, 1.0
	v_fmac_f32_e32 v11, v13, v11
	s_delay_alu instid0(VALU_DEP_1) | instskip(NEXT) | instid1(VALU_DEP_1)
	v_mul_f32_e32 v13, v15, v11
	v_fma_f32 v17, -v9, v13, v15
	s_delay_alu instid0(VALU_DEP_1) | instskip(NEXT) | instid1(VALU_DEP_1)
	v_fmac_f32_e32 v13, v17, v11
	v_fma_f32 v9, -v9, v13, v15
	s_delay_alu instid0(VALU_DEP_1) | instskip(NEXT) | instid1(VALU_DEP_1)
	v_div_fmas_f32 v9, v9, v11, v13
	v_div_fixup_f32 v46, v9, v44, 1.0
	s_delay_alu instid0(VALU_DEP_1)
	v_xor_b32_e32 v48, 0x80000000, v46
	v_mul_f32_e64 v47, v1, -v46
.LBB19_17:
	s_or_b32 exec_lo, exec_lo, s1
	scratch_store_b64 v5, v[46:47], off
	scratch_load_b64 v[44:45], off, off offset:8
	v_xor_b32_e32 v49, 0x80000000, v47
	v_add_nc_u32_e32 v1, 0xa0, v42
	s_wait_loadcnt 0x0
	ds_store_2addr_b64 v42, v[48:49], v[44:45] offset1:20
	s_wait_storecnt_dscnt 0x0
	s_barrier_signal -1
	s_barrier_wait -1
	s_wait_xcnt 0x0
	s_and_saveexec_b32 s1, s0
	s_cbranch_execz .LBB19_19
; %bb.18:
	scratch_load_b64 v[44:45], v5, off
	ds_load_b64 v[46:47], v1
	s_wait_loadcnt_dscnt 0x0
	v_pk_mul_f32 v[50:51], v[46:47], v[44:45] op_sel:[1,1] op_sel_hi:[0,1]
	s_delay_alu instid0(VALU_DEP_1) | instskip(SKIP_2) | instid1(VALU_DEP_3)
	v_pk_fma_f32 v[52:53], v[46:47], v[44:45], v[50:51] op_sel_hi:[1,0,1]
	v_mov_b32_e32 v9, 0
	v_pk_fma_f32 v[44:45], v[46:47], v[44:45], v[50:51] neg_lo:[0,0,1] neg_hi:[0,0,1]
	v_mov_b32_e32 v45, v53
	ds_load_b64 v[48:49], v9 offset:8
	v_pk_add_f32 v[44:45], v[44:45], 0 op_sel_hi:[1,0]
	s_wait_dscnt 0x0
	s_delay_alu instid0(VALU_DEP_1) | instskip(NEXT) | instid1(VALU_DEP_1)
	v_pk_mul_f32 v[46:47], v[44:45], v[48:49] op_sel:[1,1] op_sel_hi:[0,1]
	v_pk_fma_f32 v[50:51], v[44:45], v[48:49], v[46:47] op_sel_hi:[1,0,1]
	v_pk_fma_f32 v[44:45], v[44:45], v[48:49], v[46:47] neg_lo:[0,0,1] neg_hi:[0,0,1]
	s_delay_alu instid0(VALU_DEP_2)
	v_mov_b32_e32 v45, v51
	scratch_store_b64 off, v[44:45], off offset:8
.LBB19_19:
	s_wait_xcnt 0x0
	s_or_b32 exec_lo, exec_lo, s1
	s_wait_storecnt 0x0
	s_barrier_signal -1
	s_barrier_wait -1
	scratch_load_b64 v[44:45], off, off offset:16
	s_mov_b32 s1, exec_lo
	s_wait_loadcnt 0x0
	ds_store_b64 v1, v[44:45]
	s_wait_dscnt 0x0
	s_barrier_signal -1
	s_barrier_wait -1
	v_cmpx_gt_u32_e32 2, v0
	s_cbranch_execz .LBB19_23
; %bb.20:
	scratch_load_b64 v[44:45], v5, off
	ds_load_b64 v[46:47], v1
	s_wait_loadcnt_dscnt 0x0
	v_pk_mul_f32 v[48:49], v[46:47], v[44:45] op_sel:[1,1] op_sel_hi:[0,1]
	s_delay_alu instid0(VALU_DEP_1) | instskip(SKIP_1) | instid1(VALU_DEP_2)
	v_pk_fma_f32 v[50:51], v[46:47], v[44:45], v[48:49] op_sel_hi:[1,0,1]
	v_pk_fma_f32 v[44:45], v[46:47], v[44:45], v[48:49] neg_lo:[0,0,1] neg_hi:[0,0,1]
	v_mov_b32_e32 v45, v51
	s_delay_alu instid0(VALU_DEP_1)
	v_pk_add_f32 v[44:45], v[44:45], 0 op_sel_hi:[1,0]
	s_and_saveexec_b32 s8, s0
	s_cbranch_execz .LBB19_22
; %bb.21:
	scratch_load_b64 v[46:47], off, off offset:8
	v_mov_b32_e32 v5, 0
	ds_load_b64 v[48:49], v5 offset:168
	s_wait_loadcnt_dscnt 0x0
	v_pk_mul_f32 v[50:51], v[48:49], v[46:47] op_sel:[1,1] op_sel_hi:[0,1]
	s_delay_alu instid0(VALU_DEP_1) | instskip(SKIP_1) | instid1(VALU_DEP_2)
	v_pk_fma_f32 v[52:53], v[48:49], v[46:47], v[50:51] op_sel_hi:[1,0,1]
	v_pk_fma_f32 v[46:47], v[48:49], v[46:47], v[50:51] neg_lo:[0,0,1] neg_hi:[0,0,1]
	v_mov_b32_e32 v47, v53
	s_delay_alu instid0(VALU_DEP_1)
	v_pk_add_f32 v[44:45], v[44:45], v[46:47]
.LBB19_22:
	s_or_b32 exec_lo, exec_lo, s8
	v_mov_b32_e32 v5, 0
	ds_load_b64 v[46:47], v5 offset:16
	s_wait_dscnt 0x0
	v_pk_mul_f32 v[48:49], v[44:45], v[46:47] op_sel:[1,1] op_sel_hi:[0,1]
	s_delay_alu instid0(VALU_DEP_1) | instskip(SKIP_1) | instid1(VALU_DEP_2)
	v_pk_fma_f32 v[50:51], v[44:45], v[46:47], v[48:49] op_sel_hi:[1,0,1]
	v_pk_fma_f32 v[44:45], v[44:45], v[46:47], v[48:49] neg_lo:[0,0,1] neg_hi:[0,0,1]
	v_mov_b32_e32 v45, v51
	scratch_store_b64 off, v[44:45], off offset:16
.LBB19_23:
	s_wait_xcnt 0x0
	s_or_b32 exec_lo, exec_lo, s1
	s_wait_storecnt 0x0
	s_barrier_signal -1
	s_barrier_wait -1
	scratch_load_b64 v[44:45], off, off offset:24
	v_add_nc_u32_e32 v5, -1, v0
	s_mov_b32 s0, exec_lo
	s_wait_loadcnt 0x0
	ds_store_b64 v1, v[44:45]
	s_wait_dscnt 0x0
	s_barrier_signal -1
	s_barrier_wait -1
	v_cmpx_gt_u32_e32 3, v0
	s_cbranch_execz .LBB19_27
; %bb.24:
	v_dual_mov_b32 v44, 0 :: v_dual_add_nc_u32 v9, -1, v0
	v_add_nc_u32_e32 v11, 0xa0, v42
	v_mov_b32_e32 v13, v42
	s_mov_b32 s1, 0
	s_delay_alu instid0(VALU_DEP_3)
	v_mov_b32_e32 v45, v44
.LBB19_25:                              ; =>This Inner Loop Header: Depth=1
	scratch_load_b64 v[46:47], v13, off
	ds_load_b64 v[48:49], v11
	s_wait_xcnt 0x0
	v_dual_add_nc_u32 v11, 8, v11 :: v_dual_add_nc_u32 v13, 8, v13
	s_wait_loadcnt_dscnt 0x0
	v_pk_mul_f32 v[50:51], v[48:49], v[46:47] op_sel:[1,1] op_sel_hi:[0,1]
	s_delay_alu instid0(VALU_DEP_1) | instskip(SKIP_2) | instid1(VALU_DEP_3)
	v_pk_fma_f32 v[52:53], v[48:49], v[46:47], v[50:51] op_sel_hi:[1,0,1]
	v_add_nc_u32_e32 v9, 1, v9
	v_pk_fma_f32 v[46:47], v[48:49], v[46:47], v[50:51] neg_lo:[0,0,1] neg_hi:[0,0,1]
	v_mov_b32_e32 v47, v53
	s_delay_alu instid0(VALU_DEP_3) | instskip(NEXT) | instid1(VALU_DEP_2)
	v_cmp_lt_u32_e32 vcc_lo, 1, v9
	v_pk_add_f32 v[44:45], v[44:45], v[46:47]
	s_or_b32 s1, vcc_lo, s1
	s_delay_alu instid0(SALU_CYCLE_1)
	s_and_not1_b32 exec_lo, exec_lo, s1
	s_cbranch_execnz .LBB19_25
; %bb.26:
	s_or_b32 exec_lo, exec_lo, s1
	v_mov_b32_e32 v9, 0
	ds_load_b64 v[46:47], v9 offset:24
	s_wait_dscnt 0x0
	v_pk_mul_f32 v[48:49], v[44:45], v[46:47] op_sel:[1,1] op_sel_hi:[0,1]
	s_delay_alu instid0(VALU_DEP_1) | instskip(SKIP_1) | instid1(VALU_DEP_2)
	v_pk_fma_f32 v[50:51], v[44:45], v[46:47], v[48:49] op_sel_hi:[1,0,1]
	v_pk_fma_f32 v[44:45], v[44:45], v[46:47], v[48:49] neg_lo:[0,0,1] neg_hi:[0,0,1]
	v_mov_b32_e32 v45, v51
	scratch_store_b64 off, v[44:45], off offset:24
.LBB19_27:
	s_wait_xcnt 0x0
	s_or_b32 exec_lo, exec_lo, s0
	s_wait_storecnt 0x0
	s_barrier_signal -1
	s_barrier_wait -1
	scratch_load_b64 v[44:45], off, off offset:32
	s_mov_b32 s0, exec_lo
	s_wait_loadcnt 0x0
	ds_store_b64 v1, v[44:45]
	s_wait_dscnt 0x0
	s_barrier_signal -1
	s_barrier_wait -1
	v_cmpx_gt_u32_e32 4, v0
	s_cbranch_execz .LBB19_31
; %bb.28:
	v_dual_mov_b32 v44, 0 :: v_dual_add_nc_u32 v9, -1, v0
	v_add_nc_u32_e32 v11, 0xa0, v42
	v_mov_b32_e32 v13, v42
	s_mov_b32 s1, 0
	s_delay_alu instid0(VALU_DEP_3)
	v_mov_b32_e32 v45, v44
.LBB19_29:                              ; =>This Inner Loop Header: Depth=1
	scratch_load_b64 v[46:47], v13, off
	ds_load_b64 v[48:49], v11
	s_wait_xcnt 0x0
	v_dual_add_nc_u32 v11, 8, v11 :: v_dual_add_nc_u32 v13, 8, v13
	s_wait_loadcnt_dscnt 0x0
	v_pk_mul_f32 v[50:51], v[48:49], v[46:47] op_sel:[1,1] op_sel_hi:[0,1]
	s_delay_alu instid0(VALU_DEP_1) | instskip(SKIP_2) | instid1(VALU_DEP_3)
	v_pk_fma_f32 v[52:53], v[48:49], v[46:47], v[50:51] op_sel_hi:[1,0,1]
	v_add_nc_u32_e32 v9, 1, v9
	v_pk_fma_f32 v[46:47], v[48:49], v[46:47], v[50:51] neg_lo:[0,0,1] neg_hi:[0,0,1]
	v_mov_b32_e32 v47, v53
	s_delay_alu instid0(VALU_DEP_3) | instskip(NEXT) | instid1(VALU_DEP_2)
	v_cmp_lt_u32_e32 vcc_lo, 2, v9
	v_pk_add_f32 v[44:45], v[44:45], v[46:47]
	s_or_b32 s1, vcc_lo, s1
	s_delay_alu instid0(SALU_CYCLE_1)
	s_and_not1_b32 exec_lo, exec_lo, s1
	s_cbranch_execnz .LBB19_29
; %bb.30:
	s_or_b32 exec_lo, exec_lo, s1
	v_mov_b32_e32 v9, 0
	ds_load_b64 v[46:47], v9 offset:32
	s_wait_dscnt 0x0
	v_pk_mul_f32 v[48:49], v[44:45], v[46:47] op_sel:[1,1] op_sel_hi:[0,1]
	s_delay_alu instid0(VALU_DEP_1) | instskip(SKIP_1) | instid1(VALU_DEP_2)
	v_pk_fma_f32 v[50:51], v[44:45], v[46:47], v[48:49] op_sel_hi:[1,0,1]
	v_pk_fma_f32 v[44:45], v[44:45], v[46:47], v[48:49] neg_lo:[0,0,1] neg_hi:[0,0,1]
	v_mov_b32_e32 v45, v51
	scratch_store_b64 off, v[44:45], off offset:32
.LBB19_31:
	s_wait_xcnt 0x0
	s_or_b32 exec_lo, exec_lo, s0
	s_wait_storecnt 0x0
	s_barrier_signal -1
	s_barrier_wait -1
	scratch_load_b64 v[44:45], off, off offset:40
	s_mov_b32 s0, exec_lo
	s_wait_loadcnt 0x0
	ds_store_b64 v1, v[44:45]
	s_wait_dscnt 0x0
	s_barrier_signal -1
	s_barrier_wait -1
	v_cmpx_gt_u32_e32 5, v0
	s_cbranch_execz .LBB19_35
; %bb.32:
	v_dual_mov_b32 v44, 0 :: v_dual_add_nc_u32 v9, -1, v0
	v_add_nc_u32_e32 v11, 0xa0, v42
	v_mov_b32_e32 v13, v42
	s_mov_b32 s1, 0
	s_delay_alu instid0(VALU_DEP_3)
	v_mov_b32_e32 v45, v44
.LBB19_33:                              ; =>This Inner Loop Header: Depth=1
	scratch_load_b64 v[46:47], v13, off
	ds_load_b64 v[48:49], v11
	s_wait_xcnt 0x0
	v_dual_add_nc_u32 v11, 8, v11 :: v_dual_add_nc_u32 v13, 8, v13
	s_wait_loadcnt_dscnt 0x0
	v_pk_mul_f32 v[50:51], v[48:49], v[46:47] op_sel:[1,1] op_sel_hi:[0,1]
	s_delay_alu instid0(VALU_DEP_1) | instskip(SKIP_2) | instid1(VALU_DEP_3)
	v_pk_fma_f32 v[52:53], v[48:49], v[46:47], v[50:51] op_sel_hi:[1,0,1]
	v_add_nc_u32_e32 v9, 1, v9
	v_pk_fma_f32 v[46:47], v[48:49], v[46:47], v[50:51] neg_lo:[0,0,1] neg_hi:[0,0,1]
	v_mov_b32_e32 v47, v53
	s_delay_alu instid0(VALU_DEP_3) | instskip(NEXT) | instid1(VALU_DEP_2)
	v_cmp_lt_u32_e32 vcc_lo, 3, v9
	v_pk_add_f32 v[44:45], v[44:45], v[46:47]
	s_or_b32 s1, vcc_lo, s1
	s_delay_alu instid0(SALU_CYCLE_1)
	s_and_not1_b32 exec_lo, exec_lo, s1
	s_cbranch_execnz .LBB19_33
; %bb.34:
	s_or_b32 exec_lo, exec_lo, s1
	v_mov_b32_e32 v9, 0
	ds_load_b64 v[46:47], v9 offset:40
	s_wait_dscnt 0x0
	v_pk_mul_f32 v[48:49], v[44:45], v[46:47] op_sel:[1,1] op_sel_hi:[0,1]
	s_delay_alu instid0(VALU_DEP_1) | instskip(SKIP_1) | instid1(VALU_DEP_2)
	v_pk_fma_f32 v[50:51], v[44:45], v[46:47], v[48:49] op_sel_hi:[1,0,1]
	v_pk_fma_f32 v[44:45], v[44:45], v[46:47], v[48:49] neg_lo:[0,0,1] neg_hi:[0,0,1]
	v_mov_b32_e32 v45, v51
	scratch_store_b64 off, v[44:45], off offset:40
.LBB19_35:
	s_wait_xcnt 0x0
	s_or_b32 exec_lo, exec_lo, s0
	s_wait_storecnt 0x0
	s_barrier_signal -1
	s_barrier_wait -1
	scratch_load_b64 v[44:45], off, off offset:48
	s_mov_b32 s0, exec_lo
	s_wait_loadcnt 0x0
	ds_store_b64 v1, v[44:45]
	s_wait_dscnt 0x0
	s_barrier_signal -1
	s_barrier_wait -1
	v_cmpx_gt_u32_e32 6, v0
	s_cbranch_execz .LBB19_39
; %bb.36:
	v_dual_mov_b32 v44, 0 :: v_dual_add_nc_u32 v9, -1, v0
	v_add_nc_u32_e32 v11, 0xa0, v42
	v_mov_b32_e32 v13, v42
	s_mov_b32 s1, 0
	s_delay_alu instid0(VALU_DEP_3)
	v_mov_b32_e32 v45, v44
.LBB19_37:                              ; =>This Inner Loop Header: Depth=1
	scratch_load_b64 v[46:47], v13, off
	ds_load_b64 v[48:49], v11
	s_wait_xcnt 0x0
	v_dual_add_nc_u32 v11, 8, v11 :: v_dual_add_nc_u32 v13, 8, v13
	s_wait_loadcnt_dscnt 0x0
	v_pk_mul_f32 v[50:51], v[48:49], v[46:47] op_sel:[1,1] op_sel_hi:[0,1]
	s_delay_alu instid0(VALU_DEP_1) | instskip(SKIP_2) | instid1(VALU_DEP_3)
	v_pk_fma_f32 v[52:53], v[48:49], v[46:47], v[50:51] op_sel_hi:[1,0,1]
	v_add_nc_u32_e32 v9, 1, v9
	v_pk_fma_f32 v[46:47], v[48:49], v[46:47], v[50:51] neg_lo:[0,0,1] neg_hi:[0,0,1]
	v_mov_b32_e32 v47, v53
	s_delay_alu instid0(VALU_DEP_3) | instskip(NEXT) | instid1(VALU_DEP_2)
	v_cmp_lt_u32_e32 vcc_lo, 4, v9
	v_pk_add_f32 v[44:45], v[44:45], v[46:47]
	s_or_b32 s1, vcc_lo, s1
	s_delay_alu instid0(SALU_CYCLE_1)
	s_and_not1_b32 exec_lo, exec_lo, s1
	s_cbranch_execnz .LBB19_37
; %bb.38:
	s_or_b32 exec_lo, exec_lo, s1
	v_mov_b32_e32 v9, 0
	ds_load_b64 v[46:47], v9 offset:48
	s_wait_dscnt 0x0
	v_pk_mul_f32 v[48:49], v[44:45], v[46:47] op_sel:[1,1] op_sel_hi:[0,1]
	s_delay_alu instid0(VALU_DEP_1) | instskip(SKIP_1) | instid1(VALU_DEP_2)
	v_pk_fma_f32 v[50:51], v[44:45], v[46:47], v[48:49] op_sel_hi:[1,0,1]
	v_pk_fma_f32 v[44:45], v[44:45], v[46:47], v[48:49] neg_lo:[0,0,1] neg_hi:[0,0,1]
	v_mov_b32_e32 v45, v51
	scratch_store_b64 off, v[44:45], off offset:48
.LBB19_39:
	s_wait_xcnt 0x0
	s_or_b32 exec_lo, exec_lo, s0
	s_wait_storecnt 0x0
	s_barrier_signal -1
	s_barrier_wait -1
	scratch_load_b64 v[44:45], off, off offset:56
	s_mov_b32 s0, exec_lo
	s_wait_loadcnt 0x0
	ds_store_b64 v1, v[44:45]
	s_wait_dscnt 0x0
	s_barrier_signal -1
	s_barrier_wait -1
	v_cmpx_gt_u32_e32 7, v0
	s_cbranch_execz .LBB19_43
; %bb.40:
	v_dual_mov_b32 v44, 0 :: v_dual_add_nc_u32 v9, -1, v0
	v_add_nc_u32_e32 v11, 0xa0, v42
	v_mov_b32_e32 v13, v42
	s_mov_b32 s1, 0
	s_delay_alu instid0(VALU_DEP_3)
	v_mov_b32_e32 v45, v44
.LBB19_41:                              ; =>This Inner Loop Header: Depth=1
	scratch_load_b64 v[46:47], v13, off
	ds_load_b64 v[48:49], v11
	s_wait_xcnt 0x0
	v_dual_add_nc_u32 v11, 8, v11 :: v_dual_add_nc_u32 v13, 8, v13
	s_wait_loadcnt_dscnt 0x0
	v_pk_mul_f32 v[50:51], v[48:49], v[46:47] op_sel:[1,1] op_sel_hi:[0,1]
	s_delay_alu instid0(VALU_DEP_1) | instskip(SKIP_2) | instid1(VALU_DEP_3)
	v_pk_fma_f32 v[52:53], v[48:49], v[46:47], v[50:51] op_sel_hi:[1,0,1]
	v_add_nc_u32_e32 v9, 1, v9
	v_pk_fma_f32 v[46:47], v[48:49], v[46:47], v[50:51] neg_lo:[0,0,1] neg_hi:[0,0,1]
	v_mov_b32_e32 v47, v53
	s_delay_alu instid0(VALU_DEP_3) | instskip(NEXT) | instid1(VALU_DEP_2)
	v_cmp_lt_u32_e32 vcc_lo, 5, v9
	v_pk_add_f32 v[44:45], v[44:45], v[46:47]
	s_or_b32 s1, vcc_lo, s1
	s_delay_alu instid0(SALU_CYCLE_1)
	s_and_not1_b32 exec_lo, exec_lo, s1
	s_cbranch_execnz .LBB19_41
; %bb.42:
	s_or_b32 exec_lo, exec_lo, s1
	v_mov_b32_e32 v9, 0
	ds_load_b64 v[46:47], v9 offset:56
	s_wait_dscnt 0x0
	v_pk_mul_f32 v[48:49], v[44:45], v[46:47] op_sel:[1,1] op_sel_hi:[0,1]
	s_delay_alu instid0(VALU_DEP_1) | instskip(SKIP_1) | instid1(VALU_DEP_2)
	v_pk_fma_f32 v[50:51], v[44:45], v[46:47], v[48:49] op_sel_hi:[1,0,1]
	v_pk_fma_f32 v[44:45], v[44:45], v[46:47], v[48:49] neg_lo:[0,0,1] neg_hi:[0,0,1]
	v_mov_b32_e32 v45, v51
	scratch_store_b64 off, v[44:45], off offset:56
.LBB19_43:
	s_wait_xcnt 0x0
	s_or_b32 exec_lo, exec_lo, s0
	s_wait_storecnt 0x0
	s_barrier_signal -1
	s_barrier_wait -1
	scratch_load_b64 v[44:45], off, off offset:64
	s_mov_b32 s0, exec_lo
	s_wait_loadcnt 0x0
	ds_store_b64 v1, v[44:45]
	s_wait_dscnt 0x0
	s_barrier_signal -1
	s_barrier_wait -1
	v_cmpx_gt_u32_e32 8, v0
	s_cbranch_execz .LBB19_47
; %bb.44:
	v_dual_mov_b32 v44, 0 :: v_dual_add_nc_u32 v9, -1, v0
	v_add_nc_u32_e32 v11, 0xa0, v42
	v_mov_b32_e32 v13, v42
	s_mov_b32 s1, 0
	s_delay_alu instid0(VALU_DEP_3)
	v_mov_b32_e32 v45, v44
.LBB19_45:                              ; =>This Inner Loop Header: Depth=1
	scratch_load_b64 v[46:47], v13, off
	ds_load_b64 v[48:49], v11
	s_wait_xcnt 0x0
	v_dual_add_nc_u32 v11, 8, v11 :: v_dual_add_nc_u32 v13, 8, v13
	s_wait_loadcnt_dscnt 0x0
	v_pk_mul_f32 v[50:51], v[48:49], v[46:47] op_sel:[1,1] op_sel_hi:[0,1]
	s_delay_alu instid0(VALU_DEP_1) | instskip(SKIP_2) | instid1(VALU_DEP_3)
	v_pk_fma_f32 v[52:53], v[48:49], v[46:47], v[50:51] op_sel_hi:[1,0,1]
	v_add_nc_u32_e32 v9, 1, v9
	v_pk_fma_f32 v[46:47], v[48:49], v[46:47], v[50:51] neg_lo:[0,0,1] neg_hi:[0,0,1]
	v_mov_b32_e32 v47, v53
	s_delay_alu instid0(VALU_DEP_3) | instskip(NEXT) | instid1(VALU_DEP_2)
	v_cmp_lt_u32_e32 vcc_lo, 6, v9
	v_pk_add_f32 v[44:45], v[44:45], v[46:47]
	s_or_b32 s1, vcc_lo, s1
	s_delay_alu instid0(SALU_CYCLE_1)
	s_and_not1_b32 exec_lo, exec_lo, s1
	s_cbranch_execnz .LBB19_45
; %bb.46:
	s_or_b32 exec_lo, exec_lo, s1
	v_mov_b32_e32 v9, 0
	ds_load_b64 v[46:47], v9 offset:64
	s_wait_dscnt 0x0
	v_pk_mul_f32 v[48:49], v[44:45], v[46:47] op_sel:[1,1] op_sel_hi:[0,1]
	s_delay_alu instid0(VALU_DEP_1) | instskip(SKIP_1) | instid1(VALU_DEP_2)
	v_pk_fma_f32 v[50:51], v[44:45], v[46:47], v[48:49] op_sel_hi:[1,0,1]
	v_pk_fma_f32 v[44:45], v[44:45], v[46:47], v[48:49] neg_lo:[0,0,1] neg_hi:[0,0,1]
	v_mov_b32_e32 v45, v51
	scratch_store_b64 off, v[44:45], off offset:64
.LBB19_47:
	s_wait_xcnt 0x0
	s_or_b32 exec_lo, exec_lo, s0
	s_wait_storecnt 0x0
	s_barrier_signal -1
	s_barrier_wait -1
	scratch_load_b64 v[44:45], off, off offset:72
	s_mov_b32 s0, exec_lo
	s_wait_loadcnt 0x0
	ds_store_b64 v1, v[44:45]
	s_wait_dscnt 0x0
	s_barrier_signal -1
	s_barrier_wait -1
	v_cmpx_gt_u32_e32 9, v0
	s_cbranch_execz .LBB19_51
; %bb.48:
	v_dual_mov_b32 v44, 0 :: v_dual_add_nc_u32 v9, -1, v0
	v_add_nc_u32_e32 v11, 0xa0, v42
	v_mov_b32_e32 v13, v42
	s_mov_b32 s1, 0
	s_delay_alu instid0(VALU_DEP_3)
	v_mov_b32_e32 v45, v44
.LBB19_49:                              ; =>This Inner Loop Header: Depth=1
	scratch_load_b64 v[46:47], v13, off
	ds_load_b64 v[48:49], v11
	s_wait_xcnt 0x0
	v_dual_add_nc_u32 v11, 8, v11 :: v_dual_add_nc_u32 v13, 8, v13
	s_wait_loadcnt_dscnt 0x0
	v_pk_mul_f32 v[50:51], v[48:49], v[46:47] op_sel:[1,1] op_sel_hi:[0,1]
	s_delay_alu instid0(VALU_DEP_1) | instskip(SKIP_2) | instid1(VALU_DEP_3)
	v_pk_fma_f32 v[52:53], v[48:49], v[46:47], v[50:51] op_sel_hi:[1,0,1]
	v_add_nc_u32_e32 v9, 1, v9
	v_pk_fma_f32 v[46:47], v[48:49], v[46:47], v[50:51] neg_lo:[0,0,1] neg_hi:[0,0,1]
	v_mov_b32_e32 v47, v53
	s_delay_alu instid0(VALU_DEP_3) | instskip(NEXT) | instid1(VALU_DEP_2)
	v_cmp_lt_u32_e32 vcc_lo, 7, v9
	v_pk_add_f32 v[44:45], v[44:45], v[46:47]
	s_or_b32 s1, vcc_lo, s1
	s_delay_alu instid0(SALU_CYCLE_1)
	s_and_not1_b32 exec_lo, exec_lo, s1
	s_cbranch_execnz .LBB19_49
; %bb.50:
	s_or_b32 exec_lo, exec_lo, s1
	v_mov_b32_e32 v9, 0
	ds_load_b64 v[46:47], v9 offset:72
	s_wait_dscnt 0x0
	v_pk_mul_f32 v[48:49], v[44:45], v[46:47] op_sel:[1,1] op_sel_hi:[0,1]
	s_delay_alu instid0(VALU_DEP_1) | instskip(SKIP_1) | instid1(VALU_DEP_2)
	v_pk_fma_f32 v[50:51], v[44:45], v[46:47], v[48:49] op_sel_hi:[1,0,1]
	v_pk_fma_f32 v[44:45], v[44:45], v[46:47], v[48:49] neg_lo:[0,0,1] neg_hi:[0,0,1]
	v_mov_b32_e32 v45, v51
	scratch_store_b64 off, v[44:45], off offset:72
.LBB19_51:
	s_wait_xcnt 0x0
	s_or_b32 exec_lo, exec_lo, s0
	s_wait_storecnt 0x0
	s_barrier_signal -1
	s_barrier_wait -1
	scratch_load_b64 v[44:45], off, off offset:80
	s_mov_b32 s0, exec_lo
	s_wait_loadcnt 0x0
	ds_store_b64 v1, v[44:45]
	s_wait_dscnt 0x0
	s_barrier_signal -1
	s_barrier_wait -1
	v_cmpx_gt_u32_e32 10, v0
	s_cbranch_execz .LBB19_55
; %bb.52:
	v_dual_mov_b32 v44, 0 :: v_dual_add_nc_u32 v9, -1, v0
	v_add_nc_u32_e32 v11, 0xa0, v42
	v_mov_b32_e32 v13, v42
	s_mov_b32 s1, 0
	s_delay_alu instid0(VALU_DEP_3)
	v_mov_b32_e32 v45, v44
.LBB19_53:                              ; =>This Inner Loop Header: Depth=1
	scratch_load_b64 v[46:47], v13, off
	ds_load_b64 v[48:49], v11
	s_wait_xcnt 0x0
	v_dual_add_nc_u32 v11, 8, v11 :: v_dual_add_nc_u32 v13, 8, v13
	s_wait_loadcnt_dscnt 0x0
	v_pk_mul_f32 v[50:51], v[48:49], v[46:47] op_sel:[1,1] op_sel_hi:[0,1]
	s_delay_alu instid0(VALU_DEP_1) | instskip(SKIP_2) | instid1(VALU_DEP_3)
	v_pk_fma_f32 v[52:53], v[48:49], v[46:47], v[50:51] op_sel_hi:[1,0,1]
	v_add_nc_u32_e32 v9, 1, v9
	v_pk_fma_f32 v[46:47], v[48:49], v[46:47], v[50:51] neg_lo:[0,0,1] neg_hi:[0,0,1]
	v_mov_b32_e32 v47, v53
	s_delay_alu instid0(VALU_DEP_3) | instskip(NEXT) | instid1(VALU_DEP_2)
	v_cmp_lt_u32_e32 vcc_lo, 8, v9
	v_pk_add_f32 v[44:45], v[44:45], v[46:47]
	s_or_b32 s1, vcc_lo, s1
	s_delay_alu instid0(SALU_CYCLE_1)
	s_and_not1_b32 exec_lo, exec_lo, s1
	s_cbranch_execnz .LBB19_53
; %bb.54:
	s_or_b32 exec_lo, exec_lo, s1
	v_mov_b32_e32 v9, 0
	ds_load_b64 v[46:47], v9 offset:80
	s_wait_dscnt 0x0
	v_pk_mul_f32 v[48:49], v[44:45], v[46:47] op_sel:[1,1] op_sel_hi:[0,1]
	s_delay_alu instid0(VALU_DEP_1) | instskip(SKIP_1) | instid1(VALU_DEP_2)
	v_pk_fma_f32 v[50:51], v[44:45], v[46:47], v[48:49] op_sel_hi:[1,0,1]
	v_pk_fma_f32 v[44:45], v[44:45], v[46:47], v[48:49] neg_lo:[0,0,1] neg_hi:[0,0,1]
	v_mov_b32_e32 v45, v51
	scratch_store_b64 off, v[44:45], off offset:80
.LBB19_55:
	s_wait_xcnt 0x0
	s_or_b32 exec_lo, exec_lo, s0
	s_wait_storecnt 0x0
	s_barrier_signal -1
	s_barrier_wait -1
	scratch_load_b64 v[44:45], off, off offset:88
	s_mov_b32 s0, exec_lo
	s_wait_loadcnt 0x0
	ds_store_b64 v1, v[44:45]
	s_wait_dscnt 0x0
	s_barrier_signal -1
	s_barrier_wait -1
	v_cmpx_gt_u32_e32 11, v0
	s_cbranch_execz .LBB19_59
; %bb.56:
	v_dual_mov_b32 v44, 0 :: v_dual_add_nc_u32 v9, -1, v0
	v_add_nc_u32_e32 v11, 0xa0, v42
	v_mov_b32_e32 v13, v42
	s_mov_b32 s1, 0
	s_delay_alu instid0(VALU_DEP_3)
	v_mov_b32_e32 v45, v44
.LBB19_57:                              ; =>This Inner Loop Header: Depth=1
	scratch_load_b64 v[46:47], v13, off
	ds_load_b64 v[48:49], v11
	s_wait_xcnt 0x0
	v_dual_add_nc_u32 v11, 8, v11 :: v_dual_add_nc_u32 v13, 8, v13
	s_wait_loadcnt_dscnt 0x0
	v_pk_mul_f32 v[50:51], v[48:49], v[46:47] op_sel:[1,1] op_sel_hi:[0,1]
	s_delay_alu instid0(VALU_DEP_1) | instskip(SKIP_2) | instid1(VALU_DEP_3)
	v_pk_fma_f32 v[52:53], v[48:49], v[46:47], v[50:51] op_sel_hi:[1,0,1]
	v_add_nc_u32_e32 v9, 1, v9
	v_pk_fma_f32 v[46:47], v[48:49], v[46:47], v[50:51] neg_lo:[0,0,1] neg_hi:[0,0,1]
	v_mov_b32_e32 v47, v53
	s_delay_alu instid0(VALU_DEP_3) | instskip(NEXT) | instid1(VALU_DEP_2)
	v_cmp_lt_u32_e32 vcc_lo, 9, v9
	v_pk_add_f32 v[44:45], v[44:45], v[46:47]
	s_or_b32 s1, vcc_lo, s1
	s_delay_alu instid0(SALU_CYCLE_1)
	s_and_not1_b32 exec_lo, exec_lo, s1
	s_cbranch_execnz .LBB19_57
; %bb.58:
	s_or_b32 exec_lo, exec_lo, s1
	v_mov_b32_e32 v9, 0
	ds_load_b64 v[46:47], v9 offset:88
	s_wait_dscnt 0x0
	v_pk_mul_f32 v[48:49], v[44:45], v[46:47] op_sel:[1,1] op_sel_hi:[0,1]
	s_delay_alu instid0(VALU_DEP_1) | instskip(SKIP_1) | instid1(VALU_DEP_2)
	v_pk_fma_f32 v[50:51], v[44:45], v[46:47], v[48:49] op_sel_hi:[1,0,1]
	v_pk_fma_f32 v[44:45], v[44:45], v[46:47], v[48:49] neg_lo:[0,0,1] neg_hi:[0,0,1]
	v_mov_b32_e32 v45, v51
	scratch_store_b64 off, v[44:45], off offset:88
.LBB19_59:
	s_wait_xcnt 0x0
	s_or_b32 exec_lo, exec_lo, s0
	s_wait_storecnt 0x0
	s_barrier_signal -1
	s_barrier_wait -1
	scratch_load_b64 v[44:45], off, off offset:96
	s_mov_b32 s0, exec_lo
	s_wait_loadcnt 0x0
	ds_store_b64 v1, v[44:45]
	s_wait_dscnt 0x0
	s_barrier_signal -1
	s_barrier_wait -1
	v_cmpx_gt_u32_e32 12, v0
	s_cbranch_execz .LBB19_63
; %bb.60:
	v_dual_mov_b32 v44, 0 :: v_dual_add_nc_u32 v9, -1, v0
	v_add_nc_u32_e32 v11, 0xa0, v42
	v_mov_b32_e32 v13, v42
	s_mov_b32 s1, 0
	s_delay_alu instid0(VALU_DEP_3)
	v_mov_b32_e32 v45, v44
.LBB19_61:                              ; =>This Inner Loop Header: Depth=1
	scratch_load_b64 v[46:47], v13, off
	ds_load_b64 v[48:49], v11
	s_wait_xcnt 0x0
	v_dual_add_nc_u32 v11, 8, v11 :: v_dual_add_nc_u32 v13, 8, v13
	s_wait_loadcnt_dscnt 0x0
	v_pk_mul_f32 v[50:51], v[48:49], v[46:47] op_sel:[1,1] op_sel_hi:[0,1]
	s_delay_alu instid0(VALU_DEP_1) | instskip(SKIP_2) | instid1(VALU_DEP_3)
	v_pk_fma_f32 v[52:53], v[48:49], v[46:47], v[50:51] op_sel_hi:[1,0,1]
	v_add_nc_u32_e32 v9, 1, v9
	v_pk_fma_f32 v[46:47], v[48:49], v[46:47], v[50:51] neg_lo:[0,0,1] neg_hi:[0,0,1]
	v_mov_b32_e32 v47, v53
	s_delay_alu instid0(VALU_DEP_3) | instskip(NEXT) | instid1(VALU_DEP_2)
	v_cmp_lt_u32_e32 vcc_lo, 10, v9
	v_pk_add_f32 v[44:45], v[44:45], v[46:47]
	s_or_b32 s1, vcc_lo, s1
	s_delay_alu instid0(SALU_CYCLE_1)
	s_and_not1_b32 exec_lo, exec_lo, s1
	s_cbranch_execnz .LBB19_61
; %bb.62:
	s_or_b32 exec_lo, exec_lo, s1
	v_mov_b32_e32 v9, 0
	ds_load_b64 v[46:47], v9 offset:96
	s_wait_dscnt 0x0
	v_pk_mul_f32 v[48:49], v[44:45], v[46:47] op_sel:[1,1] op_sel_hi:[0,1]
	s_delay_alu instid0(VALU_DEP_1) | instskip(SKIP_1) | instid1(VALU_DEP_2)
	v_pk_fma_f32 v[50:51], v[44:45], v[46:47], v[48:49] op_sel_hi:[1,0,1]
	v_pk_fma_f32 v[44:45], v[44:45], v[46:47], v[48:49] neg_lo:[0,0,1] neg_hi:[0,0,1]
	v_mov_b32_e32 v45, v51
	scratch_store_b64 off, v[44:45], off offset:96
.LBB19_63:
	s_wait_xcnt 0x0
	s_or_b32 exec_lo, exec_lo, s0
	s_wait_storecnt 0x0
	s_barrier_signal -1
	s_barrier_wait -1
	scratch_load_b64 v[44:45], off, off offset:104
	s_mov_b32 s0, exec_lo
	s_wait_loadcnt 0x0
	ds_store_b64 v1, v[44:45]
	s_wait_dscnt 0x0
	s_barrier_signal -1
	s_barrier_wait -1
	v_cmpx_gt_u32_e32 13, v0
	s_cbranch_execz .LBB19_67
; %bb.64:
	v_dual_mov_b32 v44, 0 :: v_dual_add_nc_u32 v9, -1, v0
	v_add_nc_u32_e32 v11, 0xa0, v42
	v_mov_b32_e32 v13, v42
	s_mov_b32 s1, 0
	s_delay_alu instid0(VALU_DEP_3)
	v_mov_b32_e32 v45, v44
.LBB19_65:                              ; =>This Inner Loop Header: Depth=1
	scratch_load_b64 v[46:47], v13, off
	ds_load_b64 v[48:49], v11
	s_wait_xcnt 0x0
	v_dual_add_nc_u32 v11, 8, v11 :: v_dual_add_nc_u32 v13, 8, v13
	s_wait_loadcnt_dscnt 0x0
	v_pk_mul_f32 v[50:51], v[48:49], v[46:47] op_sel:[1,1] op_sel_hi:[0,1]
	s_delay_alu instid0(VALU_DEP_1) | instskip(SKIP_2) | instid1(VALU_DEP_3)
	v_pk_fma_f32 v[52:53], v[48:49], v[46:47], v[50:51] op_sel_hi:[1,0,1]
	v_add_nc_u32_e32 v9, 1, v9
	v_pk_fma_f32 v[46:47], v[48:49], v[46:47], v[50:51] neg_lo:[0,0,1] neg_hi:[0,0,1]
	v_mov_b32_e32 v47, v53
	s_delay_alu instid0(VALU_DEP_3) | instskip(NEXT) | instid1(VALU_DEP_2)
	v_cmp_lt_u32_e32 vcc_lo, 11, v9
	v_pk_add_f32 v[44:45], v[44:45], v[46:47]
	s_or_b32 s1, vcc_lo, s1
	s_delay_alu instid0(SALU_CYCLE_1)
	s_and_not1_b32 exec_lo, exec_lo, s1
	s_cbranch_execnz .LBB19_65
; %bb.66:
	s_or_b32 exec_lo, exec_lo, s1
	v_mov_b32_e32 v9, 0
	ds_load_b64 v[46:47], v9 offset:104
	s_wait_dscnt 0x0
	v_pk_mul_f32 v[48:49], v[44:45], v[46:47] op_sel:[1,1] op_sel_hi:[0,1]
	s_delay_alu instid0(VALU_DEP_1) | instskip(SKIP_1) | instid1(VALU_DEP_2)
	v_pk_fma_f32 v[50:51], v[44:45], v[46:47], v[48:49] op_sel_hi:[1,0,1]
	v_pk_fma_f32 v[44:45], v[44:45], v[46:47], v[48:49] neg_lo:[0,0,1] neg_hi:[0,0,1]
	v_mov_b32_e32 v45, v51
	scratch_store_b64 off, v[44:45], off offset:104
.LBB19_67:
	s_wait_xcnt 0x0
	s_or_b32 exec_lo, exec_lo, s0
	s_wait_storecnt 0x0
	s_barrier_signal -1
	s_barrier_wait -1
	scratch_load_b64 v[44:45], off, off offset:112
	s_mov_b32 s0, exec_lo
	s_wait_loadcnt 0x0
	ds_store_b64 v1, v[44:45]
	s_wait_dscnt 0x0
	s_barrier_signal -1
	s_barrier_wait -1
	v_cmpx_gt_u32_e32 14, v0
	s_cbranch_execz .LBB19_71
; %bb.68:
	v_dual_mov_b32 v44, 0 :: v_dual_add_nc_u32 v9, -1, v0
	v_add_nc_u32_e32 v11, 0xa0, v42
	v_mov_b32_e32 v13, v42
	s_mov_b32 s1, 0
	s_delay_alu instid0(VALU_DEP_3)
	v_mov_b32_e32 v45, v44
.LBB19_69:                              ; =>This Inner Loop Header: Depth=1
	scratch_load_b64 v[46:47], v13, off
	ds_load_b64 v[48:49], v11
	s_wait_xcnt 0x0
	v_dual_add_nc_u32 v11, 8, v11 :: v_dual_add_nc_u32 v13, 8, v13
	s_wait_loadcnt_dscnt 0x0
	v_pk_mul_f32 v[50:51], v[48:49], v[46:47] op_sel:[1,1] op_sel_hi:[0,1]
	s_delay_alu instid0(VALU_DEP_1) | instskip(SKIP_2) | instid1(VALU_DEP_3)
	v_pk_fma_f32 v[52:53], v[48:49], v[46:47], v[50:51] op_sel_hi:[1,0,1]
	v_add_nc_u32_e32 v9, 1, v9
	v_pk_fma_f32 v[46:47], v[48:49], v[46:47], v[50:51] neg_lo:[0,0,1] neg_hi:[0,0,1]
	v_mov_b32_e32 v47, v53
	s_delay_alu instid0(VALU_DEP_3) | instskip(NEXT) | instid1(VALU_DEP_2)
	v_cmp_lt_u32_e32 vcc_lo, 12, v9
	v_pk_add_f32 v[44:45], v[44:45], v[46:47]
	s_or_b32 s1, vcc_lo, s1
	s_delay_alu instid0(SALU_CYCLE_1)
	s_and_not1_b32 exec_lo, exec_lo, s1
	s_cbranch_execnz .LBB19_69
; %bb.70:
	s_or_b32 exec_lo, exec_lo, s1
	v_mov_b32_e32 v9, 0
	ds_load_b64 v[46:47], v9 offset:112
	s_wait_dscnt 0x0
	v_pk_mul_f32 v[48:49], v[44:45], v[46:47] op_sel:[1,1] op_sel_hi:[0,1]
	s_delay_alu instid0(VALU_DEP_1) | instskip(SKIP_1) | instid1(VALU_DEP_2)
	v_pk_fma_f32 v[50:51], v[44:45], v[46:47], v[48:49] op_sel_hi:[1,0,1]
	v_pk_fma_f32 v[44:45], v[44:45], v[46:47], v[48:49] neg_lo:[0,0,1] neg_hi:[0,0,1]
	v_mov_b32_e32 v45, v51
	scratch_store_b64 off, v[44:45], off offset:112
.LBB19_71:
	s_wait_xcnt 0x0
	s_or_b32 exec_lo, exec_lo, s0
	s_wait_storecnt 0x0
	s_barrier_signal -1
	s_barrier_wait -1
	scratch_load_b64 v[44:45], off, off offset:120
	s_mov_b32 s0, exec_lo
	s_wait_loadcnt 0x0
	ds_store_b64 v1, v[44:45]
	s_wait_dscnt 0x0
	s_barrier_signal -1
	s_barrier_wait -1
	v_cmpx_gt_u32_e32 15, v0
	s_cbranch_execz .LBB19_75
; %bb.72:
	v_dual_mov_b32 v44, 0 :: v_dual_add_nc_u32 v9, -1, v0
	v_add_nc_u32_e32 v11, 0xa0, v42
	v_mov_b32_e32 v13, v42
	s_mov_b32 s1, 0
	s_delay_alu instid0(VALU_DEP_3)
	v_mov_b32_e32 v45, v44
.LBB19_73:                              ; =>This Inner Loop Header: Depth=1
	scratch_load_b64 v[46:47], v13, off
	ds_load_b64 v[48:49], v11
	s_wait_xcnt 0x0
	v_dual_add_nc_u32 v11, 8, v11 :: v_dual_add_nc_u32 v13, 8, v13
	s_wait_loadcnt_dscnt 0x0
	v_pk_mul_f32 v[50:51], v[48:49], v[46:47] op_sel:[1,1] op_sel_hi:[0,1]
	s_delay_alu instid0(VALU_DEP_1) | instskip(SKIP_2) | instid1(VALU_DEP_3)
	v_pk_fma_f32 v[52:53], v[48:49], v[46:47], v[50:51] op_sel_hi:[1,0,1]
	v_add_nc_u32_e32 v9, 1, v9
	v_pk_fma_f32 v[46:47], v[48:49], v[46:47], v[50:51] neg_lo:[0,0,1] neg_hi:[0,0,1]
	v_mov_b32_e32 v47, v53
	s_delay_alu instid0(VALU_DEP_3) | instskip(NEXT) | instid1(VALU_DEP_2)
	v_cmp_lt_u32_e32 vcc_lo, 13, v9
	v_pk_add_f32 v[44:45], v[44:45], v[46:47]
	s_or_b32 s1, vcc_lo, s1
	s_delay_alu instid0(SALU_CYCLE_1)
	s_and_not1_b32 exec_lo, exec_lo, s1
	s_cbranch_execnz .LBB19_73
; %bb.74:
	s_or_b32 exec_lo, exec_lo, s1
	v_mov_b32_e32 v9, 0
	ds_load_b64 v[46:47], v9 offset:120
	s_wait_dscnt 0x0
	v_pk_mul_f32 v[48:49], v[44:45], v[46:47] op_sel:[1,1] op_sel_hi:[0,1]
	s_delay_alu instid0(VALU_DEP_1) | instskip(SKIP_1) | instid1(VALU_DEP_2)
	v_pk_fma_f32 v[50:51], v[44:45], v[46:47], v[48:49] op_sel_hi:[1,0,1]
	v_pk_fma_f32 v[44:45], v[44:45], v[46:47], v[48:49] neg_lo:[0,0,1] neg_hi:[0,0,1]
	v_mov_b32_e32 v45, v51
	scratch_store_b64 off, v[44:45], off offset:120
.LBB19_75:
	s_wait_xcnt 0x0
	s_or_b32 exec_lo, exec_lo, s0
	s_wait_storecnt 0x0
	s_barrier_signal -1
	s_barrier_wait -1
	scratch_load_b64 v[44:45], off, off offset:128
	s_mov_b32 s0, exec_lo
	s_wait_loadcnt 0x0
	ds_store_b64 v1, v[44:45]
	s_wait_dscnt 0x0
	s_barrier_signal -1
	s_barrier_wait -1
	v_cmpx_gt_u32_e32 16, v0
	s_cbranch_execz .LBB19_79
; %bb.76:
	v_dual_mov_b32 v44, 0 :: v_dual_add_nc_u32 v9, -1, v0
	v_add_nc_u32_e32 v11, 0xa0, v42
	v_mov_b32_e32 v13, v42
	s_mov_b32 s1, 0
	s_delay_alu instid0(VALU_DEP_3)
	v_mov_b32_e32 v45, v44
.LBB19_77:                              ; =>This Inner Loop Header: Depth=1
	scratch_load_b64 v[46:47], v13, off
	ds_load_b64 v[48:49], v11
	s_wait_xcnt 0x0
	v_dual_add_nc_u32 v11, 8, v11 :: v_dual_add_nc_u32 v13, 8, v13
	s_wait_loadcnt_dscnt 0x0
	v_pk_mul_f32 v[50:51], v[48:49], v[46:47] op_sel:[1,1] op_sel_hi:[0,1]
	s_delay_alu instid0(VALU_DEP_1) | instskip(SKIP_2) | instid1(VALU_DEP_3)
	v_pk_fma_f32 v[52:53], v[48:49], v[46:47], v[50:51] op_sel_hi:[1,0,1]
	v_add_nc_u32_e32 v9, 1, v9
	v_pk_fma_f32 v[46:47], v[48:49], v[46:47], v[50:51] neg_lo:[0,0,1] neg_hi:[0,0,1]
	v_mov_b32_e32 v47, v53
	s_delay_alu instid0(VALU_DEP_3) | instskip(NEXT) | instid1(VALU_DEP_2)
	v_cmp_lt_u32_e32 vcc_lo, 14, v9
	v_pk_add_f32 v[44:45], v[44:45], v[46:47]
	s_or_b32 s1, vcc_lo, s1
	s_delay_alu instid0(SALU_CYCLE_1)
	s_and_not1_b32 exec_lo, exec_lo, s1
	s_cbranch_execnz .LBB19_77
; %bb.78:
	s_or_b32 exec_lo, exec_lo, s1
	v_mov_b32_e32 v9, 0
	ds_load_b64 v[46:47], v9 offset:128
	s_wait_dscnt 0x0
	v_pk_mul_f32 v[48:49], v[44:45], v[46:47] op_sel:[1,1] op_sel_hi:[0,1]
	s_delay_alu instid0(VALU_DEP_1) | instskip(SKIP_1) | instid1(VALU_DEP_2)
	v_pk_fma_f32 v[50:51], v[44:45], v[46:47], v[48:49] op_sel_hi:[1,0,1]
	v_pk_fma_f32 v[44:45], v[44:45], v[46:47], v[48:49] neg_lo:[0,0,1] neg_hi:[0,0,1]
	v_mov_b32_e32 v45, v51
	scratch_store_b64 off, v[44:45], off offset:128
.LBB19_79:
	s_wait_xcnt 0x0
	s_or_b32 exec_lo, exec_lo, s0
	s_wait_storecnt 0x0
	s_barrier_signal -1
	s_barrier_wait -1
	scratch_load_b64 v[44:45], off, off offset:136
	s_mov_b32 s0, exec_lo
	s_wait_loadcnt 0x0
	ds_store_b64 v1, v[44:45]
	s_wait_dscnt 0x0
	s_barrier_signal -1
	s_barrier_wait -1
	v_cmpx_gt_u32_e32 17, v0
	s_cbranch_execz .LBB19_83
; %bb.80:
	v_dual_mov_b32 v44, 0 :: v_dual_add_nc_u32 v9, -1, v0
	v_add_nc_u32_e32 v11, 0xa0, v42
	v_mov_b32_e32 v13, v42
	s_mov_b32 s1, 0
	s_delay_alu instid0(VALU_DEP_3)
	v_mov_b32_e32 v45, v44
.LBB19_81:                              ; =>This Inner Loop Header: Depth=1
	scratch_load_b64 v[46:47], v13, off
	ds_load_b64 v[48:49], v11
	s_wait_xcnt 0x0
	v_dual_add_nc_u32 v11, 8, v11 :: v_dual_add_nc_u32 v13, 8, v13
	s_wait_loadcnt_dscnt 0x0
	v_pk_mul_f32 v[50:51], v[48:49], v[46:47] op_sel:[1,1] op_sel_hi:[0,1]
	s_delay_alu instid0(VALU_DEP_1) | instskip(SKIP_2) | instid1(VALU_DEP_3)
	v_pk_fma_f32 v[52:53], v[48:49], v[46:47], v[50:51] op_sel_hi:[1,0,1]
	v_add_nc_u32_e32 v9, 1, v9
	v_pk_fma_f32 v[46:47], v[48:49], v[46:47], v[50:51] neg_lo:[0,0,1] neg_hi:[0,0,1]
	v_mov_b32_e32 v47, v53
	s_delay_alu instid0(VALU_DEP_3) | instskip(NEXT) | instid1(VALU_DEP_2)
	v_cmp_lt_u32_e32 vcc_lo, 15, v9
	v_pk_add_f32 v[44:45], v[44:45], v[46:47]
	s_or_b32 s1, vcc_lo, s1
	s_delay_alu instid0(SALU_CYCLE_1)
	s_and_not1_b32 exec_lo, exec_lo, s1
	s_cbranch_execnz .LBB19_81
; %bb.82:
	s_or_b32 exec_lo, exec_lo, s1
	v_mov_b32_e32 v9, 0
	ds_load_b64 v[46:47], v9 offset:136
	s_wait_dscnt 0x0
	v_pk_mul_f32 v[48:49], v[44:45], v[46:47] op_sel:[1,1] op_sel_hi:[0,1]
	s_delay_alu instid0(VALU_DEP_1) | instskip(SKIP_1) | instid1(VALU_DEP_2)
	v_pk_fma_f32 v[50:51], v[44:45], v[46:47], v[48:49] op_sel_hi:[1,0,1]
	v_pk_fma_f32 v[44:45], v[44:45], v[46:47], v[48:49] neg_lo:[0,0,1] neg_hi:[0,0,1]
	v_mov_b32_e32 v45, v51
	scratch_store_b64 off, v[44:45], off offset:136
.LBB19_83:
	s_wait_xcnt 0x0
	s_or_b32 exec_lo, exec_lo, s0
	s_wait_storecnt 0x0
	s_barrier_signal -1
	s_barrier_wait -1
	scratch_load_b64 v[44:45], off, off offset:144
	s_mov_b32 s0, exec_lo
	s_wait_loadcnt 0x0
	ds_store_b64 v1, v[44:45]
	s_wait_dscnt 0x0
	s_barrier_signal -1
	s_barrier_wait -1
	v_cmpx_gt_u32_e32 18, v0
	s_cbranch_execz .LBB19_87
; %bb.84:
	v_dual_mov_b32 v44, 0 :: v_dual_add_nc_u32 v9, -1, v0
	v_add_nc_u32_e32 v11, 0xa0, v42
	v_mov_b32_e32 v13, v42
	s_mov_b32 s1, 0
	s_delay_alu instid0(VALU_DEP_3)
	v_mov_b32_e32 v45, v44
.LBB19_85:                              ; =>This Inner Loop Header: Depth=1
	scratch_load_b64 v[46:47], v13, off
	ds_load_b64 v[48:49], v11
	s_wait_xcnt 0x0
	v_dual_add_nc_u32 v11, 8, v11 :: v_dual_add_nc_u32 v13, 8, v13
	s_wait_loadcnt_dscnt 0x0
	v_pk_mul_f32 v[50:51], v[48:49], v[46:47] op_sel:[1,1] op_sel_hi:[0,1]
	s_delay_alu instid0(VALU_DEP_1) | instskip(SKIP_2) | instid1(VALU_DEP_3)
	v_pk_fma_f32 v[52:53], v[48:49], v[46:47], v[50:51] op_sel_hi:[1,0,1]
	v_add_nc_u32_e32 v9, 1, v9
	v_pk_fma_f32 v[46:47], v[48:49], v[46:47], v[50:51] neg_lo:[0,0,1] neg_hi:[0,0,1]
	v_mov_b32_e32 v47, v53
	s_delay_alu instid0(VALU_DEP_3) | instskip(NEXT) | instid1(VALU_DEP_2)
	v_cmp_lt_u32_e32 vcc_lo, 16, v9
	v_pk_add_f32 v[44:45], v[44:45], v[46:47]
	s_or_b32 s1, vcc_lo, s1
	s_delay_alu instid0(SALU_CYCLE_1)
	s_and_not1_b32 exec_lo, exec_lo, s1
	s_cbranch_execnz .LBB19_85
; %bb.86:
	s_or_b32 exec_lo, exec_lo, s1
	v_mov_b32_e32 v9, 0
	ds_load_b64 v[46:47], v9 offset:144
	s_wait_dscnt 0x0
	v_pk_mul_f32 v[48:49], v[44:45], v[46:47] op_sel:[1,1] op_sel_hi:[0,1]
	s_delay_alu instid0(VALU_DEP_1) | instskip(SKIP_1) | instid1(VALU_DEP_2)
	v_pk_fma_f32 v[50:51], v[44:45], v[46:47], v[48:49] op_sel_hi:[1,0,1]
	v_pk_fma_f32 v[44:45], v[44:45], v[46:47], v[48:49] neg_lo:[0,0,1] neg_hi:[0,0,1]
	v_mov_b32_e32 v45, v51
	scratch_store_b64 off, v[44:45], off offset:144
.LBB19_87:
	s_wait_xcnt 0x0
	s_or_b32 exec_lo, exec_lo, s0
	s_wait_storecnt 0x0
	s_barrier_signal -1
	s_barrier_wait -1
	scratch_load_b64 v[44:45], off, off offset:152
	s_mov_b32 s0, exec_lo
	s_wait_loadcnt 0x0
	ds_store_b64 v1, v[44:45]
	s_wait_dscnt 0x0
	s_barrier_signal -1
	s_barrier_wait -1
	v_cmpx_ne_u32_e32 19, v0
	s_cbranch_execz .LBB19_91
; %bb.88:
	v_dual_mov_b32 v44, 0 :: v_dual_mov_b32 v9, v42
	s_mov_b32 s1, 0
	s_delay_alu instid0(VALU_DEP_1)
	v_mov_b32_e32 v45, v44
.LBB19_89:                              ; =>This Inner Loop Header: Depth=1
	scratch_load_b64 v[42:43], v9, off
	ds_load_b64 v[46:47], v1
	v_add_nc_u32_e32 v1, 8, v1
	s_wait_xcnt 0x0
	v_add_nc_u32_e32 v9, 8, v9
	s_wait_loadcnt_dscnt 0x0
	v_pk_mul_f32 v[48:49], v[46:47], v[42:43] op_sel:[1,1] op_sel_hi:[0,1]
	s_delay_alu instid0(VALU_DEP_1) | instskip(SKIP_2) | instid1(VALU_DEP_3)
	v_pk_fma_f32 v[50:51], v[46:47], v[42:43], v[48:49] op_sel_hi:[1,0,1]
	v_add_nc_u32_e32 v5, 1, v5
	v_pk_fma_f32 v[42:43], v[46:47], v[42:43], v[48:49] neg_lo:[0,0,1] neg_hi:[0,0,1]
	v_mov_b32_e32 v43, v51
	s_delay_alu instid0(VALU_DEP_3) | instskip(NEXT) | instid1(VALU_DEP_2)
	v_cmp_lt_u32_e32 vcc_lo, 17, v5
	v_pk_add_f32 v[44:45], v[44:45], v[42:43]
	s_or_b32 s1, vcc_lo, s1
	s_delay_alu instid0(SALU_CYCLE_1)
	s_and_not1_b32 exec_lo, exec_lo, s1
	s_cbranch_execnz .LBB19_89
; %bb.90:
	s_or_b32 exec_lo, exec_lo, s1
	v_mov_b32_e32 v1, 0
	ds_load_b64 v[42:43], v1 offset:152
	s_wait_dscnt 0x0
	v_pk_mul_f32 v[46:47], v[44:45], v[42:43] op_sel:[1,1] op_sel_hi:[0,1]
	s_delay_alu instid0(VALU_DEP_1) | instskip(SKIP_1) | instid1(VALU_DEP_2)
	v_pk_fma_f32 v[48:49], v[44:45], v[42:43], v[46:47] op_sel_hi:[1,0,1]
	v_pk_fma_f32 v[42:43], v[44:45], v[42:43], v[46:47] neg_lo:[0,0,1] neg_hi:[0,0,1]
	v_mov_b32_e32 v43, v49
	scratch_store_b64 off, v[42:43], off offset:152
.LBB19_91:
	s_wait_xcnt 0x0
	s_or_b32 exec_lo, exec_lo, s0
	s_mov_b32 s1, -1
	s_wait_storecnt 0x0
	s_barrier_signal -1
	s_barrier_wait -1
.LBB19_92:
	s_and_b32 vcc_lo, exec_lo, s1
	s_cbranch_vccz .LBB19_94
; %bb.93:
	v_mov_b32_e32 v1, 0
	s_lshl_b64 s[0:1], s[16:17], 2
	s_delay_alu instid0(SALU_CYCLE_1)
	s_add_nc_u64 s[0:1], s[6:7], s[0:1]
	global_load_b32 v1, v1, s[0:1]
	s_wait_loadcnt 0x0
	v_cmp_ne_u32_e32 vcc_lo, 0, v1
	s_cbranch_vccz .LBB19_95
.LBB19_94:
	s_sendmsg sendmsg(MSG_DEALLOC_VGPRS)
	s_endpgm
.LBB19_95:
	s_wait_xcnt 0x0
	v_lshl_add_u32 v1, v0, 3, 0xa0
	s_mov_b32 s0, exec_lo
	v_cmpx_eq_u32_e32 19, v0
	s_cbranch_execz .LBB19_97
; %bb.96:
	scratch_load_b64 v[42:43], off, off offset:144
	v_mov_b64_e32 v[44:45], 0
	scratch_store_b64 off, v[44:45], off offset:144
	s_wait_loadcnt 0x0
	ds_store_b64 v1, v[42:43]
.LBB19_97:
	s_wait_xcnt 0x0
	s_or_b32 exec_lo, exec_lo, s0
	s_wait_storecnt_dscnt 0x0
	s_barrier_signal -1
	s_barrier_wait -1
	s_clause 0x1
	scratch_load_b64 v[42:43], off, off offset:152
	scratch_load_b64 v[44:45], off, off offset:144
	v_mov_b32_e32 v5, 0
	s_mov_b32 s0, exec_lo
	ds_load_b64 v[46:47], v5 offset:312
	s_wait_loadcnt_dscnt 0x100
	v_pk_mul_f32 v[48:49], v[46:47], v[42:43] op_sel:[1,1] op_sel_hi:[0,1]
	s_delay_alu instid0(VALU_DEP_1) | instskip(SKIP_1) | instid1(VALU_DEP_2)
	v_pk_fma_f32 v[50:51], v[46:47], v[42:43], v[48:49] op_sel_hi:[1,0,1]
	v_pk_fma_f32 v[42:43], v[46:47], v[42:43], v[48:49] neg_lo:[0,0,1] neg_hi:[0,0,1]
	v_mov_b32_e32 v43, v51
	s_delay_alu instid0(VALU_DEP_1) | instskip(SKIP_1) | instid1(VALU_DEP_1)
	v_pk_add_f32 v[42:43], v[42:43], 0 op_sel_hi:[1,0]
	s_wait_loadcnt 0x0
	v_pk_add_f32 v[42:43], v[44:45], v[42:43] neg_lo:[0,1] neg_hi:[0,1]
	scratch_store_b64 off, v[42:43], off offset:144
	s_wait_xcnt 0x0
	v_cmpx_lt_u32_e32 17, v0
	s_cbranch_execz .LBB19_99
; %bb.98:
	scratch_load_b64 v[42:43], off, off offset:136
	v_mov_b64_e32 v[44:45], 0
	scratch_store_b64 off, v[44:45], off offset:136
	s_wait_loadcnt 0x0
	ds_store_b64 v1, v[42:43]
.LBB19_99:
	s_wait_xcnt 0x0
	s_or_b32 exec_lo, exec_lo, s0
	s_wait_storecnt_dscnt 0x0
	s_barrier_signal -1
	s_barrier_wait -1
	s_clause 0x1
	scratch_load_b128 v[42:45], off, off offset:144
	scratch_load_b64 v[50:51], off, off offset:136
	ds_load_b128 v[46:49], v5 offset:304
	s_mov_b32 s0, exec_lo
	s_wait_dscnt 0x0
	v_dual_mov_b32 v52, v49 :: v_dual_mov_b32 v53, v48
	s_wait_loadcnt 0x1
	v_pk_mul_f32 v[54:55], v[46:47], v[42:43] op_sel:[1,1] op_sel_hi:[0,1]
	s_delay_alu instid0(VALU_DEP_1) | instskip(SKIP_2) | instid1(VALU_DEP_3)
	v_pk_fma_f32 v[58:59], v[46:47], v[42:43], v[54:55] op_sel_hi:[1,0,1]
	v_mov_b32_e32 v56, v45
	v_pk_fma_f32 v[42:43], v[46:47], v[42:43], v[54:55] neg_lo:[0,0,1] neg_hi:[0,0,1]
	v_mov_b32_e32 v43, v59
	s_delay_alu instid0(VALU_DEP_3) | instskip(NEXT) | instid1(VALU_DEP_2)
	v_pk_mul_f32 v[52:53], v[52:53], v[56:57] op_sel_hi:[1,0]
	v_pk_add_f32 v[42:43], v[42:43], 0 op_sel_hi:[1,0]
	s_delay_alu instid0(VALU_DEP_2) | instskip(SKIP_1) | instid1(VALU_DEP_2)
	v_pk_fma_f32 v[46:47], v[48:49], v[44:45], v[52:53] op_sel_hi:[1,0,1]
	v_pk_fma_f32 v[44:45], v[48:49], v[44:45], v[52:53] neg_lo:[0,0,1] neg_hi:[0,0,1]
	v_mov_b32_e32 v45, v47
	s_delay_alu instid0(VALU_DEP_1) | instskip(SKIP_1) | instid1(VALU_DEP_1)
	v_pk_add_f32 v[42:43], v[42:43], v[44:45]
	s_wait_loadcnt 0x0
	v_pk_add_f32 v[42:43], v[50:51], v[42:43] neg_lo:[0,1] neg_hi:[0,1]
	scratch_store_b64 off, v[42:43], off offset:136
	s_wait_xcnt 0x0
	v_cmpx_lt_u32_e32 16, v0
	s_cbranch_execz .LBB19_101
; %bb.100:
	scratch_load_b64 v[42:43], off, off offset:128
	v_mov_b64_e32 v[44:45], 0
	scratch_store_b64 off, v[44:45], off offset:128
	s_wait_loadcnt 0x0
	ds_store_b64 v1, v[42:43]
.LBB19_101:
	s_wait_xcnt 0x0
	s_or_b32 exec_lo, exec_lo, s0
	s_wait_storecnt_dscnt 0x0
	s_barrier_signal -1
	s_barrier_wait -1
	s_clause 0x2
	scratch_load_b128 v[42:45], off, off offset:136
	scratch_load_b64 v[50:51], off, off offset:152
	scratch_load_b64 v[52:53], off, off offset:128
	v_mov_b32_e32 v5, 0
	ds_load_2addr_b64 v[46:49], v5 offset0:37 offset1:38
	ds_load_b64 v[54:55], v5 offset:312
	s_mov_b32 s0, exec_lo
	s_wait_dscnt 0x1
	v_dual_mov_b32 v56, v49 :: v_dual_mov_b32 v57, v48
	s_wait_loadcnt 0x2
	v_mov_b32_e32 v60, v45
	v_pk_mul_f32 v[58:59], v[46:47], v[42:43] op_sel:[1,1] op_sel_hi:[0,1]
	s_delay_alu instid0(VALU_DEP_2) | instskip(NEXT) | instid1(VALU_DEP_2)
	v_pk_mul_f32 v[56:57], v[56:57], v[60:61] op_sel_hi:[1,0]
	v_pk_fma_f32 v[62:63], v[46:47], v[42:43], v[58:59] op_sel_hi:[1,0,1]
	v_pk_fma_f32 v[42:43], v[46:47], v[42:43], v[58:59] neg_lo:[0,0,1] neg_hi:[0,0,1]
	s_wait_loadcnt_dscnt 0x100
	v_pk_mul_f32 v[58:59], v[54:55], v[50:51] op_sel:[1,1] op_sel_hi:[0,1]
	v_pk_fma_f32 v[46:47], v[48:49], v[44:45], v[56:57] op_sel_hi:[1,0,1]
	v_mov_b32_e32 v43, v63
	v_pk_fma_f32 v[44:45], v[48:49], v[44:45], v[56:57] neg_lo:[0,0,1] neg_hi:[0,0,1]
	s_delay_alu instid0(VALU_DEP_4) | instskip(NEXT) | instid1(VALU_DEP_4)
	v_pk_fma_f32 v[48:49], v[54:55], v[50:51], v[58:59] neg_lo:[0,0,1] neg_hi:[0,0,1]
	v_mov_b32_e32 v45, v47
	s_delay_alu instid0(VALU_DEP_4) | instskip(SKIP_1) | instid1(VALU_DEP_2)
	v_pk_add_f32 v[42:43], v[42:43], 0 op_sel_hi:[1,0]
	v_pk_fma_f32 v[46:47], v[54:55], v[50:51], v[58:59] op_sel_hi:[1,0,1]
	v_pk_add_f32 v[42:43], v[42:43], v[44:45]
	s_delay_alu instid0(VALU_DEP_2) | instskip(NEXT) | instid1(VALU_DEP_1)
	v_mov_b32_e32 v49, v47
	v_pk_add_f32 v[42:43], v[42:43], v[48:49]
	s_wait_loadcnt 0x0
	s_delay_alu instid0(VALU_DEP_1)
	v_pk_add_f32 v[42:43], v[52:53], v[42:43] neg_lo:[0,1] neg_hi:[0,1]
	scratch_store_b64 off, v[42:43], off offset:128
	s_wait_xcnt 0x0
	v_cmpx_lt_u32_e32 15, v0
	s_cbranch_execz .LBB19_103
; %bb.102:
	scratch_load_b64 v[42:43], off, off offset:120
	v_mov_b64_e32 v[44:45], 0
	scratch_store_b64 off, v[44:45], off offset:120
	s_wait_loadcnt 0x0
	ds_store_b64 v1, v[42:43]
.LBB19_103:
	s_wait_xcnt 0x0
	s_or_b32 exec_lo, exec_lo, s0
	s_wait_storecnt_dscnt 0x0
	s_barrier_signal -1
	s_barrier_wait -1
	s_clause 0x2
	scratch_load_b128 v[42:45], off, off offset:128
	scratch_load_b128 v[46:49], off, off offset:144
	scratch_load_b64 v[58:59], off, off offset:120
	ds_load_b128 v[50:53], v5 offset:288
	ds_load_b128 v[54:57], v5 offset:304
	s_mov_b32 s0, exec_lo
	s_wait_dscnt 0x1
	v_dual_mov_b32 v60, v53 :: v_dual_mov_b32 v61, v52
	s_wait_loadcnt_dscnt 0x200
	v_dual_mov_b32 v66, v57 :: v_dual_mov_b32 v64, v45
	v_pk_mul_f32 v[62:63], v[50:51], v[42:43] op_sel:[1,1] op_sel_hi:[0,1]
	s_delay_alu instid0(VALU_DEP_2) | instskip(NEXT) | instid1(VALU_DEP_2)
	v_pk_mul_f32 v[60:61], v[60:61], v[64:65] op_sel_hi:[1,0]
	v_pk_fma_f32 v[68:69], v[50:51], v[42:43], v[62:63] op_sel_hi:[1,0,1]
	v_pk_fma_f32 v[42:43], v[50:51], v[42:43], v[62:63] neg_lo:[0,0,1] neg_hi:[0,0,1]
	v_mov_b32_e32 v67, v56
	s_wait_loadcnt 0x1
	v_pk_mul_f32 v[64:65], v[54:55], v[46:47] op_sel:[1,1] op_sel_hi:[0,1]
	v_pk_fma_f32 v[50:51], v[52:53], v[44:45], v[60:61] op_sel_hi:[1,0,1]
	v_dual_mov_b32 v43, v69 :: v_dual_mov_b32 v50, v49
	v_pk_fma_f32 v[44:45], v[52:53], v[44:45], v[60:61] neg_lo:[0,0,1] neg_hi:[0,0,1]
	s_delay_alu instid0(VALU_DEP_4) | instskip(NEXT) | instid1(VALU_DEP_4)
	v_pk_fma_f32 v[62:63], v[54:55], v[46:47], v[64:65] op_sel_hi:[1,0,1]
	v_mov_b32_e32 v45, v51
	s_delay_alu instid0(VALU_DEP_4) | instskip(SKIP_2) | instid1(VALU_DEP_3)
	v_pk_add_f32 v[42:43], v[42:43], 0 op_sel_hi:[1,0]
	v_pk_mul_f32 v[50:51], v[66:67], v[50:51] op_sel_hi:[1,0]
	v_pk_fma_f32 v[46:47], v[54:55], v[46:47], v[64:65] neg_lo:[0,0,1] neg_hi:[0,0,1]
	v_pk_add_f32 v[42:43], v[42:43], v[44:45]
	s_delay_alu instid0(VALU_DEP_3) | instskip(SKIP_2) | instid1(VALU_DEP_3)
	v_pk_fma_f32 v[44:45], v[56:57], v[48:49], v[50:51] op_sel_hi:[1,0,1]
	v_mov_b32_e32 v47, v63
	v_pk_fma_f32 v[48:49], v[56:57], v[48:49], v[50:51] neg_lo:[0,0,1] neg_hi:[0,0,1]
	v_mov_b32_e32 v49, v45
	s_delay_alu instid0(VALU_DEP_3) | instskip(NEXT) | instid1(VALU_DEP_1)
	v_pk_add_f32 v[42:43], v[42:43], v[46:47]
	v_pk_add_f32 v[42:43], v[42:43], v[48:49]
	s_wait_loadcnt 0x0
	s_delay_alu instid0(VALU_DEP_1)
	v_pk_add_f32 v[42:43], v[58:59], v[42:43] neg_lo:[0,1] neg_hi:[0,1]
	scratch_store_b64 off, v[42:43], off offset:120
	s_wait_xcnt 0x0
	v_cmpx_lt_u32_e32 14, v0
	s_cbranch_execz .LBB19_105
; %bb.104:
	scratch_load_b64 v[42:43], off, off offset:112
	v_mov_b64_e32 v[44:45], 0
	scratch_store_b64 off, v[44:45], off offset:112
	s_wait_loadcnt 0x0
	ds_store_b64 v1, v[42:43]
.LBB19_105:
	s_wait_xcnt 0x0
	s_or_b32 exec_lo, exec_lo, s0
	s_wait_storecnt_dscnt 0x0
	s_barrier_signal -1
	s_barrier_wait -1
	s_clause 0x3
	scratch_load_b128 v[42:45], off, off offset:120
	scratch_load_b128 v[46:49], off, off offset:136
	scratch_load_b64 v[58:59], off, off offset:152
	scratch_load_b64 v[60:61], off, off offset:112
	v_mov_b32_e32 v5, 0
	ds_load_2addr_b64 v[50:53], v5 offset0:35 offset1:36
	ds_load_2addr_b64 v[54:57], v5 offset0:37 offset1:38
	s_mov_b32 s0, exec_lo
	s_wait_dscnt 0x1
	v_dual_mov_b32 v62, v53 :: v_dual_mov_b32 v63, v52
	ds_load_b64 v[68:69], v5 offset:312
	s_wait_dscnt 0x1
	v_dual_mov_b32 v70, v57 :: v_dual_mov_b32 v71, v56
	s_wait_loadcnt 0x3
	v_pk_mul_f32 v[64:65], v[50:51], v[42:43] op_sel:[1,1] op_sel_hi:[0,1]
	v_mov_b32_e32 v66, v45
	s_delay_alu instid0(VALU_DEP_2) | instskip(NEXT) | instid1(VALU_DEP_2)
	v_pk_fma_f32 v[72:73], v[50:51], v[42:43], v[64:65] op_sel_hi:[1,0,1]
	v_pk_mul_f32 v[62:63], v[62:63], v[66:67] op_sel_hi:[1,0]
	v_pk_fma_f32 v[42:43], v[50:51], v[42:43], v[64:65] neg_lo:[0,0,1] neg_hi:[0,0,1]
	s_wait_loadcnt 0x2
	v_pk_mul_f32 v[66:67], v[54:55], v[46:47] op_sel:[1,1] op_sel_hi:[0,1]
	v_dual_mov_b32 v72, v49 :: v_dual_mov_b32 v43, v73
	v_pk_fma_f32 v[50:51], v[52:53], v[44:45], v[62:63] op_sel_hi:[1,0,1]
	v_pk_fma_f32 v[44:45], v[52:53], v[44:45], v[62:63] neg_lo:[0,0,1] neg_hi:[0,0,1]
	s_delay_alu instid0(VALU_DEP_4) | instskip(NEXT) | instid1(VALU_DEP_4)
	v_pk_fma_f32 v[64:65], v[54:55], v[46:47], v[66:67] op_sel_hi:[1,0,1]
	v_pk_mul_f32 v[70:71], v[70:71], v[72:73] op_sel_hi:[1,0]
	v_pk_add_f32 v[42:43], v[42:43], 0 op_sel_hi:[1,0]
	v_mov_b32_e32 v45, v51
	v_pk_fma_f32 v[46:47], v[54:55], v[46:47], v[66:67] neg_lo:[0,0,1] neg_hi:[0,0,1]
	v_mov_b32_e32 v47, v65
	v_pk_fma_f32 v[50:51], v[56:57], v[48:49], v[70:71] op_sel_hi:[1,0,1]
	v_pk_fma_f32 v[48:49], v[56:57], v[48:49], v[70:71] neg_lo:[0,0,1] neg_hi:[0,0,1]
	v_pk_add_f32 v[42:43], v[42:43], v[44:45]
	s_wait_loadcnt_dscnt 0x100
	v_pk_mul_f32 v[44:45], v[68:69], v[58:59] op_sel:[1,1] op_sel_hi:[0,1]
	s_delay_alu instid0(VALU_DEP_2) | instskip(NEXT) | instid1(VALU_DEP_2)
	v_pk_add_f32 v[42:43], v[42:43], v[46:47]
	v_pk_fma_f32 v[46:47], v[68:69], v[58:59], v[44:45] op_sel_hi:[1,0,1]
	v_mov_b32_e32 v49, v51
	v_pk_fma_f32 v[44:45], v[68:69], v[58:59], v[44:45] neg_lo:[0,0,1] neg_hi:[0,0,1]
	s_delay_alu instid0(VALU_DEP_3) | instskip(NEXT) | instid1(VALU_DEP_3)
	v_mov_b32_e32 v45, v47
	v_pk_add_f32 v[42:43], v[42:43], v[48:49]
	s_delay_alu instid0(VALU_DEP_1) | instskip(SKIP_1) | instid1(VALU_DEP_1)
	v_pk_add_f32 v[42:43], v[42:43], v[44:45]
	s_wait_loadcnt 0x0
	v_pk_add_f32 v[42:43], v[60:61], v[42:43] neg_lo:[0,1] neg_hi:[0,1]
	scratch_store_b64 off, v[42:43], off offset:112
	s_wait_xcnt 0x0
	v_cmpx_lt_u32_e32 13, v0
	s_cbranch_execz .LBB19_107
; %bb.106:
	scratch_load_b64 v[42:43], off, off offset:104
	v_mov_b64_e32 v[44:45], 0
	scratch_store_b64 off, v[44:45], off offset:104
	s_wait_loadcnt 0x0
	ds_store_b64 v1, v[42:43]
.LBB19_107:
	s_wait_xcnt 0x0
	s_or_b32 exec_lo, exec_lo, s0
	s_wait_storecnt_dscnt 0x0
	s_barrier_signal -1
	s_barrier_wait -1
	s_clause 0x3
	scratch_load_b128 v[42:45], off, off offset:112
	scratch_load_b128 v[46:49], off, off offset:128
	;; [unrolled: 1-line block ×3, first 2 shown]
	scratch_load_b64 v[66:67], off, off offset:104
	ds_load_b128 v[54:57], v5 offset:272
	ds_load_b128 v[58:61], v5 offset:288
	;; [unrolled: 1-line block ×3, first 2 shown]
	s_mov_b32 s0, exec_lo
	s_wait_dscnt 0x2
	v_dual_mov_b32 v68, v57 :: v_dual_mov_b32 v69, v56
	s_wait_dscnt 0x1
	v_dual_mov_b32 v70, v61 :: v_dual_mov_b32 v71, v60
	;; [unrolled: 2-line block ×3, first 2 shown]
	s_wait_loadcnt 0x3
	v_pk_mul_f32 v[72:73], v[54:55], v[42:43] op_sel:[1,1] op_sel_hi:[0,1]
	v_mov_b32_e32 v74, v45
	s_delay_alu instid0(VALU_DEP_2) | instskip(NEXT) | instid1(VALU_DEP_2)
	v_pk_fma_f32 v[78:79], v[54:55], v[42:43], v[72:73] op_sel_hi:[1,0,1]
	v_pk_mul_f32 v[68:69], v[68:69], v[74:75] op_sel_hi:[1,0]
	v_pk_fma_f32 v[42:43], v[54:55], v[42:43], v[72:73] neg_lo:[0,0,1] neg_hi:[0,0,1]
	s_wait_loadcnt 0x2
	v_pk_mul_f32 v[74:75], v[58:59], v[46:47] op_sel:[1,1] op_sel_hi:[0,1]
	v_mov_b32_e32 v78, v49
	v_pk_fma_f32 v[54:55], v[56:57], v[44:45], v[68:69] op_sel_hi:[1,0,1]
	v_mov_b32_e32 v43, v79
	v_pk_fma_f32 v[44:45], v[56:57], v[44:45], v[68:69] neg_lo:[0,0,1] neg_hi:[0,0,1]
	v_pk_fma_f32 v[72:73], v[58:59], v[46:47], v[74:75] op_sel_hi:[1,0,1]
	v_pk_mul_f32 v[70:71], v[70:71], v[78:79] op_sel_hi:[1,0]
	v_mov_b32_e32 v45, v55
	v_pk_add_f32 v[42:43], v[42:43], 0 op_sel_hi:[1,0]
	v_pk_fma_f32 v[46:47], v[58:59], v[46:47], v[74:75] neg_lo:[0,0,1] neg_hi:[0,0,1]
	s_wait_loadcnt 0x1
	v_pk_mul_f32 v[54:55], v[62:63], v[50:51] op_sel:[1,1] op_sel_hi:[0,1]
	v_mov_b32_e32 v47, v73
	v_pk_fma_f32 v[56:57], v[60:61], v[48:49], v[70:71] op_sel_hi:[1,0,1]
	v_pk_add_f32 v[42:43], v[42:43], v[44:45]
	v_mov_b32_e32 v44, v53
	v_pk_fma_f32 v[48:49], v[60:61], v[48:49], v[70:71] neg_lo:[0,0,1] neg_hi:[0,0,1]
	v_pk_fma_f32 v[58:59], v[62:63], v[50:51], v[54:55] op_sel_hi:[1,0,1]
	v_mov_b32_e32 v49, v57
	v_pk_add_f32 v[42:43], v[42:43], v[46:47]
	v_pk_mul_f32 v[44:45], v[76:77], v[44:45] op_sel_hi:[1,0]
	v_pk_fma_f32 v[46:47], v[62:63], v[50:51], v[54:55] neg_lo:[0,0,1] neg_hi:[0,0,1]
	v_mov_b32_e32 v47, v59
	s_delay_alu instid0(VALU_DEP_4) | instskip(NEXT) | instid1(VALU_DEP_4)
	v_pk_add_f32 v[42:43], v[42:43], v[48:49]
	v_pk_fma_f32 v[48:49], v[64:65], v[52:53], v[44:45] op_sel_hi:[1,0,1]
	v_pk_fma_f32 v[44:45], v[64:65], v[52:53], v[44:45] neg_lo:[0,0,1] neg_hi:[0,0,1]
	s_delay_alu instid0(VALU_DEP_3) | instskip(NEXT) | instid1(VALU_DEP_3)
	v_pk_add_f32 v[42:43], v[42:43], v[46:47]
	v_mov_b32_e32 v45, v49
	s_delay_alu instid0(VALU_DEP_1) | instskip(SKIP_1) | instid1(VALU_DEP_1)
	v_pk_add_f32 v[42:43], v[42:43], v[44:45]
	s_wait_loadcnt 0x0
	v_pk_add_f32 v[42:43], v[66:67], v[42:43] neg_lo:[0,1] neg_hi:[0,1]
	scratch_store_b64 off, v[42:43], off offset:104
	s_wait_xcnt 0x0
	v_cmpx_lt_u32_e32 12, v0
	s_cbranch_execz .LBB19_109
; %bb.108:
	scratch_load_b64 v[42:43], off, off offset:96
	v_mov_b64_e32 v[44:45], 0
	scratch_store_b64 off, v[44:45], off offset:96
	s_wait_loadcnt 0x0
	ds_store_b64 v1, v[42:43]
.LBB19_109:
	s_wait_xcnt 0x0
	s_or_b32 exec_lo, exec_lo, s0
	s_wait_storecnt_dscnt 0x0
	s_barrier_signal -1
	s_barrier_wait -1
	s_clause 0x4
	scratch_load_b128 v[42:45], off, off offset:104
	scratch_load_b128 v[46:49], off, off offset:120
	;; [unrolled: 1-line block ×3, first 2 shown]
	scratch_load_b64 v[66:67], off, off offset:152
	scratch_load_b64 v[68:69], off, off offset:96
	v_mov_b32_e32 v5, 0
	ds_load_2addr_b64 v[54:57], v5 offset0:33 offset1:34
	ds_load_2addr_b64 v[58:61], v5 offset0:35 offset1:36
	;; [unrolled: 1-line block ×3, first 2 shown]
	ds_load_b64 v[70:71], v5 offset:312
	s_mov_b32 s0, exec_lo
	s_wait_dscnt 0x3
	v_dual_mov_b32 v72, v57 :: v_dual_mov_b32 v73, v56
	s_wait_dscnt 0x2
	v_dual_mov_b32 v74, v61 :: v_dual_mov_b32 v75, v60
	;; [unrolled: 2-line block ×3, first 2 shown]
	s_wait_loadcnt 0x4
	v_pk_mul_f32 v[76:77], v[54:55], v[42:43] op_sel:[1,1] op_sel_hi:[0,1]
	v_mov_b32_e32 v78, v45
	s_wait_loadcnt 0x3
	v_pk_mul_f32 v[82:83], v[58:59], v[46:47] op_sel:[1,1] op_sel_hi:[0,1]
	s_wait_loadcnt 0x2
	v_pk_mul_f32 v[86:87], v[62:63], v[50:51] op_sel:[1,1] op_sel_hi:[0,1]
	v_pk_fma_f32 v[84:85], v[54:55], v[42:43], v[76:77] op_sel_hi:[1,0,1]
	v_pk_mul_f32 v[72:73], v[72:73], v[78:79] op_sel_hi:[1,0]
	v_pk_fma_f32 v[42:43], v[54:55], v[42:43], v[76:77] neg_lo:[0,0,1] neg_hi:[0,0,1]
	v_mov_b32_e32 v78, v49
	v_pk_fma_f32 v[76:77], v[58:59], v[46:47], v[82:83] op_sel_hi:[1,0,1]
	v_mov_b32_e32 v43, v85
	v_pk_fma_f32 v[54:55], v[56:57], v[44:45], v[72:73] op_sel_hi:[1,0,1]
	v_pk_fma_f32 v[44:45], v[56:57], v[44:45], v[72:73] neg_lo:[0,0,1] neg_hi:[0,0,1]
	v_pk_mul_f32 v[74:75], v[74:75], v[78:79] op_sel_hi:[1,0]
	v_pk_fma_f32 v[46:47], v[58:59], v[46:47], v[82:83] neg_lo:[0,0,1] neg_hi:[0,0,1]
	v_pk_add_f32 v[42:43], v[42:43], 0 op_sel_hi:[1,0]
	v_dual_mov_b32 v45, v55 :: v_dual_mov_b32 v54, v53
	s_delay_alu instid0(VALU_DEP_4) | instskip(SKIP_2) | instid1(VALU_DEP_4)
	v_pk_fma_f32 v[56:57], v[60:61], v[48:49], v[74:75] op_sel_hi:[1,0,1]
	v_mov_b32_e32 v47, v77
	v_pk_fma_f32 v[48:49], v[60:61], v[48:49], v[74:75] neg_lo:[0,0,1] neg_hi:[0,0,1]
	v_pk_add_f32 v[42:43], v[42:43], v[44:45]
	v_pk_fma_f32 v[44:45], v[62:63], v[50:51], v[86:87] op_sel_hi:[1,0,1]
	v_pk_mul_f32 v[54:55], v[80:81], v[54:55] op_sel_hi:[1,0]
	v_mov_b32_e32 v49, v57
	s_delay_alu instid0(VALU_DEP_4)
	v_pk_add_f32 v[42:43], v[42:43], v[46:47]
	v_pk_fma_f32 v[46:47], v[62:63], v[50:51], v[86:87] neg_lo:[0,0,1] neg_hi:[0,0,1]
	v_mov_b32_e32 v47, v45
	v_pk_fma_f32 v[44:45], v[64:65], v[52:53], v[54:55] op_sel_hi:[1,0,1]
	v_pk_fma_f32 v[50:51], v[64:65], v[52:53], v[54:55] neg_lo:[0,0,1] neg_hi:[0,0,1]
	v_pk_add_f32 v[42:43], v[42:43], v[48:49]
	s_wait_loadcnt_dscnt 0x100
	v_pk_mul_f32 v[48:49], v[70:71], v[66:67] op_sel:[1,1] op_sel_hi:[0,1]
	v_mov_b32_e32 v51, v45
	s_delay_alu instid0(VALU_DEP_3) | instskip(NEXT) | instid1(VALU_DEP_3)
	v_pk_add_f32 v[42:43], v[42:43], v[46:47]
	v_pk_fma_f32 v[44:45], v[70:71], v[66:67], v[48:49] op_sel_hi:[1,0,1]
	v_pk_fma_f32 v[46:47], v[70:71], v[66:67], v[48:49] neg_lo:[0,0,1] neg_hi:[0,0,1]
	s_delay_alu instid0(VALU_DEP_3) | instskip(NEXT) | instid1(VALU_DEP_3)
	v_pk_add_f32 v[42:43], v[42:43], v[50:51]
	v_mov_b32_e32 v47, v45
	s_delay_alu instid0(VALU_DEP_1) | instskip(SKIP_1) | instid1(VALU_DEP_1)
	v_pk_add_f32 v[42:43], v[42:43], v[46:47]
	s_wait_loadcnt 0x0
	v_pk_add_f32 v[42:43], v[68:69], v[42:43] neg_lo:[0,1] neg_hi:[0,1]
	scratch_store_b64 off, v[42:43], off offset:96
	s_wait_xcnt 0x0
	v_cmpx_lt_u32_e32 11, v0
	s_cbranch_execz .LBB19_111
; %bb.110:
	scratch_load_b64 v[42:43], off, off offset:88
	v_mov_b64_e32 v[44:45], 0
	scratch_store_b64 off, v[44:45], off offset:88
	s_wait_loadcnt 0x0
	ds_store_b64 v1, v[42:43]
.LBB19_111:
	s_wait_xcnt 0x0
	s_or_b32 exec_lo, exec_lo, s0
	s_wait_storecnt_dscnt 0x0
	s_barrier_signal -1
	s_barrier_wait -1
	s_clause 0x4
	scratch_load_b128 v[42:45], off, off offset:96
	scratch_load_b128 v[46:49], off, off offset:112
	;; [unrolled: 1-line block ×4, first 2 shown]
	scratch_load_b64 v[74:75], off, off offset:88
	ds_load_b128 v[58:61], v5 offset:256
	ds_load_b128 v[62:65], v5 offset:272
	;; [unrolled: 1-line block ×4, first 2 shown]
	s_mov_b32 s0, exec_lo
	s_wait_dscnt 0x3
	v_dual_mov_b32 v76, v61 :: v_dual_mov_b32 v77, v60
	s_wait_dscnt 0x2
	v_dual_mov_b32 v78, v65 :: v_dual_mov_b32 v79, v64
	;; [unrolled: 2-line block ×3, first 2 shown]
	v_dual_mov_b32 v81, v68 :: v_dual_mov_b32 v86, v73
	s_wait_loadcnt 0x4
	v_mov_b32_e32 v84, v45
	v_pk_mul_f32 v[82:83], v[58:59], v[42:43] op_sel:[1,1] op_sel_hi:[0,1]
	s_wait_loadcnt 0x3
	v_pk_mul_f32 v[88:89], v[62:63], v[46:47] op_sel:[1,1] op_sel_hi:[0,1]
	s_wait_loadcnt 0x2
	v_pk_mul_f32 v[92:93], v[66:67], v[50:51] op_sel:[1,1] op_sel_hi:[0,1]
	v_pk_mul_f32 v[76:77], v[76:77], v[84:85] op_sel_hi:[1,0]
	v_pk_fma_f32 v[90:91], v[58:59], v[42:43], v[82:83] op_sel_hi:[1,0,1]
	v_pk_fma_f32 v[42:43], v[58:59], v[42:43], v[82:83] neg_lo:[0,0,1] neg_hi:[0,0,1]
	v_mov_b32_e32 v84, v49
	v_pk_fma_f32 v[82:83], v[62:63], v[46:47], v[88:89] op_sel_hi:[1,0,1]
	v_pk_fma_f32 v[58:59], v[60:61], v[44:45], v[76:77] op_sel_hi:[1,0,1]
	v_mov_b32_e32 v43, v91
	v_pk_fma_f32 v[44:45], v[60:61], v[44:45], v[76:77] neg_lo:[0,0,1] neg_hi:[0,0,1]
	v_pk_mul_f32 v[78:79], v[78:79], v[84:85] op_sel_hi:[1,0]
	s_delay_alu instid0(VALU_DEP_4) | instskip(NEXT) | instid1(VALU_DEP_4)
	v_dual_mov_b32 v58, v53 :: v_dual_mov_b32 v45, v59
	v_pk_add_f32 v[42:43], v[42:43], 0 op_sel_hi:[1,0]
	v_pk_fma_f32 v[46:47], v[62:63], v[46:47], v[88:89] neg_lo:[0,0,1] neg_hi:[0,0,1]
	v_mov_b32_e32 v47, v83
	v_pk_fma_f32 v[60:61], v[64:65], v[48:49], v[78:79] op_sel_hi:[1,0,1]
	v_pk_mul_f32 v[58:59], v[80:81], v[58:59] op_sel_hi:[1,0]
	v_pk_add_f32 v[42:43], v[42:43], v[44:45]
	v_pk_fma_f32 v[44:45], v[66:67], v[50:51], v[92:93] op_sel_hi:[1,0,1]
	v_pk_fma_f32 v[48:49], v[64:65], v[48:49], v[78:79] neg_lo:[0,0,1] neg_hi:[0,0,1]
	v_mov_b32_e32 v49, v61
	v_pk_fma_f32 v[50:51], v[66:67], v[50:51], v[92:93] neg_lo:[0,0,1] neg_hi:[0,0,1]
	v_pk_add_f32 v[42:43], v[42:43], v[46:47]
	v_mov_b32_e32 v51, v45
	v_pk_fma_f32 v[44:45], v[68:69], v[52:53], v[58:59] op_sel_hi:[1,0,1]
	s_wait_loadcnt 0x1
	v_pk_mul_f32 v[46:47], v[70:71], v[54:55] op_sel:[1,1] op_sel_hi:[0,1]
	v_mov_b32_e32 v44, v57
	v_pk_add_f32 v[42:43], v[42:43], v[48:49]
	v_pk_fma_f32 v[52:53], v[68:69], v[52:53], v[58:59] neg_lo:[0,0,1] neg_hi:[0,0,1]
	v_mov_b32_e32 v53, v45
	v_pk_fma_f32 v[48:49], v[70:71], v[54:55], v[46:47] op_sel_hi:[1,0,1]
	v_pk_mul_f32 v[44:45], v[86:87], v[44:45] op_sel_hi:[1,0]
	v_pk_add_f32 v[42:43], v[42:43], v[50:51]
	v_pk_fma_f32 v[46:47], v[70:71], v[54:55], v[46:47] neg_lo:[0,0,1] neg_hi:[0,0,1]
	s_delay_alu instid0(VALU_DEP_4) | instskip(NEXT) | instid1(VALU_DEP_4)
	v_mov_b32_e32 v47, v49
	v_pk_fma_f32 v[48:49], v[72:73], v[56:57], v[44:45] op_sel_hi:[1,0,1]
	s_delay_alu instid0(VALU_DEP_4) | instskip(SKIP_1) | instid1(VALU_DEP_3)
	v_pk_add_f32 v[42:43], v[42:43], v[52:53]
	v_pk_fma_f32 v[44:45], v[72:73], v[56:57], v[44:45] neg_lo:[0,0,1] neg_hi:[0,0,1]
	v_mov_b32_e32 v45, v49
	s_delay_alu instid0(VALU_DEP_3) | instskip(NEXT) | instid1(VALU_DEP_1)
	v_pk_add_f32 v[42:43], v[42:43], v[46:47]
	v_pk_add_f32 v[42:43], v[42:43], v[44:45]
	s_wait_loadcnt 0x0
	s_delay_alu instid0(VALU_DEP_1)
	v_pk_add_f32 v[42:43], v[74:75], v[42:43] neg_lo:[0,1] neg_hi:[0,1]
	scratch_store_b64 off, v[42:43], off offset:88
	s_wait_xcnt 0x0
	v_cmpx_lt_u32_e32 10, v0
	s_cbranch_execz .LBB19_113
; %bb.112:
	scratch_load_b64 v[42:43], off, off offset:80
	v_mov_b64_e32 v[44:45], 0
	scratch_store_b64 off, v[44:45], off offset:80
	s_wait_loadcnt 0x0
	ds_store_b64 v1, v[42:43]
.LBB19_113:
	s_wait_xcnt 0x0
	s_or_b32 exec_lo, exec_lo, s0
	s_wait_storecnt_dscnt 0x0
	s_barrier_signal -1
	s_barrier_wait -1
	s_clause 0x5
	scratch_load_b128 v[42:45], off, off offset:88
	scratch_load_b128 v[46:49], off, off offset:104
	;; [unrolled: 1-line block ×4, first 2 shown]
	scratch_load_b64 v[74:75], off, off offset:152
	scratch_load_b64 v[76:77], off, off offset:80
	v_mov_b32_e32 v5, 0
	ds_load_2addr_b64 v[58:61], v5 offset0:31 offset1:32
	ds_load_2addr_b64 v[62:65], v5 offset0:33 offset1:34
	;; [unrolled: 1-line block ×4, first 2 shown]
	ds_load_b64 v[78:79], v5 offset:312
	s_mov_b32 s0, exec_lo
	s_wait_dscnt 0x4
	v_dual_mov_b32 v80, v61 :: v_dual_mov_b32 v81, v60
	s_wait_dscnt 0x1
	v_dual_mov_b32 v82, v65 :: v_dual_mov_b32 v87, v72
	v_dual_mov_b32 v83, v64 :: v_dual_mov_b32 v84, v69
	;; [unrolled: 1-line block ×3, first 2 shown]
	s_wait_loadcnt 0x5
	v_dual_mov_b32 v88, v45 :: v_dual_mul_f32 v89, v58, v43
	v_mul_f32_e32 v9, v59, v43
	s_wait_loadcnt 0x4
	v_pk_mul_f32 v[90:91], v[62:63], v[46:47] op_sel:[1,1] op_sel_hi:[0,1]
	v_mov_b32_e32 v92, v49
	s_wait_loadcnt 0x3
	v_pk_mul_f32 v[94:95], v[66:67], v[50:51] op_sel:[1,1] op_sel_hi:[0,1]
	v_pk_mul_f32 v[80:81], v[80:81], v[88:89] op_sel_hi:[1,0]
	v_fmac_f32_e32 v89, v59, v42
	v_dual_fma_f32 v88, v58, v42, -v9 :: v_dual_mov_b32 v42, v53
	v_pk_fma_f32 v[96:97], v[62:63], v[46:47], v[90:91] op_sel_hi:[1,0,1]
	s_delay_alu instid0(VALU_DEP_4)
	v_pk_fma_f32 v[58:59], v[60:61], v[44:45], v[80:81] op_sel_hi:[1,0,1]
	v_pk_fma_f32 v[44:45], v[60:61], v[44:45], v[80:81] neg_lo:[0,0,1] neg_hi:[0,0,1]
	v_pk_mul_f32 v[82:83], v[82:83], v[92:93] op_sel_hi:[1,0]
	v_pk_add_f32 v[88:89], v[88:89], 0 op_sel_hi:[1,0]
	v_pk_fma_f32 v[46:47], v[62:63], v[46:47], v[90:91] neg_lo:[0,0,1] neg_hi:[0,0,1]
	v_dual_mov_b32 v45, v59 :: v_dual_mov_b32 v47, v97
	s_delay_alu instid0(VALU_DEP_4) | instskip(SKIP_2) | instid1(VALU_DEP_4)
	v_pk_fma_f32 v[60:61], v[64:65], v[48:49], v[82:83] op_sel_hi:[1,0,1]
	v_pk_fma_f32 v[48:49], v[64:65], v[48:49], v[82:83] neg_lo:[0,0,1] neg_hi:[0,0,1]
	v_pk_fma_f32 v[62:63], v[66:67], v[50:51], v[94:95] op_sel_hi:[1,0,1]
	v_pk_add_f32 v[44:45], v[88:89], v[44:45]
	v_pk_mul_f32 v[42:43], v[84:85], v[42:43] op_sel_hi:[1,0]
	v_mov_b32_e32 v49, v61
	v_pk_fma_f32 v[50:51], v[66:67], v[50:51], v[94:95] neg_lo:[0,0,1] neg_hi:[0,0,1]
	s_wait_loadcnt 0x2
	v_pk_mul_f32 v[58:59], v[70:71], v[54:55] op_sel:[1,1] op_sel_hi:[0,1]
	v_pk_add_f32 v[44:45], v[44:45], v[46:47]
	v_mov_b32_e32 v46, v57
	v_pk_fma_f32 v[60:61], v[68:69], v[52:53], v[42:43] op_sel_hi:[1,0,1]
	v_mov_b32_e32 v51, v63
	v_pk_fma_f32 v[42:43], v[68:69], v[52:53], v[42:43] neg_lo:[0,0,1] neg_hi:[0,0,1]
	v_pk_add_f32 v[44:45], v[44:45], v[48:49]
	v_pk_fma_f32 v[48:49], v[70:71], v[54:55], v[58:59] op_sel_hi:[1,0,1]
	v_pk_mul_f32 v[46:47], v[86:87], v[46:47] op_sel_hi:[1,0]
	v_mov_b32_e32 v43, v61
	s_delay_alu instid0(VALU_DEP_4)
	v_pk_add_f32 v[44:45], v[44:45], v[50:51]
	v_pk_fma_f32 v[50:51], v[70:71], v[54:55], v[58:59] neg_lo:[0,0,1] neg_hi:[0,0,1]
	v_mov_b32_e32 v51, v49
	v_pk_fma_f32 v[48:49], v[72:73], v[56:57], v[46:47] op_sel_hi:[1,0,1]
	v_pk_fma_f32 v[46:47], v[72:73], v[56:57], v[46:47] neg_lo:[0,0,1] neg_hi:[0,0,1]
	v_pk_add_f32 v[42:43], v[44:45], v[42:43]
	s_wait_loadcnt_dscnt 0x100
	v_pk_mul_f32 v[44:45], v[78:79], v[74:75] op_sel:[1,1] op_sel_hi:[0,1]
	v_mov_b32_e32 v47, v49
	s_delay_alu instid0(VALU_DEP_3) | instskip(NEXT) | instid1(VALU_DEP_3)
	v_pk_add_f32 v[42:43], v[42:43], v[50:51]
	v_pk_fma_f32 v[48:49], v[78:79], v[74:75], v[44:45] op_sel_hi:[1,0,1]
	v_pk_fma_f32 v[44:45], v[78:79], v[74:75], v[44:45] neg_lo:[0,0,1] neg_hi:[0,0,1]
	s_delay_alu instid0(VALU_DEP_3) | instskip(NEXT) | instid1(VALU_DEP_3)
	v_pk_add_f32 v[42:43], v[42:43], v[46:47]
	v_mov_b32_e32 v45, v49
	s_delay_alu instid0(VALU_DEP_1) | instskip(SKIP_1) | instid1(VALU_DEP_1)
	v_pk_add_f32 v[42:43], v[42:43], v[44:45]
	s_wait_loadcnt 0x0
	v_pk_add_f32 v[42:43], v[76:77], v[42:43] neg_lo:[0,1] neg_hi:[0,1]
	scratch_store_b64 off, v[42:43], off offset:80
	s_wait_xcnt 0x0
	v_cmpx_lt_u32_e32 9, v0
	s_cbranch_execz .LBB19_115
; %bb.114:
	scratch_load_b64 v[42:43], off, off offset:72
	v_mov_b64_e32 v[44:45], 0
	scratch_store_b64 off, v[44:45], off offset:72
	s_wait_loadcnt 0x0
	ds_store_b64 v1, v[42:43]
.LBB19_115:
	s_wait_xcnt 0x0
	s_or_b32 exec_lo, exec_lo, s0
	s_wait_storecnt_dscnt 0x0
	s_barrier_signal -1
	s_barrier_wait -1
	s_clause 0x5
	scratch_load_b128 v[42:45], off, off offset:80
	scratch_load_b128 v[46:49], off, off offset:96
	;; [unrolled: 1-line block ×5, first 2 shown]
	scratch_load_b64 v[82:83], off, off offset:72
	ds_load_b128 v[62:65], v5 offset:256
	ds_load_b128 v[66:69], v5 offset:272
	;; [unrolled: 1-line block ×5, first 2 shown]
	s_mov_b32 s0, exec_lo
	s_wait_dscnt 0x4
	v_dual_mov_b32 v84, v65 :: v_dual_mov_b32 v85, v64
	s_wait_dscnt 0x3
	v_dual_mov_b32 v86, v69 :: v_dual_mov_b32 v87, v68
	;; [unrolled: 2-line block ×4, first 2 shown]
	s_wait_loadcnt_dscnt 0x500
	v_dual_mul_f32 v93, v78, v43 :: v_dual_mul_f32 v95, v80, v45
	v_dual_mul_f32 v5, v79, v43 :: v_dual_mul_f32 v9, v81, v45
	s_wait_loadcnt 0x4
	v_pk_mul_f32 v[96:97], v[62:63], v[46:47] op_sel:[1,1] op_sel_hi:[0,1]
	s_wait_loadcnt 0x3
	v_dual_mov_b32 v98, v49 :: v_dual_mov_b32 v102, v53
	v_dual_fmac_f32 v93, v79, v42 :: v_dual_fmac_f32 v95, v81, v44
	v_fma_f32 v92, v78, v42, -v5
	v_fma_f32 v94, v80, v44, -v9
	v_pk_fma_f32 v[42:43], v[62:63], v[46:47], v[96:97] op_sel_hi:[1,0,1]
	v_pk_mul_f32 v[44:45], v[84:85], v[98:99] op_sel_hi:[1,0]
	v_pk_fma_f32 v[46:47], v[62:63], v[46:47], v[96:97] neg_lo:[0,0,1] neg_hi:[0,0,1]
	v_pk_mul_f32 v[100:101], v[66:67], v[50:51] op_sel:[1,1] op_sel_hi:[0,1]
	v_pk_mul_f32 v[84:85], v[86:87], v[102:103] op_sel_hi:[1,0]
	v_mov_b32_e32 v47, v43
	v_pk_add_f32 v[78:79], v[92:93], 0 op_sel_hi:[1,0]
	v_pk_fma_f32 v[42:43], v[64:65], v[48:49], v[44:45] op_sel_hi:[1,0,1]
	v_pk_fma_f32 v[44:45], v[64:65], v[48:49], v[44:45] neg_lo:[0,0,1] neg_hi:[0,0,1]
	s_wait_loadcnt 0x2
	v_pk_mul_f32 v[80:81], v[70:71], v[54:55] op_sel:[1,1] op_sel_hi:[0,1]
	v_pk_fma_f32 v[48:49], v[66:67], v[50:51], v[100:101] neg_lo:[0,0,1] neg_hi:[0,0,1]
	v_mov_b32_e32 v45, v43
	v_pk_add_f32 v[62:63], v[78:79], v[94:95]
	v_pk_fma_f32 v[78:79], v[66:67], v[50:51], v[100:101] op_sel_hi:[1,0,1]
	v_pk_fma_f32 v[50:51], v[68:69], v[52:53], v[84:85] op_sel_hi:[1,0,1]
	v_pk_fma_f32 v[52:53], v[68:69], v[52:53], v[84:85] neg_lo:[0,0,1] neg_hi:[0,0,1]
	s_delay_alu instid0(VALU_DEP_4) | instskip(NEXT) | instid1(VALU_DEP_4)
	v_pk_add_f32 v[42:43], v[62:63], v[46:47]
	v_dual_mov_b32 v46, v57 :: v_dual_mov_b32 v49, v79
	s_delay_alu instid0(VALU_DEP_2) | instskip(SKIP_1) | instid1(VALU_DEP_3)
	v_pk_add_f32 v[42:43], v[42:43], v[44:45]
	v_pk_fma_f32 v[44:45], v[70:71], v[54:55], v[80:81] op_sel_hi:[1,0,1]
	v_pk_mul_f32 v[46:47], v[88:89], v[46:47] op_sel_hi:[1,0]
	v_mov_b32_e32 v53, v51
	v_pk_fma_f32 v[50:51], v[70:71], v[54:55], v[80:81] neg_lo:[0,0,1] neg_hi:[0,0,1]
	v_pk_add_f32 v[42:43], v[42:43], v[48:49]
	v_mov_b32_e32 v51, v45
	v_pk_fma_f32 v[44:45], v[72:73], v[56:57], v[46:47] op_sel_hi:[1,0,1]
	s_wait_loadcnt 0x1
	v_pk_mul_f32 v[48:49], v[74:75], v[58:59] op_sel:[1,1] op_sel_hi:[0,1]
	v_mov_b32_e32 v44, v61
	v_pk_add_f32 v[42:43], v[42:43], v[52:53]
	v_pk_fma_f32 v[46:47], v[72:73], v[56:57], v[46:47] neg_lo:[0,0,1] neg_hi:[0,0,1]
	v_mov_b32_e32 v47, v45
	v_pk_fma_f32 v[52:53], v[74:75], v[58:59], v[48:49] op_sel_hi:[1,0,1]
	v_pk_mul_f32 v[44:45], v[90:91], v[44:45] op_sel_hi:[1,0]
	v_pk_add_f32 v[42:43], v[42:43], v[50:51]
	v_pk_fma_f32 v[48:49], v[74:75], v[58:59], v[48:49] neg_lo:[0,0,1] neg_hi:[0,0,1]
	s_delay_alu instid0(VALU_DEP_2) | instskip(NEXT) | instid1(VALU_DEP_4)
	v_pk_add_f32 v[42:43], v[42:43], v[46:47]
	v_pk_fma_f32 v[46:47], v[76:77], v[60:61], v[44:45] op_sel_hi:[1,0,1]
	v_mov_b32_e32 v49, v53
	v_pk_fma_f32 v[44:45], v[76:77], v[60:61], v[44:45] neg_lo:[0,0,1] neg_hi:[0,0,1]
	s_delay_alu instid0(VALU_DEP_3) | instskip(NEXT) | instid1(VALU_DEP_3)
	v_mov_b32_e32 v45, v47
	v_pk_add_f32 v[42:43], v[42:43], v[48:49]
	s_delay_alu instid0(VALU_DEP_1) | instskip(SKIP_1) | instid1(VALU_DEP_1)
	v_pk_add_f32 v[42:43], v[42:43], v[44:45]
	s_wait_loadcnt 0x0
	v_pk_add_f32 v[42:43], v[82:83], v[42:43] neg_lo:[0,1] neg_hi:[0,1]
	scratch_store_b64 off, v[42:43], off offset:72
	s_wait_xcnt 0x0
	v_cmpx_lt_u32_e32 8, v0
	s_cbranch_execz .LBB19_117
; %bb.116:
	scratch_load_b64 v[42:43], off, off offset:64
	v_mov_b64_e32 v[44:45], 0
	scratch_store_b64 off, v[44:45], off offset:64
	s_wait_loadcnt 0x0
	ds_store_b64 v1, v[42:43]
.LBB19_117:
	s_wait_xcnt 0x0
	s_or_b32 exec_lo, exec_lo, s0
	s_wait_storecnt_dscnt 0x0
	s_barrier_signal -1
	s_barrier_wait -1
	s_clause 0x6
	scratch_load_b128 v[42:45], off, off offset:72
	scratch_load_b128 v[46:49], off, off offset:88
	;; [unrolled: 1-line block ×5, first 2 shown]
	scratch_load_b64 v[82:83], off, off offset:152
	scratch_load_b64 v[84:85], off, off offset:64
	v_mov_b32_e32 v5, 0
	ds_load_2addr_b64 v[62:65], v5 offset0:31 offset1:32
	ds_load_2addr_b64 v[66:69], v5 offset0:33 offset1:34
	ds_load_2addr_b64 v[70:73], v5 offset0:35 offset1:36
	ds_load_2addr_b64 v[74:77], v5 offset0:37 offset1:38
	ds_load_2addr_b64 v[78:81], v5 offset0:29 offset1:30
	ds_load_b64 v[86:87], v5 offset:312
	s_mov_b32 s0, exec_lo
	s_wait_dscnt 0x5
	v_dual_mov_b32 v88, v65 :: v_dual_mov_b32 v89, v64
	s_wait_dscnt 0x2
	v_dual_mov_b32 v90, v69 :: v_dual_mov_b32 v95, v76
	v_dual_mov_b32 v91, v68 :: v_dual_mov_b32 v92, v73
	;; [unrolled: 1-line block ×3, first 2 shown]
	s_wait_loadcnt_dscnt 0x601
	v_dual_mul_f32 v9, v78, v43 :: v_dual_mul_f32 v11, v79, v43
	v_dual_mul_f32 v13, v81, v45 :: v_dual_mul_f32 v97, v80, v45
	s_wait_loadcnt 0x5
	v_dual_mul_f32 v99, v62, v47 :: v_dual_mul_f32 v15, v63, v47
	s_wait_loadcnt 0x4
	v_dual_mov_b32 v98, v49 :: v_dual_mov_b32 v102, v53
	v_dual_fmac_f32 v9, v79, v42 :: v_dual_fma_f32 v11, v78, v42, -v11
	v_fmac_f32_e32 v97, v81, v44
	v_pk_mul_f32 v[100:101], v[66:67], v[50:51] op_sel:[1,1] op_sel_hi:[0,1]
	s_delay_alu instid0(VALU_DEP_3)
	v_dual_fma_f32 v96, v80, v44, -v13 :: v_dual_add_f32 v45, 0, v9
	v_pk_mul_f32 v[42:43], v[88:89], v[98:99] op_sel_hi:[1,0]
	s_wait_loadcnt 0x3
	v_dual_add_f32 v44, 0, v11 :: v_dual_mov_b32 v78, v57
	v_fmac_f32_e32 v99, v63, v46
	v_fma_f32 v98, v62, v46, -v15
	v_pk_fma_f32 v[46:47], v[64:65], v[48:49], v[42:43] op_sel_hi:[1,0,1]
	s_delay_alu instid0(VALU_DEP_4) | instskip(SKIP_4) | instid1(VALU_DEP_4)
	v_pk_add_f32 v[44:45], v[44:45], v[96:97]
	v_pk_fma_f32 v[62:63], v[66:67], v[50:51], v[100:101] op_sel_hi:[1,0,1]
	v_pk_fma_f32 v[42:43], v[64:65], v[48:49], v[42:43] neg_lo:[0,0,1] neg_hi:[0,0,1]
	v_pk_fma_f32 v[48:49], v[66:67], v[50:51], v[100:101] neg_lo:[0,0,1] neg_hi:[0,0,1]
	v_pk_mul_f32 v[80:81], v[90:91], v[102:103] op_sel_hi:[1,0]
	v_dual_mov_b32 v43, v47 :: v_dual_mov_b32 v49, v63
	v_pk_add_f32 v[44:45], v[44:45], v[98:99]
	v_pk_mul_f32 v[104:105], v[70:71], v[54:55] op_sel:[1,1] op_sel_hi:[0,1]
	s_delay_alu instid0(VALU_DEP_4)
	v_pk_fma_f32 v[50:51], v[68:69], v[52:53], v[80:81] op_sel_hi:[1,0,1]
	v_pk_fma_f32 v[52:53], v[68:69], v[52:53], v[80:81] neg_lo:[0,0,1] neg_hi:[0,0,1]
	v_pk_mul_f32 v[62:63], v[92:93], v[78:79] op_sel_hi:[1,0]
	v_pk_add_f32 v[42:43], v[44:45], v[42:43]
	v_pk_fma_f32 v[44:45], v[70:71], v[54:55], v[104:105] op_sel_hi:[1,0,1]
	s_wait_loadcnt 0x2
	v_dual_mov_b32 v53, v51 :: v_dual_mov_b32 v44, v61
	v_pk_mul_f32 v[46:47], v[74:75], v[58:59] op_sel:[1,1] op_sel_hi:[0,1]
	v_pk_add_f32 v[42:43], v[42:43], v[48:49]
	v_pk_fma_f32 v[48:49], v[70:71], v[54:55], v[104:105] neg_lo:[0,0,1] neg_hi:[0,0,1]
	v_pk_fma_f32 v[50:51], v[72:73], v[56:57], v[62:63] op_sel_hi:[1,0,1]
	v_mov_b32_e32 v49, v45
	v_pk_fma_f32 v[54:55], v[72:73], v[56:57], v[62:63] neg_lo:[0,0,1] neg_hi:[0,0,1]
	v_pk_add_f32 v[42:43], v[42:43], v[52:53]
	v_pk_fma_f32 v[52:53], v[74:75], v[58:59], v[46:47] op_sel_hi:[1,0,1]
	v_pk_mul_f32 v[44:45], v[94:95], v[44:45] op_sel_hi:[1,0]
	v_mov_b32_e32 v55, v51
	v_pk_fma_f32 v[46:47], v[74:75], v[58:59], v[46:47] neg_lo:[0,0,1] neg_hi:[0,0,1]
	v_pk_add_f32 v[42:43], v[42:43], v[48:49]
	s_wait_loadcnt_dscnt 0x100
	v_pk_mul_f32 v[50:51], v[86:87], v[82:83] op_sel:[1,1] op_sel_hi:[0,1]
	v_pk_fma_f32 v[48:49], v[76:77], v[60:61], v[44:45] op_sel_hi:[1,0,1]
	v_mov_b32_e32 v47, v53
	v_pk_fma_f32 v[44:45], v[76:77], v[60:61], v[44:45] neg_lo:[0,0,1] neg_hi:[0,0,1]
	v_pk_add_f32 v[42:43], v[42:43], v[54:55]
	s_delay_alu instid0(VALU_DEP_4) | instskip(SKIP_1) | instid1(VALU_DEP_3)
	v_mov_b32_e32 v45, v49
	v_pk_fma_f32 v[48:49], v[86:87], v[82:83], v[50:51] neg_lo:[0,0,1] neg_hi:[0,0,1]
	v_pk_add_f32 v[42:43], v[42:43], v[46:47]
	v_pk_fma_f32 v[46:47], v[86:87], v[82:83], v[50:51] op_sel_hi:[1,0,1]
	s_delay_alu instid0(VALU_DEP_2) | instskip(NEXT) | instid1(VALU_DEP_2)
	v_pk_add_f32 v[42:43], v[42:43], v[44:45]
	v_mov_b32_e32 v49, v47
	s_delay_alu instid0(VALU_DEP_1) | instskip(SKIP_1) | instid1(VALU_DEP_1)
	v_pk_add_f32 v[42:43], v[42:43], v[48:49]
	s_wait_loadcnt 0x0
	v_pk_add_f32 v[42:43], v[84:85], v[42:43] neg_lo:[0,1] neg_hi:[0,1]
	scratch_store_b64 off, v[42:43], off offset:64
	s_wait_xcnt 0x0
	v_cmpx_lt_u32_e32 7, v0
	s_cbranch_execz .LBB19_119
; %bb.118:
	scratch_load_b64 v[42:43], off, off offset:56
	v_mov_b64_e32 v[44:45], 0
	scratch_store_b64 off, v[44:45], off offset:56
	s_wait_loadcnt 0x0
	ds_store_b64 v1, v[42:43]
.LBB19_119:
	s_wait_xcnt 0x0
	s_or_b32 exec_lo, exec_lo, s0
	s_wait_storecnt_dscnt 0x0
	s_barrier_signal -1
	s_barrier_wait -1
	s_clause 0x6
	scratch_load_b128 v[42:45], off, off offset:64
	scratch_load_b128 v[46:49], off, off offset:80
	;; [unrolled: 1-line block ×6, first 2 shown]
	scratch_load_b64 v[90:91], off, off offset:56
	ds_load_b128 v[66:69], v5 offset:256
	ds_load_b128 v[70:73], v5 offset:272
	;; [unrolled: 1-line block ×6, first 2 shown]
	s_mov_b32 s0, exec_lo
	s_wait_dscnt 0x5
	v_dual_mov_b32 v92, v69 :: v_dual_mov_b32 v93, v68
	s_wait_dscnt 0x4
	v_dual_mov_b32 v94, v73 :: v_dual_mov_b32 v95, v72
	;; [unrolled: 2-line block ×4, first 2 shown]
	s_wait_loadcnt_dscnt 0x601
	v_dual_mul_f32 v5, v82, v43 :: v_dual_mul_f32 v9, v84, v45
	v_dual_mul_f32 v11, v83, v43 :: v_dual_mul_f32 v13, v85, v45
	s_wait_loadcnt 0x4
	s_delay_alu instid0(VALU_DEP_2)
	v_dual_mov_b32 v106, v53 :: v_dual_fmac_f32 v5, v83, v42
	s_wait_dscnt 0x0
	v_dual_mul_f32 v101, v86, v47 :: v_dual_mul_f32 v103, v88, v49
	v_dual_fma_f32 v11, v82, v42, -v11 :: v_dual_fmac_f32 v9, v85, v44
	v_dual_mul_f32 v15, v87, v47 :: v_dual_mul_f32 v17, v89, v49
	v_dual_fma_f32 v13, v84, v44, -v13 :: v_dual_add_f32 v5, 0, v5
	s_wait_loadcnt 0x3
	s_delay_alu instid0(VALU_DEP_3) | instskip(SKIP_3) | instid1(VALU_DEP_4)
	v_dual_add_f32 v11, 0, v11 :: v_dual_mov_b32 v44, v57
	v_pk_mul_f32 v[104:105], v[66:67], v[50:51] op_sel:[1,1] op_sel_hi:[0,1]
	v_dual_fmac_f32 v101, v87, v46 :: v_dual_fma_f32 v100, v86, v46, -v15
	v_dual_add_f32 v47, v5, v9 :: v_dual_fma_f32 v102, v88, v48, -v17
	v_dual_add_f32 v46, v11, v13 :: v_dual_fmac_f32 v103, v89, v48
	s_delay_alu instid0(VALU_DEP_4) | instskip(SKIP_2) | instid1(VALU_DEP_4)
	v_pk_fma_f32 v[48:49], v[66:67], v[50:51], v[104:105] op_sel_hi:[1,0,1]
	v_pk_mul_f32 v[82:83], v[92:93], v[106:107] op_sel_hi:[1,0]
	v_pk_fma_f32 v[50:51], v[66:67], v[50:51], v[104:105] neg_lo:[0,0,1] neg_hi:[0,0,1]
	v_pk_add_f32 v[46:47], v[46:47], v[100:101]
	v_pk_mul_f32 v[42:43], v[70:71], v[54:55] op_sel:[1,1] op_sel_hi:[0,1]
	v_mov_b32_e32 v51, v49
	v_pk_fma_f32 v[48:49], v[68:69], v[52:53], v[82:83] op_sel_hi:[1,0,1]
	v_pk_fma_f32 v[52:53], v[68:69], v[52:53], v[82:83] neg_lo:[0,0,1] neg_hi:[0,0,1]
	v_pk_add_f32 v[46:47], v[46:47], v[102:103]
	v_pk_fma_f32 v[66:67], v[70:71], v[54:55], v[42:43] op_sel_hi:[1,0,1]
	v_pk_mul_f32 v[44:45], v[94:95], v[44:45] op_sel_hi:[1,0]
	v_mov_b32_e32 v53, v49
	v_pk_fma_f32 v[42:43], v[70:71], v[54:55], v[42:43] neg_lo:[0,0,1] neg_hi:[0,0,1]
	v_pk_add_f32 v[46:47], v[46:47], v[50:51]
	s_wait_loadcnt 0x2
	v_pk_mul_f32 v[84:85], v[74:75], v[58:59] op_sel:[1,1] op_sel_hi:[0,1]
	v_dual_mov_b32 v48, v61 :: v_dual_mov_b32 v43, v67
	v_pk_fma_f32 v[50:51], v[72:73], v[56:57], v[44:45] op_sel_hi:[1,0,1]
	v_pk_add_f32 v[46:47], v[46:47], v[52:53]
	v_pk_fma_f32 v[44:45], v[72:73], v[56:57], v[44:45] neg_lo:[0,0,1] neg_hi:[0,0,1]
	v_pk_fma_f32 v[52:53], v[74:75], v[58:59], v[84:85] op_sel_hi:[1,0,1]
	v_pk_mul_f32 v[48:49], v[96:97], v[48:49] op_sel_hi:[1,0]
	v_mov_b32_e32 v45, v51
	v_pk_add_f32 v[42:43], v[46:47], v[42:43]
	v_pk_fma_f32 v[50:51], v[74:75], v[58:59], v[84:85] neg_lo:[0,0,1] neg_hi:[0,0,1]
	s_wait_loadcnt 0x1
	v_pk_mul_f32 v[46:47], v[78:79], v[62:63] op_sel:[1,1] op_sel_hi:[0,1]
	v_mov_b32_e32 v51, v53
	v_pk_fma_f32 v[52:53], v[76:77], v[60:61], v[48:49] op_sel_hi:[1,0,1]
	v_pk_add_f32 v[42:43], v[42:43], v[44:45]
	v_mov_b32_e32 v44, v65
	v_pk_fma_f32 v[48:49], v[76:77], v[60:61], v[48:49] neg_lo:[0,0,1] neg_hi:[0,0,1]
	v_pk_fma_f32 v[54:55], v[78:79], v[62:63], v[46:47] op_sel_hi:[1,0,1]
	v_mov_b32_e32 v49, v53
	v_pk_add_f32 v[42:43], v[42:43], v[50:51]
	v_pk_mul_f32 v[44:45], v[98:99], v[44:45] op_sel_hi:[1,0]
	v_pk_fma_f32 v[46:47], v[78:79], v[62:63], v[46:47] neg_lo:[0,0,1] neg_hi:[0,0,1]
	s_delay_alu instid0(VALU_DEP_3) | instskip(NEXT) | instid1(VALU_DEP_3)
	v_pk_add_f32 v[42:43], v[42:43], v[48:49]
	v_pk_fma_f32 v[48:49], v[80:81], v[64:65], v[44:45] op_sel_hi:[1,0,1]
	v_mov_b32_e32 v47, v55
	v_pk_fma_f32 v[44:45], v[80:81], v[64:65], v[44:45] neg_lo:[0,0,1] neg_hi:[0,0,1]
	s_delay_alu instid0(VALU_DEP_3) | instskip(NEXT) | instid1(VALU_DEP_3)
	v_mov_b32_e32 v45, v49
	v_pk_add_f32 v[42:43], v[42:43], v[46:47]
	s_delay_alu instid0(VALU_DEP_1) | instskip(SKIP_1) | instid1(VALU_DEP_1)
	v_pk_add_f32 v[42:43], v[42:43], v[44:45]
	s_wait_loadcnt 0x0
	v_pk_add_f32 v[42:43], v[90:91], v[42:43] neg_lo:[0,1] neg_hi:[0,1]
	scratch_store_b64 off, v[42:43], off offset:56
	s_wait_xcnt 0x0
	v_cmpx_lt_u32_e32 6, v0
	s_cbranch_execz .LBB19_121
; %bb.120:
	scratch_load_b64 v[42:43], off, off offset:48
	v_mov_b64_e32 v[44:45], 0
	scratch_store_b64 off, v[44:45], off offset:48
	s_wait_loadcnt 0x0
	ds_store_b64 v1, v[42:43]
.LBB19_121:
	s_wait_xcnt 0x0
	s_or_b32 exec_lo, exec_lo, s0
	s_wait_storecnt_dscnt 0x0
	s_barrier_signal -1
	s_barrier_wait -1
	s_clause 0x7
	scratch_load_b128 v[42:45], off, off offset:56
	scratch_load_b128 v[46:49], off, off offset:72
	;; [unrolled: 1-line block ×6, first 2 shown]
	scratch_load_b64 v[90:91], off, off offset:152
	scratch_load_b64 v[92:93], off, off offset:48
	v_mov_b32_e32 v5, 0
	ds_load_2addr_b64 v[66:69], v5 offset0:31 offset1:32
	ds_load_2addr_b64 v[70:73], v5 offset0:33 offset1:34
	;; [unrolled: 1-line block ×6, first 2 shown]
	ds_load_b64 v[94:95], v5 offset:312
	s_mov_b32 s0, exec_lo
	s_wait_dscnt 0x6
	v_dual_mov_b32 v96, v69 :: v_dual_mov_b32 v97, v68
	s_wait_dscnt 0x3
	v_dual_mov_b32 v98, v73 :: v_dual_mov_b32 v103, v80
	v_dual_mov_b32 v99, v72 :: v_dual_mov_b32 v100, v77
	;; [unrolled: 1-line block ×3, first 2 shown]
	s_wait_loadcnt_dscnt 0x702
	v_dual_mul_f32 v9, v82, v43 :: v_dual_mul_f32 v15, v83, v43
	v_dual_mul_f32 v17, v85, v45 :: v_dual_mul_f32 v11, v84, v45
	s_wait_loadcnt_dscnt 0x601
	s_delay_alu instid0(VALU_DEP_2) | instskip(NEXT) | instid1(VALU_DEP_3)
	v_dual_mul_f32 v13, v86, v47 :: v_dual_fmac_f32 v9, v83, v42
	v_dual_fma_f32 v15, v82, v42, -v15 :: v_dual_mul_f32 v19, v87, v47
	v_mul_f32_e32 v21, v89, v49
	s_wait_loadcnt 0x4
	v_dual_mov_b32 v42, v57 :: v_dual_fma_f32 v17, v84, v44, -v17
	v_dual_fmac_f32 v11, v85, v44 :: v_dual_add_f32 v9, 0, v9
	v_dual_add_f32 v15, 0, v15 :: v_dual_fmac_f32 v13, v87, v46
	v_dual_mul_f32 v105, v88, v49 :: v_dual_mul_f32 v107, v66, v51
	v_dual_mul_f32 v23, v67, v51 :: v_dual_mov_b32 v106, v53
	s_delay_alu instid0(VALU_DEP_4) | instskip(NEXT) | instid1(VALU_DEP_3)
	v_dual_fma_f32 v19, v86, v46, -v19 :: v_dual_add_f32 v9, v9, v11
	v_dual_add_f32 v11, v15, v17 :: v_dual_fmac_f32 v105, v89, v48
	v_pk_mul_f32 v[108:109], v[70:71], v[54:55] op_sel:[1,1] op_sel_hi:[0,1]
	s_delay_alu instid0(VALU_DEP_3)
	v_dual_fma_f32 v104, v88, v48, -v21 :: v_dual_add_f32 v49, v9, v13
	v_pk_mul_f32 v[46:47], v[96:97], v[106:107] op_sel_hi:[1,0]
	s_wait_loadcnt 0x3
	v_dual_add_f32 v48, v11, v19 :: v_dual_mov_b32 v82, v61
	v_fmac_f32_e32 v107, v67, v50
	v_fma_f32 v106, v66, v50, -v23
	v_pk_fma_f32 v[50:51], v[68:69], v[52:53], v[46:47] op_sel_hi:[1,0,1]
	s_delay_alu instid0(VALU_DEP_4) | instskip(SKIP_4) | instid1(VALU_DEP_4)
	v_pk_add_f32 v[48:49], v[48:49], v[104:105]
	v_pk_fma_f32 v[66:67], v[70:71], v[54:55], v[108:109] op_sel_hi:[1,0,1]
	v_pk_fma_f32 v[46:47], v[68:69], v[52:53], v[46:47] neg_lo:[0,0,1] neg_hi:[0,0,1]
	v_pk_fma_f32 v[52:53], v[70:71], v[54:55], v[108:109] neg_lo:[0,0,1] neg_hi:[0,0,1]
	v_pk_mul_f32 v[42:43], v[98:99], v[42:43] op_sel_hi:[1,0]
	v_dual_mov_b32 v47, v51 :: v_dual_mov_b32 v53, v67
	v_pk_add_f32 v[48:49], v[48:49], v[106:107]
	v_pk_mul_f32 v[44:45], v[74:75], v[58:59] op_sel:[1,1] op_sel_hi:[0,1]
	s_delay_alu instid0(VALU_DEP_4)
	v_pk_fma_f32 v[54:55], v[72:73], v[56:57], v[42:43] op_sel_hi:[1,0,1]
	v_pk_fma_f32 v[42:43], v[72:73], v[56:57], v[42:43] neg_lo:[0,0,1] neg_hi:[0,0,1]
	v_pk_mul_f32 v[66:67], v[100:101], v[82:83] op_sel_hi:[1,0]
	v_pk_add_f32 v[46:47], v[48:49], v[46:47]
	v_pk_fma_f32 v[48:49], v[74:75], v[58:59], v[44:45] op_sel_hi:[1,0,1]
	s_wait_loadcnt 0x2
	v_dual_mov_b32 v43, v55 :: v_dual_mov_b32 v48, v65
	v_pk_fma_f32 v[44:45], v[74:75], v[58:59], v[44:45] neg_lo:[0,0,1] neg_hi:[0,0,1]
	v_pk_add_f32 v[46:47], v[46:47], v[52:53]
	v_pk_mul_f32 v[50:51], v[78:79], v[62:63] op_sel:[1,1] op_sel_hi:[0,1]
	v_pk_fma_f32 v[52:53], v[76:77], v[60:61], v[66:67] op_sel_hi:[1,0,1]
	v_mov_b32_e32 v45, v49
	v_pk_fma_f32 v[54:55], v[76:77], v[60:61], v[66:67] neg_lo:[0,0,1] neg_hi:[0,0,1]
	v_pk_add_f32 v[42:43], v[46:47], v[42:43]
	v_pk_fma_f32 v[46:47], v[78:79], v[62:63], v[50:51] op_sel_hi:[1,0,1]
	v_pk_mul_f32 v[48:49], v[102:103], v[48:49] op_sel_hi:[1,0]
	v_mov_b32_e32 v55, v53
	s_delay_alu instid0(VALU_DEP_4)
	v_pk_add_f32 v[42:43], v[42:43], v[44:45]
	v_pk_fma_f32 v[44:45], v[78:79], v[62:63], v[50:51] neg_lo:[0,0,1] neg_hi:[0,0,1]
	v_mov_b32_e32 v45, v47
	v_pk_fma_f32 v[46:47], v[80:81], v[64:65], v[48:49] op_sel_hi:[1,0,1]
	s_wait_loadcnt_dscnt 0x100
	v_pk_mul_f32 v[50:51], v[94:95], v[90:91] op_sel:[1,1] op_sel_hi:[0,1]
	v_pk_add_f32 v[42:43], v[42:43], v[54:55]
	v_pk_fma_f32 v[48:49], v[80:81], v[64:65], v[48:49] neg_lo:[0,0,1] neg_hi:[0,0,1]
	v_mov_b32_e32 v49, v47
	s_delay_alu instid0(VALU_DEP_4) | instskip(NEXT) | instid1(VALU_DEP_4)
	v_pk_fma_f32 v[46:47], v[94:95], v[90:91], v[50:51] neg_lo:[0,0,1] neg_hi:[0,0,1]
	v_pk_add_f32 v[42:43], v[42:43], v[44:45]
	v_pk_fma_f32 v[44:45], v[94:95], v[90:91], v[50:51] op_sel_hi:[1,0,1]
	s_delay_alu instid0(VALU_DEP_2) | instskip(NEXT) | instid1(VALU_DEP_2)
	v_pk_add_f32 v[42:43], v[42:43], v[48:49]
	v_mov_b32_e32 v47, v45
	s_delay_alu instid0(VALU_DEP_1) | instskip(SKIP_1) | instid1(VALU_DEP_1)
	v_pk_add_f32 v[42:43], v[42:43], v[46:47]
	s_wait_loadcnt 0x0
	v_pk_add_f32 v[42:43], v[92:93], v[42:43] neg_lo:[0,1] neg_hi:[0,1]
	scratch_store_b64 off, v[42:43], off offset:48
	s_wait_xcnt 0x0
	v_cmpx_lt_u32_e32 5, v0
	s_cbranch_execz .LBB19_123
; %bb.122:
	scratch_load_b64 v[42:43], off, off offset:40
	v_mov_b64_e32 v[44:45], 0
	scratch_store_b64 off, v[44:45], off offset:40
	s_wait_loadcnt 0x0
	ds_store_b64 v1, v[42:43]
.LBB19_123:
	s_wait_xcnt 0x0
	s_or_b32 exec_lo, exec_lo, s0
	s_wait_storecnt_dscnt 0x0
	s_barrier_signal -1
	s_barrier_wait -1
	s_clause 0x7
	scratch_load_b128 v[42:45], off, off offset:48
	scratch_load_b128 v[46:49], off, off offset:64
	;; [unrolled: 1-line block ×7, first 2 shown]
	scratch_load_b64 v[98:99], off, off offset:40
	ds_load_b128 v[70:73], v5 offset:256
	ds_load_b128 v[74:77], v5 offset:272
	;; [unrolled: 1-line block ×7, first 2 shown]
	s_mov_b32 s0, exec_lo
	s_wait_dscnt 0x6
	v_dual_mov_b32 v100, v73 :: v_dual_mov_b32 v101, v72
	s_wait_dscnt 0x5
	v_dual_mov_b32 v102, v77 :: v_dual_mov_b32 v103, v76
	;; [unrolled: 2-line block ×4, first 2 shown]
	s_wait_loadcnt_dscnt 0x702
	v_dual_mul_f32 v5, v86, v43 :: v_dual_mul_f32 v9, v88, v45
	v_dual_mul_f32 v15, v87, v43 :: v_dual_mul_f32 v17, v89, v45
	s_wait_loadcnt_dscnt 0x601
	v_dual_mul_f32 v11, v90, v47 :: v_dual_mul_f32 v13, v92, v49
	s_delay_alu instid0(VALU_DEP_2) | instskip(SKIP_1) | instid1(VALU_DEP_2)
	v_dual_fmac_f32 v5, v87, v42 :: v_dual_fma_f32 v15, v86, v42, -v15
	v_dual_mul_f32 v19, v91, v47 :: v_dual_mul_f32 v21, v93, v49
	v_dual_fmac_f32 v9, v89, v44 :: v_dual_add_f32 v5, 0, v5
	s_delay_alu instid0(VALU_DEP_3) | instskip(SKIP_2) | instid1(VALU_DEP_3)
	v_dual_fma_f32 v17, v88, v44, -v17 :: v_dual_add_f32 v15, 0, v15
	s_wait_loadcnt 0x4
	v_dual_mov_b32 v44, v57 :: v_dual_fmac_f32 v11, v91, v46
	v_dual_fma_f32 v19, v90, v46, -v19 :: v_dual_add_f32 v5, v5, v9
	s_delay_alu instid0(VALU_DEP_3)
	v_dual_add_f32 v9, v15, v17 :: v_dual_fmac_f32 v13, v93, v48
	s_wait_dscnt 0x0
	v_dual_mul_f32 v109, v94, v51 :: v_dual_mul_f32 v111, v96, v53
	v_dual_mul_f32 v23, v95, v51 :: v_dual_mul_f32 v25, v97, v53
	v_pk_mul_f32 v[42:43], v[70:71], v[54:55] op_sel:[1,1] op_sel_hi:[0,1]
	s_wait_loadcnt 0x3
	v_pk_mul_f32 v[46:47], v[74:75], v[58:59] op_sel:[1,1] op_sel_hi:[0,1]
	v_dual_fma_f32 v15, v92, v48, -v21 :: v_dual_add_f32 v5, v5, v11
	v_dual_add_f32 v9, v9, v19 :: v_dual_fmac_f32 v109, v95, v50
	v_dual_mov_b32 v48, v61 :: v_dual_fma_f32 v108, v94, v50, -v23
	s_delay_alu instid0(VALU_DEP_3)
	v_dual_add_f32 v51, v5, v13 :: v_dual_fma_f32 v110, v96, v52, -v25
	v_fmac_f32_e32 v111, v97, v52
	v_pk_fma_f32 v[52:53], v[70:71], v[54:55], v[42:43] op_sel_hi:[1,0,1]
	v_pk_fma_f32 v[42:43], v[70:71], v[54:55], v[42:43] neg_lo:[0,0,1] neg_hi:[0,0,1]
	v_pk_fma_f32 v[54:55], v[74:75], v[58:59], v[46:47] op_sel_hi:[1,0,1]
	v_add_f32_e32 v50, v9, v15
	v_pk_fma_f32 v[46:47], v[74:75], v[58:59], v[46:47] neg_lo:[0,0,1] neg_hi:[0,0,1]
	v_pk_mul_f32 v[44:45], v[100:101], v[44:45] op_sel_hi:[1,0]
	s_delay_alu instid0(VALU_DEP_4) | instskip(NEXT) | instid1(VALU_DEP_4)
	v_dual_mov_b32 v43, v53 :: v_dual_mov_b32 v47, v55
	v_pk_add_f32 v[50:51], v[50:51], v[108:109]
	v_pk_mul_f32 v[48:49], v[102:103], v[48:49] op_sel_hi:[1,0]
	s_delay_alu instid0(VALU_DEP_4)
	v_pk_fma_f32 v[52:53], v[72:73], v[56:57], v[44:45] op_sel_hi:[1,0,1]
	v_pk_fma_f32 v[44:45], v[72:73], v[56:57], v[44:45] neg_lo:[0,0,1] neg_hi:[0,0,1]
	s_wait_loadcnt 0x2
	v_pk_mul_f32 v[86:87], v[78:79], v[62:63] op_sel:[1,1] op_sel_hi:[0,1]
	v_pk_add_f32 v[50:51], v[50:51], v[110:111]
	v_mov_b32_e32 v45, v53
	v_pk_fma_f32 v[52:53], v[76:77], v[60:61], v[48:49] op_sel_hi:[1,0,1]
	v_pk_fma_f32 v[48:49], v[76:77], v[60:61], v[48:49] neg_lo:[0,0,1] neg_hi:[0,0,1]
	s_delay_alu instid0(VALU_DEP_4) | instskip(NEXT) | instid1(VALU_DEP_3)
	v_pk_add_f32 v[42:43], v[50:51], v[42:43]
	v_dual_mov_b32 v50, v65 :: v_dual_mov_b32 v49, v53
	v_pk_fma_f32 v[52:53], v[78:79], v[62:63], v[86:87] neg_lo:[0,0,1] neg_hi:[0,0,1]
	s_delay_alu instid0(VALU_DEP_3) | instskip(SKIP_1) | instid1(VALU_DEP_4)
	v_pk_add_f32 v[42:43], v[42:43], v[44:45]
	v_pk_fma_f32 v[44:45], v[78:79], v[62:63], v[86:87] op_sel_hi:[1,0,1]
	v_pk_mul_f32 v[50:51], v[104:105], v[50:51] op_sel_hi:[1,0]
	s_delay_alu instid0(VALU_DEP_3) | instskip(NEXT) | instid1(VALU_DEP_3)
	v_pk_add_f32 v[42:43], v[42:43], v[46:47]
	v_mov_b32_e32 v53, v45
	s_delay_alu instid0(VALU_DEP_3)
	v_pk_fma_f32 v[44:45], v[80:81], v[64:65], v[50:51] op_sel_hi:[1,0,1]
	s_wait_loadcnt 0x1
	v_pk_mul_f32 v[46:47], v[82:83], v[66:67] op_sel:[1,1] op_sel_hi:[0,1]
	v_mov_b32_e32 v44, v69
	v_pk_add_f32 v[42:43], v[42:43], v[48:49]
	v_pk_fma_f32 v[50:51], v[80:81], v[64:65], v[50:51] neg_lo:[0,0,1] neg_hi:[0,0,1]
	s_delay_alu instid0(VALU_DEP_4) | instskip(SKIP_1) | instid1(VALU_DEP_4)
	v_pk_fma_f32 v[48:49], v[82:83], v[66:67], v[46:47] op_sel_hi:[1,0,1]
	v_mov_b32_e32 v51, v45
	v_pk_add_f32 v[42:43], v[42:43], v[52:53]
	v_pk_mul_f32 v[44:45], v[106:107], v[44:45] op_sel_hi:[1,0]
	v_pk_fma_f32 v[46:47], v[82:83], v[66:67], v[46:47] neg_lo:[0,0,1] neg_hi:[0,0,1]
	v_mov_b32_e32 v47, v49
	s_delay_alu instid0(VALU_DEP_4) | instskip(NEXT) | instid1(VALU_DEP_4)
	v_pk_add_f32 v[42:43], v[42:43], v[50:51]
	v_pk_fma_f32 v[48:49], v[84:85], v[68:69], v[44:45] op_sel_hi:[1,0,1]
	v_pk_fma_f32 v[44:45], v[84:85], v[68:69], v[44:45] neg_lo:[0,0,1] neg_hi:[0,0,1]
	s_delay_alu instid0(VALU_DEP_3) | instskip(NEXT) | instid1(VALU_DEP_3)
	v_pk_add_f32 v[42:43], v[42:43], v[46:47]
	v_mov_b32_e32 v45, v49
	s_delay_alu instid0(VALU_DEP_1) | instskip(SKIP_1) | instid1(VALU_DEP_1)
	v_pk_add_f32 v[42:43], v[42:43], v[44:45]
	s_wait_loadcnt 0x0
	v_pk_add_f32 v[42:43], v[98:99], v[42:43] neg_lo:[0,1] neg_hi:[0,1]
	scratch_store_b64 off, v[42:43], off offset:40
	s_wait_xcnt 0x0
	v_cmpx_lt_u32_e32 4, v0
	s_cbranch_execz .LBB19_125
; %bb.124:
	scratch_load_b64 v[42:43], off, off offset:32
	v_mov_b64_e32 v[44:45], 0
	scratch_store_b64 off, v[44:45], off offset:32
	s_wait_loadcnt 0x0
	ds_store_b64 v1, v[42:43]
.LBB19_125:
	s_wait_xcnt 0x0
	s_or_b32 exec_lo, exec_lo, s0
	s_wait_storecnt_dscnt 0x0
	s_barrier_signal -1
	s_barrier_wait -1
	s_clause 0x8
	scratch_load_b128 v[42:45], off, off offset:40
	scratch_load_b128 v[46:49], off, off offset:56
	;; [unrolled: 1-line block ×7, first 2 shown]
	scratch_load_b64 v[98:99], off, off offset:152
	scratch_load_b64 v[100:101], off, off offset:32
	v_mov_b32_e32 v5, 0
	ds_load_2addr_b64 v[70:73], v5 offset0:31 offset1:32
	ds_load_2addr_b64 v[74:77], v5 offset0:33 offset1:34
	;; [unrolled: 1-line block ×7, first 2 shown]
	ds_load_b64 v[102:103], v5 offset:312
	s_mov_b32 s0, exec_lo
	s_wait_dscnt 0x7
	v_dual_mov_b32 v104, v73 :: v_dual_mov_b32 v105, v72
	s_wait_dscnt 0x4
	v_dual_mov_b32 v106, v77 :: v_dual_mov_b32 v111, v84
	v_dual_mov_b32 v107, v76 :: v_dual_mov_b32 v108, v81
	;; [unrolled: 1-line block ×3, first 2 shown]
	s_wait_loadcnt_dscnt 0x803
	v_dual_mul_f32 v9, v86, v43 :: v_dual_mul_f32 v19, v87, v43
	v_dual_mul_f32 v21, v89, v45 :: v_dual_mul_f32 v11, v88, v45
	s_wait_loadcnt_dscnt 0x702
	v_mul_f32_e32 v13, v90, v47
	s_wait_loadcnt 0x5
	v_dual_mul_f32 v31, v71, v55 :: v_dual_fma_f32 v19, v86, v42, -v19
	v_dual_fmac_f32 v9, v87, v42 :: v_dual_mov_b32 v42, v57
	v_dual_mul_f32 v23, v91, v47 :: v_dual_mul_f32 v25, v93, v49
	v_dual_fmac_f32 v11, v89, v44 :: v_dual_fma_f32 v21, v88, v44, -v21
	s_delay_alu instid0(VALU_DEP_3) | instskip(SKIP_3) | instid1(VALU_DEP_3)
	v_dual_add_f32 v9, 0, v9 :: v_dual_add_f32 v19, 0, v19
	s_wait_dscnt 0x1
	v_dual_mul_f32 v15, v92, v49 :: v_dual_mul_f32 v17, v94, v51
	v_dual_fmac_f32 v13, v91, v46 :: v_dual_fma_f32 v23, v90, v46, -v23
	v_dual_add_f32 v9, v9, v11 :: v_dual_add_f32 v11, v19, v21
	v_dual_mul_f32 v27, v95, v51 :: v_dual_mul_f32 v29, v97, v53
	s_wait_loadcnt 0x4
	v_dual_mov_b32 v46, v61 :: v_dual_fma_f32 v19, v92, v48, -v25
	s_delay_alu instid0(VALU_DEP_3) | instskip(SKIP_2) | instid1(VALU_DEP_2)
	v_dual_fmac_f32 v15, v93, v48 :: v_dual_add_f32 v11, v11, v23
	v_dual_add_f32 v9, v9, v13 :: v_dual_fmac_f32 v17, v95, v50
	v_dual_mul_f32 v113, v96, v53 :: v_dual_mul_f32 v115, v70, v55
	v_dual_fma_f32 v13, v94, v50, -v27 :: v_dual_add_f32 v9, v9, v15
	s_delay_alu instid0(VALU_DEP_2) | instskip(SKIP_1) | instid1(VALU_DEP_3)
	v_dual_add_f32 v11, v11, v19 :: v_dual_fmac_f32 v113, v97, v52
	v_pk_mul_f32 v[44:45], v[74:75], v[58:59] op_sel:[1,1] op_sel_hi:[0,1]
	v_dual_fma_f32 v112, v96, v52, -v29 :: v_dual_add_f32 v51, v9, v17
	v_pk_mul_f32 v[42:43], v[104:105], v[42:43] op_sel_hi:[1,0]
	s_wait_loadcnt 0x3
	v_dual_add_f32 v50, v11, v13 :: v_dual_mov_b32 v52, v65
	v_fmac_f32_e32 v115, v71, v54
	v_fma_f32 v114, v70, v54, -v31
	v_pk_fma_f32 v[54:55], v[72:73], v[56:57], v[42:43] op_sel_hi:[1,0,1]
	s_delay_alu instid0(VALU_DEP_4) | instskip(SKIP_4) | instid1(VALU_DEP_4)
	v_pk_add_f32 v[50:51], v[50:51], v[112:113]
	v_pk_fma_f32 v[70:71], v[74:75], v[58:59], v[44:45] op_sel_hi:[1,0,1]
	v_pk_fma_f32 v[42:43], v[72:73], v[56:57], v[42:43] neg_lo:[0,0,1] neg_hi:[0,0,1]
	v_pk_fma_f32 v[44:45], v[74:75], v[58:59], v[44:45] neg_lo:[0,0,1] neg_hi:[0,0,1]
	v_pk_mul_f32 v[46:47], v[106:107], v[46:47] op_sel_hi:[1,0]
	v_dual_mov_b32 v43, v55 :: v_dual_mov_b32 v45, v71
	v_pk_add_f32 v[50:51], v[50:51], v[114:115]
	v_pk_mul_f32 v[48:49], v[78:79], v[62:63] op_sel:[1,1] op_sel_hi:[0,1]
	s_delay_alu instid0(VALU_DEP_4)
	v_pk_fma_f32 v[56:57], v[76:77], v[60:61], v[46:47] op_sel_hi:[1,0,1]
	v_pk_fma_f32 v[46:47], v[76:77], v[60:61], v[46:47] neg_lo:[0,0,1] neg_hi:[0,0,1]
	v_pk_mul_f32 v[52:53], v[108:109], v[52:53] op_sel_hi:[1,0]
	v_pk_add_f32 v[42:43], v[50:51], v[42:43]
	v_pk_fma_f32 v[50:51], v[78:79], v[62:63], v[48:49] op_sel_hi:[1,0,1]
	v_mov_b32_e32 v47, v57
	v_pk_fma_f32 v[48:49], v[78:79], v[62:63], v[48:49] neg_lo:[0,0,1] neg_hi:[0,0,1]
	s_wait_loadcnt 0x2
	v_pk_mul_f32 v[54:55], v[82:83], v[66:67] op_sel:[1,1] op_sel_hi:[0,1]
	v_pk_add_f32 v[42:43], v[42:43], v[44:45]
	v_dual_mov_b32 v44, v69 :: v_dual_mov_b32 v49, v51
	v_pk_fma_f32 v[50:51], v[80:81], v[64:65], v[52:53] op_sel_hi:[1,0,1]
	v_pk_fma_f32 v[52:53], v[80:81], v[64:65], v[52:53] neg_lo:[0,0,1] neg_hi:[0,0,1]
	s_delay_alu instid0(VALU_DEP_4)
	v_pk_add_f32 v[42:43], v[42:43], v[46:47]
	v_pk_fma_f32 v[46:47], v[82:83], v[66:67], v[54:55] op_sel_hi:[1,0,1]
	v_pk_mul_f32 v[44:45], v[110:111], v[44:45] op_sel_hi:[1,0]
	v_mov_b32_e32 v53, v51
	s_wait_loadcnt_dscnt 0x100
	v_pk_mul_f32 v[50:51], v[102:103], v[98:99] op_sel:[1,1] op_sel_hi:[0,1]
	v_pk_add_f32 v[42:43], v[42:43], v[48:49]
	v_pk_fma_f32 v[48:49], v[82:83], v[66:67], v[54:55] neg_lo:[0,0,1] neg_hi:[0,0,1]
	v_mov_b32_e32 v49, v47
	v_pk_fma_f32 v[46:47], v[84:85], v[68:69], v[44:45] op_sel_hi:[1,0,1]
	v_pk_fma_f32 v[44:45], v[84:85], v[68:69], v[44:45] neg_lo:[0,0,1] neg_hi:[0,0,1]
	v_pk_add_f32 v[42:43], v[42:43], v[52:53]
	s_delay_alu instid0(VALU_DEP_3) | instskip(SKIP_1) | instid1(VALU_DEP_3)
	v_mov_b32_e32 v45, v47
	v_pk_fma_f32 v[46:47], v[102:103], v[98:99], v[50:51] op_sel_hi:[1,0,1]
	v_pk_add_f32 v[42:43], v[42:43], v[48:49]
	v_pk_fma_f32 v[48:49], v[102:103], v[98:99], v[50:51] neg_lo:[0,0,1] neg_hi:[0,0,1]
	s_delay_alu instid0(VALU_DEP_3) | instskip(NEXT) | instid1(VALU_DEP_3)
	v_mov_b32_e32 v49, v47
	v_pk_add_f32 v[42:43], v[42:43], v[44:45]
	s_delay_alu instid0(VALU_DEP_1) | instskip(SKIP_1) | instid1(VALU_DEP_1)
	v_pk_add_f32 v[42:43], v[42:43], v[48:49]
	s_wait_loadcnt 0x0
	v_pk_add_f32 v[42:43], v[100:101], v[42:43] neg_lo:[0,1] neg_hi:[0,1]
	scratch_store_b64 off, v[42:43], off offset:32
	s_wait_xcnt 0x0
	v_cmpx_lt_u32_e32 3, v0
	s_cbranch_execz .LBB19_127
; %bb.126:
	scratch_load_b64 v[42:43], off, off offset:24
	v_mov_b64_e32 v[44:45], 0
	scratch_store_b64 off, v[44:45], off offset:24
	s_wait_loadcnt 0x0
	ds_store_b64 v1, v[42:43]
.LBB19_127:
	s_wait_xcnt 0x0
	s_or_b32 exec_lo, exec_lo, s0
	s_wait_storecnt_dscnt 0x0
	s_barrier_signal -1
	s_barrier_wait -1
	s_clause 0x8
	scratch_load_b128 v[42:45], off, off offset:32
	scratch_load_b128 v[46:49], off, off offset:48
	;; [unrolled: 1-line block ×8, first 2 shown]
	scratch_load_b64 v[106:107], off, off offset:24
	ds_load_b128 v[74:77], v5 offset:256
	ds_load_b128 v[78:81], v5 offset:272
	;; [unrolled: 1-line block ×8, first 2 shown]
	s_mov_b32 s0, exec_lo
	s_wait_dscnt 0x7
	v_dual_mov_b32 v108, v77 :: v_dual_mov_b32 v109, v76
	s_wait_dscnt 0x6
	v_dual_mov_b32 v110, v81 :: v_dual_mov_b32 v111, v80
	;; [unrolled: 2-line block ×4, first 2 shown]
	s_wait_loadcnt_dscnt 0x803
	v_dual_mul_f32 v5, v90, v43 :: v_dual_mul_f32 v9, v92, v45
	v_dual_mul_f32 v19, v91, v43 :: v_dual_mul_f32 v21, v93, v45
	s_wait_loadcnt_dscnt 0x702
	v_dual_mul_f32 v11, v94, v47 :: v_dual_mul_f32 v13, v96, v49
	s_delay_alu instid0(VALU_DEP_2) | instskip(SKIP_3) | instid1(VALU_DEP_3)
	v_dual_fmac_f32 v5, v91, v42 :: v_dual_fma_f32 v19, v90, v42, -v19
	v_dual_mul_f32 v23, v95, v47 :: v_dual_mul_f32 v25, v97, v49
	s_wait_loadcnt_dscnt 0x500
	v_dual_mul_f32 v31, v103, v55 :: v_dual_fmac_f32 v9, v93, v44
	v_dual_fma_f32 v21, v92, v44, -v21 :: v_dual_add_f32 v5, 0, v5
	v_dual_add_f32 v19, 0, v19 :: v_dual_mul_f32 v33, v105, v57
	v_fmac_f32_e32 v11, v95, v46
	s_delay_alu instid0(VALU_DEP_3) | instskip(NEXT) | instid1(VALU_DEP_3)
	v_dual_fma_f32 v23, v94, v46, -v23 :: v_dual_add_f32 v5, v5, v9
	v_dual_add_f32 v9, v19, v21 :: v_dual_mul_f32 v15, v98, v51
	v_dual_mul_f32 v17, v100, v53 :: v_dual_mul_f32 v27, v99, v51
	v_mul_f32_e32 v29, v101, v53
	s_delay_alu instid0(VALU_DEP_3) | instskip(SKIP_1) | instid1(VALU_DEP_4)
	v_dual_fmac_f32 v13, v97, v48 :: v_dual_fmac_f32 v15, v99, v50
	v_dual_fma_f32 v19, v96, v48, -v25 :: v_dual_add_f32 v5, v5, v11
	v_dual_add_f32 v9, v9, v23 :: v_dual_fma_f32 v11, v98, v50, -v27
	v_dual_mul_f32 v117, v102, v55 :: v_dual_mul_f32 v119, v104, v57
	s_delay_alu instid0(VALU_DEP_3) | instskip(NEXT) | instid1(VALU_DEP_3)
	v_add_f32_e32 v5, v5, v13
	v_dual_add_f32 v9, v9, v19 :: v_dual_fma_f32 v116, v102, v54, -v31
	s_wait_loadcnt 0x4
	v_dual_mov_b32 v44, v61 :: v_dual_fma_f32 v13, v100, v52, -v29
	v_fmac_f32_e32 v17, v101, v52
	s_delay_alu instid0(VALU_DEP_3) | instskip(SKIP_2) | instid1(VALU_DEP_3)
	v_dual_add_f32 v9, v9, v11 :: v_dual_fmac_f32 v117, v103, v54
	v_dual_add_f32 v5, v5, v15 :: v_dual_fma_f32 v118, v104, v56, -v33
	v_pk_mul_f32 v[42:43], v[74:75], v[58:59] op_sel:[1,1] op_sel_hi:[0,1]
	v_add_f32_e32 v50, v9, v13
	v_fmac_f32_e32 v119, v105, v56
	s_delay_alu instid0(VALU_DEP_4)
	v_add_f32_e32 v51, v5, v17
	v_pk_mul_f32 v[44:45], v[108:109], v[44:45] op_sel_hi:[1,0]
	v_pk_fma_f32 v[52:53], v[74:75], v[58:59], v[42:43] op_sel_hi:[1,0,1]
	v_pk_fma_f32 v[42:43], v[74:75], v[58:59], v[42:43] neg_lo:[0,0,1] neg_hi:[0,0,1]
	s_wait_loadcnt 0x3
	v_pk_mul_f32 v[46:47], v[78:79], v[62:63] op_sel:[1,1] op_sel_hi:[0,1]
	v_pk_add_f32 v[50:51], v[50:51], v[116:117]
	v_dual_mov_b32 v48, v65 :: v_dual_mov_b32 v43, v53
	v_pk_fma_f32 v[52:53], v[76:77], v[60:61], v[44:45] op_sel_hi:[1,0,1]
	v_pk_fma_f32 v[44:45], v[76:77], v[60:61], v[44:45] neg_lo:[0,0,1] neg_hi:[0,0,1]
	s_delay_alu instid0(VALU_DEP_4)
	v_pk_add_f32 v[50:51], v[50:51], v[118:119]
	v_pk_fma_f32 v[56:57], v[78:79], v[62:63], v[46:47] op_sel_hi:[1,0,1]
	v_pk_mul_f32 v[48:49], v[110:111], v[48:49] op_sel_hi:[1,0]
	v_mov_b32_e32 v45, v53
	s_wait_loadcnt 0x2
	v_pk_mul_f32 v[54:55], v[82:83], v[66:67] op_sel:[1,1] op_sel_hi:[0,1]
	v_pk_add_f32 v[42:43], v[50:51], v[42:43]
	v_mov_b32_e32 v50, v69
	v_pk_fma_f32 v[46:47], v[78:79], v[62:63], v[46:47] neg_lo:[0,0,1] neg_hi:[0,0,1]
	v_pk_fma_f32 v[52:53], v[80:81], v[64:65], v[48:49] op_sel_hi:[1,0,1]
	v_mov_b32_e32 v47, v57
	v_pk_add_f32 v[42:43], v[42:43], v[44:45]
	v_pk_fma_f32 v[44:45], v[82:83], v[66:67], v[54:55] op_sel_hi:[1,0,1]
	v_pk_mul_f32 v[50:51], v[112:113], v[50:51] op_sel_hi:[1,0]
	v_pk_fma_f32 v[48:49], v[80:81], v[64:65], v[48:49] neg_lo:[0,0,1] neg_hi:[0,0,1]
	v_mov_b32_e32 v49, v53
	v_pk_add_f32 v[42:43], v[42:43], v[46:47]
	v_pk_fma_f32 v[52:53], v[82:83], v[66:67], v[54:55] neg_lo:[0,0,1] neg_hi:[0,0,1]
	v_mov_b32_e32 v53, v45
	v_pk_fma_f32 v[44:45], v[84:85], v[68:69], v[50:51] op_sel_hi:[1,0,1]
	s_wait_loadcnt 0x1
	v_pk_mul_f32 v[46:47], v[86:87], v[70:71] op_sel:[1,1] op_sel_hi:[0,1]
	v_pk_add_f32 v[42:43], v[42:43], v[48:49]
	v_mov_b32_e32 v44, v73
	v_pk_fma_f32 v[50:51], v[84:85], v[68:69], v[50:51] neg_lo:[0,0,1] neg_hi:[0,0,1]
	s_delay_alu instid0(VALU_DEP_4)
	v_pk_fma_f32 v[48:49], v[86:87], v[70:71], v[46:47] op_sel_hi:[1,0,1]
	v_mov_b32_e32 v51, v45
	v_pk_add_f32 v[42:43], v[42:43], v[52:53]
	v_pk_mul_f32 v[44:45], v[114:115], v[44:45] op_sel_hi:[1,0]
	v_pk_fma_f32 v[46:47], v[86:87], v[70:71], v[46:47] neg_lo:[0,0,1] neg_hi:[0,0,1]
	v_mov_b32_e32 v47, v49
	s_delay_alu instid0(VALU_DEP_4) | instskip(NEXT) | instid1(VALU_DEP_4)
	v_pk_add_f32 v[42:43], v[42:43], v[50:51]
	v_pk_fma_f32 v[48:49], v[88:89], v[72:73], v[44:45] op_sel_hi:[1,0,1]
	v_pk_fma_f32 v[44:45], v[88:89], v[72:73], v[44:45] neg_lo:[0,0,1] neg_hi:[0,0,1]
	s_delay_alu instid0(VALU_DEP_3) | instskip(NEXT) | instid1(VALU_DEP_3)
	v_pk_add_f32 v[42:43], v[42:43], v[46:47]
	v_mov_b32_e32 v45, v49
	s_delay_alu instid0(VALU_DEP_1) | instskip(SKIP_1) | instid1(VALU_DEP_1)
	v_pk_add_f32 v[42:43], v[42:43], v[44:45]
	s_wait_loadcnt 0x0
	v_pk_add_f32 v[42:43], v[106:107], v[42:43] neg_lo:[0,1] neg_hi:[0,1]
	scratch_store_b64 off, v[42:43], off offset:24
	s_wait_xcnt 0x0
	v_cmpx_lt_u32_e32 2, v0
	s_cbranch_execz .LBB19_129
; %bb.128:
	scratch_load_b64 v[42:43], off, off offset:16
	v_mov_b64_e32 v[44:45], 0
	scratch_store_b64 off, v[44:45], off offset:16
	s_wait_loadcnt 0x0
	ds_store_b64 v1, v[42:43]
.LBB19_129:
	s_wait_xcnt 0x0
	s_or_b32 exec_lo, exec_lo, s0
	s_wait_storecnt_dscnt 0x0
	s_barrier_signal -1
	s_barrier_wait -1
	s_clause 0x9
	scratch_load_b128 v[42:45], off, off offset:24
	scratch_load_b128 v[46:49], off, off offset:40
	;; [unrolled: 1-line block ×8, first 2 shown]
	scratch_load_b64 v[106:107], off, off offset:152
	scratch_load_b64 v[108:109], off, off offset:16
	v_mov_b32_e32 v15, 0
	ds_load_2addr_b64 v[74:77], v15 offset0:31 offset1:32
	ds_load_2addr_b64 v[78:81], v15 offset0:33 offset1:34
	;; [unrolled: 1-line block ×8, first 2 shown]
	ds_load_b64 v[110:111], v15 offset:312
	s_mov_b32 s0, exec_lo
	s_wait_dscnt 0x8
	v_dual_mov_b32 v112, v77 :: v_dual_mov_b32 v113, v76
	s_wait_dscnt 0x5
	v_dual_mov_b32 v114, v81 :: v_dual_mov_b32 v119, v88
	v_dual_mov_b32 v115, v80 :: v_dual_mov_b32 v116, v85
	;; [unrolled: 1-line block ×3, first 2 shown]
	s_wait_loadcnt_dscnt 0x904
	v_dual_mul_f32 v5, v90, v43 :: v_dual_mul_f32 v23, v91, v43
	v_dual_mul_f32 v25, v93, v45 :: v_dual_mul_f32 v9, v92, v45
	s_wait_loadcnt_dscnt 0x803
	v_mul_f32_e32 v11, v94, v47
	s_wait_loadcnt_dscnt 0x601
	v_dual_mul_f32 v35, v103, v55 :: v_dual_fma_f32 v23, v90, v42, -v23
	v_dual_fmac_f32 v5, v91, v42 :: v_dual_mul_f32 v37, v105, v57
	v_dual_mul_f32 v27, v95, v47 :: v_dual_mul_f32 v29, v97, v49
	s_delay_alu instid0(VALU_DEP_2) | instskip(NEXT) | instid1(VALU_DEP_4)
	v_dual_fmac_f32 v9, v93, v44 :: v_dual_add_f32 v5, 0, v5
	v_dual_fma_f32 v25, v92, v44, -v25 :: v_dual_add_f32 v23, 0, v23
	v_dual_mul_f32 v13, v96, v49 :: v_dual_mul_f32 v17, v98, v51
	s_wait_loadcnt 0x5
	v_dual_mul_f32 v39, v75, v59 :: v_dual_fma_f32 v27, v94, v46, -v27
	v_dual_fmac_f32 v11, v95, v46 :: v_dual_add_f32 v5, v5, v9
	v_dual_add_f32 v9, v23, v25 :: v_dual_mov_b32 v42, v61
	v_dual_mul_f32 v31, v99, v51 :: v_dual_mul_f32 v33, v101, v53
	v_fmac_f32_e32 v13, v97, v48
	s_delay_alu instid0(VALU_DEP_4) | instskip(NEXT) | instid1(VALU_DEP_4)
	v_dual_fma_f32 v23, v96, v48, -v29 :: v_dual_add_f32 v5, v5, v11
	v_dual_add_f32 v9, v9, v27 :: v_dual_fmac_f32 v17, v99, v50
	v_dual_mul_f32 v19, v100, v53 :: v_dual_mul_f32 v21, v102, v55
	s_delay_alu instid0(VALU_DEP_3) | instskip(NEXT) | instid1(VALU_DEP_3)
	v_dual_fma_f32 v11, v98, v50, -v31 :: v_dual_add_f32 v5, v5, v13
	v_dual_fma_f32 v13, v100, v52, -v33 :: v_dual_add_f32 v9, v9, v23
	s_delay_alu instid0(VALU_DEP_3)
	v_fmac_f32_e32 v21, v103, v54
	v_pk_mul_f32 v[42:43], v[112:113], v[42:43] op_sel_hi:[1,0]
	v_dual_mul_f32 v121, v104, v57 :: v_dual_mul_f32 v123, v74, v59
	s_wait_loadcnt 0x4
	v_mov_b32_e32 v46, v65
	v_dual_add_f32 v5, v5, v17 :: v_dual_fma_f32 v120, v104, v56, -v37
	s_delay_alu instid0(VALU_DEP_3)
	v_dual_add_f32 v9, v9, v11 :: v_dual_fmac_f32 v123, v75, v58
	v_fma_f32 v11, v102, v54, -v35
	v_pk_fma_f32 v[54:55], v[76:77], v[60:61], v[42:43] op_sel_hi:[1,0,1]
	v_fmac_f32_e32 v19, v101, v52
	v_pk_fma_f32 v[42:43], v[76:77], v[60:61], v[42:43] neg_lo:[0,0,1] neg_hi:[0,0,1]
	v_add_f32_e32 v9, v9, v13
	s_delay_alu instid0(VALU_DEP_4) | instskip(NEXT) | instid1(VALU_DEP_4)
	v_dual_fmac_f32 v121, v105, v56 :: v_dual_mov_b32 v43, v55
	v_dual_add_f32 v5, v5, v19 :: v_dual_fma_f32 v122, v74, v58, -v39
	s_delay_alu instid0(VALU_DEP_3) | instskip(SKIP_2) | instid1(VALU_DEP_4)
	v_add_f32_e32 v50, v9, v11
	v_pk_mul_f32 v[44:45], v[78:79], v[62:63] op_sel:[1,1] op_sel_hi:[0,1]
	v_pk_mul_f32 v[46:47], v[114:115], v[46:47] op_sel_hi:[1,0]
	v_add_f32_e32 v51, v5, v21
	s_wait_loadcnt 0x3
	v_pk_mul_f32 v[48:49], v[82:83], v[66:67] op_sel:[1,1] op_sel_hi:[0,1]
	s_wait_loadcnt 0x2
	v_pk_mul_f32 v[54:55], v[86:87], v[70:71] op_sel:[1,1] op_sel_hi:[0,1]
	v_pk_fma_f32 v[56:57], v[78:79], v[62:63], v[44:45] op_sel_hi:[1,0,1]
	v_pk_fma_f32 v[44:45], v[78:79], v[62:63], v[44:45] neg_lo:[0,0,1] neg_hi:[0,0,1]
	v_pk_add_f32 v[50:51], v[50:51], v[120:121]
	s_delay_alu instid0(VALU_DEP_3) | instskip(SKIP_1) | instid1(VALU_DEP_3)
	v_dual_mov_b32 v52, v69 :: v_dual_mov_b32 v45, v57
	v_pk_fma_f32 v[56:57], v[80:81], v[64:65], v[46:47] op_sel_hi:[1,0,1]
	v_pk_add_f32 v[50:51], v[50:51], v[122:123]
	v_pk_fma_f32 v[46:47], v[80:81], v[64:65], v[46:47] neg_lo:[0,0,1] neg_hi:[0,0,1]
	s_delay_alu instid0(VALU_DEP_4) | instskip(NEXT) | instid1(VALU_DEP_4)
	v_pk_mul_f32 v[52:53], v[116:117], v[52:53] op_sel_hi:[1,0]
	v_mov_b32_e32 v47, v57
	s_delay_alu instid0(VALU_DEP_4) | instskip(SKIP_2) | instid1(VALU_DEP_3)
	v_pk_add_f32 v[42:43], v[50:51], v[42:43]
	v_pk_fma_f32 v[50:51], v[82:83], v[66:67], v[48:49] op_sel_hi:[1,0,1]
	v_pk_fma_f32 v[48:49], v[82:83], v[66:67], v[48:49] neg_lo:[0,0,1] neg_hi:[0,0,1]
	v_pk_add_f32 v[42:43], v[42:43], v[44:45]
	s_delay_alu instid0(VALU_DEP_3) | instskip(SKIP_2) | instid1(VALU_DEP_4)
	v_dual_mov_b32 v44, v73 :: v_dual_mov_b32 v49, v51
	v_pk_fma_f32 v[50:51], v[84:85], v[68:69], v[52:53] op_sel_hi:[1,0,1]
	v_pk_fma_f32 v[52:53], v[84:85], v[68:69], v[52:53] neg_lo:[0,0,1] neg_hi:[0,0,1]
	v_pk_add_f32 v[42:43], v[42:43], v[46:47]
	v_pk_fma_f32 v[46:47], v[86:87], v[70:71], v[54:55] op_sel_hi:[1,0,1]
	v_pk_mul_f32 v[44:45], v[118:119], v[44:45] op_sel_hi:[1,0]
	v_mov_b32_e32 v53, v51
	s_wait_loadcnt_dscnt 0x100
	v_pk_mul_f32 v[50:51], v[110:111], v[106:107] op_sel:[1,1] op_sel_hi:[0,1]
	v_pk_add_f32 v[42:43], v[42:43], v[48:49]
	v_pk_fma_f32 v[48:49], v[86:87], v[70:71], v[54:55] neg_lo:[0,0,1] neg_hi:[0,0,1]
	v_mov_b32_e32 v49, v47
	v_pk_fma_f32 v[46:47], v[88:89], v[72:73], v[44:45] op_sel_hi:[1,0,1]
	v_pk_fma_f32 v[44:45], v[88:89], v[72:73], v[44:45] neg_lo:[0,0,1] neg_hi:[0,0,1]
	v_pk_add_f32 v[42:43], v[42:43], v[52:53]
	s_delay_alu instid0(VALU_DEP_3) | instskip(SKIP_1) | instid1(VALU_DEP_3)
	v_mov_b32_e32 v45, v47
	v_pk_fma_f32 v[46:47], v[110:111], v[106:107], v[50:51] op_sel_hi:[1,0,1]
	v_pk_add_f32 v[42:43], v[42:43], v[48:49]
	v_pk_fma_f32 v[48:49], v[110:111], v[106:107], v[50:51] neg_lo:[0,0,1] neg_hi:[0,0,1]
	s_delay_alu instid0(VALU_DEP_3) | instskip(NEXT) | instid1(VALU_DEP_3)
	v_mov_b32_e32 v49, v47
	v_pk_add_f32 v[42:43], v[42:43], v[44:45]
	s_delay_alu instid0(VALU_DEP_1) | instskip(SKIP_1) | instid1(VALU_DEP_1)
	v_pk_add_f32 v[42:43], v[42:43], v[48:49]
	s_wait_loadcnt 0x0
	v_pk_add_f32 v[42:43], v[108:109], v[42:43] neg_lo:[0,1] neg_hi:[0,1]
	scratch_store_b64 off, v[42:43], off offset:16
	s_wait_xcnt 0x0
	v_cmpx_lt_u32_e32 1, v0
	s_cbranch_execz .LBB19_131
; %bb.130:
	scratch_load_b64 v[42:43], off, off offset:8
	v_mov_b64_e32 v[44:45], 0
	scratch_store_b64 off, v[44:45], off offset:8
	s_wait_loadcnt 0x0
	ds_store_b64 v1, v[42:43]
.LBB19_131:
	s_wait_xcnt 0x0
	s_or_b32 exec_lo, exec_lo, s0
	s_wait_storecnt_dscnt 0x0
	s_barrier_signal -1
	s_barrier_wait -1
	s_clause 0x9
	scratch_load_b128 v[42:45], off, off offset:16
	scratch_load_b128 v[46:49], off, off offset:32
	scratch_load_b128 v[50:53], off, off offset:48
	scratch_load_b128 v[54:57], off, off offset:64
	scratch_load_b128 v[58:61], off, off offset:80
	scratch_load_b128 v[62:65], off, off offset:96
	scratch_load_b128 v[66:69], off, off offset:112
	scratch_load_b128 v[70:73], off, off offset:128
	scratch_load_b128 v[74:77], off, off offset:144
	scratch_load_b64 v[114:115], off, off offset:8
	ds_load_b128 v[78:81], v15 offset:256
	ds_load_b128 v[82:85], v15 offset:272
	;; [unrolled: 1-line block ×9, first 2 shown]
	v_ashrrev_i32_e32 v17, 31, v16
	v_dual_ashrrev_i32 v5, 31, v4 :: v_dual_ashrrev_i32 v11, 31, v10
	v_dual_ashrrev_i32 v9, 31, v8 :: v_dual_ashrrev_i32 v15, 31, v14
	v_dual_ashrrev_i32 v13, 31, v12 :: v_dual_ashrrev_i32 v19, 31, v18
	s_mov_b32 s0, exec_lo
	s_wait_dscnt 0x8
	v_dual_mov_b32 v116, v81 :: v_dual_mov_b32 v117, v80
	s_wait_dscnt 0x5
	v_dual_mov_b32 v118, v85 :: v_dual_mov_b32 v123, v92
	v_dual_mov_b32 v119, v84 :: v_dual_mov_b32 v120, v89
	;; [unrolled: 1-line block ×3, first 2 shown]
	s_wait_loadcnt_dscnt 0x904
	v_dual_mul_f32 v21, v94, v43 :: v_dual_mul_f32 v23, v96, v45
	v_dual_mul_f32 v25, v95, v43 :: v_dual_mul_f32 v27, v97, v45
	s_wait_loadcnt_dscnt 0x802
	v_dual_mul_f32 v29, v102, v47 :: v_dual_mul_f32 v31, v104, v49
	s_wait_loadcnt_dscnt 0x701
	v_mul_f32_e32 v33, v106, v51
	v_dual_mul_f32 v39, v103, v47 :: v_dual_mul_f32 v41, v105, v49
	s_wait_loadcnt 0x5
	v_dual_mul_f32 v45, v100, v61 :: v_dual_mul_f32 v47, v107, v51
	v_dual_mul_f32 v51, v109, v53 :: v_dual_fmac_f32 v21, v95, v42
	s_wait_dscnt 0x0
	v_dual_fma_f32 v25, v94, v42, -v25 :: v_dual_mul_f32 v42, v111, v55
	v_fmac_f32_e32 v23, v97, v44
	s_delay_alu instid0(VALU_DEP_3) | instskip(NEXT) | instid1(VALU_DEP_3)
	v_dual_fma_f32 v27, v96, v44, -v27 :: v_dual_add_f32 v21, 0, v21
	v_add_f32_e32 v25, 0, v25
	v_dual_mul_f32 v44, v113, v57 :: v_dual_fmac_f32 v29, v103, v46
	s_delay_alu instid0(VALU_DEP_3) | instskip(NEXT) | instid1(VALU_DEP_3)
	v_dual_fma_f32 v39, v102, v46, -v39 :: v_dual_add_f32 v21, v21, v23
	v_dual_add_f32 v23, v25, v27 :: v_dual_fma_f32 v27, v104, v48, -v41
	v_dual_mul_f32 v25, v99, v59 :: v_dual_fmac_f32 v31, v105, v48
	s_delay_alu instid0(VALU_DEP_2) | instskip(SKIP_2) | instid1(VALU_DEP_3)
	v_dual_add_f32 v21, v21, v29 :: v_dual_add_f32 v23, v23, v39
	v_dual_mul_f32 v35, v108, v53 :: v_dual_mul_f32 v37, v110, v55
	v_dual_mul_f32 v29, v101, v61 :: v_dual_fmac_f32 v33, v107, v50
	v_dual_fma_f32 v39, v106, v50, -v47 :: v_dual_add_f32 v21, v21, v31
	s_delay_alu instid0(VALU_DEP_3) | instskip(SKIP_2) | instid1(VALU_DEP_3)
	v_dual_add_f32 v23, v23, v27 :: v_dual_fmac_f32 v35, v109, v52
	v_fma_f32 v27, v108, v52, -v51
	v_dual_mul_f32 v49, v112, v57 :: v_dual_mul_f32 v43, v98, v59
	v_dual_add_f32 v21, v21, v33 :: v_dual_add_f32 v23, v23, v39
	s_wait_loadcnt 0x4
	v_dual_mov_b32 v48, v65 :: v_dual_fmac_f32 v37, v111, v54
	s_delay_alu instid0(VALU_DEP_2) | instskip(NEXT) | instid1(VALU_DEP_3)
	v_dual_fma_f32 v31, v110, v54, -v42 :: v_dual_add_f32 v21, v21, v35
	v_dual_add_f32 v23, v23, v27 :: v_dual_fmac_f32 v49, v113, v56
	v_fma_f32 v27, v112, v56, -v44
	v_pk_mul_f32 v[46:47], v[78:79], v[62:63] op_sel:[1,1] op_sel_hi:[0,1]
	s_delay_alu instid0(VALU_DEP_3) | instskip(SKIP_2) | instid1(VALU_DEP_2)
	v_dual_add_f32 v21, v21, v37 :: v_dual_add_f32 v23, v23, v31
	s_wait_loadcnt 0x3
	v_dual_mov_b32 v52, v69 :: v_dual_fmac_f32 v43, v99, v58
	v_dual_fma_f32 v42, v98, v58, -v25 :: v_dual_add_f32 v55, v21, v49
	s_delay_alu instid0(VALU_DEP_3) | instskip(SKIP_3) | instid1(VALU_DEP_4)
	v_dual_add_f32 v54, v23, v27 :: v_dual_fmac_f32 v45, v101, v60
	v_pk_fma_f32 v[56:57], v[78:79], v[62:63], v[46:47] op_sel_hi:[1,0,1]
	v_fma_f32 v44, v100, v60, -v29
	v_pk_mul_f32 v[48:49], v[116:117], v[48:49] op_sel_hi:[1,0]
	v_pk_add_f32 v[42:43], v[54:55], v[42:43]
	v_pk_fma_f32 v[46:47], v[78:79], v[62:63], v[46:47] neg_lo:[0,0,1] neg_hi:[0,0,1]
	v_pk_mul_f32 v[50:51], v[82:83], v[66:67] op_sel:[1,1] op_sel_hi:[0,1]
	v_mov_b32_e32 v47, v57
	v_pk_fma_f32 v[56:57], v[80:81], v[64:65], v[48:49] op_sel_hi:[1,0,1]
	v_pk_add_f32 v[42:43], v[42:43], v[44:45]
	v_pk_fma_f32 v[48:49], v[80:81], v[64:65], v[48:49] neg_lo:[0,0,1] neg_hi:[0,0,1]
	v_pk_fma_f32 v[44:45], v[82:83], v[66:67], v[50:51] op_sel_hi:[1,0,1]
	v_pk_mul_f32 v[52:53], v[118:119], v[52:53] op_sel_hi:[1,0]
	s_wait_loadcnt 0x2
	v_dual_mov_b32 v49, v57 :: v_dual_mov_b32 v44, v73
	v_pk_add_f32 v[42:43], v[42:43], v[46:47]
	v_pk_mul_f32 v[54:55], v[86:87], v[70:71] op_sel:[1,1] op_sel_hi:[0,1]
	v_pk_fma_f32 v[46:47], v[82:83], v[66:67], v[50:51] neg_lo:[0,0,1] neg_hi:[0,0,1]
	v_pk_fma_f32 v[50:51], v[84:85], v[68:69], v[52:53] op_sel_hi:[1,0,1]
	v_mov_b32_e32 v47, v45
	v_pk_add_f32 v[42:43], v[42:43], v[48:49]
	v_pk_fma_f32 v[48:49], v[86:87], v[70:71], v[54:55] op_sel_hi:[1,0,1]
	v_pk_mul_f32 v[44:45], v[120:121], v[44:45] op_sel_hi:[1,0]
	v_pk_fma_f32 v[52:53], v[84:85], v[68:69], v[52:53] neg_lo:[0,0,1] neg_hi:[0,0,1]
	v_mov_b32_e32 v53, v51
	v_pk_add_f32 v[42:43], v[42:43], v[46:47]
	v_pk_fma_f32 v[50:51], v[86:87], v[70:71], v[54:55] neg_lo:[0,0,1] neg_hi:[0,0,1]
	v_mov_b32_e32 v51, v49
	v_pk_fma_f32 v[48:49], v[88:89], v[72:73], v[44:45] op_sel_hi:[1,0,1]
	s_wait_loadcnt 0x1
	v_pk_mul_f32 v[46:47], v[90:91], v[74:75] op_sel:[1,1] op_sel_hi:[0,1]
	v_pk_add_f32 v[42:43], v[42:43], v[52:53]
	v_mov_b32_e32 v48, v77
	v_pk_fma_f32 v[44:45], v[88:89], v[72:73], v[44:45] neg_lo:[0,0,1] neg_hi:[0,0,1]
	v_dual_mov_b32 v45, v49 :: v_dual_ashrrev_i32 v21, 31, v20
	v_pk_fma_f32 v[52:53], v[90:91], v[74:75], v[46:47] op_sel_hi:[1,0,1]
	v_pk_add_f32 v[42:43], v[42:43], v[50:51]
	v_pk_mul_f32 v[48:49], v[122:123], v[48:49] op_sel_hi:[1,0]
	v_pk_fma_f32 v[46:47], v[90:91], v[74:75], v[46:47] neg_lo:[0,0,1] neg_hi:[0,0,1]
	s_delay_alu instid0(VALU_DEP_4) | instskip(NEXT) | instid1(VALU_DEP_4)
	v_dual_ashrrev_i32 v23, 31, v22 :: v_dual_mov_b32 v47, v53
	v_pk_add_f32 v[42:43], v[42:43], v[44:45]
	s_delay_alu instid0(VALU_DEP_4)
	v_pk_fma_f32 v[44:45], v[92:93], v[76:77], v[48:49] op_sel_hi:[1,0,1]
	v_pk_fma_f32 v[48:49], v[92:93], v[76:77], v[48:49] neg_lo:[0,0,1] neg_hi:[0,0,1]
	v_dual_ashrrev_i32 v25, 31, v24 :: v_dual_ashrrev_i32 v27, 31, v26
	v_ashrrev_i32_e32 v29, 31, v28
	v_pk_add_f32 v[42:43], v[42:43], v[46:47]
	v_dual_mov_b32 v49, v45 :: v_dual_ashrrev_i32 v31, 31, v30
	v_dual_ashrrev_i32 v33, 31, v32 :: v_dual_ashrrev_i32 v35, 31, v34
	v_ashrrev_i32_e32 v37, 31, v36
	s_delay_alu instid0(VALU_DEP_3) | instskip(SKIP_2) | instid1(VALU_DEP_2)
	v_pk_add_f32 v[42:43], v[42:43], v[48:49]
	v_dual_ashrrev_i32 v39, 31, v38 :: v_dual_ashrrev_i32 v41, 31, v40
	s_wait_loadcnt 0x0
	v_pk_add_f32 v[42:43], v[114:115], v[42:43] neg_lo:[0,1] neg_hi:[0,1]
	scratch_store_b64 off, v[42:43], off offset:8
	s_wait_xcnt 0x0
	v_cmpx_ne_u32_e32 0, v0
	s_cbranch_execz .LBB19_133
; %bb.132:
	scratch_load_b64 v[42:43], off, off
	v_mov_b64_e32 v[44:45], 0
	scratch_store_b64 off, v[44:45], off
	s_wait_loadcnt 0x0
	ds_store_b64 v1, v[42:43]
.LBB19_133:
	s_wait_xcnt 0x0
	s_or_b32 exec_lo, exec_lo, s0
	s_wait_storecnt_dscnt 0x0
	s_barrier_signal -1
	s_barrier_wait -1
	s_clause 0xa
	scratch_load_b128 v[44:47], off, off offset:8
	scratch_load_b128 v[48:51], off, off offset:24
	;; [unrolled: 1-line block ×9, first 2 shown]
	scratch_load_b64 v[0:1], off, off offset:152
	scratch_load_b64 v[116:117], off, off
	v_mov_b32_e32 v42, 0
	ds_load_2addr_b64 v[80:83], v42 offset0:31 offset1:32
	ds_load_2addr_b64 v[84:87], v42 offset0:33 offset1:34
	;; [unrolled: 1-line block ×9, first 2 shown]
	ds_load_b64 v[118:119], v42 offset:312
	s_and_b32 vcc_lo, exec_lo, s18
	s_wait_dscnt 0x9
	v_dual_mov_b32 v120, v83 :: v_dual_mov_b32 v121, v82
	s_wait_dscnt 0x6
	v_dual_mov_b32 v122, v87 :: v_dual_mov_b32 v127, v94
	v_dual_mov_b32 v123, v86 :: v_dual_mov_b32 v124, v91
	;; [unrolled: 1-line block ×3, first 2 shown]
	s_wait_loadcnt_dscnt 0xa05
	v_dual_mul_f32 v43, v96, v45 :: v_dual_mul_f32 v45, v97, v45
	s_wait_loadcnt_dscnt 0x904
	v_dual_mul_f32 v128, v98, v47 :: v_dual_mul_f32 v130, v100, v49
	;; [unrolled: 2-line block ×3, first 2 shown]
	v_dual_mul_f32 v47, v99, v47 :: v_dual_mul_f32 v57, v109, v57
	v_dual_fmac_f32 v43, v97, v44 :: v_dual_fma_f32 v44, v96, v44, -v45
	v_dual_mul_f32 v49, v101, v49 :: v_dual_mul_f32 v45, v111, v59
	s_delay_alu instid0(VALU_DEP_3) | instskip(NEXT) | instid1(VALU_DEP_3)
	v_dual_fmac_f32 v128, v99, v46 :: v_dual_fma_f32 v46, v98, v46, -v47
	v_dual_add_f32 v43, 0, v43 :: v_dual_add_f32 v44, 0, v44
	v_dual_mul_f32 v132, v102, v51 :: v_dual_mul_f32 v133, v104, v53
	s_wait_loadcnt_dscnt 0x601
	v_dual_mul_f32 v136, v110, v59 :: v_dual_mul_f32 v137, v112, v61
	v_dual_mul_f32 v51, v103, v51 :: v_dual_mul_f32 v59, v113, v61
	v_dual_fma_f32 v47, v100, v48, -v49 :: v_dual_fmac_f32 v130, v101, v48
	v_dual_add_f32 v44, v44, v46 :: v_dual_add_f32 v43, v43, v128
	s_delay_alu instid0(VALU_DEP_3) | instskip(SKIP_1) | instid1(VALU_DEP_3)
	v_dual_fma_f32 v46, v102, v50, -v51 :: v_dual_mul_f32 v53, v105, v53
	v_mul_f32_e32 v55, v107, v55
	v_dual_fmac_f32 v132, v103, v50 :: v_dual_add_f32 v44, v44, v47
	s_delay_alu instid0(VALU_DEP_4) | instskip(NEXT) | instid1(VALU_DEP_4)
	v_dual_add_f32 v43, v43, v130 :: v_dual_fmac_f32 v133, v105, v52
	v_dual_fma_f32 v47, v104, v52, -v53 :: v_dual_fmac_f32 v134, v107, v54
	s_delay_alu instid0(VALU_DEP_2) | instskip(SKIP_3) | instid1(VALU_DEP_2)
	v_dual_fma_f32 v48, v106, v54, -v55 :: v_dual_add_f32 v43, v43, v132
	s_wait_loadcnt 0x5
	v_dual_add_f32 v46, v44, v46 :: v_dual_mov_b32 v44, v67
	v_dual_fmac_f32 v135, v109, v56 :: v_dual_fma_f32 v51, v108, v56, -v57
	v_dual_add_f32 v43, v43, v133 :: v_dual_add_f32 v50, v46, v47
	v_fma_f32 v45, v110, v58, -v45
	v_dual_mul_f32 v129, v114, v63 :: v_dual_mul_f32 v131, v80, v65
	s_delay_alu instid0(VALU_DEP_3)
	v_dual_add_f32 v43, v43, v134 :: v_dual_add_f32 v50, v50, v48
	s_wait_loadcnt 0x4
	v_mov_b32_e32 v48, v71
	v_fmac_f32_e32 v136, v111, v58
	v_dual_mul_f32 v49, v115, v63 :: v_dual_mul_f32 v61, v81, v65
	v_dual_add_f32 v43, v43, v135 :: v_dual_fmac_f32 v137, v113, v60
	v_dual_add_f32 v52, v50, v51 :: v_dual_fma_f32 v54, v112, v60, -v59
	v_fmac_f32_e32 v129, v115, v62
	s_delay_alu instid0(VALU_DEP_3) | instskip(SKIP_1) | instid1(VALU_DEP_4)
	v_add_f32_e32 v43, v43, v136
	v_pk_mul_f32 v[46:47], v[84:85], v[68:69] op_sel:[1,1] op_sel_hi:[0,1]
	v_dual_add_f32 v52, v52, v45 :: v_dual_fma_f32 v128, v114, v62, -v49
	v_pk_mul_f32 v[44:45], v[120:121], v[44:45] op_sel_hi:[1,0]
	s_delay_alu instid0(VALU_DEP_4)
	v_dual_add_f32 v53, v43, v137 :: v_dual_fmac_f32 v131, v81, v64
	v_fma_f32 v130, v80, v64, -v61
	s_wait_loadcnt 0x3
	v_dual_add_f32 v52, v52, v54 :: v_dual_mov_b32 v54, v75
	v_pk_fma_f32 v[56:57], v[82:83], v[66:67], v[44:45] op_sel_hi:[1,0,1]
	v_pk_fma_f32 v[44:45], v[82:83], v[66:67], v[44:45] neg_lo:[0,0,1] neg_hi:[0,0,1]
	v_pk_fma_f32 v[58:59], v[84:85], v[68:69], v[46:47] op_sel_hi:[1,0,1]
	s_delay_alu instid0(VALU_DEP_4)
	v_pk_add_f32 v[52:53], v[52:53], v[128:129]
	v_pk_mul_f32 v[48:49], v[122:123], v[48:49] op_sel_hi:[1,0]
	v_mov_b32_e32 v45, v57
	v_pk_fma_f32 v[46:47], v[84:85], v[68:69], v[46:47] neg_lo:[0,0,1] neg_hi:[0,0,1]
	v_pk_mul_f32 v[50:51], v[88:89], v[72:73] op_sel:[1,1] op_sel_hi:[0,1]
	v_pk_add_f32 v[52:53], v[52:53], v[130:131]
	v_mov_b32_e32 v47, v59
	v_pk_fma_f32 v[58:59], v[86:87], v[70:71], v[48:49] op_sel_hi:[1,0,1]
	v_pk_fma_f32 v[48:49], v[86:87], v[70:71], v[48:49] neg_lo:[0,0,1] neg_hi:[0,0,1]
	v_pk_mul_f32 v[54:55], v[124:125], v[54:55] op_sel_hi:[1,0]
	v_pk_add_f32 v[44:45], v[52:53], v[44:45]
	v_pk_fma_f32 v[52:53], v[88:89], v[72:73], v[50:51] op_sel_hi:[1,0,1]
	v_mov_b32_e32 v49, v59
	v_pk_fma_f32 v[50:51], v[88:89], v[72:73], v[50:51] neg_lo:[0,0,1] neg_hi:[0,0,1]
	s_wait_loadcnt 0x2
	v_pk_mul_f32 v[56:57], v[92:93], v[76:77] op_sel:[1,1] op_sel_hi:[0,1]
	v_pk_add_f32 v[44:45], v[44:45], v[46:47]
	v_dual_mov_b32 v46, v79 :: v_dual_mov_b32 v51, v53
	v_pk_fma_f32 v[52:53], v[90:91], v[74:75], v[54:55] op_sel_hi:[1,0,1]
	v_pk_fma_f32 v[54:55], v[90:91], v[74:75], v[54:55] neg_lo:[0,0,1] neg_hi:[0,0,1]
	s_delay_alu instid0(VALU_DEP_4)
	v_pk_add_f32 v[44:45], v[44:45], v[48:49]
	v_pk_fma_f32 v[48:49], v[92:93], v[76:77], v[56:57] op_sel_hi:[1,0,1]
	v_pk_mul_f32 v[46:47], v[126:127], v[46:47] op_sel_hi:[1,0]
	v_mov_b32_e32 v55, v53
	v_pk_fma_f32 v[52:53], v[92:93], v[76:77], v[56:57] neg_lo:[0,0,1] neg_hi:[0,0,1]
	v_pk_add_f32 v[44:45], v[44:45], v[50:51]
	s_wait_loadcnt_dscnt 0x100
	v_pk_mul_f32 v[50:51], v[118:119], v[0:1] op_sel:[1,1] op_sel_hi:[0,1]
	v_mov_b32_e32 v53, v49
	v_pk_fma_f32 v[48:49], v[94:95], v[78:79], v[46:47] op_sel_hi:[1,0,1]
	v_pk_fma_f32 v[46:47], v[94:95], v[78:79], v[46:47] neg_lo:[0,0,1] neg_hi:[0,0,1]
	v_pk_add_f32 v[44:45], v[44:45], v[54:55]
	v_pk_fma_f32 v[54:55], v[118:119], v[0:1], v[50:51] op_sel_hi:[1,0,1]
	v_pk_fma_f32 v[0:1], v[118:119], v[0:1], v[50:51] neg_lo:[0,0,1] neg_hi:[0,0,1]
	v_mov_b32_e32 v47, v49
	s_delay_alu instid0(VALU_DEP_4) | instskip(NEXT) | instid1(VALU_DEP_4)
	v_pk_add_f32 v[44:45], v[44:45], v[52:53]
	v_mov_b32_e32 v1, v55
	s_delay_alu instid0(VALU_DEP_2) | instskip(NEXT) | instid1(VALU_DEP_1)
	v_pk_add_f32 v[44:45], v[44:45], v[46:47]
	v_pk_add_f32 v[0:1], v[44:45], v[0:1]
	s_wait_loadcnt 0x0
	s_delay_alu instid0(VALU_DEP_1)
	v_pk_add_f32 v[0:1], v[116:117], v[0:1] neg_lo:[0,1] neg_hi:[0,1]
	scratch_store_b64 off, v[0:1], off
	s_cbranch_vccz .LBB19_172
; %bb.134:
	global_load_b32 v0, v42, s[2:3] offset:72
	s_wait_loadcnt 0x0
	v_cmp_ne_u32_e32 vcc_lo, 19, v0
	s_cbranch_vccz .LBB19_136
; %bb.135:
	v_lshlrev_b32_e32 v0, 3, v0
	s_delay_alu instid0(VALU_DEP_1)
	v_mov_b32_e32 v44, v0
	scratch_load_b64 v[0:1], v44, off offset:-8
	scratch_load_b64 v[42:43], off, off offset:144
	s_wait_loadcnt 0x1
	scratch_store_b64 off, v[0:1], off offset:144
	s_wait_loadcnt 0x0
	scratch_store_b64 v44, v[42:43], off offset:-8
.LBB19_136:
	s_wait_xcnt 0x1
	v_mov_b32_e32 v0, 0
	global_load_b32 v1, v0, s[2:3] offset:68
	s_wait_loadcnt 0x0
	v_cmp_eq_u32_e32 vcc_lo, 18, v1
	s_cbranch_vccnz .LBB19_138
; %bb.137:
	v_lshlrev_b32_e32 v1, 3, v1
	scratch_load_b64 v[42:43], v1, off offset:-8
	scratch_load_b64 v[44:45], off, off offset:136
	s_wait_loadcnt 0x1
	scratch_store_b64 off, v[42:43], off offset:136
	s_wait_loadcnt 0x0
	scratch_store_b64 v1, v[44:45], off offset:-8
.LBB19_138:
	global_load_b32 v0, v0, s[2:3] offset:64
	s_wait_loadcnt 0x0
	v_cmp_eq_u32_e32 vcc_lo, 17, v0
	s_cbranch_vccnz .LBB19_140
; %bb.139:
	s_wait_xcnt 0x0
	v_lshlrev_b32_e32 v0, 3, v0
	s_delay_alu instid0(VALU_DEP_1)
	v_mov_b32_e32 v44, v0
	scratch_load_b64 v[0:1], v44, off offset:-8
	scratch_load_b64 v[42:43], off, off offset:128
	s_wait_loadcnt 0x1
	scratch_store_b64 off, v[0:1], off offset:128
	s_wait_loadcnt 0x0
	scratch_store_b64 v44, v[42:43], off offset:-8
.LBB19_140:
	s_wait_xcnt 0x0
	v_mov_b32_e32 v0, 0
	global_load_b32 v1, v0, s[2:3] offset:60
	s_wait_loadcnt 0x0
	v_cmp_eq_u32_e32 vcc_lo, 16, v1
	s_cbranch_vccnz .LBB19_142
; %bb.141:
	v_lshlrev_b32_e32 v1, 3, v1
	scratch_load_b64 v[42:43], v1, off offset:-8
	scratch_load_b64 v[44:45], off, off offset:120
	s_wait_loadcnt 0x1
	scratch_store_b64 off, v[42:43], off offset:120
	s_wait_loadcnt 0x0
	scratch_store_b64 v1, v[44:45], off offset:-8
.LBB19_142:
	global_load_b32 v0, v0, s[2:3] offset:56
	s_wait_loadcnt 0x0
	v_cmp_eq_u32_e32 vcc_lo, 15, v0
	s_cbranch_vccnz .LBB19_144
; %bb.143:
	s_wait_xcnt 0x0
	v_lshlrev_b32_e32 v0, 3, v0
	s_delay_alu instid0(VALU_DEP_1)
	v_mov_b32_e32 v44, v0
	scratch_load_b64 v[0:1], v44, off offset:-8
	scratch_load_b64 v[42:43], off, off offset:112
	s_wait_loadcnt 0x1
	scratch_store_b64 off, v[0:1], off offset:112
	s_wait_loadcnt 0x0
	scratch_store_b64 v44, v[42:43], off offset:-8
.LBB19_144:
	;; [unrolled: 31-line block ×8, first 2 shown]
	s_wait_xcnt 0x0
	v_mov_b32_e32 v0, 0
	global_load_b32 v1, v0, s[2:3] offset:4
	s_wait_loadcnt 0x0
	v_cmp_eq_u32_e32 vcc_lo, 2, v1
	s_cbranch_vccnz .LBB19_170
; %bb.169:
	v_lshlrev_b32_e32 v1, 3, v1
	scratch_load_b64 v[42:43], v1, off offset:-8
	scratch_load_b64 v[44:45], off, off offset:8
	s_wait_loadcnt 0x1
	scratch_store_b64 off, v[42:43], off offset:8
	s_wait_loadcnt 0x0
	scratch_store_b64 v1, v[44:45], off offset:-8
.LBB19_170:
	global_load_b32 v42, v0, s[2:3]
	scratch_load_b64 v[0:1], off, off
	s_wait_loadcnt 0x1
	v_cmp_eq_u32_e32 vcc_lo, 1, v42
	s_cbranch_vccnz .LBB19_172
; %bb.171:
	v_lshlrev_b32_e32 v42, 3, v42
	s_delay_alu instid0(VALU_DEP_1)
	v_mov_b32_e32 v44, v42
	scratch_load_b64 v[42:43], v44, off offset:-8
	s_wait_loadcnt 0x0
	scratch_store_b64 off, v[42:43], off
	scratch_store_b64 v44, v[0:1], off offset:-8
	scratch_load_b64 v[0:1], off, off
.LBB19_172:
	s_clause 0x9
	scratch_load_b128 v[42:45], off, off offset:8
	scratch_load_b128 v[46:49], off, off offset:24
	;; [unrolled: 1-line block ×9, first 2 shown]
	scratch_load_b64 v[78:79], off, off offset:152
	v_lshl_add_u64 v[4:5], v[4:5], 3, s[4:5]
	v_lshl_add_u64 v[8:9], v[8:9], 3, s[4:5]
	;; [unrolled: 1-line block ×18, first 2 shown]
	s_wait_loadcnt 0xa
	global_store_b64 v[2:3], v[0:1], off
	s_wait_loadcnt 0x9
	s_clause 0x1
	global_store_b64 v[6:7], v[42:43], off
	global_store_b64 v[4:5], v[44:45], off
	s_wait_loadcnt 0x8
	s_clause 0x1
	global_store_b64 v[8:9], v[46:47], off
	;; [unrolled: 4-line block ×9, first 2 shown]
	global_store_b64 v[38:39], v[76:77], off
	s_wait_loadcnt 0x0
	global_store_b64 v[40:41], v[78:79], off
	s_sendmsg sendmsg(MSG_DEALLOC_VGPRS)
	s_endpgm
	.section	.rodata,"a",@progbits
	.p2align	6, 0x0
	.amdhsa_kernel _ZN9rocsolver6v33100L18getri_kernel_smallILi20E19rocblas_complex_numIfEPS3_EEvT1_iilPiilS6_bb
		.amdhsa_group_segment_fixed_size 324
		.amdhsa_private_segment_fixed_size 176
		.amdhsa_kernarg_size 60
		.amdhsa_user_sgpr_count 2
		.amdhsa_user_sgpr_dispatch_ptr 0
		.amdhsa_user_sgpr_queue_ptr 0
		.amdhsa_user_sgpr_kernarg_segment_ptr 1
		.amdhsa_user_sgpr_dispatch_id 0
		.amdhsa_user_sgpr_kernarg_preload_length 0
		.amdhsa_user_sgpr_kernarg_preload_offset 0
		.amdhsa_user_sgpr_private_segment_size 0
		.amdhsa_wavefront_size32 1
		.amdhsa_uses_dynamic_stack 0
		.amdhsa_enable_private_segment 1
		.amdhsa_system_sgpr_workgroup_id_x 1
		.amdhsa_system_sgpr_workgroup_id_y 0
		.amdhsa_system_sgpr_workgroup_id_z 0
		.amdhsa_system_sgpr_workgroup_info 0
		.amdhsa_system_vgpr_workitem_id 0
		.amdhsa_next_free_vgpr 138
		.amdhsa_next_free_sgpr 19
		.amdhsa_named_barrier_count 0
		.amdhsa_reserve_vcc 1
		.amdhsa_float_round_mode_32 0
		.amdhsa_float_round_mode_16_64 0
		.amdhsa_float_denorm_mode_32 3
		.amdhsa_float_denorm_mode_16_64 3
		.amdhsa_fp16_overflow 0
		.amdhsa_memory_ordered 1
		.amdhsa_forward_progress 1
		.amdhsa_inst_pref_size 173
		.amdhsa_round_robin_scheduling 0
		.amdhsa_exception_fp_ieee_invalid_op 0
		.amdhsa_exception_fp_denorm_src 0
		.amdhsa_exception_fp_ieee_div_zero 0
		.amdhsa_exception_fp_ieee_overflow 0
		.amdhsa_exception_fp_ieee_underflow 0
		.amdhsa_exception_fp_ieee_inexact 0
		.amdhsa_exception_int_div_zero 0
	.end_amdhsa_kernel
	.section	.text._ZN9rocsolver6v33100L18getri_kernel_smallILi20E19rocblas_complex_numIfEPS3_EEvT1_iilPiilS6_bb,"axG",@progbits,_ZN9rocsolver6v33100L18getri_kernel_smallILi20E19rocblas_complex_numIfEPS3_EEvT1_iilPiilS6_bb,comdat
.Lfunc_end19:
	.size	_ZN9rocsolver6v33100L18getri_kernel_smallILi20E19rocblas_complex_numIfEPS3_EEvT1_iilPiilS6_bb, .Lfunc_end19-_ZN9rocsolver6v33100L18getri_kernel_smallILi20E19rocblas_complex_numIfEPS3_EEvT1_iilPiilS6_bb
                                        ; -- End function
	.set _ZN9rocsolver6v33100L18getri_kernel_smallILi20E19rocblas_complex_numIfEPS3_EEvT1_iilPiilS6_bb.num_vgpr, 138
	.set _ZN9rocsolver6v33100L18getri_kernel_smallILi20E19rocblas_complex_numIfEPS3_EEvT1_iilPiilS6_bb.num_agpr, 0
	.set _ZN9rocsolver6v33100L18getri_kernel_smallILi20E19rocblas_complex_numIfEPS3_EEvT1_iilPiilS6_bb.numbered_sgpr, 19
	.set _ZN9rocsolver6v33100L18getri_kernel_smallILi20E19rocblas_complex_numIfEPS3_EEvT1_iilPiilS6_bb.num_named_barrier, 0
	.set _ZN9rocsolver6v33100L18getri_kernel_smallILi20E19rocblas_complex_numIfEPS3_EEvT1_iilPiilS6_bb.private_seg_size, 176
	.set _ZN9rocsolver6v33100L18getri_kernel_smallILi20E19rocblas_complex_numIfEPS3_EEvT1_iilPiilS6_bb.uses_vcc, 1
	.set _ZN9rocsolver6v33100L18getri_kernel_smallILi20E19rocblas_complex_numIfEPS3_EEvT1_iilPiilS6_bb.uses_flat_scratch, 1
	.set _ZN9rocsolver6v33100L18getri_kernel_smallILi20E19rocblas_complex_numIfEPS3_EEvT1_iilPiilS6_bb.has_dyn_sized_stack, 0
	.set _ZN9rocsolver6v33100L18getri_kernel_smallILi20E19rocblas_complex_numIfEPS3_EEvT1_iilPiilS6_bb.has_recursion, 0
	.set _ZN9rocsolver6v33100L18getri_kernel_smallILi20E19rocblas_complex_numIfEPS3_EEvT1_iilPiilS6_bb.has_indirect_call, 0
	.section	.AMDGPU.csdata,"",@progbits
; Kernel info:
; codeLenInByte = 22032
; TotalNumSgprs: 21
; NumVgprs: 138
; ScratchSize: 176
; MemoryBound: 0
; FloatMode: 240
; IeeeMode: 1
; LDSByteSize: 324 bytes/workgroup (compile time only)
; SGPRBlocks: 0
; VGPRBlocks: 8
; NumSGPRsForWavesPerEU: 21
; NumVGPRsForWavesPerEU: 138
; NamedBarCnt: 0
; Occupancy: 7
; WaveLimiterHint : 1
; COMPUTE_PGM_RSRC2:SCRATCH_EN: 1
; COMPUTE_PGM_RSRC2:USER_SGPR: 2
; COMPUTE_PGM_RSRC2:TRAP_HANDLER: 0
; COMPUTE_PGM_RSRC2:TGID_X_EN: 1
; COMPUTE_PGM_RSRC2:TGID_Y_EN: 0
; COMPUTE_PGM_RSRC2:TGID_Z_EN: 0
; COMPUTE_PGM_RSRC2:TIDIG_COMP_CNT: 0
	.section	.text._ZN9rocsolver6v33100L18getri_kernel_smallILi21E19rocblas_complex_numIfEPS3_EEvT1_iilPiilS6_bb,"axG",@progbits,_ZN9rocsolver6v33100L18getri_kernel_smallILi21E19rocblas_complex_numIfEPS3_EEvT1_iilPiilS6_bb,comdat
	.globl	_ZN9rocsolver6v33100L18getri_kernel_smallILi21E19rocblas_complex_numIfEPS3_EEvT1_iilPiilS6_bb ; -- Begin function _ZN9rocsolver6v33100L18getri_kernel_smallILi21E19rocblas_complex_numIfEPS3_EEvT1_iilPiilS6_bb
	.p2align	8
	.type	_ZN9rocsolver6v33100L18getri_kernel_smallILi21E19rocblas_complex_numIfEPS3_EEvT1_iilPiilS6_bb,@function
_ZN9rocsolver6v33100L18getri_kernel_smallILi21E19rocblas_complex_numIfEPS3_EEvT1_iilPiilS6_bb: ; @_ZN9rocsolver6v33100L18getri_kernel_smallILi21E19rocblas_complex_numIfEPS3_EEvT1_iilPiilS6_bb
; %bb.0:
	s_mov_b32 s2, exec_lo
	v_cmpx_gt_u32_e32 21, v0
	s_cbranch_execz .LBB20_98
; %bb.1:
	s_clause 0x2
	s_load_b32 s2, s[0:1], 0x38
	s_load_b128 s[12:15], s[0:1], 0x10
	s_load_b128 s[4:7], s[0:1], 0x28
	s_getreg_b32 s9, hwreg(HW_REG_IB_STS2, 6, 4)
	s_wait_kmcnt 0x0
	s_bitcmp1_b32 s2, 8
	s_cselect_b32 s18, -1, 0
	s_bfe_u32 s3, ttmp6, 0x4000c
	s_and_b32 s8, ttmp6, 15
	s_add_co_i32 s3, s3, 1
	s_delay_alu instid0(SALU_CYCLE_1) | instskip(NEXT) | instid1(SALU_CYCLE_1)
	s_mul_i32 s3, ttmp9, s3
	s_add_co_i32 s8, s8, s3
	s_cmp_eq_u32 s9, 0
	s_cselect_b32 s16, ttmp9, s8
	s_bfe_u32 s2, s2, 0x10008
	s_ashr_i32 s17, s16, 31
	s_cmp_eq_u32 s2, 0
                                        ; implicit-def: $sgpr2_sgpr3
	s_cbranch_scc1 .LBB20_3
; %bb.2:
	s_load_b32 s2, s[0:1], 0x20
	s_mul_u64 s[4:5], s[4:5], s[16:17]
	s_delay_alu instid0(SALU_CYCLE_1) | instskip(NEXT) | instid1(SALU_CYCLE_1)
	s_lshl_b64 s[4:5], s[4:5], 2
	s_add_nc_u64 s[4:5], s[14:15], s[4:5]
	s_wait_kmcnt 0x0
	s_ashr_i32 s3, s2, 31
	s_delay_alu instid0(SALU_CYCLE_1) | instskip(NEXT) | instid1(SALU_CYCLE_1)
	s_lshl_b64 s[2:3], s[2:3], 2
	s_add_nc_u64 s[2:3], s[4:5], s[2:3]
.LBB20_3:
	s_clause 0x1
	s_load_b128 s[8:11], s[0:1], 0x0
	s_load_b32 s14, s[0:1], 0x38
	s_wait_xcnt 0x0
	s_mul_u64 s[0:1], s[12:13], s[16:17]
	v_lshlrev_b32_e32 v44, 3, v0
	s_lshl_b64 s[0:1], s[0:1], 3
	s_wait_kmcnt 0x0
	v_add3_u32 v4, s11, s11, v0
	s_ashr_i32 s5, s10, 31
	s_mov_b32 s4, s10
	s_add_nc_u64 s[0:1], s[8:9], s[0:1]
	s_lshl_b64 s[4:5], s[4:5], 3
	v_add_nc_u32_e32 v6, s11, v4
	s_add_nc_u64 s[4:5], s[0:1], s[4:5]
	s_ashr_i32 s1, s11, 31
	s_mov_b32 s0, s11
	s_bitcmp0_b32 s14, 0
	v_add_nc_u32_e32 v10, s11, v6
	s_delay_alu instid0(VALU_DEP_1) | instskip(NEXT) | instid1(VALU_DEP_1)
	v_add_nc_u32_e32 v12, s11, v10
	v_add_nc_u32_e32 v14, s11, v12
	s_delay_alu instid0(VALU_DEP_1) | instskip(NEXT) | instid1(VALU_DEP_1)
	v_add_nc_u32_e32 v16, s11, v14
	;; [unrolled: 3-line block ×3, first 2 shown]
	v_add_nc_u32_e32 v22, s11, v20
	s_delay_alu instid0(VALU_DEP_1) | instskip(NEXT) | instid1(VALU_DEP_1)
	v_dual_mov_b32 v45, 0 :: v_dual_add_nc_u32 v24, s11, v22
	v_add_nc_u32_e32 v26, s11, v24
	s_delay_alu instid0(VALU_DEP_2) | instskip(NEXT) | instid1(VALU_DEP_2)
	v_add_nc_u64_e32 v[2:3], s[4:5], v[44:45]
	v_add_nc_u32_e32 v28, s11, v26
	s_delay_alu instid0(VALU_DEP_2) | instskip(SKIP_1) | instid1(VALU_DEP_2)
	v_lshl_add_u64 v[8:9], s[0:1], 3, v[2:3]
	s_mov_b32 s1, -1
	v_add_nc_u32_e32 v30, s11, v28
	s_clause 0x9
	global_load_b64 v[46:47], v0, s[4:5] scale_offset
	global_load_b64 v[48:49], v[8:9], off
	global_load_b64 v[50:51], v4, s[4:5] scale_offset
	global_load_b64 v[52:53], v6, s[4:5] scale_offset
	;; [unrolled: 1-line block ×8, first 2 shown]
	v_add_nc_u32_e32 v32, s11, v30
	s_delay_alu instid0(VALU_DEP_1)
	v_add_nc_u32_e32 v34, s11, v32
	s_clause 0x3
	global_load_b64 v[66:67], v22, s[4:5] scale_offset
	global_load_b64 v[68:69], v24, s[4:5] scale_offset
	;; [unrolled: 1-line block ×4, first 2 shown]
	v_add_nc_u32_e32 v36, s11, v34
	s_delay_alu instid0(VALU_DEP_1)
	v_add_nc_u32_e32 v38, s11, v36
	s_clause 0x3
	global_load_b64 v[74:75], v30, s[4:5] scale_offset
	global_load_b64 v[76:77], v32, s[4:5] scale_offset
	;; [unrolled: 1-line block ×4, first 2 shown]
	v_add_nc_u32_e32 v40, s11, v38
	s_delay_alu instid0(VALU_DEP_1)
	v_add_nc_u32_e32 v42, s11, v40
	s_clause 0x2
	global_load_b64 v[82:83], v38, s[4:5] scale_offset
	global_load_b64 v[84:85], v40, s[4:5] scale_offset
	;; [unrolled: 1-line block ×3, first 2 shown]
	s_wait_loadcnt 0x13
	scratch_store_b128 off, v[46:49], off
	s_wait_loadcnt 0x11
	scratch_store_b128 off, v[50:53], off offset:16
	s_wait_loadcnt 0xf
	scratch_store_b128 off, v[54:57], off offset:32
	;; [unrolled: 2-line block ×9, first 2 shown]
	s_wait_loadcnt 0x0
	scratch_store_b64 off, v[86:87], off offset:160
	s_cbranch_scc1 .LBB20_96
; %bb.4:
	v_cmp_eq_u32_e64 s0, 0, v0
	s_wait_xcnt 0x0
	s_and_saveexec_b32 s1, s0
; %bb.5:
	v_mov_b32_e32 v1, 0
	ds_store_b32 v1, v1 offset:168
; %bb.6:
	s_or_b32 exec_lo, exec_lo, s1
	s_wait_storecnt_dscnt 0x0
	s_barrier_signal -1
	s_barrier_wait -1
	scratch_load_b64 v[46:47], v0, off scale_offset
	s_wait_loadcnt 0x0
	v_cmp_eq_f32_e32 vcc_lo, 0, v46
	v_cmp_eq_f32_e64 s1, 0, v47
	s_and_b32 s1, vcc_lo, s1
	s_delay_alu instid0(SALU_CYCLE_1)
	s_and_saveexec_b32 s8, s1
	s_cbranch_execz .LBB20_10
; %bb.7:
	v_mov_b32_e32 v1, 0
	s_mov_b32 s9, 0
	ds_load_b32 v5, v1 offset:168
	s_wait_dscnt 0x0
	v_readfirstlane_b32 s1, v5
	v_add_nc_u32_e32 v5, 1, v0
	s_cmp_eq_u32 s1, 0
	s_delay_alu instid0(VALU_DEP_1) | instskip(SKIP_1) | instid1(SALU_CYCLE_1)
	v_cmp_gt_i32_e32 vcc_lo, s1, v5
	s_cselect_b32 s10, -1, 0
	s_or_b32 s10, s10, vcc_lo
	s_delay_alu instid0(SALU_CYCLE_1)
	s_and_b32 exec_lo, exec_lo, s10
	s_cbranch_execz .LBB20_10
; %bb.8:
	v_mov_b32_e32 v7, s1
.LBB20_9:                               ; =>This Inner Loop Header: Depth=1
	ds_cmpstore_rtn_b32 v7, v1, v5, v7 offset:168
	s_wait_dscnt 0x0
	v_cmp_ne_u32_e32 vcc_lo, 0, v7
	v_cmp_le_i32_e64 s1, v7, v5
	s_and_b32 s1, vcc_lo, s1
	s_delay_alu instid0(SALU_CYCLE_1) | instskip(NEXT) | instid1(SALU_CYCLE_1)
	s_and_b32 s1, exec_lo, s1
	s_or_b32 s9, s1, s9
	s_delay_alu instid0(SALU_CYCLE_1)
	s_and_not1_b32 exec_lo, exec_lo, s9
	s_cbranch_execnz .LBB20_9
.LBB20_10:
	s_or_b32 exec_lo, exec_lo, s8
	v_mov_b32_e32 v1, 0
	s_barrier_signal -1
	s_barrier_wait -1
	ds_load_b32 v5, v1 offset:168
	s_and_saveexec_b32 s1, s0
	s_cbranch_execz .LBB20_12
; %bb.11:
	s_lshl_b64 s[8:9], s[16:17], 2
	s_delay_alu instid0(SALU_CYCLE_1)
	s_add_nc_u64 s[8:9], s[6:7], s[8:9]
	s_wait_dscnt 0x0
	global_store_b32 v1, v5, s[8:9]
.LBB20_12:
	s_wait_xcnt 0x0
	s_or_b32 exec_lo, exec_lo, s1
	s_wait_dscnt 0x0
	v_cmp_ne_u32_e32 vcc_lo, 0, v5
	s_mov_b32 s1, 0
	s_cbranch_vccnz .LBB20_96
; %bb.13:
	v_lshl_add_u32 v5, v0, 3, 0
                                        ; implicit-def: $vgpr49
                                        ; implicit-def: $vgpr50
	scratch_load_b64 v[46:47], v5, off
	s_wait_loadcnt 0x0
	v_cmp_ngt_f32_e64 s1, |v46|, |v47|
	s_wait_xcnt 0x0
	s_and_saveexec_b32 s8, s1
	s_delay_alu instid0(SALU_CYCLE_1)
	s_xor_b32 s1, exec_lo, s8
	s_cbranch_execz .LBB20_15
; %bb.14:
	v_div_scale_f32 v1, null, v47, v47, v46
	v_div_scale_f32 v13, vcc_lo, v46, v47, v46
	s_delay_alu instid0(VALU_DEP_2) | instskip(SKIP_1) | instid1(TRANS32_DEP_1)
	v_rcp_f32_e32 v7, v1
	v_nop
	v_fma_f32 v11, -v1, v7, 1.0
	s_delay_alu instid0(VALU_DEP_1) | instskip(NEXT) | instid1(VALU_DEP_1)
	v_fmac_f32_e32 v7, v11, v7
	v_mul_f32_e32 v11, v13, v7
	s_delay_alu instid0(VALU_DEP_1) | instskip(NEXT) | instid1(VALU_DEP_1)
	v_fma_f32 v15, -v1, v11, v13
	v_fmac_f32_e32 v11, v15, v7
	s_delay_alu instid0(VALU_DEP_1) | instskip(NEXT) | instid1(VALU_DEP_1)
	v_fma_f32 v1, -v1, v11, v13
	v_div_fmas_f32 v1, v1, v7, v11
	s_delay_alu instid0(VALU_DEP_1) | instskip(NEXT) | instid1(VALU_DEP_1)
	v_div_fixup_f32 v1, v1, v47, v46
	v_fmac_f32_e32 v47, v46, v1
	s_delay_alu instid0(VALU_DEP_1) | instskip(NEXT) | instid1(VALU_DEP_1)
	v_div_scale_f32 v7, null, v47, v47, -1.0
	v_rcp_f32_e32 v11, v7
	v_nop
	s_delay_alu instid0(TRANS32_DEP_1) | instskip(NEXT) | instid1(VALU_DEP_1)
	v_fma_f32 v13, -v7, v11, 1.0
	v_fmac_f32_e32 v11, v13, v11
	v_div_scale_f32 v13, vcc_lo, -1.0, v47, -1.0
	s_delay_alu instid0(VALU_DEP_1) | instskip(NEXT) | instid1(VALU_DEP_1)
	v_mul_f32_e32 v15, v13, v11
	v_fma_f32 v17, -v7, v15, v13
	s_delay_alu instid0(VALU_DEP_1) | instskip(NEXT) | instid1(VALU_DEP_1)
	v_fmac_f32_e32 v15, v17, v11
	v_fma_f32 v7, -v7, v15, v13
	s_delay_alu instid0(VALU_DEP_1) | instskip(NEXT) | instid1(VALU_DEP_1)
	v_div_fmas_f32 v7, v7, v11, v15
	v_div_fixup_f32 v49, v7, v47, -1.0
                                        ; implicit-def: $vgpr46_vgpr47
	s_delay_alu instid0(VALU_DEP_1) | instskip(NEXT) | instid1(VALU_DEP_1)
	v_mul_f32_e32 v50, v1, v49
	v_xor_b32_e32 v48, 0x80000000, v50
.LBB20_15:
	s_and_not1_saveexec_b32 s1, s1
	s_cbranch_execz .LBB20_17
; %bb.16:
	v_div_scale_f32 v1, null, v46, v46, v47
	v_div_scale_f32 v13, vcc_lo, v47, v46, v47
	s_delay_alu instid0(VALU_DEP_2) | instskip(SKIP_1) | instid1(TRANS32_DEP_1)
	v_rcp_f32_e32 v7, v1
	v_nop
	v_fma_f32 v11, -v1, v7, 1.0
	s_delay_alu instid0(VALU_DEP_1) | instskip(NEXT) | instid1(VALU_DEP_1)
	v_fmac_f32_e32 v7, v11, v7
	v_mul_f32_e32 v11, v13, v7
	s_delay_alu instid0(VALU_DEP_1) | instskip(NEXT) | instid1(VALU_DEP_1)
	v_fma_f32 v15, -v1, v11, v13
	v_fmac_f32_e32 v11, v15, v7
	s_delay_alu instid0(VALU_DEP_1) | instskip(NEXT) | instid1(VALU_DEP_1)
	v_fma_f32 v1, -v1, v11, v13
	v_div_fmas_f32 v1, v1, v7, v11
	s_delay_alu instid0(VALU_DEP_1) | instskip(NEXT) | instid1(VALU_DEP_1)
	v_div_fixup_f32 v1, v1, v46, v47
	v_fmac_f32_e32 v46, v47, v1
	s_delay_alu instid0(VALU_DEP_1) | instskip(SKIP_1) | instid1(VALU_DEP_2)
	v_div_scale_f32 v7, null, v46, v46, 1.0
	v_div_scale_f32 v15, vcc_lo, 1.0, v46, 1.0
	v_rcp_f32_e32 v11, v7
	v_nop
	s_delay_alu instid0(TRANS32_DEP_1) | instskip(NEXT) | instid1(VALU_DEP_1)
	v_fma_f32 v13, -v7, v11, 1.0
	v_fmac_f32_e32 v11, v13, v11
	s_delay_alu instid0(VALU_DEP_1) | instskip(NEXT) | instid1(VALU_DEP_1)
	v_mul_f32_e32 v13, v15, v11
	v_fma_f32 v17, -v7, v13, v15
	s_delay_alu instid0(VALU_DEP_1) | instskip(NEXT) | instid1(VALU_DEP_1)
	v_fmac_f32_e32 v13, v17, v11
	v_fma_f32 v7, -v7, v13, v15
	s_delay_alu instid0(VALU_DEP_1) | instskip(NEXT) | instid1(VALU_DEP_1)
	v_div_fmas_f32 v7, v7, v11, v13
	v_div_fixup_f32 v48, v7, v46, 1.0
	s_delay_alu instid0(VALU_DEP_1)
	v_xor_b32_e32 v50, 0x80000000, v48
	v_mul_f32_e64 v49, v1, -v48
.LBB20_17:
	s_or_b32 exec_lo, exec_lo, s1
	scratch_store_b64 v5, v[48:49], off
	scratch_load_b64 v[46:47], off, off offset:8
	v_xor_b32_e32 v51, 0x80000000, v49
	v_add_nc_u32_e32 v1, 0xb0, v44
	s_wait_loadcnt 0x0
	ds_store_2addr_b64 v44, v[50:51], v[46:47] offset1:22
	s_wait_storecnt_dscnt 0x0
	s_barrier_signal -1
	s_barrier_wait -1
	s_wait_xcnt 0x0
	s_and_saveexec_b32 s1, s0
	s_cbranch_execz .LBB20_19
; %bb.18:
	scratch_load_b64 v[46:47], v5, off
	ds_load_b64 v[48:49], v1
	s_wait_loadcnt_dscnt 0x0
	v_pk_mul_f32 v[52:53], v[48:49], v[46:47] op_sel:[1,1] op_sel_hi:[0,1]
	s_delay_alu instid0(VALU_DEP_1) | instskip(SKIP_2) | instid1(VALU_DEP_3)
	v_pk_fma_f32 v[54:55], v[48:49], v[46:47], v[52:53] op_sel_hi:[1,0,1]
	v_mov_b32_e32 v7, 0
	v_pk_fma_f32 v[46:47], v[48:49], v[46:47], v[52:53] neg_lo:[0,0,1] neg_hi:[0,0,1]
	v_mov_b32_e32 v47, v55
	ds_load_b64 v[50:51], v7 offset:8
	v_pk_add_f32 v[46:47], v[46:47], 0 op_sel_hi:[1,0]
	s_wait_dscnt 0x0
	s_delay_alu instid0(VALU_DEP_1) | instskip(NEXT) | instid1(VALU_DEP_1)
	v_pk_mul_f32 v[48:49], v[46:47], v[50:51] op_sel:[1,1] op_sel_hi:[0,1]
	v_pk_fma_f32 v[52:53], v[46:47], v[50:51], v[48:49] op_sel_hi:[1,0,1]
	v_pk_fma_f32 v[46:47], v[46:47], v[50:51], v[48:49] neg_lo:[0,0,1] neg_hi:[0,0,1]
	s_delay_alu instid0(VALU_DEP_2)
	v_mov_b32_e32 v47, v53
	scratch_store_b64 off, v[46:47], off offset:8
.LBB20_19:
	s_wait_xcnt 0x0
	s_or_b32 exec_lo, exec_lo, s1
	s_wait_storecnt 0x0
	s_barrier_signal -1
	s_barrier_wait -1
	scratch_load_b64 v[46:47], off, off offset:16
	s_mov_b32 s1, exec_lo
	s_wait_loadcnt 0x0
	ds_store_b64 v1, v[46:47]
	s_wait_dscnt 0x0
	s_barrier_signal -1
	s_barrier_wait -1
	v_cmpx_gt_u32_e32 2, v0
	s_cbranch_execz .LBB20_23
; %bb.20:
	scratch_load_b64 v[46:47], v5, off
	ds_load_b64 v[48:49], v1
	s_wait_loadcnt_dscnt 0x0
	v_pk_mul_f32 v[50:51], v[48:49], v[46:47] op_sel:[1,1] op_sel_hi:[0,1]
	s_delay_alu instid0(VALU_DEP_1) | instskip(SKIP_1) | instid1(VALU_DEP_2)
	v_pk_fma_f32 v[52:53], v[48:49], v[46:47], v[50:51] op_sel_hi:[1,0,1]
	v_pk_fma_f32 v[46:47], v[48:49], v[46:47], v[50:51] neg_lo:[0,0,1] neg_hi:[0,0,1]
	v_mov_b32_e32 v47, v53
	s_delay_alu instid0(VALU_DEP_1)
	v_pk_add_f32 v[46:47], v[46:47], 0 op_sel_hi:[1,0]
	s_and_saveexec_b32 s8, s0
	s_cbranch_execz .LBB20_22
; %bb.21:
	scratch_load_b64 v[48:49], off, off offset:8
	v_mov_b32_e32 v5, 0
	ds_load_b64 v[50:51], v5 offset:184
	s_wait_loadcnt_dscnt 0x0
	v_pk_mul_f32 v[52:53], v[50:51], v[48:49] op_sel:[1,1] op_sel_hi:[0,1]
	s_delay_alu instid0(VALU_DEP_1) | instskip(SKIP_1) | instid1(VALU_DEP_2)
	v_pk_fma_f32 v[54:55], v[50:51], v[48:49], v[52:53] op_sel_hi:[1,0,1]
	v_pk_fma_f32 v[48:49], v[50:51], v[48:49], v[52:53] neg_lo:[0,0,1] neg_hi:[0,0,1]
	v_mov_b32_e32 v49, v55
	s_delay_alu instid0(VALU_DEP_1)
	v_pk_add_f32 v[46:47], v[46:47], v[48:49]
.LBB20_22:
	s_or_b32 exec_lo, exec_lo, s8
	v_mov_b32_e32 v5, 0
	ds_load_b64 v[48:49], v5 offset:16
	s_wait_dscnt 0x0
	v_pk_mul_f32 v[50:51], v[46:47], v[48:49] op_sel:[1,1] op_sel_hi:[0,1]
	s_delay_alu instid0(VALU_DEP_1) | instskip(SKIP_1) | instid1(VALU_DEP_2)
	v_pk_fma_f32 v[52:53], v[46:47], v[48:49], v[50:51] op_sel_hi:[1,0,1]
	v_pk_fma_f32 v[46:47], v[46:47], v[48:49], v[50:51] neg_lo:[0,0,1] neg_hi:[0,0,1]
	v_mov_b32_e32 v47, v53
	scratch_store_b64 off, v[46:47], off offset:16
.LBB20_23:
	s_wait_xcnt 0x0
	s_or_b32 exec_lo, exec_lo, s1
	s_wait_storecnt 0x0
	s_barrier_signal -1
	s_barrier_wait -1
	scratch_load_b64 v[46:47], off, off offset:24
	v_add_nc_u32_e32 v5, -1, v0
	s_mov_b32 s0, exec_lo
	s_wait_loadcnt 0x0
	ds_store_b64 v1, v[46:47]
	s_wait_dscnt 0x0
	s_barrier_signal -1
	s_barrier_wait -1
	v_cmpx_gt_u32_e32 3, v0
	s_cbranch_execz .LBB20_27
; %bb.24:
	v_dual_mov_b32 v46, 0 :: v_dual_add_nc_u32 v7, -1, v0
	v_add_nc_u32_e32 v11, 0xb0, v44
	v_mov_b32_e32 v13, v44
	s_mov_b32 s1, 0
	s_delay_alu instid0(VALU_DEP_3)
	v_mov_b32_e32 v47, v46
.LBB20_25:                              ; =>This Inner Loop Header: Depth=1
	scratch_load_b64 v[48:49], v13, off
	ds_load_b64 v[50:51], v11
	s_wait_xcnt 0x0
	v_dual_add_nc_u32 v11, 8, v11 :: v_dual_add_nc_u32 v13, 8, v13
	s_wait_loadcnt_dscnt 0x0
	v_pk_mul_f32 v[52:53], v[50:51], v[48:49] op_sel:[1,1] op_sel_hi:[0,1]
	s_delay_alu instid0(VALU_DEP_1) | instskip(SKIP_2) | instid1(VALU_DEP_3)
	v_pk_fma_f32 v[54:55], v[50:51], v[48:49], v[52:53] op_sel_hi:[1,0,1]
	v_add_nc_u32_e32 v7, 1, v7
	v_pk_fma_f32 v[48:49], v[50:51], v[48:49], v[52:53] neg_lo:[0,0,1] neg_hi:[0,0,1]
	v_mov_b32_e32 v49, v55
	s_delay_alu instid0(VALU_DEP_3) | instskip(NEXT) | instid1(VALU_DEP_2)
	v_cmp_lt_u32_e32 vcc_lo, 1, v7
	v_pk_add_f32 v[46:47], v[46:47], v[48:49]
	s_or_b32 s1, vcc_lo, s1
	s_delay_alu instid0(SALU_CYCLE_1)
	s_and_not1_b32 exec_lo, exec_lo, s1
	s_cbranch_execnz .LBB20_25
; %bb.26:
	s_or_b32 exec_lo, exec_lo, s1
	v_mov_b32_e32 v7, 0
	ds_load_b64 v[48:49], v7 offset:24
	s_wait_dscnt 0x0
	v_pk_mul_f32 v[50:51], v[46:47], v[48:49] op_sel:[1,1] op_sel_hi:[0,1]
	s_delay_alu instid0(VALU_DEP_1) | instskip(SKIP_1) | instid1(VALU_DEP_2)
	v_pk_fma_f32 v[52:53], v[46:47], v[48:49], v[50:51] op_sel_hi:[1,0,1]
	v_pk_fma_f32 v[46:47], v[46:47], v[48:49], v[50:51] neg_lo:[0,0,1] neg_hi:[0,0,1]
	v_mov_b32_e32 v47, v53
	scratch_store_b64 off, v[46:47], off offset:24
.LBB20_27:
	s_wait_xcnt 0x0
	s_or_b32 exec_lo, exec_lo, s0
	s_wait_storecnt 0x0
	s_barrier_signal -1
	s_barrier_wait -1
	scratch_load_b64 v[46:47], off, off offset:32
	s_mov_b32 s0, exec_lo
	s_wait_loadcnt 0x0
	ds_store_b64 v1, v[46:47]
	s_wait_dscnt 0x0
	s_barrier_signal -1
	s_barrier_wait -1
	v_cmpx_gt_u32_e32 4, v0
	s_cbranch_execz .LBB20_31
; %bb.28:
	v_dual_mov_b32 v46, 0 :: v_dual_add_nc_u32 v7, -1, v0
	v_add_nc_u32_e32 v11, 0xb0, v44
	v_mov_b32_e32 v13, v44
	s_mov_b32 s1, 0
	s_delay_alu instid0(VALU_DEP_3)
	v_mov_b32_e32 v47, v46
.LBB20_29:                              ; =>This Inner Loop Header: Depth=1
	scratch_load_b64 v[48:49], v13, off
	ds_load_b64 v[50:51], v11
	s_wait_xcnt 0x0
	v_dual_add_nc_u32 v11, 8, v11 :: v_dual_add_nc_u32 v13, 8, v13
	s_wait_loadcnt_dscnt 0x0
	v_pk_mul_f32 v[52:53], v[50:51], v[48:49] op_sel:[1,1] op_sel_hi:[0,1]
	s_delay_alu instid0(VALU_DEP_1) | instskip(SKIP_2) | instid1(VALU_DEP_3)
	v_pk_fma_f32 v[54:55], v[50:51], v[48:49], v[52:53] op_sel_hi:[1,0,1]
	v_add_nc_u32_e32 v7, 1, v7
	v_pk_fma_f32 v[48:49], v[50:51], v[48:49], v[52:53] neg_lo:[0,0,1] neg_hi:[0,0,1]
	v_mov_b32_e32 v49, v55
	s_delay_alu instid0(VALU_DEP_3) | instskip(NEXT) | instid1(VALU_DEP_2)
	v_cmp_lt_u32_e32 vcc_lo, 2, v7
	v_pk_add_f32 v[46:47], v[46:47], v[48:49]
	s_or_b32 s1, vcc_lo, s1
	s_delay_alu instid0(SALU_CYCLE_1)
	s_and_not1_b32 exec_lo, exec_lo, s1
	s_cbranch_execnz .LBB20_29
; %bb.30:
	s_or_b32 exec_lo, exec_lo, s1
	v_mov_b32_e32 v7, 0
	ds_load_b64 v[48:49], v7 offset:32
	s_wait_dscnt 0x0
	v_pk_mul_f32 v[50:51], v[46:47], v[48:49] op_sel:[1,1] op_sel_hi:[0,1]
	s_delay_alu instid0(VALU_DEP_1) | instskip(SKIP_1) | instid1(VALU_DEP_2)
	v_pk_fma_f32 v[52:53], v[46:47], v[48:49], v[50:51] op_sel_hi:[1,0,1]
	v_pk_fma_f32 v[46:47], v[46:47], v[48:49], v[50:51] neg_lo:[0,0,1] neg_hi:[0,0,1]
	v_mov_b32_e32 v47, v53
	scratch_store_b64 off, v[46:47], off offset:32
.LBB20_31:
	s_wait_xcnt 0x0
	s_or_b32 exec_lo, exec_lo, s0
	s_wait_storecnt 0x0
	s_barrier_signal -1
	s_barrier_wait -1
	scratch_load_b64 v[46:47], off, off offset:40
	;; [unrolled: 52-line block ×17, first 2 shown]
	s_mov_b32 s0, exec_lo
	s_wait_loadcnt 0x0
	ds_store_b64 v1, v[46:47]
	s_wait_dscnt 0x0
	s_barrier_signal -1
	s_barrier_wait -1
	v_cmpx_ne_u32_e32 20, v0
	s_cbranch_execz .LBB20_95
; %bb.92:
	v_dual_mov_b32 v46, 0 :: v_dual_mov_b32 v7, v44
	s_mov_b32 s1, 0
	s_delay_alu instid0(VALU_DEP_1)
	v_mov_b32_e32 v47, v46
.LBB20_93:                              ; =>This Inner Loop Header: Depth=1
	scratch_load_b64 v[44:45], v7, off
	ds_load_b64 v[48:49], v1
	s_wait_xcnt 0x0
	v_dual_add_nc_u32 v1, 8, v1 :: v_dual_add_nc_u32 v7, 8, v7
	s_wait_loadcnt_dscnt 0x0
	v_pk_mul_f32 v[50:51], v[48:49], v[44:45] op_sel:[1,1] op_sel_hi:[0,1]
	s_delay_alu instid0(VALU_DEP_1) | instskip(SKIP_2) | instid1(VALU_DEP_3)
	v_pk_fma_f32 v[52:53], v[48:49], v[44:45], v[50:51] op_sel_hi:[1,0,1]
	v_add_nc_u32_e32 v5, 1, v5
	v_pk_fma_f32 v[44:45], v[48:49], v[44:45], v[50:51] neg_lo:[0,0,1] neg_hi:[0,0,1]
	v_mov_b32_e32 v45, v53
	s_delay_alu instid0(VALU_DEP_3) | instskip(NEXT) | instid1(VALU_DEP_2)
	v_cmp_lt_u32_e32 vcc_lo, 18, v5
	v_pk_add_f32 v[46:47], v[46:47], v[44:45]
	s_or_b32 s1, vcc_lo, s1
	s_delay_alu instid0(SALU_CYCLE_1)
	s_and_not1_b32 exec_lo, exec_lo, s1
	s_cbranch_execnz .LBB20_93
; %bb.94:
	s_or_b32 exec_lo, exec_lo, s1
	v_mov_b32_e32 v1, 0
	ds_load_b64 v[44:45], v1 offset:160
	s_wait_dscnt 0x0
	v_pk_mul_f32 v[48:49], v[46:47], v[44:45] op_sel:[1,1] op_sel_hi:[0,1]
	s_delay_alu instid0(VALU_DEP_1) | instskip(SKIP_1) | instid1(VALU_DEP_2)
	v_pk_fma_f32 v[50:51], v[46:47], v[44:45], v[48:49] op_sel_hi:[1,0,1]
	v_pk_fma_f32 v[44:45], v[46:47], v[44:45], v[48:49] neg_lo:[0,0,1] neg_hi:[0,0,1]
	v_mov_b32_e32 v45, v51
	scratch_store_b64 off, v[44:45], off offset:160
.LBB20_95:
	s_wait_xcnt 0x0
	s_or_b32 exec_lo, exec_lo, s0
	s_mov_b32 s1, -1
	s_wait_storecnt 0x0
	s_barrier_signal -1
	s_barrier_wait -1
.LBB20_96:
	s_and_b32 vcc_lo, exec_lo, s1
	s_cbranch_vccz .LBB20_98
; %bb.97:
	v_mov_b32_e32 v1, 0
	s_lshl_b64 s[0:1], s[16:17], 2
	s_delay_alu instid0(SALU_CYCLE_1)
	s_add_nc_u64 s[0:1], s[6:7], s[0:1]
	global_load_b32 v1, v1, s[0:1]
	s_wait_loadcnt 0x0
	v_cmp_ne_u32_e32 vcc_lo, 0, v1
	s_cbranch_vccz .LBB20_99
.LBB20_98:
	s_sendmsg sendmsg(MSG_DEALLOC_VGPRS)
	s_endpgm
.LBB20_99:
	s_wait_xcnt 0x0
	v_lshl_add_u32 v1, v0, 3, 0xb0
	s_mov_b32 s0, exec_lo
	v_cmpx_eq_u32_e32 20, v0
	s_cbranch_execz .LBB20_101
; %bb.100:
	scratch_load_b64 v[44:45], off, off offset:152
	v_mov_b64_e32 v[46:47], 0
	scratch_store_b64 off, v[46:47], off offset:152
	s_wait_loadcnt 0x0
	ds_store_b64 v1, v[44:45]
.LBB20_101:
	s_wait_xcnt 0x0
	s_or_b32 exec_lo, exec_lo, s0
	s_wait_storecnt_dscnt 0x0
	s_barrier_signal -1
	s_barrier_wait -1
	s_clause 0x1
	scratch_load_b64 v[44:45], off, off offset:160
	scratch_load_b64 v[46:47], off, off offset:152
	v_mov_b32_e32 v5, 0
	s_mov_b32 s0, exec_lo
	ds_load_b64 v[48:49], v5 offset:336
	s_wait_loadcnt_dscnt 0x100
	v_pk_mul_f32 v[50:51], v[48:49], v[44:45] op_sel:[1,1] op_sel_hi:[0,1]
	s_delay_alu instid0(VALU_DEP_1) | instskip(SKIP_1) | instid1(VALU_DEP_2)
	v_pk_fma_f32 v[52:53], v[48:49], v[44:45], v[50:51] op_sel_hi:[1,0,1]
	v_pk_fma_f32 v[44:45], v[48:49], v[44:45], v[50:51] neg_lo:[0,0,1] neg_hi:[0,0,1]
	v_mov_b32_e32 v45, v53
	s_delay_alu instid0(VALU_DEP_1) | instskip(SKIP_1) | instid1(VALU_DEP_1)
	v_pk_add_f32 v[44:45], v[44:45], 0 op_sel_hi:[1,0]
	s_wait_loadcnt 0x0
	v_pk_add_f32 v[44:45], v[46:47], v[44:45] neg_lo:[0,1] neg_hi:[0,1]
	scratch_store_b64 off, v[44:45], off offset:152
	s_wait_xcnt 0x0
	v_cmpx_lt_u32_e32 18, v0
	s_cbranch_execz .LBB20_103
; %bb.102:
	scratch_load_b64 v[44:45], off, off offset:144
	v_mov_b64_e32 v[46:47], 0
	scratch_store_b64 off, v[46:47], off offset:144
	s_wait_loadcnt 0x0
	ds_store_b64 v1, v[44:45]
.LBB20_103:
	s_wait_xcnt 0x0
	s_or_b32 exec_lo, exec_lo, s0
	s_wait_storecnt_dscnt 0x0
	s_barrier_signal -1
	s_barrier_wait -1
	s_clause 0x1
	scratch_load_b128 v[44:47], off, off offset:152
	scratch_load_b64 v[52:53], off, off offset:144
	ds_load_2addr_b64 v[48:51], v5 offset0:41 offset1:42
	s_mov_b32 s0, exec_lo
	s_wait_dscnt 0x0
	v_dual_mov_b32 v54, v51 :: v_dual_mov_b32 v55, v50
	s_wait_loadcnt 0x1
	v_pk_mul_f32 v[56:57], v[48:49], v[44:45] op_sel:[1,1] op_sel_hi:[0,1]
	s_delay_alu instid0(VALU_DEP_1) | instskip(SKIP_2) | instid1(VALU_DEP_3)
	v_pk_fma_f32 v[60:61], v[48:49], v[44:45], v[56:57] op_sel_hi:[1,0,1]
	v_mov_b32_e32 v58, v47
	v_pk_fma_f32 v[44:45], v[48:49], v[44:45], v[56:57] neg_lo:[0,0,1] neg_hi:[0,0,1]
	v_mov_b32_e32 v45, v61
	s_delay_alu instid0(VALU_DEP_3) | instskip(NEXT) | instid1(VALU_DEP_2)
	v_pk_mul_f32 v[54:55], v[54:55], v[58:59] op_sel_hi:[1,0]
	v_pk_add_f32 v[44:45], v[44:45], 0 op_sel_hi:[1,0]
	s_delay_alu instid0(VALU_DEP_2) | instskip(SKIP_1) | instid1(VALU_DEP_2)
	v_pk_fma_f32 v[48:49], v[50:51], v[46:47], v[54:55] op_sel_hi:[1,0,1]
	v_pk_fma_f32 v[46:47], v[50:51], v[46:47], v[54:55] neg_lo:[0,0,1] neg_hi:[0,0,1]
	v_mov_b32_e32 v47, v49
	s_delay_alu instid0(VALU_DEP_1) | instskip(SKIP_1) | instid1(VALU_DEP_1)
	v_pk_add_f32 v[44:45], v[44:45], v[46:47]
	s_wait_loadcnt 0x0
	v_pk_add_f32 v[44:45], v[52:53], v[44:45] neg_lo:[0,1] neg_hi:[0,1]
	scratch_store_b64 off, v[44:45], off offset:144
	s_wait_xcnt 0x0
	v_cmpx_lt_u32_e32 17, v0
	s_cbranch_execz .LBB20_105
; %bb.104:
	scratch_load_b64 v[44:45], off, off offset:136
	v_mov_b64_e32 v[46:47], 0
	scratch_store_b64 off, v[46:47], off offset:136
	s_wait_loadcnt 0x0
	ds_store_b64 v1, v[44:45]
.LBB20_105:
	s_wait_xcnt 0x0
	s_or_b32 exec_lo, exec_lo, s0
	s_wait_storecnt_dscnt 0x0
	s_barrier_signal -1
	s_barrier_wait -1
	s_clause 0x2
	scratch_load_b128 v[44:47], off, off offset:144
	scratch_load_b64 v[52:53], off, off offset:160
	scratch_load_b64 v[54:55], off, off offset:136
	v_mov_b32_e32 v5, 0
	ds_load_b128 v[48:51], v5 offset:320
	ds_load_b64 v[56:57], v5 offset:336
	s_mov_b32 s0, exec_lo
	s_wait_dscnt 0x1
	v_dual_mov_b32 v58, v51 :: v_dual_mov_b32 v59, v50
	s_wait_loadcnt 0x2
	v_mov_b32_e32 v62, v47
	v_pk_mul_f32 v[60:61], v[48:49], v[44:45] op_sel:[1,1] op_sel_hi:[0,1]
	s_delay_alu instid0(VALU_DEP_2) | instskip(NEXT) | instid1(VALU_DEP_2)
	v_pk_mul_f32 v[58:59], v[58:59], v[62:63] op_sel_hi:[1,0]
	v_pk_fma_f32 v[64:65], v[48:49], v[44:45], v[60:61] op_sel_hi:[1,0,1]
	v_pk_fma_f32 v[44:45], v[48:49], v[44:45], v[60:61] neg_lo:[0,0,1] neg_hi:[0,0,1]
	s_wait_loadcnt_dscnt 0x100
	v_pk_mul_f32 v[60:61], v[56:57], v[52:53] op_sel:[1,1] op_sel_hi:[0,1]
	v_pk_fma_f32 v[48:49], v[50:51], v[46:47], v[58:59] op_sel_hi:[1,0,1]
	v_mov_b32_e32 v45, v65
	v_pk_fma_f32 v[46:47], v[50:51], v[46:47], v[58:59] neg_lo:[0,0,1] neg_hi:[0,0,1]
	s_delay_alu instid0(VALU_DEP_4) | instskip(NEXT) | instid1(VALU_DEP_4)
	v_pk_fma_f32 v[50:51], v[56:57], v[52:53], v[60:61] neg_lo:[0,0,1] neg_hi:[0,0,1]
	v_mov_b32_e32 v47, v49
	s_delay_alu instid0(VALU_DEP_4) | instskip(SKIP_1) | instid1(VALU_DEP_2)
	v_pk_add_f32 v[44:45], v[44:45], 0 op_sel_hi:[1,0]
	v_pk_fma_f32 v[48:49], v[56:57], v[52:53], v[60:61] op_sel_hi:[1,0,1]
	v_pk_add_f32 v[44:45], v[44:45], v[46:47]
	s_delay_alu instid0(VALU_DEP_2) | instskip(NEXT) | instid1(VALU_DEP_1)
	v_mov_b32_e32 v51, v49
	v_pk_add_f32 v[44:45], v[44:45], v[50:51]
	s_wait_loadcnt 0x0
	s_delay_alu instid0(VALU_DEP_1)
	v_pk_add_f32 v[44:45], v[54:55], v[44:45] neg_lo:[0,1] neg_hi:[0,1]
	scratch_store_b64 off, v[44:45], off offset:136
	s_wait_xcnt 0x0
	v_cmpx_lt_u32_e32 16, v0
	s_cbranch_execz .LBB20_107
; %bb.106:
	scratch_load_b64 v[44:45], off, off offset:128
	v_mov_b64_e32 v[46:47], 0
	scratch_store_b64 off, v[46:47], off offset:128
	s_wait_loadcnt 0x0
	ds_store_b64 v1, v[44:45]
.LBB20_107:
	s_wait_xcnt 0x0
	s_or_b32 exec_lo, exec_lo, s0
	s_wait_storecnt_dscnt 0x0
	s_barrier_signal -1
	s_barrier_wait -1
	s_clause 0x2
	scratch_load_b128 v[44:47], off, off offset:136
	scratch_load_b128 v[48:51], off, off offset:152
	scratch_load_b64 v[60:61], off, off offset:128
	ds_load_2addr_b64 v[52:55], v5 offset0:39 offset1:40
	ds_load_2addr_b64 v[56:59], v5 offset0:41 offset1:42
	s_mov_b32 s0, exec_lo
	s_wait_dscnt 0x1
	v_dual_mov_b32 v62, v55 :: v_dual_mov_b32 v63, v54
	s_wait_loadcnt_dscnt 0x200
	v_dual_mov_b32 v68, v59 :: v_dual_mov_b32 v66, v47
	v_pk_mul_f32 v[64:65], v[52:53], v[44:45] op_sel:[1,1] op_sel_hi:[0,1]
	s_delay_alu instid0(VALU_DEP_2) | instskip(NEXT) | instid1(VALU_DEP_2)
	v_pk_mul_f32 v[62:63], v[62:63], v[66:67] op_sel_hi:[1,0]
	v_pk_fma_f32 v[70:71], v[52:53], v[44:45], v[64:65] op_sel_hi:[1,0,1]
	v_pk_fma_f32 v[44:45], v[52:53], v[44:45], v[64:65] neg_lo:[0,0,1] neg_hi:[0,0,1]
	v_mov_b32_e32 v69, v58
	s_wait_loadcnt 0x1
	v_pk_mul_f32 v[66:67], v[56:57], v[48:49] op_sel:[1,1] op_sel_hi:[0,1]
	v_pk_fma_f32 v[52:53], v[54:55], v[46:47], v[62:63] op_sel_hi:[1,0,1]
	v_dual_mov_b32 v45, v71 :: v_dual_mov_b32 v52, v51
	v_pk_fma_f32 v[46:47], v[54:55], v[46:47], v[62:63] neg_lo:[0,0,1] neg_hi:[0,0,1]
	s_delay_alu instid0(VALU_DEP_4) | instskip(NEXT) | instid1(VALU_DEP_4)
	v_pk_fma_f32 v[64:65], v[56:57], v[48:49], v[66:67] op_sel_hi:[1,0,1]
	v_mov_b32_e32 v47, v53
	s_delay_alu instid0(VALU_DEP_4) | instskip(SKIP_2) | instid1(VALU_DEP_3)
	v_pk_add_f32 v[44:45], v[44:45], 0 op_sel_hi:[1,0]
	v_pk_mul_f32 v[52:53], v[68:69], v[52:53] op_sel_hi:[1,0]
	v_pk_fma_f32 v[48:49], v[56:57], v[48:49], v[66:67] neg_lo:[0,0,1] neg_hi:[0,0,1]
	v_pk_add_f32 v[44:45], v[44:45], v[46:47]
	s_delay_alu instid0(VALU_DEP_3) | instskip(SKIP_2) | instid1(VALU_DEP_3)
	v_pk_fma_f32 v[46:47], v[58:59], v[50:51], v[52:53] op_sel_hi:[1,0,1]
	v_mov_b32_e32 v49, v65
	v_pk_fma_f32 v[50:51], v[58:59], v[50:51], v[52:53] neg_lo:[0,0,1] neg_hi:[0,0,1]
	v_mov_b32_e32 v51, v47
	s_delay_alu instid0(VALU_DEP_3) | instskip(NEXT) | instid1(VALU_DEP_1)
	v_pk_add_f32 v[44:45], v[44:45], v[48:49]
	v_pk_add_f32 v[44:45], v[44:45], v[50:51]
	s_wait_loadcnt 0x0
	s_delay_alu instid0(VALU_DEP_1)
	v_pk_add_f32 v[44:45], v[60:61], v[44:45] neg_lo:[0,1] neg_hi:[0,1]
	scratch_store_b64 off, v[44:45], off offset:128
	s_wait_xcnt 0x0
	v_cmpx_lt_u32_e32 15, v0
	s_cbranch_execz .LBB20_109
; %bb.108:
	scratch_load_b64 v[44:45], off, off offset:120
	v_mov_b64_e32 v[46:47], 0
	scratch_store_b64 off, v[46:47], off offset:120
	s_wait_loadcnt 0x0
	ds_store_b64 v1, v[44:45]
.LBB20_109:
	s_wait_xcnt 0x0
	s_or_b32 exec_lo, exec_lo, s0
	s_wait_storecnt_dscnt 0x0
	s_barrier_signal -1
	s_barrier_wait -1
	s_clause 0x3
	scratch_load_b128 v[44:47], off, off offset:128
	scratch_load_b128 v[48:51], off, off offset:144
	scratch_load_b64 v[60:61], off, off offset:160
	scratch_load_b64 v[62:63], off, off offset:120
	v_mov_b32_e32 v5, 0
	ds_load_b128 v[52:55], v5 offset:304
	ds_load_b128 v[56:59], v5 offset:320
	s_mov_b32 s0, exec_lo
	s_wait_dscnt 0x1
	v_dual_mov_b32 v64, v55 :: v_dual_mov_b32 v65, v54
	ds_load_b64 v[70:71], v5 offset:336
	s_wait_dscnt 0x1
	v_dual_mov_b32 v72, v59 :: v_dual_mov_b32 v73, v58
	s_wait_loadcnt 0x3
	v_pk_mul_f32 v[66:67], v[52:53], v[44:45] op_sel:[1,1] op_sel_hi:[0,1]
	v_mov_b32_e32 v68, v47
	s_delay_alu instid0(VALU_DEP_2) | instskip(NEXT) | instid1(VALU_DEP_2)
	v_pk_fma_f32 v[74:75], v[52:53], v[44:45], v[66:67] op_sel_hi:[1,0,1]
	v_pk_mul_f32 v[64:65], v[64:65], v[68:69] op_sel_hi:[1,0]
	v_pk_fma_f32 v[44:45], v[52:53], v[44:45], v[66:67] neg_lo:[0,0,1] neg_hi:[0,0,1]
	s_wait_loadcnt 0x2
	v_pk_mul_f32 v[68:69], v[56:57], v[48:49] op_sel:[1,1] op_sel_hi:[0,1]
	v_dual_mov_b32 v74, v51 :: v_dual_mov_b32 v45, v75
	v_pk_fma_f32 v[52:53], v[54:55], v[46:47], v[64:65] op_sel_hi:[1,0,1]
	v_pk_fma_f32 v[46:47], v[54:55], v[46:47], v[64:65] neg_lo:[0,0,1] neg_hi:[0,0,1]
	s_delay_alu instid0(VALU_DEP_4) | instskip(NEXT) | instid1(VALU_DEP_4)
	v_pk_fma_f32 v[66:67], v[56:57], v[48:49], v[68:69] op_sel_hi:[1,0,1]
	v_pk_mul_f32 v[72:73], v[72:73], v[74:75] op_sel_hi:[1,0]
	v_pk_add_f32 v[44:45], v[44:45], 0 op_sel_hi:[1,0]
	v_mov_b32_e32 v47, v53
	v_pk_fma_f32 v[48:49], v[56:57], v[48:49], v[68:69] neg_lo:[0,0,1] neg_hi:[0,0,1]
	v_mov_b32_e32 v49, v67
	v_pk_fma_f32 v[52:53], v[58:59], v[50:51], v[72:73] op_sel_hi:[1,0,1]
	v_pk_fma_f32 v[50:51], v[58:59], v[50:51], v[72:73] neg_lo:[0,0,1] neg_hi:[0,0,1]
	v_pk_add_f32 v[44:45], v[44:45], v[46:47]
	s_wait_loadcnt_dscnt 0x100
	v_pk_mul_f32 v[46:47], v[70:71], v[60:61] op_sel:[1,1] op_sel_hi:[0,1]
	s_delay_alu instid0(VALU_DEP_2) | instskip(NEXT) | instid1(VALU_DEP_2)
	v_pk_add_f32 v[44:45], v[44:45], v[48:49]
	v_pk_fma_f32 v[48:49], v[70:71], v[60:61], v[46:47] op_sel_hi:[1,0,1]
	v_mov_b32_e32 v51, v53
	v_pk_fma_f32 v[46:47], v[70:71], v[60:61], v[46:47] neg_lo:[0,0,1] neg_hi:[0,0,1]
	s_delay_alu instid0(VALU_DEP_3) | instskip(NEXT) | instid1(VALU_DEP_3)
	v_mov_b32_e32 v47, v49
	v_pk_add_f32 v[44:45], v[44:45], v[50:51]
	s_delay_alu instid0(VALU_DEP_1) | instskip(SKIP_1) | instid1(VALU_DEP_1)
	v_pk_add_f32 v[44:45], v[44:45], v[46:47]
	s_wait_loadcnt 0x0
	v_pk_add_f32 v[44:45], v[62:63], v[44:45] neg_lo:[0,1] neg_hi:[0,1]
	scratch_store_b64 off, v[44:45], off offset:120
	s_wait_xcnt 0x0
	v_cmpx_lt_u32_e32 14, v0
	s_cbranch_execz .LBB20_111
; %bb.110:
	scratch_load_b64 v[44:45], off, off offset:112
	v_mov_b64_e32 v[46:47], 0
	scratch_store_b64 off, v[46:47], off offset:112
	s_wait_loadcnt 0x0
	ds_store_b64 v1, v[44:45]
.LBB20_111:
	s_wait_xcnt 0x0
	s_or_b32 exec_lo, exec_lo, s0
	s_wait_storecnt_dscnt 0x0
	s_barrier_signal -1
	s_barrier_wait -1
	s_clause 0x3
	scratch_load_b128 v[44:47], off, off offset:120
	scratch_load_b128 v[48:51], off, off offset:136
	;; [unrolled: 1-line block ×3, first 2 shown]
	scratch_load_b64 v[68:69], off, off offset:112
	ds_load_2addr_b64 v[56:59], v5 offset0:37 offset1:38
	ds_load_2addr_b64 v[60:63], v5 offset0:39 offset1:40
	;; [unrolled: 1-line block ×3, first 2 shown]
	s_mov_b32 s0, exec_lo
	s_wait_dscnt 0x2
	v_dual_mov_b32 v70, v59 :: v_dual_mov_b32 v71, v58
	s_wait_dscnt 0x1
	v_dual_mov_b32 v72, v63 :: v_dual_mov_b32 v73, v62
	;; [unrolled: 2-line block ×3, first 2 shown]
	s_wait_loadcnt 0x3
	v_pk_mul_f32 v[74:75], v[56:57], v[44:45] op_sel:[1,1] op_sel_hi:[0,1]
	v_mov_b32_e32 v76, v47
	s_delay_alu instid0(VALU_DEP_2) | instskip(NEXT) | instid1(VALU_DEP_2)
	v_pk_fma_f32 v[80:81], v[56:57], v[44:45], v[74:75] op_sel_hi:[1,0,1]
	v_pk_mul_f32 v[70:71], v[70:71], v[76:77] op_sel_hi:[1,0]
	v_pk_fma_f32 v[44:45], v[56:57], v[44:45], v[74:75] neg_lo:[0,0,1] neg_hi:[0,0,1]
	s_wait_loadcnt 0x2
	v_pk_mul_f32 v[76:77], v[60:61], v[48:49] op_sel:[1,1] op_sel_hi:[0,1]
	v_mov_b32_e32 v80, v51
	v_pk_fma_f32 v[56:57], v[58:59], v[46:47], v[70:71] op_sel_hi:[1,0,1]
	v_mov_b32_e32 v45, v81
	v_pk_fma_f32 v[46:47], v[58:59], v[46:47], v[70:71] neg_lo:[0,0,1] neg_hi:[0,0,1]
	v_pk_fma_f32 v[74:75], v[60:61], v[48:49], v[76:77] op_sel_hi:[1,0,1]
	v_pk_mul_f32 v[72:73], v[72:73], v[80:81] op_sel_hi:[1,0]
	v_mov_b32_e32 v47, v57
	v_pk_add_f32 v[44:45], v[44:45], 0 op_sel_hi:[1,0]
	v_pk_fma_f32 v[48:49], v[60:61], v[48:49], v[76:77] neg_lo:[0,0,1] neg_hi:[0,0,1]
	s_wait_loadcnt 0x1
	v_pk_mul_f32 v[56:57], v[64:65], v[52:53] op_sel:[1,1] op_sel_hi:[0,1]
	v_mov_b32_e32 v49, v75
	v_pk_fma_f32 v[58:59], v[62:63], v[50:51], v[72:73] op_sel_hi:[1,0,1]
	v_pk_add_f32 v[44:45], v[44:45], v[46:47]
	v_mov_b32_e32 v46, v55
	v_pk_fma_f32 v[50:51], v[62:63], v[50:51], v[72:73] neg_lo:[0,0,1] neg_hi:[0,0,1]
	v_pk_fma_f32 v[60:61], v[64:65], v[52:53], v[56:57] op_sel_hi:[1,0,1]
	v_mov_b32_e32 v51, v59
	v_pk_add_f32 v[44:45], v[44:45], v[48:49]
	v_pk_mul_f32 v[46:47], v[78:79], v[46:47] op_sel_hi:[1,0]
	v_pk_fma_f32 v[48:49], v[64:65], v[52:53], v[56:57] neg_lo:[0,0,1] neg_hi:[0,0,1]
	v_mov_b32_e32 v49, v61
	s_delay_alu instid0(VALU_DEP_4) | instskip(NEXT) | instid1(VALU_DEP_4)
	v_pk_add_f32 v[44:45], v[44:45], v[50:51]
	v_pk_fma_f32 v[50:51], v[66:67], v[54:55], v[46:47] op_sel_hi:[1,0,1]
	v_pk_fma_f32 v[46:47], v[66:67], v[54:55], v[46:47] neg_lo:[0,0,1] neg_hi:[0,0,1]
	s_delay_alu instid0(VALU_DEP_3) | instskip(NEXT) | instid1(VALU_DEP_3)
	v_pk_add_f32 v[44:45], v[44:45], v[48:49]
	v_mov_b32_e32 v47, v51
	s_delay_alu instid0(VALU_DEP_1) | instskip(SKIP_1) | instid1(VALU_DEP_1)
	v_pk_add_f32 v[44:45], v[44:45], v[46:47]
	s_wait_loadcnt 0x0
	v_pk_add_f32 v[44:45], v[68:69], v[44:45] neg_lo:[0,1] neg_hi:[0,1]
	scratch_store_b64 off, v[44:45], off offset:112
	s_wait_xcnt 0x0
	v_cmpx_lt_u32_e32 13, v0
	s_cbranch_execz .LBB20_113
; %bb.112:
	scratch_load_b64 v[44:45], off, off offset:104
	v_mov_b64_e32 v[46:47], 0
	scratch_store_b64 off, v[46:47], off offset:104
	s_wait_loadcnt 0x0
	ds_store_b64 v1, v[44:45]
.LBB20_113:
	s_wait_xcnt 0x0
	s_or_b32 exec_lo, exec_lo, s0
	s_wait_storecnt_dscnt 0x0
	s_barrier_signal -1
	s_barrier_wait -1
	s_clause 0x4
	scratch_load_b128 v[44:47], off, off offset:112
	scratch_load_b128 v[48:51], off, off offset:128
	;; [unrolled: 1-line block ×3, first 2 shown]
	scratch_load_b64 v[68:69], off, off offset:160
	scratch_load_b64 v[70:71], off, off offset:104
	v_mov_b32_e32 v5, 0
	ds_load_b128 v[56:59], v5 offset:288
	ds_load_b128 v[60:63], v5 offset:304
	;; [unrolled: 1-line block ×3, first 2 shown]
	ds_load_b64 v[72:73], v5 offset:336
	s_mov_b32 s0, exec_lo
	s_wait_dscnt 0x3
	v_dual_mov_b32 v74, v59 :: v_dual_mov_b32 v75, v58
	s_wait_dscnt 0x2
	v_dual_mov_b32 v76, v63 :: v_dual_mov_b32 v77, v62
	;; [unrolled: 2-line block ×3, first 2 shown]
	s_wait_loadcnt 0x4
	v_pk_mul_f32 v[78:79], v[56:57], v[44:45] op_sel:[1,1] op_sel_hi:[0,1]
	v_mov_b32_e32 v80, v47
	s_wait_loadcnt 0x3
	v_pk_mul_f32 v[84:85], v[60:61], v[48:49] op_sel:[1,1] op_sel_hi:[0,1]
	s_wait_loadcnt 0x2
	v_pk_mul_f32 v[88:89], v[64:65], v[52:53] op_sel:[1,1] op_sel_hi:[0,1]
	v_pk_fma_f32 v[86:87], v[56:57], v[44:45], v[78:79] op_sel_hi:[1,0,1]
	v_pk_mul_f32 v[74:75], v[74:75], v[80:81] op_sel_hi:[1,0]
	v_pk_fma_f32 v[44:45], v[56:57], v[44:45], v[78:79] neg_lo:[0,0,1] neg_hi:[0,0,1]
	v_mov_b32_e32 v80, v51
	v_pk_fma_f32 v[78:79], v[60:61], v[48:49], v[84:85] op_sel_hi:[1,0,1]
	v_mov_b32_e32 v45, v87
	v_pk_fma_f32 v[56:57], v[58:59], v[46:47], v[74:75] op_sel_hi:[1,0,1]
	v_pk_fma_f32 v[46:47], v[58:59], v[46:47], v[74:75] neg_lo:[0,0,1] neg_hi:[0,0,1]
	v_pk_mul_f32 v[76:77], v[76:77], v[80:81] op_sel_hi:[1,0]
	v_pk_fma_f32 v[48:49], v[60:61], v[48:49], v[84:85] neg_lo:[0,0,1] neg_hi:[0,0,1]
	v_pk_add_f32 v[44:45], v[44:45], 0 op_sel_hi:[1,0]
	v_dual_mov_b32 v47, v57 :: v_dual_mov_b32 v56, v55
	s_delay_alu instid0(VALU_DEP_4) | instskip(SKIP_2) | instid1(VALU_DEP_4)
	v_pk_fma_f32 v[58:59], v[62:63], v[50:51], v[76:77] op_sel_hi:[1,0,1]
	v_mov_b32_e32 v49, v79
	v_pk_fma_f32 v[50:51], v[62:63], v[50:51], v[76:77] neg_lo:[0,0,1] neg_hi:[0,0,1]
	v_pk_add_f32 v[44:45], v[44:45], v[46:47]
	v_pk_fma_f32 v[46:47], v[64:65], v[52:53], v[88:89] op_sel_hi:[1,0,1]
	v_pk_mul_f32 v[56:57], v[82:83], v[56:57] op_sel_hi:[1,0]
	v_mov_b32_e32 v51, v59
	s_delay_alu instid0(VALU_DEP_4)
	v_pk_add_f32 v[44:45], v[44:45], v[48:49]
	v_pk_fma_f32 v[48:49], v[64:65], v[52:53], v[88:89] neg_lo:[0,0,1] neg_hi:[0,0,1]
	v_mov_b32_e32 v49, v47
	v_pk_fma_f32 v[46:47], v[66:67], v[54:55], v[56:57] op_sel_hi:[1,0,1]
	v_pk_fma_f32 v[52:53], v[66:67], v[54:55], v[56:57] neg_lo:[0,0,1] neg_hi:[0,0,1]
	v_pk_add_f32 v[44:45], v[44:45], v[50:51]
	s_wait_loadcnt_dscnt 0x100
	v_pk_mul_f32 v[50:51], v[72:73], v[68:69] op_sel:[1,1] op_sel_hi:[0,1]
	v_mov_b32_e32 v53, v47
	s_delay_alu instid0(VALU_DEP_3) | instskip(NEXT) | instid1(VALU_DEP_3)
	v_pk_add_f32 v[44:45], v[44:45], v[48:49]
	v_pk_fma_f32 v[46:47], v[72:73], v[68:69], v[50:51] op_sel_hi:[1,0,1]
	v_pk_fma_f32 v[48:49], v[72:73], v[68:69], v[50:51] neg_lo:[0,0,1] neg_hi:[0,0,1]
	s_delay_alu instid0(VALU_DEP_3) | instskip(NEXT) | instid1(VALU_DEP_3)
	v_pk_add_f32 v[44:45], v[44:45], v[52:53]
	v_mov_b32_e32 v49, v47
	s_delay_alu instid0(VALU_DEP_1) | instskip(SKIP_1) | instid1(VALU_DEP_1)
	v_pk_add_f32 v[44:45], v[44:45], v[48:49]
	s_wait_loadcnt 0x0
	v_pk_add_f32 v[44:45], v[70:71], v[44:45] neg_lo:[0,1] neg_hi:[0,1]
	scratch_store_b64 off, v[44:45], off offset:104
	s_wait_xcnt 0x0
	v_cmpx_lt_u32_e32 12, v0
	s_cbranch_execz .LBB20_115
; %bb.114:
	scratch_load_b64 v[44:45], off, off offset:96
	v_mov_b64_e32 v[46:47], 0
	scratch_store_b64 off, v[46:47], off offset:96
	s_wait_loadcnt 0x0
	ds_store_b64 v1, v[44:45]
.LBB20_115:
	s_wait_xcnt 0x0
	s_or_b32 exec_lo, exec_lo, s0
	s_wait_storecnt_dscnt 0x0
	s_barrier_signal -1
	s_barrier_wait -1
	s_clause 0x4
	scratch_load_b128 v[44:47], off, off offset:104
	scratch_load_b128 v[48:51], off, off offset:120
	;; [unrolled: 1-line block ×4, first 2 shown]
	scratch_load_b64 v[76:77], off, off offset:96
	ds_load_2addr_b64 v[60:63], v5 offset0:35 offset1:36
	ds_load_2addr_b64 v[64:67], v5 offset0:37 offset1:38
	;; [unrolled: 1-line block ×4, first 2 shown]
	s_mov_b32 s0, exec_lo
	s_wait_dscnt 0x3
	v_dual_mov_b32 v78, v63 :: v_dual_mov_b32 v79, v62
	s_wait_dscnt 0x2
	v_dual_mov_b32 v80, v67 :: v_dual_mov_b32 v81, v66
	;; [unrolled: 2-line block ×3, first 2 shown]
	v_dual_mov_b32 v83, v70 :: v_dual_mov_b32 v88, v75
	s_wait_loadcnt 0x4
	v_mov_b32_e32 v86, v47
	v_pk_mul_f32 v[84:85], v[60:61], v[44:45] op_sel:[1,1] op_sel_hi:[0,1]
	s_wait_loadcnt 0x3
	v_pk_mul_f32 v[90:91], v[64:65], v[48:49] op_sel:[1,1] op_sel_hi:[0,1]
	s_wait_loadcnt 0x2
	v_pk_mul_f32 v[94:95], v[68:69], v[52:53] op_sel:[1,1] op_sel_hi:[0,1]
	v_pk_mul_f32 v[78:79], v[78:79], v[86:87] op_sel_hi:[1,0]
	v_pk_fma_f32 v[92:93], v[60:61], v[44:45], v[84:85] op_sel_hi:[1,0,1]
	v_pk_fma_f32 v[44:45], v[60:61], v[44:45], v[84:85] neg_lo:[0,0,1] neg_hi:[0,0,1]
	v_mov_b32_e32 v86, v51
	v_pk_fma_f32 v[84:85], v[64:65], v[48:49], v[90:91] op_sel_hi:[1,0,1]
	v_pk_fma_f32 v[60:61], v[62:63], v[46:47], v[78:79] op_sel_hi:[1,0,1]
	v_mov_b32_e32 v45, v93
	v_pk_fma_f32 v[46:47], v[62:63], v[46:47], v[78:79] neg_lo:[0,0,1] neg_hi:[0,0,1]
	v_pk_mul_f32 v[80:81], v[80:81], v[86:87] op_sel_hi:[1,0]
	s_delay_alu instid0(VALU_DEP_4) | instskip(NEXT) | instid1(VALU_DEP_4)
	v_dual_mov_b32 v60, v55 :: v_dual_mov_b32 v47, v61
	v_pk_add_f32 v[44:45], v[44:45], 0 op_sel_hi:[1,0]
	v_pk_fma_f32 v[48:49], v[64:65], v[48:49], v[90:91] neg_lo:[0,0,1] neg_hi:[0,0,1]
	v_mov_b32_e32 v49, v85
	v_pk_fma_f32 v[62:63], v[66:67], v[50:51], v[80:81] op_sel_hi:[1,0,1]
	v_pk_mul_f32 v[60:61], v[82:83], v[60:61] op_sel_hi:[1,0]
	v_pk_add_f32 v[44:45], v[44:45], v[46:47]
	v_pk_fma_f32 v[46:47], v[68:69], v[52:53], v[94:95] op_sel_hi:[1,0,1]
	v_pk_fma_f32 v[50:51], v[66:67], v[50:51], v[80:81] neg_lo:[0,0,1] neg_hi:[0,0,1]
	v_mov_b32_e32 v51, v63
	v_pk_fma_f32 v[52:53], v[68:69], v[52:53], v[94:95] neg_lo:[0,0,1] neg_hi:[0,0,1]
	v_pk_add_f32 v[44:45], v[44:45], v[48:49]
	v_mov_b32_e32 v53, v47
	v_pk_fma_f32 v[46:47], v[70:71], v[54:55], v[60:61] op_sel_hi:[1,0,1]
	s_wait_loadcnt 0x1
	v_pk_mul_f32 v[48:49], v[72:73], v[56:57] op_sel:[1,1] op_sel_hi:[0,1]
	v_mov_b32_e32 v46, v59
	v_pk_add_f32 v[44:45], v[44:45], v[50:51]
	v_pk_fma_f32 v[54:55], v[70:71], v[54:55], v[60:61] neg_lo:[0,0,1] neg_hi:[0,0,1]
	v_mov_b32_e32 v55, v47
	v_pk_fma_f32 v[50:51], v[72:73], v[56:57], v[48:49] op_sel_hi:[1,0,1]
	v_pk_mul_f32 v[46:47], v[88:89], v[46:47] op_sel_hi:[1,0]
	v_pk_add_f32 v[44:45], v[44:45], v[52:53]
	v_pk_fma_f32 v[48:49], v[72:73], v[56:57], v[48:49] neg_lo:[0,0,1] neg_hi:[0,0,1]
	s_delay_alu instid0(VALU_DEP_4) | instskip(NEXT) | instid1(VALU_DEP_4)
	v_mov_b32_e32 v49, v51
	v_pk_fma_f32 v[50:51], v[74:75], v[58:59], v[46:47] op_sel_hi:[1,0,1]
	s_delay_alu instid0(VALU_DEP_4) | instskip(SKIP_1) | instid1(VALU_DEP_3)
	v_pk_add_f32 v[44:45], v[44:45], v[54:55]
	v_pk_fma_f32 v[46:47], v[74:75], v[58:59], v[46:47] neg_lo:[0,0,1] neg_hi:[0,0,1]
	v_mov_b32_e32 v47, v51
	s_delay_alu instid0(VALU_DEP_3) | instskip(NEXT) | instid1(VALU_DEP_1)
	v_pk_add_f32 v[44:45], v[44:45], v[48:49]
	v_pk_add_f32 v[44:45], v[44:45], v[46:47]
	s_wait_loadcnt 0x0
	s_delay_alu instid0(VALU_DEP_1)
	v_pk_add_f32 v[44:45], v[76:77], v[44:45] neg_lo:[0,1] neg_hi:[0,1]
	scratch_store_b64 off, v[44:45], off offset:96
	s_wait_xcnt 0x0
	v_cmpx_lt_u32_e32 11, v0
	s_cbranch_execz .LBB20_117
; %bb.116:
	scratch_load_b64 v[44:45], off, off offset:88
	v_mov_b64_e32 v[46:47], 0
	scratch_store_b64 off, v[46:47], off offset:88
	s_wait_loadcnt 0x0
	ds_store_b64 v1, v[44:45]
.LBB20_117:
	s_wait_xcnt 0x0
	s_or_b32 exec_lo, exec_lo, s0
	s_wait_storecnt_dscnt 0x0
	s_barrier_signal -1
	s_barrier_wait -1
	s_clause 0x5
	scratch_load_b128 v[44:47], off, off offset:96
	scratch_load_b128 v[48:51], off, off offset:112
	scratch_load_b128 v[52:55], off, off offset:128
	scratch_load_b128 v[56:59], off, off offset:144
	scratch_load_b64 v[76:77], off, off offset:160
	scratch_load_b64 v[78:79], off, off offset:88
	v_mov_b32_e32 v5, 0
	ds_load_b128 v[60:63], v5 offset:272
	ds_load_b128 v[64:67], v5 offset:288
	;; [unrolled: 1-line block ×4, first 2 shown]
	ds_load_b64 v[80:81], v5 offset:336
	s_mov_b32 s0, exec_lo
	s_wait_dscnt 0x4
	v_dual_mov_b32 v82, v63 :: v_dual_mov_b32 v83, v62
	s_wait_dscnt 0x1
	v_dual_mov_b32 v84, v67 :: v_dual_mov_b32 v89, v74
	v_dual_mov_b32 v85, v66 :: v_dual_mov_b32 v86, v71
	;; [unrolled: 1-line block ×3, first 2 shown]
	s_wait_loadcnt 0x5
	v_dual_mov_b32 v90, v47 :: v_dual_mul_f32 v91, v60, v45
	v_mul_f32_e32 v7, v61, v45
	s_wait_loadcnt 0x4
	v_pk_mul_f32 v[92:93], v[64:65], v[48:49] op_sel:[1,1] op_sel_hi:[0,1]
	v_mov_b32_e32 v94, v51
	s_wait_loadcnt 0x3
	v_pk_mul_f32 v[96:97], v[68:69], v[52:53] op_sel:[1,1] op_sel_hi:[0,1]
	v_pk_mul_f32 v[82:83], v[82:83], v[90:91] op_sel_hi:[1,0]
	v_fmac_f32_e32 v91, v61, v44
	v_dual_fma_f32 v90, v60, v44, -v7 :: v_dual_mov_b32 v44, v55
	v_pk_fma_f32 v[98:99], v[64:65], v[48:49], v[92:93] op_sel_hi:[1,0,1]
	s_delay_alu instid0(VALU_DEP_4)
	v_pk_fma_f32 v[60:61], v[62:63], v[46:47], v[82:83] op_sel_hi:[1,0,1]
	v_pk_fma_f32 v[46:47], v[62:63], v[46:47], v[82:83] neg_lo:[0,0,1] neg_hi:[0,0,1]
	v_pk_mul_f32 v[84:85], v[84:85], v[94:95] op_sel_hi:[1,0]
	v_pk_add_f32 v[90:91], v[90:91], 0 op_sel_hi:[1,0]
	v_pk_fma_f32 v[48:49], v[64:65], v[48:49], v[92:93] neg_lo:[0,0,1] neg_hi:[0,0,1]
	v_dual_mov_b32 v47, v61 :: v_dual_mov_b32 v49, v99
	s_delay_alu instid0(VALU_DEP_4) | instskip(SKIP_2) | instid1(VALU_DEP_4)
	v_pk_fma_f32 v[62:63], v[66:67], v[50:51], v[84:85] op_sel_hi:[1,0,1]
	v_pk_fma_f32 v[50:51], v[66:67], v[50:51], v[84:85] neg_lo:[0,0,1] neg_hi:[0,0,1]
	v_pk_fma_f32 v[64:65], v[68:69], v[52:53], v[96:97] op_sel_hi:[1,0,1]
	v_pk_add_f32 v[46:47], v[90:91], v[46:47]
	v_pk_mul_f32 v[44:45], v[86:87], v[44:45] op_sel_hi:[1,0]
	v_mov_b32_e32 v51, v63
	v_pk_fma_f32 v[52:53], v[68:69], v[52:53], v[96:97] neg_lo:[0,0,1] neg_hi:[0,0,1]
	s_wait_loadcnt 0x2
	v_pk_mul_f32 v[60:61], v[72:73], v[56:57] op_sel:[1,1] op_sel_hi:[0,1]
	v_pk_add_f32 v[46:47], v[46:47], v[48:49]
	v_mov_b32_e32 v48, v59
	v_pk_fma_f32 v[62:63], v[70:71], v[54:55], v[44:45] op_sel_hi:[1,0,1]
	v_mov_b32_e32 v53, v65
	v_pk_fma_f32 v[44:45], v[70:71], v[54:55], v[44:45] neg_lo:[0,0,1] neg_hi:[0,0,1]
	v_pk_add_f32 v[46:47], v[46:47], v[50:51]
	v_pk_fma_f32 v[50:51], v[72:73], v[56:57], v[60:61] op_sel_hi:[1,0,1]
	v_pk_mul_f32 v[48:49], v[88:89], v[48:49] op_sel_hi:[1,0]
	v_mov_b32_e32 v45, v63
	s_delay_alu instid0(VALU_DEP_4)
	v_pk_add_f32 v[46:47], v[46:47], v[52:53]
	v_pk_fma_f32 v[52:53], v[72:73], v[56:57], v[60:61] neg_lo:[0,0,1] neg_hi:[0,0,1]
	v_mov_b32_e32 v53, v51
	v_pk_fma_f32 v[50:51], v[74:75], v[58:59], v[48:49] op_sel_hi:[1,0,1]
	v_pk_fma_f32 v[48:49], v[74:75], v[58:59], v[48:49] neg_lo:[0,0,1] neg_hi:[0,0,1]
	v_pk_add_f32 v[44:45], v[46:47], v[44:45]
	s_wait_loadcnt_dscnt 0x100
	v_pk_mul_f32 v[46:47], v[80:81], v[76:77] op_sel:[1,1] op_sel_hi:[0,1]
	v_mov_b32_e32 v49, v51
	s_delay_alu instid0(VALU_DEP_3) | instskip(NEXT) | instid1(VALU_DEP_3)
	v_pk_add_f32 v[44:45], v[44:45], v[52:53]
	v_pk_fma_f32 v[50:51], v[80:81], v[76:77], v[46:47] op_sel_hi:[1,0,1]
	v_pk_fma_f32 v[46:47], v[80:81], v[76:77], v[46:47] neg_lo:[0,0,1] neg_hi:[0,0,1]
	s_delay_alu instid0(VALU_DEP_3) | instskip(NEXT) | instid1(VALU_DEP_3)
	v_pk_add_f32 v[44:45], v[44:45], v[48:49]
	v_mov_b32_e32 v47, v51
	s_delay_alu instid0(VALU_DEP_1) | instskip(SKIP_1) | instid1(VALU_DEP_1)
	v_pk_add_f32 v[44:45], v[44:45], v[46:47]
	s_wait_loadcnt 0x0
	v_pk_add_f32 v[44:45], v[78:79], v[44:45] neg_lo:[0,1] neg_hi:[0,1]
	scratch_store_b64 off, v[44:45], off offset:88
	s_wait_xcnt 0x0
	v_cmpx_lt_u32_e32 10, v0
	s_cbranch_execz .LBB20_119
; %bb.118:
	scratch_load_b64 v[44:45], off, off offset:80
	v_mov_b64_e32 v[46:47], 0
	scratch_store_b64 off, v[46:47], off offset:80
	s_wait_loadcnt 0x0
	ds_store_b64 v1, v[44:45]
.LBB20_119:
	s_wait_xcnt 0x0
	s_or_b32 exec_lo, exec_lo, s0
	s_wait_storecnt_dscnt 0x0
	s_barrier_signal -1
	s_barrier_wait -1
	s_clause 0x5
	scratch_load_b128 v[44:47], off, off offset:88
	scratch_load_b128 v[48:51], off, off offset:104
	scratch_load_b128 v[52:55], off, off offset:120
	scratch_load_b128 v[56:59], off, off offset:136
	scratch_load_b128 v[60:63], off, off offset:152
	scratch_load_b64 v[84:85], off, off offset:80
	ds_load_2addr_b64 v[64:67], v5 offset0:35 offset1:36
	ds_load_2addr_b64 v[68:71], v5 offset0:37 offset1:38
	;; [unrolled: 1-line block ×5, first 2 shown]
	s_mov_b32 s0, exec_lo
	s_wait_dscnt 0x4
	v_dual_mov_b32 v86, v67 :: v_dual_mov_b32 v87, v66
	s_wait_dscnt 0x3
	v_dual_mov_b32 v88, v71 :: v_dual_mov_b32 v89, v70
	;; [unrolled: 2-line block ×4, first 2 shown]
	s_wait_loadcnt_dscnt 0x500
	v_dual_mul_f32 v95, v80, v45 :: v_dual_mul_f32 v97, v82, v47
	v_dual_mul_f32 v5, v81, v45 :: v_dual_mul_f32 v7, v83, v47
	s_wait_loadcnt 0x4
	v_pk_mul_f32 v[98:99], v[64:65], v[48:49] op_sel:[1,1] op_sel_hi:[0,1]
	s_wait_loadcnt 0x3
	v_dual_mov_b32 v100, v51 :: v_dual_mov_b32 v104, v55
	v_dual_fmac_f32 v95, v81, v44 :: v_dual_fma_f32 v94, v80, v44, -v5
	v_dual_fmac_f32 v97, v83, v46 :: v_dual_fma_f32 v96, v82, v46, -v7
	v_pk_fma_f32 v[44:45], v[64:65], v[48:49], v[98:99] op_sel_hi:[1,0,1]
	s_delay_alu instid0(VALU_DEP_4) | instskip(NEXT) | instid1(VALU_DEP_4)
	v_pk_mul_f32 v[46:47], v[86:87], v[100:101] op_sel_hi:[1,0]
	v_pk_add_f32 v[80:81], v[94:95], 0 op_sel_hi:[1,0]
	v_pk_fma_f32 v[48:49], v[64:65], v[48:49], v[98:99] neg_lo:[0,0,1] neg_hi:[0,0,1]
	v_pk_mul_f32 v[102:103], v[68:69], v[52:53] op_sel:[1,1] op_sel_hi:[0,1]
	v_mov_b32_e32 v49, v45
	v_pk_fma_f32 v[44:45], v[66:67], v[50:51], v[46:47] op_sel_hi:[1,0,1]
	v_pk_add_f32 v[64:65], v[80:81], v[96:97]
	v_pk_fma_f32 v[46:47], v[66:67], v[50:51], v[46:47] neg_lo:[0,0,1] neg_hi:[0,0,1]
	v_pk_fma_f32 v[80:81], v[68:69], v[52:53], v[102:103] op_sel_hi:[1,0,1]
	v_pk_mul_f32 v[86:87], v[88:89], v[104:105] op_sel_hi:[1,0]
	v_mov_b32_e32 v47, v45
	v_pk_add_f32 v[44:45], v[64:65], v[48:49]
	s_wait_loadcnt 0x2
	v_pk_mul_f32 v[82:83], v[72:73], v[56:57] op_sel:[1,1] op_sel_hi:[0,1]
	v_mov_b32_e32 v48, v59
	v_pk_fma_f32 v[50:51], v[68:69], v[52:53], v[102:103] neg_lo:[0,0,1] neg_hi:[0,0,1]
	v_mov_b32_e32 v51, v81
	v_pk_fma_f32 v[52:53], v[70:71], v[54:55], v[86:87] op_sel_hi:[1,0,1]
	v_pk_add_f32 v[44:45], v[44:45], v[46:47]
	v_pk_fma_f32 v[46:47], v[72:73], v[56:57], v[82:83] op_sel_hi:[1,0,1]
	v_pk_mul_f32 v[48:49], v[90:91], v[48:49] op_sel_hi:[1,0]
	v_pk_fma_f32 v[54:55], v[70:71], v[54:55], v[86:87] neg_lo:[0,0,1] neg_hi:[0,0,1]
	v_mov_b32_e32 v55, v53
	v_pk_add_f32 v[44:45], v[44:45], v[50:51]
	v_pk_fma_f32 v[52:53], v[72:73], v[56:57], v[82:83] neg_lo:[0,0,1] neg_hi:[0,0,1]
	v_mov_b32_e32 v53, v47
	v_pk_fma_f32 v[46:47], v[74:75], v[58:59], v[48:49] op_sel_hi:[1,0,1]
	s_wait_loadcnt 0x1
	v_pk_mul_f32 v[50:51], v[76:77], v[60:61] op_sel:[1,1] op_sel_hi:[0,1]
	v_pk_add_f32 v[44:45], v[44:45], v[54:55]
	v_mov_b32_e32 v46, v63
	v_pk_fma_f32 v[48:49], v[74:75], v[58:59], v[48:49] neg_lo:[0,0,1] neg_hi:[0,0,1]
	v_mov_b32_e32 v49, v47
	v_pk_fma_f32 v[54:55], v[76:77], v[60:61], v[50:51] op_sel_hi:[1,0,1]
	v_pk_add_f32 v[44:45], v[44:45], v[52:53]
	v_pk_mul_f32 v[46:47], v[92:93], v[46:47] op_sel_hi:[1,0]
	v_pk_fma_f32 v[50:51], v[76:77], v[60:61], v[50:51] neg_lo:[0,0,1] neg_hi:[0,0,1]
	s_delay_alu instid0(VALU_DEP_3) | instskip(NEXT) | instid1(VALU_DEP_3)
	v_pk_add_f32 v[44:45], v[44:45], v[48:49]
	v_pk_fma_f32 v[48:49], v[78:79], v[62:63], v[46:47] op_sel_hi:[1,0,1]
	v_mov_b32_e32 v51, v55
	v_pk_fma_f32 v[46:47], v[78:79], v[62:63], v[46:47] neg_lo:[0,0,1] neg_hi:[0,0,1]
	s_delay_alu instid0(VALU_DEP_3) | instskip(NEXT) | instid1(VALU_DEP_3)
	v_mov_b32_e32 v47, v49
	v_pk_add_f32 v[44:45], v[44:45], v[50:51]
	s_delay_alu instid0(VALU_DEP_1) | instskip(SKIP_1) | instid1(VALU_DEP_1)
	v_pk_add_f32 v[44:45], v[44:45], v[46:47]
	s_wait_loadcnt 0x0
	v_pk_add_f32 v[44:45], v[84:85], v[44:45] neg_lo:[0,1] neg_hi:[0,1]
	scratch_store_b64 off, v[44:45], off offset:80
	s_wait_xcnt 0x0
	v_cmpx_lt_u32_e32 9, v0
	s_cbranch_execz .LBB20_121
; %bb.120:
	scratch_load_b64 v[44:45], off, off offset:72
	v_mov_b64_e32 v[46:47], 0
	scratch_store_b64 off, v[46:47], off offset:72
	s_wait_loadcnt 0x0
	ds_store_b64 v1, v[44:45]
.LBB20_121:
	s_wait_xcnt 0x0
	s_or_b32 exec_lo, exec_lo, s0
	s_wait_storecnt_dscnt 0x0
	s_barrier_signal -1
	s_barrier_wait -1
	s_clause 0x6
	scratch_load_b128 v[44:47], off, off offset:80
	scratch_load_b128 v[48:51], off, off offset:96
	;; [unrolled: 1-line block ×5, first 2 shown]
	scratch_load_b64 v[84:85], off, off offset:160
	scratch_load_b64 v[86:87], off, off offset:72
	v_mov_b32_e32 v5, 0
	ds_load_b128 v[64:67], v5 offset:272
	ds_load_b128 v[68:71], v5 offset:288
	ds_load_b128 v[72:75], v5 offset:304
	ds_load_b128 v[76:79], v5 offset:320
	ds_load_b128 v[80:83], v5 offset:256
	ds_load_b64 v[88:89], v5 offset:336
	s_mov_b32 s0, exec_lo
	s_wait_dscnt 0x5
	v_dual_mov_b32 v90, v67 :: v_dual_mov_b32 v91, v66
	s_wait_dscnt 0x2
	v_dual_mov_b32 v92, v71 :: v_dual_mov_b32 v97, v78
	v_dual_mov_b32 v93, v70 :: v_dual_mov_b32 v94, v75
	;; [unrolled: 1-line block ×3, first 2 shown]
	s_wait_loadcnt_dscnt 0x601
	v_dual_mul_f32 v7, v80, v45 :: v_dual_mul_f32 v11, v81, v45
	v_dual_mul_f32 v13, v83, v47 :: v_dual_mul_f32 v99, v82, v47
	s_wait_loadcnt 0x5
	v_dual_mul_f32 v101, v64, v49 :: v_dual_mul_f32 v15, v65, v49
	s_wait_loadcnt 0x4
	v_dual_mov_b32 v100, v51 :: v_dual_mov_b32 v104, v55
	v_fmac_f32_e32 v7, v81, v44
	v_dual_fma_f32 v11, v80, v44, -v11 :: v_dual_fma_f32 v98, v82, v46, -v13
	v_fmac_f32_e32 v99, v83, v46
	s_delay_alu instid0(VALU_DEP_4) | instskip(NEXT) | instid1(VALU_DEP_4)
	v_pk_mul_f32 v[44:45], v[90:91], v[100:101] op_sel_hi:[1,0]
	v_add_f32_e32 v47, 0, v7
	s_wait_loadcnt 0x3
	v_dual_add_f32 v46, 0, v11 :: v_dual_mov_b32 v80, v59
	v_pk_mul_f32 v[102:103], v[68:69], v[52:53] op_sel:[1,1] op_sel_hi:[0,1]
	v_dual_fmac_f32 v101, v65, v48 :: v_dual_fma_f32 v100, v64, v48, -v15
	v_pk_fma_f32 v[48:49], v[66:67], v[50:51], v[44:45] op_sel_hi:[1,0,1]
	s_delay_alu instid0(VALU_DEP_4)
	v_pk_add_f32 v[46:47], v[46:47], v[98:99]
	v_pk_fma_f32 v[44:45], v[66:67], v[50:51], v[44:45] neg_lo:[0,0,1] neg_hi:[0,0,1]
	v_pk_fma_f32 v[64:65], v[68:69], v[52:53], v[102:103] op_sel_hi:[1,0,1]
	v_pk_mul_f32 v[82:83], v[92:93], v[104:105] op_sel_hi:[1,0]
	v_mov_b32_e32 v45, v49
	v_pk_add_f32 v[46:47], v[46:47], v[100:101]
	v_pk_fma_f32 v[50:51], v[68:69], v[52:53], v[102:103] neg_lo:[0,0,1] neg_hi:[0,0,1]
	v_pk_mul_f32 v[106:107], v[72:73], v[56:57] op_sel:[1,1] op_sel_hi:[0,1]
	v_mov_b32_e32 v51, v65
	v_pk_fma_f32 v[52:53], v[70:71], v[54:55], v[82:83] op_sel_hi:[1,0,1]
	v_pk_add_f32 v[44:45], v[46:47], v[44:45]
	v_pk_fma_f32 v[54:55], v[70:71], v[54:55], v[82:83] neg_lo:[0,0,1] neg_hi:[0,0,1]
	v_pk_fma_f32 v[46:47], v[72:73], v[56:57], v[106:107] op_sel_hi:[1,0,1]
	v_pk_mul_f32 v[64:65], v[94:95], v[80:81] op_sel_hi:[1,0]
	s_wait_loadcnt 0x2
	v_dual_mov_b32 v55, v53 :: v_dual_mov_b32 v46, v63
	v_pk_add_f32 v[44:45], v[44:45], v[50:51]
	v_pk_fma_f32 v[50:51], v[72:73], v[56:57], v[106:107] neg_lo:[0,0,1] neg_hi:[0,0,1]
	v_pk_mul_f32 v[48:49], v[76:77], v[60:61] op_sel:[1,1] op_sel_hi:[0,1]
	v_pk_fma_f32 v[52:53], v[74:75], v[58:59], v[64:65] op_sel_hi:[1,0,1]
	v_mov_b32_e32 v51, v47
	v_pk_add_f32 v[44:45], v[44:45], v[54:55]
	v_pk_fma_f32 v[56:57], v[74:75], v[58:59], v[64:65] neg_lo:[0,0,1] neg_hi:[0,0,1]
	v_pk_fma_f32 v[54:55], v[76:77], v[60:61], v[48:49] op_sel_hi:[1,0,1]
	v_pk_mul_f32 v[46:47], v[96:97], v[46:47] op_sel_hi:[1,0]
	v_mov_b32_e32 v57, v53
	v_pk_add_f32 v[44:45], v[44:45], v[50:51]
	v_pk_fma_f32 v[48:49], v[76:77], v[60:61], v[48:49] neg_lo:[0,0,1] neg_hi:[0,0,1]
	s_wait_loadcnt_dscnt 0x100
	v_pk_mul_f32 v[52:53], v[88:89], v[84:85] op_sel:[1,1] op_sel_hi:[0,1]
	v_pk_fma_f32 v[50:51], v[78:79], v[62:63], v[46:47] op_sel_hi:[1,0,1]
	v_mov_b32_e32 v49, v55
	v_pk_add_f32 v[44:45], v[44:45], v[56:57]
	v_pk_fma_f32 v[46:47], v[78:79], v[62:63], v[46:47] neg_lo:[0,0,1] neg_hi:[0,0,1]
	s_delay_alu instid0(VALU_DEP_4) | instskip(SKIP_1) | instid1(VALU_DEP_4)
	v_mov_b32_e32 v47, v51
	v_pk_fma_f32 v[50:51], v[88:89], v[84:85], v[52:53] neg_lo:[0,0,1] neg_hi:[0,0,1]
	v_pk_add_f32 v[44:45], v[44:45], v[48:49]
	v_pk_fma_f32 v[48:49], v[88:89], v[84:85], v[52:53] op_sel_hi:[1,0,1]
	s_delay_alu instid0(VALU_DEP_2) | instskip(NEXT) | instid1(VALU_DEP_2)
	v_pk_add_f32 v[44:45], v[44:45], v[46:47]
	v_mov_b32_e32 v51, v49
	s_delay_alu instid0(VALU_DEP_1) | instskip(SKIP_1) | instid1(VALU_DEP_1)
	v_pk_add_f32 v[44:45], v[44:45], v[50:51]
	s_wait_loadcnt 0x0
	v_pk_add_f32 v[44:45], v[86:87], v[44:45] neg_lo:[0,1] neg_hi:[0,1]
	scratch_store_b64 off, v[44:45], off offset:72
	s_wait_xcnt 0x0
	v_cmpx_lt_u32_e32 8, v0
	s_cbranch_execz .LBB20_123
; %bb.122:
	scratch_load_b64 v[44:45], off, off offset:64
	v_mov_b64_e32 v[46:47], 0
	scratch_store_b64 off, v[46:47], off offset:64
	s_wait_loadcnt 0x0
	ds_store_b64 v1, v[44:45]
.LBB20_123:
	s_wait_xcnt 0x0
	s_or_b32 exec_lo, exec_lo, s0
	s_wait_storecnt_dscnt 0x0
	s_barrier_signal -1
	s_barrier_wait -1
	s_clause 0x6
	scratch_load_b128 v[44:47], off, off offset:72
	scratch_load_b128 v[48:51], off, off offset:88
	;; [unrolled: 1-line block ×6, first 2 shown]
	scratch_load_b64 v[92:93], off, off offset:64
	ds_load_2addr_b64 v[68:71], v5 offset0:35 offset1:36
	ds_load_2addr_b64 v[72:75], v5 offset0:37 offset1:38
	;; [unrolled: 1-line block ×6, first 2 shown]
	s_mov_b32 s0, exec_lo
	s_wait_dscnt 0x5
	v_dual_mov_b32 v94, v71 :: v_dual_mov_b32 v95, v70
	s_wait_dscnt 0x4
	v_dual_mov_b32 v96, v75 :: v_dual_mov_b32 v97, v74
	s_wait_dscnt 0x3
	v_dual_mov_b32 v98, v79 :: v_dual_mov_b32 v99, v78
	s_wait_dscnt 0x2
	v_dual_mov_b32 v100, v83 :: v_dual_mov_b32 v101, v82
	s_wait_loadcnt_dscnt 0x601
	v_dual_mul_f32 v5, v84, v45 :: v_dual_mul_f32 v7, v86, v47
	v_dual_mul_f32 v11, v85, v45 :: v_dual_mul_f32 v13, v87, v47
	s_wait_loadcnt 0x4
	s_delay_alu instid0(VALU_DEP_2)
	v_dual_mov_b32 v108, v55 :: v_dual_fmac_f32 v5, v85, v44
	s_wait_dscnt 0x0
	v_dual_mul_f32 v103, v88, v49 :: v_dual_mul_f32 v105, v90, v51
	v_dual_fma_f32 v11, v84, v44, -v11 :: v_dual_fma_f32 v13, v86, v46, -v13
	v_dual_mul_f32 v15, v89, v49 :: v_dual_mul_f32 v17, v91, v51
	v_dual_fmac_f32 v7, v87, v46 :: v_dual_add_f32 v5, 0, v5
	s_wait_loadcnt 0x3
	s_delay_alu instid0(VALU_DEP_3)
	v_dual_add_f32 v11, 0, v11 :: v_dual_mov_b32 v46, v59
	v_pk_mul_f32 v[106:107], v[68:69], v[52:53] op_sel:[1,1] op_sel_hi:[0,1]
	v_pk_mul_f32 v[44:45], v[72:73], v[56:57] op_sel:[1,1] op_sel_hi:[0,1]
	v_fmac_f32_e32 v103, v89, v48
	v_dual_fma_f32 v102, v88, v48, -v15 :: v_dual_add_f32 v49, v5, v7
	v_add_f32_e32 v48, v11, v13
	v_fmac_f32_e32 v105, v91, v50
	v_fma_f32 v104, v90, v50, -v17
	v_pk_fma_f32 v[50:51], v[68:69], v[52:53], v[106:107] op_sel_hi:[1,0,1]
	v_pk_mul_f32 v[84:85], v[94:95], v[108:109] op_sel_hi:[1,0]
	v_pk_add_f32 v[48:49], v[48:49], v[102:103]
	v_pk_fma_f32 v[52:53], v[68:69], v[52:53], v[106:107] neg_lo:[0,0,1] neg_hi:[0,0,1]
	v_pk_fma_f32 v[68:69], v[72:73], v[56:57], v[44:45] op_sel_hi:[1,0,1]
	v_pk_fma_f32 v[44:45], v[72:73], v[56:57], v[44:45] neg_lo:[0,0,1] neg_hi:[0,0,1]
	v_mov_b32_e32 v53, v51
	v_pk_fma_f32 v[50:51], v[70:71], v[54:55], v[84:85] op_sel_hi:[1,0,1]
	v_pk_fma_f32 v[54:55], v[70:71], v[54:55], v[84:85] neg_lo:[0,0,1] neg_hi:[0,0,1]
	v_mov_b32_e32 v45, v69
	v_pk_add_f32 v[48:49], v[48:49], v[104:105]
	v_pk_mul_f32 v[46:47], v[96:97], v[46:47] op_sel_hi:[1,0]
	s_wait_loadcnt 0x2
	v_dual_mov_b32 v55, v51 :: v_dual_mov_b32 v50, v63
	v_pk_mul_f32 v[86:87], v[76:77], v[60:61] op_sel:[1,1] op_sel_hi:[0,1]
	v_pk_add_f32 v[48:49], v[48:49], v[52:53]
	v_pk_fma_f32 v[52:53], v[74:75], v[58:59], v[46:47] op_sel_hi:[1,0,1]
	v_pk_fma_f32 v[46:47], v[74:75], v[58:59], v[46:47] neg_lo:[0,0,1] neg_hi:[0,0,1]
	v_pk_mul_f32 v[50:51], v[98:99], v[50:51] op_sel_hi:[1,0]
	s_delay_alu instid0(VALU_DEP_4) | instskip(SKIP_3) | instid1(VALU_DEP_4)
	v_pk_add_f32 v[48:49], v[48:49], v[54:55]
	v_pk_fma_f32 v[54:55], v[76:77], v[60:61], v[86:87] op_sel_hi:[1,0,1]
	v_mov_b32_e32 v47, v53
	v_pk_fma_f32 v[52:53], v[76:77], v[60:61], v[86:87] neg_lo:[0,0,1] neg_hi:[0,0,1]
	v_pk_add_f32 v[44:45], v[48:49], v[44:45]
	s_wait_loadcnt 0x1
	v_pk_mul_f32 v[48:49], v[80:81], v[64:65] op_sel:[1,1] op_sel_hi:[0,1]
	v_mov_b32_e32 v53, v55
	v_pk_fma_f32 v[54:55], v[78:79], v[62:63], v[50:51] op_sel_hi:[1,0,1]
	v_pk_fma_f32 v[50:51], v[78:79], v[62:63], v[50:51] neg_lo:[0,0,1] neg_hi:[0,0,1]
	v_pk_add_f32 v[44:45], v[44:45], v[46:47]
	v_mov_b32_e32 v46, v67
	v_pk_fma_f32 v[56:57], v[80:81], v[64:65], v[48:49] op_sel_hi:[1,0,1]
	v_mov_b32_e32 v51, v55
	v_pk_fma_f32 v[48:49], v[80:81], v[64:65], v[48:49] neg_lo:[0,0,1] neg_hi:[0,0,1]
	v_pk_add_f32 v[44:45], v[44:45], v[52:53]
	v_pk_mul_f32 v[46:47], v[100:101], v[46:47] op_sel_hi:[1,0]
	s_delay_alu instid0(VALU_DEP_2) | instskip(NEXT) | instid1(VALU_DEP_2)
	v_pk_add_f32 v[44:45], v[44:45], v[50:51]
	v_pk_fma_f32 v[50:51], v[82:83], v[66:67], v[46:47] op_sel_hi:[1,0,1]
	v_mov_b32_e32 v49, v57
	v_pk_fma_f32 v[46:47], v[82:83], v[66:67], v[46:47] neg_lo:[0,0,1] neg_hi:[0,0,1]
	s_delay_alu instid0(VALU_DEP_3) | instskip(NEXT) | instid1(VALU_DEP_3)
	v_mov_b32_e32 v47, v51
	v_pk_add_f32 v[44:45], v[44:45], v[48:49]
	s_delay_alu instid0(VALU_DEP_1) | instskip(SKIP_1) | instid1(VALU_DEP_1)
	v_pk_add_f32 v[44:45], v[44:45], v[46:47]
	s_wait_loadcnt 0x0
	v_pk_add_f32 v[44:45], v[92:93], v[44:45] neg_lo:[0,1] neg_hi:[0,1]
	scratch_store_b64 off, v[44:45], off offset:64
	s_wait_xcnt 0x0
	v_cmpx_lt_u32_e32 7, v0
	s_cbranch_execz .LBB20_125
; %bb.124:
	scratch_load_b64 v[44:45], off, off offset:56
	v_mov_b64_e32 v[46:47], 0
	scratch_store_b64 off, v[46:47], off offset:56
	s_wait_loadcnt 0x0
	ds_store_b64 v1, v[44:45]
.LBB20_125:
	s_wait_xcnt 0x0
	s_or_b32 exec_lo, exec_lo, s0
	s_wait_storecnt_dscnt 0x0
	s_barrier_signal -1
	s_barrier_wait -1
	s_clause 0x7
	scratch_load_b128 v[44:47], off, off offset:64
	scratch_load_b128 v[48:51], off, off offset:80
	;; [unrolled: 1-line block ×6, first 2 shown]
	scratch_load_b64 v[92:93], off, off offset:160
	scratch_load_b64 v[94:95], off, off offset:56
	v_mov_b32_e32 v5, 0
	ds_load_b128 v[68:71], v5 offset:272
	ds_load_b128 v[72:75], v5 offset:288
	;; [unrolled: 1-line block ×6, first 2 shown]
	ds_load_b64 v[96:97], v5 offset:336
	s_mov_b32 s0, exec_lo
	s_wait_dscnt 0x6
	v_dual_mov_b32 v98, v71 :: v_dual_mov_b32 v99, v70
	s_wait_dscnt 0x3
	v_dual_mov_b32 v100, v75 :: v_dual_mov_b32 v105, v82
	v_dual_mov_b32 v101, v74 :: v_dual_mov_b32 v102, v79
	;; [unrolled: 1-line block ×3, first 2 shown]
	s_wait_loadcnt_dscnt 0x702
	v_dual_mul_f32 v7, v84, v45 :: v_dual_mul_f32 v15, v85, v45
	v_dual_mul_f32 v17, v87, v47 :: v_dual_mul_f32 v11, v86, v47
	s_wait_loadcnt_dscnt 0x601
	s_delay_alu instid0(VALU_DEP_2) | instskip(NEXT) | instid1(VALU_DEP_2)
	v_dual_mul_f32 v13, v88, v49 :: v_dual_fmac_f32 v7, v85, v44
	v_dual_fma_f32 v15, v84, v44, -v15 :: v_dual_fma_f32 v17, v86, v46, -v17
	s_wait_loadcnt 0x5
	v_dual_mul_f32 v107, v90, v51 :: v_dual_mul_f32 v109, v68, v53
	v_dual_mul_f32 v19, v89, v49 :: v_dual_mul_f32 v21, v91, v51
	v_dual_mul_f32 v23, v69, v53 :: v_dual_mov_b32 v108, v55
	s_wait_loadcnt 0x4
	v_mov_b32_e32 v44, v59
	v_dual_fmac_f32 v11, v87, v46 :: v_dual_add_f32 v7, 0, v7
	v_dual_add_f32 v15, 0, v15 :: v_dual_fmac_f32 v13, v89, v48
	v_fma_f32 v19, v88, v48, -v19
	v_pk_mul_f32 v[48:49], v[98:99], v[108:109] op_sel_hi:[1,0]
	s_delay_alu instid0(VALU_DEP_4) | instskip(NEXT) | instid1(VALU_DEP_4)
	v_add_f32_e32 v7, v7, v11
	v_dual_add_f32 v11, v15, v17 :: v_dual_fma_f32 v106, v90, v50, -v21
	v_dual_fmac_f32 v107, v91, v50 :: v_dual_fmac_f32 v109, v69, v52
	s_delay_alu instid0(VALU_DEP_3) | instskip(SKIP_1) | instid1(VALU_DEP_4)
	v_dual_add_f32 v51, v7, v13 :: v_dual_fma_f32 v108, v68, v52, -v23
	v_pk_fma_f32 v[52:53], v[70:71], v[54:55], v[48:49] op_sel_hi:[1,0,1]
	v_add_f32_e32 v50, v11, v19
	v_pk_fma_f32 v[48:49], v[70:71], v[54:55], v[48:49] neg_lo:[0,0,1] neg_hi:[0,0,1]
	v_pk_mul_f32 v[110:111], v[72:73], v[56:57] op_sel:[1,1] op_sel_hi:[0,1]
	v_pk_mul_f32 v[44:45], v[100:101], v[44:45] op_sel_hi:[1,0]
	v_mov_b32_e32 v49, v53
	v_pk_add_f32 v[50:51], v[50:51], v[106:107]
	s_wait_loadcnt 0x3
	v_pk_mul_f32 v[46:47], v[76:77], v[60:61] op_sel:[1,1] op_sel_hi:[0,1]
	v_pk_fma_f32 v[68:69], v[72:73], v[56:57], v[110:111] op_sel_hi:[1,0,1]
	v_pk_fma_f32 v[54:55], v[72:73], v[56:57], v[110:111] neg_lo:[0,0,1] neg_hi:[0,0,1]
	v_mov_b32_e32 v84, v63
	v_pk_add_f32 v[50:51], v[50:51], v[108:109]
	v_pk_fma_f32 v[56:57], v[74:75], v[58:59], v[44:45] op_sel_hi:[1,0,1]
	v_mov_b32_e32 v55, v69
	v_pk_fma_f32 v[44:45], v[74:75], v[58:59], v[44:45] neg_lo:[0,0,1] neg_hi:[0,0,1]
	v_pk_mul_f32 v[68:69], v[102:103], v[84:85] op_sel_hi:[1,0]
	v_pk_add_f32 v[48:49], v[50:51], v[48:49]
	v_pk_fma_f32 v[50:51], v[76:77], v[60:61], v[46:47] op_sel_hi:[1,0,1]
	s_wait_loadcnt 0x2
	v_dual_mov_b32 v45, v57 :: v_dual_mov_b32 v50, v67
	v_pk_fma_f32 v[46:47], v[76:77], v[60:61], v[46:47] neg_lo:[0,0,1] neg_hi:[0,0,1]
	v_pk_add_f32 v[48:49], v[48:49], v[54:55]
	v_pk_mul_f32 v[52:53], v[80:81], v[64:65] op_sel:[1,1] op_sel_hi:[0,1]
	v_pk_fma_f32 v[54:55], v[78:79], v[62:63], v[68:69] op_sel_hi:[1,0,1]
	v_mov_b32_e32 v47, v51
	v_pk_fma_f32 v[56:57], v[78:79], v[62:63], v[68:69] neg_lo:[0,0,1] neg_hi:[0,0,1]
	v_pk_add_f32 v[44:45], v[48:49], v[44:45]
	v_pk_fma_f32 v[48:49], v[80:81], v[64:65], v[52:53] op_sel_hi:[1,0,1]
	v_pk_mul_f32 v[50:51], v[104:105], v[50:51] op_sel_hi:[1,0]
	v_mov_b32_e32 v57, v55
	s_delay_alu instid0(VALU_DEP_4)
	v_pk_add_f32 v[44:45], v[44:45], v[46:47]
	v_pk_fma_f32 v[46:47], v[80:81], v[64:65], v[52:53] neg_lo:[0,0,1] neg_hi:[0,0,1]
	v_mov_b32_e32 v47, v49
	v_pk_fma_f32 v[48:49], v[82:83], v[66:67], v[50:51] op_sel_hi:[1,0,1]
	s_wait_loadcnt_dscnt 0x100
	v_pk_mul_f32 v[52:53], v[96:97], v[92:93] op_sel:[1,1] op_sel_hi:[0,1]
	v_pk_add_f32 v[44:45], v[44:45], v[56:57]
	v_pk_fma_f32 v[50:51], v[82:83], v[66:67], v[50:51] neg_lo:[0,0,1] neg_hi:[0,0,1]
	v_mov_b32_e32 v51, v49
	s_delay_alu instid0(VALU_DEP_4) | instskip(NEXT) | instid1(VALU_DEP_4)
	v_pk_fma_f32 v[48:49], v[96:97], v[92:93], v[52:53] neg_lo:[0,0,1] neg_hi:[0,0,1]
	v_pk_add_f32 v[44:45], v[44:45], v[46:47]
	v_pk_fma_f32 v[46:47], v[96:97], v[92:93], v[52:53] op_sel_hi:[1,0,1]
	s_delay_alu instid0(VALU_DEP_2) | instskip(NEXT) | instid1(VALU_DEP_2)
	v_pk_add_f32 v[44:45], v[44:45], v[50:51]
	v_mov_b32_e32 v49, v47
	s_delay_alu instid0(VALU_DEP_1) | instskip(SKIP_1) | instid1(VALU_DEP_1)
	v_pk_add_f32 v[44:45], v[44:45], v[48:49]
	s_wait_loadcnt 0x0
	v_pk_add_f32 v[44:45], v[94:95], v[44:45] neg_lo:[0,1] neg_hi:[0,1]
	scratch_store_b64 off, v[44:45], off offset:56
	s_wait_xcnt 0x0
	v_cmpx_lt_u32_e32 6, v0
	s_cbranch_execz .LBB20_127
; %bb.126:
	scratch_load_b64 v[44:45], off, off offset:48
	v_mov_b64_e32 v[46:47], 0
	scratch_store_b64 off, v[46:47], off offset:48
	s_wait_loadcnt 0x0
	ds_store_b64 v1, v[44:45]
.LBB20_127:
	s_wait_xcnt 0x0
	s_or_b32 exec_lo, exec_lo, s0
	s_wait_storecnt_dscnt 0x0
	s_barrier_signal -1
	s_barrier_wait -1
	s_clause 0x7
	scratch_load_b128 v[44:47], off, off offset:56
	scratch_load_b128 v[48:51], off, off offset:72
	scratch_load_b128 v[52:55], off, off offset:88
	scratch_load_b128 v[56:59], off, off offset:104
	scratch_load_b128 v[60:63], off, off offset:120
	scratch_load_b128 v[64:67], off, off offset:136
	scratch_load_b128 v[68:71], off, off offset:152
	scratch_load_b64 v[100:101], off, off offset:48
	ds_load_2addr_b64 v[72:75], v5 offset0:35 offset1:36
	ds_load_2addr_b64 v[76:79], v5 offset0:37 offset1:38
	;; [unrolled: 1-line block ×7, first 2 shown]
	s_mov_b32 s0, exec_lo
	s_wait_dscnt 0x6
	v_dual_mov_b32 v102, v75 :: v_dual_mov_b32 v103, v74
	s_wait_dscnt 0x5
	v_dual_mov_b32 v104, v79 :: v_dual_mov_b32 v105, v78
	;; [unrolled: 2-line block ×4, first 2 shown]
	s_wait_loadcnt_dscnt 0x702
	v_dual_mul_f32 v5, v88, v45 :: v_dual_mul_f32 v7, v90, v47
	v_dual_mul_f32 v15, v89, v45 :: v_dual_mul_f32 v17, v91, v47
	s_wait_loadcnt_dscnt 0x601
	v_dual_mul_f32 v11, v92, v49 :: v_dual_mul_f32 v13, v94, v51
	s_delay_alu instid0(VALU_DEP_2) | instskip(SKIP_2) | instid1(VALU_DEP_3)
	v_dual_fmac_f32 v5, v89, v44 :: v_dual_fma_f32 v15, v88, v44, -v15
	v_dual_mul_f32 v19, v93, v49 :: v_dual_mul_f32 v21, v95, v51
	v_dual_fmac_f32 v7, v91, v46 :: v_dual_fma_f32 v17, v90, v46, -v17
	v_dual_add_f32 v5, 0, v5 :: v_dual_add_f32 v15, 0, v15
	s_wait_loadcnt 0x4
	v_dual_mov_b32 v46, v59 :: v_dual_fmac_f32 v11, v93, v48
	s_delay_alu instid0(VALU_DEP_2) | instskip(NEXT) | instid1(VALU_DEP_3)
	v_dual_fma_f32 v19, v92, v48, -v19 :: v_dual_add_f32 v5, v5, v7
	v_dual_add_f32 v7, v15, v17 :: v_dual_fma_f32 v15, v94, v50, -v21
	s_wait_dscnt 0x0
	v_dual_mul_f32 v111, v96, v53 :: v_dual_mul_f32 v113, v98, v55
	v_dual_mul_f32 v23, v97, v53 :: v_dual_mul_f32 v25, v99, v55
	v_dual_fmac_f32 v13, v95, v50 :: v_dual_add_f32 v5, v5, v11
	s_delay_alu instid0(VALU_DEP_3)
	v_dual_add_f32 v7, v7, v19 :: v_dual_fmac_f32 v111, v97, v52
	v_pk_mul_f32 v[44:45], v[72:73], v[56:57] op_sel:[1,1] op_sel_hi:[0,1]
	s_wait_loadcnt 0x3
	v_pk_mul_f32 v[48:49], v[76:77], v[60:61] op_sel:[1,1] op_sel_hi:[0,1]
	v_dual_mov_b32 v50, v63 :: v_dual_fma_f32 v110, v96, v52, -v23
	v_dual_add_f32 v53, v5, v13 :: v_dual_add_f32 v52, v7, v15
	v_fmac_f32_e32 v113, v99, v54
	v_fma_f32 v112, v98, v54, -v25
	v_pk_fma_f32 v[54:55], v[72:73], v[56:57], v[44:45] op_sel_hi:[1,0,1]
	v_pk_mul_f32 v[46:47], v[102:103], v[46:47] op_sel_hi:[1,0]
	v_pk_add_f32 v[52:53], v[52:53], v[110:111]
	v_pk_fma_f32 v[44:45], v[72:73], v[56:57], v[44:45] neg_lo:[0,0,1] neg_hi:[0,0,1]
	v_pk_fma_f32 v[56:57], v[76:77], v[60:61], v[48:49] op_sel_hi:[1,0,1]
	v_pk_fma_f32 v[48:49], v[76:77], v[60:61], v[48:49] neg_lo:[0,0,1] neg_hi:[0,0,1]
	v_mov_b32_e32 v45, v55
	v_pk_fma_f32 v[54:55], v[74:75], v[58:59], v[46:47] op_sel_hi:[1,0,1]
	v_pk_fma_f32 v[46:47], v[74:75], v[58:59], v[46:47] neg_lo:[0,0,1] neg_hi:[0,0,1]
	v_mov_b32_e32 v49, v57
	v_pk_add_f32 v[52:53], v[52:53], v[112:113]
	v_pk_mul_f32 v[50:51], v[104:105], v[50:51] op_sel_hi:[1,0]
	v_mov_b32_e32 v47, v55
	s_wait_loadcnt 0x2
	v_pk_mul_f32 v[88:89], v[80:81], v[64:65] op_sel:[1,1] op_sel_hi:[0,1]
	v_pk_add_f32 v[44:45], v[52:53], v[44:45]
	v_mov_b32_e32 v52, v67
	v_pk_fma_f32 v[54:55], v[78:79], v[62:63], v[50:51] op_sel_hi:[1,0,1]
	v_pk_fma_f32 v[50:51], v[78:79], v[62:63], v[50:51] neg_lo:[0,0,1] neg_hi:[0,0,1]
	s_delay_alu instid0(VALU_DEP_4)
	v_pk_add_f32 v[44:45], v[44:45], v[46:47]
	v_pk_fma_f32 v[46:47], v[80:81], v[64:65], v[88:89] op_sel_hi:[1,0,1]
	v_pk_mul_f32 v[52:53], v[106:107], v[52:53] op_sel_hi:[1,0]
	v_mov_b32_e32 v51, v55
	v_pk_fma_f32 v[54:55], v[80:81], v[64:65], v[88:89] neg_lo:[0,0,1] neg_hi:[0,0,1]
	v_pk_add_f32 v[44:45], v[44:45], v[48:49]
	v_mov_b32_e32 v55, v47
	v_pk_fma_f32 v[46:47], v[82:83], v[66:67], v[52:53] op_sel_hi:[1,0,1]
	s_wait_loadcnt 0x1
	v_pk_mul_f32 v[48:49], v[84:85], v[68:69] op_sel:[1,1] op_sel_hi:[0,1]
	v_mov_b32_e32 v46, v71
	v_pk_add_f32 v[44:45], v[44:45], v[50:51]
	v_pk_fma_f32 v[52:53], v[82:83], v[66:67], v[52:53] neg_lo:[0,0,1] neg_hi:[0,0,1]
	v_mov_b32_e32 v53, v47
	v_pk_fma_f32 v[50:51], v[84:85], v[68:69], v[48:49] op_sel_hi:[1,0,1]
	v_pk_mul_f32 v[46:47], v[108:109], v[46:47] op_sel_hi:[1,0]
	v_pk_add_f32 v[44:45], v[44:45], v[54:55]
	v_pk_fma_f32 v[48:49], v[84:85], v[68:69], v[48:49] neg_lo:[0,0,1] neg_hi:[0,0,1]
	s_delay_alu instid0(VALU_DEP_4) | instskip(NEXT) | instid1(VALU_DEP_4)
	v_mov_b32_e32 v49, v51
	v_pk_fma_f32 v[50:51], v[86:87], v[70:71], v[46:47] op_sel_hi:[1,0,1]
	s_delay_alu instid0(VALU_DEP_4) | instskip(SKIP_1) | instid1(VALU_DEP_3)
	v_pk_add_f32 v[44:45], v[44:45], v[52:53]
	v_pk_fma_f32 v[46:47], v[86:87], v[70:71], v[46:47] neg_lo:[0,0,1] neg_hi:[0,0,1]
	v_mov_b32_e32 v47, v51
	s_delay_alu instid0(VALU_DEP_3) | instskip(NEXT) | instid1(VALU_DEP_1)
	v_pk_add_f32 v[44:45], v[44:45], v[48:49]
	v_pk_add_f32 v[44:45], v[44:45], v[46:47]
	s_wait_loadcnt 0x0
	s_delay_alu instid0(VALU_DEP_1)
	v_pk_add_f32 v[44:45], v[100:101], v[44:45] neg_lo:[0,1] neg_hi:[0,1]
	scratch_store_b64 off, v[44:45], off offset:48
	s_wait_xcnt 0x0
	v_cmpx_lt_u32_e32 5, v0
	s_cbranch_execz .LBB20_129
; %bb.128:
	scratch_load_b64 v[44:45], off, off offset:40
	v_mov_b64_e32 v[46:47], 0
	scratch_store_b64 off, v[46:47], off offset:40
	s_wait_loadcnt 0x0
	ds_store_b64 v1, v[44:45]
.LBB20_129:
	s_wait_xcnt 0x0
	s_or_b32 exec_lo, exec_lo, s0
	s_wait_storecnt_dscnt 0x0
	s_barrier_signal -1
	s_barrier_wait -1
	s_clause 0x8
	scratch_load_b128 v[44:47], off, off offset:48
	scratch_load_b128 v[48:51], off, off offset:64
	;; [unrolled: 1-line block ×7, first 2 shown]
	scratch_load_b64 v[100:101], off, off offset:160
	scratch_load_b64 v[102:103], off, off offset:40
	v_mov_b32_e32 v5, 0
	ds_load_b128 v[72:75], v5 offset:272
	ds_load_b128 v[76:79], v5 offset:288
	;; [unrolled: 1-line block ×7, first 2 shown]
	ds_load_b64 v[104:105], v5 offset:336
	s_mov_b32 s0, exec_lo
	s_wait_dscnt 0x7
	v_dual_mov_b32 v106, v75 :: v_dual_mov_b32 v107, v74
	s_wait_dscnt 0x4
	v_dual_mov_b32 v108, v79 :: v_dual_mov_b32 v113, v86
	v_dual_mov_b32 v109, v78 :: v_dual_mov_b32 v110, v83
	;; [unrolled: 1-line block ×3, first 2 shown]
	s_wait_loadcnt_dscnt 0x803
	v_dual_mul_f32 v7, v88, v45 :: v_dual_mul_f32 v19, v89, v45
	v_dual_mul_f32 v21, v91, v47 :: v_dual_mul_f32 v11, v90, v47
	s_wait_loadcnt_dscnt 0x702
	v_mul_f32_e32 v13, v92, v49
	s_wait_loadcnt 0x5
	v_dual_mul_f32 v31, v73, v57 :: v_dual_fma_f32 v19, v88, v44, -v19
	v_dual_fmac_f32 v7, v89, v44 :: v_dual_mov_b32 v44, v59
	v_dual_mul_f32 v23, v93, v49 :: v_dual_mul_f32 v25, v95, v51
	v_dual_fmac_f32 v11, v91, v46 :: v_dual_fma_f32 v21, v90, v46, -v21
	s_delay_alu instid0(VALU_DEP_3) | instskip(NEXT) | instid1(VALU_DEP_3)
	v_dual_add_f32 v7, 0, v7 :: v_dual_fmac_f32 v13, v93, v48
	v_dual_add_f32 v19, 0, v19 :: v_dual_fma_f32 v23, v92, v48, -v23
	s_wait_dscnt 0x1
	v_dual_mul_f32 v15, v94, v51 :: v_dual_mul_f32 v17, v96, v53
	s_delay_alu instid0(VALU_DEP_3) | instskip(NEXT) | instid1(VALU_DEP_3)
	v_add_f32_e32 v7, v7, v11
	v_dual_add_f32 v11, v19, v21 :: v_dual_mul_f32 v115, v98, v55
	v_mul_f32_e32 v117, v72, v57
	v_dual_mul_f32 v27, v97, v53 :: v_dual_mul_f32 v29, v99, v55
	s_wait_loadcnt 0x4
	v_pk_mul_f32 v[46:47], v[76:77], v[60:61] op_sel:[1,1] op_sel_hi:[0,1]
	s_delay_alu instid0(VALU_DEP_3)
	v_dual_fmac_f32 v15, v95, v50 :: v_dual_fmac_f32 v117, v73, v56
	v_dual_fma_f32 v19, v94, v50, -v25 :: v_dual_add_f32 v7, v7, v13
	v_fma_f32 v114, v98, v54, -v29
	v_dual_fmac_f32 v17, v97, v52 :: v_dual_add_f32 v11, v11, v23
	v_fma_f32 v116, v72, v56, -v31
	v_pk_mul_f32 v[44:45], v[106:107], v[44:45] op_sel_hi:[1,0]
	v_dual_mov_b32 v48, v63 :: v_dual_fma_f32 v13, v96, v52, -v27
	v_pk_fma_f32 v[72:73], v[76:77], v[60:61], v[46:47] op_sel_hi:[1,0,1]
	v_add_f32_e32 v11, v11, v19
	s_delay_alu instid0(VALU_DEP_4) | instskip(SKIP_3) | instid1(VALU_DEP_4)
	v_pk_fma_f32 v[56:57], v[74:75], v[58:59], v[44:45] op_sel_hi:[1,0,1]
	v_add_f32_e32 v7, v7, v15
	v_pk_fma_f32 v[44:45], v[74:75], v[58:59], v[44:45] neg_lo:[0,0,1] neg_hi:[0,0,1]
	v_pk_fma_f32 v[46:47], v[76:77], v[60:61], v[46:47] neg_lo:[0,0,1] neg_hi:[0,0,1]
	v_dual_fmac_f32 v115, v99, v54 :: v_dual_mov_b32 v45, v57
	s_delay_alu instid0(VALU_DEP_4)
	v_dual_add_f32 v53, v7, v17 :: v_dual_mov_b32 v47, v73
	v_add_f32_e32 v52, v11, v13
	v_pk_mul_f32 v[48:49], v[108:109], v[48:49] op_sel_hi:[1,0]
	s_wait_loadcnt 0x3
	v_pk_mul_f32 v[50:51], v[80:81], v[64:65] op_sel:[1,1] op_sel_hi:[0,1]
	s_wait_loadcnt 0x2
	v_pk_mul_f32 v[56:57], v[84:85], v[68:69] op_sel:[1,1] op_sel_hi:[0,1]
	v_pk_add_f32 v[52:53], v[52:53], v[114:115]
	v_pk_fma_f32 v[58:59], v[78:79], v[62:63], v[48:49] op_sel_hi:[1,0,1]
	v_mov_b32_e32 v54, v67
	v_pk_fma_f32 v[48:49], v[78:79], v[62:63], v[48:49] neg_lo:[0,0,1] neg_hi:[0,0,1]
	s_delay_alu instid0(VALU_DEP_4) | instskip(NEXT) | instid1(VALU_DEP_4)
	v_pk_add_f32 v[52:53], v[52:53], v[116:117]
	v_mov_b32_e32 v49, v59
	s_delay_alu instid0(VALU_DEP_4) | instskip(NEXT) | instid1(VALU_DEP_3)
	v_pk_mul_f32 v[54:55], v[110:111], v[54:55] op_sel_hi:[1,0]
	v_pk_add_f32 v[44:45], v[52:53], v[44:45]
	v_pk_fma_f32 v[52:53], v[80:81], v[64:65], v[50:51] op_sel_hi:[1,0,1]
	v_pk_fma_f32 v[50:51], v[80:81], v[64:65], v[50:51] neg_lo:[0,0,1] neg_hi:[0,0,1]
	s_delay_alu instid0(VALU_DEP_3) | instskip(NEXT) | instid1(VALU_DEP_3)
	v_pk_add_f32 v[44:45], v[44:45], v[46:47]
	v_dual_mov_b32 v46, v71 :: v_dual_mov_b32 v51, v53
	v_pk_fma_f32 v[52:53], v[82:83], v[66:67], v[54:55] op_sel_hi:[1,0,1]
	v_pk_fma_f32 v[54:55], v[82:83], v[66:67], v[54:55] neg_lo:[0,0,1] neg_hi:[0,0,1]
	s_delay_alu instid0(VALU_DEP_4)
	v_pk_add_f32 v[44:45], v[44:45], v[48:49]
	v_pk_fma_f32 v[48:49], v[84:85], v[68:69], v[56:57] op_sel_hi:[1,0,1]
	v_pk_mul_f32 v[46:47], v[112:113], v[46:47] op_sel_hi:[1,0]
	v_mov_b32_e32 v55, v53
	s_wait_loadcnt_dscnt 0x100
	v_pk_mul_f32 v[52:53], v[104:105], v[100:101] op_sel:[1,1] op_sel_hi:[0,1]
	v_pk_add_f32 v[44:45], v[44:45], v[50:51]
	v_pk_fma_f32 v[50:51], v[84:85], v[68:69], v[56:57] neg_lo:[0,0,1] neg_hi:[0,0,1]
	v_mov_b32_e32 v51, v49
	v_pk_fma_f32 v[48:49], v[86:87], v[70:71], v[46:47] op_sel_hi:[1,0,1]
	v_pk_fma_f32 v[46:47], v[86:87], v[70:71], v[46:47] neg_lo:[0,0,1] neg_hi:[0,0,1]
	v_pk_add_f32 v[44:45], v[44:45], v[54:55]
	s_delay_alu instid0(VALU_DEP_3) | instskip(SKIP_1) | instid1(VALU_DEP_3)
	v_mov_b32_e32 v47, v49
	v_pk_fma_f32 v[48:49], v[104:105], v[100:101], v[52:53] op_sel_hi:[1,0,1]
	v_pk_add_f32 v[44:45], v[44:45], v[50:51]
	v_pk_fma_f32 v[50:51], v[104:105], v[100:101], v[52:53] neg_lo:[0,0,1] neg_hi:[0,0,1]
	s_delay_alu instid0(VALU_DEP_3) | instskip(NEXT) | instid1(VALU_DEP_3)
	v_mov_b32_e32 v51, v49
	v_pk_add_f32 v[44:45], v[44:45], v[46:47]
	s_delay_alu instid0(VALU_DEP_1) | instskip(SKIP_1) | instid1(VALU_DEP_1)
	v_pk_add_f32 v[44:45], v[44:45], v[50:51]
	s_wait_loadcnt 0x0
	v_pk_add_f32 v[44:45], v[102:103], v[44:45] neg_lo:[0,1] neg_hi:[0,1]
	scratch_store_b64 off, v[44:45], off offset:40
	s_wait_xcnt 0x0
	v_cmpx_lt_u32_e32 4, v0
	s_cbranch_execz .LBB20_131
; %bb.130:
	scratch_load_b64 v[44:45], off, off offset:32
	v_mov_b64_e32 v[46:47], 0
	scratch_store_b64 off, v[46:47], off offset:32
	s_wait_loadcnt 0x0
	ds_store_b64 v1, v[44:45]
.LBB20_131:
	s_wait_xcnt 0x0
	s_or_b32 exec_lo, exec_lo, s0
	s_wait_storecnt_dscnt 0x0
	s_barrier_signal -1
	s_barrier_wait -1
	s_clause 0x8
	scratch_load_b128 v[44:47], off, off offset:40
	scratch_load_b128 v[48:51], off, off offset:56
	;; [unrolled: 1-line block ×8, first 2 shown]
	scratch_load_b64 v[108:109], off, off offset:32
	ds_load_2addr_b64 v[76:79], v5 offset0:35 offset1:36
	ds_load_2addr_b64 v[80:83], v5 offset0:37 offset1:38
	ds_load_2addr_b64 v[84:87], v5 offset0:39 offset1:40
	ds_load_2addr_b64 v[88:91], v5 offset0:41 offset1:42
	ds_load_2addr_b64 v[92:95], v5 offset0:27 offset1:28
	ds_load_2addr_b64 v[96:99], v5 offset0:29 offset1:30
	ds_load_2addr_b64 v[100:103], v5 offset0:31 offset1:32
	ds_load_2addr_b64 v[104:107], v5 offset0:33 offset1:34
	s_mov_b32 s0, exec_lo
	s_wait_dscnt 0x7
	v_dual_mov_b32 v110, v79 :: v_dual_mov_b32 v111, v78
	s_wait_dscnt 0x6
	v_dual_mov_b32 v112, v83 :: v_dual_mov_b32 v113, v82
	;; [unrolled: 2-line block ×4, first 2 shown]
	s_wait_loadcnt_dscnt 0x803
	v_dual_mul_f32 v5, v92, v45 :: v_dual_mul_f32 v7, v94, v47
	v_dual_mul_f32 v19, v93, v45 :: v_dual_mul_f32 v21, v95, v47
	s_wait_loadcnt_dscnt 0x702
	v_dual_mul_f32 v11, v96, v49 :: v_dual_mul_f32 v13, v98, v51
	s_delay_alu instid0(VALU_DEP_2) | instskip(SKIP_3) | instid1(VALU_DEP_3)
	v_dual_fmac_f32 v5, v93, v44 :: v_dual_fma_f32 v19, v92, v44, -v19
	v_dual_mul_f32 v23, v97, v49 :: v_dual_mul_f32 v25, v99, v51
	s_wait_loadcnt_dscnt 0x500
	v_dual_mul_f32 v31, v105, v57 :: v_dual_fmac_f32 v7, v95, v46
	v_dual_fma_f32 v21, v94, v46, -v21 :: v_dual_add_f32 v5, 0, v5
	v_dual_add_f32 v19, 0, v19 :: v_dual_fmac_f32 v11, v97, v48
	v_dual_mul_f32 v33, v107, v59 :: v_dual_fma_f32 v23, v96, v48, -v23
	s_delay_alu instid0(VALU_DEP_2) | instskip(SKIP_2) | instid1(VALU_DEP_3)
	v_dual_add_f32 v5, v5, v7 :: v_dual_add_f32 v7, v19, v21
	v_dual_mul_f32 v15, v100, v53 :: v_dual_mul_f32 v17, v102, v55
	v_dual_mul_f32 v27, v101, v53 :: v_dual_mul_f32 v29, v103, v55
	v_dual_fmac_f32 v13, v99, v50 :: v_dual_add_f32 v5, v5, v11
	s_delay_alu instid0(VALU_DEP_4) | instskip(SKIP_2) | instid1(VALU_DEP_3)
	v_dual_fma_f32 v19, v98, v50, -v25 :: v_dual_add_f32 v7, v7, v23
	s_wait_loadcnt 0x4
	v_dual_mov_b32 v46, v63 :: v_dual_fmac_f32 v15, v101, v52
	v_dual_fma_f32 v11, v100, v52, -v27 :: v_dual_add_f32 v5, v5, v13
	s_delay_alu instid0(VALU_DEP_3) | instskip(SKIP_1) | instid1(VALU_DEP_3)
	v_dual_add_f32 v7, v7, v19 :: v_dual_fma_f32 v13, v102, v54, -v29
	v_dual_mul_f32 v119, v104, v57 :: v_dual_mul_f32 v121, v106, v59
	v_dual_fmac_f32 v17, v103, v54 :: v_dual_add_f32 v5, v5, v15
	s_delay_alu instid0(VALU_DEP_2)
	v_dual_add_f32 v7, v7, v11 :: v_dual_fmac_f32 v119, v105, v56
	v_pk_mul_f32 v[44:45], v[76:77], v[60:61] op_sel:[1,1] op_sel_hi:[0,1]
	s_wait_loadcnt 0x3
	v_dual_mov_b32 v50, v67 :: v_dual_fma_f32 v118, v104, v56, -v31
	v_dual_add_f32 v53, v5, v17 :: v_dual_fmac_f32 v121, v107, v58
	v_dual_add_f32 v52, v7, v13 :: v_dual_fma_f32 v120, v106, v58, -v33
	v_pk_fma_f32 v[54:55], v[76:77], v[60:61], v[44:45] op_sel_hi:[1,0,1]
	v_pk_mul_f32 v[46:47], v[110:111], v[46:47] op_sel_hi:[1,0]
	v_pk_fma_f32 v[44:45], v[76:77], v[60:61], v[44:45] neg_lo:[0,0,1] neg_hi:[0,0,1]
	s_delay_alu instid0(VALU_DEP_4)
	v_pk_add_f32 v[52:53], v[52:53], v[118:119]
	v_pk_mul_f32 v[48:49], v[80:81], v[64:65] op_sel:[1,1] op_sel_hi:[0,1]
	v_mov_b32_e32 v45, v55
	v_pk_fma_f32 v[54:55], v[78:79], v[62:63], v[46:47] op_sel_hi:[1,0,1]
	v_pk_fma_f32 v[46:47], v[78:79], v[62:63], v[46:47] neg_lo:[0,0,1] neg_hi:[0,0,1]
	v_pk_add_f32 v[52:53], v[52:53], v[120:121]
	v_pk_fma_f32 v[58:59], v[80:81], v[64:65], v[48:49] op_sel_hi:[1,0,1]
	v_pk_mul_f32 v[50:51], v[112:113], v[50:51] op_sel_hi:[1,0]
	v_mov_b32_e32 v47, v55
	s_wait_loadcnt 0x2
	v_pk_mul_f32 v[56:57], v[84:85], v[68:69] op_sel:[1,1] op_sel_hi:[0,1]
	v_pk_add_f32 v[44:45], v[52:53], v[44:45]
	v_mov_b32_e32 v52, v71
	v_pk_fma_f32 v[48:49], v[80:81], v[64:65], v[48:49] neg_lo:[0,0,1] neg_hi:[0,0,1]
	v_mov_b32_e32 v49, v59
	v_pk_fma_f32 v[54:55], v[82:83], v[66:67], v[50:51] op_sel_hi:[1,0,1]
	v_pk_add_f32 v[44:45], v[44:45], v[46:47]
	v_pk_fma_f32 v[46:47], v[84:85], v[68:69], v[56:57] op_sel_hi:[1,0,1]
	v_pk_mul_f32 v[52:53], v[114:115], v[52:53] op_sel_hi:[1,0]
	v_pk_fma_f32 v[50:51], v[82:83], v[66:67], v[50:51] neg_lo:[0,0,1] neg_hi:[0,0,1]
	v_mov_b32_e32 v51, v55
	v_pk_add_f32 v[44:45], v[44:45], v[48:49]
	v_pk_fma_f32 v[54:55], v[84:85], v[68:69], v[56:57] neg_lo:[0,0,1] neg_hi:[0,0,1]
	v_mov_b32_e32 v55, v47
	v_pk_fma_f32 v[46:47], v[86:87], v[70:71], v[52:53] op_sel_hi:[1,0,1]
	s_wait_loadcnt 0x1
	v_pk_mul_f32 v[48:49], v[88:89], v[72:73] op_sel:[1,1] op_sel_hi:[0,1]
	v_pk_add_f32 v[44:45], v[44:45], v[50:51]
	v_mov_b32_e32 v46, v75
	v_pk_fma_f32 v[52:53], v[86:87], v[70:71], v[52:53] neg_lo:[0,0,1] neg_hi:[0,0,1]
	v_mov_b32_e32 v53, v47
	v_pk_fma_f32 v[50:51], v[88:89], v[72:73], v[48:49] op_sel_hi:[1,0,1]
	v_pk_add_f32 v[44:45], v[44:45], v[54:55]
	v_pk_mul_f32 v[46:47], v[116:117], v[46:47] op_sel_hi:[1,0]
	v_pk_fma_f32 v[48:49], v[88:89], v[72:73], v[48:49] neg_lo:[0,0,1] neg_hi:[0,0,1]
	s_delay_alu instid0(VALU_DEP_4) | instskip(NEXT) | instid1(VALU_DEP_4)
	v_mov_b32_e32 v49, v51
	v_pk_add_f32 v[44:45], v[44:45], v[52:53]
	s_delay_alu instid0(VALU_DEP_4) | instskip(SKIP_1) | instid1(VALU_DEP_2)
	v_pk_fma_f32 v[50:51], v[90:91], v[74:75], v[46:47] op_sel_hi:[1,0,1]
	v_pk_fma_f32 v[46:47], v[90:91], v[74:75], v[46:47] neg_lo:[0,0,1] neg_hi:[0,0,1]
	v_mov_b32_e32 v47, v51
	s_delay_alu instid0(VALU_DEP_4) | instskip(NEXT) | instid1(VALU_DEP_1)
	v_pk_add_f32 v[44:45], v[44:45], v[48:49]
	v_pk_add_f32 v[44:45], v[44:45], v[46:47]
	s_wait_loadcnt 0x0
	s_delay_alu instid0(VALU_DEP_1)
	v_pk_add_f32 v[44:45], v[108:109], v[44:45] neg_lo:[0,1] neg_hi:[0,1]
	scratch_store_b64 off, v[44:45], off offset:32
	s_wait_xcnt 0x0
	v_cmpx_lt_u32_e32 3, v0
	s_cbranch_execz .LBB20_133
; %bb.132:
	scratch_load_b64 v[44:45], off, off offset:24
	v_mov_b64_e32 v[46:47], 0
	scratch_store_b64 off, v[46:47], off offset:24
	s_wait_loadcnt 0x0
	ds_store_b64 v1, v[44:45]
.LBB20_133:
	s_wait_xcnt 0x0
	s_or_b32 exec_lo, exec_lo, s0
	s_wait_storecnt_dscnt 0x0
	s_barrier_signal -1
	s_barrier_wait -1
	s_clause 0x9
	scratch_load_b128 v[44:47], off, off offset:32
	scratch_load_b128 v[48:51], off, off offset:48
	;; [unrolled: 1-line block ×8, first 2 shown]
	scratch_load_b64 v[108:109], off, off offset:160
	scratch_load_b64 v[110:111], off, off offset:24
	v_mov_b32_e32 v5, 0
	ds_load_b128 v[76:79], v5 offset:272
	ds_load_b128 v[80:83], v5 offset:288
	ds_load_b128 v[84:87], v5 offset:304
	ds_load_b128 v[88:91], v5 offset:320
	ds_load_b128 v[92:95], v5 offset:208
	ds_load_b128 v[96:99], v5 offset:224
	ds_load_b128 v[100:103], v5 offset:240
	ds_load_b128 v[104:107], v5 offset:256
	ds_load_b64 v[112:113], v5 offset:336
	s_mov_b32 s0, exec_lo
	s_wait_dscnt 0x8
	v_dual_mov_b32 v114, v79 :: v_dual_mov_b32 v115, v78
	s_wait_dscnt 0x5
	v_dual_mov_b32 v116, v83 :: v_dual_mov_b32 v121, v90
	v_dual_mov_b32 v117, v82 :: v_dual_mov_b32 v118, v87
	;; [unrolled: 1-line block ×3, first 2 shown]
	s_wait_loadcnt_dscnt 0x904
	v_dual_mul_f32 v7, v92, v45 :: v_dual_mul_f32 v23, v93, v45
	v_dual_mul_f32 v25, v95, v47 :: v_dual_mul_f32 v11, v94, v47
	s_wait_loadcnt_dscnt 0x803
	v_mul_f32_e32 v13, v96, v49
	s_wait_loadcnt_dscnt 0x601
	v_dual_mul_f32 v35, v105, v57 :: v_dual_fma_f32 v23, v92, v44, -v23
	v_dual_fmac_f32 v7, v93, v44 :: v_dual_mul_f32 v37, v107, v59
	v_dual_mul_f32 v27, v97, v49 :: v_dual_mul_f32 v29, v99, v51
	v_dual_fmac_f32 v11, v95, v46 :: v_dual_fma_f32 v25, v94, v46, -v25
	s_wait_loadcnt 0x5
	s_delay_alu instid0(VALU_DEP_3) | instskip(SKIP_2) | instid1(VALU_DEP_3)
	v_dual_add_f32 v7, 0, v7 :: v_dual_mul_f32 v39, v77, v61
	v_dual_add_f32 v23, 0, v23 :: v_dual_fmac_f32 v13, v97, v48
	v_dual_mul_f32 v15, v98, v51 :: v_dual_mul_f32 v17, v100, v53
	v_dual_fma_f32 v27, v96, v48, -v27 :: v_dual_add_f32 v7, v7, v11
	s_delay_alu instid0(VALU_DEP_3) | instskip(SKIP_3) | instid1(VALU_DEP_3)
	v_dual_add_f32 v11, v23, v25 :: v_dual_fma_f32 v23, v98, v50, -v29
	v_dual_mul_f32 v19, v102, v55 :: v_dual_mul_f32 v21, v104, v57
	v_dual_mul_f32 v31, v101, v53 :: v_dual_mul_f32 v33, v103, v55
	v_dual_mov_b32 v44, v63 :: v_dual_fmac_f32 v17, v101, v52
	v_dual_fmac_f32 v15, v99, v50 :: v_dual_fmac_f32 v21, v105, v56
	s_delay_alu instid0(VALU_DEP_3) | instskip(SKIP_1) | instid1(VALU_DEP_4)
	v_dual_add_f32 v7, v7, v13 :: v_dual_fma_f32 v13, v100, v52, -v31
	v_add_f32_e32 v11, v11, v27
	v_pk_mul_f32 v[44:45], v[114:115], v[44:45] op_sel_hi:[1,0]
	v_dual_mul_f32 v123, v106, v59 :: v_dual_mul_f32 v125, v76, v61
	s_delay_alu instid0(VALU_DEP_4) | instskip(NEXT) | instid1(VALU_DEP_4)
	v_dual_add_f32 v7, v7, v15 :: v_dual_fma_f32 v15, v102, v54, -v33
	v_dual_add_f32 v11, v11, v23 :: v_dual_fma_f32 v122, v106, v58, -v37
	s_delay_alu instid0(VALU_DEP_3) | instskip(NEXT) | instid1(VALU_DEP_2)
	v_dual_fmac_f32 v19, v103, v54 :: v_dual_fmac_f32 v125, v77, v60
	v_dual_fma_f32 v124, v76, v60, -v39 :: v_dual_add_f32 v11, v11, v13
	s_delay_alu instid0(VALU_DEP_4)
	v_dual_fma_f32 v13, v104, v56, -v35 :: v_dual_add_f32 v7, v7, v17
	v_pk_fma_f32 v[56:57], v[78:79], v[62:63], v[44:45] op_sel_hi:[1,0,1]
	v_pk_fma_f32 v[44:45], v[78:79], v[62:63], v[44:45] neg_lo:[0,0,1] neg_hi:[0,0,1]
	v_fmac_f32_e32 v123, v107, v58
	s_wait_loadcnt 0x4
	v_pk_mul_f32 v[46:47], v[80:81], v[64:65] op_sel:[1,1] op_sel_hi:[0,1]
	v_dual_add_f32 v7, v7, v19 :: v_dual_mov_b32 v45, v57
	v_add_f32_e32 v11, v11, v15
	s_wait_loadcnt 0x3
	v_dual_mov_b32 v48, v67 :: v_dual_mov_b32 v54, v71
	s_delay_alu instid0(VALU_DEP_3) | instskip(SKIP_2) | instid1(VALU_DEP_4)
	v_add_f32_e32 v53, v7, v21
	v_pk_fma_f32 v[58:59], v[80:81], v[64:65], v[46:47] op_sel_hi:[1,0,1]
	v_add_f32_e32 v52, v11, v13
	v_pk_mul_f32 v[48:49], v[116:117], v[48:49] op_sel_hi:[1,0]
	v_pk_fma_f32 v[46:47], v[80:81], v[64:65], v[46:47] neg_lo:[0,0,1] neg_hi:[0,0,1]
	v_pk_mul_f32 v[50:51], v[84:85], v[68:69] op_sel:[1,1] op_sel_hi:[0,1]
	v_mov_b32_e32 v47, v59
	v_pk_add_f32 v[52:53], v[52:53], v[122:123]
	v_pk_fma_f32 v[58:59], v[82:83], v[66:67], v[48:49] op_sel_hi:[1,0,1]
	v_pk_fma_f32 v[48:49], v[82:83], v[66:67], v[48:49] neg_lo:[0,0,1] neg_hi:[0,0,1]
	v_pk_mul_f32 v[54:55], v[118:119], v[54:55] op_sel_hi:[1,0]
	s_wait_loadcnt 0x2
	v_pk_mul_f32 v[56:57], v[88:89], v[72:73] op_sel:[1,1] op_sel_hi:[0,1]
	v_pk_add_f32 v[52:53], v[52:53], v[124:125]
	v_mov_b32_e32 v49, v59
	s_delay_alu instid0(VALU_DEP_2) | instskip(SKIP_2) | instid1(VALU_DEP_3)
	v_pk_add_f32 v[44:45], v[52:53], v[44:45]
	v_pk_fma_f32 v[52:53], v[84:85], v[68:69], v[50:51] op_sel_hi:[1,0,1]
	v_pk_fma_f32 v[50:51], v[84:85], v[68:69], v[50:51] neg_lo:[0,0,1] neg_hi:[0,0,1]
	v_pk_add_f32 v[44:45], v[44:45], v[46:47]
	s_delay_alu instid0(VALU_DEP_3) | instskip(SKIP_2) | instid1(VALU_DEP_4)
	v_dual_mov_b32 v46, v75 :: v_dual_mov_b32 v51, v53
	v_pk_fma_f32 v[52:53], v[86:87], v[70:71], v[54:55] op_sel_hi:[1,0,1]
	v_pk_fma_f32 v[54:55], v[86:87], v[70:71], v[54:55] neg_lo:[0,0,1] neg_hi:[0,0,1]
	v_pk_add_f32 v[44:45], v[44:45], v[48:49]
	v_pk_fma_f32 v[48:49], v[88:89], v[72:73], v[56:57] op_sel_hi:[1,0,1]
	v_pk_mul_f32 v[46:47], v[120:121], v[46:47] op_sel_hi:[1,0]
	v_mov_b32_e32 v55, v53
	s_wait_loadcnt_dscnt 0x100
	v_pk_mul_f32 v[52:53], v[112:113], v[108:109] op_sel:[1,1] op_sel_hi:[0,1]
	v_pk_add_f32 v[44:45], v[44:45], v[50:51]
	v_pk_fma_f32 v[50:51], v[88:89], v[72:73], v[56:57] neg_lo:[0,0,1] neg_hi:[0,0,1]
	v_mov_b32_e32 v51, v49
	v_pk_fma_f32 v[48:49], v[90:91], v[74:75], v[46:47] op_sel_hi:[1,0,1]
	v_pk_fma_f32 v[46:47], v[90:91], v[74:75], v[46:47] neg_lo:[0,0,1] neg_hi:[0,0,1]
	v_pk_add_f32 v[44:45], v[44:45], v[54:55]
	s_delay_alu instid0(VALU_DEP_3) | instskip(SKIP_1) | instid1(VALU_DEP_3)
	v_mov_b32_e32 v47, v49
	v_pk_fma_f32 v[48:49], v[112:113], v[108:109], v[52:53] op_sel_hi:[1,0,1]
	v_pk_add_f32 v[44:45], v[44:45], v[50:51]
	v_pk_fma_f32 v[50:51], v[112:113], v[108:109], v[52:53] neg_lo:[0,0,1] neg_hi:[0,0,1]
	s_delay_alu instid0(VALU_DEP_3) | instskip(NEXT) | instid1(VALU_DEP_3)
	v_mov_b32_e32 v51, v49
	v_pk_add_f32 v[44:45], v[44:45], v[46:47]
	s_delay_alu instid0(VALU_DEP_1) | instskip(SKIP_1) | instid1(VALU_DEP_1)
	v_pk_add_f32 v[44:45], v[44:45], v[50:51]
	s_wait_loadcnt 0x0
	v_pk_add_f32 v[44:45], v[110:111], v[44:45] neg_lo:[0,1] neg_hi:[0,1]
	scratch_store_b64 off, v[44:45], off offset:24
	s_wait_xcnt 0x0
	v_cmpx_lt_u32_e32 2, v0
	s_cbranch_execz .LBB20_135
; %bb.134:
	scratch_load_b64 v[44:45], off, off offset:16
	v_mov_b64_e32 v[46:47], 0
	scratch_store_b64 off, v[46:47], off offset:16
	s_wait_loadcnt 0x0
	ds_store_b64 v1, v[44:45]
.LBB20_135:
	s_wait_xcnt 0x0
	s_or_b32 exec_lo, exec_lo, s0
	s_wait_storecnt_dscnt 0x0
	s_barrier_signal -1
	s_barrier_wait -1
	s_clause 0x9
	scratch_load_b128 v[44:47], off, off offset:24
	scratch_load_b128 v[48:51], off, off offset:40
	;; [unrolled: 1-line block ×9, first 2 shown]
	scratch_load_b64 v[116:117], off, off offset:16
	ds_load_2addr_b64 v[80:83], v5 offset0:35 offset1:36
	ds_load_2addr_b64 v[84:87], v5 offset0:37 offset1:38
	;; [unrolled: 1-line block ×9, first 2 shown]
	s_mov_b32 s0, exec_lo
	s_wait_dscnt 0x8
	v_dual_mov_b32 v118, v83 :: v_dual_mov_b32 v119, v82
	s_wait_dscnt 0x7
	v_dual_mov_b32 v120, v87 :: v_dual_mov_b32 v121, v86
	;; [unrolled: 2-line block ×4, first 2 shown]
	s_wait_loadcnt_dscnt 0x904
	v_dual_mul_f32 v5, v96, v45 :: v_dual_mul_f32 v7, v98, v47
	v_dual_mul_f32 v23, v97, v45 :: v_dual_mul_f32 v25, v99, v47
	s_wait_loadcnt_dscnt 0x803
	v_dual_mul_f32 v11, v100, v49 :: v_dual_mul_f32 v13, v102, v51
	s_delay_alu instid0(VALU_DEP_2) | instskip(SKIP_3) | instid1(VALU_DEP_3)
	v_dual_fmac_f32 v5, v97, v44 :: v_dual_fma_f32 v23, v96, v44, -v23
	v_dual_mul_f32 v27, v101, v49 :: v_dual_mul_f32 v29, v103, v51
	s_wait_loadcnt_dscnt 0x601
	v_dual_mul_f32 v35, v109, v57 :: v_dual_fmac_f32 v7, v99, v46
	v_dual_fma_f32 v25, v98, v46, -v25 :: v_dual_add_f32 v5, 0, v5
	v_dual_add_f32 v23, 0, v23 :: v_dual_fmac_f32 v11, v101, v48
	v_dual_mul_f32 v37, v111, v59 :: v_dual_fma_f32 v27, v100, v48, -v27
	s_delay_alu instid0(VALU_DEP_2)
	v_dual_add_f32 v5, v5, v7 :: v_dual_add_f32 v7, v23, v25
	v_dual_mul_f32 v15, v104, v53 :: v_dual_mul_f32 v17, v106, v55
	v_dual_mul_f32 v31, v105, v53 :: v_dual_mul_f32 v33, v107, v55
	s_wait_loadcnt_dscnt 0x500
	v_dual_mul_f32 v23, v113, v61 :: v_dual_fmac_f32 v13, v103, v50
	v_dual_fma_f32 v25, v102, v50, -v29 :: v_dual_add_f32 v5, v5, v11
	v_dual_add_f32 v7, v7, v27 :: v_dual_fmac_f32 v15, v105, v52
	v_dual_mul_f32 v11, v115, v63 :: v_dual_fma_f32 v27, v104, v52, -v31
	s_delay_alu instid0(VALU_DEP_3) | instskip(NEXT) | instid1(VALU_DEP_3)
	v_dual_add_f32 v5, v5, v13 :: v_dual_fmac_f32 v17, v107, v54
	v_dual_add_f32 v7, v7, v25 :: v_dual_fma_f32 v13, v106, v54, -v33
	v_dual_mul_f32 v19, v108, v57 :: v_dual_mul_f32 v21, v110, v59
	s_wait_loadcnt 0x4
	s_delay_alu instid0(VALU_DEP_3) | instskip(NEXT) | instid1(VALU_DEP_2)
	v_dual_add_f32 v5, v5, v15 :: v_dual_mov_b32 v46, v67
	v_dual_add_f32 v7, v7, v27 :: v_dual_fmac_f32 v19, v109, v56
	s_delay_alu instid0(VALU_DEP_2) | instskip(SKIP_1) | instid1(VALU_DEP_3)
	v_dual_fma_f32 v15, v108, v56, -v35 :: v_dual_add_f32 v5, v5, v17
	v_dual_mul_f32 v127, v112, v61 :: v_dual_mul_f32 v129, v114, v63
	v_dual_add_f32 v7, v7, v13 :: v_dual_fma_f32 v13, v110, v58, -v37
	s_delay_alu instid0(VALU_DEP_3) | instskip(SKIP_1) | instid1(VALU_DEP_3)
	v_dual_fmac_f32 v21, v111, v58 :: v_dual_add_f32 v5, v5, v19
	v_pk_mul_f32 v[44:45], v[80:81], v[64:65] op_sel:[1,1] op_sel_hi:[0,1]
	v_dual_add_f32 v7, v7, v15 :: v_dual_fmac_f32 v127, v113, v60
	s_wait_loadcnt 0x3
	v_dual_mov_b32 v50, v71 :: v_dual_fma_f32 v126, v112, v60, -v23
	v_dual_add_f32 v53, v5, v21 :: v_dual_fmac_f32 v129, v115, v62
	s_delay_alu instid0(VALU_DEP_3) | instskip(SKIP_3) | instid1(VALU_DEP_4)
	v_dual_add_f32 v52, v7, v13 :: v_dual_fma_f32 v128, v114, v62, -v11
	v_pk_fma_f32 v[54:55], v[80:81], v[64:65], v[44:45] op_sel_hi:[1,0,1]
	v_pk_mul_f32 v[46:47], v[118:119], v[46:47] op_sel_hi:[1,0]
	v_pk_fma_f32 v[44:45], v[80:81], v[64:65], v[44:45] neg_lo:[0,0,1] neg_hi:[0,0,1]
	v_pk_add_f32 v[52:53], v[52:53], v[126:127]
	v_pk_mul_f32 v[48:49], v[84:85], v[68:69] op_sel:[1,1] op_sel_hi:[0,1]
	v_mov_b32_e32 v45, v55
	v_pk_fma_f32 v[54:55], v[82:83], v[66:67], v[46:47] op_sel_hi:[1,0,1]
	v_pk_fma_f32 v[46:47], v[82:83], v[66:67], v[46:47] neg_lo:[0,0,1] neg_hi:[0,0,1]
	v_pk_add_f32 v[52:53], v[52:53], v[128:129]
	v_pk_fma_f32 v[58:59], v[84:85], v[68:69], v[48:49] op_sel_hi:[1,0,1]
	v_pk_mul_f32 v[50:51], v[120:121], v[50:51] op_sel_hi:[1,0]
	v_mov_b32_e32 v47, v55
	s_wait_loadcnt 0x2
	v_pk_mul_f32 v[56:57], v[88:89], v[72:73] op_sel:[1,1] op_sel_hi:[0,1]
	v_pk_add_f32 v[44:45], v[52:53], v[44:45]
	v_mov_b32_e32 v52, v75
	v_pk_fma_f32 v[48:49], v[84:85], v[68:69], v[48:49] neg_lo:[0,0,1] neg_hi:[0,0,1]
	v_mov_b32_e32 v49, v59
	v_pk_fma_f32 v[54:55], v[86:87], v[70:71], v[50:51] op_sel_hi:[1,0,1]
	v_pk_add_f32 v[44:45], v[44:45], v[46:47]
	v_pk_fma_f32 v[46:47], v[88:89], v[72:73], v[56:57] op_sel_hi:[1,0,1]
	v_pk_mul_f32 v[52:53], v[122:123], v[52:53] op_sel_hi:[1,0]
	v_pk_fma_f32 v[50:51], v[86:87], v[70:71], v[50:51] neg_lo:[0,0,1] neg_hi:[0,0,1]
	v_mov_b32_e32 v51, v55
	v_pk_add_f32 v[44:45], v[44:45], v[48:49]
	v_pk_fma_f32 v[54:55], v[88:89], v[72:73], v[56:57] neg_lo:[0,0,1] neg_hi:[0,0,1]
	v_mov_b32_e32 v55, v47
	v_pk_fma_f32 v[46:47], v[90:91], v[74:75], v[52:53] op_sel_hi:[1,0,1]
	s_wait_loadcnt 0x1
	v_pk_mul_f32 v[48:49], v[92:93], v[76:77] op_sel:[1,1] op_sel_hi:[0,1]
	v_pk_add_f32 v[44:45], v[44:45], v[50:51]
	v_mov_b32_e32 v46, v79
	v_pk_fma_f32 v[52:53], v[90:91], v[74:75], v[52:53] neg_lo:[0,0,1] neg_hi:[0,0,1]
	v_mov_b32_e32 v53, v47
	v_pk_fma_f32 v[50:51], v[92:93], v[76:77], v[48:49] op_sel_hi:[1,0,1]
	v_pk_add_f32 v[44:45], v[44:45], v[54:55]
	v_pk_mul_f32 v[46:47], v[124:125], v[46:47] op_sel_hi:[1,0]
	v_pk_fma_f32 v[48:49], v[92:93], v[76:77], v[48:49] neg_lo:[0,0,1] neg_hi:[0,0,1]
	s_delay_alu instid0(VALU_DEP_4) | instskip(NEXT) | instid1(VALU_DEP_4)
	v_mov_b32_e32 v49, v51
	v_pk_add_f32 v[44:45], v[44:45], v[52:53]
	s_delay_alu instid0(VALU_DEP_4) | instskip(SKIP_1) | instid1(VALU_DEP_2)
	v_pk_fma_f32 v[50:51], v[94:95], v[78:79], v[46:47] op_sel_hi:[1,0,1]
	v_pk_fma_f32 v[46:47], v[94:95], v[78:79], v[46:47] neg_lo:[0,0,1] neg_hi:[0,0,1]
	v_mov_b32_e32 v47, v51
	s_delay_alu instid0(VALU_DEP_4) | instskip(NEXT) | instid1(VALU_DEP_1)
	v_pk_add_f32 v[44:45], v[44:45], v[48:49]
	v_pk_add_f32 v[44:45], v[44:45], v[46:47]
	s_wait_loadcnt 0x0
	s_delay_alu instid0(VALU_DEP_1)
	v_pk_add_f32 v[44:45], v[116:117], v[44:45] neg_lo:[0,1] neg_hi:[0,1]
	scratch_store_b64 off, v[44:45], off offset:16
	s_wait_xcnt 0x0
	v_cmpx_lt_u32_e32 1, v0
	s_cbranch_execz .LBB20_137
; %bb.136:
	scratch_load_b64 v[44:45], off, off offset:8
	v_mov_b64_e32 v[46:47], 0
	scratch_store_b64 off, v[46:47], off offset:8
	s_wait_loadcnt 0x0
	ds_store_b64 v1, v[44:45]
.LBB20_137:
	s_wait_xcnt 0x0
	s_or_b32 exec_lo, exec_lo, s0
	s_wait_storecnt_dscnt 0x0
	s_barrier_signal -1
	s_barrier_wait -1
	s_clause 0xa
	scratch_load_b128 v[46:49], off, off offset:16
	scratch_load_b128 v[50:53], off, off offset:32
	;; [unrolled: 1-line block ×9, first 2 shown]
	scratch_load_b64 v[118:119], off, off offset:160
	scratch_load_b64 v[120:121], off, off offset:8
	v_dual_mov_b32 v44, 0 :: v_dual_ashrrev_i32 v5, 31, v4
	ds_load_b128 v[82:85], v44 offset:272
	ds_load_b128 v[86:89], v44 offset:288
	;; [unrolled: 1-line block ×9, first 2 shown]
	ds_load_b64 v[122:123], v44 offset:336
	v_ashrrev_i32_e32 v15, 31, v14
	v_ashrrev_i32_e32 v19, 31, v18
	v_dual_ashrrev_i32 v7, 31, v6 :: v_dual_ashrrev_i32 v13, 31, v12
	v_dual_ashrrev_i32 v11, 31, v10 :: v_dual_ashrrev_i32 v17, 31, v16
	s_mov_b32 s0, exec_lo
	s_wait_dscnt 0x9
	v_dual_mov_b32 v124, v85 :: v_dual_mov_b32 v125, v84
	s_wait_dscnt 0x8
	v_dual_mov_b32 v126, v89 :: v_dual_mov_b32 v127, v88
	;; [unrolled: 2-line block ×4, first 2 shown]
	s_wait_loadcnt_dscnt 0xa05
	v_dual_mul_f32 v21, v98, v47 :: v_dual_mul_f32 v23, v100, v49
	v_dual_mul_f32 v25, v99, v47 :: v_dual_mul_f32 v27, v101, v49
	s_wait_loadcnt_dscnt 0x904
	v_dual_mul_f32 v29, v102, v51 :: v_dual_mul_f32 v31, v104, v53
	v_dual_mul_f32 v33, v103, v51 :: v_dual_mul_f32 v35, v105, v53
	s_wait_loadcnt_dscnt 0x803
	v_dual_mul_f32 v37, v106, v55 :: v_dual_mul_f32 v39, v108, v57
	s_wait_loadcnt_dscnt 0x602
	v_dual_mul_f32 v51, v107, v55 :: v_dual_mul_f32 v47, v112, v65
	s_wait_loadcnt 0x5
	v_dual_mul_f32 v49, v82, v67 :: v_dual_fmac_f32 v21, v99, v46
	s_wait_dscnt 0x1
	v_dual_mul_f32 v55, v115, v59 :: v_dual_fma_f32 v25, v98, v46, -v25
	v_dual_mul_f32 v46, v117, v61 :: v_dual_fma_f32 v27, v100, v48, -v27
	s_delay_alu instid0(VALU_DEP_3) | instskip(NEXT) | instid1(VALU_DEP_3)
	v_dual_fmac_f32 v23, v101, v48 :: v_dual_add_f32 v21, 0, v21
	v_dual_add_f32 v25, 0, v25 :: v_dual_mul_f32 v45, v110, v63
	v_dual_mul_f32 v53, v109, v57 :: v_dual_mul_f32 v57, v111, v63
	s_delay_alu instid0(VALU_DEP_3) | instskip(NEXT) | instid1(VALU_DEP_3)
	v_dual_fmac_f32 v29, v103, v50 :: v_dual_add_f32 v21, v21, v23
	v_dual_fma_f32 v33, v102, v50, -v33 :: v_dual_add_f32 v23, v25, v27
	v_dual_mul_f32 v25, v113, v65 :: v_dual_fma_f32 v27, v104, v52, -v35
	v_fmac_f32_e32 v31, v105, v52
	s_delay_alu instid0(VALU_DEP_4) | instskip(NEXT) | instid1(VALU_DEP_4)
	v_dual_add_f32 v21, v21, v29 :: v_dual_mul_f32 v29, v83, v67
	v_add_f32_e32 v23, v23, v33
	v_dual_fmac_f32 v37, v107, v54 :: v_dual_fma_f32 v33, v106, v54, -v51
	s_delay_alu instid0(VALU_DEP_3) | instskip(SKIP_1) | instid1(VALU_DEP_4)
	v_add_f32_e32 v21, v21, v31
	v_dual_mul_f32 v41, v114, v59 :: v_dual_mul_f32 v43, v116, v61
	v_dual_add_f32 v23, v23, v27 :: v_dual_mov_b32 v48, v69
	v_dual_fmac_f32 v39, v109, v56 :: v_dual_fma_f32 v27, v108, v56, -v53
	s_delay_alu instid0(VALU_DEP_3) | instskip(NEXT) | instid1(VALU_DEP_3)
	v_dual_add_f32 v21, v21, v37 :: v_dual_fmac_f32 v41, v115, v58
	v_dual_add_f32 v23, v23, v33 :: v_dual_fma_f32 v31, v114, v58, -v55
	s_wait_loadcnt 0x4
	v_mov_b32_e32 v52, v73
	s_delay_alu instid0(VALU_DEP_3) | instskip(NEXT) | instid1(VALU_DEP_3)
	v_add_f32_e32 v21, v21, v39
	v_dual_fmac_f32 v43, v117, v60 :: v_dual_add_f32 v23, v23, v27
	v_fma_f32 v27, v116, v60, -v46
	v_dual_fmac_f32 v47, v113, v64 :: v_dual_fma_f32 v46, v112, v64, -v25
	s_delay_alu instid0(VALU_DEP_3) | instskip(SKIP_3) | instid1(VALU_DEP_4)
	v_dual_add_f32 v21, v21, v41 :: v_dual_add_f32 v23, v23, v31
	v_fmac_f32_e32 v45, v111, v62
	v_fma_f32 v31, v110, v62, -v57
	v_pk_mul_f32 v[56:57], v[124:125], v[48:49] op_sel_hi:[1,0]
	v_add_f32_e32 v21, v21, v43
	v_add_f32_e32 v23, v23, v27
	v_pk_mul_f32 v[50:51], v[86:87], v[70:71] op_sel:[1,1] op_sel_hi:[0,1]
	s_wait_loadcnt 0x3
	v_dual_mov_b32 v60, v77 :: v_dual_fmac_f32 v49, v83, v66
	s_delay_alu instid0(VALU_DEP_3)
	v_dual_add_f32 v59, v21, v45 :: v_dual_add_f32 v58, v23, v31
	v_pk_fma_f32 v[62:63], v[84:85], v[68:69], v[56:57] op_sel_hi:[1,0,1]
	v_fma_f32 v48, v82, v66, -v29
	v_pk_fma_f32 v[56:57], v[84:85], v[68:69], v[56:57] neg_lo:[0,0,1] neg_hi:[0,0,1]
	v_pk_mul_f32 v[52:53], v[126:127], v[52:53] op_sel_hi:[1,0]
	v_pk_add_f32 v[46:47], v[58:59], v[46:47]
	v_pk_fma_f32 v[58:59], v[86:87], v[70:71], v[50:51] op_sel_hi:[1,0,1]
	v_mov_b32_e32 v57, v63
	v_pk_fma_f32 v[50:51], v[86:87], v[70:71], v[50:51] neg_lo:[0,0,1] neg_hi:[0,0,1]
	v_pk_mul_f32 v[54:55], v[90:91], v[74:75] op_sel:[1,1] op_sel_hi:[0,1]
	v_pk_add_f32 v[46:47], v[46:47], v[48:49]
	v_mov_b32_e32 v51, v59
	v_pk_fma_f32 v[58:59], v[88:89], v[72:73], v[52:53] op_sel_hi:[1,0,1]
	v_pk_fma_f32 v[52:53], v[88:89], v[72:73], v[52:53] neg_lo:[0,0,1] neg_hi:[0,0,1]
	v_pk_mul_f32 v[60:61], v[128:129], v[60:61] op_sel_hi:[1,0]
	v_pk_add_f32 v[46:47], v[46:47], v[56:57]
	v_pk_fma_f32 v[56:57], v[90:91], v[74:75], v[54:55] op_sel_hi:[1,0,1]
	v_mov_b32_e32 v53, v59
	v_pk_fma_f32 v[54:55], v[90:91], v[74:75], v[54:55] neg_lo:[0,0,1] neg_hi:[0,0,1]
	s_wait_loadcnt 0x2
	v_pk_mul_f32 v[48:49], v[94:95], v[78:79] op_sel:[1,1] op_sel_hi:[0,1]
	v_pk_add_f32 v[46:47], v[46:47], v[50:51]
	v_dual_mov_b32 v50, v81 :: v_dual_mov_b32 v55, v57
	v_pk_fma_f32 v[56:57], v[92:93], v[76:77], v[60:61] op_sel_hi:[1,0,1]
	v_pk_fma_f32 v[58:59], v[92:93], v[76:77], v[60:61] neg_lo:[0,0,1] neg_hi:[0,0,1]
	s_delay_alu instid0(VALU_DEP_4) | instskip(SKIP_3) | instid1(VALU_DEP_4)
	v_pk_add_f32 v[46:47], v[46:47], v[52:53]
	v_pk_fma_f32 v[52:53], v[94:95], v[78:79], v[48:49] op_sel_hi:[1,0,1]
	v_pk_mul_f32 v[50:51], v[130:131], v[50:51] op_sel_hi:[1,0]
	v_dual_mov_b32 v59, v57 :: v_dual_ashrrev_i32 v21, 31, v20
	v_pk_add_f32 v[46:47], v[46:47], v[54:55]
	v_pk_fma_f32 v[48:49], v[94:95], v[78:79], v[48:49] neg_lo:[0,0,1] neg_hi:[0,0,1]
	v_dual_mov_b32 v49, v53 :: v_dual_ashrrev_i32 v23, 31, v22
	v_pk_fma_f32 v[52:53], v[96:97], v[80:81], v[50:51] op_sel_hi:[1,0,1]
	s_delay_alu instid0(VALU_DEP_4)
	v_pk_add_f32 v[46:47], v[46:47], v[58:59]
	s_wait_loadcnt_dscnt 0x100
	v_pk_mul_f32 v[54:55], v[122:123], v[118:119] op_sel:[1,1] op_sel_hi:[0,1]
	v_pk_fma_f32 v[50:51], v[96:97], v[80:81], v[50:51] neg_lo:[0,0,1] neg_hi:[0,0,1]
	v_dual_ashrrev_i32 v25, 31, v24 :: v_dual_mov_b32 v51, v53
	v_pk_add_f32 v[46:47], v[46:47], v[48:49]
	s_delay_alu instid0(VALU_DEP_4)
	v_pk_fma_f32 v[48:49], v[122:123], v[118:119], v[54:55] op_sel_hi:[1,0,1]
	v_pk_fma_f32 v[52:53], v[122:123], v[118:119], v[54:55] neg_lo:[0,0,1] neg_hi:[0,0,1]
	v_dual_ashrrev_i32 v27, 31, v26 :: v_dual_ashrrev_i32 v29, 31, v28
	v_ashrrev_i32_e32 v31, 31, v30
	v_pk_add_f32 v[46:47], v[46:47], v[50:51]
	v_dual_mov_b32 v53, v49 :: v_dual_ashrrev_i32 v33, 31, v32
	v_dual_ashrrev_i32 v35, 31, v34 :: v_dual_ashrrev_i32 v37, 31, v36
	v_ashrrev_i32_e32 v39, 31, v38
	s_delay_alu instid0(VALU_DEP_3) | instskip(SKIP_2) | instid1(VALU_DEP_2)
	v_pk_add_f32 v[46:47], v[46:47], v[52:53]
	v_dual_ashrrev_i32 v41, 31, v40 :: v_dual_ashrrev_i32 v43, 31, v42
	s_wait_loadcnt 0x0
	v_pk_add_f32 v[46:47], v[120:121], v[46:47] neg_lo:[0,1] neg_hi:[0,1]
	scratch_store_b64 off, v[46:47], off offset:8
	s_wait_xcnt 0x0
	v_cmpx_ne_u32_e32 0, v0
	s_cbranch_execz .LBB20_139
; %bb.138:
	scratch_load_b64 v[46:47], off, off
	v_mov_b64_e32 v[48:49], 0
	scratch_store_b64 off, v[48:49], off
	s_wait_loadcnt 0x0
	ds_store_b64 v1, v[46:47]
.LBB20_139:
	s_wait_xcnt 0x0
	s_or_b32 exec_lo, exec_lo, s0
	s_wait_storecnt_dscnt 0x0
	s_barrier_signal -1
	s_barrier_wait -1
	s_clause 0xa
	scratch_load_b128 v[46:49], off, off offset:8
	scratch_load_b128 v[50:53], off, off offset:24
	scratch_load_b128 v[54:57], off, off offset:40
	scratch_load_b128 v[58:61], off, off offset:56
	scratch_load_b128 v[62:65], off, off offset:72
	scratch_load_b128 v[66:69], off, off offset:88
	scratch_load_b128 v[70:73], off, off offset:104
	scratch_load_b128 v[74:77], off, off offset:120
	scratch_load_b128 v[78:81], off, off offset:136
	scratch_load_b128 v[82:85], off, off offset:152
	scratch_load_b64 v[0:1], off, off
	ds_load_2addr_b64 v[86:89], v44 offset0:35 offset1:36
	ds_load_2addr_b64 v[90:93], v44 offset0:37 offset1:38
	ds_load_2addr_b64 v[94:97], v44 offset0:39 offset1:40
	ds_load_2addr_b64 v[98:101], v44 offset0:41 offset1:42
	ds_load_2addr_b64 v[102:105], v44 offset0:23 offset1:24
	ds_load_2addr_b64 v[106:109], v44 offset0:25 offset1:26
	ds_load_2addr_b64 v[110:113], v44 offset0:27 offset1:28
	ds_load_2addr_b64 v[114:117], v44 offset0:29 offset1:30
	ds_load_2addr_b64 v[118:121], v44 offset0:31 offset1:32
	ds_load_2addr_b64 v[122:125], v44 offset0:33 offset1:34
	s_and_b32 vcc_lo, exec_lo, s18
	s_wait_dscnt 0x9
	v_dual_mov_b32 v44, v89 :: v_dual_mov_b32 v45, v88
	s_wait_dscnt 0x8
	v_dual_mov_b32 v126, v93 :: v_dual_mov_b32 v127, v92
	;; [unrolled: 2-line block ×4, first 2 shown]
	s_wait_loadcnt_dscnt 0xa05
	v_dual_mul_f32 v132, v102, v47 :: v_dual_mul_f32 v134, v104, v49
	v_dual_mul_f32 v47, v103, v47 :: v_dual_mul_f32 v49, v105, v49
	s_wait_loadcnt_dscnt 0x702
	v_dual_mul_f32 v140, v114, v59 :: v_dual_mul_f32 v141, v116, v61
	v_mul_f32_e32 v59, v115, v59
	v_dual_fmac_f32 v132, v103, v46 :: v_dual_mul_f32 v61, v117, v61
	v_fma_f32 v46, v102, v46, -v47
	v_dual_mul_f32 v136, v106, v51 :: v_dual_mul_f32 v137, v108, v53
	v_dual_mul_f32 v51, v107, v51 :: v_dual_mul_f32 v53, v109, v53
	v_dual_fmac_f32 v134, v105, v48 :: v_dual_fma_f32 v47, v104, v48, -v49
	s_delay_alu instid0(VALU_DEP_4) | instskip(SKIP_3) | instid1(VALU_DEP_3)
	v_dual_add_f32 v48, 0, v132 :: v_dual_add_f32 v46, 0, v46
	s_wait_loadcnt_dscnt 0x601
	v_mul_f32_e32 v49, v119, v63
	v_dual_fmac_f32 v136, v107, v50 :: v_dual_fma_f32 v50, v106, v50, -v51
	v_dual_add_f32 v48, v48, v134 :: v_dual_add_f32 v46, v46, v47
	v_dual_mul_f32 v138, v110, v55 :: v_dual_mul_f32 v139, v112, v57
	v_dual_mul_f32 v142, v118, v63 :: v_dual_mul_f32 v143, v120, v65
	v_dual_mul_f32 v55, v111, v55 :: v_dual_mul_f32 v57, v113, v57
	v_mul_f32_e32 v63, v121, v65
	v_dual_fmac_f32 v137, v109, v52 :: v_dual_add_f32 v46, v46, v50
	s_wait_loadcnt_dscnt 0x500
	v_dual_fma_f32 v47, v108, v52, -v53 :: v_dual_mul_f32 v53, v123, v67
	v_dual_add_f32 v48, v48, v136 :: v_dual_fmac_f32 v138, v111, v54
	v_fma_f32 v50, v110, v54, -v55
	s_delay_alu instid0(VALU_DEP_3) | instskip(NEXT) | instid1(VALU_DEP_3)
	v_dual_add_f32 v46, v46, v47 :: v_dual_mul_f32 v65, v125, v69
	v_dual_add_f32 v48, v48, v137 :: v_dual_fmac_f32 v139, v113, v56
	s_delay_alu instid0(VALU_DEP_2) | instskip(SKIP_1) | instid1(VALU_DEP_3)
	v_dual_fma_f32 v51, v112, v56, -v57 :: v_dual_add_f32 v50, v46, v50
	v_dual_fmac_f32 v140, v115, v58 :: v_dual_fma_f32 v52, v114, v58, -v59
	v_dual_add_f32 v48, v48, v138 :: v_dual_fmac_f32 v141, v117, v60
	s_delay_alu instid0(VALU_DEP_3) | instskip(SKIP_2) | instid1(VALU_DEP_3)
	v_dual_fmac_f32 v142, v119, v62 :: v_dual_add_f32 v50, v50, v51
	v_fma_f32 v55, v116, v60, -v61
	s_wait_loadcnt 0x4
	v_dual_add_f32 v54, v48, v139 :: v_dual_mov_b32 v48, v73
	v_fma_f32 v49, v118, v62, -v49
	v_add_f32_e32 v52, v50, v52
	v_dual_mul_f32 v133, v122, v67 :: v_dual_mul_f32 v135, v124, v69
	s_delay_alu instid0(VALU_DEP_4) | instskip(NEXT) | instid1(VALU_DEP_3)
	v_add_f32_e32 v54, v54, v140
	v_dual_fmac_f32 v143, v121, v64 :: v_dual_add_f32 v55, v52, v55
	s_wait_loadcnt 0x3
	v_mov_b32_e32 v52, v77
	v_pk_mul_f32 v[46:47], v[86:87], v[70:71] op_sel:[1,1] op_sel_hi:[0,1]
	v_dual_add_f32 v54, v54, v141 :: v_dual_fma_f32 v56, v120, v64, -v63
	v_dual_add_f32 v49, v55, v49 :: v_dual_fmac_f32 v135, v125, v68
	s_delay_alu instid0(VALU_DEP_2) | instskip(SKIP_1) | instid1(VALU_DEP_3)
	v_dual_fma_f32 v134, v124, v68, -v65 :: v_dual_add_f32 v57, v54, v142
	v_fmac_f32_e32 v133, v123, v66
	v_dual_fma_f32 v132, v122, v66, -v53 :: v_dual_add_f32 v56, v49, v56
	v_pk_fma_f32 v[58:59], v[86:87], v[70:71], v[46:47] op_sel_hi:[1,0,1]
	s_delay_alu instid0(VALU_DEP_4)
	v_add_f32_e32 v57, v57, v143
	v_pk_mul_f32 v[44:45], v[44:45], v[48:49] op_sel_hi:[1,0]
	v_pk_fma_f32 v[46:47], v[86:87], v[70:71], v[46:47] neg_lo:[0,0,1] neg_hi:[0,0,1]
	v_pk_mul_f32 v[50:51], v[90:91], v[74:75] op_sel:[1,1] op_sel_hi:[0,1]
	v_mov_b32_e32 v47, v59
	v_pk_add_f32 v[48:49], v[56:57], v[132:133]
	s_wait_loadcnt 0x2
	v_mov_b32_e32 v56, v81
	v_pk_fma_f32 v[58:59], v[88:89], v[72:73], v[44:45] op_sel_hi:[1,0,1]
	v_pk_fma_f32 v[44:45], v[88:89], v[72:73], v[44:45] neg_lo:[0,0,1] neg_hi:[0,0,1]
	v_pk_fma_f32 v[60:61], v[90:91], v[74:75], v[50:51] op_sel_hi:[1,0,1]
	v_pk_add_f32 v[48:49], v[48:49], v[134:135]
	v_pk_mul_f32 v[52:53], v[126:127], v[52:53] op_sel_hi:[1,0]
	v_mov_b32_e32 v45, v59
	v_pk_fma_f32 v[50:51], v[90:91], v[74:75], v[50:51] neg_lo:[0,0,1] neg_hi:[0,0,1]
	v_pk_mul_f32 v[54:55], v[94:95], v[78:79] op_sel:[1,1] op_sel_hi:[0,1]
	v_pk_add_f32 v[46:47], v[48:49], v[46:47]
	v_mov_b32_e32 v51, v61
	v_pk_fma_f32 v[58:59], v[92:93], v[76:77], v[52:53] op_sel_hi:[1,0,1]
	v_pk_fma_f32 v[52:53], v[92:93], v[76:77], v[52:53] neg_lo:[0,0,1] neg_hi:[0,0,1]
	v_pk_mul_f32 v[56:57], v[128:129], v[56:57] op_sel_hi:[1,0]
	v_pk_add_f32 v[44:45], v[46:47], v[44:45]
	v_pk_fma_f32 v[46:47], v[94:95], v[78:79], v[54:55] op_sel_hi:[1,0,1]
	s_wait_loadcnt 0x1
	v_dual_mov_b32 v53, v59 :: v_dual_mov_b32 v46, v85
	v_pk_mul_f32 v[48:49], v[98:99], v[82:83] op_sel:[1,1] op_sel_hi:[0,1]
	v_pk_add_f32 v[44:45], v[44:45], v[50:51]
	v_pk_fma_f32 v[50:51], v[94:95], v[78:79], v[54:55] neg_lo:[0,0,1] neg_hi:[0,0,1]
	v_pk_fma_f32 v[54:55], v[96:97], v[80:81], v[56:57] op_sel_hi:[1,0,1]
	v_mov_b32_e32 v51, v47
	v_pk_fma_f32 v[56:57], v[96:97], v[80:81], v[56:57] neg_lo:[0,0,1] neg_hi:[0,0,1]
	v_pk_add_f32 v[44:45], v[44:45], v[52:53]
	v_pk_fma_f32 v[52:53], v[98:99], v[82:83], v[48:49] op_sel_hi:[1,0,1]
	v_pk_mul_f32 v[46:47], v[130:131], v[46:47] op_sel_hi:[1,0]
	v_mov_b32_e32 v57, v55
	v_pk_fma_f32 v[48:49], v[98:99], v[82:83], v[48:49] neg_lo:[0,0,1] neg_hi:[0,0,1]
	v_pk_add_f32 v[44:45], v[44:45], v[50:51]
	s_delay_alu instid0(VALU_DEP_4) | instskip(SKIP_2) | instid1(VALU_DEP_4)
	v_pk_fma_f32 v[50:51], v[100:101], v[84:85], v[46:47] op_sel_hi:[1,0,1]
	v_mov_b32_e32 v49, v53
	v_pk_fma_f32 v[46:47], v[100:101], v[84:85], v[46:47] neg_lo:[0,0,1] neg_hi:[0,0,1]
	v_pk_add_f32 v[44:45], v[44:45], v[56:57]
	s_delay_alu instid0(VALU_DEP_4) | instskip(NEXT) | instid1(VALU_DEP_2)
	v_mov_b32_e32 v47, v51
	v_pk_add_f32 v[44:45], v[44:45], v[48:49]
	s_delay_alu instid0(VALU_DEP_1) | instskip(SKIP_1) | instid1(VALU_DEP_1)
	v_pk_add_f32 v[44:45], v[44:45], v[46:47]
	s_wait_loadcnt 0x0
	v_pk_add_f32 v[0:1], v[0:1], v[44:45] neg_lo:[0,1] neg_hi:[0,1]
	scratch_store_b64 off, v[0:1], off
	s_cbranch_vccz .LBB20_180
; %bb.140:
	s_wait_xcnt 0x0
	v_mov_b32_e32 v0, 0
	global_load_b32 v1, v0, s[2:3] offset:76
	s_wait_loadcnt 0x0
	v_cmp_ne_u32_e32 vcc_lo, 20, v1
	s_cbranch_vccz .LBB20_142
; %bb.141:
	v_lshlrev_b32_e32 v1, 3, v1
	scratch_load_b64 v[44:45], v1, off offset:-8
	scratch_load_b64 v[46:47], off, off offset:152
	s_wait_loadcnt 0x1
	scratch_store_b64 off, v[44:45], off offset:152
	s_wait_loadcnt 0x0
	scratch_store_b64 v1, v[46:47], off offset:-8
.LBB20_142:
	global_load_b32 v0, v0, s[2:3] offset:72
	s_wait_loadcnt 0x0
	v_cmp_eq_u32_e32 vcc_lo, 19, v0
	s_cbranch_vccnz .LBB20_144
; %bb.143:
	s_wait_xcnt 0x0
	v_lshlrev_b32_e32 v0, 3, v0
	s_delay_alu instid0(VALU_DEP_1)
	v_mov_b32_e32 v46, v0
	scratch_load_b64 v[0:1], v46, off offset:-8
	scratch_load_b64 v[44:45], off, off offset:144
	s_wait_loadcnt 0x1
	scratch_store_b64 off, v[0:1], off offset:144
	s_wait_loadcnt 0x0
	scratch_store_b64 v46, v[44:45], off offset:-8
.LBB20_144:
	s_wait_xcnt 0x0
	v_mov_b32_e32 v0, 0
	global_load_b32 v1, v0, s[2:3] offset:68
	s_wait_loadcnt 0x0
	v_cmp_eq_u32_e32 vcc_lo, 18, v1
	s_cbranch_vccnz .LBB20_146
; %bb.145:
	v_lshlrev_b32_e32 v1, 3, v1
	scratch_load_b64 v[44:45], v1, off offset:-8
	scratch_load_b64 v[46:47], off, off offset:136
	s_wait_loadcnt 0x1
	scratch_store_b64 off, v[44:45], off offset:136
	s_wait_loadcnt 0x0
	scratch_store_b64 v1, v[46:47], off offset:-8
.LBB20_146:
	global_load_b32 v0, v0, s[2:3] offset:64
	s_wait_loadcnt 0x0
	v_cmp_eq_u32_e32 vcc_lo, 17, v0
	s_cbranch_vccnz .LBB20_148
; %bb.147:
	s_wait_xcnt 0x0
	v_lshlrev_b32_e32 v0, 3, v0
	s_delay_alu instid0(VALU_DEP_1)
	v_mov_b32_e32 v46, v0
	scratch_load_b64 v[0:1], v46, off offset:-8
	scratch_load_b64 v[44:45], off, off offset:128
	s_wait_loadcnt 0x1
	scratch_store_b64 off, v[0:1], off offset:128
	s_wait_loadcnt 0x0
	scratch_store_b64 v46, v[44:45], off offset:-8
.LBB20_148:
	s_wait_xcnt 0x0
	v_mov_b32_e32 v0, 0
	global_load_b32 v1, v0, s[2:3] offset:60
	s_wait_loadcnt 0x0
	v_cmp_eq_u32_e32 vcc_lo, 16, v1
	s_cbranch_vccnz .LBB20_150
; %bb.149:
	v_lshlrev_b32_e32 v1, 3, v1
	scratch_load_b64 v[44:45], v1, off offset:-8
	scratch_load_b64 v[46:47], off, off offset:120
	s_wait_loadcnt 0x1
	scratch_store_b64 off, v[44:45], off offset:120
	s_wait_loadcnt 0x0
	scratch_store_b64 v1, v[46:47], off offset:-8
.LBB20_150:
	;; [unrolled: 31-line block ×9, first 2 shown]
	global_load_b32 v44, v0, s[2:3]
	scratch_load_b64 v[0:1], off, off
	s_wait_loadcnt 0x1
	v_cmp_eq_u32_e32 vcc_lo, 1, v44
	s_cbranch_vccnz .LBB20_180
; %bb.179:
	v_lshlrev_b32_e32 v44, 3, v44
	s_delay_alu instid0(VALU_DEP_1)
	v_mov_b32_e32 v46, v44
	scratch_load_b64 v[44:45], v46, off offset:-8
	s_wait_loadcnt 0x0
	scratch_store_b64 off, v[44:45], off
	scratch_store_b64 v46, v[0:1], off offset:-8
	scratch_load_b64 v[0:1], off, off
.LBB20_180:
	v_lshl_add_u64 v[44:45], v[4:5], 3, s[4:5]
	v_lshl_add_u64 v[46:47], v[6:7], 3, s[4:5]
	;; [unrolled: 1-line block ×4, first 2 shown]
	s_clause 0x9
	scratch_load_b128 v[40:43], off, off offset:8
	scratch_load_b128 v[48:51], off, off offset:24
	;; [unrolled: 1-line block ×10, first 2 shown]
	v_lshl_add_u64 v[10:11], v[10:11], 3, s[4:5]
	v_lshl_add_u64 v[12:13], v[12:13], 3, s[4:5]
	;; [unrolled: 1-line block ×15, first 2 shown]
	s_wait_loadcnt 0xa
	global_store_b64 v[2:3], v[0:1], off
	s_wait_loadcnt 0x9
	s_clause 0x1
	global_store_b64 v[8:9], v[40:41], off
	global_store_b64 v[44:45], v[42:43], off
	s_wait_loadcnt 0x8
	s_clause 0x1
	global_store_b64 v[46:47], v[48:49], off
	;; [unrolled: 4-line block ×10, first 2 shown]
	global_store_b64 v[6:7], v[82:83], off
	s_sendmsg sendmsg(MSG_DEALLOC_VGPRS)
	s_endpgm
	.section	.rodata,"a",@progbits
	.p2align	6, 0x0
	.amdhsa_kernel _ZN9rocsolver6v33100L18getri_kernel_smallILi21E19rocblas_complex_numIfEPS3_EEvT1_iilPiilS6_bb
		.amdhsa_group_segment_fixed_size 344
		.amdhsa_private_segment_fixed_size 176
		.amdhsa_kernarg_size 60
		.amdhsa_user_sgpr_count 2
		.amdhsa_user_sgpr_dispatch_ptr 0
		.amdhsa_user_sgpr_queue_ptr 0
		.amdhsa_user_sgpr_kernarg_segment_ptr 1
		.amdhsa_user_sgpr_dispatch_id 0
		.amdhsa_user_sgpr_kernarg_preload_length 0
		.amdhsa_user_sgpr_kernarg_preload_offset 0
		.amdhsa_user_sgpr_private_segment_size 0
		.amdhsa_wavefront_size32 1
		.amdhsa_uses_dynamic_stack 0
		.amdhsa_enable_private_segment 1
		.amdhsa_system_sgpr_workgroup_id_x 1
		.amdhsa_system_sgpr_workgroup_id_y 0
		.amdhsa_system_sgpr_workgroup_id_z 0
		.amdhsa_system_sgpr_workgroup_info 0
		.amdhsa_system_vgpr_workitem_id 0
		.amdhsa_next_free_vgpr 144
		.amdhsa_next_free_sgpr 19
		.amdhsa_named_barrier_count 0
		.amdhsa_reserve_vcc 1
		.amdhsa_float_round_mode_32 0
		.amdhsa_float_round_mode_16_64 0
		.amdhsa_float_denorm_mode_32 3
		.amdhsa_float_denorm_mode_16_64 3
		.amdhsa_fp16_overflow 0
		.amdhsa_memory_ordered 1
		.amdhsa_forward_progress 1
		.amdhsa_inst_pref_size 185
		.amdhsa_round_robin_scheduling 0
		.amdhsa_exception_fp_ieee_invalid_op 0
		.amdhsa_exception_fp_denorm_src 0
		.amdhsa_exception_fp_ieee_div_zero 0
		.amdhsa_exception_fp_ieee_overflow 0
		.amdhsa_exception_fp_ieee_underflow 0
		.amdhsa_exception_fp_ieee_inexact 0
		.amdhsa_exception_int_div_zero 0
	.end_amdhsa_kernel
	.section	.text._ZN9rocsolver6v33100L18getri_kernel_smallILi21E19rocblas_complex_numIfEPS3_EEvT1_iilPiilS6_bb,"axG",@progbits,_ZN9rocsolver6v33100L18getri_kernel_smallILi21E19rocblas_complex_numIfEPS3_EEvT1_iilPiilS6_bb,comdat
.Lfunc_end20:
	.size	_ZN9rocsolver6v33100L18getri_kernel_smallILi21E19rocblas_complex_numIfEPS3_EEvT1_iilPiilS6_bb, .Lfunc_end20-_ZN9rocsolver6v33100L18getri_kernel_smallILi21E19rocblas_complex_numIfEPS3_EEvT1_iilPiilS6_bb
                                        ; -- End function
	.set _ZN9rocsolver6v33100L18getri_kernel_smallILi21E19rocblas_complex_numIfEPS3_EEvT1_iilPiilS6_bb.num_vgpr, 144
	.set _ZN9rocsolver6v33100L18getri_kernel_smallILi21E19rocblas_complex_numIfEPS3_EEvT1_iilPiilS6_bb.num_agpr, 0
	.set _ZN9rocsolver6v33100L18getri_kernel_smallILi21E19rocblas_complex_numIfEPS3_EEvT1_iilPiilS6_bb.numbered_sgpr, 19
	.set _ZN9rocsolver6v33100L18getri_kernel_smallILi21E19rocblas_complex_numIfEPS3_EEvT1_iilPiilS6_bb.num_named_barrier, 0
	.set _ZN9rocsolver6v33100L18getri_kernel_smallILi21E19rocblas_complex_numIfEPS3_EEvT1_iilPiilS6_bb.private_seg_size, 176
	.set _ZN9rocsolver6v33100L18getri_kernel_smallILi21E19rocblas_complex_numIfEPS3_EEvT1_iilPiilS6_bb.uses_vcc, 1
	.set _ZN9rocsolver6v33100L18getri_kernel_smallILi21E19rocblas_complex_numIfEPS3_EEvT1_iilPiilS6_bb.uses_flat_scratch, 1
	.set _ZN9rocsolver6v33100L18getri_kernel_smallILi21E19rocblas_complex_numIfEPS3_EEvT1_iilPiilS6_bb.has_dyn_sized_stack, 0
	.set _ZN9rocsolver6v33100L18getri_kernel_smallILi21E19rocblas_complex_numIfEPS3_EEvT1_iilPiilS6_bb.has_recursion, 0
	.set _ZN9rocsolver6v33100L18getri_kernel_smallILi21E19rocblas_complex_numIfEPS3_EEvT1_iilPiilS6_bb.has_indirect_call, 0
	.section	.AMDGPU.csdata,"",@progbits
; Kernel info:
; codeLenInByte = 23584
; TotalNumSgprs: 21
; NumVgprs: 144
; ScratchSize: 176
; MemoryBound: 0
; FloatMode: 240
; IeeeMode: 1
; LDSByteSize: 344 bytes/workgroup (compile time only)
; SGPRBlocks: 0
; VGPRBlocks: 8
; NumSGPRsForWavesPerEU: 21
; NumVGPRsForWavesPerEU: 144
; NamedBarCnt: 0
; Occupancy: 7
; WaveLimiterHint : 1
; COMPUTE_PGM_RSRC2:SCRATCH_EN: 1
; COMPUTE_PGM_RSRC2:USER_SGPR: 2
; COMPUTE_PGM_RSRC2:TRAP_HANDLER: 0
; COMPUTE_PGM_RSRC2:TGID_X_EN: 1
; COMPUTE_PGM_RSRC2:TGID_Y_EN: 0
; COMPUTE_PGM_RSRC2:TGID_Z_EN: 0
; COMPUTE_PGM_RSRC2:TIDIG_COMP_CNT: 0
	.section	.text._ZN9rocsolver6v33100L18getri_kernel_smallILi22E19rocblas_complex_numIfEPS3_EEvT1_iilPiilS6_bb,"axG",@progbits,_ZN9rocsolver6v33100L18getri_kernel_smallILi22E19rocblas_complex_numIfEPS3_EEvT1_iilPiilS6_bb,comdat
	.globl	_ZN9rocsolver6v33100L18getri_kernel_smallILi22E19rocblas_complex_numIfEPS3_EEvT1_iilPiilS6_bb ; -- Begin function _ZN9rocsolver6v33100L18getri_kernel_smallILi22E19rocblas_complex_numIfEPS3_EEvT1_iilPiilS6_bb
	.p2align	8
	.type	_ZN9rocsolver6v33100L18getri_kernel_smallILi22E19rocblas_complex_numIfEPS3_EEvT1_iilPiilS6_bb,@function
_ZN9rocsolver6v33100L18getri_kernel_smallILi22E19rocblas_complex_numIfEPS3_EEvT1_iilPiilS6_bb: ; @_ZN9rocsolver6v33100L18getri_kernel_smallILi22E19rocblas_complex_numIfEPS3_EEvT1_iilPiilS6_bb
; %bb.0:
	s_mov_b32 s2, exec_lo
	v_cmpx_gt_u32_e32 22, v0
	s_cbranch_execz .LBB21_102
; %bb.1:
	s_clause 0x2
	s_load_b32 s2, s[0:1], 0x38
	s_load_b128 s[12:15], s[0:1], 0x10
	s_load_b128 s[4:7], s[0:1], 0x28
	s_getreg_b32 s9, hwreg(HW_REG_IB_STS2, 6, 4)
	s_wait_kmcnt 0x0
	s_bitcmp1_b32 s2, 8
	s_cselect_b32 s18, -1, 0
	s_bfe_u32 s3, ttmp6, 0x4000c
	s_and_b32 s8, ttmp6, 15
	s_add_co_i32 s3, s3, 1
	s_delay_alu instid0(SALU_CYCLE_1) | instskip(NEXT) | instid1(SALU_CYCLE_1)
	s_mul_i32 s3, ttmp9, s3
	s_add_co_i32 s8, s8, s3
	s_cmp_eq_u32 s9, 0
	s_cselect_b32 s16, ttmp9, s8
	s_bfe_u32 s2, s2, 0x10008
	s_ashr_i32 s17, s16, 31
	s_cmp_eq_u32 s2, 0
                                        ; implicit-def: $sgpr2_sgpr3
	s_cbranch_scc1 .LBB21_3
; %bb.2:
	s_load_b32 s2, s[0:1], 0x20
	s_mul_u64 s[4:5], s[4:5], s[16:17]
	s_delay_alu instid0(SALU_CYCLE_1) | instskip(NEXT) | instid1(SALU_CYCLE_1)
	s_lshl_b64 s[4:5], s[4:5], 2
	s_add_nc_u64 s[4:5], s[14:15], s[4:5]
	s_wait_kmcnt 0x0
	s_ashr_i32 s3, s2, 31
	s_delay_alu instid0(SALU_CYCLE_1) | instskip(NEXT) | instid1(SALU_CYCLE_1)
	s_lshl_b64 s[2:3], s[2:3], 2
	s_add_nc_u64 s[2:3], s[4:5], s[2:3]
.LBB21_3:
	s_clause 0x1
	s_load_b128 s[8:11], s[0:1], 0x0
	s_load_b32 s14, s[0:1], 0x38
	s_wait_xcnt 0x0
	s_mul_u64 s[0:1], s[12:13], s[16:17]
	v_lshlrev_b32_e32 v46, 3, v0
	s_lshl_b64 s[0:1], s[0:1], 3
	v_mov_b32_e32 v47, 0
	s_wait_kmcnt 0x0
	v_add3_u32 v6, s11, s11, v0
	s_ashr_i32 s5, s10, 31
	s_mov_b32 s4, s10
	s_add_nc_u64 s[0:1], s[8:9], s[0:1]
	s_lshl_b64 s[4:5], s[4:5], 3
	v_add_nc_u32_e32 v8, s11, v6
	s_add_nc_u64 s[4:5], s[0:1], s[4:5]
	s_ashr_i32 s1, s11, 31
	s_mov_b32 s0, s11
	s_bitcmp0_b32 s14, 0
	v_add_nc_u32_e32 v10, s11, v8
	v_add_nc_u64_e32 v[2:3], s[4:5], v[46:47]
	s_delay_alu instid0(VALU_DEP_2) | instskip(NEXT) | instid1(VALU_DEP_2)
	v_add_nc_u32_e32 v12, s11, v10
	v_lshl_add_u64 v[4:5], s[0:1], 3, v[2:3]
	s_mov_b32 s1, -1
	s_delay_alu instid0(VALU_DEP_2) | instskip(SKIP_4) | instid1(VALU_DEP_1)
	v_add_nc_u32_e32 v14, s11, v12
	s_clause 0x1
	global_load_b64 v[48:49], v0, s[4:5] scale_offset
	global_load_b64 v[50:51], v[4:5], off
	v_add_nc_u32_e32 v16, s11, v14
	v_add_nc_u32_e32 v18, s11, v16
	s_clause 0x3
	global_load_b64 v[52:53], v6, s[4:5] scale_offset
	global_load_b64 v[54:55], v8, s[4:5] scale_offset
	;; [unrolled: 1-line block ×4, first 2 shown]
	v_add_nc_u32_e32 v20, s11, v18
	s_clause 0x3
	global_load_b64 v[60:61], v14, s[4:5] scale_offset
	global_load_b64 v[62:63], v16, s[4:5] scale_offset
	;; [unrolled: 1-line block ×4, first 2 shown]
	v_add_nc_u32_e32 v22, s11, v20
	s_delay_alu instid0(VALU_DEP_1) | instskip(NEXT) | instid1(VALU_DEP_1)
	v_add_nc_u32_e32 v24, s11, v22
	v_add_nc_u32_e32 v26, s11, v24
	s_delay_alu instid0(VALU_DEP_1) | instskip(NEXT) | instid1(VALU_DEP_1)
	v_add_nc_u32_e32 v28, s11, v26
	;; [unrolled: 3-line block ×3, first 2 shown]
	v_add_nc_u32_e32 v34, s11, v32
	s_clause 0x3
	global_load_b64 v[68:69], v22, s[4:5] scale_offset
	global_load_b64 v[70:71], v24, s[4:5] scale_offset
	;; [unrolled: 1-line block ×4, first 2 shown]
	v_add_nc_u32_e32 v36, s11, v34
	s_delay_alu instid0(VALU_DEP_1) | instskip(NEXT) | instid1(VALU_DEP_1)
	v_add_nc_u32_e32 v38, s11, v36
	v_add_nc_u32_e32 v40, s11, v38
	s_delay_alu instid0(VALU_DEP_1)
	v_add_nc_u32_e32 v42, s11, v40
	s_clause 0x3
	global_load_b64 v[76:77], v30, s[4:5] scale_offset
	global_load_b64 v[78:79], v32, s[4:5] scale_offset
	;; [unrolled: 1-line block ×4, first 2 shown]
	v_add_nc_u32_e32 v44, s11, v42
	s_clause 0x3
	global_load_b64 v[84:85], v38, s[4:5] scale_offset
	global_load_b64 v[86:87], v40, s[4:5] scale_offset
	;; [unrolled: 1-line block ×4, first 2 shown]
	s_wait_loadcnt 0x14
	scratch_store_b128 off, v[48:51], off
	s_wait_loadcnt 0x12
	scratch_store_b128 off, v[52:55], off offset:16
	s_wait_loadcnt 0x10
	scratch_store_b128 off, v[56:59], off offset:32
	;; [unrolled: 2-line block ×10, first 2 shown]
	s_cbranch_scc1 .LBB21_100
; %bb.4:
	v_cmp_eq_u32_e64 s0, 0, v0
	s_wait_xcnt 0x0
	s_and_saveexec_b32 s1, s0
; %bb.5:
	v_mov_b32_e32 v1, 0
	ds_store_b32 v1, v1 offset:352
; %bb.6:
	s_or_b32 exec_lo, exec_lo, s1
	s_wait_storecnt_dscnt 0x0
	s_barrier_signal -1
	s_barrier_wait -1
	scratch_load_b64 v[48:49], v0, off scale_offset
	s_wait_loadcnt 0x0
	v_cmp_eq_f32_e32 vcc_lo, 0, v48
	v_cmp_eq_f32_e64 s1, 0, v49
	s_and_b32 s1, vcc_lo, s1
	s_delay_alu instid0(SALU_CYCLE_1)
	s_and_saveexec_b32 s8, s1
	s_cbranch_execz .LBB21_10
; %bb.7:
	v_mov_b32_e32 v1, 0
	s_mov_b32 s9, 0
	ds_load_b32 v7, v1 offset:352
	s_wait_dscnt 0x0
	v_readfirstlane_b32 s1, v7
	v_add_nc_u32_e32 v7, 1, v0
	s_cmp_eq_u32 s1, 0
	s_delay_alu instid0(VALU_DEP_1) | instskip(SKIP_1) | instid1(SALU_CYCLE_1)
	v_cmp_gt_i32_e32 vcc_lo, s1, v7
	s_cselect_b32 s10, -1, 0
	s_or_b32 s10, s10, vcc_lo
	s_delay_alu instid0(SALU_CYCLE_1)
	s_and_b32 exec_lo, exec_lo, s10
	s_cbranch_execz .LBB21_10
; %bb.8:
	v_mov_b32_e32 v9, s1
.LBB21_9:                               ; =>This Inner Loop Header: Depth=1
	ds_cmpstore_rtn_b32 v9, v1, v7, v9 offset:352
	s_wait_dscnt 0x0
	v_cmp_ne_u32_e32 vcc_lo, 0, v9
	v_cmp_le_i32_e64 s1, v9, v7
	s_and_b32 s1, vcc_lo, s1
	s_delay_alu instid0(SALU_CYCLE_1) | instskip(NEXT) | instid1(SALU_CYCLE_1)
	s_and_b32 s1, exec_lo, s1
	s_or_b32 s9, s1, s9
	s_delay_alu instid0(SALU_CYCLE_1)
	s_and_not1_b32 exec_lo, exec_lo, s9
	s_cbranch_execnz .LBB21_9
.LBB21_10:
	s_or_b32 exec_lo, exec_lo, s8
	v_mov_b32_e32 v1, 0
	s_barrier_signal -1
	s_barrier_wait -1
	ds_load_b32 v7, v1 offset:352
	s_and_saveexec_b32 s1, s0
	s_cbranch_execz .LBB21_12
; %bb.11:
	s_lshl_b64 s[8:9], s[16:17], 2
	s_delay_alu instid0(SALU_CYCLE_1)
	s_add_nc_u64 s[8:9], s[6:7], s[8:9]
	s_wait_dscnt 0x0
	global_store_b32 v1, v7, s[8:9]
.LBB21_12:
	s_wait_xcnt 0x0
	s_or_b32 exec_lo, exec_lo, s1
	s_wait_dscnt 0x0
	v_cmp_ne_u32_e32 vcc_lo, 0, v7
	s_mov_b32 s1, 0
	s_cbranch_vccnz .LBB21_100
; %bb.13:
	v_lshl_add_u32 v7, v0, 3, 0
                                        ; implicit-def: $vgpr51
                                        ; implicit-def: $vgpr52
	scratch_load_b64 v[48:49], v7, off
	s_wait_loadcnt 0x0
	v_cmp_ngt_f32_e64 s1, |v48|, |v49|
	s_wait_xcnt 0x0
	s_and_saveexec_b32 s8, s1
	s_delay_alu instid0(SALU_CYCLE_1)
	s_xor_b32 s1, exec_lo, s8
	s_cbranch_execz .LBB21_15
; %bb.14:
	v_div_scale_f32 v1, null, v49, v49, v48
	v_div_scale_f32 v13, vcc_lo, v48, v49, v48
	s_delay_alu instid0(VALU_DEP_2) | instskip(SKIP_1) | instid1(TRANS32_DEP_1)
	v_rcp_f32_e32 v9, v1
	v_nop
	v_fma_f32 v11, -v1, v9, 1.0
	s_delay_alu instid0(VALU_DEP_1) | instskip(NEXT) | instid1(VALU_DEP_1)
	v_fmac_f32_e32 v9, v11, v9
	v_mul_f32_e32 v11, v13, v9
	s_delay_alu instid0(VALU_DEP_1) | instskip(NEXT) | instid1(VALU_DEP_1)
	v_fma_f32 v15, -v1, v11, v13
	v_fmac_f32_e32 v11, v15, v9
	s_delay_alu instid0(VALU_DEP_1) | instskip(NEXT) | instid1(VALU_DEP_1)
	v_fma_f32 v1, -v1, v11, v13
	v_div_fmas_f32 v1, v1, v9, v11
	s_delay_alu instid0(VALU_DEP_1) | instskip(NEXT) | instid1(VALU_DEP_1)
	v_div_fixup_f32 v1, v1, v49, v48
	v_fmac_f32_e32 v49, v48, v1
	s_delay_alu instid0(VALU_DEP_1) | instskip(NEXT) | instid1(VALU_DEP_1)
	v_div_scale_f32 v9, null, v49, v49, -1.0
	v_rcp_f32_e32 v11, v9
	v_nop
	s_delay_alu instid0(TRANS32_DEP_1) | instskip(NEXT) | instid1(VALU_DEP_1)
	v_fma_f32 v13, -v9, v11, 1.0
	v_fmac_f32_e32 v11, v13, v11
	v_div_scale_f32 v13, vcc_lo, -1.0, v49, -1.0
	s_delay_alu instid0(VALU_DEP_1) | instskip(NEXT) | instid1(VALU_DEP_1)
	v_mul_f32_e32 v15, v13, v11
	v_fma_f32 v17, -v9, v15, v13
	s_delay_alu instid0(VALU_DEP_1) | instskip(NEXT) | instid1(VALU_DEP_1)
	v_fmac_f32_e32 v15, v17, v11
	v_fma_f32 v9, -v9, v15, v13
	s_delay_alu instid0(VALU_DEP_1) | instskip(NEXT) | instid1(VALU_DEP_1)
	v_div_fmas_f32 v9, v9, v11, v15
	v_div_fixup_f32 v51, v9, v49, -1.0
                                        ; implicit-def: $vgpr48_vgpr49
	s_delay_alu instid0(VALU_DEP_1) | instskip(NEXT) | instid1(VALU_DEP_1)
	v_mul_f32_e32 v52, v1, v51
	v_xor_b32_e32 v50, 0x80000000, v52
.LBB21_15:
	s_and_not1_saveexec_b32 s1, s1
	s_cbranch_execz .LBB21_17
; %bb.16:
	v_div_scale_f32 v1, null, v48, v48, v49
	v_div_scale_f32 v13, vcc_lo, v49, v48, v49
	s_delay_alu instid0(VALU_DEP_2) | instskip(SKIP_1) | instid1(TRANS32_DEP_1)
	v_rcp_f32_e32 v9, v1
	v_nop
	v_fma_f32 v11, -v1, v9, 1.0
	s_delay_alu instid0(VALU_DEP_1) | instskip(NEXT) | instid1(VALU_DEP_1)
	v_fmac_f32_e32 v9, v11, v9
	v_mul_f32_e32 v11, v13, v9
	s_delay_alu instid0(VALU_DEP_1) | instskip(NEXT) | instid1(VALU_DEP_1)
	v_fma_f32 v15, -v1, v11, v13
	v_fmac_f32_e32 v11, v15, v9
	s_delay_alu instid0(VALU_DEP_1) | instskip(NEXT) | instid1(VALU_DEP_1)
	v_fma_f32 v1, -v1, v11, v13
	v_div_fmas_f32 v1, v1, v9, v11
	s_delay_alu instid0(VALU_DEP_1) | instskip(NEXT) | instid1(VALU_DEP_1)
	v_div_fixup_f32 v1, v1, v48, v49
	v_fmac_f32_e32 v48, v49, v1
	s_delay_alu instid0(VALU_DEP_1) | instskip(SKIP_1) | instid1(VALU_DEP_2)
	v_div_scale_f32 v9, null, v48, v48, 1.0
	v_div_scale_f32 v15, vcc_lo, 1.0, v48, 1.0
	v_rcp_f32_e32 v11, v9
	v_nop
	s_delay_alu instid0(TRANS32_DEP_1) | instskip(NEXT) | instid1(VALU_DEP_1)
	v_fma_f32 v13, -v9, v11, 1.0
	v_fmac_f32_e32 v11, v13, v11
	s_delay_alu instid0(VALU_DEP_1) | instskip(NEXT) | instid1(VALU_DEP_1)
	v_mul_f32_e32 v13, v15, v11
	v_fma_f32 v17, -v9, v13, v15
	s_delay_alu instid0(VALU_DEP_1) | instskip(NEXT) | instid1(VALU_DEP_1)
	v_fmac_f32_e32 v13, v17, v11
	v_fma_f32 v9, -v9, v13, v15
	s_delay_alu instid0(VALU_DEP_1) | instskip(NEXT) | instid1(VALU_DEP_1)
	v_div_fmas_f32 v9, v9, v11, v13
	v_div_fixup_f32 v50, v9, v48, 1.0
	s_delay_alu instid0(VALU_DEP_1)
	v_xor_b32_e32 v52, 0x80000000, v50
	v_mul_f32_e64 v51, v1, -v50
.LBB21_17:
	s_or_b32 exec_lo, exec_lo, s1
	scratch_store_b64 v7, v[50:51], off
	scratch_load_b64 v[48:49], off, off offset:8
	v_xor_b32_e32 v53, 0x80000000, v51
	v_add_nc_u32_e32 v1, 0xb0, v46
	s_wait_loadcnt 0x0
	ds_store_2addr_b64 v46, v[52:53], v[48:49] offset1:22
	s_wait_storecnt_dscnt 0x0
	s_barrier_signal -1
	s_barrier_wait -1
	s_wait_xcnt 0x0
	s_and_saveexec_b32 s1, s0
	s_cbranch_execz .LBB21_19
; %bb.18:
	scratch_load_b64 v[48:49], v7, off
	ds_load_b64 v[50:51], v1
	s_wait_loadcnt_dscnt 0x0
	v_pk_mul_f32 v[54:55], v[50:51], v[48:49] op_sel:[1,1] op_sel_hi:[0,1]
	s_delay_alu instid0(VALU_DEP_1) | instskip(SKIP_2) | instid1(VALU_DEP_3)
	v_pk_fma_f32 v[56:57], v[50:51], v[48:49], v[54:55] op_sel_hi:[1,0,1]
	v_mov_b32_e32 v9, 0
	v_pk_fma_f32 v[48:49], v[50:51], v[48:49], v[54:55] neg_lo:[0,0,1] neg_hi:[0,0,1]
	v_mov_b32_e32 v49, v57
	ds_load_b64 v[52:53], v9 offset:8
	v_pk_add_f32 v[48:49], v[48:49], 0 op_sel_hi:[1,0]
	s_wait_dscnt 0x0
	s_delay_alu instid0(VALU_DEP_1) | instskip(NEXT) | instid1(VALU_DEP_1)
	v_pk_mul_f32 v[50:51], v[48:49], v[52:53] op_sel:[1,1] op_sel_hi:[0,1]
	v_pk_fma_f32 v[54:55], v[48:49], v[52:53], v[50:51] op_sel_hi:[1,0,1]
	v_pk_fma_f32 v[48:49], v[48:49], v[52:53], v[50:51] neg_lo:[0,0,1] neg_hi:[0,0,1]
	s_delay_alu instid0(VALU_DEP_2)
	v_mov_b32_e32 v49, v55
	scratch_store_b64 off, v[48:49], off offset:8
.LBB21_19:
	s_wait_xcnt 0x0
	s_or_b32 exec_lo, exec_lo, s1
	s_wait_storecnt 0x0
	s_barrier_signal -1
	s_barrier_wait -1
	scratch_load_b64 v[48:49], off, off offset:16
	s_mov_b32 s1, exec_lo
	s_wait_loadcnt 0x0
	ds_store_b64 v1, v[48:49]
	s_wait_dscnt 0x0
	s_barrier_signal -1
	s_barrier_wait -1
	v_cmpx_gt_u32_e32 2, v0
	s_cbranch_execz .LBB21_23
; %bb.20:
	scratch_load_b64 v[48:49], v7, off
	ds_load_b64 v[50:51], v1
	s_wait_loadcnt_dscnt 0x0
	v_pk_mul_f32 v[52:53], v[50:51], v[48:49] op_sel:[1,1] op_sel_hi:[0,1]
	s_delay_alu instid0(VALU_DEP_1) | instskip(SKIP_1) | instid1(VALU_DEP_2)
	v_pk_fma_f32 v[54:55], v[50:51], v[48:49], v[52:53] op_sel_hi:[1,0,1]
	v_pk_fma_f32 v[48:49], v[50:51], v[48:49], v[52:53] neg_lo:[0,0,1] neg_hi:[0,0,1]
	v_mov_b32_e32 v49, v55
	s_delay_alu instid0(VALU_DEP_1)
	v_pk_add_f32 v[48:49], v[48:49], 0 op_sel_hi:[1,0]
	s_and_saveexec_b32 s8, s0
	s_cbranch_execz .LBB21_22
; %bb.21:
	scratch_load_b64 v[50:51], off, off offset:8
	v_mov_b32_e32 v7, 0
	ds_load_b64 v[52:53], v7 offset:184
	s_wait_loadcnt_dscnt 0x0
	v_pk_mul_f32 v[54:55], v[52:53], v[50:51] op_sel:[1,1] op_sel_hi:[0,1]
	s_delay_alu instid0(VALU_DEP_1) | instskip(SKIP_1) | instid1(VALU_DEP_2)
	v_pk_fma_f32 v[56:57], v[52:53], v[50:51], v[54:55] op_sel_hi:[1,0,1]
	v_pk_fma_f32 v[50:51], v[52:53], v[50:51], v[54:55] neg_lo:[0,0,1] neg_hi:[0,0,1]
	v_mov_b32_e32 v51, v57
	s_delay_alu instid0(VALU_DEP_1)
	v_pk_add_f32 v[48:49], v[48:49], v[50:51]
.LBB21_22:
	s_or_b32 exec_lo, exec_lo, s8
	v_mov_b32_e32 v7, 0
	ds_load_b64 v[50:51], v7 offset:16
	s_wait_dscnt 0x0
	v_pk_mul_f32 v[52:53], v[48:49], v[50:51] op_sel:[1,1] op_sel_hi:[0,1]
	s_delay_alu instid0(VALU_DEP_1) | instskip(SKIP_1) | instid1(VALU_DEP_2)
	v_pk_fma_f32 v[54:55], v[48:49], v[50:51], v[52:53] op_sel_hi:[1,0,1]
	v_pk_fma_f32 v[48:49], v[48:49], v[50:51], v[52:53] neg_lo:[0,0,1] neg_hi:[0,0,1]
	v_mov_b32_e32 v49, v55
	scratch_store_b64 off, v[48:49], off offset:16
.LBB21_23:
	s_wait_xcnt 0x0
	s_or_b32 exec_lo, exec_lo, s1
	s_wait_storecnt 0x0
	s_barrier_signal -1
	s_barrier_wait -1
	scratch_load_b64 v[48:49], off, off offset:24
	v_add_nc_u32_e32 v7, -1, v0
	s_mov_b32 s0, exec_lo
	s_wait_loadcnt 0x0
	ds_store_b64 v1, v[48:49]
	s_wait_dscnt 0x0
	s_barrier_signal -1
	s_barrier_wait -1
	v_cmpx_gt_u32_e32 3, v0
	s_cbranch_execz .LBB21_27
; %bb.24:
	v_dual_mov_b32 v48, 0 :: v_dual_add_nc_u32 v9, -1, v0
	v_add_nc_u32_e32 v11, 0xb0, v46
	v_mov_b32_e32 v13, v46
	s_mov_b32 s1, 0
	s_delay_alu instid0(VALU_DEP_3)
	v_mov_b32_e32 v49, v48
.LBB21_25:                              ; =>This Inner Loop Header: Depth=1
	scratch_load_b64 v[50:51], v13, off
	ds_load_b64 v[52:53], v11
	s_wait_xcnt 0x0
	v_dual_add_nc_u32 v11, 8, v11 :: v_dual_add_nc_u32 v13, 8, v13
	s_wait_loadcnt_dscnt 0x0
	v_pk_mul_f32 v[54:55], v[52:53], v[50:51] op_sel:[1,1] op_sel_hi:[0,1]
	s_delay_alu instid0(VALU_DEP_1) | instskip(SKIP_2) | instid1(VALU_DEP_3)
	v_pk_fma_f32 v[56:57], v[52:53], v[50:51], v[54:55] op_sel_hi:[1,0,1]
	v_add_nc_u32_e32 v9, 1, v9
	v_pk_fma_f32 v[50:51], v[52:53], v[50:51], v[54:55] neg_lo:[0,0,1] neg_hi:[0,0,1]
	v_mov_b32_e32 v51, v57
	s_delay_alu instid0(VALU_DEP_3) | instskip(NEXT) | instid1(VALU_DEP_2)
	v_cmp_lt_u32_e32 vcc_lo, 1, v9
	v_pk_add_f32 v[48:49], v[48:49], v[50:51]
	s_or_b32 s1, vcc_lo, s1
	s_delay_alu instid0(SALU_CYCLE_1)
	s_and_not1_b32 exec_lo, exec_lo, s1
	s_cbranch_execnz .LBB21_25
; %bb.26:
	s_or_b32 exec_lo, exec_lo, s1
	v_mov_b32_e32 v9, 0
	ds_load_b64 v[50:51], v9 offset:24
	s_wait_dscnt 0x0
	v_pk_mul_f32 v[52:53], v[48:49], v[50:51] op_sel:[1,1] op_sel_hi:[0,1]
	s_delay_alu instid0(VALU_DEP_1) | instskip(SKIP_1) | instid1(VALU_DEP_2)
	v_pk_fma_f32 v[54:55], v[48:49], v[50:51], v[52:53] op_sel_hi:[1,0,1]
	v_pk_fma_f32 v[48:49], v[48:49], v[50:51], v[52:53] neg_lo:[0,0,1] neg_hi:[0,0,1]
	v_mov_b32_e32 v49, v55
	scratch_store_b64 off, v[48:49], off offset:24
.LBB21_27:
	s_wait_xcnt 0x0
	s_or_b32 exec_lo, exec_lo, s0
	s_wait_storecnt 0x0
	s_barrier_signal -1
	s_barrier_wait -1
	scratch_load_b64 v[48:49], off, off offset:32
	s_mov_b32 s0, exec_lo
	s_wait_loadcnt 0x0
	ds_store_b64 v1, v[48:49]
	s_wait_dscnt 0x0
	s_barrier_signal -1
	s_barrier_wait -1
	v_cmpx_gt_u32_e32 4, v0
	s_cbranch_execz .LBB21_31
; %bb.28:
	v_dual_mov_b32 v48, 0 :: v_dual_add_nc_u32 v9, -1, v0
	v_add_nc_u32_e32 v11, 0xb0, v46
	v_mov_b32_e32 v13, v46
	s_mov_b32 s1, 0
	s_delay_alu instid0(VALU_DEP_3)
	v_mov_b32_e32 v49, v48
.LBB21_29:                              ; =>This Inner Loop Header: Depth=1
	scratch_load_b64 v[50:51], v13, off
	ds_load_b64 v[52:53], v11
	s_wait_xcnt 0x0
	v_dual_add_nc_u32 v11, 8, v11 :: v_dual_add_nc_u32 v13, 8, v13
	s_wait_loadcnt_dscnt 0x0
	v_pk_mul_f32 v[54:55], v[52:53], v[50:51] op_sel:[1,1] op_sel_hi:[0,1]
	s_delay_alu instid0(VALU_DEP_1) | instskip(SKIP_2) | instid1(VALU_DEP_3)
	v_pk_fma_f32 v[56:57], v[52:53], v[50:51], v[54:55] op_sel_hi:[1,0,1]
	v_add_nc_u32_e32 v9, 1, v9
	v_pk_fma_f32 v[50:51], v[52:53], v[50:51], v[54:55] neg_lo:[0,0,1] neg_hi:[0,0,1]
	v_mov_b32_e32 v51, v57
	s_delay_alu instid0(VALU_DEP_3) | instskip(NEXT) | instid1(VALU_DEP_2)
	v_cmp_lt_u32_e32 vcc_lo, 2, v9
	v_pk_add_f32 v[48:49], v[48:49], v[50:51]
	s_or_b32 s1, vcc_lo, s1
	s_delay_alu instid0(SALU_CYCLE_1)
	s_and_not1_b32 exec_lo, exec_lo, s1
	s_cbranch_execnz .LBB21_29
; %bb.30:
	s_or_b32 exec_lo, exec_lo, s1
	v_mov_b32_e32 v9, 0
	ds_load_b64 v[50:51], v9 offset:32
	s_wait_dscnt 0x0
	v_pk_mul_f32 v[52:53], v[48:49], v[50:51] op_sel:[1,1] op_sel_hi:[0,1]
	s_delay_alu instid0(VALU_DEP_1) | instskip(SKIP_1) | instid1(VALU_DEP_2)
	v_pk_fma_f32 v[54:55], v[48:49], v[50:51], v[52:53] op_sel_hi:[1,0,1]
	v_pk_fma_f32 v[48:49], v[48:49], v[50:51], v[52:53] neg_lo:[0,0,1] neg_hi:[0,0,1]
	v_mov_b32_e32 v49, v55
	scratch_store_b64 off, v[48:49], off offset:32
.LBB21_31:
	s_wait_xcnt 0x0
	s_or_b32 exec_lo, exec_lo, s0
	s_wait_storecnt 0x0
	s_barrier_signal -1
	s_barrier_wait -1
	scratch_load_b64 v[48:49], off, off offset:40
	s_mov_b32 s0, exec_lo
	s_wait_loadcnt 0x0
	ds_store_b64 v1, v[48:49]
	s_wait_dscnt 0x0
	s_barrier_signal -1
	s_barrier_wait -1
	v_cmpx_gt_u32_e32 5, v0
	s_cbranch_execz .LBB21_35
; %bb.32:
	v_dual_mov_b32 v48, 0 :: v_dual_add_nc_u32 v9, -1, v0
	v_add_nc_u32_e32 v11, 0xb0, v46
	v_mov_b32_e32 v13, v46
	s_mov_b32 s1, 0
	s_delay_alu instid0(VALU_DEP_3)
	v_mov_b32_e32 v49, v48
.LBB21_33:                              ; =>This Inner Loop Header: Depth=1
	scratch_load_b64 v[50:51], v13, off
	ds_load_b64 v[52:53], v11
	s_wait_xcnt 0x0
	v_dual_add_nc_u32 v11, 8, v11 :: v_dual_add_nc_u32 v13, 8, v13
	s_wait_loadcnt_dscnt 0x0
	v_pk_mul_f32 v[54:55], v[52:53], v[50:51] op_sel:[1,1] op_sel_hi:[0,1]
	s_delay_alu instid0(VALU_DEP_1) | instskip(SKIP_2) | instid1(VALU_DEP_3)
	v_pk_fma_f32 v[56:57], v[52:53], v[50:51], v[54:55] op_sel_hi:[1,0,1]
	v_add_nc_u32_e32 v9, 1, v9
	v_pk_fma_f32 v[50:51], v[52:53], v[50:51], v[54:55] neg_lo:[0,0,1] neg_hi:[0,0,1]
	v_mov_b32_e32 v51, v57
	s_delay_alu instid0(VALU_DEP_3) | instskip(NEXT) | instid1(VALU_DEP_2)
	v_cmp_lt_u32_e32 vcc_lo, 3, v9
	v_pk_add_f32 v[48:49], v[48:49], v[50:51]
	s_or_b32 s1, vcc_lo, s1
	s_delay_alu instid0(SALU_CYCLE_1)
	s_and_not1_b32 exec_lo, exec_lo, s1
	s_cbranch_execnz .LBB21_33
; %bb.34:
	s_or_b32 exec_lo, exec_lo, s1
	v_mov_b32_e32 v9, 0
	ds_load_b64 v[50:51], v9 offset:40
	s_wait_dscnt 0x0
	v_pk_mul_f32 v[52:53], v[48:49], v[50:51] op_sel:[1,1] op_sel_hi:[0,1]
	s_delay_alu instid0(VALU_DEP_1) | instskip(SKIP_1) | instid1(VALU_DEP_2)
	v_pk_fma_f32 v[54:55], v[48:49], v[50:51], v[52:53] op_sel_hi:[1,0,1]
	v_pk_fma_f32 v[48:49], v[48:49], v[50:51], v[52:53] neg_lo:[0,0,1] neg_hi:[0,0,1]
	v_mov_b32_e32 v49, v55
	scratch_store_b64 off, v[48:49], off offset:40
.LBB21_35:
	s_wait_xcnt 0x0
	s_or_b32 exec_lo, exec_lo, s0
	s_wait_storecnt 0x0
	s_barrier_signal -1
	s_barrier_wait -1
	scratch_load_b64 v[48:49], off, off offset:48
	s_mov_b32 s0, exec_lo
	s_wait_loadcnt 0x0
	ds_store_b64 v1, v[48:49]
	s_wait_dscnt 0x0
	s_barrier_signal -1
	s_barrier_wait -1
	v_cmpx_gt_u32_e32 6, v0
	s_cbranch_execz .LBB21_39
; %bb.36:
	v_dual_mov_b32 v48, 0 :: v_dual_add_nc_u32 v9, -1, v0
	v_add_nc_u32_e32 v11, 0xb0, v46
	v_mov_b32_e32 v13, v46
	s_mov_b32 s1, 0
	s_delay_alu instid0(VALU_DEP_3)
	v_mov_b32_e32 v49, v48
.LBB21_37:                              ; =>This Inner Loop Header: Depth=1
	scratch_load_b64 v[50:51], v13, off
	ds_load_b64 v[52:53], v11
	s_wait_xcnt 0x0
	v_dual_add_nc_u32 v11, 8, v11 :: v_dual_add_nc_u32 v13, 8, v13
	s_wait_loadcnt_dscnt 0x0
	v_pk_mul_f32 v[54:55], v[52:53], v[50:51] op_sel:[1,1] op_sel_hi:[0,1]
	s_delay_alu instid0(VALU_DEP_1) | instskip(SKIP_2) | instid1(VALU_DEP_3)
	v_pk_fma_f32 v[56:57], v[52:53], v[50:51], v[54:55] op_sel_hi:[1,0,1]
	v_add_nc_u32_e32 v9, 1, v9
	v_pk_fma_f32 v[50:51], v[52:53], v[50:51], v[54:55] neg_lo:[0,0,1] neg_hi:[0,0,1]
	v_mov_b32_e32 v51, v57
	s_delay_alu instid0(VALU_DEP_3) | instskip(NEXT) | instid1(VALU_DEP_2)
	v_cmp_lt_u32_e32 vcc_lo, 4, v9
	v_pk_add_f32 v[48:49], v[48:49], v[50:51]
	s_or_b32 s1, vcc_lo, s1
	s_delay_alu instid0(SALU_CYCLE_1)
	s_and_not1_b32 exec_lo, exec_lo, s1
	s_cbranch_execnz .LBB21_37
; %bb.38:
	s_or_b32 exec_lo, exec_lo, s1
	v_mov_b32_e32 v9, 0
	ds_load_b64 v[50:51], v9 offset:48
	s_wait_dscnt 0x0
	v_pk_mul_f32 v[52:53], v[48:49], v[50:51] op_sel:[1,1] op_sel_hi:[0,1]
	s_delay_alu instid0(VALU_DEP_1) | instskip(SKIP_1) | instid1(VALU_DEP_2)
	v_pk_fma_f32 v[54:55], v[48:49], v[50:51], v[52:53] op_sel_hi:[1,0,1]
	v_pk_fma_f32 v[48:49], v[48:49], v[50:51], v[52:53] neg_lo:[0,0,1] neg_hi:[0,0,1]
	v_mov_b32_e32 v49, v55
	scratch_store_b64 off, v[48:49], off offset:48
.LBB21_39:
	s_wait_xcnt 0x0
	s_or_b32 exec_lo, exec_lo, s0
	s_wait_storecnt 0x0
	s_barrier_signal -1
	s_barrier_wait -1
	scratch_load_b64 v[48:49], off, off offset:56
	s_mov_b32 s0, exec_lo
	s_wait_loadcnt 0x0
	ds_store_b64 v1, v[48:49]
	s_wait_dscnt 0x0
	s_barrier_signal -1
	s_barrier_wait -1
	v_cmpx_gt_u32_e32 7, v0
	s_cbranch_execz .LBB21_43
; %bb.40:
	v_dual_mov_b32 v48, 0 :: v_dual_add_nc_u32 v9, -1, v0
	v_add_nc_u32_e32 v11, 0xb0, v46
	v_mov_b32_e32 v13, v46
	s_mov_b32 s1, 0
	s_delay_alu instid0(VALU_DEP_3)
	v_mov_b32_e32 v49, v48
.LBB21_41:                              ; =>This Inner Loop Header: Depth=1
	scratch_load_b64 v[50:51], v13, off
	ds_load_b64 v[52:53], v11
	s_wait_xcnt 0x0
	v_dual_add_nc_u32 v11, 8, v11 :: v_dual_add_nc_u32 v13, 8, v13
	s_wait_loadcnt_dscnt 0x0
	v_pk_mul_f32 v[54:55], v[52:53], v[50:51] op_sel:[1,1] op_sel_hi:[0,1]
	s_delay_alu instid0(VALU_DEP_1) | instskip(SKIP_2) | instid1(VALU_DEP_3)
	v_pk_fma_f32 v[56:57], v[52:53], v[50:51], v[54:55] op_sel_hi:[1,0,1]
	v_add_nc_u32_e32 v9, 1, v9
	v_pk_fma_f32 v[50:51], v[52:53], v[50:51], v[54:55] neg_lo:[0,0,1] neg_hi:[0,0,1]
	v_mov_b32_e32 v51, v57
	s_delay_alu instid0(VALU_DEP_3) | instskip(NEXT) | instid1(VALU_DEP_2)
	v_cmp_lt_u32_e32 vcc_lo, 5, v9
	v_pk_add_f32 v[48:49], v[48:49], v[50:51]
	s_or_b32 s1, vcc_lo, s1
	s_delay_alu instid0(SALU_CYCLE_1)
	s_and_not1_b32 exec_lo, exec_lo, s1
	s_cbranch_execnz .LBB21_41
; %bb.42:
	s_or_b32 exec_lo, exec_lo, s1
	v_mov_b32_e32 v9, 0
	ds_load_b64 v[50:51], v9 offset:56
	s_wait_dscnt 0x0
	v_pk_mul_f32 v[52:53], v[48:49], v[50:51] op_sel:[1,1] op_sel_hi:[0,1]
	s_delay_alu instid0(VALU_DEP_1) | instskip(SKIP_1) | instid1(VALU_DEP_2)
	v_pk_fma_f32 v[54:55], v[48:49], v[50:51], v[52:53] op_sel_hi:[1,0,1]
	v_pk_fma_f32 v[48:49], v[48:49], v[50:51], v[52:53] neg_lo:[0,0,1] neg_hi:[0,0,1]
	v_mov_b32_e32 v49, v55
	scratch_store_b64 off, v[48:49], off offset:56
.LBB21_43:
	s_wait_xcnt 0x0
	s_or_b32 exec_lo, exec_lo, s0
	s_wait_storecnt 0x0
	s_barrier_signal -1
	s_barrier_wait -1
	scratch_load_b64 v[48:49], off, off offset:64
	s_mov_b32 s0, exec_lo
	s_wait_loadcnt 0x0
	ds_store_b64 v1, v[48:49]
	s_wait_dscnt 0x0
	s_barrier_signal -1
	s_barrier_wait -1
	v_cmpx_gt_u32_e32 8, v0
	s_cbranch_execz .LBB21_47
; %bb.44:
	v_dual_mov_b32 v48, 0 :: v_dual_add_nc_u32 v9, -1, v0
	v_add_nc_u32_e32 v11, 0xb0, v46
	v_mov_b32_e32 v13, v46
	s_mov_b32 s1, 0
	s_delay_alu instid0(VALU_DEP_3)
	v_mov_b32_e32 v49, v48
.LBB21_45:                              ; =>This Inner Loop Header: Depth=1
	scratch_load_b64 v[50:51], v13, off
	ds_load_b64 v[52:53], v11
	s_wait_xcnt 0x0
	v_dual_add_nc_u32 v11, 8, v11 :: v_dual_add_nc_u32 v13, 8, v13
	s_wait_loadcnt_dscnt 0x0
	v_pk_mul_f32 v[54:55], v[52:53], v[50:51] op_sel:[1,1] op_sel_hi:[0,1]
	s_delay_alu instid0(VALU_DEP_1) | instskip(SKIP_2) | instid1(VALU_DEP_3)
	v_pk_fma_f32 v[56:57], v[52:53], v[50:51], v[54:55] op_sel_hi:[1,0,1]
	v_add_nc_u32_e32 v9, 1, v9
	v_pk_fma_f32 v[50:51], v[52:53], v[50:51], v[54:55] neg_lo:[0,0,1] neg_hi:[0,0,1]
	v_mov_b32_e32 v51, v57
	s_delay_alu instid0(VALU_DEP_3) | instskip(NEXT) | instid1(VALU_DEP_2)
	v_cmp_lt_u32_e32 vcc_lo, 6, v9
	v_pk_add_f32 v[48:49], v[48:49], v[50:51]
	s_or_b32 s1, vcc_lo, s1
	s_delay_alu instid0(SALU_CYCLE_1)
	s_and_not1_b32 exec_lo, exec_lo, s1
	s_cbranch_execnz .LBB21_45
; %bb.46:
	s_or_b32 exec_lo, exec_lo, s1
	v_mov_b32_e32 v9, 0
	ds_load_b64 v[50:51], v9 offset:64
	s_wait_dscnt 0x0
	v_pk_mul_f32 v[52:53], v[48:49], v[50:51] op_sel:[1,1] op_sel_hi:[0,1]
	s_delay_alu instid0(VALU_DEP_1) | instskip(SKIP_1) | instid1(VALU_DEP_2)
	v_pk_fma_f32 v[54:55], v[48:49], v[50:51], v[52:53] op_sel_hi:[1,0,1]
	v_pk_fma_f32 v[48:49], v[48:49], v[50:51], v[52:53] neg_lo:[0,0,1] neg_hi:[0,0,1]
	v_mov_b32_e32 v49, v55
	scratch_store_b64 off, v[48:49], off offset:64
.LBB21_47:
	s_wait_xcnt 0x0
	s_or_b32 exec_lo, exec_lo, s0
	s_wait_storecnt 0x0
	s_barrier_signal -1
	s_barrier_wait -1
	scratch_load_b64 v[48:49], off, off offset:72
	s_mov_b32 s0, exec_lo
	s_wait_loadcnt 0x0
	ds_store_b64 v1, v[48:49]
	s_wait_dscnt 0x0
	s_barrier_signal -1
	s_barrier_wait -1
	v_cmpx_gt_u32_e32 9, v0
	s_cbranch_execz .LBB21_51
; %bb.48:
	v_dual_mov_b32 v48, 0 :: v_dual_add_nc_u32 v9, -1, v0
	v_add_nc_u32_e32 v11, 0xb0, v46
	v_mov_b32_e32 v13, v46
	s_mov_b32 s1, 0
	s_delay_alu instid0(VALU_DEP_3)
	v_mov_b32_e32 v49, v48
.LBB21_49:                              ; =>This Inner Loop Header: Depth=1
	scratch_load_b64 v[50:51], v13, off
	ds_load_b64 v[52:53], v11
	s_wait_xcnt 0x0
	v_dual_add_nc_u32 v11, 8, v11 :: v_dual_add_nc_u32 v13, 8, v13
	s_wait_loadcnt_dscnt 0x0
	v_pk_mul_f32 v[54:55], v[52:53], v[50:51] op_sel:[1,1] op_sel_hi:[0,1]
	s_delay_alu instid0(VALU_DEP_1) | instskip(SKIP_2) | instid1(VALU_DEP_3)
	v_pk_fma_f32 v[56:57], v[52:53], v[50:51], v[54:55] op_sel_hi:[1,0,1]
	v_add_nc_u32_e32 v9, 1, v9
	v_pk_fma_f32 v[50:51], v[52:53], v[50:51], v[54:55] neg_lo:[0,0,1] neg_hi:[0,0,1]
	v_mov_b32_e32 v51, v57
	s_delay_alu instid0(VALU_DEP_3) | instskip(NEXT) | instid1(VALU_DEP_2)
	v_cmp_lt_u32_e32 vcc_lo, 7, v9
	v_pk_add_f32 v[48:49], v[48:49], v[50:51]
	s_or_b32 s1, vcc_lo, s1
	s_delay_alu instid0(SALU_CYCLE_1)
	s_and_not1_b32 exec_lo, exec_lo, s1
	s_cbranch_execnz .LBB21_49
; %bb.50:
	s_or_b32 exec_lo, exec_lo, s1
	v_mov_b32_e32 v9, 0
	ds_load_b64 v[50:51], v9 offset:72
	s_wait_dscnt 0x0
	v_pk_mul_f32 v[52:53], v[48:49], v[50:51] op_sel:[1,1] op_sel_hi:[0,1]
	s_delay_alu instid0(VALU_DEP_1) | instskip(SKIP_1) | instid1(VALU_DEP_2)
	v_pk_fma_f32 v[54:55], v[48:49], v[50:51], v[52:53] op_sel_hi:[1,0,1]
	v_pk_fma_f32 v[48:49], v[48:49], v[50:51], v[52:53] neg_lo:[0,0,1] neg_hi:[0,0,1]
	v_mov_b32_e32 v49, v55
	scratch_store_b64 off, v[48:49], off offset:72
.LBB21_51:
	s_wait_xcnt 0x0
	s_or_b32 exec_lo, exec_lo, s0
	s_wait_storecnt 0x0
	s_barrier_signal -1
	s_barrier_wait -1
	scratch_load_b64 v[48:49], off, off offset:80
	s_mov_b32 s0, exec_lo
	s_wait_loadcnt 0x0
	ds_store_b64 v1, v[48:49]
	s_wait_dscnt 0x0
	s_barrier_signal -1
	s_barrier_wait -1
	v_cmpx_gt_u32_e32 10, v0
	s_cbranch_execz .LBB21_55
; %bb.52:
	v_dual_mov_b32 v48, 0 :: v_dual_add_nc_u32 v9, -1, v0
	v_add_nc_u32_e32 v11, 0xb0, v46
	v_mov_b32_e32 v13, v46
	s_mov_b32 s1, 0
	s_delay_alu instid0(VALU_DEP_3)
	v_mov_b32_e32 v49, v48
.LBB21_53:                              ; =>This Inner Loop Header: Depth=1
	scratch_load_b64 v[50:51], v13, off
	ds_load_b64 v[52:53], v11
	s_wait_xcnt 0x0
	v_dual_add_nc_u32 v11, 8, v11 :: v_dual_add_nc_u32 v13, 8, v13
	s_wait_loadcnt_dscnt 0x0
	v_pk_mul_f32 v[54:55], v[52:53], v[50:51] op_sel:[1,1] op_sel_hi:[0,1]
	s_delay_alu instid0(VALU_DEP_1) | instskip(SKIP_2) | instid1(VALU_DEP_3)
	v_pk_fma_f32 v[56:57], v[52:53], v[50:51], v[54:55] op_sel_hi:[1,0,1]
	v_add_nc_u32_e32 v9, 1, v9
	v_pk_fma_f32 v[50:51], v[52:53], v[50:51], v[54:55] neg_lo:[0,0,1] neg_hi:[0,0,1]
	v_mov_b32_e32 v51, v57
	s_delay_alu instid0(VALU_DEP_3) | instskip(NEXT) | instid1(VALU_DEP_2)
	v_cmp_lt_u32_e32 vcc_lo, 8, v9
	v_pk_add_f32 v[48:49], v[48:49], v[50:51]
	s_or_b32 s1, vcc_lo, s1
	s_delay_alu instid0(SALU_CYCLE_1)
	s_and_not1_b32 exec_lo, exec_lo, s1
	s_cbranch_execnz .LBB21_53
; %bb.54:
	s_or_b32 exec_lo, exec_lo, s1
	v_mov_b32_e32 v9, 0
	ds_load_b64 v[50:51], v9 offset:80
	s_wait_dscnt 0x0
	v_pk_mul_f32 v[52:53], v[48:49], v[50:51] op_sel:[1,1] op_sel_hi:[0,1]
	s_delay_alu instid0(VALU_DEP_1) | instskip(SKIP_1) | instid1(VALU_DEP_2)
	v_pk_fma_f32 v[54:55], v[48:49], v[50:51], v[52:53] op_sel_hi:[1,0,1]
	v_pk_fma_f32 v[48:49], v[48:49], v[50:51], v[52:53] neg_lo:[0,0,1] neg_hi:[0,0,1]
	v_mov_b32_e32 v49, v55
	scratch_store_b64 off, v[48:49], off offset:80
.LBB21_55:
	s_wait_xcnt 0x0
	s_or_b32 exec_lo, exec_lo, s0
	s_wait_storecnt 0x0
	s_barrier_signal -1
	s_barrier_wait -1
	scratch_load_b64 v[48:49], off, off offset:88
	s_mov_b32 s0, exec_lo
	s_wait_loadcnt 0x0
	ds_store_b64 v1, v[48:49]
	s_wait_dscnt 0x0
	s_barrier_signal -1
	s_barrier_wait -1
	v_cmpx_gt_u32_e32 11, v0
	s_cbranch_execz .LBB21_59
; %bb.56:
	v_dual_mov_b32 v48, 0 :: v_dual_add_nc_u32 v9, -1, v0
	v_add_nc_u32_e32 v11, 0xb0, v46
	v_mov_b32_e32 v13, v46
	s_mov_b32 s1, 0
	s_delay_alu instid0(VALU_DEP_3)
	v_mov_b32_e32 v49, v48
.LBB21_57:                              ; =>This Inner Loop Header: Depth=1
	scratch_load_b64 v[50:51], v13, off
	ds_load_b64 v[52:53], v11
	s_wait_xcnt 0x0
	v_dual_add_nc_u32 v11, 8, v11 :: v_dual_add_nc_u32 v13, 8, v13
	s_wait_loadcnt_dscnt 0x0
	v_pk_mul_f32 v[54:55], v[52:53], v[50:51] op_sel:[1,1] op_sel_hi:[0,1]
	s_delay_alu instid0(VALU_DEP_1) | instskip(SKIP_2) | instid1(VALU_DEP_3)
	v_pk_fma_f32 v[56:57], v[52:53], v[50:51], v[54:55] op_sel_hi:[1,0,1]
	v_add_nc_u32_e32 v9, 1, v9
	v_pk_fma_f32 v[50:51], v[52:53], v[50:51], v[54:55] neg_lo:[0,0,1] neg_hi:[0,0,1]
	v_mov_b32_e32 v51, v57
	s_delay_alu instid0(VALU_DEP_3) | instskip(NEXT) | instid1(VALU_DEP_2)
	v_cmp_lt_u32_e32 vcc_lo, 9, v9
	v_pk_add_f32 v[48:49], v[48:49], v[50:51]
	s_or_b32 s1, vcc_lo, s1
	s_delay_alu instid0(SALU_CYCLE_1)
	s_and_not1_b32 exec_lo, exec_lo, s1
	s_cbranch_execnz .LBB21_57
; %bb.58:
	s_or_b32 exec_lo, exec_lo, s1
	v_mov_b32_e32 v9, 0
	ds_load_b64 v[50:51], v9 offset:88
	s_wait_dscnt 0x0
	v_pk_mul_f32 v[52:53], v[48:49], v[50:51] op_sel:[1,1] op_sel_hi:[0,1]
	s_delay_alu instid0(VALU_DEP_1) | instskip(SKIP_1) | instid1(VALU_DEP_2)
	v_pk_fma_f32 v[54:55], v[48:49], v[50:51], v[52:53] op_sel_hi:[1,0,1]
	v_pk_fma_f32 v[48:49], v[48:49], v[50:51], v[52:53] neg_lo:[0,0,1] neg_hi:[0,0,1]
	v_mov_b32_e32 v49, v55
	scratch_store_b64 off, v[48:49], off offset:88
.LBB21_59:
	s_wait_xcnt 0x0
	s_or_b32 exec_lo, exec_lo, s0
	s_wait_storecnt 0x0
	s_barrier_signal -1
	s_barrier_wait -1
	scratch_load_b64 v[48:49], off, off offset:96
	s_mov_b32 s0, exec_lo
	s_wait_loadcnt 0x0
	ds_store_b64 v1, v[48:49]
	s_wait_dscnt 0x0
	s_barrier_signal -1
	s_barrier_wait -1
	v_cmpx_gt_u32_e32 12, v0
	s_cbranch_execz .LBB21_63
; %bb.60:
	v_dual_mov_b32 v48, 0 :: v_dual_add_nc_u32 v9, -1, v0
	v_add_nc_u32_e32 v11, 0xb0, v46
	v_mov_b32_e32 v13, v46
	s_mov_b32 s1, 0
	s_delay_alu instid0(VALU_DEP_3)
	v_mov_b32_e32 v49, v48
.LBB21_61:                              ; =>This Inner Loop Header: Depth=1
	scratch_load_b64 v[50:51], v13, off
	ds_load_b64 v[52:53], v11
	s_wait_xcnt 0x0
	v_dual_add_nc_u32 v11, 8, v11 :: v_dual_add_nc_u32 v13, 8, v13
	s_wait_loadcnt_dscnt 0x0
	v_pk_mul_f32 v[54:55], v[52:53], v[50:51] op_sel:[1,1] op_sel_hi:[0,1]
	s_delay_alu instid0(VALU_DEP_1) | instskip(SKIP_2) | instid1(VALU_DEP_3)
	v_pk_fma_f32 v[56:57], v[52:53], v[50:51], v[54:55] op_sel_hi:[1,0,1]
	v_add_nc_u32_e32 v9, 1, v9
	v_pk_fma_f32 v[50:51], v[52:53], v[50:51], v[54:55] neg_lo:[0,0,1] neg_hi:[0,0,1]
	v_mov_b32_e32 v51, v57
	s_delay_alu instid0(VALU_DEP_3) | instskip(NEXT) | instid1(VALU_DEP_2)
	v_cmp_lt_u32_e32 vcc_lo, 10, v9
	v_pk_add_f32 v[48:49], v[48:49], v[50:51]
	s_or_b32 s1, vcc_lo, s1
	s_delay_alu instid0(SALU_CYCLE_1)
	s_and_not1_b32 exec_lo, exec_lo, s1
	s_cbranch_execnz .LBB21_61
; %bb.62:
	s_or_b32 exec_lo, exec_lo, s1
	v_mov_b32_e32 v9, 0
	ds_load_b64 v[50:51], v9 offset:96
	s_wait_dscnt 0x0
	v_pk_mul_f32 v[52:53], v[48:49], v[50:51] op_sel:[1,1] op_sel_hi:[0,1]
	s_delay_alu instid0(VALU_DEP_1) | instskip(SKIP_1) | instid1(VALU_DEP_2)
	v_pk_fma_f32 v[54:55], v[48:49], v[50:51], v[52:53] op_sel_hi:[1,0,1]
	v_pk_fma_f32 v[48:49], v[48:49], v[50:51], v[52:53] neg_lo:[0,0,1] neg_hi:[0,0,1]
	v_mov_b32_e32 v49, v55
	scratch_store_b64 off, v[48:49], off offset:96
.LBB21_63:
	s_wait_xcnt 0x0
	s_or_b32 exec_lo, exec_lo, s0
	s_wait_storecnt 0x0
	s_barrier_signal -1
	s_barrier_wait -1
	scratch_load_b64 v[48:49], off, off offset:104
	s_mov_b32 s0, exec_lo
	s_wait_loadcnt 0x0
	ds_store_b64 v1, v[48:49]
	s_wait_dscnt 0x0
	s_barrier_signal -1
	s_barrier_wait -1
	v_cmpx_gt_u32_e32 13, v0
	s_cbranch_execz .LBB21_67
; %bb.64:
	v_dual_mov_b32 v48, 0 :: v_dual_add_nc_u32 v9, -1, v0
	v_add_nc_u32_e32 v11, 0xb0, v46
	v_mov_b32_e32 v13, v46
	s_mov_b32 s1, 0
	s_delay_alu instid0(VALU_DEP_3)
	v_mov_b32_e32 v49, v48
.LBB21_65:                              ; =>This Inner Loop Header: Depth=1
	scratch_load_b64 v[50:51], v13, off
	ds_load_b64 v[52:53], v11
	s_wait_xcnt 0x0
	v_dual_add_nc_u32 v11, 8, v11 :: v_dual_add_nc_u32 v13, 8, v13
	s_wait_loadcnt_dscnt 0x0
	v_pk_mul_f32 v[54:55], v[52:53], v[50:51] op_sel:[1,1] op_sel_hi:[0,1]
	s_delay_alu instid0(VALU_DEP_1) | instskip(SKIP_2) | instid1(VALU_DEP_3)
	v_pk_fma_f32 v[56:57], v[52:53], v[50:51], v[54:55] op_sel_hi:[1,0,1]
	v_add_nc_u32_e32 v9, 1, v9
	v_pk_fma_f32 v[50:51], v[52:53], v[50:51], v[54:55] neg_lo:[0,0,1] neg_hi:[0,0,1]
	v_mov_b32_e32 v51, v57
	s_delay_alu instid0(VALU_DEP_3) | instskip(NEXT) | instid1(VALU_DEP_2)
	v_cmp_lt_u32_e32 vcc_lo, 11, v9
	v_pk_add_f32 v[48:49], v[48:49], v[50:51]
	s_or_b32 s1, vcc_lo, s1
	s_delay_alu instid0(SALU_CYCLE_1)
	s_and_not1_b32 exec_lo, exec_lo, s1
	s_cbranch_execnz .LBB21_65
; %bb.66:
	s_or_b32 exec_lo, exec_lo, s1
	v_mov_b32_e32 v9, 0
	ds_load_b64 v[50:51], v9 offset:104
	s_wait_dscnt 0x0
	v_pk_mul_f32 v[52:53], v[48:49], v[50:51] op_sel:[1,1] op_sel_hi:[0,1]
	s_delay_alu instid0(VALU_DEP_1) | instskip(SKIP_1) | instid1(VALU_DEP_2)
	v_pk_fma_f32 v[54:55], v[48:49], v[50:51], v[52:53] op_sel_hi:[1,0,1]
	v_pk_fma_f32 v[48:49], v[48:49], v[50:51], v[52:53] neg_lo:[0,0,1] neg_hi:[0,0,1]
	v_mov_b32_e32 v49, v55
	scratch_store_b64 off, v[48:49], off offset:104
.LBB21_67:
	s_wait_xcnt 0x0
	s_or_b32 exec_lo, exec_lo, s0
	s_wait_storecnt 0x0
	s_barrier_signal -1
	s_barrier_wait -1
	scratch_load_b64 v[48:49], off, off offset:112
	s_mov_b32 s0, exec_lo
	s_wait_loadcnt 0x0
	ds_store_b64 v1, v[48:49]
	s_wait_dscnt 0x0
	s_barrier_signal -1
	s_barrier_wait -1
	v_cmpx_gt_u32_e32 14, v0
	s_cbranch_execz .LBB21_71
; %bb.68:
	v_dual_mov_b32 v48, 0 :: v_dual_add_nc_u32 v9, -1, v0
	v_add_nc_u32_e32 v11, 0xb0, v46
	v_mov_b32_e32 v13, v46
	s_mov_b32 s1, 0
	s_delay_alu instid0(VALU_DEP_3)
	v_mov_b32_e32 v49, v48
.LBB21_69:                              ; =>This Inner Loop Header: Depth=1
	scratch_load_b64 v[50:51], v13, off
	ds_load_b64 v[52:53], v11
	s_wait_xcnt 0x0
	v_dual_add_nc_u32 v11, 8, v11 :: v_dual_add_nc_u32 v13, 8, v13
	s_wait_loadcnt_dscnt 0x0
	v_pk_mul_f32 v[54:55], v[52:53], v[50:51] op_sel:[1,1] op_sel_hi:[0,1]
	s_delay_alu instid0(VALU_DEP_1) | instskip(SKIP_2) | instid1(VALU_DEP_3)
	v_pk_fma_f32 v[56:57], v[52:53], v[50:51], v[54:55] op_sel_hi:[1,0,1]
	v_add_nc_u32_e32 v9, 1, v9
	v_pk_fma_f32 v[50:51], v[52:53], v[50:51], v[54:55] neg_lo:[0,0,1] neg_hi:[0,0,1]
	v_mov_b32_e32 v51, v57
	s_delay_alu instid0(VALU_DEP_3) | instskip(NEXT) | instid1(VALU_DEP_2)
	v_cmp_lt_u32_e32 vcc_lo, 12, v9
	v_pk_add_f32 v[48:49], v[48:49], v[50:51]
	s_or_b32 s1, vcc_lo, s1
	s_delay_alu instid0(SALU_CYCLE_1)
	s_and_not1_b32 exec_lo, exec_lo, s1
	s_cbranch_execnz .LBB21_69
; %bb.70:
	s_or_b32 exec_lo, exec_lo, s1
	v_mov_b32_e32 v9, 0
	ds_load_b64 v[50:51], v9 offset:112
	s_wait_dscnt 0x0
	v_pk_mul_f32 v[52:53], v[48:49], v[50:51] op_sel:[1,1] op_sel_hi:[0,1]
	s_delay_alu instid0(VALU_DEP_1) | instskip(SKIP_1) | instid1(VALU_DEP_2)
	v_pk_fma_f32 v[54:55], v[48:49], v[50:51], v[52:53] op_sel_hi:[1,0,1]
	v_pk_fma_f32 v[48:49], v[48:49], v[50:51], v[52:53] neg_lo:[0,0,1] neg_hi:[0,0,1]
	v_mov_b32_e32 v49, v55
	scratch_store_b64 off, v[48:49], off offset:112
.LBB21_71:
	s_wait_xcnt 0x0
	s_or_b32 exec_lo, exec_lo, s0
	s_wait_storecnt 0x0
	s_barrier_signal -1
	s_barrier_wait -1
	scratch_load_b64 v[48:49], off, off offset:120
	s_mov_b32 s0, exec_lo
	s_wait_loadcnt 0x0
	ds_store_b64 v1, v[48:49]
	s_wait_dscnt 0x0
	s_barrier_signal -1
	s_barrier_wait -1
	v_cmpx_gt_u32_e32 15, v0
	s_cbranch_execz .LBB21_75
; %bb.72:
	v_dual_mov_b32 v48, 0 :: v_dual_add_nc_u32 v9, -1, v0
	v_add_nc_u32_e32 v11, 0xb0, v46
	v_mov_b32_e32 v13, v46
	s_mov_b32 s1, 0
	s_delay_alu instid0(VALU_DEP_3)
	v_mov_b32_e32 v49, v48
.LBB21_73:                              ; =>This Inner Loop Header: Depth=1
	scratch_load_b64 v[50:51], v13, off
	ds_load_b64 v[52:53], v11
	s_wait_xcnt 0x0
	v_dual_add_nc_u32 v11, 8, v11 :: v_dual_add_nc_u32 v13, 8, v13
	s_wait_loadcnt_dscnt 0x0
	v_pk_mul_f32 v[54:55], v[52:53], v[50:51] op_sel:[1,1] op_sel_hi:[0,1]
	s_delay_alu instid0(VALU_DEP_1) | instskip(SKIP_2) | instid1(VALU_DEP_3)
	v_pk_fma_f32 v[56:57], v[52:53], v[50:51], v[54:55] op_sel_hi:[1,0,1]
	v_add_nc_u32_e32 v9, 1, v9
	v_pk_fma_f32 v[50:51], v[52:53], v[50:51], v[54:55] neg_lo:[0,0,1] neg_hi:[0,0,1]
	v_mov_b32_e32 v51, v57
	s_delay_alu instid0(VALU_DEP_3) | instskip(NEXT) | instid1(VALU_DEP_2)
	v_cmp_lt_u32_e32 vcc_lo, 13, v9
	v_pk_add_f32 v[48:49], v[48:49], v[50:51]
	s_or_b32 s1, vcc_lo, s1
	s_delay_alu instid0(SALU_CYCLE_1)
	s_and_not1_b32 exec_lo, exec_lo, s1
	s_cbranch_execnz .LBB21_73
; %bb.74:
	s_or_b32 exec_lo, exec_lo, s1
	v_mov_b32_e32 v9, 0
	ds_load_b64 v[50:51], v9 offset:120
	s_wait_dscnt 0x0
	v_pk_mul_f32 v[52:53], v[48:49], v[50:51] op_sel:[1,1] op_sel_hi:[0,1]
	s_delay_alu instid0(VALU_DEP_1) | instskip(SKIP_1) | instid1(VALU_DEP_2)
	v_pk_fma_f32 v[54:55], v[48:49], v[50:51], v[52:53] op_sel_hi:[1,0,1]
	v_pk_fma_f32 v[48:49], v[48:49], v[50:51], v[52:53] neg_lo:[0,0,1] neg_hi:[0,0,1]
	v_mov_b32_e32 v49, v55
	scratch_store_b64 off, v[48:49], off offset:120
.LBB21_75:
	s_wait_xcnt 0x0
	s_or_b32 exec_lo, exec_lo, s0
	s_wait_storecnt 0x0
	s_barrier_signal -1
	s_barrier_wait -1
	scratch_load_b64 v[48:49], off, off offset:128
	s_mov_b32 s0, exec_lo
	s_wait_loadcnt 0x0
	ds_store_b64 v1, v[48:49]
	s_wait_dscnt 0x0
	s_barrier_signal -1
	s_barrier_wait -1
	v_cmpx_gt_u32_e32 16, v0
	s_cbranch_execz .LBB21_79
; %bb.76:
	v_dual_mov_b32 v48, 0 :: v_dual_add_nc_u32 v9, -1, v0
	v_add_nc_u32_e32 v11, 0xb0, v46
	v_mov_b32_e32 v13, v46
	s_mov_b32 s1, 0
	s_delay_alu instid0(VALU_DEP_3)
	v_mov_b32_e32 v49, v48
.LBB21_77:                              ; =>This Inner Loop Header: Depth=1
	scratch_load_b64 v[50:51], v13, off
	ds_load_b64 v[52:53], v11
	s_wait_xcnt 0x0
	v_dual_add_nc_u32 v11, 8, v11 :: v_dual_add_nc_u32 v13, 8, v13
	s_wait_loadcnt_dscnt 0x0
	v_pk_mul_f32 v[54:55], v[52:53], v[50:51] op_sel:[1,1] op_sel_hi:[0,1]
	s_delay_alu instid0(VALU_DEP_1) | instskip(SKIP_2) | instid1(VALU_DEP_3)
	v_pk_fma_f32 v[56:57], v[52:53], v[50:51], v[54:55] op_sel_hi:[1,0,1]
	v_add_nc_u32_e32 v9, 1, v9
	v_pk_fma_f32 v[50:51], v[52:53], v[50:51], v[54:55] neg_lo:[0,0,1] neg_hi:[0,0,1]
	v_mov_b32_e32 v51, v57
	s_delay_alu instid0(VALU_DEP_3) | instskip(NEXT) | instid1(VALU_DEP_2)
	v_cmp_lt_u32_e32 vcc_lo, 14, v9
	v_pk_add_f32 v[48:49], v[48:49], v[50:51]
	s_or_b32 s1, vcc_lo, s1
	s_delay_alu instid0(SALU_CYCLE_1)
	s_and_not1_b32 exec_lo, exec_lo, s1
	s_cbranch_execnz .LBB21_77
; %bb.78:
	s_or_b32 exec_lo, exec_lo, s1
	v_mov_b32_e32 v9, 0
	ds_load_b64 v[50:51], v9 offset:128
	s_wait_dscnt 0x0
	v_pk_mul_f32 v[52:53], v[48:49], v[50:51] op_sel:[1,1] op_sel_hi:[0,1]
	s_delay_alu instid0(VALU_DEP_1) | instskip(SKIP_1) | instid1(VALU_DEP_2)
	v_pk_fma_f32 v[54:55], v[48:49], v[50:51], v[52:53] op_sel_hi:[1,0,1]
	v_pk_fma_f32 v[48:49], v[48:49], v[50:51], v[52:53] neg_lo:[0,0,1] neg_hi:[0,0,1]
	v_mov_b32_e32 v49, v55
	scratch_store_b64 off, v[48:49], off offset:128
.LBB21_79:
	s_wait_xcnt 0x0
	s_or_b32 exec_lo, exec_lo, s0
	s_wait_storecnt 0x0
	s_barrier_signal -1
	s_barrier_wait -1
	scratch_load_b64 v[48:49], off, off offset:136
	s_mov_b32 s0, exec_lo
	s_wait_loadcnt 0x0
	ds_store_b64 v1, v[48:49]
	s_wait_dscnt 0x0
	s_barrier_signal -1
	s_barrier_wait -1
	v_cmpx_gt_u32_e32 17, v0
	s_cbranch_execz .LBB21_83
; %bb.80:
	v_dual_mov_b32 v48, 0 :: v_dual_add_nc_u32 v9, -1, v0
	v_add_nc_u32_e32 v11, 0xb0, v46
	v_mov_b32_e32 v13, v46
	s_mov_b32 s1, 0
	s_delay_alu instid0(VALU_DEP_3)
	v_mov_b32_e32 v49, v48
.LBB21_81:                              ; =>This Inner Loop Header: Depth=1
	scratch_load_b64 v[50:51], v13, off
	ds_load_b64 v[52:53], v11
	s_wait_xcnt 0x0
	v_dual_add_nc_u32 v11, 8, v11 :: v_dual_add_nc_u32 v13, 8, v13
	s_wait_loadcnt_dscnt 0x0
	v_pk_mul_f32 v[54:55], v[52:53], v[50:51] op_sel:[1,1] op_sel_hi:[0,1]
	s_delay_alu instid0(VALU_DEP_1) | instskip(SKIP_2) | instid1(VALU_DEP_3)
	v_pk_fma_f32 v[56:57], v[52:53], v[50:51], v[54:55] op_sel_hi:[1,0,1]
	v_add_nc_u32_e32 v9, 1, v9
	v_pk_fma_f32 v[50:51], v[52:53], v[50:51], v[54:55] neg_lo:[0,0,1] neg_hi:[0,0,1]
	v_mov_b32_e32 v51, v57
	s_delay_alu instid0(VALU_DEP_3) | instskip(NEXT) | instid1(VALU_DEP_2)
	v_cmp_lt_u32_e32 vcc_lo, 15, v9
	v_pk_add_f32 v[48:49], v[48:49], v[50:51]
	s_or_b32 s1, vcc_lo, s1
	s_delay_alu instid0(SALU_CYCLE_1)
	s_and_not1_b32 exec_lo, exec_lo, s1
	s_cbranch_execnz .LBB21_81
; %bb.82:
	s_or_b32 exec_lo, exec_lo, s1
	v_mov_b32_e32 v9, 0
	ds_load_b64 v[50:51], v9 offset:136
	s_wait_dscnt 0x0
	v_pk_mul_f32 v[52:53], v[48:49], v[50:51] op_sel:[1,1] op_sel_hi:[0,1]
	s_delay_alu instid0(VALU_DEP_1) | instskip(SKIP_1) | instid1(VALU_DEP_2)
	v_pk_fma_f32 v[54:55], v[48:49], v[50:51], v[52:53] op_sel_hi:[1,0,1]
	v_pk_fma_f32 v[48:49], v[48:49], v[50:51], v[52:53] neg_lo:[0,0,1] neg_hi:[0,0,1]
	v_mov_b32_e32 v49, v55
	scratch_store_b64 off, v[48:49], off offset:136
.LBB21_83:
	s_wait_xcnt 0x0
	s_or_b32 exec_lo, exec_lo, s0
	s_wait_storecnt 0x0
	s_barrier_signal -1
	s_barrier_wait -1
	scratch_load_b64 v[48:49], off, off offset:144
	s_mov_b32 s0, exec_lo
	s_wait_loadcnt 0x0
	ds_store_b64 v1, v[48:49]
	s_wait_dscnt 0x0
	s_barrier_signal -1
	s_barrier_wait -1
	v_cmpx_gt_u32_e32 18, v0
	s_cbranch_execz .LBB21_87
; %bb.84:
	v_dual_mov_b32 v48, 0 :: v_dual_add_nc_u32 v9, -1, v0
	v_add_nc_u32_e32 v11, 0xb0, v46
	v_mov_b32_e32 v13, v46
	s_mov_b32 s1, 0
	s_delay_alu instid0(VALU_DEP_3)
	v_mov_b32_e32 v49, v48
.LBB21_85:                              ; =>This Inner Loop Header: Depth=1
	scratch_load_b64 v[50:51], v13, off
	ds_load_b64 v[52:53], v11
	s_wait_xcnt 0x0
	v_dual_add_nc_u32 v11, 8, v11 :: v_dual_add_nc_u32 v13, 8, v13
	s_wait_loadcnt_dscnt 0x0
	v_pk_mul_f32 v[54:55], v[52:53], v[50:51] op_sel:[1,1] op_sel_hi:[0,1]
	s_delay_alu instid0(VALU_DEP_1) | instskip(SKIP_2) | instid1(VALU_DEP_3)
	v_pk_fma_f32 v[56:57], v[52:53], v[50:51], v[54:55] op_sel_hi:[1,0,1]
	v_add_nc_u32_e32 v9, 1, v9
	v_pk_fma_f32 v[50:51], v[52:53], v[50:51], v[54:55] neg_lo:[0,0,1] neg_hi:[0,0,1]
	v_mov_b32_e32 v51, v57
	s_delay_alu instid0(VALU_DEP_3) | instskip(NEXT) | instid1(VALU_DEP_2)
	v_cmp_lt_u32_e32 vcc_lo, 16, v9
	v_pk_add_f32 v[48:49], v[48:49], v[50:51]
	s_or_b32 s1, vcc_lo, s1
	s_delay_alu instid0(SALU_CYCLE_1)
	s_and_not1_b32 exec_lo, exec_lo, s1
	s_cbranch_execnz .LBB21_85
; %bb.86:
	s_or_b32 exec_lo, exec_lo, s1
	v_mov_b32_e32 v9, 0
	ds_load_b64 v[50:51], v9 offset:144
	s_wait_dscnt 0x0
	v_pk_mul_f32 v[52:53], v[48:49], v[50:51] op_sel:[1,1] op_sel_hi:[0,1]
	s_delay_alu instid0(VALU_DEP_1) | instskip(SKIP_1) | instid1(VALU_DEP_2)
	v_pk_fma_f32 v[54:55], v[48:49], v[50:51], v[52:53] op_sel_hi:[1,0,1]
	v_pk_fma_f32 v[48:49], v[48:49], v[50:51], v[52:53] neg_lo:[0,0,1] neg_hi:[0,0,1]
	v_mov_b32_e32 v49, v55
	scratch_store_b64 off, v[48:49], off offset:144
.LBB21_87:
	s_wait_xcnt 0x0
	s_or_b32 exec_lo, exec_lo, s0
	s_wait_storecnt 0x0
	s_barrier_signal -1
	s_barrier_wait -1
	scratch_load_b64 v[48:49], off, off offset:152
	s_mov_b32 s0, exec_lo
	s_wait_loadcnt 0x0
	ds_store_b64 v1, v[48:49]
	s_wait_dscnt 0x0
	s_barrier_signal -1
	s_barrier_wait -1
	v_cmpx_gt_u32_e32 19, v0
	s_cbranch_execz .LBB21_91
; %bb.88:
	v_dual_mov_b32 v48, 0 :: v_dual_add_nc_u32 v9, -1, v0
	v_add_nc_u32_e32 v11, 0xb0, v46
	v_mov_b32_e32 v13, v46
	s_mov_b32 s1, 0
	s_delay_alu instid0(VALU_DEP_3)
	v_mov_b32_e32 v49, v48
.LBB21_89:                              ; =>This Inner Loop Header: Depth=1
	scratch_load_b64 v[50:51], v13, off
	ds_load_b64 v[52:53], v11
	s_wait_xcnt 0x0
	v_dual_add_nc_u32 v11, 8, v11 :: v_dual_add_nc_u32 v13, 8, v13
	s_wait_loadcnt_dscnt 0x0
	v_pk_mul_f32 v[54:55], v[52:53], v[50:51] op_sel:[1,1] op_sel_hi:[0,1]
	s_delay_alu instid0(VALU_DEP_1) | instskip(SKIP_2) | instid1(VALU_DEP_3)
	v_pk_fma_f32 v[56:57], v[52:53], v[50:51], v[54:55] op_sel_hi:[1,0,1]
	v_add_nc_u32_e32 v9, 1, v9
	v_pk_fma_f32 v[50:51], v[52:53], v[50:51], v[54:55] neg_lo:[0,0,1] neg_hi:[0,0,1]
	v_mov_b32_e32 v51, v57
	s_delay_alu instid0(VALU_DEP_3) | instskip(NEXT) | instid1(VALU_DEP_2)
	v_cmp_lt_u32_e32 vcc_lo, 17, v9
	v_pk_add_f32 v[48:49], v[48:49], v[50:51]
	s_or_b32 s1, vcc_lo, s1
	s_delay_alu instid0(SALU_CYCLE_1)
	s_and_not1_b32 exec_lo, exec_lo, s1
	s_cbranch_execnz .LBB21_89
; %bb.90:
	s_or_b32 exec_lo, exec_lo, s1
	v_mov_b32_e32 v9, 0
	ds_load_b64 v[50:51], v9 offset:152
	s_wait_dscnt 0x0
	v_pk_mul_f32 v[52:53], v[48:49], v[50:51] op_sel:[1,1] op_sel_hi:[0,1]
	s_delay_alu instid0(VALU_DEP_1) | instskip(SKIP_1) | instid1(VALU_DEP_2)
	v_pk_fma_f32 v[54:55], v[48:49], v[50:51], v[52:53] op_sel_hi:[1,0,1]
	v_pk_fma_f32 v[48:49], v[48:49], v[50:51], v[52:53] neg_lo:[0,0,1] neg_hi:[0,0,1]
	v_mov_b32_e32 v49, v55
	scratch_store_b64 off, v[48:49], off offset:152
.LBB21_91:
	s_wait_xcnt 0x0
	s_or_b32 exec_lo, exec_lo, s0
	s_wait_storecnt 0x0
	s_barrier_signal -1
	s_barrier_wait -1
	scratch_load_b64 v[48:49], off, off offset:160
	s_mov_b32 s0, exec_lo
	s_wait_loadcnt 0x0
	ds_store_b64 v1, v[48:49]
	s_wait_dscnt 0x0
	s_barrier_signal -1
	s_barrier_wait -1
	v_cmpx_gt_u32_e32 20, v0
	s_cbranch_execz .LBB21_95
; %bb.92:
	v_dual_mov_b32 v48, 0 :: v_dual_add_nc_u32 v9, -1, v0
	v_add_nc_u32_e32 v11, 0xb0, v46
	v_mov_b32_e32 v13, v46
	s_mov_b32 s1, 0
	s_delay_alu instid0(VALU_DEP_3)
	v_mov_b32_e32 v49, v48
.LBB21_93:                              ; =>This Inner Loop Header: Depth=1
	scratch_load_b64 v[50:51], v13, off
	ds_load_b64 v[52:53], v11
	s_wait_xcnt 0x0
	v_dual_add_nc_u32 v11, 8, v11 :: v_dual_add_nc_u32 v13, 8, v13
	s_wait_loadcnt_dscnt 0x0
	v_pk_mul_f32 v[54:55], v[52:53], v[50:51] op_sel:[1,1] op_sel_hi:[0,1]
	s_delay_alu instid0(VALU_DEP_1) | instskip(SKIP_2) | instid1(VALU_DEP_3)
	v_pk_fma_f32 v[56:57], v[52:53], v[50:51], v[54:55] op_sel_hi:[1,0,1]
	v_add_nc_u32_e32 v9, 1, v9
	v_pk_fma_f32 v[50:51], v[52:53], v[50:51], v[54:55] neg_lo:[0,0,1] neg_hi:[0,0,1]
	v_mov_b32_e32 v51, v57
	s_delay_alu instid0(VALU_DEP_3) | instskip(NEXT) | instid1(VALU_DEP_2)
	v_cmp_lt_u32_e32 vcc_lo, 18, v9
	v_pk_add_f32 v[48:49], v[48:49], v[50:51]
	s_or_b32 s1, vcc_lo, s1
	s_delay_alu instid0(SALU_CYCLE_1)
	s_and_not1_b32 exec_lo, exec_lo, s1
	s_cbranch_execnz .LBB21_93
; %bb.94:
	s_or_b32 exec_lo, exec_lo, s1
	v_mov_b32_e32 v9, 0
	ds_load_b64 v[50:51], v9 offset:160
	s_wait_dscnt 0x0
	v_pk_mul_f32 v[52:53], v[48:49], v[50:51] op_sel:[1,1] op_sel_hi:[0,1]
	s_delay_alu instid0(VALU_DEP_1) | instskip(SKIP_1) | instid1(VALU_DEP_2)
	v_pk_fma_f32 v[54:55], v[48:49], v[50:51], v[52:53] op_sel_hi:[1,0,1]
	v_pk_fma_f32 v[48:49], v[48:49], v[50:51], v[52:53] neg_lo:[0,0,1] neg_hi:[0,0,1]
	v_mov_b32_e32 v49, v55
	scratch_store_b64 off, v[48:49], off offset:160
.LBB21_95:
	s_wait_xcnt 0x0
	s_or_b32 exec_lo, exec_lo, s0
	s_wait_storecnt 0x0
	s_barrier_signal -1
	s_barrier_wait -1
	scratch_load_b64 v[48:49], off, off offset:168
	s_mov_b32 s0, exec_lo
	s_wait_loadcnt 0x0
	ds_store_b64 v1, v[48:49]
	s_wait_dscnt 0x0
	s_barrier_signal -1
	s_barrier_wait -1
	v_cmpx_ne_u32_e32 21, v0
	s_cbranch_execz .LBB21_99
; %bb.96:
	v_dual_mov_b32 v48, 0 :: v_dual_mov_b32 v9, v46
	s_mov_b32 s1, 0
	s_delay_alu instid0(VALU_DEP_1)
	v_mov_b32_e32 v49, v48
.LBB21_97:                              ; =>This Inner Loop Header: Depth=1
	scratch_load_b64 v[46:47], v9, off
	ds_load_b64 v[50:51], v1
	v_add_nc_u32_e32 v1, 8, v1
	s_wait_xcnt 0x0
	v_add_nc_u32_e32 v9, 8, v9
	s_wait_loadcnt_dscnt 0x0
	v_pk_mul_f32 v[52:53], v[50:51], v[46:47] op_sel:[1,1] op_sel_hi:[0,1]
	s_delay_alu instid0(VALU_DEP_1) | instskip(SKIP_2) | instid1(VALU_DEP_3)
	v_pk_fma_f32 v[54:55], v[50:51], v[46:47], v[52:53] op_sel_hi:[1,0,1]
	v_add_nc_u32_e32 v7, 1, v7
	v_pk_fma_f32 v[46:47], v[50:51], v[46:47], v[52:53] neg_lo:[0,0,1] neg_hi:[0,0,1]
	v_mov_b32_e32 v47, v55
	s_delay_alu instid0(VALU_DEP_3) | instskip(NEXT) | instid1(VALU_DEP_2)
	v_cmp_lt_u32_e32 vcc_lo, 19, v7
	v_pk_add_f32 v[48:49], v[48:49], v[46:47]
	s_or_b32 s1, vcc_lo, s1
	s_delay_alu instid0(SALU_CYCLE_1)
	s_and_not1_b32 exec_lo, exec_lo, s1
	s_cbranch_execnz .LBB21_97
; %bb.98:
	s_or_b32 exec_lo, exec_lo, s1
	v_mov_b32_e32 v1, 0
	ds_load_b64 v[46:47], v1 offset:168
	s_wait_dscnt 0x0
	v_pk_mul_f32 v[50:51], v[48:49], v[46:47] op_sel:[1,1] op_sel_hi:[0,1]
	s_delay_alu instid0(VALU_DEP_1) | instskip(SKIP_1) | instid1(VALU_DEP_2)
	v_pk_fma_f32 v[52:53], v[48:49], v[46:47], v[50:51] op_sel_hi:[1,0,1]
	v_pk_fma_f32 v[46:47], v[48:49], v[46:47], v[50:51] neg_lo:[0,0,1] neg_hi:[0,0,1]
	v_mov_b32_e32 v47, v53
	scratch_store_b64 off, v[46:47], off offset:168
.LBB21_99:
	s_wait_xcnt 0x0
	s_or_b32 exec_lo, exec_lo, s0
	s_mov_b32 s1, -1
	s_wait_storecnt 0x0
	s_barrier_signal -1
	s_barrier_wait -1
.LBB21_100:
	s_and_b32 vcc_lo, exec_lo, s1
	s_cbranch_vccz .LBB21_102
; %bb.101:
	v_mov_b32_e32 v1, 0
	s_lshl_b64 s[0:1], s[16:17], 2
	s_delay_alu instid0(SALU_CYCLE_1)
	s_add_nc_u64 s[0:1], s[6:7], s[0:1]
	global_load_b32 v1, v1, s[0:1]
	s_wait_loadcnt 0x0
	v_cmp_ne_u32_e32 vcc_lo, 0, v1
	s_cbranch_vccz .LBB21_103
.LBB21_102:
	s_sendmsg sendmsg(MSG_DEALLOC_VGPRS)
	s_endpgm
.LBB21_103:
	s_wait_xcnt 0x0
	v_lshl_add_u32 v1, v0, 3, 0xb0
	s_mov_b32 s0, exec_lo
	v_cmpx_eq_u32_e32 21, v0
	s_cbranch_execz .LBB21_105
; %bb.104:
	scratch_load_b64 v[46:47], off, off offset:160
	v_mov_b64_e32 v[48:49], 0
	scratch_store_b64 off, v[48:49], off offset:160
	s_wait_loadcnt 0x0
	ds_store_b64 v1, v[46:47]
.LBB21_105:
	s_wait_xcnt 0x0
	s_or_b32 exec_lo, exec_lo, s0
	s_wait_storecnt_dscnt 0x0
	s_barrier_signal -1
	s_barrier_wait -1
	s_clause 0x1
	scratch_load_b64 v[46:47], off, off offset:168
	scratch_load_b64 v[48:49], off, off offset:160
	v_mov_b32_e32 v7, 0
	s_mov_b32 s0, exec_lo
	ds_load_b64 v[50:51], v7 offset:344
	s_wait_loadcnt_dscnt 0x100
	v_pk_mul_f32 v[52:53], v[50:51], v[46:47] op_sel:[1,1] op_sel_hi:[0,1]
	s_delay_alu instid0(VALU_DEP_1) | instskip(SKIP_1) | instid1(VALU_DEP_2)
	v_pk_fma_f32 v[54:55], v[50:51], v[46:47], v[52:53] op_sel_hi:[1,0,1]
	v_pk_fma_f32 v[46:47], v[50:51], v[46:47], v[52:53] neg_lo:[0,0,1] neg_hi:[0,0,1]
	v_mov_b32_e32 v47, v55
	s_delay_alu instid0(VALU_DEP_1) | instskip(SKIP_1) | instid1(VALU_DEP_1)
	v_pk_add_f32 v[46:47], v[46:47], 0 op_sel_hi:[1,0]
	s_wait_loadcnt 0x0
	v_pk_add_f32 v[46:47], v[48:49], v[46:47] neg_lo:[0,1] neg_hi:[0,1]
	scratch_store_b64 off, v[46:47], off offset:160
	s_wait_xcnt 0x0
	v_cmpx_lt_u32_e32 19, v0
	s_cbranch_execz .LBB21_107
; %bb.106:
	scratch_load_b64 v[46:47], off, off offset:152
	v_mov_b64_e32 v[48:49], 0
	scratch_store_b64 off, v[48:49], off offset:152
	s_wait_loadcnt 0x0
	ds_store_b64 v1, v[46:47]
.LBB21_107:
	s_wait_xcnt 0x0
	s_or_b32 exec_lo, exec_lo, s0
	s_wait_storecnt_dscnt 0x0
	s_barrier_signal -1
	s_barrier_wait -1
	s_clause 0x1
	scratch_load_b128 v[46:49], off, off offset:160
	scratch_load_b64 v[54:55], off, off offset:152
	ds_load_b128 v[50:53], v7 offset:336
	s_mov_b32 s0, exec_lo
	s_wait_dscnt 0x0
	v_dual_mov_b32 v56, v53 :: v_dual_mov_b32 v57, v52
	s_wait_loadcnt 0x1
	v_pk_mul_f32 v[58:59], v[50:51], v[46:47] op_sel:[1,1] op_sel_hi:[0,1]
	s_delay_alu instid0(VALU_DEP_1) | instskip(SKIP_2) | instid1(VALU_DEP_3)
	v_pk_fma_f32 v[62:63], v[50:51], v[46:47], v[58:59] op_sel_hi:[1,0,1]
	v_mov_b32_e32 v60, v49
	v_pk_fma_f32 v[46:47], v[50:51], v[46:47], v[58:59] neg_lo:[0,0,1] neg_hi:[0,0,1]
	v_mov_b32_e32 v47, v63
	s_delay_alu instid0(VALU_DEP_3) | instskip(NEXT) | instid1(VALU_DEP_2)
	v_pk_mul_f32 v[56:57], v[56:57], v[60:61] op_sel_hi:[1,0]
	v_pk_add_f32 v[46:47], v[46:47], 0 op_sel_hi:[1,0]
	s_delay_alu instid0(VALU_DEP_2) | instskip(SKIP_1) | instid1(VALU_DEP_2)
	v_pk_fma_f32 v[50:51], v[52:53], v[48:49], v[56:57] op_sel_hi:[1,0,1]
	v_pk_fma_f32 v[48:49], v[52:53], v[48:49], v[56:57] neg_lo:[0,0,1] neg_hi:[0,0,1]
	v_mov_b32_e32 v49, v51
	s_delay_alu instid0(VALU_DEP_1) | instskip(SKIP_1) | instid1(VALU_DEP_1)
	v_pk_add_f32 v[46:47], v[46:47], v[48:49]
	s_wait_loadcnt 0x0
	v_pk_add_f32 v[46:47], v[54:55], v[46:47] neg_lo:[0,1] neg_hi:[0,1]
	scratch_store_b64 off, v[46:47], off offset:152
	s_wait_xcnt 0x0
	v_cmpx_lt_u32_e32 18, v0
	s_cbranch_execz .LBB21_109
; %bb.108:
	scratch_load_b64 v[46:47], off, off offset:144
	v_mov_b64_e32 v[48:49], 0
	scratch_store_b64 off, v[48:49], off offset:144
	s_wait_loadcnt 0x0
	ds_store_b64 v1, v[46:47]
.LBB21_109:
	s_wait_xcnt 0x0
	s_or_b32 exec_lo, exec_lo, s0
	s_wait_storecnt_dscnt 0x0
	s_barrier_signal -1
	s_barrier_wait -1
	s_clause 0x2
	scratch_load_b128 v[46:49], off, off offset:152
	scratch_load_b64 v[54:55], off, off offset:168
	scratch_load_b64 v[56:57], off, off offset:144
	v_mov_b32_e32 v7, 0
	ds_load_2addr_b64 v[50:53], v7 offset0:41 offset1:42
	ds_load_b64 v[58:59], v7 offset:344
	s_mov_b32 s0, exec_lo
	s_wait_dscnt 0x1
	v_dual_mov_b32 v60, v53 :: v_dual_mov_b32 v61, v52
	s_wait_loadcnt 0x2
	v_mov_b32_e32 v64, v49
	v_pk_mul_f32 v[62:63], v[50:51], v[46:47] op_sel:[1,1] op_sel_hi:[0,1]
	s_delay_alu instid0(VALU_DEP_2) | instskip(NEXT) | instid1(VALU_DEP_2)
	v_pk_mul_f32 v[60:61], v[60:61], v[64:65] op_sel_hi:[1,0]
	v_pk_fma_f32 v[66:67], v[50:51], v[46:47], v[62:63] op_sel_hi:[1,0,1]
	v_pk_fma_f32 v[46:47], v[50:51], v[46:47], v[62:63] neg_lo:[0,0,1] neg_hi:[0,0,1]
	s_wait_loadcnt_dscnt 0x100
	v_pk_mul_f32 v[62:63], v[58:59], v[54:55] op_sel:[1,1] op_sel_hi:[0,1]
	v_pk_fma_f32 v[50:51], v[52:53], v[48:49], v[60:61] op_sel_hi:[1,0,1]
	v_mov_b32_e32 v47, v67
	v_pk_fma_f32 v[48:49], v[52:53], v[48:49], v[60:61] neg_lo:[0,0,1] neg_hi:[0,0,1]
	s_delay_alu instid0(VALU_DEP_4) | instskip(NEXT) | instid1(VALU_DEP_4)
	v_pk_fma_f32 v[52:53], v[58:59], v[54:55], v[62:63] neg_lo:[0,0,1] neg_hi:[0,0,1]
	v_mov_b32_e32 v49, v51
	s_delay_alu instid0(VALU_DEP_4) | instskip(SKIP_1) | instid1(VALU_DEP_2)
	v_pk_add_f32 v[46:47], v[46:47], 0 op_sel_hi:[1,0]
	v_pk_fma_f32 v[50:51], v[58:59], v[54:55], v[62:63] op_sel_hi:[1,0,1]
	v_pk_add_f32 v[46:47], v[46:47], v[48:49]
	s_delay_alu instid0(VALU_DEP_2) | instskip(NEXT) | instid1(VALU_DEP_1)
	v_mov_b32_e32 v53, v51
	v_pk_add_f32 v[46:47], v[46:47], v[52:53]
	s_wait_loadcnt 0x0
	s_delay_alu instid0(VALU_DEP_1)
	v_pk_add_f32 v[46:47], v[56:57], v[46:47] neg_lo:[0,1] neg_hi:[0,1]
	scratch_store_b64 off, v[46:47], off offset:144
	s_wait_xcnt 0x0
	v_cmpx_lt_u32_e32 17, v0
	s_cbranch_execz .LBB21_111
; %bb.110:
	scratch_load_b64 v[46:47], off, off offset:136
	v_mov_b64_e32 v[48:49], 0
	scratch_store_b64 off, v[48:49], off offset:136
	s_wait_loadcnt 0x0
	ds_store_b64 v1, v[46:47]
.LBB21_111:
	s_wait_xcnt 0x0
	s_or_b32 exec_lo, exec_lo, s0
	s_wait_storecnt_dscnt 0x0
	s_barrier_signal -1
	s_barrier_wait -1
	s_clause 0x2
	scratch_load_b128 v[46:49], off, off offset:144
	scratch_load_b128 v[50:53], off, off offset:160
	scratch_load_b64 v[62:63], off, off offset:136
	ds_load_b128 v[54:57], v7 offset:320
	ds_load_b128 v[58:61], v7 offset:336
	s_mov_b32 s0, exec_lo
	s_wait_dscnt 0x1
	v_dual_mov_b32 v64, v57 :: v_dual_mov_b32 v65, v56
	s_wait_loadcnt_dscnt 0x200
	v_dual_mov_b32 v70, v61 :: v_dual_mov_b32 v68, v49
	v_pk_mul_f32 v[66:67], v[54:55], v[46:47] op_sel:[1,1] op_sel_hi:[0,1]
	s_delay_alu instid0(VALU_DEP_2) | instskip(NEXT) | instid1(VALU_DEP_2)
	v_pk_mul_f32 v[64:65], v[64:65], v[68:69] op_sel_hi:[1,0]
	v_pk_fma_f32 v[72:73], v[54:55], v[46:47], v[66:67] op_sel_hi:[1,0,1]
	v_pk_fma_f32 v[46:47], v[54:55], v[46:47], v[66:67] neg_lo:[0,0,1] neg_hi:[0,0,1]
	v_mov_b32_e32 v71, v60
	s_wait_loadcnt 0x1
	v_pk_mul_f32 v[68:69], v[58:59], v[50:51] op_sel:[1,1] op_sel_hi:[0,1]
	v_pk_fma_f32 v[54:55], v[56:57], v[48:49], v[64:65] op_sel_hi:[1,0,1]
	v_dual_mov_b32 v47, v73 :: v_dual_mov_b32 v54, v53
	v_pk_fma_f32 v[48:49], v[56:57], v[48:49], v[64:65] neg_lo:[0,0,1] neg_hi:[0,0,1]
	s_delay_alu instid0(VALU_DEP_4) | instskip(NEXT) | instid1(VALU_DEP_4)
	v_pk_fma_f32 v[66:67], v[58:59], v[50:51], v[68:69] op_sel_hi:[1,0,1]
	v_mov_b32_e32 v49, v55
	s_delay_alu instid0(VALU_DEP_4) | instskip(SKIP_2) | instid1(VALU_DEP_3)
	v_pk_add_f32 v[46:47], v[46:47], 0 op_sel_hi:[1,0]
	v_pk_mul_f32 v[54:55], v[70:71], v[54:55] op_sel_hi:[1,0]
	v_pk_fma_f32 v[50:51], v[58:59], v[50:51], v[68:69] neg_lo:[0,0,1] neg_hi:[0,0,1]
	v_pk_add_f32 v[46:47], v[46:47], v[48:49]
	s_delay_alu instid0(VALU_DEP_3) | instskip(SKIP_2) | instid1(VALU_DEP_3)
	v_pk_fma_f32 v[48:49], v[60:61], v[52:53], v[54:55] op_sel_hi:[1,0,1]
	v_mov_b32_e32 v51, v67
	v_pk_fma_f32 v[52:53], v[60:61], v[52:53], v[54:55] neg_lo:[0,0,1] neg_hi:[0,0,1]
	v_mov_b32_e32 v53, v49
	s_delay_alu instid0(VALU_DEP_3) | instskip(NEXT) | instid1(VALU_DEP_1)
	v_pk_add_f32 v[46:47], v[46:47], v[50:51]
	v_pk_add_f32 v[46:47], v[46:47], v[52:53]
	s_wait_loadcnt 0x0
	s_delay_alu instid0(VALU_DEP_1)
	v_pk_add_f32 v[46:47], v[62:63], v[46:47] neg_lo:[0,1] neg_hi:[0,1]
	scratch_store_b64 off, v[46:47], off offset:136
	s_wait_xcnt 0x0
	v_cmpx_lt_u32_e32 16, v0
	s_cbranch_execz .LBB21_113
; %bb.112:
	scratch_load_b64 v[46:47], off, off offset:128
	v_mov_b64_e32 v[48:49], 0
	scratch_store_b64 off, v[48:49], off offset:128
	s_wait_loadcnt 0x0
	ds_store_b64 v1, v[46:47]
.LBB21_113:
	s_wait_xcnt 0x0
	s_or_b32 exec_lo, exec_lo, s0
	s_wait_storecnt_dscnt 0x0
	s_barrier_signal -1
	s_barrier_wait -1
	s_clause 0x3
	scratch_load_b128 v[46:49], off, off offset:136
	scratch_load_b128 v[50:53], off, off offset:152
	scratch_load_b64 v[62:63], off, off offset:168
	scratch_load_b64 v[64:65], off, off offset:128
	v_mov_b32_e32 v7, 0
	ds_load_2addr_b64 v[54:57], v7 offset0:39 offset1:40
	ds_load_2addr_b64 v[58:61], v7 offset0:41 offset1:42
	s_mov_b32 s0, exec_lo
	s_wait_dscnt 0x1
	v_dual_mov_b32 v66, v57 :: v_dual_mov_b32 v67, v56
	ds_load_b64 v[72:73], v7 offset:344
	s_wait_dscnt 0x1
	v_dual_mov_b32 v74, v61 :: v_dual_mov_b32 v75, v60
	s_wait_loadcnt 0x3
	v_pk_mul_f32 v[68:69], v[54:55], v[46:47] op_sel:[1,1] op_sel_hi:[0,1]
	v_mov_b32_e32 v70, v49
	s_delay_alu instid0(VALU_DEP_2) | instskip(NEXT) | instid1(VALU_DEP_2)
	v_pk_fma_f32 v[76:77], v[54:55], v[46:47], v[68:69] op_sel_hi:[1,0,1]
	v_pk_mul_f32 v[66:67], v[66:67], v[70:71] op_sel_hi:[1,0]
	v_pk_fma_f32 v[46:47], v[54:55], v[46:47], v[68:69] neg_lo:[0,0,1] neg_hi:[0,0,1]
	s_wait_loadcnt 0x2
	v_pk_mul_f32 v[70:71], v[58:59], v[50:51] op_sel:[1,1] op_sel_hi:[0,1]
	v_dual_mov_b32 v76, v53 :: v_dual_mov_b32 v47, v77
	v_pk_fma_f32 v[54:55], v[56:57], v[48:49], v[66:67] op_sel_hi:[1,0,1]
	v_pk_fma_f32 v[48:49], v[56:57], v[48:49], v[66:67] neg_lo:[0,0,1] neg_hi:[0,0,1]
	s_delay_alu instid0(VALU_DEP_4) | instskip(NEXT) | instid1(VALU_DEP_4)
	v_pk_fma_f32 v[68:69], v[58:59], v[50:51], v[70:71] op_sel_hi:[1,0,1]
	v_pk_mul_f32 v[74:75], v[74:75], v[76:77] op_sel_hi:[1,0]
	v_pk_add_f32 v[46:47], v[46:47], 0 op_sel_hi:[1,0]
	v_mov_b32_e32 v49, v55
	v_pk_fma_f32 v[50:51], v[58:59], v[50:51], v[70:71] neg_lo:[0,0,1] neg_hi:[0,0,1]
	v_mov_b32_e32 v51, v69
	v_pk_fma_f32 v[54:55], v[60:61], v[52:53], v[74:75] op_sel_hi:[1,0,1]
	v_pk_fma_f32 v[52:53], v[60:61], v[52:53], v[74:75] neg_lo:[0,0,1] neg_hi:[0,0,1]
	v_pk_add_f32 v[46:47], v[46:47], v[48:49]
	s_wait_loadcnt_dscnt 0x100
	v_pk_mul_f32 v[48:49], v[72:73], v[62:63] op_sel:[1,1] op_sel_hi:[0,1]
	s_delay_alu instid0(VALU_DEP_2) | instskip(NEXT) | instid1(VALU_DEP_2)
	v_pk_add_f32 v[46:47], v[46:47], v[50:51]
	v_pk_fma_f32 v[50:51], v[72:73], v[62:63], v[48:49] op_sel_hi:[1,0,1]
	v_mov_b32_e32 v53, v55
	v_pk_fma_f32 v[48:49], v[72:73], v[62:63], v[48:49] neg_lo:[0,0,1] neg_hi:[0,0,1]
	s_delay_alu instid0(VALU_DEP_3) | instskip(NEXT) | instid1(VALU_DEP_3)
	v_mov_b32_e32 v49, v51
	v_pk_add_f32 v[46:47], v[46:47], v[52:53]
	s_delay_alu instid0(VALU_DEP_1) | instskip(SKIP_1) | instid1(VALU_DEP_1)
	v_pk_add_f32 v[46:47], v[46:47], v[48:49]
	s_wait_loadcnt 0x0
	v_pk_add_f32 v[46:47], v[64:65], v[46:47] neg_lo:[0,1] neg_hi:[0,1]
	scratch_store_b64 off, v[46:47], off offset:128
	s_wait_xcnt 0x0
	v_cmpx_lt_u32_e32 15, v0
	s_cbranch_execz .LBB21_115
; %bb.114:
	scratch_load_b64 v[46:47], off, off offset:120
	v_mov_b64_e32 v[48:49], 0
	scratch_store_b64 off, v[48:49], off offset:120
	s_wait_loadcnt 0x0
	ds_store_b64 v1, v[46:47]
.LBB21_115:
	s_wait_xcnt 0x0
	s_or_b32 exec_lo, exec_lo, s0
	s_wait_storecnt_dscnt 0x0
	s_barrier_signal -1
	s_barrier_wait -1
	s_clause 0x3
	scratch_load_b128 v[46:49], off, off offset:128
	scratch_load_b128 v[50:53], off, off offset:144
	;; [unrolled: 1-line block ×3, first 2 shown]
	scratch_load_b64 v[70:71], off, off offset:120
	ds_load_b128 v[58:61], v7 offset:304
	ds_load_b128 v[62:65], v7 offset:320
	;; [unrolled: 1-line block ×3, first 2 shown]
	s_mov_b32 s0, exec_lo
	s_wait_dscnt 0x2
	v_dual_mov_b32 v72, v61 :: v_dual_mov_b32 v73, v60
	s_wait_dscnt 0x1
	v_dual_mov_b32 v74, v65 :: v_dual_mov_b32 v75, v64
	s_wait_dscnt 0x0
	v_dual_mov_b32 v80, v69 :: v_dual_mov_b32 v81, v68
	s_wait_loadcnt 0x3
	v_pk_mul_f32 v[76:77], v[58:59], v[46:47] op_sel:[1,1] op_sel_hi:[0,1]
	v_mov_b32_e32 v78, v49
	s_delay_alu instid0(VALU_DEP_2) | instskip(NEXT) | instid1(VALU_DEP_2)
	v_pk_fma_f32 v[82:83], v[58:59], v[46:47], v[76:77] op_sel_hi:[1,0,1]
	v_pk_mul_f32 v[72:73], v[72:73], v[78:79] op_sel_hi:[1,0]
	v_pk_fma_f32 v[46:47], v[58:59], v[46:47], v[76:77] neg_lo:[0,0,1] neg_hi:[0,0,1]
	s_wait_loadcnt 0x2
	v_pk_mul_f32 v[78:79], v[62:63], v[50:51] op_sel:[1,1] op_sel_hi:[0,1]
	v_mov_b32_e32 v82, v53
	v_pk_fma_f32 v[58:59], v[60:61], v[48:49], v[72:73] op_sel_hi:[1,0,1]
	v_mov_b32_e32 v47, v83
	v_pk_fma_f32 v[48:49], v[60:61], v[48:49], v[72:73] neg_lo:[0,0,1] neg_hi:[0,0,1]
	v_pk_fma_f32 v[76:77], v[62:63], v[50:51], v[78:79] op_sel_hi:[1,0,1]
	v_pk_mul_f32 v[74:75], v[74:75], v[82:83] op_sel_hi:[1,0]
	v_mov_b32_e32 v49, v59
	v_pk_add_f32 v[46:47], v[46:47], 0 op_sel_hi:[1,0]
	v_pk_fma_f32 v[50:51], v[62:63], v[50:51], v[78:79] neg_lo:[0,0,1] neg_hi:[0,0,1]
	s_wait_loadcnt 0x1
	v_pk_mul_f32 v[58:59], v[66:67], v[54:55] op_sel:[1,1] op_sel_hi:[0,1]
	v_mov_b32_e32 v51, v77
	v_pk_fma_f32 v[60:61], v[64:65], v[52:53], v[74:75] op_sel_hi:[1,0,1]
	v_pk_add_f32 v[46:47], v[46:47], v[48:49]
	v_mov_b32_e32 v48, v57
	v_pk_fma_f32 v[52:53], v[64:65], v[52:53], v[74:75] neg_lo:[0,0,1] neg_hi:[0,0,1]
	v_pk_fma_f32 v[62:63], v[66:67], v[54:55], v[58:59] op_sel_hi:[1,0,1]
	v_mov_b32_e32 v53, v61
	v_pk_add_f32 v[46:47], v[46:47], v[50:51]
	v_pk_mul_f32 v[48:49], v[80:81], v[48:49] op_sel_hi:[1,0]
	v_pk_fma_f32 v[50:51], v[66:67], v[54:55], v[58:59] neg_lo:[0,0,1] neg_hi:[0,0,1]
	v_mov_b32_e32 v51, v63
	s_delay_alu instid0(VALU_DEP_4) | instskip(NEXT) | instid1(VALU_DEP_4)
	v_pk_add_f32 v[46:47], v[46:47], v[52:53]
	v_pk_fma_f32 v[52:53], v[68:69], v[56:57], v[48:49] op_sel_hi:[1,0,1]
	v_pk_fma_f32 v[48:49], v[68:69], v[56:57], v[48:49] neg_lo:[0,0,1] neg_hi:[0,0,1]
	s_delay_alu instid0(VALU_DEP_3) | instskip(NEXT) | instid1(VALU_DEP_3)
	v_pk_add_f32 v[46:47], v[46:47], v[50:51]
	v_mov_b32_e32 v49, v53
	s_delay_alu instid0(VALU_DEP_1) | instskip(SKIP_1) | instid1(VALU_DEP_1)
	v_pk_add_f32 v[46:47], v[46:47], v[48:49]
	s_wait_loadcnt 0x0
	v_pk_add_f32 v[46:47], v[70:71], v[46:47] neg_lo:[0,1] neg_hi:[0,1]
	scratch_store_b64 off, v[46:47], off offset:120
	s_wait_xcnt 0x0
	v_cmpx_lt_u32_e32 14, v0
	s_cbranch_execz .LBB21_117
; %bb.116:
	scratch_load_b64 v[46:47], off, off offset:112
	v_mov_b64_e32 v[48:49], 0
	scratch_store_b64 off, v[48:49], off offset:112
	s_wait_loadcnt 0x0
	ds_store_b64 v1, v[46:47]
.LBB21_117:
	s_wait_xcnt 0x0
	s_or_b32 exec_lo, exec_lo, s0
	s_wait_storecnt_dscnt 0x0
	s_barrier_signal -1
	s_barrier_wait -1
	s_clause 0x4
	scratch_load_b128 v[46:49], off, off offset:120
	scratch_load_b128 v[50:53], off, off offset:136
	;; [unrolled: 1-line block ×3, first 2 shown]
	scratch_load_b64 v[70:71], off, off offset:168
	scratch_load_b64 v[72:73], off, off offset:112
	v_mov_b32_e32 v7, 0
	ds_load_2addr_b64 v[58:61], v7 offset0:37 offset1:38
	ds_load_2addr_b64 v[62:65], v7 offset0:39 offset1:40
	;; [unrolled: 1-line block ×3, first 2 shown]
	ds_load_b64 v[74:75], v7 offset:344
	s_mov_b32 s0, exec_lo
	s_wait_dscnt 0x3
	v_dual_mov_b32 v76, v61 :: v_dual_mov_b32 v77, v60
	s_wait_dscnt 0x2
	v_dual_mov_b32 v78, v65 :: v_dual_mov_b32 v79, v64
	;; [unrolled: 2-line block ×3, first 2 shown]
	s_wait_loadcnt 0x4
	v_pk_mul_f32 v[80:81], v[58:59], v[46:47] op_sel:[1,1] op_sel_hi:[0,1]
	v_mov_b32_e32 v82, v49
	s_wait_loadcnt 0x3
	v_pk_mul_f32 v[86:87], v[62:63], v[50:51] op_sel:[1,1] op_sel_hi:[0,1]
	s_wait_loadcnt 0x2
	v_pk_mul_f32 v[90:91], v[66:67], v[54:55] op_sel:[1,1] op_sel_hi:[0,1]
	v_pk_fma_f32 v[88:89], v[58:59], v[46:47], v[80:81] op_sel_hi:[1,0,1]
	v_pk_mul_f32 v[76:77], v[76:77], v[82:83] op_sel_hi:[1,0]
	v_pk_fma_f32 v[46:47], v[58:59], v[46:47], v[80:81] neg_lo:[0,0,1] neg_hi:[0,0,1]
	v_mov_b32_e32 v82, v53
	v_pk_fma_f32 v[80:81], v[62:63], v[50:51], v[86:87] op_sel_hi:[1,0,1]
	v_mov_b32_e32 v47, v89
	v_pk_fma_f32 v[58:59], v[60:61], v[48:49], v[76:77] op_sel_hi:[1,0,1]
	v_pk_fma_f32 v[48:49], v[60:61], v[48:49], v[76:77] neg_lo:[0,0,1] neg_hi:[0,0,1]
	v_pk_mul_f32 v[78:79], v[78:79], v[82:83] op_sel_hi:[1,0]
	v_pk_fma_f32 v[50:51], v[62:63], v[50:51], v[86:87] neg_lo:[0,0,1] neg_hi:[0,0,1]
	v_pk_add_f32 v[46:47], v[46:47], 0 op_sel_hi:[1,0]
	v_dual_mov_b32 v49, v59 :: v_dual_mov_b32 v58, v57
	s_delay_alu instid0(VALU_DEP_4) | instskip(SKIP_2) | instid1(VALU_DEP_4)
	v_pk_fma_f32 v[60:61], v[64:65], v[52:53], v[78:79] op_sel_hi:[1,0,1]
	v_mov_b32_e32 v51, v81
	v_pk_fma_f32 v[52:53], v[64:65], v[52:53], v[78:79] neg_lo:[0,0,1] neg_hi:[0,0,1]
	v_pk_add_f32 v[46:47], v[46:47], v[48:49]
	v_pk_fma_f32 v[48:49], v[66:67], v[54:55], v[90:91] op_sel_hi:[1,0,1]
	v_pk_mul_f32 v[58:59], v[84:85], v[58:59] op_sel_hi:[1,0]
	v_mov_b32_e32 v53, v61
	s_delay_alu instid0(VALU_DEP_4)
	v_pk_add_f32 v[46:47], v[46:47], v[50:51]
	v_pk_fma_f32 v[50:51], v[66:67], v[54:55], v[90:91] neg_lo:[0,0,1] neg_hi:[0,0,1]
	v_mov_b32_e32 v51, v49
	v_pk_fma_f32 v[48:49], v[68:69], v[56:57], v[58:59] op_sel_hi:[1,0,1]
	v_pk_fma_f32 v[54:55], v[68:69], v[56:57], v[58:59] neg_lo:[0,0,1] neg_hi:[0,0,1]
	v_pk_add_f32 v[46:47], v[46:47], v[52:53]
	s_wait_loadcnt_dscnt 0x100
	v_pk_mul_f32 v[52:53], v[74:75], v[70:71] op_sel:[1,1] op_sel_hi:[0,1]
	v_mov_b32_e32 v55, v49
	s_delay_alu instid0(VALU_DEP_3) | instskip(NEXT) | instid1(VALU_DEP_3)
	v_pk_add_f32 v[46:47], v[46:47], v[50:51]
	v_pk_fma_f32 v[48:49], v[74:75], v[70:71], v[52:53] op_sel_hi:[1,0,1]
	v_pk_fma_f32 v[50:51], v[74:75], v[70:71], v[52:53] neg_lo:[0,0,1] neg_hi:[0,0,1]
	s_delay_alu instid0(VALU_DEP_3) | instskip(NEXT) | instid1(VALU_DEP_3)
	v_pk_add_f32 v[46:47], v[46:47], v[54:55]
	v_mov_b32_e32 v51, v49
	s_delay_alu instid0(VALU_DEP_1) | instskip(SKIP_1) | instid1(VALU_DEP_1)
	v_pk_add_f32 v[46:47], v[46:47], v[50:51]
	s_wait_loadcnt 0x0
	v_pk_add_f32 v[46:47], v[72:73], v[46:47] neg_lo:[0,1] neg_hi:[0,1]
	scratch_store_b64 off, v[46:47], off offset:112
	s_wait_xcnt 0x0
	v_cmpx_lt_u32_e32 13, v0
	s_cbranch_execz .LBB21_119
; %bb.118:
	scratch_load_b64 v[46:47], off, off offset:104
	v_mov_b64_e32 v[48:49], 0
	scratch_store_b64 off, v[48:49], off offset:104
	s_wait_loadcnt 0x0
	ds_store_b64 v1, v[46:47]
.LBB21_119:
	s_wait_xcnt 0x0
	s_or_b32 exec_lo, exec_lo, s0
	s_wait_storecnt_dscnt 0x0
	s_barrier_signal -1
	s_barrier_wait -1
	s_clause 0x4
	scratch_load_b128 v[46:49], off, off offset:112
	scratch_load_b128 v[50:53], off, off offset:128
	;; [unrolled: 1-line block ×4, first 2 shown]
	scratch_load_b64 v[78:79], off, off offset:104
	ds_load_b128 v[62:65], v7 offset:288
	ds_load_b128 v[66:69], v7 offset:304
	;; [unrolled: 1-line block ×4, first 2 shown]
	s_mov_b32 s0, exec_lo
	s_wait_dscnt 0x3
	v_dual_mov_b32 v80, v65 :: v_dual_mov_b32 v81, v64
	s_wait_dscnt 0x2
	v_dual_mov_b32 v82, v69 :: v_dual_mov_b32 v83, v68
	;; [unrolled: 2-line block ×3, first 2 shown]
	v_dual_mov_b32 v85, v72 :: v_dual_mov_b32 v90, v77
	s_wait_loadcnt 0x4
	v_mov_b32_e32 v88, v49
	v_pk_mul_f32 v[86:87], v[62:63], v[46:47] op_sel:[1,1] op_sel_hi:[0,1]
	s_wait_loadcnt 0x3
	v_pk_mul_f32 v[92:93], v[66:67], v[50:51] op_sel:[1,1] op_sel_hi:[0,1]
	s_wait_loadcnt 0x2
	v_pk_mul_f32 v[96:97], v[70:71], v[54:55] op_sel:[1,1] op_sel_hi:[0,1]
	v_pk_mul_f32 v[80:81], v[80:81], v[88:89] op_sel_hi:[1,0]
	v_pk_fma_f32 v[94:95], v[62:63], v[46:47], v[86:87] op_sel_hi:[1,0,1]
	v_pk_fma_f32 v[46:47], v[62:63], v[46:47], v[86:87] neg_lo:[0,0,1] neg_hi:[0,0,1]
	v_mov_b32_e32 v88, v53
	v_pk_fma_f32 v[86:87], v[66:67], v[50:51], v[92:93] op_sel_hi:[1,0,1]
	v_pk_fma_f32 v[62:63], v[64:65], v[48:49], v[80:81] op_sel_hi:[1,0,1]
	v_mov_b32_e32 v47, v95
	v_pk_fma_f32 v[48:49], v[64:65], v[48:49], v[80:81] neg_lo:[0,0,1] neg_hi:[0,0,1]
	v_pk_mul_f32 v[82:83], v[82:83], v[88:89] op_sel_hi:[1,0]
	s_delay_alu instid0(VALU_DEP_4) | instskip(NEXT) | instid1(VALU_DEP_4)
	v_dual_mov_b32 v62, v57 :: v_dual_mov_b32 v49, v63
	v_pk_add_f32 v[46:47], v[46:47], 0 op_sel_hi:[1,0]
	v_pk_fma_f32 v[50:51], v[66:67], v[50:51], v[92:93] neg_lo:[0,0,1] neg_hi:[0,0,1]
	v_mov_b32_e32 v51, v87
	v_pk_fma_f32 v[64:65], v[68:69], v[52:53], v[82:83] op_sel_hi:[1,0,1]
	v_pk_mul_f32 v[62:63], v[84:85], v[62:63] op_sel_hi:[1,0]
	v_pk_add_f32 v[46:47], v[46:47], v[48:49]
	v_pk_fma_f32 v[48:49], v[70:71], v[54:55], v[96:97] op_sel_hi:[1,0,1]
	v_pk_fma_f32 v[52:53], v[68:69], v[52:53], v[82:83] neg_lo:[0,0,1] neg_hi:[0,0,1]
	v_mov_b32_e32 v53, v65
	v_pk_fma_f32 v[54:55], v[70:71], v[54:55], v[96:97] neg_lo:[0,0,1] neg_hi:[0,0,1]
	v_pk_add_f32 v[46:47], v[46:47], v[50:51]
	v_mov_b32_e32 v55, v49
	v_pk_fma_f32 v[48:49], v[72:73], v[56:57], v[62:63] op_sel_hi:[1,0,1]
	s_wait_loadcnt 0x1
	v_pk_mul_f32 v[50:51], v[74:75], v[58:59] op_sel:[1,1] op_sel_hi:[0,1]
	v_mov_b32_e32 v48, v61
	v_pk_add_f32 v[46:47], v[46:47], v[52:53]
	v_pk_fma_f32 v[56:57], v[72:73], v[56:57], v[62:63] neg_lo:[0,0,1] neg_hi:[0,0,1]
	v_mov_b32_e32 v57, v49
	v_pk_fma_f32 v[52:53], v[74:75], v[58:59], v[50:51] op_sel_hi:[1,0,1]
	v_pk_mul_f32 v[48:49], v[90:91], v[48:49] op_sel_hi:[1,0]
	v_pk_add_f32 v[46:47], v[46:47], v[54:55]
	v_pk_fma_f32 v[50:51], v[74:75], v[58:59], v[50:51] neg_lo:[0,0,1] neg_hi:[0,0,1]
	s_delay_alu instid0(VALU_DEP_4) | instskip(NEXT) | instid1(VALU_DEP_4)
	v_mov_b32_e32 v51, v53
	v_pk_fma_f32 v[52:53], v[76:77], v[60:61], v[48:49] op_sel_hi:[1,0,1]
	s_delay_alu instid0(VALU_DEP_4) | instskip(SKIP_1) | instid1(VALU_DEP_3)
	v_pk_add_f32 v[46:47], v[46:47], v[56:57]
	v_pk_fma_f32 v[48:49], v[76:77], v[60:61], v[48:49] neg_lo:[0,0,1] neg_hi:[0,0,1]
	v_mov_b32_e32 v49, v53
	s_delay_alu instid0(VALU_DEP_3) | instskip(NEXT) | instid1(VALU_DEP_1)
	v_pk_add_f32 v[46:47], v[46:47], v[50:51]
	v_pk_add_f32 v[46:47], v[46:47], v[48:49]
	s_wait_loadcnt 0x0
	s_delay_alu instid0(VALU_DEP_1)
	v_pk_add_f32 v[46:47], v[78:79], v[46:47] neg_lo:[0,1] neg_hi:[0,1]
	scratch_store_b64 off, v[46:47], off offset:104
	s_wait_xcnt 0x0
	v_cmpx_lt_u32_e32 12, v0
	s_cbranch_execz .LBB21_121
; %bb.120:
	scratch_load_b64 v[46:47], off, off offset:96
	v_mov_b64_e32 v[48:49], 0
	scratch_store_b64 off, v[48:49], off offset:96
	s_wait_loadcnt 0x0
	ds_store_b64 v1, v[46:47]
.LBB21_121:
	s_wait_xcnt 0x0
	s_or_b32 exec_lo, exec_lo, s0
	s_wait_storecnt_dscnt 0x0
	s_barrier_signal -1
	s_barrier_wait -1
	s_clause 0x5
	scratch_load_b128 v[46:49], off, off offset:104
	scratch_load_b128 v[50:53], off, off offset:120
	;; [unrolled: 1-line block ×4, first 2 shown]
	scratch_load_b64 v[78:79], off, off offset:168
	scratch_load_b64 v[80:81], off, off offset:96
	v_mov_b32_e32 v7, 0
	ds_load_2addr_b64 v[62:65], v7 offset0:35 offset1:36
	ds_load_2addr_b64 v[66:69], v7 offset0:37 offset1:38
	;; [unrolled: 1-line block ×4, first 2 shown]
	ds_load_b64 v[82:83], v7 offset:344
	s_mov_b32 s0, exec_lo
	s_wait_dscnt 0x4
	v_dual_mov_b32 v84, v65 :: v_dual_mov_b32 v85, v64
	s_wait_dscnt 0x1
	v_dual_mov_b32 v86, v69 :: v_dual_mov_b32 v91, v76
	v_dual_mov_b32 v87, v68 :: v_dual_mov_b32 v88, v73
	;; [unrolled: 1-line block ×3, first 2 shown]
	s_wait_loadcnt 0x5
	v_dual_mov_b32 v92, v49 :: v_dual_mul_f32 v93, v62, v47
	v_mul_f32_e32 v9, v63, v47
	s_wait_loadcnt 0x4
	v_pk_mul_f32 v[94:95], v[66:67], v[50:51] op_sel:[1,1] op_sel_hi:[0,1]
	v_mov_b32_e32 v96, v53
	s_wait_loadcnt 0x3
	v_pk_mul_f32 v[98:99], v[70:71], v[54:55] op_sel:[1,1] op_sel_hi:[0,1]
	v_pk_mul_f32 v[84:85], v[84:85], v[92:93] op_sel_hi:[1,0]
	v_fmac_f32_e32 v93, v63, v46
	v_dual_fma_f32 v92, v62, v46, -v9 :: v_dual_mov_b32 v46, v57
	v_pk_fma_f32 v[100:101], v[66:67], v[50:51], v[94:95] op_sel_hi:[1,0,1]
	s_delay_alu instid0(VALU_DEP_4)
	v_pk_fma_f32 v[62:63], v[64:65], v[48:49], v[84:85] op_sel_hi:[1,0,1]
	v_pk_fma_f32 v[48:49], v[64:65], v[48:49], v[84:85] neg_lo:[0,0,1] neg_hi:[0,0,1]
	v_pk_mul_f32 v[86:87], v[86:87], v[96:97] op_sel_hi:[1,0]
	v_pk_add_f32 v[92:93], v[92:93], 0 op_sel_hi:[1,0]
	v_pk_fma_f32 v[50:51], v[66:67], v[50:51], v[94:95] neg_lo:[0,0,1] neg_hi:[0,0,1]
	v_dual_mov_b32 v49, v63 :: v_dual_mov_b32 v51, v101
	s_delay_alu instid0(VALU_DEP_4) | instskip(SKIP_2) | instid1(VALU_DEP_4)
	v_pk_fma_f32 v[64:65], v[68:69], v[52:53], v[86:87] op_sel_hi:[1,0,1]
	v_pk_fma_f32 v[52:53], v[68:69], v[52:53], v[86:87] neg_lo:[0,0,1] neg_hi:[0,0,1]
	v_pk_fma_f32 v[66:67], v[70:71], v[54:55], v[98:99] op_sel_hi:[1,0,1]
	v_pk_add_f32 v[48:49], v[92:93], v[48:49]
	v_pk_mul_f32 v[46:47], v[88:89], v[46:47] op_sel_hi:[1,0]
	v_mov_b32_e32 v53, v65
	v_pk_fma_f32 v[54:55], v[70:71], v[54:55], v[98:99] neg_lo:[0,0,1] neg_hi:[0,0,1]
	s_wait_loadcnt 0x2
	v_pk_mul_f32 v[62:63], v[74:75], v[58:59] op_sel:[1,1] op_sel_hi:[0,1]
	v_pk_add_f32 v[48:49], v[48:49], v[50:51]
	v_mov_b32_e32 v50, v61
	v_pk_fma_f32 v[64:65], v[72:73], v[56:57], v[46:47] op_sel_hi:[1,0,1]
	v_mov_b32_e32 v55, v67
	v_pk_fma_f32 v[46:47], v[72:73], v[56:57], v[46:47] neg_lo:[0,0,1] neg_hi:[0,0,1]
	v_pk_add_f32 v[48:49], v[48:49], v[52:53]
	v_pk_fma_f32 v[52:53], v[74:75], v[58:59], v[62:63] op_sel_hi:[1,0,1]
	v_pk_mul_f32 v[50:51], v[90:91], v[50:51] op_sel_hi:[1,0]
	v_mov_b32_e32 v47, v65
	s_delay_alu instid0(VALU_DEP_4)
	v_pk_add_f32 v[48:49], v[48:49], v[54:55]
	v_pk_fma_f32 v[54:55], v[74:75], v[58:59], v[62:63] neg_lo:[0,0,1] neg_hi:[0,0,1]
	v_mov_b32_e32 v55, v53
	v_pk_fma_f32 v[52:53], v[76:77], v[60:61], v[50:51] op_sel_hi:[1,0,1]
	v_pk_fma_f32 v[50:51], v[76:77], v[60:61], v[50:51] neg_lo:[0,0,1] neg_hi:[0,0,1]
	v_pk_add_f32 v[46:47], v[48:49], v[46:47]
	s_wait_loadcnt_dscnt 0x100
	v_pk_mul_f32 v[48:49], v[82:83], v[78:79] op_sel:[1,1] op_sel_hi:[0,1]
	v_mov_b32_e32 v51, v53
	s_delay_alu instid0(VALU_DEP_3) | instskip(NEXT) | instid1(VALU_DEP_3)
	v_pk_add_f32 v[46:47], v[46:47], v[54:55]
	v_pk_fma_f32 v[52:53], v[82:83], v[78:79], v[48:49] op_sel_hi:[1,0,1]
	v_pk_fma_f32 v[48:49], v[82:83], v[78:79], v[48:49] neg_lo:[0,0,1] neg_hi:[0,0,1]
	s_delay_alu instid0(VALU_DEP_3) | instskip(NEXT) | instid1(VALU_DEP_3)
	v_pk_add_f32 v[46:47], v[46:47], v[50:51]
	v_mov_b32_e32 v49, v53
	s_delay_alu instid0(VALU_DEP_1) | instskip(SKIP_1) | instid1(VALU_DEP_1)
	v_pk_add_f32 v[46:47], v[46:47], v[48:49]
	s_wait_loadcnt 0x0
	v_pk_add_f32 v[46:47], v[80:81], v[46:47] neg_lo:[0,1] neg_hi:[0,1]
	scratch_store_b64 off, v[46:47], off offset:96
	s_wait_xcnt 0x0
	v_cmpx_lt_u32_e32 11, v0
	s_cbranch_execz .LBB21_123
; %bb.122:
	scratch_load_b64 v[46:47], off, off offset:88
	v_mov_b64_e32 v[48:49], 0
	scratch_store_b64 off, v[48:49], off offset:88
	s_wait_loadcnt 0x0
	ds_store_b64 v1, v[46:47]
.LBB21_123:
	s_wait_xcnt 0x0
	s_or_b32 exec_lo, exec_lo, s0
	s_wait_storecnt_dscnt 0x0
	s_barrier_signal -1
	s_barrier_wait -1
	s_clause 0x5
	scratch_load_b128 v[46:49], off, off offset:96
	scratch_load_b128 v[50:53], off, off offset:112
	;; [unrolled: 1-line block ×5, first 2 shown]
	scratch_load_b64 v[86:87], off, off offset:88
	ds_load_b128 v[66:69], v7 offset:288
	ds_load_b128 v[70:73], v7 offset:304
	;; [unrolled: 1-line block ×5, first 2 shown]
	s_mov_b32 s0, exec_lo
	s_wait_dscnt 0x4
	v_dual_mov_b32 v88, v69 :: v_dual_mov_b32 v89, v68
	s_wait_dscnt 0x3
	v_dual_mov_b32 v90, v73 :: v_dual_mov_b32 v91, v72
	s_wait_dscnt 0x2
	v_dual_mov_b32 v92, v77 :: v_dual_mov_b32 v93, v76
	s_wait_dscnt 0x1
	v_dual_mov_b32 v94, v81 :: v_dual_mov_b32 v95, v80
	s_wait_loadcnt_dscnt 0x500
	v_dual_mul_f32 v97, v82, v47 :: v_dual_mul_f32 v99, v84, v49
	v_dual_mul_f32 v7, v83, v47 :: v_dual_mul_f32 v9, v85, v49
	s_wait_loadcnt 0x4
	v_pk_mul_f32 v[100:101], v[66:67], v[50:51] op_sel:[1,1] op_sel_hi:[0,1]
	s_wait_loadcnt 0x3
	v_dual_mov_b32 v102, v53 :: v_dual_mov_b32 v106, v57
	v_dual_fmac_f32 v97, v83, v46 :: v_dual_fma_f32 v96, v82, v46, -v7
	v_dual_fmac_f32 v99, v85, v48 :: v_dual_fma_f32 v98, v84, v48, -v9
	v_pk_fma_f32 v[46:47], v[66:67], v[50:51], v[100:101] op_sel_hi:[1,0,1]
	s_delay_alu instid0(VALU_DEP_4) | instskip(NEXT) | instid1(VALU_DEP_4)
	v_pk_mul_f32 v[48:49], v[88:89], v[102:103] op_sel_hi:[1,0]
	v_pk_add_f32 v[82:83], v[96:97], 0 op_sel_hi:[1,0]
	v_pk_fma_f32 v[50:51], v[66:67], v[50:51], v[100:101] neg_lo:[0,0,1] neg_hi:[0,0,1]
	v_pk_mul_f32 v[104:105], v[70:71], v[54:55] op_sel:[1,1] op_sel_hi:[0,1]
	v_mov_b32_e32 v51, v47
	v_pk_fma_f32 v[46:47], v[68:69], v[52:53], v[48:49] op_sel_hi:[1,0,1]
	v_pk_add_f32 v[66:67], v[82:83], v[98:99]
	v_pk_fma_f32 v[48:49], v[68:69], v[52:53], v[48:49] neg_lo:[0,0,1] neg_hi:[0,0,1]
	v_pk_fma_f32 v[82:83], v[70:71], v[54:55], v[104:105] op_sel_hi:[1,0,1]
	v_pk_mul_f32 v[88:89], v[90:91], v[106:107] op_sel_hi:[1,0]
	v_mov_b32_e32 v49, v47
	v_pk_add_f32 v[46:47], v[66:67], v[50:51]
	s_wait_loadcnt 0x2
	v_pk_mul_f32 v[84:85], v[74:75], v[58:59] op_sel:[1,1] op_sel_hi:[0,1]
	v_mov_b32_e32 v50, v61
	v_pk_fma_f32 v[52:53], v[70:71], v[54:55], v[104:105] neg_lo:[0,0,1] neg_hi:[0,0,1]
	v_mov_b32_e32 v53, v83
	v_pk_fma_f32 v[54:55], v[72:73], v[56:57], v[88:89] op_sel_hi:[1,0,1]
	v_pk_add_f32 v[46:47], v[46:47], v[48:49]
	v_pk_fma_f32 v[48:49], v[74:75], v[58:59], v[84:85] op_sel_hi:[1,0,1]
	v_pk_mul_f32 v[50:51], v[92:93], v[50:51] op_sel_hi:[1,0]
	v_pk_fma_f32 v[56:57], v[72:73], v[56:57], v[88:89] neg_lo:[0,0,1] neg_hi:[0,0,1]
	v_mov_b32_e32 v57, v55
	v_pk_add_f32 v[46:47], v[46:47], v[52:53]
	v_pk_fma_f32 v[54:55], v[74:75], v[58:59], v[84:85] neg_lo:[0,0,1] neg_hi:[0,0,1]
	v_mov_b32_e32 v55, v49
	v_pk_fma_f32 v[48:49], v[76:77], v[60:61], v[50:51] op_sel_hi:[1,0,1]
	s_wait_loadcnt 0x1
	v_pk_mul_f32 v[52:53], v[78:79], v[62:63] op_sel:[1,1] op_sel_hi:[0,1]
	v_pk_add_f32 v[46:47], v[46:47], v[56:57]
	v_mov_b32_e32 v48, v65
	v_pk_fma_f32 v[50:51], v[76:77], v[60:61], v[50:51] neg_lo:[0,0,1] neg_hi:[0,0,1]
	v_mov_b32_e32 v51, v49
	v_pk_fma_f32 v[56:57], v[78:79], v[62:63], v[52:53] op_sel_hi:[1,0,1]
	v_pk_add_f32 v[46:47], v[46:47], v[54:55]
	v_pk_mul_f32 v[48:49], v[94:95], v[48:49] op_sel_hi:[1,0]
	v_pk_fma_f32 v[52:53], v[78:79], v[62:63], v[52:53] neg_lo:[0,0,1] neg_hi:[0,0,1]
	s_delay_alu instid0(VALU_DEP_3) | instskip(NEXT) | instid1(VALU_DEP_3)
	v_pk_add_f32 v[46:47], v[46:47], v[50:51]
	v_pk_fma_f32 v[50:51], v[80:81], v[64:65], v[48:49] op_sel_hi:[1,0,1]
	v_mov_b32_e32 v53, v57
	v_pk_fma_f32 v[48:49], v[80:81], v[64:65], v[48:49] neg_lo:[0,0,1] neg_hi:[0,0,1]
	s_delay_alu instid0(VALU_DEP_3) | instskip(NEXT) | instid1(VALU_DEP_3)
	v_mov_b32_e32 v49, v51
	v_pk_add_f32 v[46:47], v[46:47], v[52:53]
	s_delay_alu instid0(VALU_DEP_1) | instskip(SKIP_1) | instid1(VALU_DEP_1)
	v_pk_add_f32 v[46:47], v[46:47], v[48:49]
	s_wait_loadcnt 0x0
	v_pk_add_f32 v[46:47], v[86:87], v[46:47] neg_lo:[0,1] neg_hi:[0,1]
	scratch_store_b64 off, v[46:47], off offset:88
	s_wait_xcnt 0x0
	v_cmpx_lt_u32_e32 10, v0
	s_cbranch_execz .LBB21_125
; %bb.124:
	scratch_load_b64 v[46:47], off, off offset:80
	v_mov_b64_e32 v[48:49], 0
	scratch_store_b64 off, v[48:49], off offset:80
	s_wait_loadcnt 0x0
	ds_store_b64 v1, v[46:47]
.LBB21_125:
	s_wait_xcnt 0x0
	s_or_b32 exec_lo, exec_lo, s0
	s_wait_storecnt_dscnt 0x0
	s_barrier_signal -1
	s_barrier_wait -1
	s_clause 0x6
	scratch_load_b128 v[46:49], off, off offset:88
	scratch_load_b128 v[50:53], off, off offset:104
	;; [unrolled: 1-line block ×5, first 2 shown]
	scratch_load_b64 v[86:87], off, off offset:168
	scratch_load_b64 v[88:89], off, off offset:80
	v_mov_b32_e32 v7, 0
	ds_load_2addr_b64 v[66:69], v7 offset0:35 offset1:36
	ds_load_2addr_b64 v[70:73], v7 offset0:37 offset1:38
	;; [unrolled: 1-line block ×5, first 2 shown]
	ds_load_b64 v[90:91], v7 offset:344
	s_mov_b32 s0, exec_lo
	s_wait_dscnt 0x5
	v_dual_mov_b32 v92, v69 :: v_dual_mov_b32 v93, v68
	s_wait_dscnt 0x2
	v_dual_mov_b32 v94, v73 :: v_dual_mov_b32 v99, v80
	v_dual_mov_b32 v95, v72 :: v_dual_mov_b32 v96, v77
	;; [unrolled: 1-line block ×3, first 2 shown]
	s_wait_loadcnt_dscnt 0x601
	v_dual_mul_f32 v9, v82, v47 :: v_dual_mul_f32 v11, v83, v47
	v_dual_mul_f32 v13, v85, v49 :: v_dual_mul_f32 v101, v84, v49
	s_wait_loadcnt 0x5
	v_dual_mul_f32 v103, v66, v51 :: v_dual_mul_f32 v15, v67, v51
	s_wait_loadcnt 0x4
	v_dual_mov_b32 v102, v53 :: v_dual_mov_b32 v106, v57
	v_dual_fmac_f32 v9, v83, v46 :: v_dual_fma_f32 v11, v82, v46, -v11
	v_fmac_f32_e32 v101, v85, v48
	v_pk_mul_f32 v[104:105], v[70:71], v[54:55] op_sel:[1,1] op_sel_hi:[0,1]
	s_delay_alu instid0(VALU_DEP_3)
	v_dual_fma_f32 v100, v84, v48, -v13 :: v_dual_add_f32 v49, 0, v9
	v_pk_mul_f32 v[46:47], v[92:93], v[102:103] op_sel_hi:[1,0]
	s_wait_loadcnt 0x3
	v_dual_add_f32 v48, 0, v11 :: v_dual_mov_b32 v82, v61
	v_fmac_f32_e32 v103, v67, v50
	v_fma_f32 v102, v66, v50, -v15
	v_pk_fma_f32 v[50:51], v[68:69], v[52:53], v[46:47] op_sel_hi:[1,0,1]
	s_delay_alu instid0(VALU_DEP_4) | instskip(SKIP_4) | instid1(VALU_DEP_4)
	v_pk_add_f32 v[48:49], v[48:49], v[100:101]
	v_pk_fma_f32 v[66:67], v[70:71], v[54:55], v[104:105] op_sel_hi:[1,0,1]
	v_pk_fma_f32 v[46:47], v[68:69], v[52:53], v[46:47] neg_lo:[0,0,1] neg_hi:[0,0,1]
	v_pk_fma_f32 v[52:53], v[70:71], v[54:55], v[104:105] neg_lo:[0,0,1] neg_hi:[0,0,1]
	v_pk_mul_f32 v[84:85], v[94:95], v[106:107] op_sel_hi:[1,0]
	v_dual_mov_b32 v47, v51 :: v_dual_mov_b32 v53, v67
	v_pk_add_f32 v[48:49], v[48:49], v[102:103]
	v_pk_mul_f32 v[108:109], v[74:75], v[58:59] op_sel:[1,1] op_sel_hi:[0,1]
	s_delay_alu instid0(VALU_DEP_4)
	v_pk_fma_f32 v[54:55], v[72:73], v[56:57], v[84:85] op_sel_hi:[1,0,1]
	v_pk_fma_f32 v[56:57], v[72:73], v[56:57], v[84:85] neg_lo:[0,0,1] neg_hi:[0,0,1]
	v_pk_mul_f32 v[66:67], v[96:97], v[82:83] op_sel_hi:[1,0]
	v_pk_add_f32 v[46:47], v[48:49], v[46:47]
	v_pk_fma_f32 v[48:49], v[74:75], v[58:59], v[108:109] op_sel_hi:[1,0,1]
	s_wait_loadcnt 0x2
	v_dual_mov_b32 v57, v55 :: v_dual_mov_b32 v48, v65
	v_pk_mul_f32 v[50:51], v[78:79], v[62:63] op_sel:[1,1] op_sel_hi:[0,1]
	v_pk_add_f32 v[46:47], v[46:47], v[52:53]
	v_pk_fma_f32 v[52:53], v[74:75], v[58:59], v[108:109] neg_lo:[0,0,1] neg_hi:[0,0,1]
	v_pk_fma_f32 v[54:55], v[76:77], v[60:61], v[66:67] op_sel_hi:[1,0,1]
	v_mov_b32_e32 v53, v49
	v_pk_fma_f32 v[58:59], v[76:77], v[60:61], v[66:67] neg_lo:[0,0,1] neg_hi:[0,0,1]
	v_pk_add_f32 v[46:47], v[46:47], v[56:57]
	v_pk_fma_f32 v[56:57], v[78:79], v[62:63], v[50:51] op_sel_hi:[1,0,1]
	v_pk_mul_f32 v[48:49], v[98:99], v[48:49] op_sel_hi:[1,0]
	v_mov_b32_e32 v59, v55
	v_pk_fma_f32 v[50:51], v[78:79], v[62:63], v[50:51] neg_lo:[0,0,1] neg_hi:[0,0,1]
	v_pk_add_f32 v[46:47], v[46:47], v[52:53]
	s_wait_loadcnt_dscnt 0x100
	v_pk_mul_f32 v[54:55], v[90:91], v[86:87] op_sel:[1,1] op_sel_hi:[0,1]
	v_pk_fma_f32 v[52:53], v[80:81], v[64:65], v[48:49] op_sel_hi:[1,0,1]
	v_mov_b32_e32 v51, v57
	v_pk_fma_f32 v[48:49], v[80:81], v[64:65], v[48:49] neg_lo:[0,0,1] neg_hi:[0,0,1]
	v_pk_add_f32 v[46:47], v[46:47], v[58:59]
	s_delay_alu instid0(VALU_DEP_4) | instskip(SKIP_1) | instid1(VALU_DEP_3)
	v_mov_b32_e32 v49, v53
	v_pk_fma_f32 v[52:53], v[90:91], v[86:87], v[54:55] neg_lo:[0,0,1] neg_hi:[0,0,1]
	v_pk_add_f32 v[46:47], v[46:47], v[50:51]
	v_pk_fma_f32 v[50:51], v[90:91], v[86:87], v[54:55] op_sel_hi:[1,0,1]
	s_delay_alu instid0(VALU_DEP_2) | instskip(NEXT) | instid1(VALU_DEP_2)
	v_pk_add_f32 v[46:47], v[46:47], v[48:49]
	v_mov_b32_e32 v53, v51
	s_delay_alu instid0(VALU_DEP_1) | instskip(SKIP_1) | instid1(VALU_DEP_1)
	v_pk_add_f32 v[46:47], v[46:47], v[52:53]
	s_wait_loadcnt 0x0
	v_pk_add_f32 v[46:47], v[88:89], v[46:47] neg_lo:[0,1] neg_hi:[0,1]
	scratch_store_b64 off, v[46:47], off offset:80
	s_wait_xcnt 0x0
	v_cmpx_lt_u32_e32 9, v0
	s_cbranch_execz .LBB21_127
; %bb.126:
	scratch_load_b64 v[46:47], off, off offset:72
	v_mov_b64_e32 v[48:49], 0
	scratch_store_b64 off, v[48:49], off offset:72
	s_wait_loadcnt 0x0
	ds_store_b64 v1, v[46:47]
.LBB21_127:
	s_wait_xcnt 0x0
	s_or_b32 exec_lo, exec_lo, s0
	s_wait_storecnt_dscnt 0x0
	s_barrier_signal -1
	s_barrier_wait -1
	s_clause 0x6
	scratch_load_b128 v[46:49], off, off offset:80
	scratch_load_b128 v[50:53], off, off offset:96
	;; [unrolled: 1-line block ×6, first 2 shown]
	scratch_load_b64 v[94:95], off, off offset:72
	ds_load_b128 v[70:73], v7 offset:288
	ds_load_b128 v[74:77], v7 offset:304
	;; [unrolled: 1-line block ×6, first 2 shown]
	s_mov_b32 s0, exec_lo
	s_wait_dscnt 0x5
	v_dual_mov_b32 v96, v73 :: v_dual_mov_b32 v97, v72
	s_wait_dscnt 0x4
	v_dual_mov_b32 v98, v77 :: v_dual_mov_b32 v99, v76
	s_wait_dscnt 0x3
	v_dual_mov_b32 v100, v81 :: v_dual_mov_b32 v101, v80
	s_wait_dscnt 0x2
	v_dual_mov_b32 v102, v85 :: v_dual_mov_b32 v103, v84
	s_wait_loadcnt_dscnt 0x601
	v_dual_mul_f32 v7, v86, v47 :: v_dual_mul_f32 v9, v88, v49
	v_dual_mul_f32 v11, v87, v47 :: v_dual_mul_f32 v13, v89, v49
	s_wait_loadcnt 0x4
	s_delay_alu instid0(VALU_DEP_2)
	v_dual_mov_b32 v110, v57 :: v_dual_fmac_f32 v7, v87, v46
	s_wait_dscnt 0x0
	v_dual_mul_f32 v105, v90, v51 :: v_dual_mul_f32 v107, v92, v53
	v_dual_fma_f32 v11, v86, v46, -v11 :: v_dual_fmac_f32 v9, v89, v48
	v_dual_mul_f32 v15, v91, v51 :: v_dual_mul_f32 v17, v93, v53
	v_dual_fma_f32 v13, v88, v48, -v13 :: v_dual_add_f32 v7, 0, v7
	s_wait_loadcnt 0x3
	s_delay_alu instid0(VALU_DEP_3) | instskip(SKIP_3) | instid1(VALU_DEP_4)
	v_dual_add_f32 v11, 0, v11 :: v_dual_mov_b32 v48, v61
	v_pk_mul_f32 v[108:109], v[70:71], v[54:55] op_sel:[1,1] op_sel_hi:[0,1]
	v_dual_fmac_f32 v105, v91, v50 :: v_dual_fma_f32 v104, v90, v50, -v15
	v_dual_add_f32 v51, v7, v9 :: v_dual_fmac_f32 v107, v93, v52
	v_dual_add_f32 v50, v11, v13 :: v_dual_fma_f32 v106, v92, v52, -v17
	s_delay_alu instid0(VALU_DEP_4) | instskip(SKIP_2) | instid1(VALU_DEP_4)
	v_pk_fma_f32 v[52:53], v[70:71], v[54:55], v[108:109] op_sel_hi:[1,0,1]
	v_pk_mul_f32 v[86:87], v[96:97], v[110:111] op_sel_hi:[1,0]
	v_pk_fma_f32 v[54:55], v[70:71], v[54:55], v[108:109] neg_lo:[0,0,1] neg_hi:[0,0,1]
	v_pk_add_f32 v[50:51], v[50:51], v[104:105]
	v_pk_mul_f32 v[46:47], v[74:75], v[58:59] op_sel:[1,1] op_sel_hi:[0,1]
	v_mov_b32_e32 v55, v53
	v_pk_fma_f32 v[52:53], v[72:73], v[56:57], v[86:87] op_sel_hi:[1,0,1]
	v_pk_fma_f32 v[56:57], v[72:73], v[56:57], v[86:87] neg_lo:[0,0,1] neg_hi:[0,0,1]
	v_pk_add_f32 v[50:51], v[50:51], v[106:107]
	v_pk_fma_f32 v[70:71], v[74:75], v[58:59], v[46:47] op_sel_hi:[1,0,1]
	v_pk_mul_f32 v[48:49], v[98:99], v[48:49] op_sel_hi:[1,0]
	v_mov_b32_e32 v57, v53
	v_pk_fma_f32 v[46:47], v[74:75], v[58:59], v[46:47] neg_lo:[0,0,1] neg_hi:[0,0,1]
	v_pk_add_f32 v[50:51], v[50:51], v[54:55]
	s_wait_loadcnt 0x2
	v_pk_mul_f32 v[88:89], v[78:79], v[62:63] op_sel:[1,1] op_sel_hi:[0,1]
	v_dual_mov_b32 v52, v65 :: v_dual_mov_b32 v47, v71
	v_pk_fma_f32 v[54:55], v[76:77], v[60:61], v[48:49] op_sel_hi:[1,0,1]
	v_pk_add_f32 v[50:51], v[50:51], v[56:57]
	v_pk_fma_f32 v[48:49], v[76:77], v[60:61], v[48:49] neg_lo:[0,0,1] neg_hi:[0,0,1]
	v_pk_fma_f32 v[56:57], v[78:79], v[62:63], v[88:89] op_sel_hi:[1,0,1]
	v_pk_mul_f32 v[52:53], v[100:101], v[52:53] op_sel_hi:[1,0]
	v_mov_b32_e32 v49, v55
	v_pk_add_f32 v[46:47], v[50:51], v[46:47]
	v_pk_fma_f32 v[54:55], v[78:79], v[62:63], v[88:89] neg_lo:[0,0,1] neg_hi:[0,0,1]
	s_wait_loadcnt 0x1
	v_pk_mul_f32 v[50:51], v[82:83], v[66:67] op_sel:[1,1] op_sel_hi:[0,1]
	v_mov_b32_e32 v55, v57
	v_pk_fma_f32 v[56:57], v[80:81], v[64:65], v[52:53] op_sel_hi:[1,0,1]
	v_pk_add_f32 v[46:47], v[46:47], v[48:49]
	v_mov_b32_e32 v48, v69
	v_pk_fma_f32 v[52:53], v[80:81], v[64:65], v[52:53] neg_lo:[0,0,1] neg_hi:[0,0,1]
	v_pk_fma_f32 v[58:59], v[82:83], v[66:67], v[50:51] op_sel_hi:[1,0,1]
	v_mov_b32_e32 v53, v57
	v_pk_add_f32 v[46:47], v[46:47], v[54:55]
	v_pk_mul_f32 v[48:49], v[102:103], v[48:49] op_sel_hi:[1,0]
	v_pk_fma_f32 v[50:51], v[82:83], v[66:67], v[50:51] neg_lo:[0,0,1] neg_hi:[0,0,1]
	s_delay_alu instid0(VALU_DEP_3) | instskip(NEXT) | instid1(VALU_DEP_3)
	v_pk_add_f32 v[46:47], v[46:47], v[52:53]
	v_pk_fma_f32 v[52:53], v[84:85], v[68:69], v[48:49] op_sel_hi:[1,0,1]
	v_mov_b32_e32 v51, v59
	v_pk_fma_f32 v[48:49], v[84:85], v[68:69], v[48:49] neg_lo:[0,0,1] neg_hi:[0,0,1]
	s_delay_alu instid0(VALU_DEP_3) | instskip(NEXT) | instid1(VALU_DEP_3)
	v_mov_b32_e32 v49, v53
	v_pk_add_f32 v[46:47], v[46:47], v[50:51]
	s_delay_alu instid0(VALU_DEP_1) | instskip(SKIP_1) | instid1(VALU_DEP_1)
	v_pk_add_f32 v[46:47], v[46:47], v[48:49]
	s_wait_loadcnt 0x0
	v_pk_add_f32 v[46:47], v[94:95], v[46:47] neg_lo:[0,1] neg_hi:[0,1]
	scratch_store_b64 off, v[46:47], off offset:72
	s_wait_xcnt 0x0
	v_cmpx_lt_u32_e32 8, v0
	s_cbranch_execz .LBB21_129
; %bb.128:
	scratch_load_b64 v[46:47], off, off offset:64
	v_mov_b64_e32 v[48:49], 0
	scratch_store_b64 off, v[48:49], off offset:64
	s_wait_loadcnt 0x0
	ds_store_b64 v1, v[46:47]
.LBB21_129:
	s_wait_xcnt 0x0
	s_or_b32 exec_lo, exec_lo, s0
	s_wait_storecnt_dscnt 0x0
	s_barrier_signal -1
	s_barrier_wait -1
	s_clause 0x7
	scratch_load_b128 v[46:49], off, off offset:72
	scratch_load_b128 v[50:53], off, off offset:88
	;; [unrolled: 1-line block ×6, first 2 shown]
	scratch_load_b64 v[94:95], off, off offset:168
	scratch_load_b64 v[96:97], off, off offset:64
	v_mov_b32_e32 v7, 0
	ds_load_2addr_b64 v[70:73], v7 offset0:35 offset1:36
	ds_load_2addr_b64 v[74:77], v7 offset0:37 offset1:38
	;; [unrolled: 1-line block ×6, first 2 shown]
	ds_load_b64 v[98:99], v7 offset:344
	s_mov_b32 s0, exec_lo
	s_wait_dscnt 0x6
	v_dual_mov_b32 v100, v73 :: v_dual_mov_b32 v101, v72
	s_wait_dscnt 0x3
	v_dual_mov_b32 v102, v77 :: v_dual_mov_b32 v107, v84
	v_dual_mov_b32 v103, v76 :: v_dual_mov_b32 v104, v81
	;; [unrolled: 1-line block ×3, first 2 shown]
	s_wait_loadcnt_dscnt 0x702
	v_dual_mul_f32 v9, v86, v47 :: v_dual_mul_f32 v15, v87, v47
	v_dual_mul_f32 v17, v89, v49 :: v_dual_mul_f32 v11, v88, v49
	s_wait_loadcnt_dscnt 0x601
	s_delay_alu instid0(VALU_DEP_2) | instskip(NEXT) | instid1(VALU_DEP_3)
	v_dual_mul_f32 v13, v90, v51 :: v_dual_fmac_f32 v9, v87, v46
	v_dual_fma_f32 v15, v86, v46, -v15 :: v_dual_mul_f32 v19, v91, v51
	v_mul_f32_e32 v21, v93, v53
	s_wait_loadcnt 0x4
	v_dual_mov_b32 v46, v61 :: v_dual_fma_f32 v17, v88, v48, -v17
	v_dual_fmac_f32 v11, v89, v48 :: v_dual_add_f32 v9, 0, v9
	v_dual_add_f32 v15, 0, v15 :: v_dual_fmac_f32 v13, v91, v50
	v_dual_mul_f32 v109, v92, v53 :: v_dual_mul_f32 v111, v70, v55
	v_dual_mul_f32 v23, v71, v55 :: v_dual_mov_b32 v110, v57
	s_delay_alu instid0(VALU_DEP_4) | instskip(NEXT) | instid1(VALU_DEP_3)
	v_dual_fma_f32 v19, v90, v50, -v19 :: v_dual_add_f32 v9, v9, v11
	v_dual_add_f32 v11, v15, v17 :: v_dual_fmac_f32 v109, v93, v52
	v_pk_mul_f32 v[112:113], v[74:75], v[58:59] op_sel:[1,1] op_sel_hi:[0,1]
	s_delay_alu instid0(VALU_DEP_3)
	v_dual_fma_f32 v108, v92, v52, -v21 :: v_dual_add_f32 v53, v9, v13
	v_pk_mul_f32 v[50:51], v[100:101], v[110:111] op_sel_hi:[1,0]
	s_wait_loadcnt 0x3
	v_dual_add_f32 v52, v11, v19 :: v_dual_mov_b32 v86, v65
	v_fmac_f32_e32 v111, v71, v54
	v_fma_f32 v110, v70, v54, -v23
	v_pk_fma_f32 v[54:55], v[72:73], v[56:57], v[50:51] op_sel_hi:[1,0,1]
	s_delay_alu instid0(VALU_DEP_4) | instskip(SKIP_4) | instid1(VALU_DEP_4)
	v_pk_add_f32 v[52:53], v[52:53], v[108:109]
	v_pk_fma_f32 v[70:71], v[74:75], v[58:59], v[112:113] op_sel_hi:[1,0,1]
	v_pk_fma_f32 v[50:51], v[72:73], v[56:57], v[50:51] neg_lo:[0,0,1] neg_hi:[0,0,1]
	v_pk_fma_f32 v[56:57], v[74:75], v[58:59], v[112:113] neg_lo:[0,0,1] neg_hi:[0,0,1]
	v_pk_mul_f32 v[46:47], v[102:103], v[46:47] op_sel_hi:[1,0]
	v_dual_mov_b32 v51, v55 :: v_dual_mov_b32 v57, v71
	v_pk_add_f32 v[52:53], v[52:53], v[110:111]
	v_pk_mul_f32 v[48:49], v[78:79], v[62:63] op_sel:[1,1] op_sel_hi:[0,1]
	s_delay_alu instid0(VALU_DEP_4)
	v_pk_fma_f32 v[58:59], v[76:77], v[60:61], v[46:47] op_sel_hi:[1,0,1]
	v_pk_fma_f32 v[46:47], v[76:77], v[60:61], v[46:47] neg_lo:[0,0,1] neg_hi:[0,0,1]
	v_pk_mul_f32 v[70:71], v[104:105], v[86:87] op_sel_hi:[1,0]
	v_pk_add_f32 v[50:51], v[52:53], v[50:51]
	v_pk_fma_f32 v[52:53], v[78:79], v[62:63], v[48:49] op_sel_hi:[1,0,1]
	s_wait_loadcnt 0x2
	v_dual_mov_b32 v47, v59 :: v_dual_mov_b32 v52, v69
	v_pk_fma_f32 v[48:49], v[78:79], v[62:63], v[48:49] neg_lo:[0,0,1] neg_hi:[0,0,1]
	v_pk_add_f32 v[50:51], v[50:51], v[56:57]
	v_pk_mul_f32 v[54:55], v[82:83], v[66:67] op_sel:[1,1] op_sel_hi:[0,1]
	v_pk_fma_f32 v[56:57], v[80:81], v[64:65], v[70:71] op_sel_hi:[1,0,1]
	v_mov_b32_e32 v49, v53
	v_pk_fma_f32 v[58:59], v[80:81], v[64:65], v[70:71] neg_lo:[0,0,1] neg_hi:[0,0,1]
	v_pk_add_f32 v[46:47], v[50:51], v[46:47]
	v_pk_fma_f32 v[50:51], v[82:83], v[66:67], v[54:55] op_sel_hi:[1,0,1]
	v_pk_mul_f32 v[52:53], v[106:107], v[52:53] op_sel_hi:[1,0]
	v_mov_b32_e32 v59, v57
	s_delay_alu instid0(VALU_DEP_4)
	v_pk_add_f32 v[46:47], v[46:47], v[48:49]
	v_pk_fma_f32 v[48:49], v[82:83], v[66:67], v[54:55] neg_lo:[0,0,1] neg_hi:[0,0,1]
	v_mov_b32_e32 v49, v51
	v_pk_fma_f32 v[50:51], v[84:85], v[68:69], v[52:53] op_sel_hi:[1,0,1]
	s_wait_loadcnt_dscnt 0x100
	v_pk_mul_f32 v[54:55], v[98:99], v[94:95] op_sel:[1,1] op_sel_hi:[0,1]
	v_pk_add_f32 v[46:47], v[46:47], v[58:59]
	v_pk_fma_f32 v[52:53], v[84:85], v[68:69], v[52:53] neg_lo:[0,0,1] neg_hi:[0,0,1]
	v_mov_b32_e32 v53, v51
	s_delay_alu instid0(VALU_DEP_4) | instskip(NEXT) | instid1(VALU_DEP_4)
	v_pk_fma_f32 v[50:51], v[98:99], v[94:95], v[54:55] neg_lo:[0,0,1] neg_hi:[0,0,1]
	v_pk_add_f32 v[46:47], v[46:47], v[48:49]
	v_pk_fma_f32 v[48:49], v[98:99], v[94:95], v[54:55] op_sel_hi:[1,0,1]
	s_delay_alu instid0(VALU_DEP_2) | instskip(NEXT) | instid1(VALU_DEP_2)
	v_pk_add_f32 v[46:47], v[46:47], v[52:53]
	v_mov_b32_e32 v51, v49
	s_delay_alu instid0(VALU_DEP_1) | instskip(SKIP_1) | instid1(VALU_DEP_1)
	v_pk_add_f32 v[46:47], v[46:47], v[50:51]
	s_wait_loadcnt 0x0
	v_pk_add_f32 v[46:47], v[96:97], v[46:47] neg_lo:[0,1] neg_hi:[0,1]
	scratch_store_b64 off, v[46:47], off offset:64
	s_wait_xcnt 0x0
	v_cmpx_lt_u32_e32 7, v0
	s_cbranch_execz .LBB21_131
; %bb.130:
	scratch_load_b64 v[46:47], off, off offset:56
	v_mov_b64_e32 v[48:49], 0
	scratch_store_b64 off, v[48:49], off offset:56
	s_wait_loadcnt 0x0
	ds_store_b64 v1, v[46:47]
.LBB21_131:
	s_wait_xcnt 0x0
	s_or_b32 exec_lo, exec_lo, s0
	s_wait_storecnt_dscnt 0x0
	s_barrier_signal -1
	s_barrier_wait -1
	s_clause 0x7
	scratch_load_b128 v[46:49], off, off offset:64
	scratch_load_b128 v[50:53], off, off offset:80
	scratch_load_b128 v[54:57], off, off offset:96
	scratch_load_b128 v[58:61], off, off offset:112
	scratch_load_b128 v[62:65], off, off offset:128
	scratch_load_b128 v[66:69], off, off offset:144
	scratch_load_b128 v[70:73], off, off offset:160
	scratch_load_b64 v[102:103], off, off offset:56
	ds_load_b128 v[74:77], v7 offset:288
	ds_load_b128 v[78:81], v7 offset:304
	ds_load_b128 v[82:85], v7 offset:320
	ds_load_b128 v[86:89], v7 offset:336
	ds_load_b128 v[90:93], v7 offset:240
	ds_load_b128 v[94:97], v7 offset:256
	ds_load_b128 v[98:101], v7 offset:272
	s_mov_b32 s0, exec_lo
	s_wait_dscnt 0x6
	v_dual_mov_b32 v104, v77 :: v_dual_mov_b32 v105, v76
	s_wait_dscnt 0x5
	v_dual_mov_b32 v106, v81 :: v_dual_mov_b32 v107, v80
	;; [unrolled: 2-line block ×4, first 2 shown]
	s_wait_loadcnt_dscnt 0x702
	v_dual_mul_f32 v7, v90, v47 :: v_dual_mul_f32 v9, v92, v49
	v_dual_mul_f32 v15, v91, v47 :: v_dual_mul_f32 v17, v93, v49
	s_wait_loadcnt_dscnt 0x601
	v_dual_mul_f32 v11, v94, v51 :: v_dual_mul_f32 v13, v96, v53
	s_delay_alu instid0(VALU_DEP_3) | instskip(NEXT) | instid1(VALU_DEP_3)
	v_dual_fmac_f32 v7, v91, v46 :: v_dual_fmac_f32 v9, v93, v48
	v_dual_fma_f32 v15, v90, v46, -v15 :: v_dual_fma_f32 v17, v92, v48, -v17
	v_dual_mul_f32 v19, v95, v51 :: v_dual_mul_f32 v21, v97, v53
	s_wait_loadcnt 0x4
	s_delay_alu instid0(VALU_DEP_3) | instskip(NEXT) | instid1(VALU_DEP_3)
	v_dual_add_f32 v7, 0, v7 :: v_dual_mov_b32 v48, v61
	v_dual_add_f32 v15, 0, v15 :: v_dual_fmac_f32 v11, v95, v50
	s_delay_alu instid0(VALU_DEP_2) | instskip(SKIP_2) | instid1(VALU_DEP_3)
	v_dual_fma_f32 v19, v94, v50, -v19 :: v_dual_add_f32 v7, v7, v9
	s_wait_dscnt 0x0
	v_dual_mul_f32 v113, v98, v55 :: v_dual_mul_f32 v115, v100, v57
	v_dual_add_f32 v9, v15, v17 :: v_dual_fmac_f32 v13, v97, v52
	v_dual_mul_f32 v23, v99, v55 :: v_dual_mul_f32 v25, v101, v57
	v_dual_fma_f32 v15, v96, v52, -v21 :: v_dual_add_f32 v7, v7, v11
	s_delay_alu instid0(VALU_DEP_3) | instskip(SKIP_3) | instid1(VALU_DEP_3)
	v_dual_add_f32 v9, v9, v19 :: v_dual_fmac_f32 v113, v99, v54
	v_pk_mul_f32 v[46:47], v[74:75], v[58:59] op_sel:[1,1] op_sel_hi:[0,1]
	s_wait_loadcnt 0x3
	v_dual_mov_b32 v52, v65 :: v_dual_fma_f32 v112, v98, v54, -v23
	v_dual_add_f32 v55, v7, v13 :: v_dual_add_f32 v54, v9, v15
	v_dual_fmac_f32 v115, v101, v56 :: v_dual_fma_f32 v114, v100, v56, -v25
	v_pk_fma_f32 v[56:57], v[74:75], v[58:59], v[46:47] op_sel_hi:[1,0,1]
	v_pk_mul_f32 v[48:49], v[104:105], v[48:49] op_sel_hi:[1,0]
	s_delay_alu instid0(VALU_DEP_4)
	v_pk_add_f32 v[54:55], v[54:55], v[112:113]
	v_pk_fma_f32 v[46:47], v[74:75], v[58:59], v[46:47] neg_lo:[0,0,1] neg_hi:[0,0,1]
	v_pk_mul_f32 v[50:51], v[78:79], v[62:63] op_sel:[1,1] op_sel_hi:[0,1]
	v_mov_b32_e32 v47, v57
	v_pk_fma_f32 v[56:57], v[76:77], v[60:61], v[48:49] op_sel_hi:[1,0,1]
	v_pk_add_f32 v[54:55], v[54:55], v[114:115]
	v_pk_fma_f32 v[48:49], v[76:77], v[60:61], v[48:49] neg_lo:[0,0,1] neg_hi:[0,0,1]
	v_pk_fma_f32 v[58:59], v[78:79], v[62:63], v[50:51] op_sel_hi:[1,0,1]
	v_pk_mul_f32 v[52:53], v[106:107], v[52:53] op_sel_hi:[1,0]
	v_mov_b32_e32 v49, v57
	v_pk_add_f32 v[46:47], v[54:55], v[46:47]
	s_wait_loadcnt 0x2
	v_pk_mul_f32 v[90:91], v[82:83], v[66:67] op_sel:[1,1] op_sel_hi:[0,1]
	v_mov_b32_e32 v54, v69
	v_pk_fma_f32 v[50:51], v[78:79], v[62:63], v[50:51] neg_lo:[0,0,1] neg_hi:[0,0,1]
	v_mov_b32_e32 v51, v59
	v_pk_fma_f32 v[56:57], v[80:81], v[64:65], v[52:53] op_sel_hi:[1,0,1]
	v_pk_add_f32 v[46:47], v[46:47], v[48:49]
	v_pk_fma_f32 v[48:49], v[82:83], v[66:67], v[90:91] op_sel_hi:[1,0,1]
	v_pk_mul_f32 v[54:55], v[108:109], v[54:55] op_sel_hi:[1,0]
	v_pk_fma_f32 v[52:53], v[80:81], v[64:65], v[52:53] neg_lo:[0,0,1] neg_hi:[0,0,1]
	v_mov_b32_e32 v53, v57
	v_pk_add_f32 v[46:47], v[46:47], v[50:51]
	v_pk_fma_f32 v[56:57], v[82:83], v[66:67], v[90:91] neg_lo:[0,0,1] neg_hi:[0,0,1]
	v_mov_b32_e32 v57, v49
	v_pk_fma_f32 v[48:49], v[84:85], v[68:69], v[54:55] op_sel_hi:[1,0,1]
	s_wait_loadcnt 0x1
	v_pk_mul_f32 v[50:51], v[86:87], v[70:71] op_sel:[1,1] op_sel_hi:[0,1]
	v_pk_add_f32 v[46:47], v[46:47], v[52:53]
	v_mov_b32_e32 v48, v73
	v_pk_fma_f32 v[54:55], v[84:85], v[68:69], v[54:55] neg_lo:[0,0,1] neg_hi:[0,0,1]
	v_mov_b32_e32 v55, v49
	v_pk_fma_f32 v[52:53], v[86:87], v[70:71], v[50:51] op_sel_hi:[1,0,1]
	v_pk_add_f32 v[46:47], v[46:47], v[56:57]
	v_pk_mul_f32 v[48:49], v[110:111], v[48:49] op_sel_hi:[1,0]
	v_pk_fma_f32 v[50:51], v[86:87], v[70:71], v[50:51] neg_lo:[0,0,1] neg_hi:[0,0,1]
	s_delay_alu instid0(VALU_DEP_4) | instskip(NEXT) | instid1(VALU_DEP_4)
	v_mov_b32_e32 v51, v53
	v_pk_add_f32 v[46:47], v[46:47], v[54:55]
	s_delay_alu instid0(VALU_DEP_4) | instskip(SKIP_1) | instid1(VALU_DEP_2)
	v_pk_fma_f32 v[52:53], v[88:89], v[72:73], v[48:49] op_sel_hi:[1,0,1]
	v_pk_fma_f32 v[48:49], v[88:89], v[72:73], v[48:49] neg_lo:[0,0,1] neg_hi:[0,0,1]
	v_mov_b32_e32 v49, v53
	s_delay_alu instid0(VALU_DEP_4) | instskip(NEXT) | instid1(VALU_DEP_1)
	v_pk_add_f32 v[46:47], v[46:47], v[50:51]
	v_pk_add_f32 v[46:47], v[46:47], v[48:49]
	s_wait_loadcnt 0x0
	s_delay_alu instid0(VALU_DEP_1)
	v_pk_add_f32 v[46:47], v[102:103], v[46:47] neg_lo:[0,1] neg_hi:[0,1]
	scratch_store_b64 off, v[46:47], off offset:56
	s_wait_xcnt 0x0
	v_cmpx_lt_u32_e32 6, v0
	s_cbranch_execz .LBB21_133
; %bb.132:
	scratch_load_b64 v[46:47], off, off offset:48
	v_mov_b64_e32 v[48:49], 0
	scratch_store_b64 off, v[48:49], off offset:48
	s_wait_loadcnt 0x0
	ds_store_b64 v1, v[46:47]
.LBB21_133:
	s_wait_xcnt 0x0
	s_or_b32 exec_lo, exec_lo, s0
	s_wait_storecnt_dscnt 0x0
	s_barrier_signal -1
	s_barrier_wait -1
	s_clause 0x8
	scratch_load_b128 v[46:49], off, off offset:56
	scratch_load_b128 v[50:53], off, off offset:72
	;; [unrolled: 1-line block ×7, first 2 shown]
	scratch_load_b64 v[102:103], off, off offset:168
	scratch_load_b64 v[104:105], off, off offset:48
	v_mov_b32_e32 v7, 0
	ds_load_2addr_b64 v[74:77], v7 offset0:35 offset1:36
	ds_load_2addr_b64 v[78:81], v7 offset0:37 offset1:38
	;; [unrolled: 1-line block ×7, first 2 shown]
	ds_load_b64 v[106:107], v7 offset:344
	s_mov_b32 s0, exec_lo
	s_wait_dscnt 0x7
	v_dual_mov_b32 v108, v77 :: v_dual_mov_b32 v109, v76
	s_wait_dscnt 0x4
	v_dual_mov_b32 v110, v81 :: v_dual_mov_b32 v115, v88
	v_dual_mov_b32 v111, v80 :: v_dual_mov_b32 v112, v85
	;; [unrolled: 1-line block ×3, first 2 shown]
	s_wait_loadcnt_dscnt 0x803
	v_dual_mul_f32 v9, v90, v47 :: v_dual_mul_f32 v19, v91, v47
	v_dual_mul_f32 v21, v93, v49 :: v_dual_mul_f32 v11, v92, v49
	s_wait_loadcnt_dscnt 0x702
	v_mul_f32_e32 v13, v94, v51
	s_wait_loadcnt 0x5
	v_dual_mul_f32 v31, v75, v59 :: v_dual_fma_f32 v19, v90, v46, -v19
	v_dual_fmac_f32 v9, v91, v46 :: v_dual_mov_b32 v46, v61
	v_dual_mul_f32 v23, v95, v51 :: v_dual_mul_f32 v25, v97, v53
	v_dual_fmac_f32 v11, v93, v48 :: v_dual_fma_f32 v21, v92, v48, -v21
	s_delay_alu instid0(VALU_DEP_3) | instskip(SKIP_3) | instid1(VALU_DEP_3)
	v_dual_add_f32 v9, 0, v9 :: v_dual_add_f32 v19, 0, v19
	s_wait_dscnt 0x1
	v_dual_mul_f32 v15, v96, v53 :: v_dual_mul_f32 v17, v98, v55
	v_dual_fmac_f32 v13, v95, v50 :: v_dual_fma_f32 v23, v94, v50, -v23
	v_dual_add_f32 v9, v9, v11 :: v_dual_add_f32 v11, v19, v21
	v_dual_mul_f32 v27, v99, v55 :: v_dual_mul_f32 v29, v101, v57
	s_wait_loadcnt 0x4
	v_dual_mov_b32 v50, v65 :: v_dual_fma_f32 v19, v96, v52, -v25
	s_delay_alu instid0(VALU_DEP_3) | instskip(SKIP_2) | instid1(VALU_DEP_2)
	v_dual_fmac_f32 v15, v97, v52 :: v_dual_add_f32 v11, v11, v23
	v_dual_add_f32 v9, v9, v13 :: v_dual_fmac_f32 v17, v99, v54
	v_dual_mul_f32 v117, v100, v57 :: v_dual_mul_f32 v119, v74, v59
	v_dual_fma_f32 v13, v98, v54, -v27 :: v_dual_add_f32 v9, v9, v15
	s_delay_alu instid0(VALU_DEP_2) | instskip(SKIP_1) | instid1(VALU_DEP_3)
	v_dual_add_f32 v11, v11, v19 :: v_dual_fmac_f32 v117, v101, v56
	v_pk_mul_f32 v[48:49], v[78:79], v[62:63] op_sel:[1,1] op_sel_hi:[0,1]
	v_dual_fma_f32 v116, v100, v56, -v29 :: v_dual_add_f32 v55, v9, v17
	v_pk_mul_f32 v[46:47], v[108:109], v[46:47] op_sel_hi:[1,0]
	s_wait_loadcnt 0x3
	v_dual_add_f32 v54, v11, v13 :: v_dual_mov_b32 v56, v69
	v_fmac_f32_e32 v119, v75, v58
	v_fma_f32 v118, v74, v58, -v31
	v_pk_fma_f32 v[58:59], v[76:77], v[60:61], v[46:47] op_sel_hi:[1,0,1]
	s_delay_alu instid0(VALU_DEP_4) | instskip(SKIP_4) | instid1(VALU_DEP_4)
	v_pk_add_f32 v[54:55], v[54:55], v[116:117]
	v_pk_fma_f32 v[74:75], v[78:79], v[62:63], v[48:49] op_sel_hi:[1,0,1]
	v_pk_fma_f32 v[46:47], v[76:77], v[60:61], v[46:47] neg_lo:[0,0,1] neg_hi:[0,0,1]
	v_pk_fma_f32 v[48:49], v[78:79], v[62:63], v[48:49] neg_lo:[0,0,1] neg_hi:[0,0,1]
	v_pk_mul_f32 v[50:51], v[110:111], v[50:51] op_sel_hi:[1,0]
	v_dual_mov_b32 v47, v59 :: v_dual_mov_b32 v49, v75
	v_pk_add_f32 v[54:55], v[54:55], v[118:119]
	v_pk_mul_f32 v[52:53], v[82:83], v[66:67] op_sel:[1,1] op_sel_hi:[0,1]
	s_delay_alu instid0(VALU_DEP_4)
	v_pk_fma_f32 v[60:61], v[80:81], v[64:65], v[50:51] op_sel_hi:[1,0,1]
	v_pk_fma_f32 v[50:51], v[80:81], v[64:65], v[50:51] neg_lo:[0,0,1] neg_hi:[0,0,1]
	v_pk_mul_f32 v[56:57], v[112:113], v[56:57] op_sel_hi:[1,0]
	v_pk_add_f32 v[46:47], v[54:55], v[46:47]
	v_pk_fma_f32 v[54:55], v[82:83], v[66:67], v[52:53] op_sel_hi:[1,0,1]
	v_mov_b32_e32 v51, v61
	v_pk_fma_f32 v[52:53], v[82:83], v[66:67], v[52:53] neg_lo:[0,0,1] neg_hi:[0,0,1]
	s_wait_loadcnt 0x2
	v_pk_mul_f32 v[58:59], v[86:87], v[70:71] op_sel:[1,1] op_sel_hi:[0,1]
	v_pk_add_f32 v[46:47], v[46:47], v[48:49]
	v_dual_mov_b32 v48, v73 :: v_dual_mov_b32 v53, v55
	v_pk_fma_f32 v[54:55], v[84:85], v[68:69], v[56:57] op_sel_hi:[1,0,1]
	v_pk_fma_f32 v[56:57], v[84:85], v[68:69], v[56:57] neg_lo:[0,0,1] neg_hi:[0,0,1]
	s_delay_alu instid0(VALU_DEP_4)
	v_pk_add_f32 v[46:47], v[46:47], v[50:51]
	v_pk_fma_f32 v[50:51], v[86:87], v[70:71], v[58:59] op_sel_hi:[1,0,1]
	v_pk_mul_f32 v[48:49], v[114:115], v[48:49] op_sel_hi:[1,0]
	v_mov_b32_e32 v57, v55
	s_wait_loadcnt_dscnt 0x100
	v_pk_mul_f32 v[54:55], v[106:107], v[102:103] op_sel:[1,1] op_sel_hi:[0,1]
	v_pk_add_f32 v[46:47], v[46:47], v[52:53]
	v_pk_fma_f32 v[52:53], v[86:87], v[70:71], v[58:59] neg_lo:[0,0,1] neg_hi:[0,0,1]
	v_mov_b32_e32 v53, v51
	v_pk_fma_f32 v[50:51], v[88:89], v[72:73], v[48:49] op_sel_hi:[1,0,1]
	v_pk_fma_f32 v[48:49], v[88:89], v[72:73], v[48:49] neg_lo:[0,0,1] neg_hi:[0,0,1]
	v_pk_add_f32 v[46:47], v[46:47], v[56:57]
	s_delay_alu instid0(VALU_DEP_3) | instskip(SKIP_1) | instid1(VALU_DEP_3)
	v_mov_b32_e32 v49, v51
	v_pk_fma_f32 v[50:51], v[106:107], v[102:103], v[54:55] op_sel_hi:[1,0,1]
	v_pk_add_f32 v[46:47], v[46:47], v[52:53]
	v_pk_fma_f32 v[52:53], v[106:107], v[102:103], v[54:55] neg_lo:[0,0,1] neg_hi:[0,0,1]
	s_delay_alu instid0(VALU_DEP_3) | instskip(NEXT) | instid1(VALU_DEP_3)
	v_mov_b32_e32 v53, v51
	v_pk_add_f32 v[46:47], v[46:47], v[48:49]
	s_delay_alu instid0(VALU_DEP_1) | instskip(SKIP_1) | instid1(VALU_DEP_1)
	v_pk_add_f32 v[46:47], v[46:47], v[52:53]
	s_wait_loadcnt 0x0
	v_pk_add_f32 v[46:47], v[104:105], v[46:47] neg_lo:[0,1] neg_hi:[0,1]
	scratch_store_b64 off, v[46:47], off offset:48
	s_wait_xcnt 0x0
	v_cmpx_lt_u32_e32 5, v0
	s_cbranch_execz .LBB21_135
; %bb.134:
	scratch_load_b64 v[46:47], off, off offset:40
	v_mov_b64_e32 v[48:49], 0
	scratch_store_b64 off, v[48:49], off offset:40
	s_wait_loadcnt 0x0
	ds_store_b64 v1, v[46:47]
.LBB21_135:
	s_wait_xcnt 0x0
	s_or_b32 exec_lo, exec_lo, s0
	s_wait_storecnt_dscnt 0x0
	s_barrier_signal -1
	s_barrier_wait -1
	s_clause 0x8
	scratch_load_b128 v[46:49], off, off offset:48
	scratch_load_b128 v[50:53], off, off offset:64
	;; [unrolled: 1-line block ×8, first 2 shown]
	scratch_load_b64 v[110:111], off, off offset:40
	ds_load_b128 v[78:81], v7 offset:288
	ds_load_b128 v[82:85], v7 offset:304
	;; [unrolled: 1-line block ×8, first 2 shown]
	s_mov_b32 s0, exec_lo
	s_wait_dscnt 0x7
	v_dual_mov_b32 v112, v81 :: v_dual_mov_b32 v113, v80
	s_wait_dscnt 0x6
	v_dual_mov_b32 v114, v85 :: v_dual_mov_b32 v115, v84
	;; [unrolled: 2-line block ×4, first 2 shown]
	s_wait_loadcnt_dscnt 0x803
	v_dual_mul_f32 v7, v94, v47 :: v_dual_mul_f32 v9, v96, v49
	v_dual_mul_f32 v19, v95, v47 :: v_dual_mul_f32 v21, v97, v49
	s_wait_loadcnt_dscnt 0x702
	v_dual_mul_f32 v11, v98, v51 :: v_dual_mul_f32 v13, v100, v53
	s_delay_alu instid0(VALU_DEP_3) | instskip(SKIP_3) | instid1(VALU_DEP_3)
	v_dual_fmac_f32 v7, v95, v46 :: v_dual_fmac_f32 v9, v97, v48
	s_wait_loadcnt_dscnt 0x500
	v_dual_fma_f32 v19, v94, v46, -v19 :: v_dual_mul_f32 v31, v107, v59
	v_dual_mul_f32 v23, v99, v51 :: v_dual_mul_f32 v25, v101, v53
	v_dual_fma_f32 v21, v96, v48, -v21 :: v_dual_add_f32 v7, 0, v7
	s_delay_alu instid0(VALU_DEP_3) | instskip(SKIP_1) | instid1(VALU_DEP_3)
	v_dual_add_f32 v19, 0, v19 :: v_dual_mul_f32 v33, v109, v61
	v_dual_fmac_f32 v11, v99, v50 :: v_dual_fmac_f32 v13, v101, v52
	v_dual_fma_f32 v23, v98, v50, -v23 :: v_dual_add_f32 v7, v7, v9
	s_delay_alu instid0(VALU_DEP_3) | instskip(SKIP_4) | instid1(VALU_DEP_3)
	v_dual_add_f32 v9, v19, v21 :: v_dual_fma_f32 v19, v100, v52, -v25
	v_dual_mul_f32 v15, v102, v55 :: v_dual_mul_f32 v17, v104, v57
	v_dual_mul_f32 v27, v103, v55 :: v_dual_mul_f32 v29, v105, v57
	s_wait_loadcnt 0x4
	v_dual_add_f32 v7, v7, v11 :: v_dual_mov_b32 v48, v65
	v_dual_add_f32 v9, v9, v23 :: v_dual_fmac_f32 v15, v103, v54
	s_delay_alu instid0(VALU_DEP_2) | instskip(SKIP_1) | instid1(VALU_DEP_3)
	v_dual_fma_f32 v11, v102, v54, -v27 :: v_dual_add_f32 v7, v7, v13
	v_dual_mul_f32 v121, v106, v59 :: v_dual_mul_f32 v123, v108, v61
	v_dual_add_f32 v9, v9, v19 :: v_dual_fma_f32 v13, v104, v56, -v29
	s_delay_alu instid0(VALU_DEP_3) | instskip(SKIP_1) | instid1(VALU_DEP_3)
	v_dual_fmac_f32 v17, v105, v56 :: v_dual_add_f32 v7, v7, v15
	v_pk_mul_f32 v[46:47], v[78:79], v[62:63] op_sel:[1,1] op_sel_hi:[0,1]
	v_dual_add_f32 v9, v9, v11 :: v_dual_fmac_f32 v121, v107, v58
	s_wait_loadcnt 0x3
	v_dual_mov_b32 v52, v69 :: v_dual_fma_f32 v120, v106, v58, -v31
	v_dual_add_f32 v55, v7, v17 :: v_dual_fmac_f32 v123, v109, v60
	s_delay_alu instid0(VALU_DEP_3) | instskip(SKIP_3) | instid1(VALU_DEP_4)
	v_dual_add_f32 v54, v9, v13 :: v_dual_fma_f32 v122, v108, v60, -v33
	v_pk_fma_f32 v[56:57], v[78:79], v[62:63], v[46:47] op_sel_hi:[1,0,1]
	v_pk_mul_f32 v[48:49], v[112:113], v[48:49] op_sel_hi:[1,0]
	v_pk_fma_f32 v[46:47], v[78:79], v[62:63], v[46:47] neg_lo:[0,0,1] neg_hi:[0,0,1]
	v_pk_add_f32 v[54:55], v[54:55], v[120:121]
	v_pk_mul_f32 v[50:51], v[82:83], v[66:67] op_sel:[1,1] op_sel_hi:[0,1]
	v_mov_b32_e32 v47, v57
	v_pk_fma_f32 v[56:57], v[80:81], v[64:65], v[48:49] op_sel_hi:[1,0,1]
	v_pk_fma_f32 v[48:49], v[80:81], v[64:65], v[48:49] neg_lo:[0,0,1] neg_hi:[0,0,1]
	v_pk_add_f32 v[54:55], v[54:55], v[122:123]
	v_pk_fma_f32 v[60:61], v[82:83], v[66:67], v[50:51] op_sel_hi:[1,0,1]
	v_pk_mul_f32 v[52:53], v[114:115], v[52:53] op_sel_hi:[1,0]
	v_mov_b32_e32 v49, v57
	s_wait_loadcnt 0x2
	v_pk_mul_f32 v[58:59], v[86:87], v[70:71] op_sel:[1,1] op_sel_hi:[0,1]
	v_pk_add_f32 v[46:47], v[54:55], v[46:47]
	v_mov_b32_e32 v54, v73
	v_pk_fma_f32 v[50:51], v[82:83], v[66:67], v[50:51] neg_lo:[0,0,1] neg_hi:[0,0,1]
	v_mov_b32_e32 v51, v61
	v_pk_fma_f32 v[56:57], v[84:85], v[68:69], v[52:53] op_sel_hi:[1,0,1]
	v_pk_add_f32 v[46:47], v[46:47], v[48:49]
	v_pk_fma_f32 v[48:49], v[86:87], v[70:71], v[58:59] op_sel_hi:[1,0,1]
	v_pk_mul_f32 v[54:55], v[116:117], v[54:55] op_sel_hi:[1,0]
	v_pk_fma_f32 v[52:53], v[84:85], v[68:69], v[52:53] neg_lo:[0,0,1] neg_hi:[0,0,1]
	v_mov_b32_e32 v53, v57
	v_pk_add_f32 v[46:47], v[46:47], v[50:51]
	v_pk_fma_f32 v[56:57], v[86:87], v[70:71], v[58:59] neg_lo:[0,0,1] neg_hi:[0,0,1]
	v_mov_b32_e32 v57, v49
	v_pk_fma_f32 v[48:49], v[88:89], v[72:73], v[54:55] op_sel_hi:[1,0,1]
	s_wait_loadcnt 0x1
	v_pk_mul_f32 v[50:51], v[90:91], v[74:75] op_sel:[1,1] op_sel_hi:[0,1]
	v_pk_add_f32 v[46:47], v[46:47], v[52:53]
	v_mov_b32_e32 v48, v77
	v_pk_fma_f32 v[54:55], v[88:89], v[72:73], v[54:55] neg_lo:[0,0,1] neg_hi:[0,0,1]
	v_mov_b32_e32 v55, v49
	v_pk_fma_f32 v[52:53], v[90:91], v[74:75], v[50:51] op_sel_hi:[1,0,1]
	v_pk_add_f32 v[46:47], v[46:47], v[56:57]
	v_pk_mul_f32 v[48:49], v[118:119], v[48:49] op_sel_hi:[1,0]
	v_pk_fma_f32 v[50:51], v[90:91], v[74:75], v[50:51] neg_lo:[0,0,1] neg_hi:[0,0,1]
	s_delay_alu instid0(VALU_DEP_4) | instskip(NEXT) | instid1(VALU_DEP_4)
	v_mov_b32_e32 v51, v53
	v_pk_add_f32 v[46:47], v[46:47], v[54:55]
	s_delay_alu instid0(VALU_DEP_4) | instskip(SKIP_1) | instid1(VALU_DEP_2)
	v_pk_fma_f32 v[52:53], v[92:93], v[76:77], v[48:49] op_sel_hi:[1,0,1]
	v_pk_fma_f32 v[48:49], v[92:93], v[76:77], v[48:49] neg_lo:[0,0,1] neg_hi:[0,0,1]
	v_mov_b32_e32 v49, v53
	s_delay_alu instid0(VALU_DEP_4) | instskip(NEXT) | instid1(VALU_DEP_1)
	v_pk_add_f32 v[46:47], v[46:47], v[50:51]
	v_pk_add_f32 v[46:47], v[46:47], v[48:49]
	s_wait_loadcnt 0x0
	s_delay_alu instid0(VALU_DEP_1)
	v_pk_add_f32 v[46:47], v[110:111], v[46:47] neg_lo:[0,1] neg_hi:[0,1]
	scratch_store_b64 off, v[46:47], off offset:40
	s_wait_xcnt 0x0
	v_cmpx_lt_u32_e32 4, v0
	s_cbranch_execz .LBB21_137
; %bb.136:
	scratch_load_b64 v[46:47], off, off offset:32
	v_mov_b64_e32 v[48:49], 0
	scratch_store_b64 off, v[48:49], off offset:32
	s_wait_loadcnt 0x0
	ds_store_b64 v1, v[46:47]
.LBB21_137:
	s_wait_xcnt 0x0
	s_or_b32 exec_lo, exec_lo, s0
	s_wait_storecnt_dscnt 0x0
	s_barrier_signal -1
	s_barrier_wait -1
	s_clause 0x9
	scratch_load_b128 v[46:49], off, off offset:40
	scratch_load_b128 v[50:53], off, off offset:56
	scratch_load_b128 v[54:57], off, off offset:72
	scratch_load_b128 v[58:61], off, off offset:88
	scratch_load_b128 v[62:65], off, off offset:104
	scratch_load_b128 v[66:69], off, off offset:120
	scratch_load_b128 v[70:73], off, off offset:136
	scratch_load_b128 v[74:77], off, off offset:152
	scratch_load_b64 v[110:111], off, off offset:168
	scratch_load_b64 v[112:113], off, off offset:32
	v_mov_b32_e32 v7, 0
	ds_load_2addr_b64 v[78:81], v7 offset0:35 offset1:36
	ds_load_2addr_b64 v[82:85], v7 offset0:37 offset1:38
	;; [unrolled: 1-line block ×8, first 2 shown]
	ds_load_b64 v[114:115], v7 offset:344
	s_mov_b32 s0, exec_lo
	s_wait_dscnt 0x8
	v_dual_mov_b32 v116, v81 :: v_dual_mov_b32 v117, v80
	s_wait_dscnt 0x5
	v_dual_mov_b32 v118, v85 :: v_dual_mov_b32 v123, v92
	v_dual_mov_b32 v119, v84 :: v_dual_mov_b32 v120, v89
	;; [unrolled: 1-line block ×3, first 2 shown]
	s_wait_loadcnt_dscnt 0x904
	v_dual_mul_f32 v9, v94, v47 :: v_dual_mul_f32 v23, v95, v47
	v_dual_mul_f32 v25, v97, v49 :: v_dual_mul_f32 v11, v96, v49
	s_wait_loadcnt_dscnt 0x803
	v_mul_f32_e32 v13, v98, v51
	s_wait_loadcnt_dscnt 0x601
	v_dual_mul_f32 v35, v107, v59 :: v_dual_fma_f32 v23, v94, v46, -v23
	v_dual_fmac_f32 v9, v95, v46 :: v_dual_mul_f32 v37, v109, v61
	v_dual_mul_f32 v27, v99, v51 :: v_dual_mul_f32 v29, v101, v53
	v_dual_fmac_f32 v11, v97, v48 :: v_dual_fma_f32 v25, v96, v48, -v25
	s_delay_alu instid0(VALU_DEP_3) | instskip(SKIP_3) | instid1(VALU_DEP_3)
	v_dual_add_f32 v9, 0, v9 :: v_dual_add_f32 v23, 0, v23
	v_dual_mul_f32 v15, v100, v53 :: v_dual_mul_f32 v17, v102, v55
	s_wait_loadcnt 0x5
	v_dual_mul_f32 v39, v79, v63 :: v_dual_fma_f32 v27, v98, v50, -v27
	v_dual_fmac_f32 v13, v99, v50 :: v_dual_add_f32 v9, v9, v11
	v_dual_add_f32 v11, v23, v25 :: v_dual_mov_b32 v46, v65
	v_dual_mul_f32 v31, v103, v55 :: v_dual_mul_f32 v33, v105, v57
	v_dual_fmac_f32 v15, v101, v52 :: v_dual_fma_f32 v23, v100, v52, -v29
	s_delay_alu instid0(VALU_DEP_3) | instskip(SKIP_1) | instid1(VALU_DEP_4)
	v_dual_add_f32 v9, v9, v13 :: v_dual_add_f32 v11, v11, v27
	v_dual_mul_f32 v19, v104, v57 :: v_dual_mul_f32 v21, v106, v59
	v_dual_fmac_f32 v17, v103, v54 :: v_dual_fma_f32 v13, v102, v54, -v31
	s_delay_alu instid0(VALU_DEP_3) | instskip(SKIP_3) | instid1(VALU_DEP_3)
	v_dual_add_f32 v9, v9, v15 :: v_dual_fma_f32 v15, v104, v56, -v33
	s_wait_loadcnt 0x4
	v_dual_add_f32 v11, v11, v23 :: v_dual_mov_b32 v50, v69
	v_fmac_f32_e32 v19, v105, v56
	v_dual_add_f32 v9, v9, v17 :: v_dual_fmac_f32 v21, v107, v58
	s_delay_alu instid0(VALU_DEP_3) | instskip(SKIP_1) | instid1(VALU_DEP_3)
	v_add_f32_e32 v11, v11, v13
	v_dual_mul_f32 v125, v108, v61 :: v_dual_mul_f32 v127, v78, v63
	v_dual_fma_f32 v13, v106, v58, -v35 :: v_dual_add_f32 v9, v9, v19
	s_delay_alu instid0(VALU_DEP_2) | instskip(SKIP_1) | instid1(VALU_DEP_3)
	v_dual_add_f32 v11, v11, v15 :: v_dual_fmac_f32 v125, v109, v60
	v_pk_mul_f32 v[48:49], v[82:83], v[66:67] op_sel:[1,1] op_sel_hi:[0,1]
	v_dual_fma_f32 v124, v108, v60, -v37 :: v_dual_add_f32 v55, v9, v21
	v_pk_mul_f32 v[46:47], v[116:117], v[46:47] op_sel_hi:[1,0]
	s_wait_loadcnt 0x3
	v_dual_add_f32 v54, v11, v13 :: v_dual_mov_b32 v56, v73
	v_pk_fma_f32 v[60:61], v[82:83], v[66:67], v[48:49] op_sel_hi:[1,0,1]
	v_fmac_f32_e32 v127, v79, v62
	v_pk_fma_f32 v[58:59], v[80:81], v[64:65], v[46:47] op_sel_hi:[1,0,1]
	v_fma_f32 v126, v78, v62, -v39
	v_pk_add_f32 v[54:55], v[54:55], v[124:125]
	v_pk_fma_f32 v[46:47], v[80:81], v[64:65], v[46:47] neg_lo:[0,0,1] neg_hi:[0,0,1]
	v_pk_fma_f32 v[48:49], v[82:83], v[66:67], v[48:49] neg_lo:[0,0,1] neg_hi:[0,0,1]
	v_pk_mul_f32 v[50:51], v[118:119], v[50:51] op_sel_hi:[1,0]
	v_dual_mov_b32 v47, v59 :: v_dual_mov_b32 v49, v61
	v_pk_add_f32 v[54:55], v[54:55], v[126:127]
	v_pk_mul_f32 v[52:53], v[86:87], v[70:71] op_sel:[1,1] op_sel_hi:[0,1]
	s_delay_alu instid0(VALU_DEP_4)
	v_pk_fma_f32 v[60:61], v[84:85], v[68:69], v[50:51] op_sel_hi:[1,0,1]
	v_pk_fma_f32 v[50:51], v[84:85], v[68:69], v[50:51] neg_lo:[0,0,1] neg_hi:[0,0,1]
	v_pk_mul_f32 v[56:57], v[120:121], v[56:57] op_sel_hi:[1,0]
	v_pk_add_f32 v[46:47], v[54:55], v[46:47]
	v_pk_fma_f32 v[54:55], v[86:87], v[70:71], v[52:53] op_sel_hi:[1,0,1]
	v_mov_b32_e32 v51, v61
	v_pk_fma_f32 v[52:53], v[86:87], v[70:71], v[52:53] neg_lo:[0,0,1] neg_hi:[0,0,1]
	s_wait_loadcnt 0x2
	v_pk_mul_f32 v[58:59], v[90:91], v[74:75] op_sel:[1,1] op_sel_hi:[0,1]
	v_pk_add_f32 v[46:47], v[46:47], v[48:49]
	v_dual_mov_b32 v48, v77 :: v_dual_mov_b32 v53, v55
	v_pk_fma_f32 v[54:55], v[88:89], v[72:73], v[56:57] op_sel_hi:[1,0,1]
	v_pk_fma_f32 v[56:57], v[88:89], v[72:73], v[56:57] neg_lo:[0,0,1] neg_hi:[0,0,1]
	s_delay_alu instid0(VALU_DEP_4)
	v_pk_add_f32 v[46:47], v[46:47], v[50:51]
	v_pk_fma_f32 v[50:51], v[90:91], v[74:75], v[58:59] op_sel_hi:[1,0,1]
	v_pk_mul_f32 v[48:49], v[122:123], v[48:49] op_sel_hi:[1,0]
	v_mov_b32_e32 v57, v55
	s_wait_loadcnt_dscnt 0x100
	v_pk_mul_f32 v[54:55], v[114:115], v[110:111] op_sel:[1,1] op_sel_hi:[0,1]
	v_pk_add_f32 v[46:47], v[46:47], v[52:53]
	v_pk_fma_f32 v[52:53], v[90:91], v[74:75], v[58:59] neg_lo:[0,0,1] neg_hi:[0,0,1]
	v_mov_b32_e32 v53, v51
	v_pk_fma_f32 v[50:51], v[92:93], v[76:77], v[48:49] op_sel_hi:[1,0,1]
	v_pk_fma_f32 v[48:49], v[92:93], v[76:77], v[48:49] neg_lo:[0,0,1] neg_hi:[0,0,1]
	v_pk_add_f32 v[46:47], v[46:47], v[56:57]
	s_delay_alu instid0(VALU_DEP_3) | instskip(SKIP_1) | instid1(VALU_DEP_3)
	v_mov_b32_e32 v49, v51
	v_pk_fma_f32 v[50:51], v[114:115], v[110:111], v[54:55] op_sel_hi:[1,0,1]
	v_pk_add_f32 v[46:47], v[46:47], v[52:53]
	v_pk_fma_f32 v[52:53], v[114:115], v[110:111], v[54:55] neg_lo:[0,0,1] neg_hi:[0,0,1]
	s_delay_alu instid0(VALU_DEP_3) | instskip(NEXT) | instid1(VALU_DEP_3)
	v_mov_b32_e32 v53, v51
	v_pk_add_f32 v[46:47], v[46:47], v[48:49]
	s_delay_alu instid0(VALU_DEP_1) | instskip(SKIP_1) | instid1(VALU_DEP_1)
	v_pk_add_f32 v[46:47], v[46:47], v[52:53]
	s_wait_loadcnt 0x0
	v_pk_add_f32 v[46:47], v[112:113], v[46:47] neg_lo:[0,1] neg_hi:[0,1]
	scratch_store_b64 off, v[46:47], off offset:32
	s_wait_xcnt 0x0
	v_cmpx_lt_u32_e32 3, v0
	s_cbranch_execz .LBB21_139
; %bb.138:
	scratch_load_b64 v[46:47], off, off offset:24
	v_mov_b64_e32 v[48:49], 0
	scratch_store_b64 off, v[48:49], off offset:24
	s_wait_loadcnt 0x0
	ds_store_b64 v1, v[46:47]
.LBB21_139:
	s_wait_xcnt 0x0
	s_or_b32 exec_lo, exec_lo, s0
	s_wait_storecnt_dscnt 0x0
	s_barrier_signal -1
	s_barrier_wait -1
	s_clause 0x9
	scratch_load_b128 v[46:49], off, off offset:32
	scratch_load_b128 v[50:53], off, off offset:48
	;; [unrolled: 1-line block ×9, first 2 shown]
	scratch_load_b64 v[118:119], off, off offset:24
	ds_load_b128 v[82:85], v7 offset:288
	ds_load_b128 v[86:89], v7 offset:304
	;; [unrolled: 1-line block ×9, first 2 shown]
	s_mov_b32 s0, exec_lo
	s_wait_dscnt 0x8
	v_dual_mov_b32 v120, v85 :: v_dual_mov_b32 v121, v84
	s_wait_dscnt 0x7
	v_dual_mov_b32 v122, v89 :: v_dual_mov_b32 v123, v88
	;; [unrolled: 2-line block ×4, first 2 shown]
	s_wait_loadcnt_dscnt 0x904
	v_dual_mul_f32 v7, v98, v47 :: v_dual_mul_f32 v9, v100, v49
	v_dual_mul_f32 v23, v99, v47 :: v_dual_mul_f32 v25, v101, v49
	s_wait_loadcnt_dscnt 0x803
	v_dual_mul_f32 v11, v102, v51 :: v_dual_mul_f32 v13, v104, v53
	s_delay_alu instid0(VALU_DEP_3) | instskip(SKIP_3) | instid1(VALU_DEP_3)
	v_dual_fmac_f32 v7, v99, v46 :: v_dual_fmac_f32 v9, v101, v48
	s_wait_loadcnt_dscnt 0x601
	v_dual_fma_f32 v23, v98, v46, -v23 :: v_dual_mul_f32 v35, v111, v59
	v_dual_mul_f32 v27, v103, v51 :: v_dual_mul_f32 v29, v105, v53
	v_dual_fma_f32 v25, v100, v48, -v25 :: v_dual_add_f32 v7, 0, v7
	s_delay_alu instid0(VALU_DEP_3) | instskip(SKIP_1) | instid1(VALU_DEP_3)
	v_dual_add_f32 v23, 0, v23 :: v_dual_mul_f32 v37, v113, v61
	v_dual_fmac_f32 v11, v103, v50 :: v_dual_fmac_f32 v13, v105, v52
	v_dual_fma_f32 v27, v102, v50, -v27 :: v_dual_add_f32 v7, v7, v9
	s_delay_alu instid0(VALU_DEP_3) | instskip(SKIP_2) | instid1(VALU_DEP_4)
	v_dual_add_f32 v9, v23, v25 :: v_dual_fma_f32 v25, v104, v52, -v29
	v_dual_mul_f32 v15, v106, v55 :: v_dual_mul_f32 v17, v108, v57
	v_dual_mul_f32 v31, v107, v55 :: v_dual_mul_f32 v33, v109, v57
	v_add_f32_e32 v7, v7, v11
	s_delay_alu instid0(VALU_DEP_3) | instskip(NEXT) | instid1(VALU_DEP_3)
	v_dual_add_f32 v9, v9, v27 :: v_dual_fmac_f32 v15, v107, v54
	v_fma_f32 v27, v106, v54, -v31
	v_dual_mul_f32 v19, v110, v59 :: v_dual_mul_f32 v21, v112, v61
	s_delay_alu instid0(VALU_DEP_4) | instskip(NEXT) | instid1(VALU_DEP_4)
	v_dual_add_f32 v7, v7, v13 :: v_dual_fmac_f32 v17, v109, v56
	v_dual_add_f32 v9, v9, v25 :: v_dual_fma_f32 v13, v108, v56, -v33
	s_wait_loadcnt 0x4
	s_delay_alu instid0(VALU_DEP_2) | instskip(NEXT) | instid1(VALU_DEP_2)
	v_dual_mov_b32 v48, v69 :: v_dual_add_f32 v7, v7, v15
	v_dual_fmac_f32 v19, v111, v58 :: v_dual_add_f32 v9, v9, v27
	v_fma_f32 v15, v110, v58, -v35
	s_wait_dscnt 0x0
	v_dual_mul_f32 v129, v114, v63 :: v_dual_mul_f32 v131, v116, v65
	v_add_f32_e32 v7, v7, v17
	v_dual_add_f32 v9, v9, v13 :: v_dual_fma_f32 v13, v112, v60, -v37
	v_dual_mul_f32 v23, v115, v63 :: v_dual_mul_f32 v11, v117, v65
	s_delay_alu instid0(VALU_DEP_3) | instskip(NEXT) | instid1(VALU_DEP_3)
	v_dual_fmac_f32 v21, v113, v60 :: v_dual_add_f32 v7, v7, v19
	v_dual_add_f32 v9, v9, v15 :: v_dual_fmac_f32 v129, v115, v62
	v_pk_mul_f32 v[46:47], v[82:83], v[66:67] op_sel:[1,1] op_sel_hi:[0,1]
	s_wait_loadcnt 0x3
	v_dual_mov_b32 v52, v73 :: v_dual_fma_f32 v128, v114, v62, -v23
	v_dual_add_f32 v55, v7, v21 :: v_dual_fmac_f32 v131, v117, v64
	v_dual_add_f32 v54, v9, v13 :: v_dual_fma_f32 v130, v116, v64, -v11
	v_pk_fma_f32 v[56:57], v[82:83], v[66:67], v[46:47] op_sel_hi:[1,0,1]
	v_pk_mul_f32 v[48:49], v[120:121], v[48:49] op_sel_hi:[1,0]
	v_pk_fma_f32 v[46:47], v[82:83], v[66:67], v[46:47] neg_lo:[0,0,1] neg_hi:[0,0,1]
	s_delay_alu instid0(VALU_DEP_4)
	v_pk_add_f32 v[54:55], v[54:55], v[128:129]
	v_pk_mul_f32 v[50:51], v[86:87], v[70:71] op_sel:[1,1] op_sel_hi:[0,1]
	v_mov_b32_e32 v47, v57
	v_pk_fma_f32 v[56:57], v[84:85], v[68:69], v[48:49] op_sel_hi:[1,0,1]
	v_pk_fma_f32 v[48:49], v[84:85], v[68:69], v[48:49] neg_lo:[0,0,1] neg_hi:[0,0,1]
	v_pk_add_f32 v[54:55], v[54:55], v[130:131]
	v_pk_fma_f32 v[60:61], v[86:87], v[70:71], v[50:51] op_sel_hi:[1,0,1]
	v_pk_mul_f32 v[52:53], v[122:123], v[52:53] op_sel_hi:[1,0]
	v_mov_b32_e32 v49, v57
	s_wait_loadcnt 0x2
	v_pk_mul_f32 v[58:59], v[90:91], v[74:75] op_sel:[1,1] op_sel_hi:[0,1]
	v_pk_add_f32 v[46:47], v[54:55], v[46:47]
	v_mov_b32_e32 v54, v77
	v_pk_fma_f32 v[50:51], v[86:87], v[70:71], v[50:51] neg_lo:[0,0,1] neg_hi:[0,0,1]
	v_mov_b32_e32 v51, v61
	v_pk_fma_f32 v[56:57], v[88:89], v[72:73], v[52:53] op_sel_hi:[1,0,1]
	v_pk_add_f32 v[46:47], v[46:47], v[48:49]
	v_pk_fma_f32 v[48:49], v[90:91], v[74:75], v[58:59] op_sel_hi:[1,0,1]
	v_pk_mul_f32 v[54:55], v[124:125], v[54:55] op_sel_hi:[1,0]
	v_pk_fma_f32 v[52:53], v[88:89], v[72:73], v[52:53] neg_lo:[0,0,1] neg_hi:[0,0,1]
	v_mov_b32_e32 v53, v57
	v_pk_add_f32 v[46:47], v[46:47], v[50:51]
	v_pk_fma_f32 v[56:57], v[90:91], v[74:75], v[58:59] neg_lo:[0,0,1] neg_hi:[0,0,1]
	v_mov_b32_e32 v57, v49
	v_pk_fma_f32 v[48:49], v[92:93], v[76:77], v[54:55] op_sel_hi:[1,0,1]
	s_wait_loadcnt 0x1
	v_pk_mul_f32 v[50:51], v[94:95], v[78:79] op_sel:[1,1] op_sel_hi:[0,1]
	v_pk_add_f32 v[46:47], v[46:47], v[52:53]
	v_mov_b32_e32 v48, v81
	v_pk_fma_f32 v[54:55], v[92:93], v[76:77], v[54:55] neg_lo:[0,0,1] neg_hi:[0,0,1]
	v_mov_b32_e32 v55, v49
	v_pk_fma_f32 v[52:53], v[94:95], v[78:79], v[50:51] op_sel_hi:[1,0,1]
	v_pk_add_f32 v[46:47], v[46:47], v[56:57]
	v_pk_mul_f32 v[48:49], v[126:127], v[48:49] op_sel_hi:[1,0]
	v_pk_fma_f32 v[50:51], v[94:95], v[78:79], v[50:51] neg_lo:[0,0,1] neg_hi:[0,0,1]
	s_delay_alu instid0(VALU_DEP_4) | instskip(NEXT) | instid1(VALU_DEP_4)
	v_mov_b32_e32 v51, v53
	v_pk_add_f32 v[46:47], v[46:47], v[54:55]
	s_delay_alu instid0(VALU_DEP_4) | instskip(SKIP_1) | instid1(VALU_DEP_2)
	v_pk_fma_f32 v[52:53], v[96:97], v[80:81], v[48:49] op_sel_hi:[1,0,1]
	v_pk_fma_f32 v[48:49], v[96:97], v[80:81], v[48:49] neg_lo:[0,0,1] neg_hi:[0,0,1]
	v_mov_b32_e32 v49, v53
	s_delay_alu instid0(VALU_DEP_4) | instskip(NEXT) | instid1(VALU_DEP_1)
	v_pk_add_f32 v[46:47], v[46:47], v[50:51]
	v_pk_add_f32 v[46:47], v[46:47], v[48:49]
	s_wait_loadcnt 0x0
	s_delay_alu instid0(VALU_DEP_1)
	v_pk_add_f32 v[46:47], v[118:119], v[46:47] neg_lo:[0,1] neg_hi:[0,1]
	scratch_store_b64 off, v[46:47], off offset:24
	s_wait_xcnt 0x0
	v_cmpx_lt_u32_e32 2, v0
	s_cbranch_execz .LBB21_141
; %bb.140:
	scratch_load_b64 v[46:47], off, off offset:16
	v_mov_b64_e32 v[48:49], 0
	scratch_store_b64 off, v[48:49], off offset:16
	s_wait_loadcnt 0x0
	ds_store_b64 v1, v[46:47]
.LBB21_141:
	s_wait_xcnt 0x0
	s_or_b32 exec_lo, exec_lo, s0
	s_wait_storecnt_dscnt 0x0
	s_barrier_signal -1
	s_barrier_wait -1
	s_clause 0xa
	scratch_load_b128 v[46:49], off, off offset:24
	scratch_load_b128 v[50:53], off, off offset:40
	;; [unrolled: 1-line block ×9, first 2 shown]
	scratch_load_b64 v[118:119], off, off offset:168
	scratch_load_b64 v[120:121], off, off offset:16
	v_mov_b32_e32 v25, 0
	ds_load_2addr_b64 v[82:85], v25 offset0:35 offset1:36
	ds_load_2addr_b64 v[86:89], v25 offset0:37 offset1:38
	ds_load_2addr_b64 v[90:93], v25 offset0:39 offset1:40
	ds_load_2addr_b64 v[94:97], v25 offset0:41 offset1:42
	ds_load_2addr_b64 v[98:101], v25 offset0:25 offset1:26
	ds_load_2addr_b64 v[102:105], v25 offset0:27 offset1:28
	ds_load_2addr_b64 v[106:109], v25 offset0:29 offset1:30
	ds_load_2addr_b64 v[110:113], v25 offset0:31 offset1:32
	ds_load_2addr_b64 v[114:117], v25 offset0:33 offset1:34
	ds_load_b64 v[122:123], v25 offset:344
	s_mov_b32 s0, exec_lo
	s_wait_dscnt 0x9
	v_dual_mov_b32 v124, v85 :: v_dual_mov_b32 v125, v84
	s_wait_dscnt 0x6
	v_dual_mov_b32 v126, v89 :: v_dual_mov_b32 v131, v96
	v_dual_mov_b32 v127, v88 :: v_dual_mov_b32 v128, v93
	v_dual_mov_b32 v129, v92 :: v_dual_mov_b32 v130, v97
	s_wait_loadcnt_dscnt 0xa05
	v_dual_mul_f32 v7, v98, v47 :: v_dual_mul_f32 v27, v99, v47
	v_dual_mul_f32 v29, v101, v49 :: v_dual_mul_f32 v9, v100, v49
	s_wait_loadcnt_dscnt 0x904
	v_mul_f32_e32 v11, v102, v51
	s_wait_loadcnt_dscnt 0x702
	v_dual_mul_f32 v39, v111, v59 :: v_dual_fma_f32 v27, v98, v46, -v27
	v_dual_fmac_f32 v7, v99, v46 :: v_dual_mul_f32 v41, v113, v61
	v_dual_mul_f32 v31, v103, v51 :: v_dual_mul_f32 v33, v105, v53
	s_delay_alu instid0(VALU_DEP_2) | instskip(NEXT) | instid1(VALU_DEP_4)
	v_dual_fmac_f32 v9, v101, v48 :: v_dual_add_f32 v7, 0, v7
	v_dual_fma_f32 v29, v100, v48, -v29 :: v_dual_add_f32 v27, 0, v27
	v_dual_mul_f32 v13, v104, v53 :: v_dual_mul_f32 v15, v106, v55
	s_wait_loadcnt_dscnt 0x601
	v_dual_mul_f32 v43, v115, v63 :: v_dual_fma_f32 v31, v102, v50, -v31
	v_fmac_f32_e32 v11, v103, v50
	s_delay_alu instid0(VALU_DEP_3) | instskip(SKIP_2) | instid1(VALU_DEP_3)
	v_dual_add_f32 v7, v7, v9 :: v_dual_fmac_f32 v13, v105, v52
	v_dual_add_f32 v9, v27, v29 :: v_dual_fma_f32 v29, v104, v52, -v33
	v_dual_mul_f32 v35, v107, v55 :: v_dual_mul_f32 v37, v109, v57
	v_dual_mul_f32 v27, v117, v65 :: v_dual_add_f32 v7, v7, v11
	s_delay_alu instid0(VALU_DEP_3) | instskip(SKIP_2) | instid1(VALU_DEP_2)
	v_dual_add_f32 v9, v9, v31 :: v_dual_fmac_f32 v15, v107, v54
	v_dual_mul_f32 v17, v108, v57 :: v_dual_mul_f32 v19, v110, v59
	s_wait_loadcnt 0x5
	v_dual_mul_f32 v11, v83, v67 :: v_dual_add_f32 v9, v9, v29
	v_dual_fma_f32 v31, v106, v54, -v35 :: v_dual_add_f32 v7, v7, v13
	v_mov_b32_e32 v46, v69
	v_fmac_f32_e32 v17, v109, v56
	s_delay_alu instid0(VALU_DEP_3) | instskip(NEXT) | instid1(VALU_DEP_4)
	v_dual_fma_f32 v13, v108, v56, -v37 :: v_dual_add_f32 v9, v9, v31
	v_dual_add_f32 v7, v7, v15 :: v_dual_mul_f32 v21, v112, v61
	v_dual_mul_f32 v23, v114, v63 :: v_dual_fmac_f32 v19, v111, v58
	s_delay_alu instid0(VALU_DEP_3) | instskip(SKIP_1) | instid1(VALU_DEP_3)
	v_dual_add_f32 v9, v9, v13 :: v_dual_fma_f32 v15, v110, v58, -v39
	s_wait_loadcnt 0x4
	v_dual_add_f32 v7, v7, v17 :: v_dual_mov_b32 v50, v73
	v_fma_f32 v13, v112, v60, -v41
	v_fmac_f32_e32 v21, v113, v60
	v_dual_add_f32 v9, v9, v15 :: v_dual_fmac_f32 v23, v115, v62
	s_delay_alu instid0(VALU_DEP_4) | instskip(SKIP_1) | instid1(VALU_DEP_3)
	v_dual_add_f32 v7, v7, v19 :: v_dual_mul_f32 v133, v116, v65
	v_mul_f32_e32 v135, v82, v67
	v_dual_fma_f32 v15, v114, v62, -v43 :: v_dual_add_f32 v9, v9, v13
	s_delay_alu instid0(VALU_DEP_3) | instskip(NEXT) | instid1(VALU_DEP_4)
	v_dual_fma_f32 v132, v116, v64, -v27 :: v_dual_add_f32 v7, v7, v21
	v_fmac_f32_e32 v133, v117, v64
	v_pk_mul_f32 v[46:47], v[124:125], v[46:47] op_sel_hi:[1,0]
	s_delay_alu instid0(VALU_DEP_4) | instskip(NEXT) | instid1(VALU_DEP_4)
	v_dual_add_f32 v54, v9, v15 :: v_dual_fmac_f32 v135, v83, v66
	v_add_f32_e32 v55, v7, v23
	v_pk_mul_f32 v[48:49], v[86:87], v[70:71] op_sel:[1,1] op_sel_hi:[0,1]
	s_wait_loadcnt 0x3
	v_dual_mov_b32 v56, v77 :: v_dual_fma_f32 v134, v82, v66, -v11
	v_pk_fma_f32 v[58:59], v[84:85], v[68:69], v[46:47] op_sel_hi:[1,0,1]
	v_pk_add_f32 v[54:55], v[54:55], v[132:133]
	v_pk_fma_f32 v[46:47], v[84:85], v[68:69], v[46:47] neg_lo:[0,0,1] neg_hi:[0,0,1]
	v_pk_fma_f32 v[60:61], v[86:87], v[70:71], v[48:49] op_sel_hi:[1,0,1]
	v_pk_mul_f32 v[50:51], v[126:127], v[50:51] op_sel_hi:[1,0]
	v_mov_b32_e32 v47, v59
	v_pk_add_f32 v[54:55], v[54:55], v[134:135]
	v_pk_fma_f32 v[48:49], v[86:87], v[70:71], v[48:49] neg_lo:[0,0,1] neg_hi:[0,0,1]
	v_pk_mul_f32 v[52:53], v[90:91], v[74:75] op_sel:[1,1] op_sel_hi:[0,1]
	v_mov_b32_e32 v49, v61
	v_pk_fma_f32 v[60:61], v[88:89], v[72:73], v[50:51] op_sel_hi:[1,0,1]
	v_pk_add_f32 v[46:47], v[54:55], v[46:47]
	v_pk_fma_f32 v[50:51], v[88:89], v[72:73], v[50:51] neg_lo:[0,0,1] neg_hi:[0,0,1]
	v_pk_fma_f32 v[54:55], v[90:91], v[74:75], v[52:53] op_sel_hi:[1,0,1]
	v_pk_mul_f32 v[56:57], v[128:129], v[56:57] op_sel_hi:[1,0]
	v_mov_b32_e32 v51, v61
	v_pk_add_f32 v[46:47], v[46:47], v[48:49]
	v_pk_fma_f32 v[52:53], v[90:91], v[74:75], v[52:53] neg_lo:[0,0,1] neg_hi:[0,0,1]
	s_wait_loadcnt 0x2
	v_pk_mul_f32 v[58:59], v[94:95], v[78:79] op_sel:[1,1] op_sel_hi:[0,1]
	v_dual_mov_b32 v48, v81 :: v_dual_mov_b32 v53, v55
	v_pk_fma_f32 v[54:55], v[92:93], v[76:77], v[56:57] op_sel_hi:[1,0,1]
	v_pk_add_f32 v[46:47], v[46:47], v[50:51]
	v_pk_fma_f32 v[56:57], v[92:93], v[76:77], v[56:57] neg_lo:[0,0,1] neg_hi:[0,0,1]
	v_pk_fma_f32 v[50:51], v[94:95], v[78:79], v[58:59] op_sel_hi:[1,0,1]
	v_pk_mul_f32 v[48:49], v[130:131], v[48:49] op_sel_hi:[1,0]
	v_mov_b32_e32 v57, v55
	v_pk_add_f32 v[46:47], v[46:47], v[52:53]
	v_pk_fma_f32 v[52:53], v[94:95], v[78:79], v[58:59] neg_lo:[0,0,1] neg_hi:[0,0,1]
	v_mov_b32_e32 v53, v51
	v_pk_fma_f32 v[50:51], v[96:97], v[80:81], v[48:49] op_sel_hi:[1,0,1]
	s_wait_loadcnt_dscnt 0x100
	v_pk_mul_f32 v[54:55], v[122:123], v[118:119] op_sel:[1,1] op_sel_hi:[0,1]
	v_pk_add_f32 v[46:47], v[46:47], v[56:57]
	v_pk_fma_f32 v[48:49], v[96:97], v[80:81], v[48:49] neg_lo:[0,0,1] neg_hi:[0,0,1]
	v_mov_b32_e32 v49, v51
	s_delay_alu instid0(VALU_DEP_4) | instskip(NEXT) | instid1(VALU_DEP_4)
	v_pk_fma_f32 v[50:51], v[122:123], v[118:119], v[54:55] op_sel_hi:[1,0,1]
	v_pk_add_f32 v[46:47], v[46:47], v[52:53]
	v_pk_fma_f32 v[52:53], v[122:123], v[118:119], v[54:55] neg_lo:[0,0,1] neg_hi:[0,0,1]
	s_delay_alu instid0(VALU_DEP_3) | instskip(NEXT) | instid1(VALU_DEP_3)
	v_mov_b32_e32 v53, v51
	v_pk_add_f32 v[46:47], v[46:47], v[48:49]
	s_delay_alu instid0(VALU_DEP_1) | instskip(SKIP_1) | instid1(VALU_DEP_1)
	v_pk_add_f32 v[46:47], v[46:47], v[52:53]
	s_wait_loadcnt 0x0
	v_pk_add_f32 v[46:47], v[120:121], v[46:47] neg_lo:[0,1] neg_hi:[0,1]
	scratch_store_b64 off, v[46:47], off offset:16
	s_wait_xcnt 0x0
	v_cmpx_lt_u32_e32 1, v0
	s_cbranch_execz .LBB21_143
; %bb.142:
	scratch_load_b64 v[46:47], off, off offset:8
	v_mov_b64_e32 v[48:49], 0
	scratch_store_b64 off, v[48:49], off offset:8
	s_wait_loadcnt 0x0
	ds_store_b64 v1, v[46:47]
.LBB21_143:
	s_wait_xcnt 0x0
	s_or_b32 exec_lo, exec_lo, s0
	s_wait_storecnt_dscnt 0x0
	s_barrier_signal -1
	s_barrier_wait -1
	s_clause 0xa
	scratch_load_b128 v[46:49], off, off offset:16
	scratch_load_b128 v[50:53], off, off offset:32
	;; [unrolled: 1-line block ×10, first 2 shown]
	scratch_load_b64 v[126:127], off, off offset:8
	ds_load_b128 v[86:89], v25 offset:288
	ds_load_b128 v[90:93], v25 offset:304
	;; [unrolled: 1-line block ×10, first 2 shown]
	v_ashrrev_i32_e32 v23, 31, v22
	v_dual_ashrrev_i32 v7, 31, v6 :: v_dual_ashrrev_i32 v9, 31, v8
	v_dual_ashrrev_i32 v11, 31, v10 :: v_dual_ashrrev_i32 v13, 31, v12
	;; [unrolled: 1-line block ×4, first 2 shown]
	s_mov_b32 s0, exec_lo
	s_wait_dscnt 0x9
	v_dual_mov_b32 v128, v89 :: v_dual_mov_b32 v129, v88
	s_wait_dscnt 0x8
	v_dual_mov_b32 v130, v93 :: v_dual_mov_b32 v131, v92
	;; [unrolled: 2-line block ×3, first 2 shown]
	v_dual_mov_b32 v133, v100 :: v_dual_mov_b32 v134, v105
	s_wait_loadcnt 0xa
	v_dual_mul_f32 v25, v94, v47 :: v_dual_mul_f32 v27, v96, v49
	v_dual_mul_f32 v29, v95, v47 :: v_dual_mul_f32 v31, v97, v49
	s_wait_loadcnt_dscnt 0x500
	v_dual_mul_f32 v33, v106, v51 :: v_dual_mul_f32 v49, v124, v69
	s_delay_alu instid0(VALU_DEP_3) | instskip(NEXT) | instid1(VALU_DEP_3)
	v_fmac_f32_e32 v25, v95, v46
	v_dual_fma_f32 v29, v94, v46, -v29 :: v_dual_mul_f32 v46, v115, v59
	v_dual_mul_f32 v35, v108, v53 :: v_dual_mul_f32 v37, v107, v51
	s_delay_alu instid0(VALU_DEP_3) | instskip(NEXT) | instid1(VALU_DEP_3)
	v_dual_fmac_f32 v27, v97, v48 :: v_dual_add_f32 v25, 0, v25
	v_dual_fma_f32 v31, v96, v48, -v31 :: v_dual_add_f32 v29, 0, v29
	v_dual_mul_f32 v39, v109, v53 :: v_dual_mul_f32 v41, v110, v55
	v_dual_mul_f32 v48, v117, v61 :: v_dual_fmac_f32 v33, v107, v50
	s_delay_alu instid0(VALU_DEP_4) | instskip(NEXT) | instid1(VALU_DEP_3)
	v_dual_fma_f32 v37, v106, v50, -v37 :: v_dual_add_f32 v25, v25, v27
	v_dual_add_f32 v27, v29, v31 :: v_dual_fma_f32 v31, v108, v52, -v39
	v_dual_mul_f32 v43, v112, v57 :: v_dual_mul_f32 v45, v111, v55
	v_dual_mul_f32 v29, v119, v63 :: v_dual_fmac_f32 v35, v109, v52
	s_delay_alu instid0(VALU_DEP_4) | instskip(NEXT) | instid1(VALU_DEP_3)
	v_dual_add_f32 v25, v25, v33 :: v_dual_fmac_f32 v41, v111, v54
	v_dual_add_f32 v27, v27, v37 :: v_dual_fma_f32 v37, v110, v54, -v45
	v_dual_mul_f32 v51, v113, v57 :: v_dual_mul_f32 v53, v114, v59
	s_delay_alu instid0(VALU_DEP_2) | instskip(NEXT) | instid1(VALU_DEP_2)
	v_dual_mul_f32 v33, v121, v65 :: v_dual_add_f32 v27, v27, v31
	v_dual_add_f32 v25, v25, v35 :: v_dual_fma_f32 v35, v112, v56, -v51
	v_dual_mul_f32 v31, v123, v67 :: v_dual_fmac_f32 v43, v113, v56
	s_delay_alu instid0(VALU_DEP_3) | instskip(NEXT) | instid1(VALU_DEP_3)
	v_dual_add_f32 v27, v27, v37 :: v_dual_fma_f32 v39, v114, v58, -v46
	v_dual_add_f32 v25, v25, v41 :: v_dual_fmac_f32 v53, v115, v58
	v_dual_mul_f32 v55, v116, v61 :: v_dual_mul_f32 v57, v118, v63
	s_delay_alu instid0(VALU_DEP_3) | instskip(NEXT) | instid1(VALU_DEP_3)
	v_dual_mul_f32 v37, v125, v69 :: v_dual_add_f32 v27, v27, v35
	v_dual_add_f32 v25, v25, v43 :: v_dual_fma_f32 v35, v116, v60, -v48
	s_delay_alu instid0(VALU_DEP_3) | instskip(NEXT) | instid1(VALU_DEP_2)
	v_dual_fmac_f32 v55, v117, v60 :: v_dual_mul_f32 v136, v120, v65
	v_dual_mul_f32 v47, v122, v67 :: v_dual_add_f32 v25, v25, v53
	v_fmac_f32_e32 v57, v119, v62
	s_wait_loadcnt 0x4
	v_dual_add_f32 v27, v27, v39 :: v_dual_mov_b32 v52, v73
	s_delay_alu instid0(VALU_DEP_3) | instskip(NEXT) | instid1(VALU_DEP_2)
	v_dual_fma_f32 v29, v118, v62, -v29 :: v_dual_add_f32 v25, v25, v55
	v_dual_fma_f32 v33, v120, v64, -v33 :: v_dual_add_f32 v27, v27, v35
	v_fmac_f32_e32 v136, v121, v64
	v_pk_mul_f32 v[50:51], v[86:87], v[70:71] op_sel:[1,1] op_sel_hi:[0,1]
	s_delay_alu instid0(VALU_DEP_4) | instskip(SKIP_2) | instid1(VALU_DEP_2)
	v_dual_add_f32 v25, v25, v57 :: v_dual_fmac_f32 v47, v123, v66
	s_wait_loadcnt 0x3
	v_dual_add_f32 v27, v27, v29 :: v_dual_mov_b32 v56, v77
	v_dual_fma_f32 v46, v122, v66, -v31 :: v_dual_add_f32 v59, v25, v136
	s_delay_alu instid0(VALU_DEP_2)
	v_dual_fmac_f32 v49, v125, v68 :: v_dual_add_f32 v58, v27, v33
	v_pk_fma_f32 v[60:61], v[86:87], v[70:71], v[50:51] op_sel_hi:[1,0,1]
	v_fma_f32 v48, v124, v68, -v37
	v_pk_mul_f32 v[52:53], v[128:129], v[52:53] op_sel_hi:[1,0]
	v_pk_fma_f32 v[50:51], v[86:87], v[70:71], v[50:51] neg_lo:[0,0,1] neg_hi:[0,0,1]
	v_pk_add_f32 v[46:47], v[58:59], v[46:47]
	v_pk_mul_f32 v[54:55], v[90:91], v[74:75] op_sel:[1,1] op_sel_hi:[0,1]
	v_mov_b32_e32 v51, v61
	v_pk_fma_f32 v[60:61], v[88:89], v[72:73], v[52:53] op_sel_hi:[1,0,1]
	v_pk_fma_f32 v[52:53], v[88:89], v[72:73], v[52:53] neg_lo:[0,0,1] neg_hi:[0,0,1]
	v_pk_add_f32 v[46:47], v[46:47], v[48:49]
	v_pk_fma_f32 v[48:49], v[90:91], v[74:75], v[54:55] op_sel_hi:[1,0,1]
	v_pk_mul_f32 v[56:57], v[130:131], v[56:57] op_sel_hi:[1,0]
	s_wait_loadcnt 0x2
	v_dual_mov_b32 v53, v61 :: v_dual_mov_b32 v48, v81
	v_pk_add_f32 v[46:47], v[46:47], v[50:51]
	v_pk_mul_f32 v[58:59], v[98:99], v[78:79] op_sel:[1,1] op_sel_hi:[0,1]
	v_pk_fma_f32 v[50:51], v[90:91], v[74:75], v[54:55] neg_lo:[0,0,1] neg_hi:[0,0,1]
	v_pk_fma_f32 v[54:55], v[92:93], v[76:77], v[56:57] op_sel_hi:[1,0,1]
	v_mov_b32_e32 v51, v49
	v_pk_add_f32 v[46:47], v[46:47], v[52:53]
	v_pk_fma_f32 v[52:53], v[98:99], v[78:79], v[58:59] op_sel_hi:[1,0,1]
	v_pk_mul_f32 v[48:49], v[132:133], v[48:49] op_sel_hi:[1,0]
	v_pk_fma_f32 v[56:57], v[92:93], v[76:77], v[56:57] neg_lo:[0,0,1] neg_hi:[0,0,1]
	v_mov_b32_e32 v57, v55
	v_pk_add_f32 v[46:47], v[46:47], v[50:51]
	v_pk_fma_f32 v[54:55], v[98:99], v[78:79], v[58:59] neg_lo:[0,0,1] neg_hi:[0,0,1]
	v_mov_b32_e32 v55, v53
	v_pk_fma_f32 v[52:53], v[100:101], v[80:81], v[48:49] op_sel_hi:[1,0,1]
	s_wait_loadcnt 0x1
	v_pk_mul_f32 v[50:51], v[102:103], v[82:83] op_sel:[1,1] op_sel_hi:[0,1]
	v_pk_add_f32 v[46:47], v[46:47], v[56:57]
	v_mov_b32_e32 v52, v85
	v_pk_fma_f32 v[48:49], v[100:101], v[80:81], v[48:49] neg_lo:[0,0,1] neg_hi:[0,0,1]
	v_dual_mov_b32 v49, v53 :: v_dual_ashrrev_i32 v25, 31, v24
	v_pk_fma_f32 v[56:57], v[102:103], v[82:83], v[50:51] op_sel_hi:[1,0,1]
	v_pk_add_f32 v[46:47], v[46:47], v[54:55]
	v_pk_mul_f32 v[52:53], v[134:135], v[52:53] op_sel_hi:[1,0]
	v_pk_fma_f32 v[50:51], v[102:103], v[82:83], v[50:51] neg_lo:[0,0,1] neg_hi:[0,0,1]
	s_delay_alu instid0(VALU_DEP_4) | instskip(NEXT) | instid1(VALU_DEP_4)
	v_dual_ashrrev_i32 v27, 31, v26 :: v_dual_mov_b32 v51, v57
	v_pk_add_f32 v[46:47], v[46:47], v[48:49]
	s_delay_alu instid0(VALU_DEP_4)
	v_pk_fma_f32 v[48:49], v[104:105], v[84:85], v[52:53] op_sel_hi:[1,0,1]
	v_pk_fma_f32 v[52:53], v[104:105], v[84:85], v[52:53] neg_lo:[0,0,1] neg_hi:[0,0,1]
	v_dual_ashrrev_i32 v29, 31, v28 :: v_dual_ashrrev_i32 v31, 31, v30
	v_ashrrev_i32_e32 v33, 31, v32
	v_pk_add_f32 v[46:47], v[46:47], v[50:51]
	v_dual_mov_b32 v53, v49 :: v_dual_ashrrev_i32 v35, 31, v34
	v_dual_ashrrev_i32 v37, 31, v36 :: v_dual_ashrrev_i32 v39, 31, v38
	v_ashrrev_i32_e32 v41, 31, v40
	s_delay_alu instid0(VALU_DEP_3) | instskip(SKIP_2) | instid1(VALU_DEP_2)
	v_pk_add_f32 v[46:47], v[46:47], v[52:53]
	v_dual_ashrrev_i32 v43, 31, v42 :: v_dual_ashrrev_i32 v45, 31, v44
	s_wait_loadcnt 0x0
	v_pk_add_f32 v[46:47], v[126:127], v[46:47] neg_lo:[0,1] neg_hi:[0,1]
	scratch_store_b64 off, v[46:47], off offset:8
	s_wait_xcnt 0x0
	v_cmpx_ne_u32_e32 0, v0
	s_cbranch_execz .LBB21_145
; %bb.144:
	scratch_load_b64 v[46:47], off, off
	v_mov_b64_e32 v[48:49], 0
	scratch_store_b64 off, v[48:49], off
	s_wait_loadcnt 0x0
	ds_store_b64 v1, v[46:47]
.LBB21_145:
	s_wait_xcnt 0x0
	s_or_b32 exec_lo, exec_lo, s0
	s_wait_storecnt_dscnt 0x0
	s_barrier_signal -1
	s_barrier_wait -1
	s_clause 0xb
	scratch_load_b128 v[48:51], off, off offset:8
	scratch_load_b128 v[52:55], off, off offset:24
	;; [unrolled: 1-line block ×10, first 2 shown]
	scratch_load_b64 v[0:1], off, off offset:168
	scratch_load_b64 v[128:129], off, off
	v_mov_b32_e32 v46, 0
	ds_load_2addr_b64 v[88:91], v46 offset0:35 offset1:36
	ds_load_2addr_b64 v[92:95], v46 offset0:37 offset1:38
	;; [unrolled: 1-line block ×10, first 2 shown]
	ds_load_b64 v[130:131], v46 offset:344
	s_and_b32 vcc_lo, exec_lo, s18
	s_wait_dscnt 0xa
	v_dual_mov_b32 v132, v91 :: v_dual_mov_b32 v133, v90
	s_wait_dscnt 0x7
	v_dual_mov_b32 v134, v95 :: v_dual_mov_b32 v139, v102
	v_dual_mov_b32 v135, v94 :: v_dual_mov_b32 v136, v99
	;; [unrolled: 1-line block ×3, first 2 shown]
	s_wait_loadcnt_dscnt 0xb06
	v_dual_mul_f32 v47, v104, v49 :: v_dual_mul_f32 v49, v105, v49
	s_wait_loadcnt_dscnt 0xa05
	v_dual_mul_f32 v140, v106, v51 :: v_dual_mul_f32 v142, v108, v53
	;; [unrolled: 2-line block ×3, first 2 shown]
	v_dual_mul_f32 v51, v107, v51 :: v_dual_mul_f32 v61, v117, v61
	v_dual_fmac_f32 v47, v105, v48 :: v_dual_fma_f32 v48, v104, v48, -v49
	v_dual_mul_f32 v53, v109, v53 :: v_dual_mul_f32 v49, v119, v63
	s_delay_alu instid0(VALU_DEP_3) | instskip(NEXT) | instid1(VALU_DEP_3)
	v_dual_fmac_f32 v140, v107, v50 :: v_dual_fma_f32 v50, v106, v50, -v51
	v_dual_add_f32 v47, 0, v47 :: v_dual_add_f32 v48, 0, v48
	v_dual_mul_f32 v144, v110, v55 :: v_dual_mul_f32 v145, v112, v57
	s_wait_loadcnt_dscnt 0x702
	v_dual_mul_f32 v148, v118, v63 :: v_dual_mul_f32 v149, v120, v65
	v_dual_mul_f32 v55, v111, v55 :: v_dual_mul_f32 v63, v121, v65
	v_dual_fma_f32 v51, v108, v52, -v53 :: v_dual_fmac_f32 v142, v109, v52
	v_dual_add_f32 v48, v48, v50 :: v_dual_add_f32 v47, v47, v140
	s_delay_alu instid0(VALU_DEP_3) | instskip(SKIP_1) | instid1(VALU_DEP_3)
	v_dual_fma_f32 v50, v110, v54, -v55 :: v_dual_mul_f32 v57, v113, v57
	v_mul_f32_e32 v59, v115, v59
	v_dual_fmac_f32 v144, v111, v54 :: v_dual_add_f32 v48, v48, v51
	s_delay_alu instid0(VALU_DEP_4) | instskip(SKIP_2) | instid1(VALU_DEP_2)
	v_dual_add_f32 v47, v47, v142 :: v_dual_fmac_f32 v145, v113, v56
	s_wait_loadcnt_dscnt 0x601
	v_dual_fma_f32 v51, v112, v56, -v57 :: v_dual_mul_f32 v56, v127, v71
	v_dual_add_f32 v48, v48, v50 :: v_dual_add_f32 v47, v47, v144
	v_dual_fmac_f32 v146, v115, v58 :: v_dual_fma_f32 v50, v114, v58, -v59
	s_wait_loadcnt 0x5
	s_delay_alu instid0(VALU_DEP_2) | instskip(NEXT) | instid1(VALU_DEP_3)
	v_dual_mul_f32 v59, v89, v73 :: v_dual_add_f32 v48, v48, v51
	v_dual_add_f32 v47, v47, v145 :: v_dual_fmac_f32 v147, v117, v60
	v_dual_fma_f32 v51, v116, v60, -v61 :: v_dual_fmac_f32 v148, v119, v62
	v_fma_f32 v49, v118, v62, -v49
	s_delay_alu instid0(VALU_DEP_3) | instskip(SKIP_2) | instid1(VALU_DEP_3)
	v_add_f32_e32 v47, v47, v146
	v_dual_add_f32 v50, v48, v50 :: v_dual_mov_b32 v48, v75
	v_dual_mul_f32 v150, v122, v67 :: v_dual_mul_f32 v151, v124, v69
	v_dual_add_f32 v47, v47, v147 :: v_dual_fmac_f32 v149, v121, v64
	s_delay_alu instid0(VALU_DEP_3) | instskip(SKIP_1) | instid1(VALU_DEP_2)
	v_dual_add_f32 v52, v50, v51 :: v_dual_fma_f32 v54, v120, v64, -v63
	v_dual_mul_f32 v53, v123, v67 :: v_dual_mul_f32 v65, v125, v69
	v_dual_add_f32 v47, v47, v148 :: v_dual_add_f32 v49, v52, v49
	s_wait_loadcnt 0x4
	s_delay_alu instid0(VALU_DEP_2) | instskip(SKIP_1) | instid1(VALU_DEP_3)
	v_dual_mov_b32 v52, v79 :: v_dual_fma_f32 v53, v122, v66, -v53
	v_dual_fmac_f32 v150, v123, v66 :: v_dual_fmac_f32 v151, v125, v68
	v_dual_add_f32 v47, v47, v149 :: v_dual_add_f32 v49, v49, v54
	v_dual_mul_f32 v141, v126, v71 :: v_dual_mul_f32 v143, v88, v73
	s_delay_alu instid0(VALU_DEP_2) | instskip(NEXT) | instid1(VALU_DEP_2)
	v_dual_fma_f32 v58, v124, v68, -v65 :: v_dual_add_f32 v47, v47, v150
	v_dual_add_f32 v53, v49, v53 :: v_dual_fmac_f32 v141, v127, v70
	v_pk_mul_f32 v[50:51], v[92:93], v[76:77] op_sel:[1,1] op_sel_hi:[0,1]
	s_delay_alu instid0(VALU_DEP_3)
	v_dual_fma_f32 v140, v126, v70, -v56 :: v_dual_add_f32 v57, v47, v151
	v_pk_mul_f32 v[48:49], v[132:133], v[48:49] op_sel_hi:[1,0]
	s_wait_loadcnt 0x3
	v_dual_add_f32 v56, v53, v58 :: v_dual_mov_b32 v58, v83
	v_pk_fma_f32 v[62:63], v[92:93], v[76:77], v[50:51] op_sel_hi:[1,0,1]
	v_fmac_f32_e32 v143, v89, v72
	v_pk_fma_f32 v[60:61], v[90:91], v[74:75], v[48:49] op_sel_hi:[1,0,1]
	v_fma_f32 v142, v88, v72, -v59
	v_pk_add_f32 v[56:57], v[56:57], v[140:141]
	v_pk_fma_f32 v[48:49], v[90:91], v[74:75], v[48:49] neg_lo:[0,0,1] neg_hi:[0,0,1]
	v_pk_fma_f32 v[50:51], v[92:93], v[76:77], v[50:51] neg_lo:[0,0,1] neg_hi:[0,0,1]
	v_pk_mul_f32 v[52:53], v[134:135], v[52:53] op_sel_hi:[1,0]
	v_dual_mov_b32 v49, v61 :: v_dual_mov_b32 v51, v63
	v_pk_add_f32 v[56:57], v[56:57], v[142:143]
	v_pk_mul_f32 v[54:55], v[96:97], v[80:81] op_sel:[1,1] op_sel_hi:[0,1]
	s_delay_alu instid0(VALU_DEP_4)
	v_pk_fma_f32 v[62:63], v[94:95], v[78:79], v[52:53] op_sel_hi:[1,0,1]
	v_pk_fma_f32 v[52:53], v[94:95], v[78:79], v[52:53] neg_lo:[0,0,1] neg_hi:[0,0,1]
	v_pk_mul_f32 v[58:59], v[136:137], v[58:59] op_sel_hi:[1,0]
	v_pk_add_f32 v[48:49], v[56:57], v[48:49]
	v_pk_fma_f32 v[56:57], v[96:97], v[80:81], v[54:55] op_sel_hi:[1,0,1]
	v_mov_b32_e32 v53, v63
	v_pk_fma_f32 v[54:55], v[96:97], v[80:81], v[54:55] neg_lo:[0,0,1] neg_hi:[0,0,1]
	s_wait_loadcnt 0x2
	v_pk_mul_f32 v[60:61], v[100:101], v[84:85] op_sel:[1,1] op_sel_hi:[0,1]
	v_pk_add_f32 v[48:49], v[48:49], v[50:51]
	v_dual_mov_b32 v50, v87 :: v_dual_mov_b32 v55, v57
	v_pk_fma_f32 v[56:57], v[98:99], v[82:83], v[58:59] op_sel_hi:[1,0,1]
	v_pk_fma_f32 v[58:59], v[98:99], v[82:83], v[58:59] neg_lo:[0,0,1] neg_hi:[0,0,1]
	s_delay_alu instid0(VALU_DEP_4)
	v_pk_add_f32 v[48:49], v[48:49], v[52:53]
	v_pk_fma_f32 v[52:53], v[100:101], v[84:85], v[60:61] op_sel_hi:[1,0,1]
	v_pk_mul_f32 v[50:51], v[138:139], v[50:51] op_sel_hi:[1,0]
	v_mov_b32_e32 v59, v57
	v_pk_fma_f32 v[56:57], v[100:101], v[84:85], v[60:61] neg_lo:[0,0,1] neg_hi:[0,0,1]
	v_pk_add_f32 v[48:49], v[48:49], v[54:55]
	s_wait_loadcnt_dscnt 0x100
	v_pk_mul_f32 v[54:55], v[130:131], v[0:1] op_sel:[1,1] op_sel_hi:[0,1]
	v_mov_b32_e32 v57, v53
	v_pk_fma_f32 v[52:53], v[102:103], v[86:87], v[50:51] op_sel_hi:[1,0,1]
	v_pk_fma_f32 v[50:51], v[102:103], v[86:87], v[50:51] neg_lo:[0,0,1] neg_hi:[0,0,1]
	v_pk_add_f32 v[48:49], v[48:49], v[58:59]
	v_pk_fma_f32 v[58:59], v[130:131], v[0:1], v[54:55] op_sel_hi:[1,0,1]
	v_pk_fma_f32 v[0:1], v[130:131], v[0:1], v[54:55] neg_lo:[0,0,1] neg_hi:[0,0,1]
	v_mov_b32_e32 v51, v53
	s_delay_alu instid0(VALU_DEP_4) | instskip(NEXT) | instid1(VALU_DEP_4)
	v_pk_add_f32 v[48:49], v[48:49], v[56:57]
	v_mov_b32_e32 v1, v59
	s_delay_alu instid0(VALU_DEP_2) | instskip(NEXT) | instid1(VALU_DEP_1)
	v_pk_add_f32 v[48:49], v[48:49], v[50:51]
	v_pk_add_f32 v[0:1], v[48:49], v[0:1]
	s_wait_loadcnt 0x0
	s_delay_alu instid0(VALU_DEP_1)
	v_pk_add_f32 v[0:1], v[128:129], v[0:1] neg_lo:[0,1] neg_hi:[0,1]
	scratch_store_b64 off, v[0:1], off
	s_cbranch_vccz .LBB21_188
; %bb.146:
	global_load_b32 v0, v46, s[2:3] offset:80
	s_wait_loadcnt 0x0
	v_cmp_ne_u32_e32 vcc_lo, 21, v0
	s_cbranch_vccz .LBB21_148
; %bb.147:
	v_lshlrev_b32_e32 v0, 3, v0
	s_delay_alu instid0(VALU_DEP_1)
	v_mov_b32_e32 v48, v0
	scratch_load_b64 v[0:1], v48, off offset:-8
	scratch_load_b64 v[46:47], off, off offset:160
	s_wait_loadcnt 0x1
	scratch_store_b64 off, v[0:1], off offset:160
	s_wait_loadcnt 0x0
	scratch_store_b64 v48, v[46:47], off offset:-8
.LBB21_148:
	s_wait_xcnt 0x1
	v_mov_b32_e32 v0, 0
	global_load_b32 v1, v0, s[2:3] offset:76
	s_wait_loadcnt 0x0
	v_cmp_eq_u32_e32 vcc_lo, 20, v1
	s_cbranch_vccnz .LBB21_150
; %bb.149:
	v_lshlrev_b32_e32 v1, 3, v1
	scratch_load_b64 v[46:47], v1, off offset:-8
	scratch_load_b64 v[48:49], off, off offset:152
	s_wait_loadcnt 0x1
	scratch_store_b64 off, v[46:47], off offset:152
	s_wait_loadcnt 0x0
	scratch_store_b64 v1, v[48:49], off offset:-8
.LBB21_150:
	global_load_b32 v0, v0, s[2:3] offset:72
	s_wait_loadcnt 0x0
	v_cmp_eq_u32_e32 vcc_lo, 19, v0
	s_cbranch_vccnz .LBB21_152
; %bb.151:
	s_wait_xcnt 0x0
	v_lshlrev_b32_e32 v0, 3, v0
	s_delay_alu instid0(VALU_DEP_1)
	v_mov_b32_e32 v48, v0
	scratch_load_b64 v[0:1], v48, off offset:-8
	scratch_load_b64 v[46:47], off, off offset:144
	s_wait_loadcnt 0x1
	scratch_store_b64 off, v[0:1], off offset:144
	s_wait_loadcnt 0x0
	scratch_store_b64 v48, v[46:47], off offset:-8
.LBB21_152:
	s_wait_xcnt 0x0
	v_mov_b32_e32 v0, 0
	global_load_b32 v1, v0, s[2:3] offset:68
	s_wait_loadcnt 0x0
	v_cmp_eq_u32_e32 vcc_lo, 18, v1
	s_cbranch_vccnz .LBB21_154
; %bb.153:
	v_lshlrev_b32_e32 v1, 3, v1
	scratch_load_b64 v[46:47], v1, off offset:-8
	scratch_load_b64 v[48:49], off, off offset:136
	s_wait_loadcnt 0x1
	scratch_store_b64 off, v[46:47], off offset:136
	s_wait_loadcnt 0x0
	scratch_store_b64 v1, v[48:49], off offset:-8
.LBB21_154:
	global_load_b32 v0, v0, s[2:3] offset:64
	s_wait_loadcnt 0x0
	v_cmp_eq_u32_e32 vcc_lo, 17, v0
	s_cbranch_vccnz .LBB21_156
; %bb.155:
	s_wait_xcnt 0x0
	v_lshlrev_b32_e32 v0, 3, v0
	s_delay_alu instid0(VALU_DEP_1)
	v_mov_b32_e32 v48, v0
	scratch_load_b64 v[0:1], v48, off offset:-8
	scratch_load_b64 v[46:47], off, off offset:128
	s_wait_loadcnt 0x1
	scratch_store_b64 off, v[0:1], off offset:128
	s_wait_loadcnt 0x0
	scratch_store_b64 v48, v[46:47], off offset:-8
.LBB21_156:
	;; [unrolled: 31-line block ×9, first 2 shown]
	s_wait_xcnt 0x0
	v_mov_b32_e32 v0, 0
	global_load_b32 v1, v0, s[2:3] offset:4
	s_wait_loadcnt 0x0
	v_cmp_eq_u32_e32 vcc_lo, 2, v1
	s_cbranch_vccnz .LBB21_186
; %bb.185:
	v_lshlrev_b32_e32 v1, 3, v1
	scratch_load_b64 v[46:47], v1, off offset:-8
	scratch_load_b64 v[48:49], off, off offset:8
	s_wait_loadcnt 0x1
	scratch_store_b64 off, v[46:47], off offset:8
	s_wait_loadcnt 0x0
	scratch_store_b64 v1, v[48:49], off offset:-8
.LBB21_186:
	global_load_b32 v46, v0, s[2:3]
	scratch_load_b64 v[0:1], off, off
	s_wait_loadcnt 0x1
	v_cmp_eq_u32_e32 vcc_lo, 1, v46
	s_cbranch_vccnz .LBB21_188
; %bb.187:
	v_lshlrev_b32_e32 v46, 3, v46
	s_delay_alu instid0(VALU_DEP_1)
	v_mov_b32_e32 v48, v46
	scratch_load_b64 v[46:47], v48, off offset:-8
	s_wait_loadcnt 0x0
	scratch_store_b64 off, v[46:47], off
	scratch_store_b64 v48, v[0:1], off offset:-8
	scratch_load_b64 v[0:1], off, off
.LBB21_188:
	s_clause 0xa
	scratch_load_b128 v[46:49], off, off offset:8
	scratch_load_b128 v[50:53], off, off offset:24
	;; [unrolled: 1-line block ×10, first 2 shown]
	scratch_load_b64 v[86:87], off, off offset:168
	v_lshl_add_u64 v[6:7], v[6:7], 3, s[4:5]
	v_lshl_add_u64 v[8:9], v[8:9], 3, s[4:5]
	;; [unrolled: 1-line block ×20, first 2 shown]
	s_wait_loadcnt 0xb
	global_store_b64 v[2:3], v[0:1], off
	s_wait_loadcnt 0xa
	s_clause 0x1
	global_store_b64 v[4:5], v[46:47], off
	global_store_b64 v[6:7], v[48:49], off
	s_wait_loadcnt 0x9
	s_clause 0x1
	global_store_b64 v[8:9], v[50:51], off
	;; [unrolled: 4-line block ×10, first 2 shown]
	global_store_b64 v[42:43], v[84:85], off
	s_wait_loadcnt 0x0
	global_store_b64 v[44:45], v[86:87], off
	s_sendmsg sendmsg(MSG_DEALLOC_VGPRS)
	s_endpgm
	.section	.rodata,"a",@progbits
	.p2align	6, 0x0
	.amdhsa_kernel _ZN9rocsolver6v33100L18getri_kernel_smallILi22E19rocblas_complex_numIfEPS3_EEvT1_iilPiilS6_bb
		.amdhsa_group_segment_fixed_size 356
		.amdhsa_private_segment_fixed_size 192
		.amdhsa_kernarg_size 60
		.amdhsa_user_sgpr_count 2
		.amdhsa_user_sgpr_dispatch_ptr 0
		.amdhsa_user_sgpr_queue_ptr 0
		.amdhsa_user_sgpr_kernarg_segment_ptr 1
		.amdhsa_user_sgpr_dispatch_id 0
		.amdhsa_user_sgpr_kernarg_preload_length 0
		.amdhsa_user_sgpr_kernarg_preload_offset 0
		.amdhsa_user_sgpr_private_segment_size 0
		.amdhsa_wavefront_size32 1
		.amdhsa_uses_dynamic_stack 0
		.amdhsa_enable_private_segment 1
		.amdhsa_system_sgpr_workgroup_id_x 1
		.amdhsa_system_sgpr_workgroup_id_y 0
		.amdhsa_system_sgpr_workgroup_id_z 0
		.amdhsa_system_sgpr_workgroup_info 0
		.amdhsa_system_vgpr_workitem_id 0
		.amdhsa_next_free_vgpr 152
		.amdhsa_next_free_sgpr 19
		.amdhsa_named_barrier_count 0
		.amdhsa_reserve_vcc 1
		.amdhsa_float_round_mode_32 0
		.amdhsa_float_round_mode_16_64 0
		.amdhsa_float_denorm_mode_32 3
		.amdhsa_float_denorm_mode_16_64 3
		.amdhsa_fp16_overflow 0
		.amdhsa_memory_ordered 1
		.amdhsa_forward_progress 1
		.amdhsa_inst_pref_size 198
		.amdhsa_round_robin_scheduling 0
		.amdhsa_exception_fp_ieee_invalid_op 0
		.amdhsa_exception_fp_denorm_src 0
		.amdhsa_exception_fp_ieee_div_zero 0
		.amdhsa_exception_fp_ieee_overflow 0
		.amdhsa_exception_fp_ieee_underflow 0
		.amdhsa_exception_fp_ieee_inexact 0
		.amdhsa_exception_int_div_zero 0
	.end_amdhsa_kernel
	.section	.text._ZN9rocsolver6v33100L18getri_kernel_smallILi22E19rocblas_complex_numIfEPS3_EEvT1_iilPiilS6_bb,"axG",@progbits,_ZN9rocsolver6v33100L18getri_kernel_smallILi22E19rocblas_complex_numIfEPS3_EEvT1_iilPiilS6_bb,comdat
.Lfunc_end21:
	.size	_ZN9rocsolver6v33100L18getri_kernel_smallILi22E19rocblas_complex_numIfEPS3_EEvT1_iilPiilS6_bb, .Lfunc_end21-_ZN9rocsolver6v33100L18getri_kernel_smallILi22E19rocblas_complex_numIfEPS3_EEvT1_iilPiilS6_bb
                                        ; -- End function
	.set _ZN9rocsolver6v33100L18getri_kernel_smallILi22E19rocblas_complex_numIfEPS3_EEvT1_iilPiilS6_bb.num_vgpr, 152
	.set _ZN9rocsolver6v33100L18getri_kernel_smallILi22E19rocblas_complex_numIfEPS3_EEvT1_iilPiilS6_bb.num_agpr, 0
	.set _ZN9rocsolver6v33100L18getri_kernel_smallILi22E19rocblas_complex_numIfEPS3_EEvT1_iilPiilS6_bb.numbered_sgpr, 19
	.set _ZN9rocsolver6v33100L18getri_kernel_smallILi22E19rocblas_complex_numIfEPS3_EEvT1_iilPiilS6_bb.num_named_barrier, 0
	.set _ZN9rocsolver6v33100L18getri_kernel_smallILi22E19rocblas_complex_numIfEPS3_EEvT1_iilPiilS6_bb.private_seg_size, 192
	.set _ZN9rocsolver6v33100L18getri_kernel_smallILi22E19rocblas_complex_numIfEPS3_EEvT1_iilPiilS6_bb.uses_vcc, 1
	.set _ZN9rocsolver6v33100L18getri_kernel_smallILi22E19rocblas_complex_numIfEPS3_EEvT1_iilPiilS6_bb.uses_flat_scratch, 1
	.set _ZN9rocsolver6v33100L18getri_kernel_smallILi22E19rocblas_complex_numIfEPS3_EEvT1_iilPiilS6_bb.has_dyn_sized_stack, 0
	.set _ZN9rocsolver6v33100L18getri_kernel_smallILi22E19rocblas_complex_numIfEPS3_EEvT1_iilPiilS6_bb.has_recursion, 0
	.set _ZN9rocsolver6v33100L18getri_kernel_smallILi22E19rocblas_complex_numIfEPS3_EEvT1_iilPiilS6_bb.has_indirect_call, 0
	.section	.AMDGPU.csdata,"",@progbits
; Kernel info:
; codeLenInByte = 25252
; TotalNumSgprs: 21
; NumVgprs: 152
; ScratchSize: 192
; MemoryBound: 0
; FloatMode: 240
; IeeeMode: 1
; LDSByteSize: 356 bytes/workgroup (compile time only)
; SGPRBlocks: 0
; VGPRBlocks: 9
; NumSGPRsForWavesPerEU: 21
; NumVGPRsForWavesPerEU: 152
; NamedBarCnt: 0
; Occupancy: 6
; WaveLimiterHint : 1
; COMPUTE_PGM_RSRC2:SCRATCH_EN: 1
; COMPUTE_PGM_RSRC2:USER_SGPR: 2
; COMPUTE_PGM_RSRC2:TRAP_HANDLER: 0
; COMPUTE_PGM_RSRC2:TGID_X_EN: 1
; COMPUTE_PGM_RSRC2:TGID_Y_EN: 0
; COMPUTE_PGM_RSRC2:TGID_Z_EN: 0
; COMPUTE_PGM_RSRC2:TIDIG_COMP_CNT: 0
	.section	.text._ZN9rocsolver6v33100L18getri_kernel_smallILi23E19rocblas_complex_numIfEPS3_EEvT1_iilPiilS6_bb,"axG",@progbits,_ZN9rocsolver6v33100L18getri_kernel_smallILi23E19rocblas_complex_numIfEPS3_EEvT1_iilPiilS6_bb,comdat
	.globl	_ZN9rocsolver6v33100L18getri_kernel_smallILi23E19rocblas_complex_numIfEPS3_EEvT1_iilPiilS6_bb ; -- Begin function _ZN9rocsolver6v33100L18getri_kernel_smallILi23E19rocblas_complex_numIfEPS3_EEvT1_iilPiilS6_bb
	.p2align	8
	.type	_ZN9rocsolver6v33100L18getri_kernel_smallILi23E19rocblas_complex_numIfEPS3_EEvT1_iilPiilS6_bb,@function
_ZN9rocsolver6v33100L18getri_kernel_smallILi23E19rocblas_complex_numIfEPS3_EEvT1_iilPiilS6_bb: ; @_ZN9rocsolver6v33100L18getri_kernel_smallILi23E19rocblas_complex_numIfEPS3_EEvT1_iilPiilS6_bb
; %bb.0:
	s_mov_b32 s2, exec_lo
	v_cmpx_gt_u32_e32 23, v0
	s_cbranch_execz .LBB22_106
; %bb.1:
	s_clause 0x2
	s_load_b32 s2, s[0:1], 0x38
	s_load_b128 s[12:15], s[0:1], 0x10
	s_load_b128 s[4:7], s[0:1], 0x28
	s_getreg_b32 s9, hwreg(HW_REG_IB_STS2, 6, 4)
	s_wait_kmcnt 0x0
	s_bitcmp1_b32 s2, 8
	s_cselect_b32 s18, -1, 0
	s_bfe_u32 s3, ttmp6, 0x4000c
	s_and_b32 s8, ttmp6, 15
	s_add_co_i32 s3, s3, 1
	s_delay_alu instid0(SALU_CYCLE_1) | instskip(NEXT) | instid1(SALU_CYCLE_1)
	s_mul_i32 s3, ttmp9, s3
	s_add_co_i32 s8, s8, s3
	s_cmp_eq_u32 s9, 0
	s_cselect_b32 s16, ttmp9, s8
	s_bfe_u32 s2, s2, 0x10008
	s_ashr_i32 s17, s16, 31
	s_cmp_eq_u32 s2, 0
                                        ; implicit-def: $sgpr2_sgpr3
	s_cbranch_scc1 .LBB22_3
; %bb.2:
	s_load_b32 s2, s[0:1], 0x20
	s_mul_u64 s[4:5], s[4:5], s[16:17]
	s_delay_alu instid0(SALU_CYCLE_1) | instskip(NEXT) | instid1(SALU_CYCLE_1)
	s_lshl_b64 s[4:5], s[4:5], 2
	s_add_nc_u64 s[4:5], s[14:15], s[4:5]
	s_wait_kmcnt 0x0
	s_ashr_i32 s3, s2, 31
	s_delay_alu instid0(SALU_CYCLE_1) | instskip(NEXT) | instid1(SALU_CYCLE_1)
	s_lshl_b64 s[2:3], s[2:3], 2
	s_add_nc_u64 s[2:3], s[4:5], s[2:3]
.LBB22_3:
	s_clause 0x1
	s_load_b128 s[8:11], s[0:1], 0x0
	s_load_b32 s14, s[0:1], 0x38
	s_wait_xcnt 0x0
	s_mul_u64 s[0:1], s[12:13], s[16:17]
	v_lshlrev_b32_e32 v48, 3, v0
	s_lshl_b64 s[0:1], s[0:1], 3
	s_wait_kmcnt 0x0
	v_add3_u32 v6, s11, s11, v0
	s_ashr_i32 s5, s10, 31
	s_mov_b32 s4, s10
	s_add_nc_u64 s[0:1], s[8:9], s[0:1]
	s_lshl_b64 s[4:5], s[4:5], 3
	v_add_nc_u32_e32 v8, s11, v6
	s_add_nc_u64 s[4:5], s[0:1], s[4:5]
	s_ashr_i32 s1, s11, 31
	s_mov_b32 s0, s11
	s_bitcmp0_b32 s14, 0
	v_add_nc_u32_e32 v10, s11, v8
	s_delay_alu instid0(VALU_DEP_1) | instskip(NEXT) | instid1(VALU_DEP_1)
	v_add_nc_u32_e32 v12, s11, v10
	v_add_nc_u32_e32 v14, s11, v12
	s_delay_alu instid0(VALU_DEP_1) | instskip(NEXT) | instid1(VALU_DEP_1)
	v_add_nc_u32_e32 v16, s11, v14
	;; [unrolled: 3-line block ×4, first 2 shown]
	v_add_nc_u32_e32 v26, s11, v24
	s_delay_alu instid0(VALU_DEP_1) | instskip(NEXT) | instid1(VALU_DEP_1)
	v_dual_mov_b32 v49, 0 :: v_dual_add_nc_u32 v28, s11, v26
	v_add_nc_u32_e32 v30, s11, v28
	s_delay_alu instid0(VALU_DEP_2) | instskip(NEXT) | instid1(VALU_DEP_2)
	v_add_nc_u64_e32 v[2:3], s[4:5], v[48:49]
	v_add_nc_u32_e32 v32, s11, v30
	s_delay_alu instid0(VALU_DEP_2) | instskip(SKIP_1) | instid1(VALU_DEP_2)
	v_lshl_add_u64 v[4:5], s[0:1], 3, v[2:3]
	s_mov_b32 s1, -1
	v_add_nc_u32_e32 v34, s11, v32
	s_clause 0x9
	global_load_b64 v[50:51], v0, s[4:5] scale_offset
	global_load_b64 v[52:53], v[4:5], off
	global_load_b64 v[54:55], v6, s[4:5] scale_offset
	global_load_b64 v[56:57], v8, s[4:5] scale_offset
	;; [unrolled: 1-line block ×8, first 2 shown]
	v_add_nc_u32_e32 v36, s11, v34
	s_clause 0x3
	global_load_b64 v[70:71], v22, s[4:5] scale_offset
	global_load_b64 v[72:73], v24, s[4:5] scale_offset
	;; [unrolled: 1-line block ×4, first 2 shown]
	v_add_nc_u32_e32 v38, s11, v36
	s_delay_alu instid0(VALU_DEP_1) | instskip(NEXT) | instid1(VALU_DEP_1)
	v_add_nc_u32_e32 v40, s11, v38
	v_add_nc_u32_e32 v42, s11, v40
	s_clause 0x3
	global_load_b64 v[78:79], v30, s[4:5] scale_offset
	global_load_b64 v[80:81], v32, s[4:5] scale_offset
	;; [unrolled: 1-line block ×4, first 2 shown]
	v_add_nc_u32_e32 v44, s11, v42
	s_delay_alu instid0(VALU_DEP_1)
	v_add_nc_u32_e32 v46, s11, v44
	s_clause 0x4
	global_load_b64 v[86:87], v38, s[4:5] scale_offset
	global_load_b64 v[88:89], v40, s[4:5] scale_offset
	;; [unrolled: 1-line block ×5, first 2 shown]
	s_wait_loadcnt 0x15
	scratch_store_b128 off, v[50:53], off
	s_wait_loadcnt 0x13
	scratch_store_b128 off, v[54:57], off offset:16
	s_wait_loadcnt 0x11
	scratch_store_b128 off, v[58:61], off offset:32
	;; [unrolled: 2-line block ×10, first 2 shown]
	s_wait_loadcnt 0x0
	scratch_store_b64 off, v[94:95], off offset:176
	s_cbranch_scc1 .LBB22_104
; %bb.4:
	v_cmp_eq_u32_e64 s0, 0, v0
	s_wait_xcnt 0x0
	s_and_saveexec_b32 s1, s0
; %bb.5:
	v_mov_b32_e32 v1, 0
	ds_store_b32 v1, v1 offset:184
; %bb.6:
	s_or_b32 exec_lo, exec_lo, s1
	s_wait_storecnt_dscnt 0x0
	s_barrier_signal -1
	s_barrier_wait -1
	scratch_load_b64 v[50:51], v0, off scale_offset
	s_wait_loadcnt 0x0
	v_cmp_eq_f32_e32 vcc_lo, 0, v50
	v_cmp_eq_f32_e64 s1, 0, v51
	s_and_b32 s1, vcc_lo, s1
	s_delay_alu instid0(SALU_CYCLE_1)
	s_and_saveexec_b32 s8, s1
	s_cbranch_execz .LBB22_10
; %bb.7:
	v_mov_b32_e32 v1, 0
	s_mov_b32 s9, 0
	ds_load_b32 v7, v1 offset:184
	s_wait_dscnt 0x0
	v_readfirstlane_b32 s1, v7
	v_add_nc_u32_e32 v7, 1, v0
	s_cmp_eq_u32 s1, 0
	s_delay_alu instid0(VALU_DEP_1) | instskip(SKIP_1) | instid1(SALU_CYCLE_1)
	v_cmp_gt_i32_e32 vcc_lo, s1, v7
	s_cselect_b32 s10, -1, 0
	s_or_b32 s10, s10, vcc_lo
	s_delay_alu instid0(SALU_CYCLE_1)
	s_and_b32 exec_lo, exec_lo, s10
	s_cbranch_execz .LBB22_10
; %bb.8:
	v_mov_b32_e32 v9, s1
.LBB22_9:                               ; =>This Inner Loop Header: Depth=1
	ds_cmpstore_rtn_b32 v9, v1, v7, v9 offset:184
	s_wait_dscnt 0x0
	v_cmp_ne_u32_e32 vcc_lo, 0, v9
	v_cmp_le_i32_e64 s1, v9, v7
	s_and_b32 s1, vcc_lo, s1
	s_delay_alu instid0(SALU_CYCLE_1) | instskip(NEXT) | instid1(SALU_CYCLE_1)
	s_and_b32 s1, exec_lo, s1
	s_or_b32 s9, s1, s9
	s_delay_alu instid0(SALU_CYCLE_1)
	s_and_not1_b32 exec_lo, exec_lo, s9
	s_cbranch_execnz .LBB22_9
.LBB22_10:
	s_or_b32 exec_lo, exec_lo, s8
	v_mov_b32_e32 v1, 0
	s_barrier_signal -1
	s_barrier_wait -1
	ds_load_b32 v7, v1 offset:184
	s_and_saveexec_b32 s1, s0
	s_cbranch_execz .LBB22_12
; %bb.11:
	s_lshl_b64 s[8:9], s[16:17], 2
	s_delay_alu instid0(SALU_CYCLE_1)
	s_add_nc_u64 s[8:9], s[6:7], s[8:9]
	s_wait_dscnt 0x0
	global_store_b32 v1, v7, s[8:9]
.LBB22_12:
	s_wait_xcnt 0x0
	s_or_b32 exec_lo, exec_lo, s1
	s_wait_dscnt 0x0
	v_cmp_ne_u32_e32 vcc_lo, 0, v7
	s_mov_b32 s1, 0
	s_cbranch_vccnz .LBB22_104
; %bb.13:
	v_lshl_add_u32 v7, v0, 3, 0
                                        ; implicit-def: $vgpr53
                                        ; implicit-def: $vgpr54
	scratch_load_b64 v[50:51], v7, off
	s_wait_loadcnt 0x0
	v_cmp_ngt_f32_e64 s1, |v50|, |v51|
	s_wait_xcnt 0x0
	s_and_saveexec_b32 s8, s1
	s_delay_alu instid0(SALU_CYCLE_1)
	s_xor_b32 s1, exec_lo, s8
	s_cbranch_execz .LBB22_15
; %bb.14:
	v_div_scale_f32 v1, null, v51, v51, v50
	v_div_scale_f32 v13, vcc_lo, v50, v51, v50
	s_delay_alu instid0(VALU_DEP_2) | instskip(SKIP_1) | instid1(TRANS32_DEP_1)
	v_rcp_f32_e32 v9, v1
	v_nop
	v_fma_f32 v11, -v1, v9, 1.0
	s_delay_alu instid0(VALU_DEP_1) | instskip(NEXT) | instid1(VALU_DEP_1)
	v_fmac_f32_e32 v9, v11, v9
	v_mul_f32_e32 v11, v13, v9
	s_delay_alu instid0(VALU_DEP_1) | instskip(NEXT) | instid1(VALU_DEP_1)
	v_fma_f32 v15, -v1, v11, v13
	v_fmac_f32_e32 v11, v15, v9
	s_delay_alu instid0(VALU_DEP_1) | instskip(NEXT) | instid1(VALU_DEP_1)
	v_fma_f32 v1, -v1, v11, v13
	v_div_fmas_f32 v1, v1, v9, v11
	s_delay_alu instid0(VALU_DEP_1) | instskip(NEXT) | instid1(VALU_DEP_1)
	v_div_fixup_f32 v1, v1, v51, v50
	v_fmac_f32_e32 v51, v50, v1
	s_delay_alu instid0(VALU_DEP_1) | instskip(NEXT) | instid1(VALU_DEP_1)
	v_div_scale_f32 v9, null, v51, v51, -1.0
	v_rcp_f32_e32 v11, v9
	v_nop
	s_delay_alu instid0(TRANS32_DEP_1) | instskip(NEXT) | instid1(VALU_DEP_1)
	v_fma_f32 v13, -v9, v11, 1.0
	v_fmac_f32_e32 v11, v13, v11
	v_div_scale_f32 v13, vcc_lo, -1.0, v51, -1.0
	s_delay_alu instid0(VALU_DEP_1) | instskip(NEXT) | instid1(VALU_DEP_1)
	v_mul_f32_e32 v15, v13, v11
	v_fma_f32 v17, -v9, v15, v13
	s_delay_alu instid0(VALU_DEP_1) | instskip(NEXT) | instid1(VALU_DEP_1)
	v_fmac_f32_e32 v15, v17, v11
	v_fma_f32 v9, -v9, v15, v13
	s_delay_alu instid0(VALU_DEP_1) | instskip(NEXT) | instid1(VALU_DEP_1)
	v_div_fmas_f32 v9, v9, v11, v15
	v_div_fixup_f32 v53, v9, v51, -1.0
                                        ; implicit-def: $vgpr50_vgpr51
	s_delay_alu instid0(VALU_DEP_1) | instskip(NEXT) | instid1(VALU_DEP_1)
	v_mul_f32_e32 v54, v1, v53
	v_xor_b32_e32 v52, 0x80000000, v54
.LBB22_15:
	s_and_not1_saveexec_b32 s1, s1
	s_cbranch_execz .LBB22_17
; %bb.16:
	v_div_scale_f32 v1, null, v50, v50, v51
	v_div_scale_f32 v13, vcc_lo, v51, v50, v51
	s_delay_alu instid0(VALU_DEP_2) | instskip(SKIP_1) | instid1(TRANS32_DEP_1)
	v_rcp_f32_e32 v9, v1
	v_nop
	v_fma_f32 v11, -v1, v9, 1.0
	s_delay_alu instid0(VALU_DEP_1) | instskip(NEXT) | instid1(VALU_DEP_1)
	v_fmac_f32_e32 v9, v11, v9
	v_mul_f32_e32 v11, v13, v9
	s_delay_alu instid0(VALU_DEP_1) | instskip(NEXT) | instid1(VALU_DEP_1)
	v_fma_f32 v15, -v1, v11, v13
	v_fmac_f32_e32 v11, v15, v9
	s_delay_alu instid0(VALU_DEP_1) | instskip(NEXT) | instid1(VALU_DEP_1)
	v_fma_f32 v1, -v1, v11, v13
	v_div_fmas_f32 v1, v1, v9, v11
	s_delay_alu instid0(VALU_DEP_1) | instskip(NEXT) | instid1(VALU_DEP_1)
	v_div_fixup_f32 v1, v1, v50, v51
	v_fmac_f32_e32 v50, v51, v1
	s_delay_alu instid0(VALU_DEP_1) | instskip(SKIP_1) | instid1(VALU_DEP_2)
	v_div_scale_f32 v9, null, v50, v50, 1.0
	v_div_scale_f32 v15, vcc_lo, 1.0, v50, 1.0
	v_rcp_f32_e32 v11, v9
	v_nop
	s_delay_alu instid0(TRANS32_DEP_1) | instskip(NEXT) | instid1(VALU_DEP_1)
	v_fma_f32 v13, -v9, v11, 1.0
	v_fmac_f32_e32 v11, v13, v11
	s_delay_alu instid0(VALU_DEP_1) | instskip(NEXT) | instid1(VALU_DEP_1)
	v_mul_f32_e32 v13, v15, v11
	v_fma_f32 v17, -v9, v13, v15
	s_delay_alu instid0(VALU_DEP_1) | instskip(NEXT) | instid1(VALU_DEP_1)
	v_fmac_f32_e32 v13, v17, v11
	v_fma_f32 v9, -v9, v13, v15
	s_delay_alu instid0(VALU_DEP_1) | instskip(NEXT) | instid1(VALU_DEP_1)
	v_div_fmas_f32 v9, v9, v11, v13
	v_div_fixup_f32 v52, v9, v50, 1.0
	s_delay_alu instid0(VALU_DEP_1)
	v_xor_b32_e32 v54, 0x80000000, v52
	v_mul_f32_e64 v53, v1, -v52
.LBB22_17:
	s_or_b32 exec_lo, exec_lo, s1
	scratch_store_b64 v7, v[52:53], off
	scratch_load_b64 v[50:51], off, off offset:8
	v_xor_b32_e32 v55, 0x80000000, v53
	v_add_nc_u32_e32 v1, 0xc0, v48
	s_wait_loadcnt 0x0
	ds_store_2addr_b64 v48, v[54:55], v[50:51] offset1:24
	s_wait_storecnt_dscnt 0x0
	s_barrier_signal -1
	s_barrier_wait -1
	s_wait_xcnt 0x0
	s_and_saveexec_b32 s1, s0
	s_cbranch_execz .LBB22_19
; %bb.18:
	scratch_load_b64 v[50:51], v7, off
	ds_load_b64 v[52:53], v1
	s_wait_loadcnt_dscnt 0x0
	v_pk_mul_f32 v[56:57], v[52:53], v[50:51] op_sel:[1,1] op_sel_hi:[0,1]
	s_delay_alu instid0(VALU_DEP_1) | instskip(SKIP_2) | instid1(VALU_DEP_3)
	v_pk_fma_f32 v[58:59], v[52:53], v[50:51], v[56:57] op_sel_hi:[1,0,1]
	v_mov_b32_e32 v9, 0
	v_pk_fma_f32 v[50:51], v[52:53], v[50:51], v[56:57] neg_lo:[0,0,1] neg_hi:[0,0,1]
	v_mov_b32_e32 v51, v59
	ds_load_b64 v[54:55], v9 offset:8
	v_pk_add_f32 v[50:51], v[50:51], 0 op_sel_hi:[1,0]
	s_wait_dscnt 0x0
	s_delay_alu instid0(VALU_DEP_1) | instskip(NEXT) | instid1(VALU_DEP_1)
	v_pk_mul_f32 v[52:53], v[50:51], v[54:55] op_sel:[1,1] op_sel_hi:[0,1]
	v_pk_fma_f32 v[56:57], v[50:51], v[54:55], v[52:53] op_sel_hi:[1,0,1]
	v_pk_fma_f32 v[50:51], v[50:51], v[54:55], v[52:53] neg_lo:[0,0,1] neg_hi:[0,0,1]
	s_delay_alu instid0(VALU_DEP_2)
	v_mov_b32_e32 v51, v57
	scratch_store_b64 off, v[50:51], off offset:8
.LBB22_19:
	s_wait_xcnt 0x0
	s_or_b32 exec_lo, exec_lo, s1
	s_wait_storecnt 0x0
	s_barrier_signal -1
	s_barrier_wait -1
	scratch_load_b64 v[50:51], off, off offset:16
	s_mov_b32 s1, exec_lo
	s_wait_loadcnt 0x0
	ds_store_b64 v1, v[50:51]
	s_wait_dscnt 0x0
	s_barrier_signal -1
	s_barrier_wait -1
	v_cmpx_gt_u32_e32 2, v0
	s_cbranch_execz .LBB22_23
; %bb.20:
	scratch_load_b64 v[50:51], v7, off
	ds_load_b64 v[52:53], v1
	s_wait_loadcnt_dscnt 0x0
	v_pk_mul_f32 v[54:55], v[52:53], v[50:51] op_sel:[1,1] op_sel_hi:[0,1]
	s_delay_alu instid0(VALU_DEP_1) | instskip(SKIP_1) | instid1(VALU_DEP_2)
	v_pk_fma_f32 v[56:57], v[52:53], v[50:51], v[54:55] op_sel_hi:[1,0,1]
	v_pk_fma_f32 v[50:51], v[52:53], v[50:51], v[54:55] neg_lo:[0,0,1] neg_hi:[0,0,1]
	v_mov_b32_e32 v51, v57
	s_delay_alu instid0(VALU_DEP_1)
	v_pk_add_f32 v[50:51], v[50:51], 0 op_sel_hi:[1,0]
	s_and_saveexec_b32 s8, s0
	s_cbranch_execz .LBB22_22
; %bb.21:
	scratch_load_b64 v[52:53], off, off offset:8
	v_mov_b32_e32 v7, 0
	ds_load_b64 v[54:55], v7 offset:200
	s_wait_loadcnt_dscnt 0x0
	v_pk_mul_f32 v[56:57], v[54:55], v[52:53] op_sel:[1,1] op_sel_hi:[0,1]
	s_delay_alu instid0(VALU_DEP_1) | instskip(SKIP_1) | instid1(VALU_DEP_2)
	v_pk_fma_f32 v[58:59], v[54:55], v[52:53], v[56:57] op_sel_hi:[1,0,1]
	v_pk_fma_f32 v[52:53], v[54:55], v[52:53], v[56:57] neg_lo:[0,0,1] neg_hi:[0,0,1]
	v_mov_b32_e32 v53, v59
	s_delay_alu instid0(VALU_DEP_1)
	v_pk_add_f32 v[50:51], v[50:51], v[52:53]
.LBB22_22:
	s_or_b32 exec_lo, exec_lo, s8
	v_mov_b32_e32 v7, 0
	ds_load_b64 v[52:53], v7 offset:16
	s_wait_dscnt 0x0
	v_pk_mul_f32 v[54:55], v[50:51], v[52:53] op_sel:[1,1] op_sel_hi:[0,1]
	s_delay_alu instid0(VALU_DEP_1) | instskip(SKIP_1) | instid1(VALU_DEP_2)
	v_pk_fma_f32 v[56:57], v[50:51], v[52:53], v[54:55] op_sel_hi:[1,0,1]
	v_pk_fma_f32 v[50:51], v[50:51], v[52:53], v[54:55] neg_lo:[0,0,1] neg_hi:[0,0,1]
	v_mov_b32_e32 v51, v57
	scratch_store_b64 off, v[50:51], off offset:16
.LBB22_23:
	s_wait_xcnt 0x0
	s_or_b32 exec_lo, exec_lo, s1
	s_wait_storecnt 0x0
	s_barrier_signal -1
	s_barrier_wait -1
	scratch_load_b64 v[50:51], off, off offset:24
	v_add_nc_u32_e32 v7, -1, v0
	s_mov_b32 s0, exec_lo
	s_wait_loadcnt 0x0
	ds_store_b64 v1, v[50:51]
	s_wait_dscnt 0x0
	s_barrier_signal -1
	s_barrier_wait -1
	v_cmpx_gt_u32_e32 3, v0
	s_cbranch_execz .LBB22_27
; %bb.24:
	v_dual_mov_b32 v50, 0 :: v_dual_add_nc_u32 v9, -1, v0
	v_add_nc_u32_e32 v11, 0xc0, v48
	v_mov_b32_e32 v13, v48
	s_mov_b32 s1, 0
	s_delay_alu instid0(VALU_DEP_3)
	v_mov_b32_e32 v51, v50
.LBB22_25:                              ; =>This Inner Loop Header: Depth=1
	scratch_load_b64 v[52:53], v13, off
	ds_load_b64 v[54:55], v11
	s_wait_xcnt 0x0
	v_dual_add_nc_u32 v11, 8, v11 :: v_dual_add_nc_u32 v13, 8, v13
	s_wait_loadcnt_dscnt 0x0
	v_pk_mul_f32 v[56:57], v[54:55], v[52:53] op_sel:[1,1] op_sel_hi:[0,1]
	s_delay_alu instid0(VALU_DEP_1) | instskip(SKIP_2) | instid1(VALU_DEP_3)
	v_pk_fma_f32 v[58:59], v[54:55], v[52:53], v[56:57] op_sel_hi:[1,0,1]
	v_add_nc_u32_e32 v9, 1, v9
	v_pk_fma_f32 v[52:53], v[54:55], v[52:53], v[56:57] neg_lo:[0,0,1] neg_hi:[0,0,1]
	v_mov_b32_e32 v53, v59
	s_delay_alu instid0(VALU_DEP_3) | instskip(NEXT) | instid1(VALU_DEP_2)
	v_cmp_lt_u32_e32 vcc_lo, 1, v9
	v_pk_add_f32 v[50:51], v[50:51], v[52:53]
	s_or_b32 s1, vcc_lo, s1
	s_delay_alu instid0(SALU_CYCLE_1)
	s_and_not1_b32 exec_lo, exec_lo, s1
	s_cbranch_execnz .LBB22_25
; %bb.26:
	s_or_b32 exec_lo, exec_lo, s1
	v_mov_b32_e32 v9, 0
	ds_load_b64 v[52:53], v9 offset:24
	s_wait_dscnt 0x0
	v_pk_mul_f32 v[54:55], v[50:51], v[52:53] op_sel:[1,1] op_sel_hi:[0,1]
	s_delay_alu instid0(VALU_DEP_1) | instskip(SKIP_1) | instid1(VALU_DEP_2)
	v_pk_fma_f32 v[56:57], v[50:51], v[52:53], v[54:55] op_sel_hi:[1,0,1]
	v_pk_fma_f32 v[50:51], v[50:51], v[52:53], v[54:55] neg_lo:[0,0,1] neg_hi:[0,0,1]
	v_mov_b32_e32 v51, v57
	scratch_store_b64 off, v[50:51], off offset:24
.LBB22_27:
	s_wait_xcnt 0x0
	s_or_b32 exec_lo, exec_lo, s0
	s_wait_storecnt 0x0
	s_barrier_signal -1
	s_barrier_wait -1
	scratch_load_b64 v[50:51], off, off offset:32
	s_mov_b32 s0, exec_lo
	s_wait_loadcnt 0x0
	ds_store_b64 v1, v[50:51]
	s_wait_dscnt 0x0
	s_barrier_signal -1
	s_barrier_wait -1
	v_cmpx_gt_u32_e32 4, v0
	s_cbranch_execz .LBB22_31
; %bb.28:
	v_dual_mov_b32 v50, 0 :: v_dual_add_nc_u32 v9, -1, v0
	v_add_nc_u32_e32 v11, 0xc0, v48
	v_mov_b32_e32 v13, v48
	s_mov_b32 s1, 0
	s_delay_alu instid0(VALU_DEP_3)
	v_mov_b32_e32 v51, v50
.LBB22_29:                              ; =>This Inner Loop Header: Depth=1
	scratch_load_b64 v[52:53], v13, off
	ds_load_b64 v[54:55], v11
	s_wait_xcnt 0x0
	v_dual_add_nc_u32 v11, 8, v11 :: v_dual_add_nc_u32 v13, 8, v13
	s_wait_loadcnt_dscnt 0x0
	v_pk_mul_f32 v[56:57], v[54:55], v[52:53] op_sel:[1,1] op_sel_hi:[0,1]
	s_delay_alu instid0(VALU_DEP_1) | instskip(SKIP_2) | instid1(VALU_DEP_3)
	v_pk_fma_f32 v[58:59], v[54:55], v[52:53], v[56:57] op_sel_hi:[1,0,1]
	v_add_nc_u32_e32 v9, 1, v9
	v_pk_fma_f32 v[52:53], v[54:55], v[52:53], v[56:57] neg_lo:[0,0,1] neg_hi:[0,0,1]
	v_mov_b32_e32 v53, v59
	s_delay_alu instid0(VALU_DEP_3) | instskip(NEXT) | instid1(VALU_DEP_2)
	v_cmp_lt_u32_e32 vcc_lo, 2, v9
	v_pk_add_f32 v[50:51], v[50:51], v[52:53]
	s_or_b32 s1, vcc_lo, s1
	s_delay_alu instid0(SALU_CYCLE_1)
	s_and_not1_b32 exec_lo, exec_lo, s1
	s_cbranch_execnz .LBB22_29
; %bb.30:
	s_or_b32 exec_lo, exec_lo, s1
	v_mov_b32_e32 v9, 0
	ds_load_b64 v[52:53], v9 offset:32
	s_wait_dscnt 0x0
	v_pk_mul_f32 v[54:55], v[50:51], v[52:53] op_sel:[1,1] op_sel_hi:[0,1]
	s_delay_alu instid0(VALU_DEP_1) | instskip(SKIP_1) | instid1(VALU_DEP_2)
	v_pk_fma_f32 v[56:57], v[50:51], v[52:53], v[54:55] op_sel_hi:[1,0,1]
	v_pk_fma_f32 v[50:51], v[50:51], v[52:53], v[54:55] neg_lo:[0,0,1] neg_hi:[0,0,1]
	v_mov_b32_e32 v51, v57
	scratch_store_b64 off, v[50:51], off offset:32
.LBB22_31:
	s_wait_xcnt 0x0
	s_or_b32 exec_lo, exec_lo, s0
	s_wait_storecnt 0x0
	s_barrier_signal -1
	s_barrier_wait -1
	scratch_load_b64 v[50:51], off, off offset:40
	;; [unrolled: 52-line block ×19, first 2 shown]
	s_mov_b32 s0, exec_lo
	s_wait_loadcnt 0x0
	ds_store_b64 v1, v[50:51]
	s_wait_dscnt 0x0
	s_barrier_signal -1
	s_barrier_wait -1
	v_cmpx_ne_u32_e32 22, v0
	s_cbranch_execz .LBB22_103
; %bb.100:
	v_dual_mov_b32 v50, 0 :: v_dual_mov_b32 v9, v48
	s_mov_b32 s1, 0
	s_delay_alu instid0(VALU_DEP_1)
	v_mov_b32_e32 v51, v50
.LBB22_101:                             ; =>This Inner Loop Header: Depth=1
	scratch_load_b64 v[48:49], v9, off
	ds_load_b64 v[52:53], v1
	v_add_nc_u32_e32 v1, 8, v1
	s_wait_xcnt 0x0
	v_add_nc_u32_e32 v9, 8, v9
	s_wait_loadcnt_dscnt 0x0
	v_pk_mul_f32 v[54:55], v[52:53], v[48:49] op_sel:[1,1] op_sel_hi:[0,1]
	s_delay_alu instid0(VALU_DEP_1) | instskip(SKIP_2) | instid1(VALU_DEP_3)
	v_pk_fma_f32 v[56:57], v[52:53], v[48:49], v[54:55] op_sel_hi:[1,0,1]
	v_add_nc_u32_e32 v7, 1, v7
	v_pk_fma_f32 v[48:49], v[52:53], v[48:49], v[54:55] neg_lo:[0,0,1] neg_hi:[0,0,1]
	v_mov_b32_e32 v49, v57
	s_delay_alu instid0(VALU_DEP_3) | instskip(NEXT) | instid1(VALU_DEP_2)
	v_cmp_lt_u32_e32 vcc_lo, 20, v7
	v_pk_add_f32 v[50:51], v[50:51], v[48:49]
	s_or_b32 s1, vcc_lo, s1
	s_delay_alu instid0(SALU_CYCLE_1)
	s_and_not1_b32 exec_lo, exec_lo, s1
	s_cbranch_execnz .LBB22_101
; %bb.102:
	s_or_b32 exec_lo, exec_lo, s1
	v_mov_b32_e32 v1, 0
	ds_load_b64 v[48:49], v1 offset:176
	s_wait_dscnt 0x0
	v_pk_mul_f32 v[52:53], v[50:51], v[48:49] op_sel:[1,1] op_sel_hi:[0,1]
	s_delay_alu instid0(VALU_DEP_1) | instskip(SKIP_1) | instid1(VALU_DEP_2)
	v_pk_fma_f32 v[54:55], v[50:51], v[48:49], v[52:53] op_sel_hi:[1,0,1]
	v_pk_fma_f32 v[48:49], v[50:51], v[48:49], v[52:53] neg_lo:[0,0,1] neg_hi:[0,0,1]
	v_mov_b32_e32 v49, v55
	scratch_store_b64 off, v[48:49], off offset:176
.LBB22_103:
	s_wait_xcnt 0x0
	s_or_b32 exec_lo, exec_lo, s0
	s_mov_b32 s1, -1
	s_wait_storecnt 0x0
	s_barrier_signal -1
	s_barrier_wait -1
.LBB22_104:
	s_and_b32 vcc_lo, exec_lo, s1
	s_cbranch_vccz .LBB22_106
; %bb.105:
	v_mov_b32_e32 v1, 0
	s_lshl_b64 s[0:1], s[16:17], 2
	s_delay_alu instid0(SALU_CYCLE_1)
	s_add_nc_u64 s[0:1], s[6:7], s[0:1]
	global_load_b32 v1, v1, s[0:1]
	s_wait_loadcnt 0x0
	v_cmp_ne_u32_e32 vcc_lo, 0, v1
	s_cbranch_vccz .LBB22_107
.LBB22_106:
	s_sendmsg sendmsg(MSG_DEALLOC_VGPRS)
	s_endpgm
.LBB22_107:
	s_wait_xcnt 0x0
	v_lshl_add_u32 v1, v0, 3, 0xc0
	s_mov_b32 s0, exec_lo
	v_cmpx_eq_u32_e32 22, v0
	s_cbranch_execz .LBB22_109
; %bb.108:
	scratch_load_b64 v[48:49], off, off offset:168
	v_mov_b64_e32 v[50:51], 0
	scratch_store_b64 off, v[50:51], off offset:168
	s_wait_loadcnt 0x0
	ds_store_b64 v1, v[48:49]
.LBB22_109:
	s_wait_xcnt 0x0
	s_or_b32 exec_lo, exec_lo, s0
	s_wait_storecnt_dscnt 0x0
	s_barrier_signal -1
	s_barrier_wait -1
	s_clause 0x1
	scratch_load_b64 v[48:49], off, off offset:176
	scratch_load_b64 v[50:51], off, off offset:168
	v_mov_b32_e32 v7, 0
	s_mov_b32 s0, exec_lo
	ds_load_b64 v[52:53], v7 offset:368
	s_wait_loadcnt_dscnt 0x100
	v_pk_mul_f32 v[54:55], v[52:53], v[48:49] op_sel:[1,1] op_sel_hi:[0,1]
	s_delay_alu instid0(VALU_DEP_1) | instskip(SKIP_1) | instid1(VALU_DEP_2)
	v_pk_fma_f32 v[56:57], v[52:53], v[48:49], v[54:55] op_sel_hi:[1,0,1]
	v_pk_fma_f32 v[48:49], v[52:53], v[48:49], v[54:55] neg_lo:[0,0,1] neg_hi:[0,0,1]
	v_mov_b32_e32 v49, v57
	s_delay_alu instid0(VALU_DEP_1) | instskip(SKIP_1) | instid1(VALU_DEP_1)
	v_pk_add_f32 v[48:49], v[48:49], 0 op_sel_hi:[1,0]
	s_wait_loadcnt 0x0
	v_pk_add_f32 v[48:49], v[50:51], v[48:49] neg_lo:[0,1] neg_hi:[0,1]
	scratch_store_b64 off, v[48:49], off offset:168
	s_wait_xcnt 0x0
	v_cmpx_lt_u32_e32 20, v0
	s_cbranch_execz .LBB22_111
; %bb.110:
	scratch_load_b64 v[48:49], off, off offset:160
	v_mov_b64_e32 v[50:51], 0
	scratch_store_b64 off, v[50:51], off offset:160
	s_wait_loadcnt 0x0
	ds_store_b64 v1, v[48:49]
.LBB22_111:
	s_wait_xcnt 0x0
	s_or_b32 exec_lo, exec_lo, s0
	s_wait_storecnt_dscnt 0x0
	s_barrier_signal -1
	s_barrier_wait -1
	s_clause 0x1
	scratch_load_b128 v[48:51], off, off offset:168
	scratch_load_b64 v[56:57], off, off offset:160
	ds_load_2addr_b64 v[52:55], v7 offset0:45 offset1:46
	s_mov_b32 s0, exec_lo
	s_wait_dscnt 0x0
	v_dual_mov_b32 v58, v55 :: v_dual_mov_b32 v59, v54
	s_wait_loadcnt 0x1
	v_pk_mul_f32 v[60:61], v[52:53], v[48:49] op_sel:[1,1] op_sel_hi:[0,1]
	s_delay_alu instid0(VALU_DEP_1) | instskip(SKIP_2) | instid1(VALU_DEP_3)
	v_pk_fma_f32 v[64:65], v[52:53], v[48:49], v[60:61] op_sel_hi:[1,0,1]
	v_mov_b32_e32 v62, v51
	v_pk_fma_f32 v[48:49], v[52:53], v[48:49], v[60:61] neg_lo:[0,0,1] neg_hi:[0,0,1]
	v_mov_b32_e32 v49, v65
	s_delay_alu instid0(VALU_DEP_3) | instskip(NEXT) | instid1(VALU_DEP_2)
	v_pk_mul_f32 v[58:59], v[58:59], v[62:63] op_sel_hi:[1,0]
	v_pk_add_f32 v[48:49], v[48:49], 0 op_sel_hi:[1,0]
	s_delay_alu instid0(VALU_DEP_2) | instskip(SKIP_1) | instid1(VALU_DEP_2)
	v_pk_fma_f32 v[52:53], v[54:55], v[50:51], v[58:59] op_sel_hi:[1,0,1]
	v_pk_fma_f32 v[50:51], v[54:55], v[50:51], v[58:59] neg_lo:[0,0,1] neg_hi:[0,0,1]
	v_mov_b32_e32 v51, v53
	s_delay_alu instid0(VALU_DEP_1) | instskip(SKIP_1) | instid1(VALU_DEP_1)
	v_pk_add_f32 v[48:49], v[48:49], v[50:51]
	s_wait_loadcnt 0x0
	v_pk_add_f32 v[48:49], v[56:57], v[48:49] neg_lo:[0,1] neg_hi:[0,1]
	scratch_store_b64 off, v[48:49], off offset:160
	s_wait_xcnt 0x0
	v_cmpx_lt_u32_e32 19, v0
	s_cbranch_execz .LBB22_113
; %bb.112:
	scratch_load_b64 v[48:49], off, off offset:152
	v_mov_b64_e32 v[50:51], 0
	scratch_store_b64 off, v[50:51], off offset:152
	s_wait_loadcnt 0x0
	ds_store_b64 v1, v[48:49]
.LBB22_113:
	s_wait_xcnt 0x0
	s_or_b32 exec_lo, exec_lo, s0
	s_wait_storecnt_dscnt 0x0
	s_barrier_signal -1
	s_barrier_wait -1
	s_clause 0x2
	scratch_load_b128 v[48:51], off, off offset:160
	scratch_load_b64 v[56:57], off, off offset:176
	scratch_load_b64 v[58:59], off, off offset:152
	v_mov_b32_e32 v7, 0
	ds_load_b128 v[52:55], v7 offset:352
	ds_load_b64 v[60:61], v7 offset:368
	s_mov_b32 s0, exec_lo
	s_wait_dscnt 0x1
	v_dual_mov_b32 v62, v55 :: v_dual_mov_b32 v63, v54
	s_wait_loadcnt 0x2
	v_mov_b32_e32 v66, v51
	v_pk_mul_f32 v[64:65], v[52:53], v[48:49] op_sel:[1,1] op_sel_hi:[0,1]
	s_delay_alu instid0(VALU_DEP_2) | instskip(NEXT) | instid1(VALU_DEP_2)
	v_pk_mul_f32 v[62:63], v[62:63], v[66:67] op_sel_hi:[1,0]
	v_pk_fma_f32 v[68:69], v[52:53], v[48:49], v[64:65] op_sel_hi:[1,0,1]
	v_pk_fma_f32 v[48:49], v[52:53], v[48:49], v[64:65] neg_lo:[0,0,1] neg_hi:[0,0,1]
	s_wait_loadcnt_dscnt 0x100
	v_pk_mul_f32 v[64:65], v[60:61], v[56:57] op_sel:[1,1] op_sel_hi:[0,1]
	v_pk_fma_f32 v[52:53], v[54:55], v[50:51], v[62:63] op_sel_hi:[1,0,1]
	v_mov_b32_e32 v49, v69
	v_pk_fma_f32 v[50:51], v[54:55], v[50:51], v[62:63] neg_lo:[0,0,1] neg_hi:[0,0,1]
	s_delay_alu instid0(VALU_DEP_4) | instskip(NEXT) | instid1(VALU_DEP_4)
	v_pk_fma_f32 v[54:55], v[60:61], v[56:57], v[64:65] neg_lo:[0,0,1] neg_hi:[0,0,1]
	v_mov_b32_e32 v51, v53
	s_delay_alu instid0(VALU_DEP_4) | instskip(SKIP_1) | instid1(VALU_DEP_2)
	v_pk_add_f32 v[48:49], v[48:49], 0 op_sel_hi:[1,0]
	v_pk_fma_f32 v[52:53], v[60:61], v[56:57], v[64:65] op_sel_hi:[1,0,1]
	v_pk_add_f32 v[48:49], v[48:49], v[50:51]
	s_delay_alu instid0(VALU_DEP_2) | instskip(NEXT) | instid1(VALU_DEP_1)
	v_mov_b32_e32 v55, v53
	v_pk_add_f32 v[48:49], v[48:49], v[54:55]
	s_wait_loadcnt 0x0
	s_delay_alu instid0(VALU_DEP_1)
	v_pk_add_f32 v[48:49], v[58:59], v[48:49] neg_lo:[0,1] neg_hi:[0,1]
	scratch_store_b64 off, v[48:49], off offset:152
	s_wait_xcnt 0x0
	v_cmpx_lt_u32_e32 18, v0
	s_cbranch_execz .LBB22_115
; %bb.114:
	scratch_load_b64 v[48:49], off, off offset:144
	v_mov_b64_e32 v[50:51], 0
	scratch_store_b64 off, v[50:51], off offset:144
	s_wait_loadcnt 0x0
	ds_store_b64 v1, v[48:49]
.LBB22_115:
	s_wait_xcnt 0x0
	s_or_b32 exec_lo, exec_lo, s0
	s_wait_storecnt_dscnt 0x0
	s_barrier_signal -1
	s_barrier_wait -1
	s_clause 0x2
	scratch_load_b128 v[48:51], off, off offset:152
	scratch_load_b128 v[52:55], off, off offset:168
	scratch_load_b64 v[64:65], off, off offset:144
	ds_load_2addr_b64 v[56:59], v7 offset0:43 offset1:44
	ds_load_2addr_b64 v[60:63], v7 offset0:45 offset1:46
	s_mov_b32 s0, exec_lo
	s_wait_dscnt 0x1
	v_dual_mov_b32 v66, v59 :: v_dual_mov_b32 v67, v58
	s_wait_loadcnt_dscnt 0x200
	v_dual_mov_b32 v72, v63 :: v_dual_mov_b32 v70, v51
	v_pk_mul_f32 v[68:69], v[56:57], v[48:49] op_sel:[1,1] op_sel_hi:[0,1]
	s_delay_alu instid0(VALU_DEP_2) | instskip(NEXT) | instid1(VALU_DEP_2)
	v_pk_mul_f32 v[66:67], v[66:67], v[70:71] op_sel_hi:[1,0]
	v_pk_fma_f32 v[74:75], v[56:57], v[48:49], v[68:69] op_sel_hi:[1,0,1]
	v_pk_fma_f32 v[48:49], v[56:57], v[48:49], v[68:69] neg_lo:[0,0,1] neg_hi:[0,0,1]
	v_mov_b32_e32 v73, v62
	s_wait_loadcnt 0x1
	v_pk_mul_f32 v[70:71], v[60:61], v[52:53] op_sel:[1,1] op_sel_hi:[0,1]
	v_pk_fma_f32 v[56:57], v[58:59], v[50:51], v[66:67] op_sel_hi:[1,0,1]
	v_dual_mov_b32 v49, v75 :: v_dual_mov_b32 v56, v55
	v_pk_fma_f32 v[50:51], v[58:59], v[50:51], v[66:67] neg_lo:[0,0,1] neg_hi:[0,0,1]
	s_delay_alu instid0(VALU_DEP_4) | instskip(NEXT) | instid1(VALU_DEP_4)
	v_pk_fma_f32 v[68:69], v[60:61], v[52:53], v[70:71] op_sel_hi:[1,0,1]
	v_mov_b32_e32 v51, v57
	s_delay_alu instid0(VALU_DEP_4) | instskip(SKIP_2) | instid1(VALU_DEP_3)
	v_pk_add_f32 v[48:49], v[48:49], 0 op_sel_hi:[1,0]
	v_pk_mul_f32 v[56:57], v[72:73], v[56:57] op_sel_hi:[1,0]
	v_pk_fma_f32 v[52:53], v[60:61], v[52:53], v[70:71] neg_lo:[0,0,1] neg_hi:[0,0,1]
	v_pk_add_f32 v[48:49], v[48:49], v[50:51]
	s_delay_alu instid0(VALU_DEP_3) | instskip(SKIP_2) | instid1(VALU_DEP_3)
	v_pk_fma_f32 v[50:51], v[62:63], v[54:55], v[56:57] op_sel_hi:[1,0,1]
	v_mov_b32_e32 v53, v69
	v_pk_fma_f32 v[54:55], v[62:63], v[54:55], v[56:57] neg_lo:[0,0,1] neg_hi:[0,0,1]
	v_mov_b32_e32 v55, v51
	s_delay_alu instid0(VALU_DEP_3) | instskip(NEXT) | instid1(VALU_DEP_1)
	v_pk_add_f32 v[48:49], v[48:49], v[52:53]
	v_pk_add_f32 v[48:49], v[48:49], v[54:55]
	s_wait_loadcnt 0x0
	s_delay_alu instid0(VALU_DEP_1)
	v_pk_add_f32 v[48:49], v[64:65], v[48:49] neg_lo:[0,1] neg_hi:[0,1]
	scratch_store_b64 off, v[48:49], off offset:144
	s_wait_xcnt 0x0
	v_cmpx_lt_u32_e32 17, v0
	s_cbranch_execz .LBB22_117
; %bb.116:
	scratch_load_b64 v[48:49], off, off offset:136
	v_mov_b64_e32 v[50:51], 0
	scratch_store_b64 off, v[50:51], off offset:136
	s_wait_loadcnt 0x0
	ds_store_b64 v1, v[48:49]
.LBB22_117:
	s_wait_xcnt 0x0
	s_or_b32 exec_lo, exec_lo, s0
	s_wait_storecnt_dscnt 0x0
	s_barrier_signal -1
	s_barrier_wait -1
	s_clause 0x3
	scratch_load_b128 v[48:51], off, off offset:144
	scratch_load_b128 v[52:55], off, off offset:160
	scratch_load_b64 v[64:65], off, off offset:176
	scratch_load_b64 v[66:67], off, off offset:136
	v_mov_b32_e32 v7, 0
	ds_load_b128 v[56:59], v7 offset:336
	ds_load_b128 v[60:63], v7 offset:352
	s_mov_b32 s0, exec_lo
	s_wait_dscnt 0x1
	v_dual_mov_b32 v68, v59 :: v_dual_mov_b32 v69, v58
	ds_load_b64 v[74:75], v7 offset:368
	s_wait_dscnt 0x1
	v_dual_mov_b32 v76, v63 :: v_dual_mov_b32 v77, v62
	s_wait_loadcnt 0x3
	v_pk_mul_f32 v[70:71], v[56:57], v[48:49] op_sel:[1,1] op_sel_hi:[0,1]
	v_mov_b32_e32 v72, v51
	s_delay_alu instid0(VALU_DEP_2) | instskip(NEXT) | instid1(VALU_DEP_2)
	v_pk_fma_f32 v[78:79], v[56:57], v[48:49], v[70:71] op_sel_hi:[1,0,1]
	v_pk_mul_f32 v[68:69], v[68:69], v[72:73] op_sel_hi:[1,0]
	v_pk_fma_f32 v[48:49], v[56:57], v[48:49], v[70:71] neg_lo:[0,0,1] neg_hi:[0,0,1]
	s_wait_loadcnt 0x2
	v_pk_mul_f32 v[72:73], v[60:61], v[52:53] op_sel:[1,1] op_sel_hi:[0,1]
	v_dual_mov_b32 v78, v55 :: v_dual_mov_b32 v49, v79
	v_pk_fma_f32 v[56:57], v[58:59], v[50:51], v[68:69] op_sel_hi:[1,0,1]
	v_pk_fma_f32 v[50:51], v[58:59], v[50:51], v[68:69] neg_lo:[0,0,1] neg_hi:[0,0,1]
	s_delay_alu instid0(VALU_DEP_4) | instskip(NEXT) | instid1(VALU_DEP_4)
	v_pk_fma_f32 v[70:71], v[60:61], v[52:53], v[72:73] op_sel_hi:[1,0,1]
	v_pk_mul_f32 v[76:77], v[76:77], v[78:79] op_sel_hi:[1,0]
	v_pk_add_f32 v[48:49], v[48:49], 0 op_sel_hi:[1,0]
	v_mov_b32_e32 v51, v57
	v_pk_fma_f32 v[52:53], v[60:61], v[52:53], v[72:73] neg_lo:[0,0,1] neg_hi:[0,0,1]
	v_mov_b32_e32 v53, v71
	v_pk_fma_f32 v[56:57], v[62:63], v[54:55], v[76:77] op_sel_hi:[1,0,1]
	v_pk_fma_f32 v[54:55], v[62:63], v[54:55], v[76:77] neg_lo:[0,0,1] neg_hi:[0,0,1]
	v_pk_add_f32 v[48:49], v[48:49], v[50:51]
	s_wait_loadcnt_dscnt 0x100
	v_pk_mul_f32 v[50:51], v[74:75], v[64:65] op_sel:[1,1] op_sel_hi:[0,1]
	s_delay_alu instid0(VALU_DEP_2) | instskip(NEXT) | instid1(VALU_DEP_2)
	v_pk_add_f32 v[48:49], v[48:49], v[52:53]
	v_pk_fma_f32 v[52:53], v[74:75], v[64:65], v[50:51] op_sel_hi:[1,0,1]
	v_mov_b32_e32 v55, v57
	v_pk_fma_f32 v[50:51], v[74:75], v[64:65], v[50:51] neg_lo:[0,0,1] neg_hi:[0,0,1]
	s_delay_alu instid0(VALU_DEP_3) | instskip(NEXT) | instid1(VALU_DEP_3)
	v_mov_b32_e32 v51, v53
	v_pk_add_f32 v[48:49], v[48:49], v[54:55]
	s_delay_alu instid0(VALU_DEP_1) | instskip(SKIP_1) | instid1(VALU_DEP_1)
	v_pk_add_f32 v[48:49], v[48:49], v[50:51]
	s_wait_loadcnt 0x0
	v_pk_add_f32 v[48:49], v[66:67], v[48:49] neg_lo:[0,1] neg_hi:[0,1]
	scratch_store_b64 off, v[48:49], off offset:136
	s_wait_xcnt 0x0
	v_cmpx_lt_u32_e32 16, v0
	s_cbranch_execz .LBB22_119
; %bb.118:
	scratch_load_b64 v[48:49], off, off offset:128
	v_mov_b64_e32 v[50:51], 0
	scratch_store_b64 off, v[50:51], off offset:128
	s_wait_loadcnt 0x0
	ds_store_b64 v1, v[48:49]
.LBB22_119:
	s_wait_xcnt 0x0
	s_or_b32 exec_lo, exec_lo, s0
	s_wait_storecnt_dscnt 0x0
	s_barrier_signal -1
	s_barrier_wait -1
	s_clause 0x3
	scratch_load_b128 v[48:51], off, off offset:136
	scratch_load_b128 v[52:55], off, off offset:152
	scratch_load_b128 v[56:59], off, off offset:168
	scratch_load_b64 v[72:73], off, off offset:128
	ds_load_2addr_b64 v[60:63], v7 offset0:41 offset1:42
	ds_load_2addr_b64 v[64:67], v7 offset0:43 offset1:44
	;; [unrolled: 1-line block ×3, first 2 shown]
	s_mov_b32 s0, exec_lo
	s_wait_dscnt 0x2
	v_dual_mov_b32 v74, v63 :: v_dual_mov_b32 v75, v62
	s_wait_dscnt 0x1
	v_dual_mov_b32 v76, v67 :: v_dual_mov_b32 v77, v66
	;; [unrolled: 2-line block ×3, first 2 shown]
	s_wait_loadcnt 0x3
	v_pk_mul_f32 v[78:79], v[60:61], v[48:49] op_sel:[1,1] op_sel_hi:[0,1]
	v_mov_b32_e32 v80, v51
	s_delay_alu instid0(VALU_DEP_2) | instskip(NEXT) | instid1(VALU_DEP_2)
	v_pk_fma_f32 v[84:85], v[60:61], v[48:49], v[78:79] op_sel_hi:[1,0,1]
	v_pk_mul_f32 v[74:75], v[74:75], v[80:81] op_sel_hi:[1,0]
	v_pk_fma_f32 v[48:49], v[60:61], v[48:49], v[78:79] neg_lo:[0,0,1] neg_hi:[0,0,1]
	s_wait_loadcnt 0x2
	v_pk_mul_f32 v[80:81], v[64:65], v[52:53] op_sel:[1,1] op_sel_hi:[0,1]
	v_mov_b32_e32 v84, v55
	v_pk_fma_f32 v[60:61], v[62:63], v[50:51], v[74:75] op_sel_hi:[1,0,1]
	v_mov_b32_e32 v49, v85
	v_pk_fma_f32 v[50:51], v[62:63], v[50:51], v[74:75] neg_lo:[0,0,1] neg_hi:[0,0,1]
	v_pk_fma_f32 v[78:79], v[64:65], v[52:53], v[80:81] op_sel_hi:[1,0,1]
	v_pk_mul_f32 v[76:77], v[76:77], v[84:85] op_sel_hi:[1,0]
	v_mov_b32_e32 v51, v61
	v_pk_add_f32 v[48:49], v[48:49], 0 op_sel_hi:[1,0]
	v_pk_fma_f32 v[52:53], v[64:65], v[52:53], v[80:81] neg_lo:[0,0,1] neg_hi:[0,0,1]
	s_wait_loadcnt 0x1
	v_pk_mul_f32 v[60:61], v[68:69], v[56:57] op_sel:[1,1] op_sel_hi:[0,1]
	v_mov_b32_e32 v53, v79
	v_pk_fma_f32 v[62:63], v[66:67], v[54:55], v[76:77] op_sel_hi:[1,0,1]
	v_pk_add_f32 v[48:49], v[48:49], v[50:51]
	v_mov_b32_e32 v50, v59
	v_pk_fma_f32 v[54:55], v[66:67], v[54:55], v[76:77] neg_lo:[0,0,1] neg_hi:[0,0,1]
	v_pk_fma_f32 v[64:65], v[68:69], v[56:57], v[60:61] op_sel_hi:[1,0,1]
	v_mov_b32_e32 v55, v63
	v_pk_add_f32 v[48:49], v[48:49], v[52:53]
	v_pk_mul_f32 v[50:51], v[82:83], v[50:51] op_sel_hi:[1,0]
	v_pk_fma_f32 v[52:53], v[68:69], v[56:57], v[60:61] neg_lo:[0,0,1] neg_hi:[0,0,1]
	v_mov_b32_e32 v53, v65
	s_delay_alu instid0(VALU_DEP_4) | instskip(NEXT) | instid1(VALU_DEP_4)
	v_pk_add_f32 v[48:49], v[48:49], v[54:55]
	v_pk_fma_f32 v[54:55], v[70:71], v[58:59], v[50:51] op_sel_hi:[1,0,1]
	v_pk_fma_f32 v[50:51], v[70:71], v[58:59], v[50:51] neg_lo:[0,0,1] neg_hi:[0,0,1]
	s_delay_alu instid0(VALU_DEP_3) | instskip(NEXT) | instid1(VALU_DEP_3)
	v_pk_add_f32 v[48:49], v[48:49], v[52:53]
	v_mov_b32_e32 v51, v55
	s_delay_alu instid0(VALU_DEP_1) | instskip(SKIP_1) | instid1(VALU_DEP_1)
	v_pk_add_f32 v[48:49], v[48:49], v[50:51]
	s_wait_loadcnt 0x0
	v_pk_add_f32 v[48:49], v[72:73], v[48:49] neg_lo:[0,1] neg_hi:[0,1]
	scratch_store_b64 off, v[48:49], off offset:128
	s_wait_xcnt 0x0
	v_cmpx_lt_u32_e32 15, v0
	s_cbranch_execz .LBB22_121
; %bb.120:
	scratch_load_b64 v[48:49], off, off offset:120
	v_mov_b64_e32 v[50:51], 0
	scratch_store_b64 off, v[50:51], off offset:120
	s_wait_loadcnt 0x0
	ds_store_b64 v1, v[48:49]
.LBB22_121:
	s_wait_xcnt 0x0
	s_or_b32 exec_lo, exec_lo, s0
	s_wait_storecnt_dscnt 0x0
	s_barrier_signal -1
	s_barrier_wait -1
	s_clause 0x4
	scratch_load_b128 v[48:51], off, off offset:128
	scratch_load_b128 v[52:55], off, off offset:144
	;; [unrolled: 1-line block ×3, first 2 shown]
	scratch_load_b64 v[72:73], off, off offset:176
	scratch_load_b64 v[74:75], off, off offset:120
	v_mov_b32_e32 v7, 0
	ds_load_b128 v[60:63], v7 offset:320
	ds_load_b128 v[64:67], v7 offset:336
	;; [unrolled: 1-line block ×3, first 2 shown]
	ds_load_b64 v[76:77], v7 offset:368
	s_mov_b32 s0, exec_lo
	s_wait_dscnt 0x3
	v_dual_mov_b32 v78, v63 :: v_dual_mov_b32 v79, v62
	s_wait_dscnt 0x2
	v_dual_mov_b32 v80, v67 :: v_dual_mov_b32 v81, v66
	;; [unrolled: 2-line block ×3, first 2 shown]
	s_wait_loadcnt 0x4
	v_pk_mul_f32 v[82:83], v[60:61], v[48:49] op_sel:[1,1] op_sel_hi:[0,1]
	v_mov_b32_e32 v84, v51
	s_wait_loadcnt 0x3
	v_pk_mul_f32 v[88:89], v[64:65], v[52:53] op_sel:[1,1] op_sel_hi:[0,1]
	s_wait_loadcnt 0x2
	v_pk_mul_f32 v[92:93], v[68:69], v[56:57] op_sel:[1,1] op_sel_hi:[0,1]
	v_pk_fma_f32 v[90:91], v[60:61], v[48:49], v[82:83] op_sel_hi:[1,0,1]
	v_pk_mul_f32 v[78:79], v[78:79], v[84:85] op_sel_hi:[1,0]
	v_pk_fma_f32 v[48:49], v[60:61], v[48:49], v[82:83] neg_lo:[0,0,1] neg_hi:[0,0,1]
	v_mov_b32_e32 v84, v55
	v_pk_fma_f32 v[82:83], v[64:65], v[52:53], v[88:89] op_sel_hi:[1,0,1]
	v_mov_b32_e32 v49, v91
	v_pk_fma_f32 v[60:61], v[62:63], v[50:51], v[78:79] op_sel_hi:[1,0,1]
	v_pk_fma_f32 v[50:51], v[62:63], v[50:51], v[78:79] neg_lo:[0,0,1] neg_hi:[0,0,1]
	v_pk_mul_f32 v[80:81], v[80:81], v[84:85] op_sel_hi:[1,0]
	v_pk_fma_f32 v[52:53], v[64:65], v[52:53], v[88:89] neg_lo:[0,0,1] neg_hi:[0,0,1]
	v_pk_add_f32 v[48:49], v[48:49], 0 op_sel_hi:[1,0]
	v_dual_mov_b32 v51, v61 :: v_dual_mov_b32 v60, v59
	s_delay_alu instid0(VALU_DEP_4) | instskip(SKIP_2) | instid1(VALU_DEP_4)
	v_pk_fma_f32 v[62:63], v[66:67], v[54:55], v[80:81] op_sel_hi:[1,0,1]
	v_mov_b32_e32 v53, v83
	v_pk_fma_f32 v[54:55], v[66:67], v[54:55], v[80:81] neg_lo:[0,0,1] neg_hi:[0,0,1]
	v_pk_add_f32 v[48:49], v[48:49], v[50:51]
	v_pk_fma_f32 v[50:51], v[68:69], v[56:57], v[92:93] op_sel_hi:[1,0,1]
	v_pk_mul_f32 v[60:61], v[86:87], v[60:61] op_sel_hi:[1,0]
	v_mov_b32_e32 v55, v63
	s_delay_alu instid0(VALU_DEP_4)
	v_pk_add_f32 v[48:49], v[48:49], v[52:53]
	v_pk_fma_f32 v[52:53], v[68:69], v[56:57], v[92:93] neg_lo:[0,0,1] neg_hi:[0,0,1]
	v_mov_b32_e32 v53, v51
	v_pk_fma_f32 v[50:51], v[70:71], v[58:59], v[60:61] op_sel_hi:[1,0,1]
	v_pk_fma_f32 v[56:57], v[70:71], v[58:59], v[60:61] neg_lo:[0,0,1] neg_hi:[0,0,1]
	v_pk_add_f32 v[48:49], v[48:49], v[54:55]
	s_wait_loadcnt_dscnt 0x100
	v_pk_mul_f32 v[54:55], v[76:77], v[72:73] op_sel:[1,1] op_sel_hi:[0,1]
	v_mov_b32_e32 v57, v51
	s_delay_alu instid0(VALU_DEP_3) | instskip(NEXT) | instid1(VALU_DEP_3)
	v_pk_add_f32 v[48:49], v[48:49], v[52:53]
	v_pk_fma_f32 v[50:51], v[76:77], v[72:73], v[54:55] op_sel_hi:[1,0,1]
	v_pk_fma_f32 v[52:53], v[76:77], v[72:73], v[54:55] neg_lo:[0,0,1] neg_hi:[0,0,1]
	s_delay_alu instid0(VALU_DEP_3) | instskip(NEXT) | instid1(VALU_DEP_3)
	v_pk_add_f32 v[48:49], v[48:49], v[56:57]
	v_mov_b32_e32 v53, v51
	s_delay_alu instid0(VALU_DEP_1) | instskip(SKIP_1) | instid1(VALU_DEP_1)
	v_pk_add_f32 v[48:49], v[48:49], v[52:53]
	s_wait_loadcnt 0x0
	v_pk_add_f32 v[48:49], v[74:75], v[48:49] neg_lo:[0,1] neg_hi:[0,1]
	scratch_store_b64 off, v[48:49], off offset:120
	s_wait_xcnt 0x0
	v_cmpx_lt_u32_e32 14, v0
	s_cbranch_execz .LBB22_123
; %bb.122:
	scratch_load_b64 v[48:49], off, off offset:112
	v_mov_b64_e32 v[50:51], 0
	scratch_store_b64 off, v[50:51], off offset:112
	s_wait_loadcnt 0x0
	ds_store_b64 v1, v[48:49]
.LBB22_123:
	s_wait_xcnt 0x0
	s_or_b32 exec_lo, exec_lo, s0
	s_wait_storecnt_dscnt 0x0
	s_barrier_signal -1
	s_barrier_wait -1
	s_clause 0x4
	scratch_load_b128 v[48:51], off, off offset:120
	scratch_load_b128 v[52:55], off, off offset:136
	scratch_load_b128 v[56:59], off, off offset:152
	scratch_load_b128 v[60:63], off, off offset:168
	scratch_load_b64 v[80:81], off, off offset:112
	ds_load_2addr_b64 v[64:67], v7 offset0:39 offset1:40
	ds_load_2addr_b64 v[68:71], v7 offset0:41 offset1:42
	;; [unrolled: 1-line block ×4, first 2 shown]
	s_mov_b32 s0, exec_lo
	s_wait_dscnt 0x3
	v_dual_mov_b32 v82, v67 :: v_dual_mov_b32 v83, v66
	s_wait_dscnt 0x2
	v_dual_mov_b32 v84, v71 :: v_dual_mov_b32 v85, v70
	;; [unrolled: 2-line block ×3, first 2 shown]
	v_dual_mov_b32 v87, v74 :: v_dual_mov_b32 v92, v79
	s_wait_loadcnt 0x4
	v_mov_b32_e32 v90, v51
	v_pk_mul_f32 v[88:89], v[64:65], v[48:49] op_sel:[1,1] op_sel_hi:[0,1]
	s_wait_loadcnt 0x3
	v_pk_mul_f32 v[94:95], v[68:69], v[52:53] op_sel:[1,1] op_sel_hi:[0,1]
	s_wait_loadcnt 0x2
	v_pk_mul_f32 v[98:99], v[72:73], v[56:57] op_sel:[1,1] op_sel_hi:[0,1]
	v_pk_mul_f32 v[82:83], v[82:83], v[90:91] op_sel_hi:[1,0]
	v_pk_fma_f32 v[96:97], v[64:65], v[48:49], v[88:89] op_sel_hi:[1,0,1]
	v_pk_fma_f32 v[48:49], v[64:65], v[48:49], v[88:89] neg_lo:[0,0,1] neg_hi:[0,0,1]
	v_mov_b32_e32 v90, v55
	v_pk_fma_f32 v[88:89], v[68:69], v[52:53], v[94:95] op_sel_hi:[1,0,1]
	v_pk_fma_f32 v[64:65], v[66:67], v[50:51], v[82:83] op_sel_hi:[1,0,1]
	v_mov_b32_e32 v49, v97
	v_pk_fma_f32 v[50:51], v[66:67], v[50:51], v[82:83] neg_lo:[0,0,1] neg_hi:[0,0,1]
	v_pk_mul_f32 v[84:85], v[84:85], v[90:91] op_sel_hi:[1,0]
	s_delay_alu instid0(VALU_DEP_4) | instskip(NEXT) | instid1(VALU_DEP_4)
	v_dual_mov_b32 v64, v59 :: v_dual_mov_b32 v51, v65
	v_pk_add_f32 v[48:49], v[48:49], 0 op_sel_hi:[1,0]
	v_pk_fma_f32 v[52:53], v[68:69], v[52:53], v[94:95] neg_lo:[0,0,1] neg_hi:[0,0,1]
	v_mov_b32_e32 v53, v89
	v_pk_fma_f32 v[66:67], v[70:71], v[54:55], v[84:85] op_sel_hi:[1,0,1]
	v_pk_mul_f32 v[64:65], v[86:87], v[64:65] op_sel_hi:[1,0]
	v_pk_add_f32 v[48:49], v[48:49], v[50:51]
	v_pk_fma_f32 v[50:51], v[72:73], v[56:57], v[98:99] op_sel_hi:[1,0,1]
	v_pk_fma_f32 v[54:55], v[70:71], v[54:55], v[84:85] neg_lo:[0,0,1] neg_hi:[0,0,1]
	v_mov_b32_e32 v55, v67
	v_pk_fma_f32 v[56:57], v[72:73], v[56:57], v[98:99] neg_lo:[0,0,1] neg_hi:[0,0,1]
	v_pk_add_f32 v[48:49], v[48:49], v[52:53]
	v_mov_b32_e32 v57, v51
	v_pk_fma_f32 v[50:51], v[74:75], v[58:59], v[64:65] op_sel_hi:[1,0,1]
	s_wait_loadcnt 0x1
	v_pk_mul_f32 v[52:53], v[76:77], v[60:61] op_sel:[1,1] op_sel_hi:[0,1]
	v_mov_b32_e32 v50, v63
	v_pk_add_f32 v[48:49], v[48:49], v[54:55]
	v_pk_fma_f32 v[58:59], v[74:75], v[58:59], v[64:65] neg_lo:[0,0,1] neg_hi:[0,0,1]
	v_mov_b32_e32 v59, v51
	v_pk_fma_f32 v[54:55], v[76:77], v[60:61], v[52:53] op_sel_hi:[1,0,1]
	v_pk_mul_f32 v[50:51], v[92:93], v[50:51] op_sel_hi:[1,0]
	v_pk_add_f32 v[48:49], v[48:49], v[56:57]
	v_pk_fma_f32 v[52:53], v[76:77], v[60:61], v[52:53] neg_lo:[0,0,1] neg_hi:[0,0,1]
	s_delay_alu instid0(VALU_DEP_4) | instskip(NEXT) | instid1(VALU_DEP_4)
	v_mov_b32_e32 v53, v55
	v_pk_fma_f32 v[54:55], v[78:79], v[62:63], v[50:51] op_sel_hi:[1,0,1]
	s_delay_alu instid0(VALU_DEP_4) | instskip(SKIP_1) | instid1(VALU_DEP_3)
	v_pk_add_f32 v[48:49], v[48:49], v[58:59]
	v_pk_fma_f32 v[50:51], v[78:79], v[62:63], v[50:51] neg_lo:[0,0,1] neg_hi:[0,0,1]
	v_mov_b32_e32 v51, v55
	s_delay_alu instid0(VALU_DEP_3) | instskip(NEXT) | instid1(VALU_DEP_1)
	v_pk_add_f32 v[48:49], v[48:49], v[52:53]
	v_pk_add_f32 v[48:49], v[48:49], v[50:51]
	s_wait_loadcnt 0x0
	s_delay_alu instid0(VALU_DEP_1)
	v_pk_add_f32 v[48:49], v[80:81], v[48:49] neg_lo:[0,1] neg_hi:[0,1]
	scratch_store_b64 off, v[48:49], off offset:112
	s_wait_xcnt 0x0
	v_cmpx_lt_u32_e32 13, v0
	s_cbranch_execz .LBB22_125
; %bb.124:
	scratch_load_b64 v[48:49], off, off offset:104
	v_mov_b64_e32 v[50:51], 0
	scratch_store_b64 off, v[50:51], off offset:104
	s_wait_loadcnt 0x0
	ds_store_b64 v1, v[48:49]
.LBB22_125:
	s_wait_xcnt 0x0
	s_or_b32 exec_lo, exec_lo, s0
	s_wait_storecnt_dscnt 0x0
	s_barrier_signal -1
	s_barrier_wait -1
	s_clause 0x5
	scratch_load_b128 v[48:51], off, off offset:112
	scratch_load_b128 v[52:55], off, off offset:128
	;; [unrolled: 1-line block ×4, first 2 shown]
	scratch_load_b64 v[80:81], off, off offset:176
	scratch_load_b64 v[82:83], off, off offset:104
	v_mov_b32_e32 v7, 0
	ds_load_b128 v[64:67], v7 offset:304
	ds_load_b128 v[68:71], v7 offset:320
	;; [unrolled: 1-line block ×4, first 2 shown]
	ds_load_b64 v[84:85], v7 offset:368
	s_mov_b32 s0, exec_lo
	s_wait_dscnt 0x4
	v_dual_mov_b32 v86, v67 :: v_dual_mov_b32 v87, v66
	s_wait_dscnt 0x1
	v_dual_mov_b32 v88, v71 :: v_dual_mov_b32 v93, v78
	v_dual_mov_b32 v89, v70 :: v_dual_mov_b32 v90, v75
	;; [unrolled: 1-line block ×3, first 2 shown]
	s_wait_loadcnt 0x5
	v_dual_mov_b32 v94, v51 :: v_dual_mul_f32 v95, v64, v49
	v_mul_f32_e32 v9, v65, v49
	s_wait_loadcnt 0x4
	v_pk_mul_f32 v[96:97], v[68:69], v[52:53] op_sel:[1,1] op_sel_hi:[0,1]
	v_mov_b32_e32 v98, v55
	s_wait_loadcnt 0x3
	v_pk_mul_f32 v[100:101], v[72:73], v[56:57] op_sel:[1,1] op_sel_hi:[0,1]
	v_pk_mul_f32 v[86:87], v[86:87], v[94:95] op_sel_hi:[1,0]
	v_dual_fmac_f32 v95, v65, v48 :: v_dual_fma_f32 v94, v64, v48, -v9
	v_mov_b32_e32 v48, v59
	v_pk_fma_f32 v[102:103], v[68:69], v[52:53], v[96:97] op_sel_hi:[1,0,1]
	s_delay_alu instid0(VALU_DEP_4)
	v_pk_fma_f32 v[64:65], v[66:67], v[50:51], v[86:87] op_sel_hi:[1,0,1]
	v_pk_fma_f32 v[50:51], v[66:67], v[50:51], v[86:87] neg_lo:[0,0,1] neg_hi:[0,0,1]
	v_pk_mul_f32 v[88:89], v[88:89], v[98:99] op_sel_hi:[1,0]
	v_pk_add_f32 v[94:95], v[94:95], 0 op_sel_hi:[1,0]
	v_pk_fma_f32 v[52:53], v[68:69], v[52:53], v[96:97] neg_lo:[0,0,1] neg_hi:[0,0,1]
	v_dual_mov_b32 v51, v65 :: v_dual_mov_b32 v53, v103
	s_delay_alu instid0(VALU_DEP_4) | instskip(SKIP_2) | instid1(VALU_DEP_4)
	v_pk_fma_f32 v[66:67], v[70:71], v[54:55], v[88:89] op_sel_hi:[1,0,1]
	v_pk_fma_f32 v[54:55], v[70:71], v[54:55], v[88:89] neg_lo:[0,0,1] neg_hi:[0,0,1]
	v_pk_fma_f32 v[68:69], v[72:73], v[56:57], v[100:101] op_sel_hi:[1,0,1]
	v_pk_add_f32 v[50:51], v[94:95], v[50:51]
	v_pk_mul_f32 v[48:49], v[90:91], v[48:49] op_sel_hi:[1,0]
	v_mov_b32_e32 v55, v67
	v_pk_fma_f32 v[56:57], v[72:73], v[56:57], v[100:101] neg_lo:[0,0,1] neg_hi:[0,0,1]
	s_wait_loadcnt 0x2
	v_pk_mul_f32 v[64:65], v[76:77], v[60:61] op_sel:[1,1] op_sel_hi:[0,1]
	v_pk_add_f32 v[50:51], v[50:51], v[52:53]
	v_mov_b32_e32 v52, v63
	v_pk_fma_f32 v[66:67], v[74:75], v[58:59], v[48:49] op_sel_hi:[1,0,1]
	v_mov_b32_e32 v57, v69
	v_pk_fma_f32 v[48:49], v[74:75], v[58:59], v[48:49] neg_lo:[0,0,1] neg_hi:[0,0,1]
	v_pk_add_f32 v[50:51], v[50:51], v[54:55]
	v_pk_fma_f32 v[54:55], v[76:77], v[60:61], v[64:65] op_sel_hi:[1,0,1]
	v_pk_mul_f32 v[52:53], v[92:93], v[52:53] op_sel_hi:[1,0]
	v_mov_b32_e32 v49, v67
	s_delay_alu instid0(VALU_DEP_4)
	v_pk_add_f32 v[50:51], v[50:51], v[56:57]
	v_pk_fma_f32 v[56:57], v[76:77], v[60:61], v[64:65] neg_lo:[0,0,1] neg_hi:[0,0,1]
	v_mov_b32_e32 v57, v55
	v_pk_fma_f32 v[54:55], v[78:79], v[62:63], v[52:53] op_sel_hi:[1,0,1]
	v_pk_fma_f32 v[52:53], v[78:79], v[62:63], v[52:53] neg_lo:[0,0,1] neg_hi:[0,0,1]
	v_pk_add_f32 v[48:49], v[50:51], v[48:49]
	s_wait_loadcnt_dscnt 0x100
	v_pk_mul_f32 v[50:51], v[84:85], v[80:81] op_sel:[1,1] op_sel_hi:[0,1]
	v_mov_b32_e32 v53, v55
	s_delay_alu instid0(VALU_DEP_3) | instskip(NEXT) | instid1(VALU_DEP_3)
	v_pk_add_f32 v[48:49], v[48:49], v[56:57]
	v_pk_fma_f32 v[54:55], v[84:85], v[80:81], v[50:51] op_sel_hi:[1,0,1]
	v_pk_fma_f32 v[50:51], v[84:85], v[80:81], v[50:51] neg_lo:[0,0,1] neg_hi:[0,0,1]
	s_delay_alu instid0(VALU_DEP_3) | instskip(NEXT) | instid1(VALU_DEP_3)
	v_pk_add_f32 v[48:49], v[48:49], v[52:53]
	v_mov_b32_e32 v51, v55
	s_delay_alu instid0(VALU_DEP_1) | instskip(SKIP_1) | instid1(VALU_DEP_1)
	v_pk_add_f32 v[48:49], v[48:49], v[50:51]
	s_wait_loadcnt 0x0
	v_pk_add_f32 v[48:49], v[82:83], v[48:49] neg_lo:[0,1] neg_hi:[0,1]
	scratch_store_b64 off, v[48:49], off offset:104
	s_wait_xcnt 0x0
	v_cmpx_lt_u32_e32 12, v0
	s_cbranch_execz .LBB22_127
; %bb.126:
	scratch_load_b64 v[48:49], off, off offset:96
	v_mov_b64_e32 v[50:51], 0
	scratch_store_b64 off, v[50:51], off offset:96
	s_wait_loadcnt 0x0
	ds_store_b64 v1, v[48:49]
.LBB22_127:
	s_wait_xcnt 0x0
	s_or_b32 exec_lo, exec_lo, s0
	s_wait_storecnt_dscnt 0x0
	s_barrier_signal -1
	s_barrier_wait -1
	s_clause 0x5
	scratch_load_b128 v[48:51], off, off offset:104
	scratch_load_b128 v[52:55], off, off offset:120
	;; [unrolled: 1-line block ×5, first 2 shown]
	scratch_load_b64 v[88:89], off, off offset:96
	ds_load_2addr_b64 v[68:71], v7 offset0:39 offset1:40
	ds_load_2addr_b64 v[72:75], v7 offset0:41 offset1:42
	;; [unrolled: 1-line block ×5, first 2 shown]
	s_mov_b32 s0, exec_lo
	s_wait_dscnt 0x4
	v_dual_mov_b32 v90, v71 :: v_dual_mov_b32 v91, v70
	s_wait_dscnt 0x3
	v_dual_mov_b32 v92, v75 :: v_dual_mov_b32 v93, v74
	;; [unrolled: 2-line block ×4, first 2 shown]
	s_wait_loadcnt_dscnt 0x500
	v_dual_mul_f32 v99, v84, v49 :: v_dual_mul_f32 v101, v86, v51
	v_dual_mul_f32 v7, v85, v49 :: v_dual_mul_f32 v9, v87, v51
	s_wait_loadcnt 0x4
	v_pk_mul_f32 v[102:103], v[68:69], v[52:53] op_sel:[1,1] op_sel_hi:[0,1]
	s_wait_loadcnt 0x3
	v_dual_mov_b32 v104, v55 :: v_dual_mov_b32 v108, v59
	v_dual_fmac_f32 v99, v85, v48 :: v_dual_fmac_f32 v101, v87, v50
	v_dual_fma_f32 v98, v84, v48, -v7 :: v_dual_fma_f32 v100, v86, v50, -v9
	v_pk_fma_f32 v[48:49], v[68:69], v[52:53], v[102:103] op_sel_hi:[1,0,1]
	s_delay_alu instid0(VALU_DEP_4) | instskip(SKIP_1) | instid1(VALU_DEP_4)
	v_pk_mul_f32 v[50:51], v[90:91], v[104:105] op_sel_hi:[1,0]
	v_pk_fma_f32 v[52:53], v[68:69], v[52:53], v[102:103] neg_lo:[0,0,1] neg_hi:[0,0,1]
	v_pk_add_f32 v[84:85], v[98:99], 0 op_sel_hi:[1,0]
	v_pk_mul_f32 v[106:107], v[72:73], v[56:57] op_sel:[1,1] op_sel_hi:[0,1]
	v_mov_b32_e32 v53, v49
	v_pk_fma_f32 v[48:49], v[70:71], v[54:55], v[50:51] op_sel_hi:[1,0,1]
	v_pk_fma_f32 v[50:51], v[70:71], v[54:55], v[50:51] neg_lo:[0,0,1] neg_hi:[0,0,1]
	v_pk_add_f32 v[68:69], v[84:85], v[100:101]
	v_pk_fma_f32 v[84:85], v[72:73], v[56:57], v[106:107] op_sel_hi:[1,0,1]
	v_pk_mul_f32 v[90:91], v[92:93], v[108:109] op_sel_hi:[1,0]
	v_mov_b32_e32 v51, v49
	s_wait_loadcnt 0x2
	v_pk_mul_f32 v[86:87], v[76:77], v[60:61] op_sel:[1,1] op_sel_hi:[0,1]
	v_pk_add_f32 v[48:49], v[68:69], v[52:53]
	v_mov_b32_e32 v52, v63
	v_pk_fma_f32 v[54:55], v[72:73], v[56:57], v[106:107] neg_lo:[0,0,1] neg_hi:[0,0,1]
	v_mov_b32_e32 v55, v85
	v_pk_fma_f32 v[56:57], v[74:75], v[58:59], v[90:91] op_sel_hi:[1,0,1]
	v_pk_add_f32 v[48:49], v[48:49], v[50:51]
	v_pk_fma_f32 v[50:51], v[76:77], v[60:61], v[86:87] op_sel_hi:[1,0,1]
	v_pk_mul_f32 v[52:53], v[94:95], v[52:53] op_sel_hi:[1,0]
	v_pk_fma_f32 v[58:59], v[74:75], v[58:59], v[90:91] neg_lo:[0,0,1] neg_hi:[0,0,1]
	v_mov_b32_e32 v59, v57
	v_pk_add_f32 v[48:49], v[48:49], v[54:55]
	v_pk_fma_f32 v[56:57], v[76:77], v[60:61], v[86:87] neg_lo:[0,0,1] neg_hi:[0,0,1]
	v_mov_b32_e32 v57, v51
	v_pk_fma_f32 v[50:51], v[78:79], v[62:63], v[52:53] op_sel_hi:[1,0,1]
	s_wait_loadcnt 0x1
	v_pk_mul_f32 v[54:55], v[80:81], v[64:65] op_sel:[1,1] op_sel_hi:[0,1]
	v_pk_add_f32 v[48:49], v[48:49], v[58:59]
	v_mov_b32_e32 v50, v67
	v_pk_fma_f32 v[52:53], v[78:79], v[62:63], v[52:53] neg_lo:[0,0,1] neg_hi:[0,0,1]
	v_mov_b32_e32 v53, v51
	v_pk_fma_f32 v[58:59], v[80:81], v[64:65], v[54:55] op_sel_hi:[1,0,1]
	v_pk_add_f32 v[48:49], v[48:49], v[56:57]
	v_pk_mul_f32 v[50:51], v[96:97], v[50:51] op_sel_hi:[1,0]
	v_pk_fma_f32 v[54:55], v[80:81], v[64:65], v[54:55] neg_lo:[0,0,1] neg_hi:[0,0,1]
	s_delay_alu instid0(VALU_DEP_3) | instskip(NEXT) | instid1(VALU_DEP_3)
	v_pk_add_f32 v[48:49], v[48:49], v[52:53]
	v_pk_fma_f32 v[52:53], v[82:83], v[66:67], v[50:51] op_sel_hi:[1,0,1]
	v_mov_b32_e32 v55, v59
	v_pk_fma_f32 v[50:51], v[82:83], v[66:67], v[50:51] neg_lo:[0,0,1] neg_hi:[0,0,1]
	s_delay_alu instid0(VALU_DEP_3) | instskip(NEXT) | instid1(VALU_DEP_3)
	v_mov_b32_e32 v51, v53
	v_pk_add_f32 v[48:49], v[48:49], v[54:55]
	s_delay_alu instid0(VALU_DEP_1) | instskip(SKIP_1) | instid1(VALU_DEP_1)
	v_pk_add_f32 v[48:49], v[48:49], v[50:51]
	s_wait_loadcnt 0x0
	v_pk_add_f32 v[48:49], v[88:89], v[48:49] neg_lo:[0,1] neg_hi:[0,1]
	scratch_store_b64 off, v[48:49], off offset:96
	s_wait_xcnt 0x0
	v_cmpx_lt_u32_e32 11, v0
	s_cbranch_execz .LBB22_129
; %bb.128:
	scratch_load_b64 v[48:49], off, off offset:88
	v_mov_b64_e32 v[50:51], 0
	scratch_store_b64 off, v[50:51], off offset:88
	s_wait_loadcnt 0x0
	ds_store_b64 v1, v[48:49]
.LBB22_129:
	s_wait_xcnt 0x0
	s_or_b32 exec_lo, exec_lo, s0
	s_wait_storecnt_dscnt 0x0
	s_barrier_signal -1
	s_barrier_wait -1
	s_clause 0x6
	scratch_load_b128 v[48:51], off, off offset:96
	scratch_load_b128 v[52:55], off, off offset:112
	;; [unrolled: 1-line block ×5, first 2 shown]
	scratch_load_b64 v[88:89], off, off offset:176
	scratch_load_b64 v[90:91], off, off offset:88
	v_mov_b32_e32 v7, 0
	ds_load_b128 v[68:71], v7 offset:304
	ds_load_b128 v[72:75], v7 offset:320
	;; [unrolled: 1-line block ×5, first 2 shown]
	ds_load_b64 v[92:93], v7 offset:368
	s_mov_b32 s0, exec_lo
	s_wait_dscnt 0x5
	v_dual_mov_b32 v94, v71 :: v_dual_mov_b32 v95, v70
	s_wait_dscnt 0x2
	v_dual_mov_b32 v96, v75 :: v_dual_mov_b32 v101, v82
	v_dual_mov_b32 v97, v74 :: v_dual_mov_b32 v98, v79
	v_dual_mov_b32 v99, v78 :: v_dual_mov_b32 v100, v83
	s_wait_loadcnt_dscnt 0x601
	v_dual_mul_f32 v9, v84, v49 :: v_dual_mul_f32 v11, v85, v49
	v_dual_mul_f32 v13, v87, v51 :: v_dual_mul_f32 v103, v86, v51
	s_wait_loadcnt 0x5
	v_dual_mul_f32 v105, v68, v53 :: v_dual_mul_f32 v15, v69, v53
	s_wait_loadcnt 0x4
	v_dual_mov_b32 v104, v55 :: v_dual_mov_b32 v108, v59
	v_dual_fmac_f32 v9, v85, v48 :: v_dual_fma_f32 v11, v84, v48, -v11
	v_dual_fma_f32 v102, v86, v50, -v13 :: v_dual_fmac_f32 v103, v87, v50
	s_delay_alu instid0(VALU_DEP_3) | instskip(NEXT) | instid1(VALU_DEP_3)
	v_pk_mul_f32 v[48:49], v[94:95], v[104:105] op_sel_hi:[1,0]
	v_dual_add_f32 v51, 0, v9 :: v_dual_add_f32 v50, 0, v11
	s_wait_loadcnt 0x3
	v_mov_b32_e32 v84, v63
	v_pk_mul_f32 v[106:107], v[72:73], v[56:57] op_sel:[1,1] op_sel_hi:[0,1]
	v_dual_fmac_f32 v105, v69, v52 :: v_dual_fma_f32 v104, v68, v52, -v15
	v_pk_fma_f32 v[52:53], v[70:71], v[54:55], v[48:49] op_sel_hi:[1,0,1]
	v_pk_add_f32 v[50:51], v[50:51], v[102:103]
	v_pk_fma_f32 v[48:49], v[70:71], v[54:55], v[48:49] neg_lo:[0,0,1] neg_hi:[0,0,1]
	v_pk_fma_f32 v[68:69], v[72:73], v[56:57], v[106:107] op_sel_hi:[1,0,1]
	v_pk_mul_f32 v[86:87], v[96:97], v[108:109] op_sel_hi:[1,0]
	v_mov_b32_e32 v49, v53
	v_pk_add_f32 v[50:51], v[50:51], v[104:105]
	v_pk_fma_f32 v[54:55], v[72:73], v[56:57], v[106:107] neg_lo:[0,0,1] neg_hi:[0,0,1]
	v_pk_mul_f32 v[110:111], v[76:77], v[60:61] op_sel:[1,1] op_sel_hi:[0,1]
	v_mov_b32_e32 v55, v69
	v_pk_fma_f32 v[56:57], v[74:75], v[58:59], v[86:87] op_sel_hi:[1,0,1]
	v_pk_add_f32 v[48:49], v[50:51], v[48:49]
	v_pk_fma_f32 v[58:59], v[74:75], v[58:59], v[86:87] neg_lo:[0,0,1] neg_hi:[0,0,1]
	v_pk_fma_f32 v[50:51], v[76:77], v[60:61], v[110:111] op_sel_hi:[1,0,1]
	v_pk_mul_f32 v[68:69], v[98:99], v[84:85] op_sel_hi:[1,0]
	s_wait_loadcnt 0x2
	v_dual_mov_b32 v59, v57 :: v_dual_mov_b32 v50, v67
	v_pk_add_f32 v[48:49], v[48:49], v[54:55]
	v_pk_fma_f32 v[54:55], v[76:77], v[60:61], v[110:111] neg_lo:[0,0,1] neg_hi:[0,0,1]
	v_pk_mul_f32 v[52:53], v[80:81], v[64:65] op_sel:[1,1] op_sel_hi:[0,1]
	v_pk_fma_f32 v[56:57], v[78:79], v[62:63], v[68:69] op_sel_hi:[1,0,1]
	v_mov_b32_e32 v55, v51
	v_pk_add_f32 v[48:49], v[48:49], v[58:59]
	v_pk_fma_f32 v[60:61], v[78:79], v[62:63], v[68:69] neg_lo:[0,0,1] neg_hi:[0,0,1]
	v_pk_fma_f32 v[58:59], v[80:81], v[64:65], v[52:53] op_sel_hi:[1,0,1]
	v_pk_mul_f32 v[50:51], v[100:101], v[50:51] op_sel_hi:[1,0]
	v_mov_b32_e32 v61, v57
	v_pk_add_f32 v[48:49], v[48:49], v[54:55]
	v_pk_fma_f32 v[52:53], v[80:81], v[64:65], v[52:53] neg_lo:[0,0,1] neg_hi:[0,0,1]
	s_wait_loadcnt_dscnt 0x100
	v_pk_mul_f32 v[56:57], v[92:93], v[88:89] op_sel:[1,1] op_sel_hi:[0,1]
	v_pk_fma_f32 v[54:55], v[82:83], v[66:67], v[50:51] op_sel_hi:[1,0,1]
	v_mov_b32_e32 v53, v59
	v_pk_add_f32 v[48:49], v[48:49], v[60:61]
	v_pk_fma_f32 v[50:51], v[82:83], v[66:67], v[50:51] neg_lo:[0,0,1] neg_hi:[0,0,1]
	s_delay_alu instid0(VALU_DEP_4) | instskip(SKIP_1) | instid1(VALU_DEP_4)
	v_mov_b32_e32 v51, v55
	v_pk_fma_f32 v[54:55], v[92:93], v[88:89], v[56:57] neg_lo:[0,0,1] neg_hi:[0,0,1]
	v_pk_add_f32 v[48:49], v[48:49], v[52:53]
	v_pk_fma_f32 v[52:53], v[92:93], v[88:89], v[56:57] op_sel_hi:[1,0,1]
	s_delay_alu instid0(VALU_DEP_2) | instskip(NEXT) | instid1(VALU_DEP_2)
	v_pk_add_f32 v[48:49], v[48:49], v[50:51]
	v_mov_b32_e32 v55, v53
	s_delay_alu instid0(VALU_DEP_1) | instskip(SKIP_1) | instid1(VALU_DEP_1)
	v_pk_add_f32 v[48:49], v[48:49], v[54:55]
	s_wait_loadcnt 0x0
	v_pk_add_f32 v[48:49], v[90:91], v[48:49] neg_lo:[0,1] neg_hi:[0,1]
	scratch_store_b64 off, v[48:49], off offset:88
	s_wait_xcnt 0x0
	v_cmpx_lt_u32_e32 10, v0
	s_cbranch_execz .LBB22_131
; %bb.130:
	scratch_load_b64 v[48:49], off, off offset:80
	v_mov_b64_e32 v[50:51], 0
	scratch_store_b64 off, v[50:51], off offset:80
	s_wait_loadcnt 0x0
	ds_store_b64 v1, v[48:49]
.LBB22_131:
	s_wait_xcnt 0x0
	s_or_b32 exec_lo, exec_lo, s0
	s_wait_storecnt_dscnt 0x0
	s_barrier_signal -1
	s_barrier_wait -1
	s_clause 0x6
	scratch_load_b128 v[48:51], off, off offset:88
	scratch_load_b128 v[52:55], off, off offset:104
	scratch_load_b128 v[56:59], off, off offset:120
	scratch_load_b128 v[60:63], off, off offset:136
	scratch_load_b128 v[64:67], off, off offset:152
	scratch_load_b128 v[68:71], off, off offset:168
	scratch_load_b64 v[96:97], off, off offset:80
	ds_load_2addr_b64 v[72:75], v7 offset0:39 offset1:40
	ds_load_2addr_b64 v[76:79], v7 offset0:41 offset1:42
	;; [unrolled: 1-line block ×6, first 2 shown]
	s_mov_b32 s0, exec_lo
	s_wait_dscnt 0x5
	v_dual_mov_b32 v98, v75 :: v_dual_mov_b32 v99, v74
	s_wait_dscnt 0x4
	v_dual_mov_b32 v100, v79 :: v_dual_mov_b32 v101, v78
	;; [unrolled: 2-line block ×4, first 2 shown]
	s_wait_loadcnt_dscnt 0x601
	v_dual_mul_f32 v7, v88, v49 :: v_dual_mul_f32 v9, v90, v51
	v_dual_mul_f32 v11, v89, v49 :: v_dual_mul_f32 v13, v91, v51
	s_wait_loadcnt 0x4
	s_delay_alu instid0(VALU_DEP_2)
	v_dual_mov_b32 v112, v59 :: v_dual_fmac_f32 v7, v89, v48
	s_wait_dscnt 0x0
	v_dual_mul_f32 v107, v92, v53 :: v_dual_mul_f32 v109, v94, v55
	v_dual_fma_f32 v11, v88, v48, -v11 :: v_dual_fmac_f32 v9, v91, v50
	v_dual_mul_f32 v15, v93, v53 :: v_dual_mul_f32 v17, v95, v55
	v_dual_fma_f32 v13, v90, v50, -v13 :: v_dual_add_f32 v7, 0, v7
	s_wait_loadcnt 0x3
	s_delay_alu instid0(VALU_DEP_3) | instskip(SKIP_3) | instid1(VALU_DEP_4)
	v_dual_add_f32 v11, 0, v11 :: v_dual_mov_b32 v50, v63
	v_pk_mul_f32 v[110:111], v[72:73], v[56:57] op_sel:[1,1] op_sel_hi:[0,1]
	v_pk_mul_f32 v[48:49], v[76:77], v[60:61] op_sel:[1,1] op_sel_hi:[0,1]
	v_dual_fmac_f32 v107, v93, v52 :: v_dual_add_f32 v53, v7, v9
	v_dual_fma_f32 v106, v92, v52, -v15 :: v_dual_add_f32 v52, v11, v13
	v_fmac_f32_e32 v109, v95, v54
	v_fma_f32 v108, v94, v54, -v17
	v_pk_fma_f32 v[54:55], v[72:73], v[56:57], v[110:111] op_sel_hi:[1,0,1]
	v_pk_mul_f32 v[88:89], v[98:99], v[112:113] op_sel_hi:[1,0]
	v_pk_add_f32 v[52:53], v[52:53], v[106:107]
	v_pk_fma_f32 v[56:57], v[72:73], v[56:57], v[110:111] neg_lo:[0,0,1] neg_hi:[0,0,1]
	v_pk_fma_f32 v[72:73], v[76:77], v[60:61], v[48:49] op_sel_hi:[1,0,1]
	v_pk_fma_f32 v[48:49], v[76:77], v[60:61], v[48:49] neg_lo:[0,0,1] neg_hi:[0,0,1]
	v_mov_b32_e32 v57, v55
	v_pk_fma_f32 v[54:55], v[74:75], v[58:59], v[88:89] op_sel_hi:[1,0,1]
	v_pk_fma_f32 v[58:59], v[74:75], v[58:59], v[88:89] neg_lo:[0,0,1] neg_hi:[0,0,1]
	v_mov_b32_e32 v49, v73
	v_pk_add_f32 v[52:53], v[52:53], v[108:109]
	v_pk_mul_f32 v[50:51], v[100:101], v[50:51] op_sel_hi:[1,0]
	s_wait_loadcnt 0x2
	v_dual_mov_b32 v59, v55 :: v_dual_mov_b32 v54, v67
	v_pk_mul_f32 v[90:91], v[80:81], v[64:65] op_sel:[1,1] op_sel_hi:[0,1]
	v_pk_add_f32 v[52:53], v[52:53], v[56:57]
	v_pk_fma_f32 v[56:57], v[78:79], v[62:63], v[50:51] op_sel_hi:[1,0,1]
	v_pk_fma_f32 v[50:51], v[78:79], v[62:63], v[50:51] neg_lo:[0,0,1] neg_hi:[0,0,1]
	v_pk_mul_f32 v[54:55], v[102:103], v[54:55] op_sel_hi:[1,0]
	s_delay_alu instid0(VALU_DEP_4) | instskip(SKIP_3) | instid1(VALU_DEP_4)
	v_pk_add_f32 v[52:53], v[52:53], v[58:59]
	v_pk_fma_f32 v[58:59], v[80:81], v[64:65], v[90:91] op_sel_hi:[1,0,1]
	v_mov_b32_e32 v51, v57
	v_pk_fma_f32 v[56:57], v[80:81], v[64:65], v[90:91] neg_lo:[0,0,1] neg_hi:[0,0,1]
	v_pk_add_f32 v[48:49], v[52:53], v[48:49]
	s_wait_loadcnt 0x1
	v_pk_mul_f32 v[52:53], v[84:85], v[68:69] op_sel:[1,1] op_sel_hi:[0,1]
	v_mov_b32_e32 v57, v59
	v_pk_fma_f32 v[58:59], v[82:83], v[66:67], v[54:55] op_sel_hi:[1,0,1]
	v_pk_fma_f32 v[54:55], v[82:83], v[66:67], v[54:55] neg_lo:[0,0,1] neg_hi:[0,0,1]
	v_pk_add_f32 v[48:49], v[48:49], v[50:51]
	v_mov_b32_e32 v50, v71
	v_pk_fma_f32 v[60:61], v[84:85], v[68:69], v[52:53] op_sel_hi:[1,0,1]
	v_mov_b32_e32 v55, v59
	v_pk_fma_f32 v[52:53], v[84:85], v[68:69], v[52:53] neg_lo:[0,0,1] neg_hi:[0,0,1]
	v_pk_add_f32 v[48:49], v[48:49], v[56:57]
	v_pk_mul_f32 v[50:51], v[104:105], v[50:51] op_sel_hi:[1,0]
	s_delay_alu instid0(VALU_DEP_2) | instskip(NEXT) | instid1(VALU_DEP_2)
	v_pk_add_f32 v[48:49], v[48:49], v[54:55]
	v_pk_fma_f32 v[54:55], v[86:87], v[70:71], v[50:51] op_sel_hi:[1,0,1]
	v_mov_b32_e32 v53, v61
	v_pk_fma_f32 v[50:51], v[86:87], v[70:71], v[50:51] neg_lo:[0,0,1] neg_hi:[0,0,1]
	s_delay_alu instid0(VALU_DEP_3) | instskip(NEXT) | instid1(VALU_DEP_3)
	v_mov_b32_e32 v51, v55
	v_pk_add_f32 v[48:49], v[48:49], v[52:53]
	s_delay_alu instid0(VALU_DEP_1) | instskip(SKIP_1) | instid1(VALU_DEP_1)
	v_pk_add_f32 v[48:49], v[48:49], v[50:51]
	s_wait_loadcnt 0x0
	v_pk_add_f32 v[48:49], v[96:97], v[48:49] neg_lo:[0,1] neg_hi:[0,1]
	scratch_store_b64 off, v[48:49], off offset:80
	s_wait_xcnt 0x0
	v_cmpx_lt_u32_e32 9, v0
	s_cbranch_execz .LBB22_133
; %bb.132:
	scratch_load_b64 v[48:49], off, off offset:72
	v_mov_b64_e32 v[50:51], 0
	scratch_store_b64 off, v[50:51], off offset:72
	s_wait_loadcnt 0x0
	ds_store_b64 v1, v[48:49]
.LBB22_133:
	s_wait_xcnt 0x0
	s_or_b32 exec_lo, exec_lo, s0
	s_wait_storecnt_dscnt 0x0
	s_barrier_signal -1
	s_barrier_wait -1
	s_clause 0x7
	scratch_load_b128 v[48:51], off, off offset:80
	scratch_load_b128 v[52:55], off, off offset:96
	;; [unrolled: 1-line block ×6, first 2 shown]
	scratch_load_b64 v[96:97], off, off offset:176
	scratch_load_b64 v[98:99], off, off offset:72
	v_mov_b32_e32 v7, 0
	ds_load_b128 v[72:75], v7 offset:304
	ds_load_b128 v[76:79], v7 offset:320
	;; [unrolled: 1-line block ×6, first 2 shown]
	ds_load_b64 v[100:101], v7 offset:368
	s_mov_b32 s0, exec_lo
	s_wait_dscnt 0x6
	v_dual_mov_b32 v102, v75 :: v_dual_mov_b32 v103, v74
	s_wait_dscnt 0x3
	v_dual_mov_b32 v104, v79 :: v_dual_mov_b32 v109, v86
	v_dual_mov_b32 v105, v78 :: v_dual_mov_b32 v106, v83
	;; [unrolled: 1-line block ×3, first 2 shown]
	s_wait_loadcnt_dscnt 0x702
	v_dual_mul_f32 v9, v88, v49 :: v_dual_mul_f32 v15, v89, v49
	v_dual_mul_f32 v17, v91, v51 :: v_dual_mul_f32 v11, v90, v51
	s_wait_loadcnt_dscnt 0x601
	s_delay_alu instid0(VALU_DEP_2) | instskip(NEXT) | instid1(VALU_DEP_3)
	v_dual_mul_f32 v13, v92, v53 :: v_dual_fmac_f32 v9, v89, v48
	v_dual_fma_f32 v15, v88, v48, -v15 :: v_dual_mul_f32 v19, v93, v53
	v_mul_f32_e32 v21, v95, v55
	s_wait_loadcnt 0x4
	v_dual_mov_b32 v48, v63 :: v_dual_fma_f32 v17, v90, v50, -v17
	v_dual_fmac_f32 v11, v91, v50 :: v_dual_add_f32 v9, 0, v9
	v_dual_add_f32 v15, 0, v15 :: v_dual_fmac_f32 v13, v93, v52
	v_dual_mul_f32 v111, v94, v55 :: v_dual_mul_f32 v113, v72, v57
	v_dual_mul_f32 v23, v73, v57 :: v_dual_mov_b32 v112, v59
	s_delay_alu instid0(VALU_DEP_4) | instskip(NEXT) | instid1(VALU_DEP_4)
	v_dual_fma_f32 v19, v92, v52, -v19 :: v_dual_add_f32 v9, v9, v11
	v_dual_add_f32 v11, v15, v17 :: v_dual_fma_f32 v110, v94, v54, -v21
	s_delay_alu instid0(VALU_DEP_4) | instskip(NEXT) | instid1(VALU_DEP_4)
	v_fmac_f32_e32 v111, v95, v54
	v_pk_mul_f32 v[52:53], v[102:103], v[112:113] op_sel_hi:[1,0]
	s_delay_alu instid0(VALU_DEP_3)
	v_dual_add_f32 v55, v9, v13 :: v_dual_add_f32 v54, v11, v19
	v_fmac_f32_e32 v113, v73, v56
	v_pk_mul_f32 v[114:115], v[76:77], v[60:61] op_sel:[1,1] op_sel_hi:[0,1]
	s_wait_loadcnt 0x3
	v_dual_mov_b32 v88, v67 :: v_dual_fma_f32 v112, v72, v56, -v23
	v_pk_fma_f32 v[56:57], v[74:75], v[58:59], v[52:53] op_sel_hi:[1,0,1]
	v_pk_add_f32 v[54:55], v[54:55], v[110:111]
	v_pk_fma_f32 v[52:53], v[74:75], v[58:59], v[52:53] neg_lo:[0,0,1] neg_hi:[0,0,1]
	v_pk_fma_f32 v[72:73], v[76:77], v[60:61], v[114:115] op_sel_hi:[1,0,1]
	v_pk_mul_f32 v[48:49], v[104:105], v[48:49] op_sel_hi:[1,0]
	v_mov_b32_e32 v53, v57
	v_pk_add_f32 v[54:55], v[54:55], v[112:113]
	v_pk_fma_f32 v[58:59], v[76:77], v[60:61], v[114:115] neg_lo:[0,0,1] neg_hi:[0,0,1]
	v_pk_mul_f32 v[50:51], v[80:81], v[64:65] op_sel:[1,1] op_sel_hi:[0,1]
	v_mov_b32_e32 v59, v73
	v_pk_fma_f32 v[60:61], v[78:79], v[62:63], v[48:49] op_sel_hi:[1,0,1]
	v_pk_add_f32 v[52:53], v[54:55], v[52:53]
	v_pk_fma_f32 v[48:49], v[78:79], v[62:63], v[48:49] neg_lo:[0,0,1] neg_hi:[0,0,1]
	v_pk_fma_f32 v[54:55], v[80:81], v[64:65], v[50:51] op_sel_hi:[1,0,1]
	v_pk_mul_f32 v[72:73], v[106:107], v[88:89] op_sel_hi:[1,0]
	s_wait_loadcnt 0x2
	v_dual_mov_b32 v49, v61 :: v_dual_mov_b32 v54, v71
	v_pk_add_f32 v[52:53], v[52:53], v[58:59]
	v_pk_fma_f32 v[50:51], v[80:81], v[64:65], v[50:51] neg_lo:[0,0,1] neg_hi:[0,0,1]
	v_pk_mul_f32 v[56:57], v[84:85], v[68:69] op_sel:[1,1] op_sel_hi:[0,1]
	v_pk_fma_f32 v[58:59], v[82:83], v[66:67], v[72:73] op_sel_hi:[1,0,1]
	v_mov_b32_e32 v51, v55
	v_pk_add_f32 v[48:49], v[52:53], v[48:49]
	v_pk_fma_f32 v[60:61], v[82:83], v[66:67], v[72:73] neg_lo:[0,0,1] neg_hi:[0,0,1]
	v_pk_fma_f32 v[52:53], v[84:85], v[68:69], v[56:57] op_sel_hi:[1,0,1]
	v_pk_mul_f32 v[54:55], v[108:109], v[54:55] op_sel_hi:[1,0]
	v_mov_b32_e32 v61, v59
	v_pk_add_f32 v[48:49], v[48:49], v[50:51]
	v_pk_fma_f32 v[50:51], v[84:85], v[68:69], v[56:57] neg_lo:[0,0,1] neg_hi:[0,0,1]
	v_mov_b32_e32 v51, v53
	v_pk_fma_f32 v[52:53], v[86:87], v[70:71], v[54:55] op_sel_hi:[1,0,1]
	s_wait_loadcnt_dscnt 0x100
	v_pk_mul_f32 v[56:57], v[100:101], v[96:97] op_sel:[1,1] op_sel_hi:[0,1]
	v_pk_add_f32 v[48:49], v[48:49], v[60:61]
	v_pk_fma_f32 v[54:55], v[86:87], v[70:71], v[54:55] neg_lo:[0,0,1] neg_hi:[0,0,1]
	v_mov_b32_e32 v55, v53
	s_delay_alu instid0(VALU_DEP_4) | instskip(NEXT) | instid1(VALU_DEP_4)
	v_pk_fma_f32 v[52:53], v[100:101], v[96:97], v[56:57] neg_lo:[0,0,1] neg_hi:[0,0,1]
	v_pk_add_f32 v[48:49], v[48:49], v[50:51]
	v_pk_fma_f32 v[50:51], v[100:101], v[96:97], v[56:57] op_sel_hi:[1,0,1]
	s_delay_alu instid0(VALU_DEP_2) | instskip(NEXT) | instid1(VALU_DEP_2)
	v_pk_add_f32 v[48:49], v[48:49], v[54:55]
	v_mov_b32_e32 v53, v51
	s_delay_alu instid0(VALU_DEP_1) | instskip(SKIP_1) | instid1(VALU_DEP_1)
	v_pk_add_f32 v[48:49], v[48:49], v[52:53]
	s_wait_loadcnt 0x0
	v_pk_add_f32 v[48:49], v[98:99], v[48:49] neg_lo:[0,1] neg_hi:[0,1]
	scratch_store_b64 off, v[48:49], off offset:72
	s_wait_xcnt 0x0
	v_cmpx_lt_u32_e32 8, v0
	s_cbranch_execz .LBB22_135
; %bb.134:
	scratch_load_b64 v[48:49], off, off offset:64
	v_mov_b64_e32 v[50:51], 0
	scratch_store_b64 off, v[50:51], off offset:64
	s_wait_loadcnt 0x0
	ds_store_b64 v1, v[48:49]
.LBB22_135:
	s_wait_xcnt 0x0
	s_or_b32 exec_lo, exec_lo, s0
	s_wait_storecnt_dscnt 0x0
	s_barrier_signal -1
	s_barrier_wait -1
	s_clause 0x7
	scratch_load_b128 v[48:51], off, off offset:72
	scratch_load_b128 v[52:55], off, off offset:88
	;; [unrolled: 1-line block ×7, first 2 shown]
	scratch_load_b64 v[104:105], off, off offset:64
	ds_load_2addr_b64 v[76:79], v7 offset0:39 offset1:40
	ds_load_2addr_b64 v[80:83], v7 offset0:41 offset1:42
	;; [unrolled: 1-line block ×7, first 2 shown]
	s_mov_b32 s0, exec_lo
	s_wait_dscnt 0x6
	v_dual_mov_b32 v106, v79 :: v_dual_mov_b32 v107, v78
	s_wait_dscnt 0x5
	v_dual_mov_b32 v108, v83 :: v_dual_mov_b32 v109, v82
	s_wait_dscnt 0x4
	v_dual_mov_b32 v110, v87 :: v_dual_mov_b32 v111, v86
	s_wait_dscnt 0x3
	v_dual_mov_b32 v112, v91 :: v_dual_mov_b32 v113, v90
	s_wait_loadcnt_dscnt 0x702
	v_dual_mul_f32 v7, v92, v49 :: v_dual_mul_f32 v9, v94, v51
	v_dual_mul_f32 v15, v93, v49 :: v_dual_mul_f32 v17, v95, v51
	s_wait_loadcnt_dscnt 0x601
	v_dual_mul_f32 v11, v96, v53 :: v_dual_mul_f32 v13, v98, v55
	s_delay_alu instid0(VALU_DEP_3) | instskip(NEXT) | instid1(VALU_DEP_3)
	v_dual_fmac_f32 v7, v93, v48 :: v_dual_fmac_f32 v9, v95, v50
	v_dual_fma_f32 v15, v92, v48, -v15 :: v_dual_fma_f32 v17, v94, v50, -v17
	v_dual_mul_f32 v19, v97, v53 :: v_dual_mul_f32 v21, v99, v55
	s_wait_loadcnt 0x4
	s_delay_alu instid0(VALU_DEP_3) | instskip(NEXT) | instid1(VALU_DEP_3)
	v_dual_add_f32 v7, 0, v7 :: v_dual_mov_b32 v50, v63
	v_dual_add_f32 v15, 0, v15 :: v_dual_fmac_f32 v11, v97, v52
	s_delay_alu instid0(VALU_DEP_2) | instskip(SKIP_2) | instid1(VALU_DEP_3)
	v_dual_fma_f32 v19, v96, v52, -v19 :: v_dual_add_f32 v7, v7, v9
	s_wait_dscnt 0x0
	v_dual_mul_f32 v115, v100, v57 :: v_dual_mul_f32 v117, v102, v59
	v_dual_add_f32 v9, v15, v17 :: v_dual_fma_f32 v15, v98, v54, -v21
	v_dual_mul_f32 v23, v101, v57 :: v_dual_mul_f32 v25, v103, v59
	s_delay_alu instid0(VALU_DEP_2) | instskip(NEXT) | instid1(VALU_DEP_4)
	v_dual_fmac_f32 v13, v99, v54 :: v_dual_add_f32 v9, v9, v19
	v_dual_add_f32 v7, v7, v11 :: v_dual_fmac_f32 v115, v101, v56
	v_pk_mul_f32 v[48:49], v[76:77], v[60:61] op_sel:[1,1] op_sel_hi:[0,1]
	s_wait_loadcnt 0x3
	v_pk_mul_f32 v[52:53], v[80:81], v[64:65] op_sel:[1,1] op_sel_hi:[0,1]
	v_dual_mov_b32 v54, v67 :: v_dual_fma_f32 v114, v100, v56, -v23
	v_dual_add_f32 v57, v7, v13 :: v_dual_add_f32 v56, v9, v15
	v_fmac_f32_e32 v117, v103, v58
	v_fma_f32 v116, v102, v58, -v25
	v_pk_fma_f32 v[58:59], v[76:77], v[60:61], v[48:49] op_sel_hi:[1,0,1]
	v_pk_mul_f32 v[50:51], v[106:107], v[50:51] op_sel_hi:[1,0]
	v_pk_add_f32 v[56:57], v[56:57], v[114:115]
	v_pk_fma_f32 v[48:49], v[76:77], v[60:61], v[48:49] neg_lo:[0,0,1] neg_hi:[0,0,1]
	v_pk_fma_f32 v[60:61], v[80:81], v[64:65], v[52:53] op_sel_hi:[1,0,1]
	v_pk_fma_f32 v[52:53], v[80:81], v[64:65], v[52:53] neg_lo:[0,0,1] neg_hi:[0,0,1]
	v_mov_b32_e32 v49, v59
	v_pk_fma_f32 v[58:59], v[78:79], v[62:63], v[50:51] op_sel_hi:[1,0,1]
	v_pk_fma_f32 v[50:51], v[78:79], v[62:63], v[50:51] neg_lo:[0,0,1] neg_hi:[0,0,1]
	v_mov_b32_e32 v53, v61
	v_pk_add_f32 v[56:57], v[56:57], v[116:117]
	v_pk_mul_f32 v[54:55], v[108:109], v[54:55] op_sel_hi:[1,0]
	v_mov_b32_e32 v51, v59
	s_wait_loadcnt 0x2
	v_pk_mul_f32 v[92:93], v[84:85], v[68:69] op_sel:[1,1] op_sel_hi:[0,1]
	v_pk_add_f32 v[48:49], v[56:57], v[48:49]
	v_mov_b32_e32 v56, v71
	v_pk_fma_f32 v[58:59], v[82:83], v[66:67], v[54:55] op_sel_hi:[1,0,1]
	v_pk_fma_f32 v[54:55], v[82:83], v[66:67], v[54:55] neg_lo:[0,0,1] neg_hi:[0,0,1]
	s_delay_alu instid0(VALU_DEP_4)
	v_pk_add_f32 v[48:49], v[48:49], v[50:51]
	v_pk_fma_f32 v[50:51], v[84:85], v[68:69], v[92:93] op_sel_hi:[1,0,1]
	v_pk_mul_f32 v[56:57], v[110:111], v[56:57] op_sel_hi:[1,0]
	v_mov_b32_e32 v55, v59
	v_pk_fma_f32 v[58:59], v[84:85], v[68:69], v[92:93] neg_lo:[0,0,1] neg_hi:[0,0,1]
	v_pk_add_f32 v[48:49], v[48:49], v[52:53]
	v_mov_b32_e32 v59, v51
	v_pk_fma_f32 v[50:51], v[86:87], v[70:71], v[56:57] op_sel_hi:[1,0,1]
	s_wait_loadcnt 0x1
	v_pk_mul_f32 v[52:53], v[88:89], v[72:73] op_sel:[1,1] op_sel_hi:[0,1]
	v_mov_b32_e32 v50, v75
	v_pk_add_f32 v[48:49], v[48:49], v[54:55]
	v_pk_fma_f32 v[56:57], v[86:87], v[70:71], v[56:57] neg_lo:[0,0,1] neg_hi:[0,0,1]
	v_mov_b32_e32 v57, v51
	v_pk_fma_f32 v[54:55], v[88:89], v[72:73], v[52:53] op_sel_hi:[1,0,1]
	v_pk_mul_f32 v[50:51], v[112:113], v[50:51] op_sel_hi:[1,0]
	v_pk_add_f32 v[48:49], v[48:49], v[58:59]
	v_pk_fma_f32 v[52:53], v[88:89], v[72:73], v[52:53] neg_lo:[0,0,1] neg_hi:[0,0,1]
	s_delay_alu instid0(VALU_DEP_4) | instskip(NEXT) | instid1(VALU_DEP_4)
	v_mov_b32_e32 v53, v55
	v_pk_fma_f32 v[54:55], v[90:91], v[74:75], v[50:51] op_sel_hi:[1,0,1]
	s_delay_alu instid0(VALU_DEP_4) | instskip(SKIP_1) | instid1(VALU_DEP_3)
	v_pk_add_f32 v[48:49], v[48:49], v[56:57]
	v_pk_fma_f32 v[50:51], v[90:91], v[74:75], v[50:51] neg_lo:[0,0,1] neg_hi:[0,0,1]
	v_mov_b32_e32 v51, v55
	s_delay_alu instid0(VALU_DEP_3) | instskip(NEXT) | instid1(VALU_DEP_1)
	v_pk_add_f32 v[48:49], v[48:49], v[52:53]
	v_pk_add_f32 v[48:49], v[48:49], v[50:51]
	s_wait_loadcnt 0x0
	s_delay_alu instid0(VALU_DEP_1)
	v_pk_add_f32 v[48:49], v[104:105], v[48:49] neg_lo:[0,1] neg_hi:[0,1]
	scratch_store_b64 off, v[48:49], off offset:64
	s_wait_xcnt 0x0
	v_cmpx_lt_u32_e32 7, v0
	s_cbranch_execz .LBB22_137
; %bb.136:
	scratch_load_b64 v[48:49], off, off offset:56
	v_mov_b64_e32 v[50:51], 0
	scratch_store_b64 off, v[50:51], off offset:56
	s_wait_loadcnt 0x0
	ds_store_b64 v1, v[48:49]
.LBB22_137:
	s_wait_xcnt 0x0
	s_or_b32 exec_lo, exec_lo, s0
	s_wait_storecnt_dscnt 0x0
	s_barrier_signal -1
	s_barrier_wait -1
	s_clause 0x8
	scratch_load_b128 v[48:51], off, off offset:64
	scratch_load_b128 v[52:55], off, off offset:80
	;; [unrolled: 1-line block ×7, first 2 shown]
	scratch_load_b64 v[104:105], off, off offset:176
	scratch_load_b64 v[106:107], off, off offset:56
	v_mov_b32_e32 v7, 0
	ds_load_b128 v[76:79], v7 offset:304
	ds_load_b128 v[80:83], v7 offset:320
	;; [unrolled: 1-line block ×7, first 2 shown]
	ds_load_b64 v[108:109], v7 offset:368
	s_mov_b32 s0, exec_lo
	s_wait_dscnt 0x7
	v_dual_mov_b32 v110, v79 :: v_dual_mov_b32 v111, v78
	s_wait_dscnt 0x4
	v_dual_mov_b32 v112, v83 :: v_dual_mov_b32 v117, v90
	v_dual_mov_b32 v113, v82 :: v_dual_mov_b32 v114, v87
	;; [unrolled: 1-line block ×3, first 2 shown]
	s_wait_loadcnt_dscnt 0x803
	v_dual_mul_f32 v9, v92, v49 :: v_dual_mul_f32 v19, v93, v49
	v_dual_mul_f32 v21, v95, v51 :: v_dual_mul_f32 v11, v94, v51
	s_wait_loadcnt_dscnt 0x702
	v_mul_f32_e32 v13, v96, v53
	s_wait_loadcnt 0x5
	v_dual_mul_f32 v31, v77, v61 :: v_dual_fma_f32 v19, v92, v48, -v19
	v_dual_fmac_f32 v9, v93, v48 :: v_dual_mov_b32 v48, v63
	v_dual_mul_f32 v23, v97, v53 :: v_dual_mul_f32 v25, v99, v55
	v_dual_fmac_f32 v11, v95, v50 :: v_dual_fma_f32 v21, v94, v50, -v21
	s_delay_alu instid0(VALU_DEP_3) | instskip(SKIP_3) | instid1(VALU_DEP_3)
	v_dual_add_f32 v9, 0, v9 :: v_dual_add_f32 v19, 0, v19
	s_wait_dscnt 0x1
	v_dual_mul_f32 v15, v98, v55 :: v_dual_mul_f32 v17, v100, v57
	v_dual_fmac_f32 v13, v97, v52 :: v_dual_fma_f32 v23, v96, v52, -v23
	v_dual_add_f32 v9, v9, v11 :: v_dual_add_f32 v11, v19, v21
	v_dual_mul_f32 v27, v101, v57 :: v_dual_mul_f32 v29, v103, v59
	s_wait_loadcnt 0x4
	v_dual_mov_b32 v52, v67 :: v_dual_fma_f32 v19, v98, v54, -v25
	s_delay_alu instid0(VALU_DEP_3) | instskip(SKIP_2) | instid1(VALU_DEP_3)
	v_dual_fmac_f32 v15, v99, v54 :: v_dual_add_f32 v9, v9, v13
	v_dual_add_f32 v11, v11, v23 :: v_dual_fmac_f32 v17, v101, v56
	v_dual_mul_f32 v119, v102, v59 :: v_dual_mul_f32 v121, v76, v61
	v_dual_fma_f32 v13, v100, v56, -v27 :: v_dual_add_f32 v9, v9, v15
	s_delay_alu instid0(VALU_DEP_3) | instskip(NEXT) | instid1(VALU_DEP_3)
	v_dual_add_f32 v11, v11, v19 :: v_dual_fma_f32 v118, v102, v58, -v29
	v_fmac_f32_e32 v119, v103, v58
	v_pk_mul_f32 v[48:49], v[110:111], v[48:49] op_sel_hi:[1,0]
	s_delay_alu instid0(VALU_DEP_4) | instskip(NEXT) | instid1(VALU_DEP_4)
	v_add_f32_e32 v57, v9, v17
	v_dual_add_f32 v56, v11, v13 :: v_dual_fmac_f32 v121, v77, v60
	v_pk_mul_f32 v[50:51], v[80:81], v[64:65] op_sel:[1,1] op_sel_hi:[0,1]
	s_wait_loadcnt 0x3
	v_dual_mov_b32 v58, v71 :: v_dual_fma_f32 v120, v76, v60, -v31
	v_pk_fma_f32 v[60:61], v[78:79], v[62:63], v[48:49] op_sel_hi:[1,0,1]
	v_pk_add_f32 v[56:57], v[56:57], v[118:119]
	v_pk_fma_f32 v[48:49], v[78:79], v[62:63], v[48:49] neg_lo:[0,0,1] neg_hi:[0,0,1]
	v_pk_fma_f32 v[76:77], v[80:81], v[64:65], v[50:51] op_sel_hi:[1,0,1]
	v_pk_mul_f32 v[52:53], v[112:113], v[52:53] op_sel_hi:[1,0]
	v_mov_b32_e32 v49, v61
	v_pk_add_f32 v[56:57], v[56:57], v[120:121]
	v_pk_fma_f32 v[50:51], v[80:81], v[64:65], v[50:51] neg_lo:[0,0,1] neg_hi:[0,0,1]
	v_pk_mul_f32 v[54:55], v[84:85], v[68:69] op_sel:[1,1] op_sel_hi:[0,1]
	v_mov_b32_e32 v51, v77
	v_pk_fma_f32 v[62:63], v[82:83], v[66:67], v[52:53] op_sel_hi:[1,0,1]
	v_pk_add_f32 v[48:49], v[56:57], v[48:49]
	v_pk_fma_f32 v[52:53], v[82:83], v[66:67], v[52:53] neg_lo:[0,0,1] neg_hi:[0,0,1]
	v_pk_fma_f32 v[56:57], v[84:85], v[68:69], v[54:55] op_sel_hi:[1,0,1]
	v_pk_mul_f32 v[58:59], v[114:115], v[58:59] op_sel_hi:[1,0]
	v_mov_b32_e32 v53, v63
	v_pk_add_f32 v[48:49], v[48:49], v[50:51]
	v_pk_fma_f32 v[54:55], v[84:85], v[68:69], v[54:55] neg_lo:[0,0,1] neg_hi:[0,0,1]
	s_wait_loadcnt 0x2
	v_pk_mul_f32 v[60:61], v[88:89], v[72:73] op_sel:[1,1] op_sel_hi:[0,1]
	v_dual_mov_b32 v50, v75 :: v_dual_mov_b32 v55, v57
	v_pk_fma_f32 v[56:57], v[86:87], v[70:71], v[58:59] op_sel_hi:[1,0,1]
	v_pk_add_f32 v[48:49], v[48:49], v[52:53]
	v_pk_fma_f32 v[58:59], v[86:87], v[70:71], v[58:59] neg_lo:[0,0,1] neg_hi:[0,0,1]
	v_pk_fma_f32 v[52:53], v[88:89], v[72:73], v[60:61] op_sel_hi:[1,0,1]
	v_pk_mul_f32 v[50:51], v[116:117], v[50:51] op_sel_hi:[1,0]
	v_mov_b32_e32 v59, v57
	v_pk_add_f32 v[48:49], v[48:49], v[54:55]
	v_pk_fma_f32 v[54:55], v[88:89], v[72:73], v[60:61] neg_lo:[0,0,1] neg_hi:[0,0,1]
	v_mov_b32_e32 v55, v53
	v_pk_fma_f32 v[52:53], v[90:91], v[74:75], v[50:51] op_sel_hi:[1,0,1]
	s_wait_loadcnt_dscnt 0x100
	v_pk_mul_f32 v[56:57], v[108:109], v[104:105] op_sel:[1,1] op_sel_hi:[0,1]
	v_pk_add_f32 v[48:49], v[48:49], v[58:59]
	v_pk_fma_f32 v[50:51], v[90:91], v[74:75], v[50:51] neg_lo:[0,0,1] neg_hi:[0,0,1]
	v_mov_b32_e32 v51, v53
	s_delay_alu instid0(VALU_DEP_4) | instskip(NEXT) | instid1(VALU_DEP_4)
	v_pk_fma_f32 v[52:53], v[108:109], v[104:105], v[56:57] op_sel_hi:[1,0,1]
	v_pk_add_f32 v[48:49], v[48:49], v[54:55]
	v_pk_fma_f32 v[54:55], v[108:109], v[104:105], v[56:57] neg_lo:[0,0,1] neg_hi:[0,0,1]
	s_delay_alu instid0(VALU_DEP_3) | instskip(NEXT) | instid1(VALU_DEP_3)
	v_mov_b32_e32 v55, v53
	v_pk_add_f32 v[48:49], v[48:49], v[50:51]
	s_delay_alu instid0(VALU_DEP_1) | instskip(SKIP_1) | instid1(VALU_DEP_1)
	v_pk_add_f32 v[48:49], v[48:49], v[54:55]
	s_wait_loadcnt 0x0
	v_pk_add_f32 v[48:49], v[106:107], v[48:49] neg_lo:[0,1] neg_hi:[0,1]
	scratch_store_b64 off, v[48:49], off offset:56
	s_wait_xcnt 0x0
	v_cmpx_lt_u32_e32 6, v0
	s_cbranch_execz .LBB22_139
; %bb.138:
	scratch_load_b64 v[48:49], off, off offset:48
	v_mov_b64_e32 v[50:51], 0
	scratch_store_b64 off, v[50:51], off offset:48
	s_wait_loadcnt 0x0
	ds_store_b64 v1, v[48:49]
.LBB22_139:
	s_wait_xcnt 0x0
	s_or_b32 exec_lo, exec_lo, s0
	s_wait_storecnt_dscnt 0x0
	s_barrier_signal -1
	s_barrier_wait -1
	s_clause 0x8
	scratch_load_b128 v[48:51], off, off offset:56
	scratch_load_b128 v[52:55], off, off offset:72
	scratch_load_b128 v[56:59], off, off offset:88
	scratch_load_b128 v[60:63], off, off offset:104
	scratch_load_b128 v[64:67], off, off offset:120
	scratch_load_b128 v[68:71], off, off offset:136
	scratch_load_b128 v[72:75], off, off offset:152
	scratch_load_b128 v[76:79], off, off offset:168
	scratch_load_b64 v[112:113], off, off offset:48
	ds_load_2addr_b64 v[80:83], v7 offset0:39 offset1:40
	ds_load_2addr_b64 v[84:87], v7 offset0:41 offset1:42
	;; [unrolled: 1-line block ×8, first 2 shown]
	s_mov_b32 s0, exec_lo
	s_wait_dscnt 0x7
	v_dual_mov_b32 v114, v83 :: v_dual_mov_b32 v115, v82
	s_wait_dscnt 0x6
	v_dual_mov_b32 v116, v87 :: v_dual_mov_b32 v117, v86
	;; [unrolled: 2-line block ×4, first 2 shown]
	s_wait_loadcnt_dscnt 0x803
	v_dual_mul_f32 v7, v96, v49 :: v_dual_mul_f32 v9, v98, v51
	v_dual_mul_f32 v19, v97, v49 :: v_dual_mul_f32 v21, v99, v51
	s_wait_loadcnt_dscnt 0x702
	v_dual_mul_f32 v11, v100, v53 :: v_dual_mul_f32 v13, v102, v55
	s_delay_alu instid0(VALU_DEP_3) | instskip(SKIP_3) | instid1(VALU_DEP_3)
	v_dual_fmac_f32 v7, v97, v48 :: v_dual_fmac_f32 v9, v99, v50
	s_wait_loadcnt_dscnt 0x500
	v_dual_fma_f32 v19, v96, v48, -v19 :: v_dual_mul_f32 v31, v109, v61
	v_dual_mul_f32 v23, v101, v53 :: v_dual_mul_f32 v25, v103, v55
	v_dual_fma_f32 v21, v98, v50, -v21 :: v_dual_add_f32 v7, 0, v7
	s_delay_alu instid0(VALU_DEP_3) | instskip(SKIP_1) | instid1(VALU_DEP_4)
	v_dual_add_f32 v19, 0, v19 :: v_dual_fmac_f32 v11, v101, v52
	v_dual_mul_f32 v15, v104, v57 :: v_dual_mul_f32 v17, v106, v59
	v_dual_mul_f32 v33, v111, v63 :: v_dual_fma_f32 v23, v100, v52, -v23
	s_delay_alu instid0(VALU_DEP_4) | instskip(NEXT) | instid1(VALU_DEP_3)
	v_add_f32_e32 v7, v7, v9
	v_dual_add_f32 v9, v19, v21 :: v_dual_fmac_f32 v15, v105, v56
	v_dual_mul_f32 v27, v105, v57 :: v_dual_mul_f32 v29, v107, v59
	s_delay_alu instid0(VALU_DEP_2) | instskip(NEXT) | instid1(VALU_DEP_4)
	v_dual_fmac_f32 v13, v103, v54 :: v_dual_add_f32 v9, v9, v23
	v_dual_fma_f32 v19, v102, v54, -v25 :: v_dual_add_f32 v7, v7, v11
	s_wait_loadcnt 0x4
	s_delay_alu instid0(VALU_DEP_3) | instskip(SKIP_1) | instid1(VALU_DEP_3)
	v_dual_fma_f32 v11, v104, v56, -v27 :: v_dual_mov_b32 v50, v67
	v_dual_mul_f32 v123, v108, v61 :: v_dual_mul_f32 v125, v110, v63
	v_dual_add_f32 v7, v7, v13 :: v_dual_fma_f32 v13, v106, v58, -v29
	v_dual_add_f32 v9, v9, v19 :: v_dual_fmac_f32 v17, v107, v58
	v_pk_mul_f32 v[48:49], v[80:81], v[64:65] op_sel:[1,1] op_sel_hi:[0,1]
	s_delay_alu instid0(VALU_DEP_3) | instskip(SKIP_1) | instid1(VALU_DEP_3)
	v_dual_add_f32 v7, v7, v15 :: v_dual_fmac_f32 v123, v109, v60
	s_wait_loadcnt 0x3
	v_dual_add_f32 v9, v9, v11 :: v_dual_mov_b32 v54, v71
	s_delay_alu instid0(VALU_DEP_2) | instskip(NEXT) | instid1(VALU_DEP_2)
	v_dual_fma_f32 v122, v108, v60, -v31 :: v_dual_add_f32 v57, v7, v17
	v_dual_fma_f32 v124, v110, v62, -v33 :: v_dual_add_f32 v56, v9, v13
	v_fmac_f32_e32 v125, v111, v62
	v_pk_fma_f32 v[58:59], v[80:81], v[64:65], v[48:49] op_sel_hi:[1,0,1]
	v_pk_mul_f32 v[50:51], v[114:115], v[50:51] op_sel_hi:[1,0]
	v_pk_fma_f32 v[48:49], v[80:81], v[64:65], v[48:49] neg_lo:[0,0,1] neg_hi:[0,0,1]
	v_pk_add_f32 v[56:57], v[56:57], v[122:123]
	v_pk_mul_f32 v[52:53], v[84:85], v[68:69] op_sel:[1,1] op_sel_hi:[0,1]
	v_mov_b32_e32 v49, v59
	v_pk_fma_f32 v[58:59], v[82:83], v[66:67], v[50:51] op_sel_hi:[1,0,1]
	v_pk_fma_f32 v[50:51], v[82:83], v[66:67], v[50:51] neg_lo:[0,0,1] neg_hi:[0,0,1]
	v_pk_add_f32 v[56:57], v[56:57], v[124:125]
	v_pk_fma_f32 v[62:63], v[84:85], v[68:69], v[52:53] op_sel_hi:[1,0,1]
	v_pk_mul_f32 v[54:55], v[116:117], v[54:55] op_sel_hi:[1,0]
	v_mov_b32_e32 v51, v59
	s_wait_loadcnt 0x2
	v_pk_mul_f32 v[60:61], v[88:89], v[72:73] op_sel:[1,1] op_sel_hi:[0,1]
	v_pk_add_f32 v[48:49], v[56:57], v[48:49]
	v_mov_b32_e32 v56, v75
	v_pk_fma_f32 v[52:53], v[84:85], v[68:69], v[52:53] neg_lo:[0,0,1] neg_hi:[0,0,1]
	v_mov_b32_e32 v53, v63
	v_pk_fma_f32 v[58:59], v[86:87], v[70:71], v[54:55] op_sel_hi:[1,0,1]
	v_pk_add_f32 v[48:49], v[48:49], v[50:51]
	v_pk_fma_f32 v[50:51], v[88:89], v[72:73], v[60:61] op_sel_hi:[1,0,1]
	v_pk_mul_f32 v[56:57], v[118:119], v[56:57] op_sel_hi:[1,0]
	v_pk_fma_f32 v[54:55], v[86:87], v[70:71], v[54:55] neg_lo:[0,0,1] neg_hi:[0,0,1]
	v_mov_b32_e32 v55, v59
	v_pk_add_f32 v[48:49], v[48:49], v[52:53]
	v_pk_fma_f32 v[58:59], v[88:89], v[72:73], v[60:61] neg_lo:[0,0,1] neg_hi:[0,0,1]
	v_mov_b32_e32 v59, v51
	v_pk_fma_f32 v[50:51], v[90:91], v[74:75], v[56:57] op_sel_hi:[1,0,1]
	s_wait_loadcnt 0x1
	v_pk_mul_f32 v[52:53], v[92:93], v[76:77] op_sel:[1,1] op_sel_hi:[0,1]
	v_pk_add_f32 v[48:49], v[48:49], v[54:55]
	v_mov_b32_e32 v50, v79
	v_pk_fma_f32 v[56:57], v[90:91], v[74:75], v[56:57] neg_lo:[0,0,1] neg_hi:[0,0,1]
	v_mov_b32_e32 v57, v51
	v_pk_fma_f32 v[54:55], v[92:93], v[76:77], v[52:53] op_sel_hi:[1,0,1]
	v_pk_add_f32 v[48:49], v[48:49], v[58:59]
	v_pk_mul_f32 v[50:51], v[120:121], v[50:51] op_sel_hi:[1,0]
	v_pk_fma_f32 v[52:53], v[92:93], v[76:77], v[52:53] neg_lo:[0,0,1] neg_hi:[0,0,1]
	s_delay_alu instid0(VALU_DEP_4) | instskip(NEXT) | instid1(VALU_DEP_4)
	v_mov_b32_e32 v53, v55
	v_pk_add_f32 v[48:49], v[48:49], v[56:57]
	s_delay_alu instid0(VALU_DEP_4) | instskip(SKIP_1) | instid1(VALU_DEP_2)
	v_pk_fma_f32 v[54:55], v[94:95], v[78:79], v[50:51] op_sel_hi:[1,0,1]
	v_pk_fma_f32 v[50:51], v[94:95], v[78:79], v[50:51] neg_lo:[0,0,1] neg_hi:[0,0,1]
	v_mov_b32_e32 v51, v55
	s_delay_alu instid0(VALU_DEP_4) | instskip(NEXT) | instid1(VALU_DEP_1)
	v_pk_add_f32 v[48:49], v[48:49], v[52:53]
	v_pk_add_f32 v[48:49], v[48:49], v[50:51]
	s_wait_loadcnt 0x0
	s_delay_alu instid0(VALU_DEP_1)
	v_pk_add_f32 v[48:49], v[112:113], v[48:49] neg_lo:[0,1] neg_hi:[0,1]
	scratch_store_b64 off, v[48:49], off offset:48
	s_wait_xcnt 0x0
	v_cmpx_lt_u32_e32 5, v0
	s_cbranch_execz .LBB22_141
; %bb.140:
	scratch_load_b64 v[48:49], off, off offset:40
	v_mov_b64_e32 v[50:51], 0
	scratch_store_b64 off, v[50:51], off offset:40
	s_wait_loadcnt 0x0
	ds_store_b64 v1, v[48:49]
.LBB22_141:
	s_wait_xcnt 0x0
	s_or_b32 exec_lo, exec_lo, s0
	s_wait_storecnt_dscnt 0x0
	s_barrier_signal -1
	s_barrier_wait -1
	s_clause 0x9
	scratch_load_b128 v[48:51], off, off offset:48
	scratch_load_b128 v[52:55], off, off offset:64
	;; [unrolled: 1-line block ×8, first 2 shown]
	scratch_load_b64 v[112:113], off, off offset:176
	scratch_load_b64 v[114:115], off, off offset:40
	v_mov_b32_e32 v7, 0
	ds_load_b128 v[80:83], v7 offset:304
	ds_load_b128 v[84:87], v7 offset:320
	;; [unrolled: 1-line block ×8, first 2 shown]
	ds_load_b64 v[116:117], v7 offset:368
	s_mov_b32 s0, exec_lo
	s_wait_dscnt 0x8
	v_dual_mov_b32 v118, v83 :: v_dual_mov_b32 v119, v82
	s_wait_dscnt 0x5
	v_dual_mov_b32 v120, v87 :: v_dual_mov_b32 v125, v94
	v_dual_mov_b32 v121, v86 :: v_dual_mov_b32 v122, v91
	;; [unrolled: 1-line block ×3, first 2 shown]
	s_wait_loadcnt_dscnt 0x904
	v_dual_mul_f32 v9, v96, v49 :: v_dual_mul_f32 v23, v97, v49
	v_dual_mul_f32 v25, v99, v51 :: v_dual_mul_f32 v11, v98, v51
	s_wait_loadcnt_dscnt 0x803
	v_mul_f32_e32 v13, v100, v53
	s_wait_loadcnt_dscnt 0x601
	v_dual_mul_f32 v35, v109, v61 :: v_dual_fma_f32 v23, v96, v48, -v23
	v_dual_fmac_f32 v9, v97, v48 :: v_dual_mul_f32 v37, v111, v63
	v_dual_mul_f32 v27, v101, v53 :: v_dual_mul_f32 v29, v103, v55
	v_dual_fmac_f32 v11, v99, v50 :: v_dual_fma_f32 v25, v98, v50, -v25
	s_delay_alu instid0(VALU_DEP_3)
	v_dual_add_f32 v9, 0, v9 :: v_dual_add_f32 v23, 0, v23
	v_dual_mul_f32 v15, v102, v55 :: v_dual_mul_f32 v17, v104, v57
	s_wait_loadcnt 0x5
	v_dual_mul_f32 v39, v81, v65 :: v_dual_fma_f32 v27, v100, v52, -v27
	v_fmac_f32_e32 v13, v101, v52
	v_dual_add_f32 v9, v9, v11 :: v_dual_mov_b32 v48, v67
	v_add_f32_e32 v11, v23, v25
	v_dual_mul_f32 v31, v105, v57 :: v_dual_mul_f32 v33, v107, v59
	v_dual_fmac_f32 v15, v103, v54 :: v_dual_fma_f32 v23, v102, v54, -v29
	s_delay_alu instid0(VALU_DEP_3) | instskip(SKIP_1) | instid1(VALU_DEP_4)
	v_dual_add_f32 v9, v9, v13 :: v_dual_add_f32 v11, v11, v27
	v_dual_mul_f32 v19, v106, v59 :: v_dual_mul_f32 v21, v108, v61
	v_dual_fmac_f32 v17, v105, v56 :: v_dual_fma_f32 v13, v104, v56, -v31
	s_wait_loadcnt 0x4
	s_delay_alu instid0(VALU_DEP_3) | instskip(SKIP_1) | instid1(VALU_DEP_2)
	v_dual_add_f32 v9, v9, v15 :: v_dual_mov_b32 v52, v71
	v_dual_add_f32 v11, v11, v23 :: v_dual_fma_f32 v15, v106, v58, -v33
	v_dual_fmac_f32 v19, v107, v58 :: v_dual_add_f32 v9, v9, v17
	v_dual_mul_f32 v127, v110, v63 :: v_dual_mul_f32 v129, v80, v65
	s_delay_alu instid0(VALU_DEP_3) | instskip(NEXT) | instid1(VALU_DEP_3)
	v_dual_add_f32 v11, v11, v13 :: v_dual_fmac_f32 v21, v109, v60
	v_dual_fma_f32 v13, v108, v60, -v35 :: v_dual_add_f32 v9, v9, v19
	s_delay_alu instid0(VALU_DEP_3) | instskip(NEXT) | instid1(VALU_DEP_3)
	v_fmac_f32_e32 v127, v111, v62
	v_dual_add_f32 v11, v11, v15 :: v_dual_fma_f32 v126, v110, v62, -v37
	v_pk_mul_f32 v[48:49], v[118:119], v[48:49] op_sel_hi:[1,0]
	s_delay_alu instid0(VALU_DEP_4) | instskip(SKIP_1) | instid1(VALU_DEP_4)
	v_add_f32_e32 v57, v9, v21
	v_pk_mul_f32 v[50:51], v[84:85], v[68:69] op_sel:[1,1] op_sel_hi:[0,1]
	v_dual_add_f32 v56, v11, v13 :: v_dual_fmac_f32 v129, v81, v64
	s_wait_loadcnt 0x3
	v_dual_mov_b32 v58, v75 :: v_dual_fma_f32 v128, v80, v64, -v39
	v_pk_fma_f32 v[60:61], v[82:83], v[66:67], v[48:49] op_sel_hi:[1,0,1]
	s_delay_alu instid0(VALU_DEP_3)
	v_pk_add_f32 v[56:57], v[56:57], v[126:127]
	v_pk_fma_f32 v[48:49], v[82:83], v[66:67], v[48:49] neg_lo:[0,0,1] neg_hi:[0,0,1]
	v_pk_fma_f32 v[62:63], v[84:85], v[68:69], v[50:51] op_sel_hi:[1,0,1]
	v_pk_mul_f32 v[52:53], v[120:121], v[52:53] op_sel_hi:[1,0]
	v_mov_b32_e32 v49, v61
	v_pk_add_f32 v[56:57], v[56:57], v[128:129]
	v_pk_fma_f32 v[50:51], v[84:85], v[68:69], v[50:51] neg_lo:[0,0,1] neg_hi:[0,0,1]
	v_pk_mul_f32 v[54:55], v[88:89], v[72:73] op_sel:[1,1] op_sel_hi:[0,1]
	v_mov_b32_e32 v51, v63
	v_pk_fma_f32 v[62:63], v[86:87], v[70:71], v[52:53] op_sel_hi:[1,0,1]
	v_pk_add_f32 v[48:49], v[56:57], v[48:49]
	v_pk_fma_f32 v[52:53], v[86:87], v[70:71], v[52:53] neg_lo:[0,0,1] neg_hi:[0,0,1]
	v_pk_fma_f32 v[56:57], v[88:89], v[72:73], v[54:55] op_sel_hi:[1,0,1]
	v_pk_mul_f32 v[58:59], v[122:123], v[58:59] op_sel_hi:[1,0]
	v_mov_b32_e32 v53, v63
	v_pk_add_f32 v[48:49], v[48:49], v[50:51]
	v_pk_fma_f32 v[54:55], v[88:89], v[72:73], v[54:55] neg_lo:[0,0,1] neg_hi:[0,0,1]
	s_wait_loadcnt 0x2
	v_pk_mul_f32 v[60:61], v[92:93], v[76:77] op_sel:[1,1] op_sel_hi:[0,1]
	v_dual_mov_b32 v50, v79 :: v_dual_mov_b32 v55, v57
	v_pk_fma_f32 v[56:57], v[90:91], v[74:75], v[58:59] op_sel_hi:[1,0,1]
	v_pk_add_f32 v[48:49], v[48:49], v[52:53]
	v_pk_fma_f32 v[58:59], v[90:91], v[74:75], v[58:59] neg_lo:[0,0,1] neg_hi:[0,0,1]
	v_pk_fma_f32 v[52:53], v[92:93], v[76:77], v[60:61] op_sel_hi:[1,0,1]
	v_pk_mul_f32 v[50:51], v[124:125], v[50:51] op_sel_hi:[1,0]
	v_mov_b32_e32 v59, v57
	v_pk_add_f32 v[48:49], v[48:49], v[54:55]
	v_pk_fma_f32 v[54:55], v[92:93], v[76:77], v[60:61] neg_lo:[0,0,1] neg_hi:[0,0,1]
	v_mov_b32_e32 v55, v53
	v_pk_fma_f32 v[52:53], v[94:95], v[78:79], v[50:51] op_sel_hi:[1,0,1]
	s_wait_loadcnt_dscnt 0x100
	v_pk_mul_f32 v[56:57], v[116:117], v[112:113] op_sel:[1,1] op_sel_hi:[0,1]
	v_pk_add_f32 v[48:49], v[48:49], v[58:59]
	v_pk_fma_f32 v[50:51], v[94:95], v[78:79], v[50:51] neg_lo:[0,0,1] neg_hi:[0,0,1]
	v_mov_b32_e32 v51, v53
	s_delay_alu instid0(VALU_DEP_4) | instskip(NEXT) | instid1(VALU_DEP_4)
	v_pk_fma_f32 v[52:53], v[116:117], v[112:113], v[56:57] op_sel_hi:[1,0,1]
	v_pk_add_f32 v[48:49], v[48:49], v[54:55]
	v_pk_fma_f32 v[54:55], v[116:117], v[112:113], v[56:57] neg_lo:[0,0,1] neg_hi:[0,0,1]
	s_delay_alu instid0(VALU_DEP_3) | instskip(NEXT) | instid1(VALU_DEP_3)
	v_mov_b32_e32 v55, v53
	v_pk_add_f32 v[48:49], v[48:49], v[50:51]
	s_delay_alu instid0(VALU_DEP_1) | instskip(SKIP_1) | instid1(VALU_DEP_1)
	v_pk_add_f32 v[48:49], v[48:49], v[54:55]
	s_wait_loadcnt 0x0
	v_pk_add_f32 v[48:49], v[114:115], v[48:49] neg_lo:[0,1] neg_hi:[0,1]
	scratch_store_b64 off, v[48:49], off offset:40
	s_wait_xcnt 0x0
	v_cmpx_lt_u32_e32 4, v0
	s_cbranch_execz .LBB22_143
; %bb.142:
	scratch_load_b64 v[48:49], off, off offset:32
	v_mov_b64_e32 v[50:51], 0
	scratch_store_b64 off, v[50:51], off offset:32
	s_wait_loadcnt 0x0
	ds_store_b64 v1, v[48:49]
.LBB22_143:
	s_wait_xcnt 0x0
	s_or_b32 exec_lo, exec_lo, s0
	s_wait_storecnt_dscnt 0x0
	s_barrier_signal -1
	s_barrier_wait -1
	s_clause 0x9
	scratch_load_b128 v[48:51], off, off offset:40
	scratch_load_b128 v[52:55], off, off offset:56
	;; [unrolled: 1-line block ×9, first 2 shown]
	scratch_load_b64 v[120:121], off, off offset:32
	ds_load_2addr_b64 v[84:87], v7 offset0:39 offset1:40
	ds_load_2addr_b64 v[88:91], v7 offset0:41 offset1:42
	ds_load_2addr_b64 v[92:95], v7 offset0:43 offset1:44
	ds_load_2addr_b64 v[96:99], v7 offset0:45 offset1:46
	ds_load_2addr_b64 v[100:103], v7 offset0:29 offset1:30
	ds_load_2addr_b64 v[104:107], v7 offset0:31 offset1:32
	ds_load_2addr_b64 v[108:111], v7 offset0:33 offset1:34
	ds_load_2addr_b64 v[112:115], v7 offset0:35 offset1:36
	ds_load_2addr_b64 v[116:119], v7 offset0:37 offset1:38
	s_mov_b32 s0, exec_lo
	s_wait_dscnt 0x8
	v_dual_mov_b32 v122, v87 :: v_dual_mov_b32 v123, v86
	s_wait_dscnt 0x7
	v_dual_mov_b32 v124, v91 :: v_dual_mov_b32 v125, v90
	;; [unrolled: 2-line block ×4, first 2 shown]
	s_wait_loadcnt_dscnt 0x904
	v_dual_mul_f32 v7, v100, v49 :: v_dual_mul_f32 v9, v102, v51
	v_dual_mul_f32 v23, v101, v49 :: v_dual_mul_f32 v25, v103, v51
	s_wait_loadcnt_dscnt 0x803
	v_dual_mul_f32 v11, v104, v53 :: v_dual_mul_f32 v13, v106, v55
	s_delay_alu instid0(VALU_DEP_3) | instskip(SKIP_3) | instid1(VALU_DEP_3)
	v_dual_fmac_f32 v7, v101, v48 :: v_dual_fmac_f32 v9, v103, v50
	s_wait_loadcnt_dscnt 0x601
	v_dual_fma_f32 v23, v100, v48, -v23 :: v_dual_mul_f32 v35, v113, v61
	v_dual_mul_f32 v27, v105, v53 :: v_dual_mul_f32 v29, v107, v55
	v_dual_fma_f32 v25, v102, v50, -v25 :: v_dual_add_f32 v7, 0, v7
	s_delay_alu instid0(VALU_DEP_3) | instskip(SKIP_1) | instid1(VALU_DEP_4)
	v_dual_add_f32 v23, 0, v23 :: v_dual_fmac_f32 v11, v105, v52
	v_dual_mul_f32 v15, v108, v57 :: v_dual_mul_f32 v17, v110, v59
	v_dual_mul_f32 v37, v115, v63 :: v_dual_fma_f32 v27, v104, v52, -v27
	s_delay_alu instid0(VALU_DEP_4) | instskip(NEXT) | instid1(VALU_DEP_3)
	v_add_f32_e32 v7, v7, v9
	v_dual_add_f32 v9, v23, v25 :: v_dual_fmac_f32 v15, v109, v56
	v_dual_mul_f32 v31, v109, v57 :: v_dual_mul_f32 v33, v111, v59
	s_wait_loadcnt_dscnt 0x500
	v_dual_mul_f32 v23, v117, v65 :: v_dual_fmac_f32 v13, v107, v54
	v_dual_fma_f32 v25, v106, v54, -v29 :: v_dual_add_f32 v7, v7, v11
	s_delay_alu instid0(VALU_DEP_3) | instskip(SKIP_1) | instid1(VALU_DEP_3)
	v_dual_add_f32 v9, v9, v27 :: v_dual_fma_f32 v27, v108, v56, -v31
	v_dual_mul_f32 v19, v112, v61 :: v_dual_mul_f32 v21, v114, v63
	v_add_f32_e32 v7, v7, v13
	s_delay_alu instid0(VALU_DEP_3) | instskip(SKIP_1) | instid1(VALU_DEP_3)
	v_dual_mul_f32 v11, v119, v67 :: v_dual_add_f32 v9, v9, v25
	v_fmac_f32_e32 v17, v111, v58
	v_dual_fma_f32 v13, v110, v58, -v33 :: v_dual_add_f32 v7, v7, v15
	s_wait_loadcnt 0x4
	v_dual_mov_b32 v50, v71 :: v_dual_fmac_f32 v19, v113, v60
	v_dual_add_f32 v9, v9, v27 :: v_dual_fma_f32 v15, v112, v60, -v35
	s_delay_alu instid0(VALU_DEP_3) | instskip(SKIP_1) | instid1(VALU_DEP_3)
	v_add_f32_e32 v7, v7, v17
	v_dual_mul_f32 v131, v116, v65 :: v_dual_mul_f32 v133, v118, v67
	v_dual_add_f32 v9, v9, v13 :: v_dual_fmac_f32 v21, v115, v62
	s_delay_alu instid0(VALU_DEP_3) | instskip(SKIP_2) | instid1(VALU_DEP_3)
	v_dual_fma_f32 v13, v114, v62, -v37 :: v_dual_add_f32 v7, v7, v19
	v_pk_mul_f32 v[48:49], v[84:85], v[68:69] op_sel:[1,1] op_sel_hi:[0,1]
	s_wait_loadcnt 0x3
	v_dual_add_f32 v9, v9, v15 :: v_dual_mov_b32 v54, v75
	s_delay_alu instid0(VALU_DEP_3) | instskip(NEXT) | instid1(VALU_DEP_2)
	v_dual_fmac_f32 v131, v117, v64 :: v_dual_add_f32 v57, v7, v21
	v_dual_fma_f32 v130, v116, v64, -v23 :: v_dual_add_f32 v56, v9, v13
	v_dual_fmac_f32 v133, v119, v66 :: v_dual_fma_f32 v132, v118, v66, -v11
	v_pk_fma_f32 v[58:59], v[84:85], v[68:69], v[48:49] op_sel_hi:[1,0,1]
	v_pk_mul_f32 v[50:51], v[122:123], v[50:51] op_sel_hi:[1,0]
	s_delay_alu instid0(VALU_DEP_4)
	v_pk_add_f32 v[56:57], v[56:57], v[130:131]
	v_pk_fma_f32 v[48:49], v[84:85], v[68:69], v[48:49] neg_lo:[0,0,1] neg_hi:[0,0,1]
	v_pk_mul_f32 v[52:53], v[88:89], v[72:73] op_sel:[1,1] op_sel_hi:[0,1]
	v_mov_b32_e32 v49, v59
	v_pk_fma_f32 v[58:59], v[86:87], v[70:71], v[50:51] op_sel_hi:[1,0,1]
	v_pk_add_f32 v[56:57], v[56:57], v[132:133]
	v_pk_fma_f32 v[50:51], v[86:87], v[70:71], v[50:51] neg_lo:[0,0,1] neg_hi:[0,0,1]
	v_pk_fma_f32 v[62:63], v[88:89], v[72:73], v[52:53] op_sel_hi:[1,0,1]
	v_pk_mul_f32 v[54:55], v[124:125], v[54:55] op_sel_hi:[1,0]
	v_mov_b32_e32 v51, v59
	v_pk_add_f32 v[48:49], v[56:57], v[48:49]
	s_wait_loadcnt 0x2
	v_pk_mul_f32 v[60:61], v[92:93], v[76:77] op_sel:[1,1] op_sel_hi:[0,1]
	v_mov_b32_e32 v56, v79
	v_pk_fma_f32 v[52:53], v[88:89], v[72:73], v[52:53] neg_lo:[0,0,1] neg_hi:[0,0,1]
	v_mov_b32_e32 v53, v63
	v_pk_fma_f32 v[58:59], v[90:91], v[74:75], v[54:55] op_sel_hi:[1,0,1]
	v_pk_add_f32 v[48:49], v[48:49], v[50:51]
	v_pk_fma_f32 v[50:51], v[92:93], v[76:77], v[60:61] op_sel_hi:[1,0,1]
	v_pk_mul_f32 v[56:57], v[126:127], v[56:57] op_sel_hi:[1,0]
	v_pk_fma_f32 v[54:55], v[90:91], v[74:75], v[54:55] neg_lo:[0,0,1] neg_hi:[0,0,1]
	v_mov_b32_e32 v55, v59
	v_pk_add_f32 v[48:49], v[48:49], v[52:53]
	v_pk_fma_f32 v[58:59], v[92:93], v[76:77], v[60:61] neg_lo:[0,0,1] neg_hi:[0,0,1]
	v_mov_b32_e32 v59, v51
	v_pk_fma_f32 v[50:51], v[94:95], v[78:79], v[56:57] op_sel_hi:[1,0,1]
	s_wait_loadcnt 0x1
	v_pk_mul_f32 v[52:53], v[96:97], v[80:81] op_sel:[1,1] op_sel_hi:[0,1]
	v_pk_add_f32 v[48:49], v[48:49], v[54:55]
	v_mov_b32_e32 v50, v83
	v_pk_fma_f32 v[56:57], v[94:95], v[78:79], v[56:57] neg_lo:[0,0,1] neg_hi:[0,0,1]
	v_mov_b32_e32 v57, v51
	v_pk_fma_f32 v[54:55], v[96:97], v[80:81], v[52:53] op_sel_hi:[1,0,1]
	v_pk_add_f32 v[48:49], v[48:49], v[58:59]
	v_pk_mul_f32 v[50:51], v[128:129], v[50:51] op_sel_hi:[1,0]
	v_pk_fma_f32 v[52:53], v[96:97], v[80:81], v[52:53] neg_lo:[0,0,1] neg_hi:[0,0,1]
	s_delay_alu instid0(VALU_DEP_4) | instskip(NEXT) | instid1(VALU_DEP_4)
	v_mov_b32_e32 v53, v55
	v_pk_add_f32 v[48:49], v[48:49], v[56:57]
	s_delay_alu instid0(VALU_DEP_4) | instskip(SKIP_1) | instid1(VALU_DEP_2)
	v_pk_fma_f32 v[54:55], v[98:99], v[82:83], v[50:51] op_sel_hi:[1,0,1]
	v_pk_fma_f32 v[50:51], v[98:99], v[82:83], v[50:51] neg_lo:[0,0,1] neg_hi:[0,0,1]
	v_mov_b32_e32 v51, v55
	s_delay_alu instid0(VALU_DEP_4) | instskip(NEXT) | instid1(VALU_DEP_1)
	v_pk_add_f32 v[48:49], v[48:49], v[52:53]
	v_pk_add_f32 v[48:49], v[48:49], v[50:51]
	s_wait_loadcnt 0x0
	s_delay_alu instid0(VALU_DEP_1)
	v_pk_add_f32 v[48:49], v[120:121], v[48:49] neg_lo:[0,1] neg_hi:[0,1]
	scratch_store_b64 off, v[48:49], off offset:32
	s_wait_xcnt 0x0
	v_cmpx_lt_u32_e32 3, v0
	s_cbranch_execz .LBB22_145
; %bb.144:
	scratch_load_b64 v[48:49], off, off offset:24
	v_mov_b64_e32 v[50:51], 0
	scratch_store_b64 off, v[50:51], off offset:24
	s_wait_loadcnt 0x0
	ds_store_b64 v1, v[48:49]
.LBB22_145:
	s_wait_xcnt 0x0
	s_or_b32 exec_lo, exec_lo, s0
	s_wait_storecnt_dscnt 0x0
	s_barrier_signal -1
	s_barrier_wait -1
	s_clause 0xa
	scratch_load_b128 v[48:51], off, off offset:32
	scratch_load_b128 v[52:55], off, off offset:48
	;; [unrolled: 1-line block ×9, first 2 shown]
	scratch_load_b64 v[120:121], off, off offset:176
	scratch_load_b64 v[122:123], off, off offset:24
	v_mov_b32_e32 v7, 0
	ds_load_b128 v[84:87], v7 offset:304
	ds_load_b128 v[88:91], v7 offset:320
	;; [unrolled: 1-line block ×9, first 2 shown]
	ds_load_b64 v[124:125], v7 offset:368
	s_mov_b32 s0, exec_lo
	s_wait_dscnt 0x9
	v_dual_mov_b32 v126, v87 :: v_dual_mov_b32 v127, v86
	s_wait_dscnt 0x6
	v_dual_mov_b32 v128, v91 :: v_dual_mov_b32 v133, v98
	v_dual_mov_b32 v129, v90 :: v_dual_mov_b32 v130, v95
	;; [unrolled: 1-line block ×3, first 2 shown]
	s_wait_loadcnt_dscnt 0xa05
	v_dual_mul_f32 v9, v100, v49 :: v_dual_mul_f32 v27, v101, v49
	v_dual_mul_f32 v29, v103, v51 :: v_dual_mul_f32 v11, v102, v51
	s_wait_loadcnt_dscnt 0x904
	v_mul_f32_e32 v13, v104, v53
	s_wait_loadcnt_dscnt 0x702
	v_dual_mul_f32 v39, v113, v61 :: v_dual_fma_f32 v27, v100, v48, -v27
	v_dual_fmac_f32 v9, v101, v48 :: v_dual_mul_f32 v41, v115, v63
	v_dual_mul_f32 v31, v105, v53 :: v_dual_mul_f32 v33, v107, v55
	v_dual_fmac_f32 v11, v103, v50 :: v_dual_fma_f32 v29, v102, v50, -v29
	s_delay_alu instid0(VALU_DEP_3) | instskip(SKIP_4) | instid1(VALU_DEP_3)
	v_dual_add_f32 v9, 0, v9 :: v_dual_add_f32 v27, 0, v27
	v_dual_mul_f32 v15, v106, v55 :: v_dual_mul_f32 v17, v108, v57
	s_wait_loadcnt_dscnt 0x601
	v_dual_mul_f32 v43, v117, v65 :: v_dual_fma_f32 v31, v104, v52, -v31
	v_fmac_f32_e32 v13, v105, v52
	v_dual_add_f32 v9, v9, v11 :: v_dual_fmac_f32 v15, v107, v54
	v_add_f32_e32 v11, v27, v29
	v_dual_mul_f32 v35, v109, v57 :: v_dual_mul_f32 v37, v111, v59
	v_dual_mul_f32 v27, v119, v67 :: v_dual_fma_f32 v29, v106, v54, -v33
	s_delay_alu instid0(VALU_DEP_3) | instskip(SKIP_3) | instid1(VALU_DEP_3)
	v_dual_add_f32 v9, v9, v13 :: v_dual_add_f32 v11, v11, v31
	v_dual_mul_f32 v19, v110, v59 :: v_dual_mul_f32 v21, v112, v61
	s_wait_loadcnt 0x5
	v_dual_mul_f32 v13, v85, v69 :: v_dual_fma_f32 v31, v108, v56, -v35
	v_dual_fmac_f32 v17, v109, v56 :: v_dual_add_f32 v11, v11, v29
	v_dual_add_f32 v9, v9, v15 :: v_dual_mov_b32 v48, v71
	v_dual_fmac_f32 v19, v111, v58 :: v_dual_fma_f32 v15, v110, v58, -v37
	s_delay_alu instid0(VALU_DEP_2) | instskip(SKIP_3) | instid1(VALU_DEP_3)
	v_dual_add_f32 v11, v11, v31 :: v_dual_add_f32 v9, v9, v17
	v_dual_mul_f32 v23, v114, v63 :: v_dual_mul_f32 v25, v116, v65
	v_dual_fmac_f32 v21, v113, v60 :: v_dual_fma_f32 v17, v112, v60, -v39
	s_wait_loadcnt 0x4
	v_dual_add_f32 v9, v9, v19 :: v_dual_mov_b32 v52, v75
	v_dual_add_f32 v11, v11, v15 :: v_dual_fma_f32 v15, v114, v62, -v41
	s_delay_alu instid0(VALU_DEP_2) | instskip(SKIP_1) | instid1(VALU_DEP_3)
	v_dual_fmac_f32 v23, v115, v62 :: v_dual_add_f32 v9, v9, v21
	v_dual_mul_f32 v135, v118, v67 :: v_dual_mul_f32 v137, v84, v69
	v_dual_add_f32 v11, v11, v17 :: v_dual_fmac_f32 v25, v117, v64
	s_delay_alu instid0(VALU_DEP_3) | instskip(NEXT) | instid1(VALU_DEP_3)
	v_dual_fma_f32 v17, v116, v64, -v43 :: v_dual_add_f32 v9, v9, v23
	v_fmac_f32_e32 v135, v119, v66
	s_delay_alu instid0(VALU_DEP_3) | instskip(SKIP_1) | instid1(VALU_DEP_4)
	v_dual_add_f32 v11, v11, v15 :: v_dual_fma_f32 v134, v118, v66, -v27
	v_pk_mul_f32 v[48:49], v[126:127], v[48:49] op_sel_hi:[1,0]
	v_add_f32_e32 v57, v9, v25
	v_pk_mul_f32 v[50:51], v[88:89], v[72:73] op_sel:[1,1] op_sel_hi:[0,1]
	s_delay_alu instid0(VALU_DEP_4) | instskip(SKIP_3) | instid1(VALU_DEP_3)
	v_dual_add_f32 v56, v11, v17 :: v_dual_fmac_f32 v137, v85, v68
	s_wait_loadcnt 0x3
	v_dual_mov_b32 v58, v79 :: v_dual_fma_f32 v136, v84, v68, -v13
	v_pk_fma_f32 v[60:61], v[86:87], v[70:71], v[48:49] op_sel_hi:[1,0,1]
	v_pk_add_f32 v[56:57], v[56:57], v[134:135]
	v_pk_fma_f32 v[48:49], v[86:87], v[70:71], v[48:49] neg_lo:[0,0,1] neg_hi:[0,0,1]
	v_pk_fma_f32 v[62:63], v[88:89], v[72:73], v[50:51] op_sel_hi:[1,0,1]
	v_pk_mul_f32 v[52:53], v[128:129], v[52:53] op_sel_hi:[1,0]
	v_mov_b32_e32 v49, v61
	v_pk_add_f32 v[56:57], v[56:57], v[136:137]
	v_pk_fma_f32 v[50:51], v[88:89], v[72:73], v[50:51] neg_lo:[0,0,1] neg_hi:[0,0,1]
	v_pk_mul_f32 v[54:55], v[92:93], v[76:77] op_sel:[1,1] op_sel_hi:[0,1]
	v_mov_b32_e32 v51, v63
	v_pk_fma_f32 v[62:63], v[90:91], v[74:75], v[52:53] op_sel_hi:[1,0,1]
	v_pk_add_f32 v[48:49], v[56:57], v[48:49]
	v_pk_fma_f32 v[52:53], v[90:91], v[74:75], v[52:53] neg_lo:[0,0,1] neg_hi:[0,0,1]
	v_pk_fma_f32 v[56:57], v[92:93], v[76:77], v[54:55] op_sel_hi:[1,0,1]
	v_pk_mul_f32 v[58:59], v[130:131], v[58:59] op_sel_hi:[1,0]
	v_mov_b32_e32 v53, v63
	v_pk_add_f32 v[48:49], v[48:49], v[50:51]
	v_pk_fma_f32 v[54:55], v[92:93], v[76:77], v[54:55] neg_lo:[0,0,1] neg_hi:[0,0,1]
	s_wait_loadcnt 0x2
	v_pk_mul_f32 v[60:61], v[96:97], v[80:81] op_sel:[1,1] op_sel_hi:[0,1]
	v_dual_mov_b32 v50, v83 :: v_dual_mov_b32 v55, v57
	v_pk_fma_f32 v[56:57], v[94:95], v[78:79], v[58:59] op_sel_hi:[1,0,1]
	v_pk_add_f32 v[48:49], v[48:49], v[52:53]
	v_pk_fma_f32 v[58:59], v[94:95], v[78:79], v[58:59] neg_lo:[0,0,1] neg_hi:[0,0,1]
	v_pk_fma_f32 v[52:53], v[96:97], v[80:81], v[60:61] op_sel_hi:[1,0,1]
	v_pk_mul_f32 v[50:51], v[132:133], v[50:51] op_sel_hi:[1,0]
	v_mov_b32_e32 v59, v57
	v_pk_add_f32 v[48:49], v[48:49], v[54:55]
	v_pk_fma_f32 v[54:55], v[96:97], v[80:81], v[60:61] neg_lo:[0,0,1] neg_hi:[0,0,1]
	v_mov_b32_e32 v55, v53
	v_pk_fma_f32 v[52:53], v[98:99], v[82:83], v[50:51] op_sel_hi:[1,0,1]
	s_wait_loadcnt_dscnt 0x100
	v_pk_mul_f32 v[56:57], v[124:125], v[120:121] op_sel:[1,1] op_sel_hi:[0,1]
	v_pk_add_f32 v[48:49], v[48:49], v[58:59]
	v_pk_fma_f32 v[50:51], v[98:99], v[82:83], v[50:51] neg_lo:[0,0,1] neg_hi:[0,0,1]
	v_mov_b32_e32 v51, v53
	s_delay_alu instid0(VALU_DEP_4) | instskip(NEXT) | instid1(VALU_DEP_4)
	v_pk_fma_f32 v[52:53], v[124:125], v[120:121], v[56:57] op_sel_hi:[1,0,1]
	v_pk_add_f32 v[48:49], v[48:49], v[54:55]
	v_pk_fma_f32 v[54:55], v[124:125], v[120:121], v[56:57] neg_lo:[0,0,1] neg_hi:[0,0,1]
	s_delay_alu instid0(VALU_DEP_3) | instskip(NEXT) | instid1(VALU_DEP_3)
	v_mov_b32_e32 v55, v53
	v_pk_add_f32 v[48:49], v[48:49], v[50:51]
	s_delay_alu instid0(VALU_DEP_1) | instskip(SKIP_1) | instid1(VALU_DEP_1)
	v_pk_add_f32 v[48:49], v[48:49], v[54:55]
	s_wait_loadcnt 0x0
	v_pk_add_f32 v[48:49], v[122:123], v[48:49] neg_lo:[0,1] neg_hi:[0,1]
	scratch_store_b64 off, v[48:49], off offset:24
	s_wait_xcnt 0x0
	v_cmpx_lt_u32_e32 2, v0
	s_cbranch_execz .LBB22_147
; %bb.146:
	scratch_load_b64 v[48:49], off, off offset:16
	v_mov_b64_e32 v[50:51], 0
	scratch_store_b64 off, v[50:51], off offset:16
	s_wait_loadcnt 0x0
	ds_store_b64 v1, v[48:49]
.LBB22_147:
	s_wait_xcnt 0x0
	s_or_b32 exec_lo, exec_lo, s0
	s_wait_storecnt_dscnt 0x0
	s_barrier_signal -1
	s_barrier_wait -1
	s_clause 0xa
	scratch_load_b128 v[48:51], off, off offset:24
	scratch_load_b128 v[52:55], off, off offset:40
	scratch_load_b128 v[56:59], off, off offset:56
	scratch_load_b128 v[60:63], off, off offset:72
	scratch_load_b128 v[64:67], off, off offset:88
	scratch_load_b128 v[68:71], off, off offset:104
	scratch_load_b128 v[72:75], off, off offset:120
	scratch_load_b128 v[76:79], off, off offset:136
	scratch_load_b128 v[80:83], off, off offset:152
	scratch_load_b128 v[84:87], off, off offset:168
	scratch_load_b64 v[128:129], off, off offset:16
	ds_load_2addr_b64 v[88:91], v7 offset0:39 offset1:40
	ds_load_2addr_b64 v[92:95], v7 offset0:41 offset1:42
	;; [unrolled: 1-line block ×10, first 2 shown]
	s_mov_b32 s0, exec_lo
	s_wait_dscnt 0x9
	v_dual_mov_b32 v130, v91 :: v_dual_mov_b32 v131, v90
	s_wait_dscnt 0x8
	v_dual_mov_b32 v132, v95 :: v_dual_mov_b32 v133, v94
	;; [unrolled: 2-line block ×4, first 2 shown]
	s_wait_loadcnt_dscnt 0xa05
	v_dual_mul_f32 v7, v104, v49 :: v_dual_mul_f32 v9, v106, v51
	v_dual_mul_f32 v27, v105, v49 :: v_dual_mul_f32 v29, v107, v51
	s_wait_loadcnt_dscnt 0x904
	v_dual_mul_f32 v11, v108, v53 :: v_dual_mul_f32 v13, v110, v55
	s_delay_alu instid0(VALU_DEP_3) | instskip(SKIP_3) | instid1(VALU_DEP_3)
	v_dual_fmac_f32 v7, v105, v48 :: v_dual_fmac_f32 v9, v107, v50
	s_wait_loadcnt_dscnt 0x702
	v_dual_fma_f32 v27, v104, v48, -v27 :: v_dual_mul_f32 v39, v117, v61
	v_dual_mul_f32 v31, v109, v53 :: v_dual_mul_f32 v33, v111, v55
	v_dual_fma_f32 v29, v106, v50, -v29 :: v_dual_add_f32 v7, 0, v7
	s_delay_alu instid0(VALU_DEP_3) | instskip(SKIP_1) | instid1(VALU_DEP_4)
	v_dual_add_f32 v27, 0, v27 :: v_dual_fmac_f32 v11, v109, v52
	v_dual_mul_f32 v15, v112, v57 :: v_dual_mul_f32 v17, v114, v59
	v_dual_mul_f32 v41, v119, v63 :: v_dual_fma_f32 v31, v108, v52, -v31
	s_delay_alu instid0(VALU_DEP_4) | instskip(NEXT) | instid1(VALU_DEP_3)
	v_add_f32_e32 v7, v7, v9
	v_dual_add_f32 v9, v27, v29 :: v_dual_fmac_f32 v15, v113, v56
	v_dual_mul_f32 v35, v113, v57 :: v_dual_mul_f32 v37, v115, v59
	s_wait_loadcnt_dscnt 0x601
	v_dual_mul_f32 v27, v121, v65 :: v_dual_fmac_f32 v13, v111, v54
	v_dual_fma_f32 v29, v110, v54, -v33 :: v_dual_add_f32 v7, v7, v11
	s_delay_alu instid0(VALU_DEP_3) | instskip(SKIP_1) | instid1(VALU_DEP_3)
	v_dual_add_f32 v9, v9, v31 :: v_dual_fma_f32 v31, v112, v56, -v35
	v_dual_mul_f32 v19, v116, v61 :: v_dual_mul_f32 v21, v118, v63
	v_add_f32_e32 v7, v7, v13
	s_delay_alu instid0(VALU_DEP_3) | instskip(SKIP_2) | instid1(VALU_DEP_3)
	v_dual_mul_f32 v11, v123, v67 :: v_dual_add_f32 v9, v9, v29
	s_wait_loadcnt_dscnt 0x500
	v_dual_mul_f32 v13, v125, v69 :: v_dual_fmac_f32 v17, v115, v58
	v_dual_fma_f32 v29, v114, v58, -v37 :: v_dual_add_f32 v7, v7, v15
	s_delay_alu instid0(VALU_DEP_3) | instskip(SKIP_1) | instid1(VALU_DEP_3)
	v_dual_add_f32 v9, v9, v31 :: v_dual_fma_f32 v31, v116, v60, -v39
	v_dual_mul_f32 v15, v127, v71 :: v_dual_fmac_f32 v19, v117, v60
	v_dual_add_f32 v7, v7, v17 :: v_dual_fma_f32 v17, v118, v62, -v41
	s_delay_alu instid0(VALU_DEP_3) | instskip(SKIP_1) | instid1(VALU_DEP_3)
	v_dual_add_f32 v9, v9, v29 :: v_dual_fmac_f32 v21, v119, v62
	v_dual_mul_f32 v23, v120, v65 :: v_dual_mul_f32 v25, v122, v67
	v_add_f32_e32 v7, v7, v19
	s_wait_loadcnt 0x4
	s_delay_alu instid0(VALU_DEP_3) | instskip(NEXT) | instid1(VALU_DEP_3)
	v_dual_add_f32 v9, v9, v31 :: v_dual_mov_b32 v50, v75
	v_fmac_f32_e32 v23, v121, v64
	s_delay_alu instid0(VALU_DEP_3) | instskip(NEXT) | instid1(VALU_DEP_3)
	v_dual_fma_f32 v19, v120, v64, -v27 :: v_dual_add_f32 v7, v7, v21
	v_dual_add_f32 v9, v9, v17 :: v_dual_fmac_f32 v25, v123, v66
	v_dual_mul_f32 v139, v124, v69 :: v_dual_mul_f32 v141, v126, v71
	s_delay_alu instid0(VALU_DEP_3) | instskip(SKIP_1) | instid1(VALU_DEP_3)
	v_dual_fma_f32 v11, v122, v66, -v11 :: v_dual_add_f32 v7, v7, v23
	s_wait_loadcnt 0x3
	v_dual_add_f32 v9, v9, v19 :: v_dual_mov_b32 v54, v79
	v_pk_mul_f32 v[48:49], v[88:89], v[72:73] op_sel:[1,1] op_sel_hi:[0,1]
	v_dual_fmac_f32 v139, v125, v68 :: v_dual_fma_f32 v138, v124, v68, -v13
	s_delay_alu instid0(VALU_DEP_3) | instskip(SKIP_1) | instid1(VALU_DEP_4)
	v_dual_add_f32 v57, v7, v25 :: v_dual_add_f32 v56, v9, v11
	v_dual_fmac_f32 v141, v127, v70 :: v_dual_fma_f32 v140, v126, v70, -v15
	v_pk_fma_f32 v[58:59], v[88:89], v[72:73], v[48:49] op_sel_hi:[1,0,1]
	v_pk_mul_f32 v[50:51], v[130:131], v[50:51] op_sel_hi:[1,0]
	s_delay_alu instid0(VALU_DEP_4)
	v_pk_add_f32 v[56:57], v[56:57], v[138:139]
	v_pk_fma_f32 v[48:49], v[88:89], v[72:73], v[48:49] neg_lo:[0,0,1] neg_hi:[0,0,1]
	v_pk_mul_f32 v[52:53], v[92:93], v[76:77] op_sel:[1,1] op_sel_hi:[0,1]
	v_mov_b32_e32 v49, v59
	v_pk_fma_f32 v[58:59], v[90:91], v[74:75], v[50:51] op_sel_hi:[1,0,1]
	v_pk_add_f32 v[56:57], v[56:57], v[140:141]
	v_pk_fma_f32 v[50:51], v[90:91], v[74:75], v[50:51] neg_lo:[0,0,1] neg_hi:[0,0,1]
	v_pk_fma_f32 v[62:63], v[92:93], v[76:77], v[52:53] op_sel_hi:[1,0,1]
	v_pk_mul_f32 v[54:55], v[132:133], v[54:55] op_sel_hi:[1,0]
	v_mov_b32_e32 v51, v59
	v_pk_add_f32 v[48:49], v[56:57], v[48:49]
	s_wait_loadcnt 0x2
	v_pk_mul_f32 v[60:61], v[96:97], v[80:81] op_sel:[1,1] op_sel_hi:[0,1]
	v_mov_b32_e32 v56, v83
	v_pk_fma_f32 v[52:53], v[92:93], v[76:77], v[52:53] neg_lo:[0,0,1] neg_hi:[0,0,1]
	v_mov_b32_e32 v53, v63
	v_pk_fma_f32 v[58:59], v[94:95], v[78:79], v[54:55] op_sel_hi:[1,0,1]
	v_pk_add_f32 v[48:49], v[48:49], v[50:51]
	v_pk_fma_f32 v[50:51], v[96:97], v[80:81], v[60:61] op_sel_hi:[1,0,1]
	v_pk_mul_f32 v[56:57], v[134:135], v[56:57] op_sel_hi:[1,0]
	v_pk_fma_f32 v[54:55], v[94:95], v[78:79], v[54:55] neg_lo:[0,0,1] neg_hi:[0,0,1]
	v_mov_b32_e32 v55, v59
	v_pk_add_f32 v[48:49], v[48:49], v[52:53]
	v_pk_fma_f32 v[58:59], v[96:97], v[80:81], v[60:61] neg_lo:[0,0,1] neg_hi:[0,0,1]
	v_mov_b32_e32 v59, v51
	v_pk_fma_f32 v[50:51], v[98:99], v[82:83], v[56:57] op_sel_hi:[1,0,1]
	s_wait_loadcnt 0x1
	v_pk_mul_f32 v[52:53], v[100:101], v[84:85] op_sel:[1,1] op_sel_hi:[0,1]
	v_pk_add_f32 v[48:49], v[48:49], v[54:55]
	v_mov_b32_e32 v50, v87
	v_pk_fma_f32 v[56:57], v[98:99], v[82:83], v[56:57] neg_lo:[0,0,1] neg_hi:[0,0,1]
	v_mov_b32_e32 v57, v51
	v_pk_fma_f32 v[54:55], v[100:101], v[84:85], v[52:53] op_sel_hi:[1,0,1]
	v_pk_add_f32 v[48:49], v[48:49], v[58:59]
	v_pk_mul_f32 v[50:51], v[136:137], v[50:51] op_sel_hi:[1,0]
	v_pk_fma_f32 v[52:53], v[100:101], v[84:85], v[52:53] neg_lo:[0,0,1] neg_hi:[0,0,1]
	s_delay_alu instid0(VALU_DEP_4) | instskip(NEXT) | instid1(VALU_DEP_4)
	v_mov_b32_e32 v53, v55
	v_pk_add_f32 v[48:49], v[48:49], v[56:57]
	s_delay_alu instid0(VALU_DEP_4) | instskip(SKIP_1) | instid1(VALU_DEP_2)
	v_pk_fma_f32 v[54:55], v[102:103], v[86:87], v[50:51] op_sel_hi:[1,0,1]
	v_pk_fma_f32 v[50:51], v[102:103], v[86:87], v[50:51] neg_lo:[0,0,1] neg_hi:[0,0,1]
	v_mov_b32_e32 v51, v55
	s_delay_alu instid0(VALU_DEP_4) | instskip(NEXT) | instid1(VALU_DEP_1)
	v_pk_add_f32 v[48:49], v[48:49], v[52:53]
	v_pk_add_f32 v[48:49], v[48:49], v[50:51]
	s_wait_loadcnt 0x0
	s_delay_alu instid0(VALU_DEP_1)
	v_pk_add_f32 v[48:49], v[128:129], v[48:49] neg_lo:[0,1] neg_hi:[0,1]
	scratch_store_b64 off, v[48:49], off offset:16
	s_wait_xcnt 0x0
	v_cmpx_lt_u32_e32 1, v0
	s_cbranch_execz .LBB22_149
; %bb.148:
	scratch_load_b64 v[48:49], off, off offset:8
	v_mov_b64_e32 v[50:51], 0
	scratch_store_b64 off, v[50:51], off offset:8
	s_wait_loadcnt 0x0
	ds_store_b64 v1, v[48:49]
.LBB22_149:
	s_wait_xcnt 0x0
	s_or_b32 exec_lo, exec_lo, s0
	s_wait_storecnt_dscnt 0x0
	s_barrier_signal -1
	s_barrier_wait -1
	s_clause 0xb
	scratch_load_b128 v[50:53], off, off offset:16
	scratch_load_b128 v[54:57], off, off offset:32
	;; [unrolled: 1-line block ×10, first 2 shown]
	scratch_load_b64 v[130:131], off, off offset:176
	scratch_load_b64 v[132:133], off, off offset:8
	v_dual_mov_b32 v48, 0 :: v_dual_ashrrev_i32 v7, 31, v6
	v_dual_ashrrev_i32 v9, 31, v8 :: v_dual_ashrrev_i32 v11, 31, v10
	v_dual_ashrrev_i32 v13, 31, v12 :: v_dual_ashrrev_i32 v15, 31, v14
	ds_load_b128 v[106:109], v48 offset:208
	ds_load_b128 v[110:113], v48 offset:224
	;; [unrolled: 1-line block ×10, first 2 shown]
	ds_load_b64 v[134:135], v48 offset:368
	v_dual_ashrrev_i32 v17, 31, v16 :: v_dual_ashrrev_i32 v19, 31, v18
	v_dual_ashrrev_i32 v21, 31, v20 :: v_dual_ashrrev_i32 v23, 31, v22
	s_mov_b32 s0, exec_lo
	s_wait_dscnt 0x8
	v_dual_mov_b32 v136, v93 :: v_dual_mov_b32 v137, v92
	s_wait_dscnt 0x6
	v_dual_mov_b32 v138, v97 :: v_dual_mov_b32 v139, v96
	;; [unrolled: 2-line block ×4, first 2 shown]
	s_wait_loadcnt 0xb
	v_dual_mul_f32 v25, v106, v51 :: v_dual_mul_f32 v27, v108, v53
	v_dual_mul_f32 v29, v107, v51 :: v_dual_mul_f32 v31, v109, v53
	s_wait_loadcnt 0xa
	v_dual_mul_f32 v33, v110, v55 :: v_dual_mul_f32 v35, v112, v57
	s_delay_alu instid0(VALU_DEP_3) | instskip(NEXT) | instid1(VALU_DEP_3)
	v_dual_fmac_f32 v25, v107, v50 :: v_dual_fmac_f32 v27, v109, v52
	v_dual_fma_f32 v29, v106, v50, -v29 :: v_dual_fma_f32 v31, v108, v52, -v31
	s_wait_loadcnt 0x9
	v_dual_mul_f32 v39, v111, v55 :: v_dual_mul_f32 v43, v116, v61
	s_wait_loadcnt_dscnt 0x803
	v_dual_mul_f32 v55, v119, v63 :: v_dual_add_f32 v25, 0, v25
	v_dual_add_f32 v29, 0, v29 :: v_dual_mul_f32 v37, v114, v59
	s_wait_loadcnt 0x5
	v_dual_mul_f32 v41, v113, v57 :: v_dual_mul_f32 v53, v90, v75
	s_wait_dscnt 0x2
	v_dual_mul_f32 v52, v117, v61 :: v_dual_mul_f32 v61, v123, v67
	v_dual_fmac_f32 v33, v111, v54 :: v_dual_fma_f32 v39, v110, v54, -v39
	v_add_f32_e32 v25, v25, v27
	v_dual_add_f32 v27, v29, v31 :: v_dual_fmac_f32 v37, v115, v58
	v_dual_mul_f32 v50, v115, v59 :: v_dual_mul_f32 v59, v121, v65
	s_delay_alu instid0(VALU_DEP_2) | instskip(SKIP_1) | instid1(VALU_DEP_3)
	v_dual_mul_f32 v29, v125, v69 :: v_dual_add_f32 v27, v27, v39
	v_dual_fmac_f32 v35, v113, v56 :: v_dual_fma_f32 v31, v112, v56, -v41
	v_dual_add_f32 v25, v25, v33 :: v_dual_fma_f32 v39, v114, v58, -v50
	s_wait_dscnt 0x1
	v_mul_f32_e32 v33, v127, v71
	v_dual_mul_f32 v45, v118, v63 :: v_dual_mul_f32 v47, v120, v65
	s_delay_alu instid0(VALU_DEP_3) | instskip(SKIP_2) | instid1(VALU_DEP_3)
	v_dual_add_f32 v25, v25, v35 :: v_dual_fma_f32 v35, v116, v60, -v52
	v_dual_add_f32 v27, v27, v31 :: v_dual_mul_f32 v31, v129, v73
	v_fmac_f32_e32 v43, v117, v60
	v_dual_add_f32 v25, v25, v37 :: v_dual_mul_f32 v37, v91, v75
	s_delay_alu instid0(VALU_DEP_3) | instskip(SKIP_1) | instid1(VALU_DEP_3)
	v_add_f32_e32 v27, v27, v39
	v_dual_fmac_f32 v45, v119, v62 :: v_dual_fma_f32 v39, v118, v62, -v55
	v_add_f32_e32 v25, v25, v43
	v_dual_mul_f32 v49, v122, v67 :: v_dual_mul_f32 v57, v124, v69
	s_delay_alu instid0(VALU_DEP_4) | instskip(SKIP_1) | instid1(VALU_DEP_4)
	v_dual_add_f32 v27, v27, v35 :: v_dual_mov_b32 v52, v77
	v_fmac_f32_e32 v47, v121, v64
	v_dual_fma_f32 v35, v120, v64, -v59 :: v_dual_add_f32 v25, v25, v45
	s_delay_alu instid0(VALU_DEP_4) | instskip(NEXT) | instid1(VALU_DEP_4)
	v_fmac_f32_e32 v49, v123, v66
	v_dual_add_f32 v27, v27, v39 :: v_dual_fma_f32 v39, v122, v66, -v61
	v_dual_mul_f32 v144, v126, v71 :: v_dual_mul_f32 v51, v128, v73
	s_delay_alu instid0(VALU_DEP_4) | instskip(SKIP_1) | instid1(VALU_DEP_3)
	v_add_f32_e32 v25, v25, v47
	s_wait_loadcnt 0x4
	v_dual_add_f32 v27, v27, v35 :: v_dual_mov_b32 v56, v81
	v_fmac_f32_e32 v57, v125, v68
	s_delay_alu instid0(VALU_DEP_3) | instskip(NEXT) | instid1(VALU_DEP_3)
	v_dual_fma_f32 v29, v124, v68, -v29 :: v_dual_add_f32 v25, v25, v49
	v_add_f32_e32 v27, v27, v39
	v_dual_fmac_f32 v144, v127, v70 :: v_dual_fma_f32 v33, v126, v70, -v33
	v_fmac_f32_e32 v51, v129, v72
	s_delay_alu instid0(VALU_DEP_4) | instskip(NEXT) | instid1(VALU_DEP_4)
	v_dual_add_f32 v25, v25, v57 :: v_dual_fma_f32 v50, v128, v72, -v31
	v_add_f32_e32 v27, v27, v29
	v_pk_mul_f32 v[60:61], v[136:137], v[52:53] op_sel_hi:[1,0]
	v_pk_mul_f32 v[54:55], v[94:95], v[78:79] op_sel:[1,1] op_sel_hi:[0,1]
	s_delay_alu instid0(VALU_DEP_4)
	v_add_f32_e32 v63, v25, v144
	s_wait_loadcnt 0x3
	v_dual_mov_b32 v64, v85 :: v_dual_fmac_f32 v53, v91, v74
	v_add_f32_e32 v62, v27, v33
	v_pk_fma_f32 v[66:67], v[92:93], v[76:77], v[60:61] op_sel_hi:[1,0,1]
	v_fma_f32 v52, v90, v74, -v37
	v_pk_fma_f32 v[60:61], v[92:93], v[76:77], v[60:61] neg_lo:[0,0,1] neg_hi:[0,0,1]
	v_pk_mul_f32 v[56:57], v[138:139], v[56:57] op_sel_hi:[1,0]
	v_pk_add_f32 v[50:51], v[62:63], v[50:51]
	v_pk_fma_f32 v[62:63], v[94:95], v[78:79], v[54:55] op_sel_hi:[1,0,1]
	v_mov_b32_e32 v61, v67
	v_pk_fma_f32 v[54:55], v[94:95], v[78:79], v[54:55] neg_lo:[0,0,1] neg_hi:[0,0,1]
	v_pk_mul_f32 v[58:59], v[98:99], v[82:83] op_sel:[1,1] op_sel_hi:[0,1]
	v_pk_add_f32 v[50:51], v[50:51], v[52:53]
	v_mov_b32_e32 v55, v63
	v_pk_fma_f32 v[62:63], v[96:97], v[80:81], v[56:57] op_sel_hi:[1,0,1]
	v_pk_fma_f32 v[56:57], v[96:97], v[80:81], v[56:57] neg_lo:[0,0,1] neg_hi:[0,0,1]
	v_pk_mul_f32 v[64:65], v[140:141], v[64:65] op_sel_hi:[1,0]
	v_pk_add_f32 v[50:51], v[50:51], v[60:61]
	v_pk_fma_f32 v[60:61], v[98:99], v[82:83], v[58:59] op_sel_hi:[1,0,1]
	v_mov_b32_e32 v57, v63
	v_pk_fma_f32 v[58:59], v[98:99], v[82:83], v[58:59] neg_lo:[0,0,1] neg_hi:[0,0,1]
	s_wait_loadcnt 0x2
	v_pk_mul_f32 v[52:53], v[102:103], v[86:87] op_sel:[1,1] op_sel_hi:[0,1]
	v_pk_add_f32 v[50:51], v[50:51], v[54:55]
	v_dual_mov_b32 v54, v89 :: v_dual_mov_b32 v59, v61
	v_pk_fma_f32 v[60:61], v[100:101], v[84:85], v[64:65] op_sel_hi:[1,0,1]
	v_pk_fma_f32 v[62:63], v[100:101], v[84:85], v[64:65] neg_lo:[0,0,1] neg_hi:[0,0,1]
	s_delay_alu instid0(VALU_DEP_4) | instskip(SKIP_3) | instid1(VALU_DEP_4)
	v_pk_add_f32 v[50:51], v[50:51], v[56:57]
	v_pk_fma_f32 v[56:57], v[102:103], v[86:87], v[52:53] op_sel_hi:[1,0,1]
	v_pk_mul_f32 v[54:55], v[142:143], v[54:55] op_sel_hi:[1,0]
	v_dual_mov_b32 v63, v61 :: v_dual_ashrrev_i32 v25, 31, v24
	v_pk_add_f32 v[50:51], v[50:51], v[58:59]
	v_pk_fma_f32 v[52:53], v[102:103], v[86:87], v[52:53] neg_lo:[0,0,1] neg_hi:[0,0,1]
	v_dual_mov_b32 v53, v57 :: v_dual_ashrrev_i32 v27, 31, v26
	v_pk_fma_f32 v[56:57], v[104:105], v[88:89], v[54:55] op_sel_hi:[1,0,1]
	s_delay_alu instid0(VALU_DEP_4)
	v_pk_add_f32 v[50:51], v[50:51], v[62:63]
	s_wait_loadcnt_dscnt 0x100
	v_pk_mul_f32 v[58:59], v[134:135], v[130:131] op_sel:[1,1] op_sel_hi:[0,1]
	v_pk_fma_f32 v[54:55], v[104:105], v[88:89], v[54:55] neg_lo:[0,0,1] neg_hi:[0,0,1]
	v_dual_ashrrev_i32 v29, 31, v28 :: v_dual_mov_b32 v55, v57
	v_pk_add_f32 v[50:51], v[50:51], v[52:53]
	s_delay_alu instid0(VALU_DEP_4)
	v_pk_fma_f32 v[52:53], v[134:135], v[130:131], v[58:59] op_sel_hi:[1,0,1]
	v_pk_fma_f32 v[56:57], v[134:135], v[130:131], v[58:59] neg_lo:[0,0,1] neg_hi:[0,0,1]
	v_dual_ashrrev_i32 v31, 31, v30 :: v_dual_ashrrev_i32 v33, 31, v32
	v_ashrrev_i32_e32 v35, 31, v34
	v_pk_add_f32 v[50:51], v[50:51], v[54:55]
	v_dual_mov_b32 v57, v53 :: v_dual_ashrrev_i32 v37, 31, v36
	v_dual_ashrrev_i32 v39, 31, v38 :: v_dual_ashrrev_i32 v41, 31, v40
	v_ashrrev_i32_e32 v43, 31, v42
	s_delay_alu instid0(VALU_DEP_3) | instskip(SKIP_2) | instid1(VALU_DEP_2)
	v_pk_add_f32 v[50:51], v[50:51], v[56:57]
	v_dual_ashrrev_i32 v45, 31, v44 :: v_dual_ashrrev_i32 v47, 31, v46
	s_wait_loadcnt 0x0
	v_pk_add_f32 v[50:51], v[132:133], v[50:51] neg_lo:[0,1] neg_hi:[0,1]
	scratch_store_b64 off, v[50:51], off offset:8
	s_wait_xcnt 0x0
	v_cmpx_ne_u32_e32 0, v0
	s_cbranch_execz .LBB22_151
; %bb.150:
	scratch_load_b64 v[50:51], off, off
	v_mov_b64_e32 v[52:53], 0
	scratch_store_b64 off, v[52:53], off
	s_wait_loadcnt 0x0
	ds_store_b64 v1, v[50:51]
.LBB22_151:
	s_wait_xcnt 0x0
	s_or_b32 exec_lo, exec_lo, s0
	s_wait_storecnt_dscnt 0x0
	s_barrier_signal -1
	s_barrier_wait -1
	s_clause 0xb
	scratch_load_b128 v[50:53], off, off offset:8
	scratch_load_b128 v[54:57], off, off offset:24
	;; [unrolled: 1-line block ×11, first 2 shown]
	scratch_load_b64 v[0:1], off, off
	ds_load_2addr_b64 v[94:97], v48 offset0:39 offset1:40
	ds_load_2addr_b64 v[98:101], v48 offset0:41 offset1:42
	;; [unrolled: 1-line block ×11, first 2 shown]
	s_and_b32 vcc_lo, exec_lo, s18
	s_wait_dscnt 0xa
	v_dual_mov_b32 v48, v97 :: v_dual_mov_b32 v49, v96
	s_wait_dscnt 0x9
	v_dual_mov_b32 v138, v101 :: v_dual_mov_b32 v139, v100
	;; [unrolled: 2-line block ×4, first 2 shown]
	s_wait_loadcnt_dscnt 0xb06
	v_dual_mul_f32 v144, v110, v51 :: v_dual_mul_f32 v146, v112, v53
	v_dual_mul_f32 v51, v111, v51 :: v_dual_mul_f32 v53, v113, v53
	s_wait_loadcnt_dscnt 0x803
	v_dual_mul_f32 v152, v122, v63 :: v_dual_mul_f32 v153, v124, v65
	v_mul_f32_e32 v63, v123, v63
	s_delay_alu instid0(VALU_DEP_3)
	v_dual_fmac_f32 v144, v111, v50 :: v_dual_fma_f32 v50, v110, v50, -v51
	v_dual_mul_f32 v148, v114, v55 :: v_dual_mul_f32 v149, v116, v57
	v_dual_mul_f32 v55, v115, v55 :: v_dual_mul_f32 v57, v117, v57
	v_mul_f32_e32 v51, v125, v65
	v_dual_fmac_f32 v146, v113, v52 :: v_dual_fma_f32 v52, v112, v52, -v53
	v_dual_add_f32 v53, 0, v144 :: v_dual_add_f32 v50, 0, v50
	s_wait_loadcnt_dscnt 0x702
	v_mul_f32_e32 v65, v127, v67
	v_dual_fmac_f32 v148, v115, v54 :: v_dual_fma_f32 v54, v114, v54, -v55
	s_delay_alu instid0(VALU_DEP_3) | instskip(SKIP_2) | instid1(VALU_DEP_3)
	v_dual_add_f32 v53, v53, v146 :: v_dual_add_f32 v50, v50, v52
	v_dual_mul_f32 v150, v118, v59 :: v_dual_mul_f32 v151, v120, v61
	v_dual_mul_f32 v59, v119, v59 :: v_dual_mul_f32 v61, v121, v61
	v_dual_mul_f32 v55, v129, v69 :: v_dual_add_f32 v50, v50, v54
	v_fmac_f32_e32 v149, v117, v56
	v_fma_f32 v52, v116, v56, -v57
	v_dual_add_f32 v53, v53, v148 :: v_dual_fmac_f32 v150, v119, v58
	s_wait_loadcnt_dscnt 0x601
	v_dual_mul_f32 v56, v131, v71 :: v_dual_fma_f32 v54, v118, v58, -v59
	s_delay_alu instid0(VALU_DEP_3) | instskip(NEXT) | instid1(VALU_DEP_3)
	v_dual_add_f32 v50, v50, v52 :: v_dual_mul_f32 v57, v133, v73
	v_add_f32_e32 v53, v53, v149
	v_dual_fmac_f32 v151, v121, v60 :: v_dual_fma_f32 v52, v120, v60, -v61
	s_wait_loadcnt_dscnt 0x500
	v_mul_f32_e32 v60, v135, v75
	v_fmac_f32_e32 v152, v123, v62
	v_add_f32_e32 v53, v53, v150
	v_add_f32_e32 v50, v50, v54
	v_fma_f32 v54, v122, v62, -v63
	v_dual_mul_f32 v154, v126, v67 :: v_dual_mul_f32 v155, v128, v69
	s_delay_alu instid0(VALU_DEP_3) | instskip(SKIP_2) | instid1(VALU_DEP_3)
	v_dual_add_f32 v53, v53, v151 :: v_dual_add_f32 v50, v50, v52
	v_mul_f32_e32 v62, v137, v77
	v_dual_fmac_f32 v153, v125, v64 :: v_dual_fma_f32 v52, v124, v64, -v51
	v_dual_add_f32 v53, v53, v152 :: v_dual_add_f32 v54, v50, v54
	v_dual_fmac_f32 v154, v127, v66 :: v_dual_fma_f32 v58, v126, v66, -v65
	v_dual_mul_f32 v156, v130, v71 :: v_dual_mul_f32 v157, v132, v73
	s_delay_alu instid0(VALU_DEP_3)
	v_dual_add_f32 v53, v53, v153 :: v_dual_add_f32 v54, v54, v52
	s_wait_loadcnt 0x4
	v_dual_mov_b32 v52, v81 :: v_dual_fma_f32 v59, v128, v68, -v55
	v_dual_fmac_f32 v155, v129, v68 :: v_dual_fma_f32 v61, v130, v70, -v56
	s_wait_loadcnt 0x3
	v_dual_mov_b32 v56, v85 :: v_dual_add_f32 v58, v54, v58
	v_dual_add_f32 v53, v53, v154 :: v_dual_mul_f32 v145, v134, v75
	v_mul_f32_e32 v147, v136, v77
	v_dual_fma_f32 v57, v132, v72, -v57 :: v_dual_fma_f32 v144, v134, v74, -v60
	s_delay_alu instid0(VALU_DEP_4) | instskip(NEXT) | instid1(VALU_DEP_4)
	v_dual_add_f32 v58, v58, v59 :: v_dual_fmac_f32 v156, v131, v70
	v_add_f32_e32 v53, v53, v155
	v_fmac_f32_e32 v157, v133, v72
	v_pk_mul_f32 v[50:51], v[94:95], v[78:79] op_sel:[1,1] op_sel_hi:[0,1]
	s_delay_alu instid0(VALU_DEP_4) | instskip(NEXT) | instid1(VALU_DEP_4)
	v_dual_add_f32 v63, v58, v61 :: v_dual_fmac_f32 v145, v135, v74
	v_add_f32_e32 v53, v53, v156
	v_dual_fmac_f32 v147, v137, v76 :: v_dual_fma_f32 v146, v136, v76, -v62
	s_delay_alu instid0(VALU_DEP_3) | instskip(SKIP_1) | instid1(VALU_DEP_4)
	v_add_f32_e32 v60, v63, v57
	v_pk_fma_f32 v[62:63], v[94:95], v[78:79], v[50:51] op_sel_hi:[1,0,1]
	v_add_f32_e32 v61, v53, v157
	v_pk_mul_f32 v[48:49], v[48:49], v[52:53] op_sel_hi:[1,0]
	v_pk_fma_f32 v[50:51], v[94:95], v[78:79], v[50:51] neg_lo:[0,0,1] neg_hi:[0,0,1]
	v_pk_mul_f32 v[54:55], v[98:99], v[82:83] op_sel:[1,1] op_sel_hi:[0,1]
	v_mov_b32_e32 v51, v63
	v_pk_add_f32 v[52:53], v[60:61], v[144:145]
	s_wait_loadcnt 0x2
	v_mov_b32_e32 v60, v89
	v_pk_fma_f32 v[62:63], v[96:97], v[80:81], v[48:49] op_sel_hi:[1,0,1]
	v_pk_fma_f32 v[48:49], v[96:97], v[80:81], v[48:49] neg_lo:[0,0,1] neg_hi:[0,0,1]
	v_pk_fma_f32 v[64:65], v[98:99], v[82:83], v[54:55] op_sel_hi:[1,0,1]
	v_pk_add_f32 v[52:53], v[52:53], v[146:147]
	v_pk_mul_f32 v[56:57], v[138:139], v[56:57] op_sel_hi:[1,0]
	v_mov_b32_e32 v49, v63
	v_pk_fma_f32 v[54:55], v[98:99], v[82:83], v[54:55] neg_lo:[0,0,1] neg_hi:[0,0,1]
	v_pk_mul_f32 v[58:59], v[102:103], v[86:87] op_sel:[1,1] op_sel_hi:[0,1]
	v_pk_add_f32 v[50:51], v[52:53], v[50:51]
	v_mov_b32_e32 v55, v65
	v_pk_fma_f32 v[62:63], v[100:101], v[84:85], v[56:57] op_sel_hi:[1,0,1]
	v_pk_fma_f32 v[56:57], v[100:101], v[84:85], v[56:57] neg_lo:[0,0,1] neg_hi:[0,0,1]
	v_pk_mul_f32 v[60:61], v[140:141], v[60:61] op_sel_hi:[1,0]
	v_pk_add_f32 v[48:49], v[50:51], v[48:49]
	v_pk_fma_f32 v[50:51], v[102:103], v[86:87], v[58:59] op_sel_hi:[1,0,1]
	s_wait_loadcnt 0x1
	v_dual_mov_b32 v57, v63 :: v_dual_mov_b32 v50, v93
	v_pk_mul_f32 v[52:53], v[106:107], v[90:91] op_sel:[1,1] op_sel_hi:[0,1]
	v_pk_add_f32 v[48:49], v[48:49], v[54:55]
	v_pk_fma_f32 v[54:55], v[102:103], v[86:87], v[58:59] neg_lo:[0,0,1] neg_hi:[0,0,1]
	v_pk_fma_f32 v[58:59], v[104:105], v[88:89], v[60:61] op_sel_hi:[1,0,1]
	v_mov_b32_e32 v55, v51
	v_pk_fma_f32 v[60:61], v[104:105], v[88:89], v[60:61] neg_lo:[0,0,1] neg_hi:[0,0,1]
	v_pk_add_f32 v[48:49], v[48:49], v[56:57]
	v_pk_fma_f32 v[56:57], v[106:107], v[90:91], v[52:53] op_sel_hi:[1,0,1]
	v_pk_mul_f32 v[50:51], v[142:143], v[50:51] op_sel_hi:[1,0]
	v_mov_b32_e32 v61, v59
	v_pk_fma_f32 v[52:53], v[106:107], v[90:91], v[52:53] neg_lo:[0,0,1] neg_hi:[0,0,1]
	v_pk_add_f32 v[48:49], v[48:49], v[54:55]
	s_delay_alu instid0(VALU_DEP_4) | instskip(SKIP_2) | instid1(VALU_DEP_4)
	v_pk_fma_f32 v[54:55], v[108:109], v[92:93], v[50:51] op_sel_hi:[1,0,1]
	v_mov_b32_e32 v53, v57
	v_pk_fma_f32 v[50:51], v[108:109], v[92:93], v[50:51] neg_lo:[0,0,1] neg_hi:[0,0,1]
	v_pk_add_f32 v[48:49], v[48:49], v[60:61]
	s_delay_alu instid0(VALU_DEP_4) | instskip(NEXT) | instid1(VALU_DEP_2)
	v_mov_b32_e32 v51, v55
	v_pk_add_f32 v[48:49], v[48:49], v[52:53]
	s_delay_alu instid0(VALU_DEP_1) | instskip(SKIP_1) | instid1(VALU_DEP_1)
	v_pk_add_f32 v[48:49], v[48:49], v[50:51]
	s_wait_loadcnt 0x0
	v_pk_add_f32 v[0:1], v[0:1], v[48:49] neg_lo:[0,1] neg_hi:[0,1]
	scratch_store_b64 off, v[0:1], off
	s_cbranch_vccz .LBB22_196
; %bb.152:
	s_wait_xcnt 0x0
	v_mov_b32_e32 v0, 0
	global_load_b32 v1, v0, s[2:3] offset:84
	s_wait_loadcnt 0x0
	v_cmp_ne_u32_e32 vcc_lo, 22, v1
	s_cbranch_vccz .LBB22_154
; %bb.153:
	v_lshlrev_b32_e32 v1, 3, v1
	scratch_load_b64 v[48:49], v1, off offset:-8
	scratch_load_b64 v[50:51], off, off offset:168
	s_wait_loadcnt 0x1
	scratch_store_b64 off, v[48:49], off offset:168
	s_wait_loadcnt 0x0
	scratch_store_b64 v1, v[50:51], off offset:-8
.LBB22_154:
	global_load_b32 v0, v0, s[2:3] offset:80
	s_wait_loadcnt 0x0
	v_cmp_eq_u32_e32 vcc_lo, 21, v0
	s_cbranch_vccnz .LBB22_156
; %bb.155:
	s_wait_xcnt 0x0
	v_lshlrev_b32_e32 v0, 3, v0
	s_delay_alu instid0(VALU_DEP_1)
	v_mov_b32_e32 v50, v0
	scratch_load_b64 v[0:1], v50, off offset:-8
	scratch_load_b64 v[48:49], off, off offset:160
	s_wait_loadcnt 0x1
	scratch_store_b64 off, v[0:1], off offset:160
	s_wait_loadcnt 0x0
	scratch_store_b64 v50, v[48:49], off offset:-8
.LBB22_156:
	s_wait_xcnt 0x0
	v_mov_b32_e32 v0, 0
	global_load_b32 v1, v0, s[2:3] offset:76
	s_wait_loadcnt 0x0
	v_cmp_eq_u32_e32 vcc_lo, 20, v1
	s_cbranch_vccnz .LBB22_158
; %bb.157:
	v_lshlrev_b32_e32 v1, 3, v1
	scratch_load_b64 v[48:49], v1, off offset:-8
	scratch_load_b64 v[50:51], off, off offset:152
	s_wait_loadcnt 0x1
	scratch_store_b64 off, v[48:49], off offset:152
	s_wait_loadcnt 0x0
	scratch_store_b64 v1, v[50:51], off offset:-8
.LBB22_158:
	global_load_b32 v0, v0, s[2:3] offset:72
	s_wait_loadcnt 0x0
	v_cmp_eq_u32_e32 vcc_lo, 19, v0
	s_cbranch_vccnz .LBB22_160
; %bb.159:
	s_wait_xcnt 0x0
	v_lshlrev_b32_e32 v0, 3, v0
	s_delay_alu instid0(VALU_DEP_1)
	v_mov_b32_e32 v50, v0
	scratch_load_b64 v[0:1], v50, off offset:-8
	scratch_load_b64 v[48:49], off, off offset:144
	s_wait_loadcnt 0x1
	scratch_store_b64 off, v[0:1], off offset:144
	s_wait_loadcnt 0x0
	scratch_store_b64 v50, v[48:49], off offset:-8
.LBB22_160:
	s_wait_xcnt 0x0
	v_mov_b32_e32 v0, 0
	global_load_b32 v1, v0, s[2:3] offset:68
	s_wait_loadcnt 0x0
	v_cmp_eq_u32_e32 vcc_lo, 18, v1
	s_cbranch_vccnz .LBB22_162
; %bb.161:
	v_lshlrev_b32_e32 v1, 3, v1
	scratch_load_b64 v[48:49], v1, off offset:-8
	scratch_load_b64 v[50:51], off, off offset:136
	s_wait_loadcnt 0x1
	scratch_store_b64 off, v[48:49], off offset:136
	s_wait_loadcnt 0x0
	scratch_store_b64 v1, v[50:51], off offset:-8
.LBB22_162:
	;; [unrolled: 31-line block ×10, first 2 shown]
	global_load_b32 v48, v0, s[2:3]
	scratch_load_b64 v[0:1], off, off
	s_wait_loadcnt 0x1
	v_cmp_eq_u32_e32 vcc_lo, 1, v48
	s_cbranch_vccnz .LBB22_196
; %bb.195:
	v_lshlrev_b32_e32 v48, 3, v48
	s_delay_alu instid0(VALU_DEP_1)
	v_mov_b32_e32 v50, v48
	scratch_load_b64 v[48:49], v50, off offset:-8
	s_wait_loadcnt 0x0
	scratch_store_b64 off, v[48:49], off
	scratch_store_b64 v50, v[0:1], off offset:-8
	scratch_load_b64 v[0:1], off, off
.LBB22_196:
	v_lshl_add_u64 v[48:49], v[6:7], 3, s[4:5]
	v_lshl_add_u64 v[50:51], v[8:9], 3, s[4:5]
	v_lshl_add_u64 v[6:7], v[44:45], 3, s[4:5]
	v_lshl_add_u64 v[8:9], v[46:47], 3, s[4:5]
	s_clause 0xa
	scratch_load_b128 v[44:47], off, off offset:8
	scratch_load_b128 v[52:55], off, off offset:24
	;; [unrolled: 1-line block ×11, first 2 shown]
	v_lshl_add_u64 v[10:11], v[10:11], 3, s[4:5]
	v_lshl_add_u64 v[12:13], v[12:13], 3, s[4:5]
	;; [unrolled: 1-line block ×17, first 2 shown]
	s_wait_loadcnt 0xb
	global_store_b64 v[2:3], v[0:1], off
	s_wait_loadcnt 0xa
	s_clause 0x1
	global_store_b64 v[4:5], v[44:45], off
	global_store_b64 v[48:49], v[46:47], off
	s_wait_loadcnt 0x9
	s_clause 0x1
	global_store_b64 v[50:51], v[52:53], off
	;; [unrolled: 4-line block ×11, first 2 shown]
	global_store_b64 v[8:9], v[90:91], off
	s_sendmsg sendmsg(MSG_DEALLOC_VGPRS)
	s_endpgm
	.section	.rodata,"a",@progbits
	.p2align	6, 0x0
	.amdhsa_kernel _ZN9rocsolver6v33100L18getri_kernel_smallILi23E19rocblas_complex_numIfEPS3_EEvT1_iilPiilS6_bb
		.amdhsa_group_segment_fixed_size 376
		.amdhsa_private_segment_fixed_size 192
		.amdhsa_kernarg_size 60
		.amdhsa_user_sgpr_count 2
		.amdhsa_user_sgpr_dispatch_ptr 0
		.amdhsa_user_sgpr_queue_ptr 0
		.amdhsa_user_sgpr_kernarg_segment_ptr 1
		.amdhsa_user_sgpr_dispatch_id 0
		.amdhsa_user_sgpr_kernarg_preload_length 0
		.amdhsa_user_sgpr_kernarg_preload_offset 0
		.amdhsa_user_sgpr_private_segment_size 0
		.amdhsa_wavefront_size32 1
		.amdhsa_uses_dynamic_stack 0
		.amdhsa_enable_private_segment 1
		.amdhsa_system_sgpr_workgroup_id_x 1
		.amdhsa_system_sgpr_workgroup_id_y 0
		.amdhsa_system_sgpr_workgroup_id_z 0
		.amdhsa_system_sgpr_workgroup_info 0
		.amdhsa_system_vgpr_workitem_id 0
		.amdhsa_next_free_vgpr 158
		.amdhsa_next_free_sgpr 19
		.amdhsa_named_barrier_count 0
		.amdhsa_reserve_vcc 1
		.amdhsa_float_round_mode_32 0
		.amdhsa_float_round_mode_16_64 0
		.amdhsa_float_denorm_mode_32 3
		.amdhsa_float_denorm_mode_16_64 3
		.amdhsa_fp16_overflow 0
		.amdhsa_memory_ordered 1
		.amdhsa_forward_progress 1
		.amdhsa_inst_pref_size 210
		.amdhsa_round_robin_scheduling 0
		.amdhsa_exception_fp_ieee_invalid_op 0
		.amdhsa_exception_fp_denorm_src 0
		.amdhsa_exception_fp_ieee_div_zero 0
		.amdhsa_exception_fp_ieee_overflow 0
		.amdhsa_exception_fp_ieee_underflow 0
		.amdhsa_exception_fp_ieee_inexact 0
		.amdhsa_exception_int_div_zero 0
	.end_amdhsa_kernel
	.section	.text._ZN9rocsolver6v33100L18getri_kernel_smallILi23E19rocblas_complex_numIfEPS3_EEvT1_iilPiilS6_bb,"axG",@progbits,_ZN9rocsolver6v33100L18getri_kernel_smallILi23E19rocblas_complex_numIfEPS3_EEvT1_iilPiilS6_bb,comdat
.Lfunc_end22:
	.size	_ZN9rocsolver6v33100L18getri_kernel_smallILi23E19rocblas_complex_numIfEPS3_EEvT1_iilPiilS6_bb, .Lfunc_end22-_ZN9rocsolver6v33100L18getri_kernel_smallILi23E19rocblas_complex_numIfEPS3_EEvT1_iilPiilS6_bb
                                        ; -- End function
	.set _ZN9rocsolver6v33100L18getri_kernel_smallILi23E19rocblas_complex_numIfEPS3_EEvT1_iilPiilS6_bb.num_vgpr, 158
	.set _ZN9rocsolver6v33100L18getri_kernel_smallILi23E19rocblas_complex_numIfEPS3_EEvT1_iilPiilS6_bb.num_agpr, 0
	.set _ZN9rocsolver6v33100L18getri_kernel_smallILi23E19rocblas_complex_numIfEPS3_EEvT1_iilPiilS6_bb.numbered_sgpr, 19
	.set _ZN9rocsolver6v33100L18getri_kernel_smallILi23E19rocblas_complex_numIfEPS3_EEvT1_iilPiilS6_bb.num_named_barrier, 0
	.set _ZN9rocsolver6v33100L18getri_kernel_smallILi23E19rocblas_complex_numIfEPS3_EEvT1_iilPiilS6_bb.private_seg_size, 192
	.set _ZN9rocsolver6v33100L18getri_kernel_smallILi23E19rocblas_complex_numIfEPS3_EEvT1_iilPiilS6_bb.uses_vcc, 1
	.set _ZN9rocsolver6v33100L18getri_kernel_smallILi23E19rocblas_complex_numIfEPS3_EEvT1_iilPiilS6_bb.uses_flat_scratch, 1
	.set _ZN9rocsolver6v33100L18getri_kernel_smallILi23E19rocblas_complex_numIfEPS3_EEvT1_iilPiilS6_bb.has_dyn_sized_stack, 0
	.set _ZN9rocsolver6v33100L18getri_kernel_smallILi23E19rocblas_complex_numIfEPS3_EEvT1_iilPiilS6_bb.has_recursion, 0
	.set _ZN9rocsolver6v33100L18getri_kernel_smallILi23E19rocblas_complex_numIfEPS3_EEvT1_iilPiilS6_bb.has_indirect_call, 0
	.section	.AMDGPU.csdata,"",@progbits
; Kernel info:
; codeLenInByte = 26816
; TotalNumSgprs: 21
; NumVgprs: 158
; ScratchSize: 192
; MemoryBound: 0
; FloatMode: 240
; IeeeMode: 1
; LDSByteSize: 376 bytes/workgroup (compile time only)
; SGPRBlocks: 0
; VGPRBlocks: 9
; NumSGPRsForWavesPerEU: 21
; NumVGPRsForWavesPerEU: 158
; NamedBarCnt: 0
; Occupancy: 6
; WaveLimiterHint : 1
; COMPUTE_PGM_RSRC2:SCRATCH_EN: 1
; COMPUTE_PGM_RSRC2:USER_SGPR: 2
; COMPUTE_PGM_RSRC2:TRAP_HANDLER: 0
; COMPUTE_PGM_RSRC2:TGID_X_EN: 1
; COMPUTE_PGM_RSRC2:TGID_Y_EN: 0
; COMPUTE_PGM_RSRC2:TGID_Z_EN: 0
; COMPUTE_PGM_RSRC2:TIDIG_COMP_CNT: 0
	.section	.text._ZN9rocsolver6v33100L18getri_kernel_smallILi24E19rocblas_complex_numIfEPS3_EEvT1_iilPiilS6_bb,"axG",@progbits,_ZN9rocsolver6v33100L18getri_kernel_smallILi24E19rocblas_complex_numIfEPS3_EEvT1_iilPiilS6_bb,comdat
	.globl	_ZN9rocsolver6v33100L18getri_kernel_smallILi24E19rocblas_complex_numIfEPS3_EEvT1_iilPiilS6_bb ; -- Begin function _ZN9rocsolver6v33100L18getri_kernel_smallILi24E19rocblas_complex_numIfEPS3_EEvT1_iilPiilS6_bb
	.p2align	8
	.type	_ZN9rocsolver6v33100L18getri_kernel_smallILi24E19rocblas_complex_numIfEPS3_EEvT1_iilPiilS6_bb,@function
_ZN9rocsolver6v33100L18getri_kernel_smallILi24E19rocblas_complex_numIfEPS3_EEvT1_iilPiilS6_bb: ; @_ZN9rocsolver6v33100L18getri_kernel_smallILi24E19rocblas_complex_numIfEPS3_EEvT1_iilPiilS6_bb
; %bb.0:
	s_mov_b32 s2, exec_lo
	v_cmpx_gt_u32_e32 24, v0
	s_cbranch_execz .LBB23_110
; %bb.1:
	s_clause 0x2
	s_load_b32 s2, s[0:1], 0x38
	s_load_b128 s[12:15], s[0:1], 0x10
	s_load_b128 s[4:7], s[0:1], 0x28
	s_getreg_b32 s9, hwreg(HW_REG_IB_STS2, 6, 4)
	s_wait_kmcnt 0x0
	s_bitcmp1_b32 s2, 8
	s_cselect_b32 s18, -1, 0
	s_bfe_u32 s3, ttmp6, 0x4000c
	s_and_b32 s8, ttmp6, 15
	s_add_co_i32 s3, s3, 1
	s_delay_alu instid0(SALU_CYCLE_1) | instskip(NEXT) | instid1(SALU_CYCLE_1)
	s_mul_i32 s3, ttmp9, s3
	s_add_co_i32 s8, s8, s3
	s_cmp_eq_u32 s9, 0
	s_cselect_b32 s16, ttmp9, s8
	s_bfe_u32 s2, s2, 0x10008
	s_ashr_i32 s17, s16, 31
	s_cmp_eq_u32 s2, 0
                                        ; implicit-def: $sgpr2_sgpr3
	s_cbranch_scc1 .LBB23_3
; %bb.2:
	s_load_b32 s2, s[0:1], 0x20
	s_mul_u64 s[4:5], s[4:5], s[16:17]
	s_delay_alu instid0(SALU_CYCLE_1) | instskip(NEXT) | instid1(SALU_CYCLE_1)
	s_lshl_b64 s[4:5], s[4:5], 2
	s_add_nc_u64 s[4:5], s[14:15], s[4:5]
	s_wait_kmcnt 0x0
	s_ashr_i32 s3, s2, 31
	s_delay_alu instid0(SALU_CYCLE_1) | instskip(NEXT) | instid1(SALU_CYCLE_1)
	s_lshl_b64 s[2:3], s[2:3], 2
	s_add_nc_u64 s[2:3], s[4:5], s[2:3]
.LBB23_3:
	s_clause 0x1
	s_load_b128 s[8:11], s[0:1], 0x0
	s_load_b32 s14, s[0:1], 0x38
	s_wait_xcnt 0x0
	s_mul_u64 s[0:1], s[12:13], s[16:17]
	v_mov_b32_e32 v51, 0
	s_lshl_b64 s[0:1], s[0:1], 3
	s_wait_kmcnt 0x0
	v_add3_u32 v4, s11, s11, v0
	s_ashr_i32 s5, s10, 31
	s_mov_b32 s4, s10
	s_add_nc_u64 s[0:1], s[8:9], s[0:1]
	s_lshl_b64 s[4:5], s[4:5], 3
	v_add_nc_u32_e32 v8, s11, v4
	s_add_nc_u64 s[4:5], s[0:1], s[4:5]
	s_ashr_i32 s1, s11, 31
	s_mov_b32 s0, s11
	s_bitcmp0_b32 s14, 0
	v_add_nc_u32_e32 v10, s11, v8
	s_delay_alu instid0(VALU_DEP_1) | instskip(NEXT) | instid1(VALU_DEP_1)
	v_add_nc_u32_e32 v12, s11, v10
	v_add_nc_u32_e32 v14, s11, v12
	s_delay_alu instid0(VALU_DEP_1) | instskip(NEXT) | instid1(VALU_DEP_1)
	v_add_nc_u32_e32 v16, s11, v14
	;; [unrolled: 3-line block ×5, first 2 shown]
	v_add_nc_u32_e32 v30, s11, v28
	s_delay_alu instid0(VALU_DEP_1) | instskip(NEXT) | instid1(VALU_DEP_1)
	v_dual_lshlrev_b32 v50, 3, v0 :: v_dual_add_nc_u32 v32, s11, v30
	v_add_nc_u64_e32 v[2:3], s[4:5], v[50:51]
	s_delay_alu instid0(VALU_DEP_2) | instskip(NEXT) | instid1(VALU_DEP_2)
	v_add_nc_u32_e32 v34, s11, v32
	v_lshl_add_u64 v[6:7], s[0:1], 3, v[2:3]
	s_mov_b32 s1, -1
	s_delay_alu instid0(VALU_DEP_2)
	v_add_nc_u32_e32 v36, s11, v34
	s_clause 0x9
	global_load_b64 v[52:53], v0, s[4:5] scale_offset
	global_load_b64 v[54:55], v[6:7], off
	global_load_b64 v[56:57], v4, s[4:5] scale_offset
	global_load_b64 v[58:59], v8, s[4:5] scale_offset
	;; [unrolled: 1-line block ×8, first 2 shown]
	v_add_nc_u32_e32 v38, s11, v36
	s_clause 0x3
	global_load_b64 v[72:73], v22, s[4:5] scale_offset
	global_load_b64 v[74:75], v24, s[4:5] scale_offset
	;; [unrolled: 1-line block ×4, first 2 shown]
	v_add_nc_u32_e32 v40, s11, v38
	s_clause 0x3
	global_load_b64 v[80:81], v30, s[4:5] scale_offset
	global_load_b64 v[82:83], v32, s[4:5] scale_offset
	;; [unrolled: 1-line block ×4, first 2 shown]
	v_add_nc_u32_e32 v42, s11, v40
	s_delay_alu instid0(VALU_DEP_1) | instskip(NEXT) | instid1(VALU_DEP_1)
	v_add_nc_u32_e32 v44, s11, v42
	v_add_nc_u32_e32 v46, s11, v44
	s_delay_alu instid0(VALU_DEP_1)
	v_add_nc_u32_e32 v48, s11, v46
	s_clause 0x5
	global_load_b64 v[88:89], v38, s[4:5] scale_offset
	global_load_b64 v[90:91], v40, s[4:5] scale_offset
	;; [unrolled: 1-line block ×6, first 2 shown]
	s_wait_loadcnt 0x16
	scratch_store_b128 off, v[52:55], off
	s_wait_loadcnt 0x14
	scratch_store_b128 off, v[56:59], off offset:16
	s_wait_loadcnt 0x12
	scratch_store_b128 off, v[60:63], off offset:32
	;; [unrolled: 2-line block ×11, first 2 shown]
	s_cbranch_scc1 .LBB23_108
; %bb.4:
	v_cmp_eq_u32_e64 s0, 0, v0
	s_wait_xcnt 0x0
	s_and_saveexec_b32 s1, s0
; %bb.5:
	v_mov_b32_e32 v1, 0
	ds_store_b32 v1, v1 offset:384
; %bb.6:
	s_or_b32 exec_lo, exec_lo, s1
	s_wait_storecnt_dscnt 0x0
	s_barrier_signal -1
	s_barrier_wait -1
	scratch_load_b64 v[52:53], v0, off scale_offset
	s_wait_loadcnt 0x0
	v_cmp_eq_f32_e32 vcc_lo, 0, v52
	v_cmp_eq_f32_e64 s1, 0, v53
	s_and_b32 s1, vcc_lo, s1
	s_delay_alu instid0(SALU_CYCLE_1)
	s_and_saveexec_b32 s8, s1
	s_cbranch_execz .LBB23_10
; %bb.7:
	v_mov_b32_e32 v1, 0
	s_mov_b32 s9, 0
	ds_load_b32 v5, v1 offset:384
	s_wait_dscnt 0x0
	v_readfirstlane_b32 s1, v5
	v_add_nc_u32_e32 v5, 1, v0
	s_cmp_eq_u32 s1, 0
	s_delay_alu instid0(VALU_DEP_1) | instskip(SKIP_1) | instid1(SALU_CYCLE_1)
	v_cmp_gt_i32_e32 vcc_lo, s1, v5
	s_cselect_b32 s10, -1, 0
	s_or_b32 s10, s10, vcc_lo
	s_delay_alu instid0(SALU_CYCLE_1)
	s_and_b32 exec_lo, exec_lo, s10
	s_cbranch_execz .LBB23_10
; %bb.8:
	v_mov_b32_e32 v9, s1
.LBB23_9:                               ; =>This Inner Loop Header: Depth=1
	ds_cmpstore_rtn_b32 v9, v1, v5, v9 offset:384
	s_wait_dscnt 0x0
	v_cmp_ne_u32_e32 vcc_lo, 0, v9
	v_cmp_le_i32_e64 s1, v9, v5
	s_and_b32 s1, vcc_lo, s1
	s_delay_alu instid0(SALU_CYCLE_1) | instskip(NEXT) | instid1(SALU_CYCLE_1)
	s_and_b32 s1, exec_lo, s1
	s_or_b32 s9, s1, s9
	s_delay_alu instid0(SALU_CYCLE_1)
	s_and_not1_b32 exec_lo, exec_lo, s9
	s_cbranch_execnz .LBB23_9
.LBB23_10:
	s_or_b32 exec_lo, exec_lo, s8
	v_mov_b32_e32 v1, 0
	s_barrier_signal -1
	s_barrier_wait -1
	ds_load_b32 v5, v1 offset:384
	s_and_saveexec_b32 s1, s0
	s_cbranch_execz .LBB23_12
; %bb.11:
	s_lshl_b64 s[8:9], s[16:17], 2
	s_delay_alu instid0(SALU_CYCLE_1)
	s_add_nc_u64 s[8:9], s[6:7], s[8:9]
	s_wait_dscnt 0x0
	global_store_b32 v1, v5, s[8:9]
.LBB23_12:
	s_wait_xcnt 0x0
	s_or_b32 exec_lo, exec_lo, s1
	s_wait_dscnt 0x0
	v_cmp_ne_u32_e32 vcc_lo, 0, v5
	s_mov_b32 s1, 0
	s_cbranch_vccnz .LBB23_108
; %bb.13:
	v_lshl_add_u32 v5, v0, 3, 0
                                        ; implicit-def: $vgpr55
                                        ; implicit-def: $vgpr56
	scratch_load_b64 v[52:53], v5, off
	s_wait_loadcnt 0x0
	v_cmp_ngt_f32_e64 s1, |v52|, |v53|
	s_wait_xcnt 0x0
	s_and_saveexec_b32 s8, s1
	s_delay_alu instid0(SALU_CYCLE_1)
	s_xor_b32 s1, exec_lo, s8
	s_cbranch_execz .LBB23_15
; %bb.14:
	v_div_scale_f32 v1, null, v53, v53, v52
	v_div_scale_f32 v13, vcc_lo, v52, v53, v52
	s_delay_alu instid0(VALU_DEP_2) | instskip(SKIP_1) | instid1(TRANS32_DEP_1)
	v_rcp_f32_e32 v9, v1
	v_nop
	v_fma_f32 v11, -v1, v9, 1.0
	s_delay_alu instid0(VALU_DEP_1) | instskip(NEXT) | instid1(VALU_DEP_1)
	v_fmac_f32_e32 v9, v11, v9
	v_mul_f32_e32 v11, v13, v9
	s_delay_alu instid0(VALU_DEP_1) | instskip(NEXT) | instid1(VALU_DEP_1)
	v_fma_f32 v15, -v1, v11, v13
	v_fmac_f32_e32 v11, v15, v9
	s_delay_alu instid0(VALU_DEP_1) | instskip(NEXT) | instid1(VALU_DEP_1)
	v_fma_f32 v1, -v1, v11, v13
	v_div_fmas_f32 v1, v1, v9, v11
	s_delay_alu instid0(VALU_DEP_1) | instskip(NEXT) | instid1(VALU_DEP_1)
	v_div_fixup_f32 v1, v1, v53, v52
	v_fmac_f32_e32 v53, v52, v1
	s_delay_alu instid0(VALU_DEP_1) | instskip(NEXT) | instid1(VALU_DEP_1)
	v_div_scale_f32 v9, null, v53, v53, -1.0
	v_rcp_f32_e32 v11, v9
	v_nop
	s_delay_alu instid0(TRANS32_DEP_1) | instskip(NEXT) | instid1(VALU_DEP_1)
	v_fma_f32 v13, -v9, v11, 1.0
	v_fmac_f32_e32 v11, v13, v11
	v_div_scale_f32 v13, vcc_lo, -1.0, v53, -1.0
	s_delay_alu instid0(VALU_DEP_1) | instskip(NEXT) | instid1(VALU_DEP_1)
	v_mul_f32_e32 v15, v13, v11
	v_fma_f32 v17, -v9, v15, v13
	s_delay_alu instid0(VALU_DEP_1) | instskip(NEXT) | instid1(VALU_DEP_1)
	v_fmac_f32_e32 v15, v17, v11
	v_fma_f32 v9, -v9, v15, v13
	s_delay_alu instid0(VALU_DEP_1) | instskip(NEXT) | instid1(VALU_DEP_1)
	v_div_fmas_f32 v9, v9, v11, v15
	v_div_fixup_f32 v55, v9, v53, -1.0
                                        ; implicit-def: $vgpr52_vgpr53
	s_delay_alu instid0(VALU_DEP_1) | instskip(NEXT) | instid1(VALU_DEP_1)
	v_mul_f32_e32 v56, v1, v55
	v_xor_b32_e32 v54, 0x80000000, v56
.LBB23_15:
	s_and_not1_saveexec_b32 s1, s1
	s_cbranch_execz .LBB23_17
; %bb.16:
	v_div_scale_f32 v1, null, v52, v52, v53
	v_div_scale_f32 v13, vcc_lo, v53, v52, v53
	s_delay_alu instid0(VALU_DEP_2) | instskip(SKIP_1) | instid1(TRANS32_DEP_1)
	v_rcp_f32_e32 v9, v1
	v_nop
	v_fma_f32 v11, -v1, v9, 1.0
	s_delay_alu instid0(VALU_DEP_1) | instskip(NEXT) | instid1(VALU_DEP_1)
	v_fmac_f32_e32 v9, v11, v9
	v_mul_f32_e32 v11, v13, v9
	s_delay_alu instid0(VALU_DEP_1) | instskip(NEXT) | instid1(VALU_DEP_1)
	v_fma_f32 v15, -v1, v11, v13
	v_fmac_f32_e32 v11, v15, v9
	s_delay_alu instid0(VALU_DEP_1) | instskip(NEXT) | instid1(VALU_DEP_1)
	v_fma_f32 v1, -v1, v11, v13
	v_div_fmas_f32 v1, v1, v9, v11
	s_delay_alu instid0(VALU_DEP_1) | instskip(NEXT) | instid1(VALU_DEP_1)
	v_div_fixup_f32 v1, v1, v52, v53
	v_fmac_f32_e32 v52, v53, v1
	s_delay_alu instid0(VALU_DEP_1) | instskip(SKIP_1) | instid1(VALU_DEP_2)
	v_div_scale_f32 v9, null, v52, v52, 1.0
	v_div_scale_f32 v15, vcc_lo, 1.0, v52, 1.0
	v_rcp_f32_e32 v11, v9
	v_nop
	s_delay_alu instid0(TRANS32_DEP_1) | instskip(NEXT) | instid1(VALU_DEP_1)
	v_fma_f32 v13, -v9, v11, 1.0
	v_fmac_f32_e32 v11, v13, v11
	s_delay_alu instid0(VALU_DEP_1) | instskip(NEXT) | instid1(VALU_DEP_1)
	v_mul_f32_e32 v13, v15, v11
	v_fma_f32 v17, -v9, v13, v15
	s_delay_alu instid0(VALU_DEP_1) | instskip(NEXT) | instid1(VALU_DEP_1)
	v_fmac_f32_e32 v13, v17, v11
	v_fma_f32 v9, -v9, v13, v15
	s_delay_alu instid0(VALU_DEP_1) | instskip(NEXT) | instid1(VALU_DEP_1)
	v_div_fmas_f32 v9, v9, v11, v13
	v_div_fixup_f32 v54, v9, v52, 1.0
	s_delay_alu instid0(VALU_DEP_1)
	v_xor_b32_e32 v56, 0x80000000, v54
	v_mul_f32_e64 v55, v1, -v54
.LBB23_17:
	s_or_b32 exec_lo, exec_lo, s1
	scratch_store_b64 v5, v[54:55], off
	scratch_load_b64 v[52:53], off, off offset:8
	v_xor_b32_e32 v57, 0x80000000, v55
	v_add_nc_u32_e32 v1, 0xc0, v50
	s_wait_loadcnt 0x0
	ds_store_2addr_b64 v50, v[56:57], v[52:53] offset1:24
	s_wait_storecnt_dscnt 0x0
	s_barrier_signal -1
	s_barrier_wait -1
	s_wait_xcnt 0x0
	s_and_saveexec_b32 s1, s0
	s_cbranch_execz .LBB23_19
; %bb.18:
	scratch_load_b64 v[52:53], v5, off
	ds_load_b64 v[54:55], v1
	s_wait_loadcnt_dscnt 0x0
	v_pk_mul_f32 v[58:59], v[54:55], v[52:53] op_sel:[1,1] op_sel_hi:[0,1]
	s_delay_alu instid0(VALU_DEP_1) | instskip(SKIP_2) | instid1(VALU_DEP_3)
	v_pk_fma_f32 v[60:61], v[54:55], v[52:53], v[58:59] op_sel_hi:[1,0,1]
	v_mov_b32_e32 v9, 0
	v_pk_fma_f32 v[52:53], v[54:55], v[52:53], v[58:59] neg_lo:[0,0,1] neg_hi:[0,0,1]
	v_mov_b32_e32 v53, v61
	ds_load_b64 v[56:57], v9 offset:8
	v_pk_add_f32 v[52:53], v[52:53], 0 op_sel_hi:[1,0]
	s_wait_dscnt 0x0
	s_delay_alu instid0(VALU_DEP_1) | instskip(NEXT) | instid1(VALU_DEP_1)
	v_pk_mul_f32 v[54:55], v[52:53], v[56:57] op_sel:[1,1] op_sel_hi:[0,1]
	v_pk_fma_f32 v[58:59], v[52:53], v[56:57], v[54:55] op_sel_hi:[1,0,1]
	v_pk_fma_f32 v[52:53], v[52:53], v[56:57], v[54:55] neg_lo:[0,0,1] neg_hi:[0,0,1]
	s_delay_alu instid0(VALU_DEP_2)
	v_mov_b32_e32 v53, v59
	scratch_store_b64 off, v[52:53], off offset:8
.LBB23_19:
	s_wait_xcnt 0x0
	s_or_b32 exec_lo, exec_lo, s1
	s_wait_storecnt 0x0
	s_barrier_signal -1
	s_barrier_wait -1
	scratch_load_b64 v[52:53], off, off offset:16
	s_mov_b32 s1, exec_lo
	s_wait_loadcnt 0x0
	ds_store_b64 v1, v[52:53]
	s_wait_dscnt 0x0
	s_barrier_signal -1
	s_barrier_wait -1
	v_cmpx_gt_u32_e32 2, v0
	s_cbranch_execz .LBB23_23
; %bb.20:
	scratch_load_b64 v[52:53], v5, off
	ds_load_b64 v[54:55], v1
	s_wait_loadcnt_dscnt 0x0
	v_pk_mul_f32 v[56:57], v[54:55], v[52:53] op_sel:[1,1] op_sel_hi:[0,1]
	s_delay_alu instid0(VALU_DEP_1) | instskip(SKIP_1) | instid1(VALU_DEP_2)
	v_pk_fma_f32 v[58:59], v[54:55], v[52:53], v[56:57] op_sel_hi:[1,0,1]
	v_pk_fma_f32 v[52:53], v[54:55], v[52:53], v[56:57] neg_lo:[0,0,1] neg_hi:[0,0,1]
	v_mov_b32_e32 v53, v59
	s_delay_alu instid0(VALU_DEP_1)
	v_pk_add_f32 v[52:53], v[52:53], 0 op_sel_hi:[1,0]
	s_and_saveexec_b32 s8, s0
	s_cbranch_execz .LBB23_22
; %bb.21:
	scratch_load_b64 v[54:55], off, off offset:8
	v_mov_b32_e32 v5, 0
	ds_load_b64 v[56:57], v5 offset:200
	s_wait_loadcnt_dscnt 0x0
	v_pk_mul_f32 v[58:59], v[56:57], v[54:55] op_sel:[1,1] op_sel_hi:[0,1]
	s_delay_alu instid0(VALU_DEP_1) | instskip(SKIP_1) | instid1(VALU_DEP_2)
	v_pk_fma_f32 v[60:61], v[56:57], v[54:55], v[58:59] op_sel_hi:[1,0,1]
	v_pk_fma_f32 v[54:55], v[56:57], v[54:55], v[58:59] neg_lo:[0,0,1] neg_hi:[0,0,1]
	v_mov_b32_e32 v55, v61
	s_delay_alu instid0(VALU_DEP_1)
	v_pk_add_f32 v[52:53], v[52:53], v[54:55]
.LBB23_22:
	s_or_b32 exec_lo, exec_lo, s8
	v_mov_b32_e32 v5, 0
	ds_load_b64 v[54:55], v5 offset:16
	s_wait_dscnt 0x0
	v_pk_mul_f32 v[56:57], v[52:53], v[54:55] op_sel:[1,1] op_sel_hi:[0,1]
	s_delay_alu instid0(VALU_DEP_1) | instskip(SKIP_1) | instid1(VALU_DEP_2)
	v_pk_fma_f32 v[58:59], v[52:53], v[54:55], v[56:57] op_sel_hi:[1,0,1]
	v_pk_fma_f32 v[52:53], v[52:53], v[54:55], v[56:57] neg_lo:[0,0,1] neg_hi:[0,0,1]
	v_mov_b32_e32 v53, v59
	scratch_store_b64 off, v[52:53], off offset:16
.LBB23_23:
	s_wait_xcnt 0x0
	s_or_b32 exec_lo, exec_lo, s1
	s_wait_storecnt 0x0
	s_barrier_signal -1
	s_barrier_wait -1
	scratch_load_b64 v[52:53], off, off offset:24
	v_add_nc_u32_e32 v5, -1, v0
	s_mov_b32 s0, exec_lo
	s_wait_loadcnt 0x0
	ds_store_b64 v1, v[52:53]
	s_wait_dscnt 0x0
	s_barrier_signal -1
	s_barrier_wait -1
	v_cmpx_gt_u32_e32 3, v0
	s_cbranch_execz .LBB23_27
; %bb.24:
	v_dual_mov_b32 v52, 0 :: v_dual_add_nc_u32 v9, -1, v0
	v_add_nc_u32_e32 v11, 0xc0, v50
	v_mov_b32_e32 v13, v50
	s_mov_b32 s1, 0
	s_delay_alu instid0(VALU_DEP_3)
	v_mov_b32_e32 v53, v52
.LBB23_25:                              ; =>This Inner Loop Header: Depth=1
	scratch_load_b64 v[54:55], v13, off
	ds_load_b64 v[56:57], v11
	s_wait_xcnt 0x0
	v_dual_add_nc_u32 v11, 8, v11 :: v_dual_add_nc_u32 v13, 8, v13
	s_wait_loadcnt_dscnt 0x0
	v_pk_mul_f32 v[58:59], v[56:57], v[54:55] op_sel:[1,1] op_sel_hi:[0,1]
	s_delay_alu instid0(VALU_DEP_1) | instskip(SKIP_2) | instid1(VALU_DEP_3)
	v_pk_fma_f32 v[60:61], v[56:57], v[54:55], v[58:59] op_sel_hi:[1,0,1]
	v_add_nc_u32_e32 v9, 1, v9
	v_pk_fma_f32 v[54:55], v[56:57], v[54:55], v[58:59] neg_lo:[0,0,1] neg_hi:[0,0,1]
	v_mov_b32_e32 v55, v61
	s_delay_alu instid0(VALU_DEP_3) | instskip(NEXT) | instid1(VALU_DEP_2)
	v_cmp_lt_u32_e32 vcc_lo, 1, v9
	v_pk_add_f32 v[52:53], v[52:53], v[54:55]
	s_or_b32 s1, vcc_lo, s1
	s_delay_alu instid0(SALU_CYCLE_1)
	s_and_not1_b32 exec_lo, exec_lo, s1
	s_cbranch_execnz .LBB23_25
; %bb.26:
	s_or_b32 exec_lo, exec_lo, s1
	v_mov_b32_e32 v9, 0
	ds_load_b64 v[54:55], v9 offset:24
	s_wait_dscnt 0x0
	v_pk_mul_f32 v[56:57], v[52:53], v[54:55] op_sel:[1,1] op_sel_hi:[0,1]
	s_delay_alu instid0(VALU_DEP_1) | instskip(SKIP_1) | instid1(VALU_DEP_2)
	v_pk_fma_f32 v[58:59], v[52:53], v[54:55], v[56:57] op_sel_hi:[1,0,1]
	v_pk_fma_f32 v[52:53], v[52:53], v[54:55], v[56:57] neg_lo:[0,0,1] neg_hi:[0,0,1]
	v_mov_b32_e32 v53, v59
	scratch_store_b64 off, v[52:53], off offset:24
.LBB23_27:
	s_wait_xcnt 0x0
	s_or_b32 exec_lo, exec_lo, s0
	s_wait_storecnt 0x0
	s_barrier_signal -1
	s_barrier_wait -1
	scratch_load_b64 v[52:53], off, off offset:32
	s_mov_b32 s0, exec_lo
	s_wait_loadcnt 0x0
	ds_store_b64 v1, v[52:53]
	s_wait_dscnt 0x0
	s_barrier_signal -1
	s_barrier_wait -1
	v_cmpx_gt_u32_e32 4, v0
	s_cbranch_execz .LBB23_31
; %bb.28:
	v_dual_mov_b32 v52, 0 :: v_dual_add_nc_u32 v9, -1, v0
	v_add_nc_u32_e32 v11, 0xc0, v50
	v_mov_b32_e32 v13, v50
	s_mov_b32 s1, 0
	s_delay_alu instid0(VALU_DEP_3)
	v_mov_b32_e32 v53, v52
.LBB23_29:                              ; =>This Inner Loop Header: Depth=1
	scratch_load_b64 v[54:55], v13, off
	ds_load_b64 v[56:57], v11
	s_wait_xcnt 0x0
	v_dual_add_nc_u32 v11, 8, v11 :: v_dual_add_nc_u32 v13, 8, v13
	s_wait_loadcnt_dscnt 0x0
	v_pk_mul_f32 v[58:59], v[56:57], v[54:55] op_sel:[1,1] op_sel_hi:[0,1]
	s_delay_alu instid0(VALU_DEP_1) | instskip(SKIP_2) | instid1(VALU_DEP_3)
	v_pk_fma_f32 v[60:61], v[56:57], v[54:55], v[58:59] op_sel_hi:[1,0,1]
	v_add_nc_u32_e32 v9, 1, v9
	v_pk_fma_f32 v[54:55], v[56:57], v[54:55], v[58:59] neg_lo:[0,0,1] neg_hi:[0,0,1]
	v_mov_b32_e32 v55, v61
	s_delay_alu instid0(VALU_DEP_3) | instskip(NEXT) | instid1(VALU_DEP_2)
	v_cmp_lt_u32_e32 vcc_lo, 2, v9
	v_pk_add_f32 v[52:53], v[52:53], v[54:55]
	s_or_b32 s1, vcc_lo, s1
	s_delay_alu instid0(SALU_CYCLE_1)
	s_and_not1_b32 exec_lo, exec_lo, s1
	s_cbranch_execnz .LBB23_29
; %bb.30:
	s_or_b32 exec_lo, exec_lo, s1
	v_mov_b32_e32 v9, 0
	ds_load_b64 v[54:55], v9 offset:32
	s_wait_dscnt 0x0
	v_pk_mul_f32 v[56:57], v[52:53], v[54:55] op_sel:[1,1] op_sel_hi:[0,1]
	s_delay_alu instid0(VALU_DEP_1) | instskip(SKIP_1) | instid1(VALU_DEP_2)
	v_pk_fma_f32 v[58:59], v[52:53], v[54:55], v[56:57] op_sel_hi:[1,0,1]
	v_pk_fma_f32 v[52:53], v[52:53], v[54:55], v[56:57] neg_lo:[0,0,1] neg_hi:[0,0,1]
	v_mov_b32_e32 v53, v59
	scratch_store_b64 off, v[52:53], off offset:32
.LBB23_31:
	s_wait_xcnt 0x0
	s_or_b32 exec_lo, exec_lo, s0
	s_wait_storecnt 0x0
	s_barrier_signal -1
	s_barrier_wait -1
	scratch_load_b64 v[52:53], off, off offset:40
	;; [unrolled: 52-line block ×19, first 2 shown]
	s_mov_b32 s0, exec_lo
	s_wait_loadcnt 0x0
	ds_store_b64 v1, v[52:53]
	s_wait_dscnt 0x0
	s_barrier_signal -1
	s_barrier_wait -1
	v_cmpx_gt_u32_e32 22, v0
	s_cbranch_execz .LBB23_103
; %bb.100:
	v_dual_mov_b32 v52, 0 :: v_dual_add_nc_u32 v9, -1, v0
	v_add_nc_u32_e32 v11, 0xc0, v50
	v_mov_b32_e32 v13, v50
	s_mov_b32 s1, 0
	s_delay_alu instid0(VALU_DEP_3)
	v_mov_b32_e32 v53, v52
.LBB23_101:                             ; =>This Inner Loop Header: Depth=1
	scratch_load_b64 v[54:55], v13, off
	ds_load_b64 v[56:57], v11
	s_wait_xcnt 0x0
	v_dual_add_nc_u32 v11, 8, v11 :: v_dual_add_nc_u32 v13, 8, v13
	s_wait_loadcnt_dscnt 0x0
	v_pk_mul_f32 v[58:59], v[56:57], v[54:55] op_sel:[1,1] op_sel_hi:[0,1]
	s_delay_alu instid0(VALU_DEP_1) | instskip(SKIP_2) | instid1(VALU_DEP_3)
	v_pk_fma_f32 v[60:61], v[56:57], v[54:55], v[58:59] op_sel_hi:[1,0,1]
	v_add_nc_u32_e32 v9, 1, v9
	v_pk_fma_f32 v[54:55], v[56:57], v[54:55], v[58:59] neg_lo:[0,0,1] neg_hi:[0,0,1]
	v_mov_b32_e32 v55, v61
	s_delay_alu instid0(VALU_DEP_3) | instskip(NEXT) | instid1(VALU_DEP_2)
	v_cmp_lt_u32_e32 vcc_lo, 20, v9
	v_pk_add_f32 v[52:53], v[52:53], v[54:55]
	s_or_b32 s1, vcc_lo, s1
	s_delay_alu instid0(SALU_CYCLE_1)
	s_and_not1_b32 exec_lo, exec_lo, s1
	s_cbranch_execnz .LBB23_101
; %bb.102:
	s_or_b32 exec_lo, exec_lo, s1
	v_mov_b32_e32 v9, 0
	ds_load_b64 v[54:55], v9 offset:176
	s_wait_dscnt 0x0
	v_pk_mul_f32 v[56:57], v[52:53], v[54:55] op_sel:[1,1] op_sel_hi:[0,1]
	s_delay_alu instid0(VALU_DEP_1) | instskip(SKIP_1) | instid1(VALU_DEP_2)
	v_pk_fma_f32 v[58:59], v[52:53], v[54:55], v[56:57] op_sel_hi:[1,0,1]
	v_pk_fma_f32 v[52:53], v[52:53], v[54:55], v[56:57] neg_lo:[0,0,1] neg_hi:[0,0,1]
	v_mov_b32_e32 v53, v59
	scratch_store_b64 off, v[52:53], off offset:176
.LBB23_103:
	s_wait_xcnt 0x0
	s_or_b32 exec_lo, exec_lo, s0
	s_wait_storecnt 0x0
	s_barrier_signal -1
	s_barrier_wait -1
	scratch_load_b64 v[52:53], off, off offset:184
	s_mov_b32 s0, exec_lo
	s_wait_loadcnt 0x0
	ds_store_b64 v1, v[52:53]
	s_wait_dscnt 0x0
	s_barrier_signal -1
	s_barrier_wait -1
	v_cmpx_ne_u32_e32 23, v0
	s_cbranch_execz .LBB23_107
; %bb.104:
	v_dual_mov_b32 v52, 0 :: v_dual_mov_b32 v9, v50
	s_mov_b32 s1, 0
	s_delay_alu instid0(VALU_DEP_1)
	v_mov_b32_e32 v53, v52
.LBB23_105:                             ; =>This Inner Loop Header: Depth=1
	scratch_load_b64 v[50:51], v9, off
	ds_load_b64 v[54:55], v1
	v_add_nc_u32_e32 v1, 8, v1
	s_wait_xcnt 0x0
	v_add_nc_u32_e32 v9, 8, v9
	s_wait_loadcnt_dscnt 0x0
	v_pk_mul_f32 v[56:57], v[54:55], v[50:51] op_sel:[1,1] op_sel_hi:[0,1]
	s_delay_alu instid0(VALU_DEP_1) | instskip(SKIP_2) | instid1(VALU_DEP_3)
	v_pk_fma_f32 v[58:59], v[54:55], v[50:51], v[56:57] op_sel_hi:[1,0,1]
	v_add_nc_u32_e32 v5, 1, v5
	v_pk_fma_f32 v[50:51], v[54:55], v[50:51], v[56:57] neg_lo:[0,0,1] neg_hi:[0,0,1]
	v_mov_b32_e32 v51, v59
	s_delay_alu instid0(VALU_DEP_3) | instskip(NEXT) | instid1(VALU_DEP_2)
	v_cmp_lt_u32_e32 vcc_lo, 21, v5
	v_pk_add_f32 v[52:53], v[52:53], v[50:51]
	s_or_b32 s1, vcc_lo, s1
	s_delay_alu instid0(SALU_CYCLE_1)
	s_and_not1_b32 exec_lo, exec_lo, s1
	s_cbranch_execnz .LBB23_105
; %bb.106:
	s_or_b32 exec_lo, exec_lo, s1
	v_mov_b32_e32 v1, 0
	ds_load_b64 v[50:51], v1 offset:184
	s_wait_dscnt 0x0
	v_pk_mul_f32 v[54:55], v[52:53], v[50:51] op_sel:[1,1] op_sel_hi:[0,1]
	s_delay_alu instid0(VALU_DEP_1) | instskip(SKIP_1) | instid1(VALU_DEP_2)
	v_pk_fma_f32 v[56:57], v[52:53], v[50:51], v[54:55] op_sel_hi:[1,0,1]
	v_pk_fma_f32 v[50:51], v[52:53], v[50:51], v[54:55] neg_lo:[0,0,1] neg_hi:[0,0,1]
	v_mov_b32_e32 v51, v57
	scratch_store_b64 off, v[50:51], off offset:184
.LBB23_107:
	s_wait_xcnt 0x0
	s_or_b32 exec_lo, exec_lo, s0
	s_mov_b32 s1, -1
	s_wait_storecnt 0x0
	s_barrier_signal -1
	s_barrier_wait -1
.LBB23_108:
	s_and_b32 vcc_lo, exec_lo, s1
	s_cbranch_vccz .LBB23_110
; %bb.109:
	v_mov_b32_e32 v1, 0
	s_lshl_b64 s[0:1], s[16:17], 2
	s_delay_alu instid0(SALU_CYCLE_1)
	s_add_nc_u64 s[0:1], s[6:7], s[0:1]
	global_load_b32 v1, v1, s[0:1]
	s_wait_loadcnt 0x0
	v_cmp_ne_u32_e32 vcc_lo, 0, v1
	s_cbranch_vccz .LBB23_111
.LBB23_110:
	s_sendmsg sendmsg(MSG_DEALLOC_VGPRS)
	s_endpgm
.LBB23_111:
	s_wait_xcnt 0x0
	v_lshl_add_u32 v1, v0, 3, 0xc0
	s_mov_b32 s0, exec_lo
	v_cmpx_eq_u32_e32 23, v0
	s_cbranch_execz .LBB23_113
; %bb.112:
	scratch_load_b64 v[50:51], off, off offset:176
	v_mov_b64_e32 v[52:53], 0
	scratch_store_b64 off, v[52:53], off offset:176
	s_wait_loadcnt 0x0
	ds_store_b64 v1, v[50:51]
.LBB23_113:
	s_wait_xcnt 0x0
	s_or_b32 exec_lo, exec_lo, s0
	s_wait_storecnt_dscnt 0x0
	s_barrier_signal -1
	s_barrier_wait -1
	s_clause 0x1
	scratch_load_b64 v[50:51], off, off offset:184
	scratch_load_b64 v[52:53], off, off offset:176
	v_mov_b32_e32 v5, 0
	s_mov_b32 s0, exec_lo
	ds_load_b64 v[54:55], v5 offset:376
	s_wait_loadcnt_dscnt 0x100
	v_pk_mul_f32 v[56:57], v[54:55], v[50:51] op_sel:[1,1] op_sel_hi:[0,1]
	s_delay_alu instid0(VALU_DEP_1) | instskip(SKIP_1) | instid1(VALU_DEP_2)
	v_pk_fma_f32 v[58:59], v[54:55], v[50:51], v[56:57] op_sel_hi:[1,0,1]
	v_pk_fma_f32 v[50:51], v[54:55], v[50:51], v[56:57] neg_lo:[0,0,1] neg_hi:[0,0,1]
	v_mov_b32_e32 v51, v59
	s_delay_alu instid0(VALU_DEP_1) | instskip(SKIP_1) | instid1(VALU_DEP_1)
	v_pk_add_f32 v[50:51], v[50:51], 0 op_sel_hi:[1,0]
	s_wait_loadcnt 0x0
	v_pk_add_f32 v[50:51], v[52:53], v[50:51] neg_lo:[0,1] neg_hi:[0,1]
	scratch_store_b64 off, v[50:51], off offset:176
	s_wait_xcnt 0x0
	v_cmpx_lt_u32_e32 21, v0
	s_cbranch_execz .LBB23_115
; %bb.114:
	scratch_load_b64 v[50:51], off, off offset:168
	v_mov_b64_e32 v[52:53], 0
	scratch_store_b64 off, v[52:53], off offset:168
	s_wait_loadcnt 0x0
	ds_store_b64 v1, v[50:51]
.LBB23_115:
	s_wait_xcnt 0x0
	s_or_b32 exec_lo, exec_lo, s0
	s_wait_storecnt_dscnt 0x0
	s_barrier_signal -1
	s_barrier_wait -1
	s_clause 0x1
	scratch_load_b128 v[50:53], off, off offset:176
	scratch_load_b64 v[58:59], off, off offset:168
	ds_load_b128 v[54:57], v5 offset:368
	s_mov_b32 s0, exec_lo
	s_wait_dscnt 0x0
	v_dual_mov_b32 v60, v57 :: v_dual_mov_b32 v61, v56
	s_wait_loadcnt 0x1
	v_pk_mul_f32 v[62:63], v[54:55], v[50:51] op_sel:[1,1] op_sel_hi:[0,1]
	s_delay_alu instid0(VALU_DEP_1) | instskip(SKIP_2) | instid1(VALU_DEP_3)
	v_pk_fma_f32 v[66:67], v[54:55], v[50:51], v[62:63] op_sel_hi:[1,0,1]
	v_mov_b32_e32 v64, v53
	v_pk_fma_f32 v[50:51], v[54:55], v[50:51], v[62:63] neg_lo:[0,0,1] neg_hi:[0,0,1]
	v_mov_b32_e32 v51, v67
	s_delay_alu instid0(VALU_DEP_3) | instskip(NEXT) | instid1(VALU_DEP_2)
	v_pk_mul_f32 v[60:61], v[60:61], v[64:65] op_sel_hi:[1,0]
	v_pk_add_f32 v[50:51], v[50:51], 0 op_sel_hi:[1,0]
	s_delay_alu instid0(VALU_DEP_2) | instskip(SKIP_1) | instid1(VALU_DEP_2)
	v_pk_fma_f32 v[54:55], v[56:57], v[52:53], v[60:61] op_sel_hi:[1,0,1]
	v_pk_fma_f32 v[52:53], v[56:57], v[52:53], v[60:61] neg_lo:[0,0,1] neg_hi:[0,0,1]
	v_mov_b32_e32 v53, v55
	s_delay_alu instid0(VALU_DEP_1) | instskip(SKIP_1) | instid1(VALU_DEP_1)
	v_pk_add_f32 v[50:51], v[50:51], v[52:53]
	s_wait_loadcnt 0x0
	v_pk_add_f32 v[50:51], v[58:59], v[50:51] neg_lo:[0,1] neg_hi:[0,1]
	scratch_store_b64 off, v[50:51], off offset:168
	s_wait_xcnt 0x0
	v_cmpx_lt_u32_e32 20, v0
	s_cbranch_execz .LBB23_117
; %bb.116:
	scratch_load_b64 v[50:51], off, off offset:160
	v_mov_b64_e32 v[52:53], 0
	scratch_store_b64 off, v[52:53], off offset:160
	s_wait_loadcnt 0x0
	ds_store_b64 v1, v[50:51]
.LBB23_117:
	s_wait_xcnt 0x0
	s_or_b32 exec_lo, exec_lo, s0
	s_wait_storecnt_dscnt 0x0
	s_barrier_signal -1
	s_barrier_wait -1
	s_clause 0x2
	scratch_load_b128 v[50:53], off, off offset:168
	scratch_load_b64 v[58:59], off, off offset:184
	scratch_load_b64 v[60:61], off, off offset:160
	v_mov_b32_e32 v5, 0
	ds_load_2addr_b64 v[54:57], v5 offset0:45 offset1:46
	ds_load_b64 v[62:63], v5 offset:376
	s_mov_b32 s0, exec_lo
	s_wait_dscnt 0x1
	v_dual_mov_b32 v64, v57 :: v_dual_mov_b32 v65, v56
	s_wait_loadcnt 0x2
	v_mov_b32_e32 v68, v53
	v_pk_mul_f32 v[66:67], v[54:55], v[50:51] op_sel:[1,1] op_sel_hi:[0,1]
	s_delay_alu instid0(VALU_DEP_2) | instskip(NEXT) | instid1(VALU_DEP_2)
	v_pk_mul_f32 v[64:65], v[64:65], v[68:69] op_sel_hi:[1,0]
	v_pk_fma_f32 v[70:71], v[54:55], v[50:51], v[66:67] op_sel_hi:[1,0,1]
	v_pk_fma_f32 v[50:51], v[54:55], v[50:51], v[66:67] neg_lo:[0,0,1] neg_hi:[0,0,1]
	s_wait_loadcnt_dscnt 0x100
	v_pk_mul_f32 v[66:67], v[62:63], v[58:59] op_sel:[1,1] op_sel_hi:[0,1]
	v_pk_fma_f32 v[54:55], v[56:57], v[52:53], v[64:65] op_sel_hi:[1,0,1]
	v_mov_b32_e32 v51, v71
	v_pk_fma_f32 v[52:53], v[56:57], v[52:53], v[64:65] neg_lo:[0,0,1] neg_hi:[0,0,1]
	s_delay_alu instid0(VALU_DEP_4) | instskip(NEXT) | instid1(VALU_DEP_4)
	v_pk_fma_f32 v[56:57], v[62:63], v[58:59], v[66:67] neg_lo:[0,0,1] neg_hi:[0,0,1]
	v_mov_b32_e32 v53, v55
	s_delay_alu instid0(VALU_DEP_4) | instskip(SKIP_1) | instid1(VALU_DEP_2)
	v_pk_add_f32 v[50:51], v[50:51], 0 op_sel_hi:[1,0]
	v_pk_fma_f32 v[54:55], v[62:63], v[58:59], v[66:67] op_sel_hi:[1,0,1]
	v_pk_add_f32 v[50:51], v[50:51], v[52:53]
	s_delay_alu instid0(VALU_DEP_2) | instskip(NEXT) | instid1(VALU_DEP_1)
	v_mov_b32_e32 v57, v55
	v_pk_add_f32 v[50:51], v[50:51], v[56:57]
	s_wait_loadcnt 0x0
	s_delay_alu instid0(VALU_DEP_1)
	v_pk_add_f32 v[50:51], v[60:61], v[50:51] neg_lo:[0,1] neg_hi:[0,1]
	scratch_store_b64 off, v[50:51], off offset:160
	s_wait_xcnt 0x0
	v_cmpx_lt_u32_e32 19, v0
	s_cbranch_execz .LBB23_119
; %bb.118:
	scratch_load_b64 v[50:51], off, off offset:152
	v_mov_b64_e32 v[52:53], 0
	scratch_store_b64 off, v[52:53], off offset:152
	s_wait_loadcnt 0x0
	ds_store_b64 v1, v[50:51]
.LBB23_119:
	s_wait_xcnt 0x0
	s_or_b32 exec_lo, exec_lo, s0
	s_wait_storecnt_dscnt 0x0
	s_barrier_signal -1
	s_barrier_wait -1
	s_clause 0x2
	scratch_load_b128 v[50:53], off, off offset:160
	scratch_load_b128 v[54:57], off, off offset:176
	scratch_load_b64 v[66:67], off, off offset:152
	ds_load_b128 v[58:61], v5 offset:352
	ds_load_b128 v[62:65], v5 offset:368
	s_mov_b32 s0, exec_lo
	s_wait_dscnt 0x1
	v_dual_mov_b32 v68, v61 :: v_dual_mov_b32 v69, v60
	s_wait_loadcnt_dscnt 0x200
	v_dual_mov_b32 v74, v65 :: v_dual_mov_b32 v72, v53
	v_pk_mul_f32 v[70:71], v[58:59], v[50:51] op_sel:[1,1] op_sel_hi:[0,1]
	s_delay_alu instid0(VALU_DEP_2) | instskip(NEXT) | instid1(VALU_DEP_2)
	v_pk_mul_f32 v[68:69], v[68:69], v[72:73] op_sel_hi:[1,0]
	v_pk_fma_f32 v[76:77], v[58:59], v[50:51], v[70:71] op_sel_hi:[1,0,1]
	v_pk_fma_f32 v[50:51], v[58:59], v[50:51], v[70:71] neg_lo:[0,0,1] neg_hi:[0,0,1]
	v_mov_b32_e32 v75, v64
	s_wait_loadcnt 0x1
	v_pk_mul_f32 v[72:73], v[62:63], v[54:55] op_sel:[1,1] op_sel_hi:[0,1]
	v_pk_fma_f32 v[58:59], v[60:61], v[52:53], v[68:69] op_sel_hi:[1,0,1]
	v_dual_mov_b32 v51, v77 :: v_dual_mov_b32 v58, v57
	v_pk_fma_f32 v[52:53], v[60:61], v[52:53], v[68:69] neg_lo:[0,0,1] neg_hi:[0,0,1]
	s_delay_alu instid0(VALU_DEP_4) | instskip(NEXT) | instid1(VALU_DEP_4)
	v_pk_fma_f32 v[70:71], v[62:63], v[54:55], v[72:73] op_sel_hi:[1,0,1]
	v_mov_b32_e32 v53, v59
	s_delay_alu instid0(VALU_DEP_4) | instskip(SKIP_2) | instid1(VALU_DEP_3)
	v_pk_add_f32 v[50:51], v[50:51], 0 op_sel_hi:[1,0]
	v_pk_mul_f32 v[58:59], v[74:75], v[58:59] op_sel_hi:[1,0]
	v_pk_fma_f32 v[54:55], v[62:63], v[54:55], v[72:73] neg_lo:[0,0,1] neg_hi:[0,0,1]
	v_pk_add_f32 v[50:51], v[50:51], v[52:53]
	s_delay_alu instid0(VALU_DEP_3) | instskip(SKIP_2) | instid1(VALU_DEP_3)
	v_pk_fma_f32 v[52:53], v[64:65], v[56:57], v[58:59] op_sel_hi:[1,0,1]
	v_mov_b32_e32 v55, v71
	v_pk_fma_f32 v[56:57], v[64:65], v[56:57], v[58:59] neg_lo:[0,0,1] neg_hi:[0,0,1]
	v_mov_b32_e32 v57, v53
	s_delay_alu instid0(VALU_DEP_3) | instskip(NEXT) | instid1(VALU_DEP_1)
	v_pk_add_f32 v[50:51], v[50:51], v[54:55]
	v_pk_add_f32 v[50:51], v[50:51], v[56:57]
	s_wait_loadcnt 0x0
	s_delay_alu instid0(VALU_DEP_1)
	v_pk_add_f32 v[50:51], v[66:67], v[50:51] neg_lo:[0,1] neg_hi:[0,1]
	scratch_store_b64 off, v[50:51], off offset:152
	s_wait_xcnt 0x0
	v_cmpx_lt_u32_e32 18, v0
	s_cbranch_execz .LBB23_121
; %bb.120:
	scratch_load_b64 v[50:51], off, off offset:144
	v_mov_b64_e32 v[52:53], 0
	scratch_store_b64 off, v[52:53], off offset:144
	s_wait_loadcnt 0x0
	ds_store_b64 v1, v[50:51]
.LBB23_121:
	s_wait_xcnt 0x0
	s_or_b32 exec_lo, exec_lo, s0
	s_wait_storecnt_dscnt 0x0
	s_barrier_signal -1
	s_barrier_wait -1
	s_clause 0x3
	scratch_load_b128 v[50:53], off, off offset:152
	scratch_load_b128 v[54:57], off, off offset:168
	scratch_load_b64 v[66:67], off, off offset:184
	scratch_load_b64 v[68:69], off, off offset:144
	v_mov_b32_e32 v5, 0
	ds_load_2addr_b64 v[58:61], v5 offset0:43 offset1:44
	ds_load_2addr_b64 v[62:65], v5 offset0:45 offset1:46
	s_mov_b32 s0, exec_lo
	s_wait_dscnt 0x1
	v_dual_mov_b32 v70, v61 :: v_dual_mov_b32 v71, v60
	ds_load_b64 v[76:77], v5 offset:376
	s_wait_dscnt 0x1
	v_dual_mov_b32 v78, v65 :: v_dual_mov_b32 v79, v64
	s_wait_loadcnt 0x3
	v_pk_mul_f32 v[72:73], v[58:59], v[50:51] op_sel:[1,1] op_sel_hi:[0,1]
	v_mov_b32_e32 v74, v53
	s_delay_alu instid0(VALU_DEP_2) | instskip(NEXT) | instid1(VALU_DEP_2)
	v_pk_fma_f32 v[80:81], v[58:59], v[50:51], v[72:73] op_sel_hi:[1,0,1]
	v_pk_mul_f32 v[70:71], v[70:71], v[74:75] op_sel_hi:[1,0]
	v_pk_fma_f32 v[50:51], v[58:59], v[50:51], v[72:73] neg_lo:[0,0,1] neg_hi:[0,0,1]
	s_wait_loadcnt 0x2
	v_pk_mul_f32 v[74:75], v[62:63], v[54:55] op_sel:[1,1] op_sel_hi:[0,1]
	v_dual_mov_b32 v80, v57 :: v_dual_mov_b32 v51, v81
	v_pk_fma_f32 v[58:59], v[60:61], v[52:53], v[70:71] op_sel_hi:[1,0,1]
	v_pk_fma_f32 v[52:53], v[60:61], v[52:53], v[70:71] neg_lo:[0,0,1] neg_hi:[0,0,1]
	s_delay_alu instid0(VALU_DEP_4) | instskip(NEXT) | instid1(VALU_DEP_4)
	v_pk_fma_f32 v[72:73], v[62:63], v[54:55], v[74:75] op_sel_hi:[1,0,1]
	v_pk_mul_f32 v[78:79], v[78:79], v[80:81] op_sel_hi:[1,0]
	v_pk_add_f32 v[50:51], v[50:51], 0 op_sel_hi:[1,0]
	v_mov_b32_e32 v53, v59
	v_pk_fma_f32 v[54:55], v[62:63], v[54:55], v[74:75] neg_lo:[0,0,1] neg_hi:[0,0,1]
	v_mov_b32_e32 v55, v73
	v_pk_fma_f32 v[58:59], v[64:65], v[56:57], v[78:79] op_sel_hi:[1,0,1]
	v_pk_fma_f32 v[56:57], v[64:65], v[56:57], v[78:79] neg_lo:[0,0,1] neg_hi:[0,0,1]
	v_pk_add_f32 v[50:51], v[50:51], v[52:53]
	s_wait_loadcnt_dscnt 0x100
	v_pk_mul_f32 v[52:53], v[76:77], v[66:67] op_sel:[1,1] op_sel_hi:[0,1]
	s_delay_alu instid0(VALU_DEP_2) | instskip(NEXT) | instid1(VALU_DEP_2)
	v_pk_add_f32 v[50:51], v[50:51], v[54:55]
	v_pk_fma_f32 v[54:55], v[76:77], v[66:67], v[52:53] op_sel_hi:[1,0,1]
	v_mov_b32_e32 v57, v59
	v_pk_fma_f32 v[52:53], v[76:77], v[66:67], v[52:53] neg_lo:[0,0,1] neg_hi:[0,0,1]
	s_delay_alu instid0(VALU_DEP_3) | instskip(NEXT) | instid1(VALU_DEP_3)
	v_mov_b32_e32 v53, v55
	v_pk_add_f32 v[50:51], v[50:51], v[56:57]
	s_delay_alu instid0(VALU_DEP_1) | instskip(SKIP_1) | instid1(VALU_DEP_1)
	v_pk_add_f32 v[50:51], v[50:51], v[52:53]
	s_wait_loadcnt 0x0
	v_pk_add_f32 v[50:51], v[68:69], v[50:51] neg_lo:[0,1] neg_hi:[0,1]
	scratch_store_b64 off, v[50:51], off offset:144
	s_wait_xcnt 0x0
	v_cmpx_lt_u32_e32 17, v0
	s_cbranch_execz .LBB23_123
; %bb.122:
	scratch_load_b64 v[50:51], off, off offset:136
	v_mov_b64_e32 v[52:53], 0
	scratch_store_b64 off, v[52:53], off offset:136
	s_wait_loadcnt 0x0
	ds_store_b64 v1, v[50:51]
.LBB23_123:
	s_wait_xcnt 0x0
	s_or_b32 exec_lo, exec_lo, s0
	s_wait_storecnt_dscnt 0x0
	s_barrier_signal -1
	s_barrier_wait -1
	s_clause 0x3
	scratch_load_b128 v[50:53], off, off offset:144
	scratch_load_b128 v[54:57], off, off offset:160
	;; [unrolled: 1-line block ×3, first 2 shown]
	scratch_load_b64 v[74:75], off, off offset:136
	ds_load_b128 v[62:65], v5 offset:336
	ds_load_b128 v[66:69], v5 offset:352
	;; [unrolled: 1-line block ×3, first 2 shown]
	s_mov_b32 s0, exec_lo
	s_wait_dscnt 0x2
	v_dual_mov_b32 v76, v65 :: v_dual_mov_b32 v77, v64
	s_wait_dscnt 0x1
	v_dual_mov_b32 v78, v69 :: v_dual_mov_b32 v79, v68
	;; [unrolled: 2-line block ×3, first 2 shown]
	s_wait_loadcnt 0x3
	v_pk_mul_f32 v[80:81], v[62:63], v[50:51] op_sel:[1,1] op_sel_hi:[0,1]
	v_mov_b32_e32 v82, v53
	s_delay_alu instid0(VALU_DEP_2) | instskip(NEXT) | instid1(VALU_DEP_2)
	v_pk_fma_f32 v[86:87], v[62:63], v[50:51], v[80:81] op_sel_hi:[1,0,1]
	v_pk_mul_f32 v[76:77], v[76:77], v[82:83] op_sel_hi:[1,0]
	v_pk_fma_f32 v[50:51], v[62:63], v[50:51], v[80:81] neg_lo:[0,0,1] neg_hi:[0,0,1]
	s_wait_loadcnt 0x2
	v_pk_mul_f32 v[82:83], v[66:67], v[54:55] op_sel:[1,1] op_sel_hi:[0,1]
	v_mov_b32_e32 v86, v57
	v_pk_fma_f32 v[62:63], v[64:65], v[52:53], v[76:77] op_sel_hi:[1,0,1]
	v_mov_b32_e32 v51, v87
	v_pk_fma_f32 v[52:53], v[64:65], v[52:53], v[76:77] neg_lo:[0,0,1] neg_hi:[0,0,1]
	v_pk_fma_f32 v[80:81], v[66:67], v[54:55], v[82:83] op_sel_hi:[1,0,1]
	v_pk_mul_f32 v[78:79], v[78:79], v[86:87] op_sel_hi:[1,0]
	v_mov_b32_e32 v53, v63
	v_pk_add_f32 v[50:51], v[50:51], 0 op_sel_hi:[1,0]
	v_pk_fma_f32 v[54:55], v[66:67], v[54:55], v[82:83] neg_lo:[0,0,1] neg_hi:[0,0,1]
	s_wait_loadcnt 0x1
	v_pk_mul_f32 v[62:63], v[70:71], v[58:59] op_sel:[1,1] op_sel_hi:[0,1]
	v_mov_b32_e32 v55, v81
	v_pk_fma_f32 v[64:65], v[68:69], v[56:57], v[78:79] op_sel_hi:[1,0,1]
	v_pk_add_f32 v[50:51], v[50:51], v[52:53]
	v_mov_b32_e32 v52, v61
	v_pk_fma_f32 v[56:57], v[68:69], v[56:57], v[78:79] neg_lo:[0,0,1] neg_hi:[0,0,1]
	v_pk_fma_f32 v[66:67], v[70:71], v[58:59], v[62:63] op_sel_hi:[1,0,1]
	v_mov_b32_e32 v57, v65
	v_pk_add_f32 v[50:51], v[50:51], v[54:55]
	v_pk_mul_f32 v[52:53], v[84:85], v[52:53] op_sel_hi:[1,0]
	v_pk_fma_f32 v[54:55], v[70:71], v[58:59], v[62:63] neg_lo:[0,0,1] neg_hi:[0,0,1]
	v_mov_b32_e32 v55, v67
	s_delay_alu instid0(VALU_DEP_4) | instskip(NEXT) | instid1(VALU_DEP_4)
	v_pk_add_f32 v[50:51], v[50:51], v[56:57]
	v_pk_fma_f32 v[56:57], v[72:73], v[60:61], v[52:53] op_sel_hi:[1,0,1]
	v_pk_fma_f32 v[52:53], v[72:73], v[60:61], v[52:53] neg_lo:[0,0,1] neg_hi:[0,0,1]
	s_delay_alu instid0(VALU_DEP_3) | instskip(NEXT) | instid1(VALU_DEP_3)
	v_pk_add_f32 v[50:51], v[50:51], v[54:55]
	v_mov_b32_e32 v53, v57
	s_delay_alu instid0(VALU_DEP_1) | instskip(SKIP_1) | instid1(VALU_DEP_1)
	v_pk_add_f32 v[50:51], v[50:51], v[52:53]
	s_wait_loadcnt 0x0
	v_pk_add_f32 v[50:51], v[74:75], v[50:51] neg_lo:[0,1] neg_hi:[0,1]
	scratch_store_b64 off, v[50:51], off offset:136
	s_wait_xcnt 0x0
	v_cmpx_lt_u32_e32 16, v0
	s_cbranch_execz .LBB23_125
; %bb.124:
	scratch_load_b64 v[50:51], off, off offset:128
	v_mov_b64_e32 v[52:53], 0
	scratch_store_b64 off, v[52:53], off offset:128
	s_wait_loadcnt 0x0
	ds_store_b64 v1, v[50:51]
.LBB23_125:
	s_wait_xcnt 0x0
	s_or_b32 exec_lo, exec_lo, s0
	s_wait_storecnt_dscnt 0x0
	s_barrier_signal -1
	s_barrier_wait -1
	s_clause 0x4
	scratch_load_b128 v[50:53], off, off offset:136
	scratch_load_b128 v[54:57], off, off offset:152
	;; [unrolled: 1-line block ×3, first 2 shown]
	scratch_load_b64 v[74:75], off, off offset:184
	scratch_load_b64 v[76:77], off, off offset:128
	v_mov_b32_e32 v5, 0
	ds_load_2addr_b64 v[62:65], v5 offset0:41 offset1:42
	ds_load_2addr_b64 v[66:69], v5 offset0:43 offset1:44
	;; [unrolled: 1-line block ×3, first 2 shown]
	ds_load_b64 v[78:79], v5 offset:376
	s_mov_b32 s0, exec_lo
	s_wait_dscnt 0x3
	v_dual_mov_b32 v80, v65 :: v_dual_mov_b32 v81, v64
	s_wait_dscnt 0x2
	v_dual_mov_b32 v82, v69 :: v_dual_mov_b32 v83, v68
	;; [unrolled: 2-line block ×3, first 2 shown]
	s_wait_loadcnt 0x4
	v_pk_mul_f32 v[84:85], v[62:63], v[50:51] op_sel:[1,1] op_sel_hi:[0,1]
	v_mov_b32_e32 v86, v53
	s_wait_loadcnt 0x3
	v_pk_mul_f32 v[90:91], v[66:67], v[54:55] op_sel:[1,1] op_sel_hi:[0,1]
	s_wait_loadcnt 0x2
	v_pk_mul_f32 v[94:95], v[70:71], v[58:59] op_sel:[1,1] op_sel_hi:[0,1]
	v_pk_fma_f32 v[92:93], v[62:63], v[50:51], v[84:85] op_sel_hi:[1,0,1]
	v_pk_mul_f32 v[80:81], v[80:81], v[86:87] op_sel_hi:[1,0]
	v_pk_fma_f32 v[50:51], v[62:63], v[50:51], v[84:85] neg_lo:[0,0,1] neg_hi:[0,0,1]
	v_mov_b32_e32 v86, v57
	v_pk_fma_f32 v[84:85], v[66:67], v[54:55], v[90:91] op_sel_hi:[1,0,1]
	v_mov_b32_e32 v51, v93
	v_pk_fma_f32 v[62:63], v[64:65], v[52:53], v[80:81] op_sel_hi:[1,0,1]
	v_pk_fma_f32 v[52:53], v[64:65], v[52:53], v[80:81] neg_lo:[0,0,1] neg_hi:[0,0,1]
	v_pk_mul_f32 v[82:83], v[82:83], v[86:87] op_sel_hi:[1,0]
	v_pk_fma_f32 v[54:55], v[66:67], v[54:55], v[90:91] neg_lo:[0,0,1] neg_hi:[0,0,1]
	v_pk_add_f32 v[50:51], v[50:51], 0 op_sel_hi:[1,0]
	v_dual_mov_b32 v53, v63 :: v_dual_mov_b32 v62, v61
	s_delay_alu instid0(VALU_DEP_4) | instskip(SKIP_2) | instid1(VALU_DEP_4)
	v_pk_fma_f32 v[64:65], v[68:69], v[56:57], v[82:83] op_sel_hi:[1,0,1]
	v_mov_b32_e32 v55, v85
	v_pk_fma_f32 v[56:57], v[68:69], v[56:57], v[82:83] neg_lo:[0,0,1] neg_hi:[0,0,1]
	v_pk_add_f32 v[50:51], v[50:51], v[52:53]
	v_pk_fma_f32 v[52:53], v[70:71], v[58:59], v[94:95] op_sel_hi:[1,0,1]
	v_pk_mul_f32 v[62:63], v[88:89], v[62:63] op_sel_hi:[1,0]
	v_mov_b32_e32 v57, v65
	s_delay_alu instid0(VALU_DEP_4)
	v_pk_add_f32 v[50:51], v[50:51], v[54:55]
	v_pk_fma_f32 v[54:55], v[70:71], v[58:59], v[94:95] neg_lo:[0,0,1] neg_hi:[0,0,1]
	v_mov_b32_e32 v55, v53
	v_pk_fma_f32 v[52:53], v[72:73], v[60:61], v[62:63] op_sel_hi:[1,0,1]
	v_pk_fma_f32 v[58:59], v[72:73], v[60:61], v[62:63] neg_lo:[0,0,1] neg_hi:[0,0,1]
	v_pk_add_f32 v[50:51], v[50:51], v[56:57]
	s_wait_loadcnt_dscnt 0x100
	v_pk_mul_f32 v[56:57], v[78:79], v[74:75] op_sel:[1,1] op_sel_hi:[0,1]
	v_mov_b32_e32 v59, v53
	s_delay_alu instid0(VALU_DEP_3) | instskip(NEXT) | instid1(VALU_DEP_3)
	v_pk_add_f32 v[50:51], v[50:51], v[54:55]
	v_pk_fma_f32 v[52:53], v[78:79], v[74:75], v[56:57] op_sel_hi:[1,0,1]
	v_pk_fma_f32 v[54:55], v[78:79], v[74:75], v[56:57] neg_lo:[0,0,1] neg_hi:[0,0,1]
	s_delay_alu instid0(VALU_DEP_3) | instskip(NEXT) | instid1(VALU_DEP_3)
	v_pk_add_f32 v[50:51], v[50:51], v[58:59]
	v_mov_b32_e32 v55, v53
	s_delay_alu instid0(VALU_DEP_1) | instskip(SKIP_1) | instid1(VALU_DEP_1)
	v_pk_add_f32 v[50:51], v[50:51], v[54:55]
	s_wait_loadcnt 0x0
	v_pk_add_f32 v[50:51], v[76:77], v[50:51] neg_lo:[0,1] neg_hi:[0,1]
	scratch_store_b64 off, v[50:51], off offset:128
	s_wait_xcnt 0x0
	v_cmpx_lt_u32_e32 15, v0
	s_cbranch_execz .LBB23_127
; %bb.126:
	scratch_load_b64 v[50:51], off, off offset:120
	v_mov_b64_e32 v[52:53], 0
	scratch_store_b64 off, v[52:53], off offset:120
	s_wait_loadcnt 0x0
	ds_store_b64 v1, v[50:51]
.LBB23_127:
	s_wait_xcnt 0x0
	s_or_b32 exec_lo, exec_lo, s0
	s_wait_storecnt_dscnt 0x0
	s_barrier_signal -1
	s_barrier_wait -1
	s_clause 0x4
	scratch_load_b128 v[50:53], off, off offset:128
	scratch_load_b128 v[54:57], off, off offset:144
	;; [unrolled: 1-line block ×4, first 2 shown]
	scratch_load_b64 v[82:83], off, off offset:120
	ds_load_b128 v[66:69], v5 offset:320
	ds_load_b128 v[70:73], v5 offset:336
	;; [unrolled: 1-line block ×4, first 2 shown]
	s_mov_b32 s0, exec_lo
	s_wait_dscnt 0x3
	v_dual_mov_b32 v84, v69 :: v_dual_mov_b32 v85, v68
	s_wait_dscnt 0x2
	v_dual_mov_b32 v86, v73 :: v_dual_mov_b32 v87, v72
	;; [unrolled: 2-line block ×3, first 2 shown]
	v_dual_mov_b32 v89, v76 :: v_dual_mov_b32 v94, v81
	s_wait_loadcnt 0x4
	v_mov_b32_e32 v92, v53
	v_pk_mul_f32 v[90:91], v[66:67], v[50:51] op_sel:[1,1] op_sel_hi:[0,1]
	s_wait_loadcnt 0x3
	v_pk_mul_f32 v[96:97], v[70:71], v[54:55] op_sel:[1,1] op_sel_hi:[0,1]
	s_wait_loadcnt 0x2
	v_pk_mul_f32 v[100:101], v[74:75], v[58:59] op_sel:[1,1] op_sel_hi:[0,1]
	v_pk_mul_f32 v[84:85], v[84:85], v[92:93] op_sel_hi:[1,0]
	v_pk_fma_f32 v[98:99], v[66:67], v[50:51], v[90:91] op_sel_hi:[1,0,1]
	v_pk_fma_f32 v[50:51], v[66:67], v[50:51], v[90:91] neg_lo:[0,0,1] neg_hi:[0,0,1]
	v_mov_b32_e32 v92, v57
	v_pk_fma_f32 v[90:91], v[70:71], v[54:55], v[96:97] op_sel_hi:[1,0,1]
	v_pk_fma_f32 v[66:67], v[68:69], v[52:53], v[84:85] op_sel_hi:[1,0,1]
	v_mov_b32_e32 v51, v99
	v_pk_fma_f32 v[52:53], v[68:69], v[52:53], v[84:85] neg_lo:[0,0,1] neg_hi:[0,0,1]
	v_pk_mul_f32 v[86:87], v[86:87], v[92:93] op_sel_hi:[1,0]
	s_delay_alu instid0(VALU_DEP_4) | instskip(NEXT) | instid1(VALU_DEP_4)
	v_dual_mov_b32 v66, v61 :: v_dual_mov_b32 v53, v67
	v_pk_add_f32 v[50:51], v[50:51], 0 op_sel_hi:[1,0]
	v_pk_fma_f32 v[54:55], v[70:71], v[54:55], v[96:97] neg_lo:[0,0,1] neg_hi:[0,0,1]
	v_mov_b32_e32 v55, v91
	v_pk_fma_f32 v[68:69], v[72:73], v[56:57], v[86:87] op_sel_hi:[1,0,1]
	v_pk_mul_f32 v[66:67], v[88:89], v[66:67] op_sel_hi:[1,0]
	v_pk_add_f32 v[50:51], v[50:51], v[52:53]
	v_pk_fma_f32 v[52:53], v[74:75], v[58:59], v[100:101] op_sel_hi:[1,0,1]
	v_pk_fma_f32 v[56:57], v[72:73], v[56:57], v[86:87] neg_lo:[0,0,1] neg_hi:[0,0,1]
	v_mov_b32_e32 v57, v69
	v_pk_fma_f32 v[58:59], v[74:75], v[58:59], v[100:101] neg_lo:[0,0,1] neg_hi:[0,0,1]
	v_pk_add_f32 v[50:51], v[50:51], v[54:55]
	v_mov_b32_e32 v59, v53
	v_pk_fma_f32 v[52:53], v[76:77], v[60:61], v[66:67] op_sel_hi:[1,0,1]
	s_wait_loadcnt 0x1
	v_pk_mul_f32 v[54:55], v[78:79], v[62:63] op_sel:[1,1] op_sel_hi:[0,1]
	v_mov_b32_e32 v52, v65
	v_pk_add_f32 v[50:51], v[50:51], v[56:57]
	v_pk_fma_f32 v[60:61], v[76:77], v[60:61], v[66:67] neg_lo:[0,0,1] neg_hi:[0,0,1]
	v_mov_b32_e32 v61, v53
	v_pk_fma_f32 v[56:57], v[78:79], v[62:63], v[54:55] op_sel_hi:[1,0,1]
	v_pk_mul_f32 v[52:53], v[94:95], v[52:53] op_sel_hi:[1,0]
	v_pk_add_f32 v[50:51], v[50:51], v[58:59]
	v_pk_fma_f32 v[54:55], v[78:79], v[62:63], v[54:55] neg_lo:[0,0,1] neg_hi:[0,0,1]
	s_delay_alu instid0(VALU_DEP_4) | instskip(NEXT) | instid1(VALU_DEP_4)
	v_mov_b32_e32 v55, v57
	v_pk_fma_f32 v[56:57], v[80:81], v[64:65], v[52:53] op_sel_hi:[1,0,1]
	s_delay_alu instid0(VALU_DEP_4) | instskip(SKIP_1) | instid1(VALU_DEP_3)
	v_pk_add_f32 v[50:51], v[50:51], v[60:61]
	v_pk_fma_f32 v[52:53], v[80:81], v[64:65], v[52:53] neg_lo:[0,0,1] neg_hi:[0,0,1]
	v_mov_b32_e32 v53, v57
	s_delay_alu instid0(VALU_DEP_3) | instskip(NEXT) | instid1(VALU_DEP_1)
	v_pk_add_f32 v[50:51], v[50:51], v[54:55]
	v_pk_add_f32 v[50:51], v[50:51], v[52:53]
	s_wait_loadcnt 0x0
	s_delay_alu instid0(VALU_DEP_1)
	v_pk_add_f32 v[50:51], v[82:83], v[50:51] neg_lo:[0,1] neg_hi:[0,1]
	scratch_store_b64 off, v[50:51], off offset:120
	s_wait_xcnt 0x0
	v_cmpx_lt_u32_e32 14, v0
	s_cbranch_execz .LBB23_129
; %bb.128:
	scratch_load_b64 v[50:51], off, off offset:112
	v_mov_b64_e32 v[52:53], 0
	scratch_store_b64 off, v[52:53], off offset:112
	s_wait_loadcnt 0x0
	ds_store_b64 v1, v[50:51]
.LBB23_129:
	s_wait_xcnt 0x0
	s_or_b32 exec_lo, exec_lo, s0
	s_wait_storecnt_dscnt 0x0
	s_barrier_signal -1
	s_barrier_wait -1
	s_clause 0x5
	scratch_load_b128 v[50:53], off, off offset:120
	scratch_load_b128 v[54:57], off, off offset:136
	;; [unrolled: 1-line block ×4, first 2 shown]
	scratch_load_b64 v[82:83], off, off offset:184
	scratch_load_b64 v[84:85], off, off offset:112
	v_mov_b32_e32 v5, 0
	ds_load_2addr_b64 v[66:69], v5 offset0:39 offset1:40
	ds_load_2addr_b64 v[70:73], v5 offset0:41 offset1:42
	ds_load_2addr_b64 v[74:77], v5 offset0:43 offset1:44
	ds_load_2addr_b64 v[78:81], v5 offset0:45 offset1:46
	ds_load_b64 v[86:87], v5 offset:376
	s_mov_b32 s0, exec_lo
	s_wait_dscnt 0x4
	v_dual_mov_b32 v88, v69 :: v_dual_mov_b32 v89, v68
	s_wait_dscnt 0x1
	v_dual_mov_b32 v90, v73 :: v_dual_mov_b32 v95, v80
	v_dual_mov_b32 v91, v72 :: v_dual_mov_b32 v92, v77
	;; [unrolled: 1-line block ×3, first 2 shown]
	s_wait_loadcnt 0x5
	v_dual_mov_b32 v96, v53 :: v_dual_mul_f32 v97, v66, v51
	v_mul_f32_e32 v9, v67, v51
	s_wait_loadcnt 0x4
	v_pk_mul_f32 v[98:99], v[70:71], v[54:55] op_sel:[1,1] op_sel_hi:[0,1]
	v_mov_b32_e32 v100, v57
	s_wait_loadcnt 0x3
	v_pk_mul_f32 v[102:103], v[74:75], v[58:59] op_sel:[1,1] op_sel_hi:[0,1]
	v_pk_mul_f32 v[88:89], v[88:89], v[96:97] op_sel_hi:[1,0]
	v_fmac_f32_e32 v97, v67, v50
	v_dual_fma_f32 v96, v66, v50, -v9 :: v_dual_mov_b32 v50, v61
	v_pk_fma_f32 v[104:105], v[70:71], v[54:55], v[98:99] op_sel_hi:[1,0,1]
	s_delay_alu instid0(VALU_DEP_4)
	v_pk_fma_f32 v[66:67], v[68:69], v[52:53], v[88:89] op_sel_hi:[1,0,1]
	v_pk_fma_f32 v[52:53], v[68:69], v[52:53], v[88:89] neg_lo:[0,0,1] neg_hi:[0,0,1]
	v_pk_mul_f32 v[90:91], v[90:91], v[100:101] op_sel_hi:[1,0]
	v_pk_add_f32 v[96:97], v[96:97], 0 op_sel_hi:[1,0]
	v_pk_fma_f32 v[54:55], v[70:71], v[54:55], v[98:99] neg_lo:[0,0,1] neg_hi:[0,0,1]
	v_dual_mov_b32 v53, v67 :: v_dual_mov_b32 v55, v105
	s_delay_alu instid0(VALU_DEP_4) | instskip(SKIP_2) | instid1(VALU_DEP_4)
	v_pk_fma_f32 v[68:69], v[72:73], v[56:57], v[90:91] op_sel_hi:[1,0,1]
	v_pk_fma_f32 v[56:57], v[72:73], v[56:57], v[90:91] neg_lo:[0,0,1] neg_hi:[0,0,1]
	v_pk_fma_f32 v[70:71], v[74:75], v[58:59], v[102:103] op_sel_hi:[1,0,1]
	v_pk_add_f32 v[52:53], v[96:97], v[52:53]
	v_pk_mul_f32 v[50:51], v[92:93], v[50:51] op_sel_hi:[1,0]
	v_mov_b32_e32 v57, v69
	v_pk_fma_f32 v[58:59], v[74:75], v[58:59], v[102:103] neg_lo:[0,0,1] neg_hi:[0,0,1]
	s_wait_loadcnt 0x2
	v_pk_mul_f32 v[66:67], v[78:79], v[62:63] op_sel:[1,1] op_sel_hi:[0,1]
	v_pk_add_f32 v[52:53], v[52:53], v[54:55]
	v_mov_b32_e32 v54, v65
	v_pk_fma_f32 v[68:69], v[76:77], v[60:61], v[50:51] op_sel_hi:[1,0,1]
	v_mov_b32_e32 v59, v71
	v_pk_fma_f32 v[50:51], v[76:77], v[60:61], v[50:51] neg_lo:[0,0,1] neg_hi:[0,0,1]
	v_pk_add_f32 v[52:53], v[52:53], v[56:57]
	v_pk_fma_f32 v[56:57], v[78:79], v[62:63], v[66:67] op_sel_hi:[1,0,1]
	v_pk_mul_f32 v[54:55], v[94:95], v[54:55] op_sel_hi:[1,0]
	v_mov_b32_e32 v51, v69
	s_delay_alu instid0(VALU_DEP_4)
	v_pk_add_f32 v[52:53], v[52:53], v[58:59]
	v_pk_fma_f32 v[58:59], v[78:79], v[62:63], v[66:67] neg_lo:[0,0,1] neg_hi:[0,0,1]
	v_mov_b32_e32 v59, v57
	v_pk_fma_f32 v[56:57], v[80:81], v[64:65], v[54:55] op_sel_hi:[1,0,1]
	v_pk_fma_f32 v[54:55], v[80:81], v[64:65], v[54:55] neg_lo:[0,0,1] neg_hi:[0,0,1]
	v_pk_add_f32 v[50:51], v[52:53], v[50:51]
	s_wait_loadcnt_dscnt 0x100
	v_pk_mul_f32 v[52:53], v[86:87], v[82:83] op_sel:[1,1] op_sel_hi:[0,1]
	v_mov_b32_e32 v55, v57
	s_delay_alu instid0(VALU_DEP_3) | instskip(NEXT) | instid1(VALU_DEP_3)
	v_pk_add_f32 v[50:51], v[50:51], v[58:59]
	v_pk_fma_f32 v[56:57], v[86:87], v[82:83], v[52:53] op_sel_hi:[1,0,1]
	v_pk_fma_f32 v[52:53], v[86:87], v[82:83], v[52:53] neg_lo:[0,0,1] neg_hi:[0,0,1]
	s_delay_alu instid0(VALU_DEP_3) | instskip(NEXT) | instid1(VALU_DEP_3)
	v_pk_add_f32 v[50:51], v[50:51], v[54:55]
	v_mov_b32_e32 v53, v57
	s_delay_alu instid0(VALU_DEP_1) | instskip(SKIP_1) | instid1(VALU_DEP_1)
	v_pk_add_f32 v[50:51], v[50:51], v[52:53]
	s_wait_loadcnt 0x0
	v_pk_add_f32 v[50:51], v[84:85], v[50:51] neg_lo:[0,1] neg_hi:[0,1]
	scratch_store_b64 off, v[50:51], off offset:112
	s_wait_xcnt 0x0
	v_cmpx_lt_u32_e32 13, v0
	s_cbranch_execz .LBB23_131
; %bb.130:
	scratch_load_b64 v[50:51], off, off offset:104
	v_mov_b64_e32 v[52:53], 0
	scratch_store_b64 off, v[52:53], off offset:104
	s_wait_loadcnt 0x0
	ds_store_b64 v1, v[50:51]
.LBB23_131:
	s_wait_xcnt 0x0
	s_or_b32 exec_lo, exec_lo, s0
	s_wait_storecnt_dscnt 0x0
	s_barrier_signal -1
	s_barrier_wait -1
	s_clause 0x5
	scratch_load_b128 v[50:53], off, off offset:112
	scratch_load_b128 v[54:57], off, off offset:128
	;; [unrolled: 1-line block ×5, first 2 shown]
	scratch_load_b64 v[90:91], off, off offset:104
	ds_load_b128 v[70:73], v5 offset:320
	ds_load_b128 v[74:77], v5 offset:336
	;; [unrolled: 1-line block ×5, first 2 shown]
	s_mov_b32 s0, exec_lo
	s_wait_dscnt 0x4
	v_dual_mov_b32 v92, v73 :: v_dual_mov_b32 v93, v72
	s_wait_dscnt 0x3
	v_dual_mov_b32 v94, v77 :: v_dual_mov_b32 v95, v76
	;; [unrolled: 2-line block ×4, first 2 shown]
	s_wait_loadcnt_dscnt 0x500
	v_dual_mul_f32 v101, v86, v51 :: v_dual_mul_f32 v103, v88, v53
	v_dual_mul_f32 v5, v87, v51 :: v_dual_mul_f32 v9, v89, v53
	s_wait_loadcnt 0x4
	v_pk_mul_f32 v[104:105], v[70:71], v[54:55] op_sel:[1,1] op_sel_hi:[0,1]
	s_wait_loadcnt 0x3
	v_dual_mov_b32 v106, v57 :: v_dual_mov_b32 v110, v61
	v_dual_fmac_f32 v101, v87, v50 :: v_dual_fmac_f32 v103, v89, v52
	v_fma_f32 v100, v86, v50, -v5
	v_fma_f32 v102, v88, v52, -v9
	v_pk_fma_f32 v[50:51], v[70:71], v[54:55], v[104:105] op_sel_hi:[1,0,1]
	v_pk_mul_f32 v[52:53], v[92:93], v[106:107] op_sel_hi:[1,0]
	v_pk_fma_f32 v[54:55], v[70:71], v[54:55], v[104:105] neg_lo:[0,0,1] neg_hi:[0,0,1]
	v_pk_mul_f32 v[108:109], v[74:75], v[58:59] op_sel:[1,1] op_sel_hi:[0,1]
	v_pk_mul_f32 v[92:93], v[94:95], v[110:111] op_sel_hi:[1,0]
	v_mov_b32_e32 v55, v51
	v_pk_add_f32 v[86:87], v[100:101], 0 op_sel_hi:[1,0]
	v_pk_fma_f32 v[50:51], v[72:73], v[56:57], v[52:53] op_sel_hi:[1,0,1]
	v_pk_fma_f32 v[52:53], v[72:73], v[56:57], v[52:53] neg_lo:[0,0,1] neg_hi:[0,0,1]
	s_wait_loadcnt 0x2
	v_pk_mul_f32 v[88:89], v[78:79], v[62:63] op_sel:[1,1] op_sel_hi:[0,1]
	v_pk_fma_f32 v[56:57], v[74:75], v[58:59], v[108:109] neg_lo:[0,0,1] neg_hi:[0,0,1]
	v_mov_b32_e32 v53, v51
	v_pk_add_f32 v[70:71], v[86:87], v[102:103]
	v_pk_fma_f32 v[86:87], v[74:75], v[58:59], v[108:109] op_sel_hi:[1,0,1]
	v_pk_fma_f32 v[58:59], v[76:77], v[60:61], v[92:93] op_sel_hi:[1,0,1]
	v_pk_fma_f32 v[60:61], v[76:77], v[60:61], v[92:93] neg_lo:[0,0,1] neg_hi:[0,0,1]
	s_delay_alu instid0(VALU_DEP_4) | instskip(NEXT) | instid1(VALU_DEP_4)
	v_pk_add_f32 v[50:51], v[70:71], v[54:55]
	v_dual_mov_b32 v54, v65 :: v_dual_mov_b32 v57, v87
	s_delay_alu instid0(VALU_DEP_2) | instskip(SKIP_1) | instid1(VALU_DEP_3)
	v_pk_add_f32 v[50:51], v[50:51], v[52:53]
	v_pk_fma_f32 v[52:53], v[78:79], v[62:63], v[88:89] op_sel_hi:[1,0,1]
	v_pk_mul_f32 v[54:55], v[96:97], v[54:55] op_sel_hi:[1,0]
	v_mov_b32_e32 v61, v59
	v_pk_fma_f32 v[58:59], v[78:79], v[62:63], v[88:89] neg_lo:[0,0,1] neg_hi:[0,0,1]
	v_pk_add_f32 v[50:51], v[50:51], v[56:57]
	v_mov_b32_e32 v59, v53
	v_pk_fma_f32 v[52:53], v[80:81], v[64:65], v[54:55] op_sel_hi:[1,0,1]
	s_wait_loadcnt 0x1
	v_pk_mul_f32 v[56:57], v[82:83], v[66:67] op_sel:[1,1] op_sel_hi:[0,1]
	v_mov_b32_e32 v52, v69
	v_pk_add_f32 v[50:51], v[50:51], v[60:61]
	v_pk_fma_f32 v[54:55], v[80:81], v[64:65], v[54:55] neg_lo:[0,0,1] neg_hi:[0,0,1]
	v_mov_b32_e32 v55, v53
	v_pk_fma_f32 v[60:61], v[82:83], v[66:67], v[56:57] op_sel_hi:[1,0,1]
	v_pk_mul_f32 v[52:53], v[98:99], v[52:53] op_sel_hi:[1,0]
	v_pk_add_f32 v[50:51], v[50:51], v[58:59]
	v_pk_fma_f32 v[56:57], v[82:83], v[66:67], v[56:57] neg_lo:[0,0,1] neg_hi:[0,0,1]
	s_delay_alu instid0(VALU_DEP_2) | instskip(NEXT) | instid1(VALU_DEP_4)
	v_pk_add_f32 v[50:51], v[50:51], v[54:55]
	v_pk_fma_f32 v[54:55], v[84:85], v[68:69], v[52:53] op_sel_hi:[1,0,1]
	v_mov_b32_e32 v57, v61
	v_pk_fma_f32 v[52:53], v[84:85], v[68:69], v[52:53] neg_lo:[0,0,1] neg_hi:[0,0,1]
	s_delay_alu instid0(VALU_DEP_3) | instskip(NEXT) | instid1(VALU_DEP_3)
	v_mov_b32_e32 v53, v55
	v_pk_add_f32 v[50:51], v[50:51], v[56:57]
	s_delay_alu instid0(VALU_DEP_1) | instskip(SKIP_1) | instid1(VALU_DEP_1)
	v_pk_add_f32 v[50:51], v[50:51], v[52:53]
	s_wait_loadcnt 0x0
	v_pk_add_f32 v[50:51], v[90:91], v[50:51] neg_lo:[0,1] neg_hi:[0,1]
	scratch_store_b64 off, v[50:51], off offset:104
	s_wait_xcnt 0x0
	v_cmpx_lt_u32_e32 12, v0
	s_cbranch_execz .LBB23_133
; %bb.132:
	scratch_load_b64 v[50:51], off, off offset:96
	v_mov_b64_e32 v[52:53], 0
	scratch_store_b64 off, v[52:53], off offset:96
	s_wait_loadcnt 0x0
	ds_store_b64 v1, v[50:51]
.LBB23_133:
	s_wait_xcnt 0x0
	s_or_b32 exec_lo, exec_lo, s0
	s_wait_storecnt_dscnt 0x0
	s_barrier_signal -1
	s_barrier_wait -1
	s_clause 0x6
	scratch_load_b128 v[50:53], off, off offset:104
	scratch_load_b128 v[54:57], off, off offset:120
	;; [unrolled: 1-line block ×5, first 2 shown]
	scratch_load_b64 v[90:91], off, off offset:184
	scratch_load_b64 v[92:93], off, off offset:96
	v_mov_b32_e32 v5, 0
	ds_load_2addr_b64 v[70:73], v5 offset0:39 offset1:40
	ds_load_2addr_b64 v[74:77], v5 offset0:41 offset1:42
	;; [unrolled: 1-line block ×5, first 2 shown]
	ds_load_b64 v[94:95], v5 offset:376
	s_mov_b32 s0, exec_lo
	s_wait_dscnt 0x5
	v_dual_mov_b32 v96, v73 :: v_dual_mov_b32 v97, v72
	s_wait_dscnt 0x2
	v_dual_mov_b32 v98, v77 :: v_dual_mov_b32 v103, v84
	v_dual_mov_b32 v99, v76 :: v_dual_mov_b32 v100, v81
	;; [unrolled: 1-line block ×3, first 2 shown]
	s_wait_loadcnt_dscnt 0x601
	v_dual_mul_f32 v9, v86, v51 :: v_dual_mul_f32 v11, v87, v51
	v_dual_mul_f32 v13, v89, v53 :: v_dual_mul_f32 v105, v88, v53
	s_wait_loadcnt 0x5
	v_dual_mul_f32 v107, v70, v55 :: v_dual_mul_f32 v15, v71, v55
	s_wait_loadcnt 0x4
	v_dual_mov_b32 v106, v57 :: v_dual_mov_b32 v110, v61
	v_dual_fmac_f32 v9, v87, v50 :: v_dual_fma_f32 v11, v86, v50, -v11
	v_fmac_f32_e32 v105, v89, v52
	v_pk_mul_f32 v[108:109], v[74:75], v[58:59] op_sel:[1,1] op_sel_hi:[0,1]
	s_delay_alu instid0(VALU_DEP_3)
	v_dual_fma_f32 v104, v88, v52, -v13 :: v_dual_add_f32 v53, 0, v9
	v_pk_mul_f32 v[50:51], v[96:97], v[106:107] op_sel_hi:[1,0]
	s_wait_loadcnt 0x3
	v_dual_add_f32 v52, 0, v11 :: v_dual_mov_b32 v86, v65
	v_fmac_f32_e32 v107, v71, v54
	v_fma_f32 v106, v70, v54, -v15
	v_pk_fma_f32 v[54:55], v[72:73], v[56:57], v[50:51] op_sel_hi:[1,0,1]
	s_delay_alu instid0(VALU_DEP_4) | instskip(SKIP_4) | instid1(VALU_DEP_4)
	v_pk_add_f32 v[52:53], v[52:53], v[104:105]
	v_pk_fma_f32 v[70:71], v[74:75], v[58:59], v[108:109] op_sel_hi:[1,0,1]
	v_pk_fma_f32 v[50:51], v[72:73], v[56:57], v[50:51] neg_lo:[0,0,1] neg_hi:[0,0,1]
	v_pk_fma_f32 v[56:57], v[74:75], v[58:59], v[108:109] neg_lo:[0,0,1] neg_hi:[0,0,1]
	v_pk_mul_f32 v[88:89], v[98:99], v[110:111] op_sel_hi:[1,0]
	v_dual_mov_b32 v51, v55 :: v_dual_mov_b32 v57, v71
	v_pk_add_f32 v[52:53], v[52:53], v[106:107]
	v_pk_mul_f32 v[112:113], v[78:79], v[62:63] op_sel:[1,1] op_sel_hi:[0,1]
	s_delay_alu instid0(VALU_DEP_4)
	v_pk_fma_f32 v[58:59], v[76:77], v[60:61], v[88:89] op_sel_hi:[1,0,1]
	v_pk_fma_f32 v[60:61], v[76:77], v[60:61], v[88:89] neg_lo:[0,0,1] neg_hi:[0,0,1]
	v_pk_mul_f32 v[70:71], v[100:101], v[86:87] op_sel_hi:[1,0]
	v_pk_add_f32 v[50:51], v[52:53], v[50:51]
	v_pk_fma_f32 v[52:53], v[78:79], v[62:63], v[112:113] op_sel_hi:[1,0,1]
	s_wait_loadcnt 0x2
	v_dual_mov_b32 v61, v59 :: v_dual_mov_b32 v52, v69
	v_pk_mul_f32 v[54:55], v[82:83], v[66:67] op_sel:[1,1] op_sel_hi:[0,1]
	v_pk_add_f32 v[50:51], v[50:51], v[56:57]
	v_pk_fma_f32 v[56:57], v[78:79], v[62:63], v[112:113] neg_lo:[0,0,1] neg_hi:[0,0,1]
	v_pk_fma_f32 v[58:59], v[80:81], v[64:65], v[70:71] op_sel_hi:[1,0,1]
	v_mov_b32_e32 v57, v53
	v_pk_fma_f32 v[62:63], v[80:81], v[64:65], v[70:71] neg_lo:[0,0,1] neg_hi:[0,0,1]
	v_pk_add_f32 v[50:51], v[50:51], v[60:61]
	v_pk_fma_f32 v[60:61], v[82:83], v[66:67], v[54:55] op_sel_hi:[1,0,1]
	v_pk_mul_f32 v[52:53], v[102:103], v[52:53] op_sel_hi:[1,0]
	v_mov_b32_e32 v63, v59
	v_pk_fma_f32 v[54:55], v[82:83], v[66:67], v[54:55] neg_lo:[0,0,1] neg_hi:[0,0,1]
	v_pk_add_f32 v[50:51], v[50:51], v[56:57]
	s_wait_loadcnt_dscnt 0x100
	v_pk_mul_f32 v[58:59], v[94:95], v[90:91] op_sel:[1,1] op_sel_hi:[0,1]
	v_pk_fma_f32 v[56:57], v[84:85], v[68:69], v[52:53] op_sel_hi:[1,0,1]
	v_mov_b32_e32 v55, v61
	v_pk_fma_f32 v[52:53], v[84:85], v[68:69], v[52:53] neg_lo:[0,0,1] neg_hi:[0,0,1]
	v_pk_add_f32 v[50:51], v[50:51], v[62:63]
	s_delay_alu instid0(VALU_DEP_4) | instskip(SKIP_1) | instid1(VALU_DEP_3)
	v_mov_b32_e32 v53, v57
	v_pk_fma_f32 v[56:57], v[94:95], v[90:91], v[58:59] neg_lo:[0,0,1] neg_hi:[0,0,1]
	v_pk_add_f32 v[50:51], v[50:51], v[54:55]
	v_pk_fma_f32 v[54:55], v[94:95], v[90:91], v[58:59] op_sel_hi:[1,0,1]
	s_delay_alu instid0(VALU_DEP_2) | instskip(NEXT) | instid1(VALU_DEP_2)
	v_pk_add_f32 v[50:51], v[50:51], v[52:53]
	v_mov_b32_e32 v57, v55
	s_delay_alu instid0(VALU_DEP_1) | instskip(SKIP_1) | instid1(VALU_DEP_1)
	v_pk_add_f32 v[50:51], v[50:51], v[56:57]
	s_wait_loadcnt 0x0
	v_pk_add_f32 v[50:51], v[92:93], v[50:51] neg_lo:[0,1] neg_hi:[0,1]
	scratch_store_b64 off, v[50:51], off offset:96
	s_wait_xcnt 0x0
	v_cmpx_lt_u32_e32 11, v0
	s_cbranch_execz .LBB23_135
; %bb.134:
	scratch_load_b64 v[50:51], off, off offset:88
	v_mov_b64_e32 v[52:53], 0
	scratch_store_b64 off, v[52:53], off offset:88
	s_wait_loadcnt 0x0
	ds_store_b64 v1, v[50:51]
.LBB23_135:
	s_wait_xcnt 0x0
	s_or_b32 exec_lo, exec_lo, s0
	s_wait_storecnt_dscnt 0x0
	s_barrier_signal -1
	s_barrier_wait -1
	s_clause 0x6
	scratch_load_b128 v[50:53], off, off offset:96
	scratch_load_b128 v[54:57], off, off offset:112
	;; [unrolled: 1-line block ×6, first 2 shown]
	scratch_load_b64 v[98:99], off, off offset:88
	ds_load_b128 v[74:77], v5 offset:320
	ds_load_b128 v[78:81], v5 offset:336
	;; [unrolled: 1-line block ×6, first 2 shown]
	s_mov_b32 s0, exec_lo
	s_wait_dscnt 0x5
	v_dual_mov_b32 v100, v77 :: v_dual_mov_b32 v101, v76
	s_wait_dscnt 0x4
	v_dual_mov_b32 v102, v81 :: v_dual_mov_b32 v103, v80
	;; [unrolled: 2-line block ×4, first 2 shown]
	s_wait_loadcnt_dscnt 0x601
	v_dual_mul_f32 v5, v90, v51 :: v_dual_mul_f32 v9, v92, v53
	v_dual_mul_f32 v11, v91, v51 :: v_dual_mul_f32 v13, v93, v53
	s_wait_loadcnt 0x4
	s_delay_alu instid0(VALU_DEP_2)
	v_dual_mov_b32 v114, v61 :: v_dual_fmac_f32 v5, v91, v50
	s_wait_dscnt 0x0
	v_dual_mul_f32 v109, v94, v55 :: v_dual_mul_f32 v111, v96, v57
	v_dual_fma_f32 v11, v90, v50, -v11 :: v_dual_fmac_f32 v9, v93, v52
	v_dual_mul_f32 v15, v95, v55 :: v_dual_mul_f32 v17, v97, v57
	v_dual_fma_f32 v13, v92, v52, -v13 :: v_dual_add_f32 v5, 0, v5
	s_wait_loadcnt 0x3
	s_delay_alu instid0(VALU_DEP_3) | instskip(SKIP_3) | instid1(VALU_DEP_4)
	v_dual_add_f32 v11, 0, v11 :: v_dual_mov_b32 v52, v65
	v_pk_mul_f32 v[112:113], v[74:75], v[58:59] op_sel:[1,1] op_sel_hi:[0,1]
	v_dual_fmac_f32 v109, v95, v54 :: v_dual_fma_f32 v108, v94, v54, -v15
	v_dual_add_f32 v55, v5, v9 :: v_dual_fma_f32 v110, v96, v56, -v17
	v_dual_add_f32 v54, v11, v13 :: v_dual_fmac_f32 v111, v97, v56
	s_delay_alu instid0(VALU_DEP_4) | instskip(SKIP_2) | instid1(VALU_DEP_4)
	v_pk_fma_f32 v[56:57], v[74:75], v[58:59], v[112:113] op_sel_hi:[1,0,1]
	v_pk_mul_f32 v[90:91], v[100:101], v[114:115] op_sel_hi:[1,0]
	v_pk_fma_f32 v[58:59], v[74:75], v[58:59], v[112:113] neg_lo:[0,0,1] neg_hi:[0,0,1]
	v_pk_add_f32 v[54:55], v[54:55], v[108:109]
	v_pk_mul_f32 v[50:51], v[78:79], v[62:63] op_sel:[1,1] op_sel_hi:[0,1]
	v_mov_b32_e32 v59, v57
	v_pk_fma_f32 v[56:57], v[76:77], v[60:61], v[90:91] op_sel_hi:[1,0,1]
	v_pk_fma_f32 v[60:61], v[76:77], v[60:61], v[90:91] neg_lo:[0,0,1] neg_hi:[0,0,1]
	v_pk_add_f32 v[54:55], v[54:55], v[110:111]
	v_pk_fma_f32 v[74:75], v[78:79], v[62:63], v[50:51] op_sel_hi:[1,0,1]
	v_pk_mul_f32 v[52:53], v[102:103], v[52:53] op_sel_hi:[1,0]
	v_mov_b32_e32 v61, v57
	v_pk_fma_f32 v[50:51], v[78:79], v[62:63], v[50:51] neg_lo:[0,0,1] neg_hi:[0,0,1]
	v_pk_add_f32 v[54:55], v[54:55], v[58:59]
	s_wait_loadcnt 0x2
	v_pk_mul_f32 v[92:93], v[82:83], v[66:67] op_sel:[1,1] op_sel_hi:[0,1]
	v_dual_mov_b32 v56, v69 :: v_dual_mov_b32 v51, v75
	v_pk_fma_f32 v[58:59], v[80:81], v[64:65], v[52:53] op_sel_hi:[1,0,1]
	v_pk_add_f32 v[54:55], v[54:55], v[60:61]
	v_pk_fma_f32 v[52:53], v[80:81], v[64:65], v[52:53] neg_lo:[0,0,1] neg_hi:[0,0,1]
	v_pk_fma_f32 v[60:61], v[82:83], v[66:67], v[92:93] op_sel_hi:[1,0,1]
	v_pk_mul_f32 v[56:57], v[104:105], v[56:57] op_sel_hi:[1,0]
	v_mov_b32_e32 v53, v59
	v_pk_add_f32 v[50:51], v[54:55], v[50:51]
	v_pk_fma_f32 v[58:59], v[82:83], v[66:67], v[92:93] neg_lo:[0,0,1] neg_hi:[0,0,1]
	s_wait_loadcnt 0x1
	v_pk_mul_f32 v[54:55], v[86:87], v[70:71] op_sel:[1,1] op_sel_hi:[0,1]
	v_mov_b32_e32 v59, v61
	v_pk_fma_f32 v[60:61], v[84:85], v[68:69], v[56:57] op_sel_hi:[1,0,1]
	v_pk_add_f32 v[50:51], v[50:51], v[52:53]
	v_mov_b32_e32 v52, v73
	v_pk_fma_f32 v[56:57], v[84:85], v[68:69], v[56:57] neg_lo:[0,0,1] neg_hi:[0,0,1]
	v_pk_fma_f32 v[62:63], v[86:87], v[70:71], v[54:55] op_sel_hi:[1,0,1]
	v_mov_b32_e32 v57, v61
	v_pk_add_f32 v[50:51], v[50:51], v[58:59]
	v_pk_mul_f32 v[52:53], v[106:107], v[52:53] op_sel_hi:[1,0]
	v_pk_fma_f32 v[54:55], v[86:87], v[70:71], v[54:55] neg_lo:[0,0,1] neg_hi:[0,0,1]
	s_delay_alu instid0(VALU_DEP_3) | instskip(NEXT) | instid1(VALU_DEP_3)
	v_pk_add_f32 v[50:51], v[50:51], v[56:57]
	v_pk_fma_f32 v[56:57], v[88:89], v[72:73], v[52:53] op_sel_hi:[1,0,1]
	v_mov_b32_e32 v55, v63
	v_pk_fma_f32 v[52:53], v[88:89], v[72:73], v[52:53] neg_lo:[0,0,1] neg_hi:[0,0,1]
	s_delay_alu instid0(VALU_DEP_3) | instskip(NEXT) | instid1(VALU_DEP_3)
	v_mov_b32_e32 v53, v57
	v_pk_add_f32 v[50:51], v[50:51], v[54:55]
	s_delay_alu instid0(VALU_DEP_1) | instskip(SKIP_1) | instid1(VALU_DEP_1)
	v_pk_add_f32 v[50:51], v[50:51], v[52:53]
	s_wait_loadcnt 0x0
	v_pk_add_f32 v[50:51], v[98:99], v[50:51] neg_lo:[0,1] neg_hi:[0,1]
	scratch_store_b64 off, v[50:51], off offset:88
	s_wait_xcnt 0x0
	v_cmpx_lt_u32_e32 10, v0
	s_cbranch_execz .LBB23_137
; %bb.136:
	scratch_load_b64 v[50:51], off, off offset:80
	v_mov_b64_e32 v[52:53], 0
	scratch_store_b64 off, v[52:53], off offset:80
	s_wait_loadcnt 0x0
	ds_store_b64 v1, v[50:51]
.LBB23_137:
	s_wait_xcnt 0x0
	s_or_b32 exec_lo, exec_lo, s0
	s_wait_storecnt_dscnt 0x0
	s_barrier_signal -1
	s_barrier_wait -1
	s_clause 0x7
	scratch_load_b128 v[50:53], off, off offset:88
	scratch_load_b128 v[54:57], off, off offset:104
	;; [unrolled: 1-line block ×6, first 2 shown]
	scratch_load_b64 v[98:99], off, off offset:184
	scratch_load_b64 v[100:101], off, off offset:80
	v_mov_b32_e32 v5, 0
	ds_load_2addr_b64 v[74:77], v5 offset0:39 offset1:40
	ds_load_2addr_b64 v[78:81], v5 offset0:41 offset1:42
	;; [unrolled: 1-line block ×6, first 2 shown]
	ds_load_b64 v[102:103], v5 offset:376
	s_mov_b32 s0, exec_lo
	s_wait_dscnt 0x6
	v_dual_mov_b32 v104, v77 :: v_dual_mov_b32 v105, v76
	s_wait_dscnt 0x3
	v_dual_mov_b32 v106, v81 :: v_dual_mov_b32 v111, v88
	v_dual_mov_b32 v107, v80 :: v_dual_mov_b32 v108, v85
	;; [unrolled: 1-line block ×3, first 2 shown]
	s_wait_loadcnt_dscnt 0x702
	v_dual_mul_f32 v9, v90, v51 :: v_dual_mul_f32 v15, v91, v51
	v_dual_mul_f32 v17, v93, v53 :: v_dual_mul_f32 v11, v92, v53
	s_wait_loadcnt_dscnt 0x601
	s_delay_alu instid0(VALU_DEP_2) | instskip(NEXT) | instid1(VALU_DEP_3)
	v_dual_mul_f32 v13, v94, v55 :: v_dual_fmac_f32 v9, v91, v50
	v_dual_fma_f32 v15, v90, v50, -v15 :: v_dual_mul_f32 v19, v95, v55
	v_mul_f32_e32 v21, v97, v57
	s_wait_loadcnt 0x4
	v_dual_mov_b32 v50, v65 :: v_dual_fma_f32 v17, v92, v52, -v17
	v_dual_fmac_f32 v11, v93, v52 :: v_dual_add_f32 v9, 0, v9
	v_dual_add_f32 v15, 0, v15 :: v_dual_fmac_f32 v13, v95, v54
	v_dual_mul_f32 v113, v96, v57 :: v_dual_mul_f32 v115, v74, v59
	v_dual_mul_f32 v23, v75, v59 :: v_dual_mov_b32 v114, v61
	s_delay_alu instid0(VALU_DEP_4) | instskip(NEXT) | instid1(VALU_DEP_3)
	v_dual_fma_f32 v19, v94, v54, -v19 :: v_dual_add_f32 v9, v9, v11
	v_dual_add_f32 v11, v15, v17 :: v_dual_fmac_f32 v113, v97, v56
	v_pk_mul_f32 v[116:117], v[78:79], v[62:63] op_sel:[1,1] op_sel_hi:[0,1]
	s_delay_alu instid0(VALU_DEP_3)
	v_dual_fma_f32 v112, v96, v56, -v21 :: v_dual_add_f32 v57, v9, v13
	v_pk_mul_f32 v[54:55], v[104:105], v[114:115] op_sel_hi:[1,0]
	s_wait_loadcnt 0x3
	v_dual_add_f32 v56, v11, v19 :: v_dual_mov_b32 v90, v69
	v_fmac_f32_e32 v115, v75, v58
	v_fma_f32 v114, v74, v58, -v23
	v_pk_fma_f32 v[58:59], v[76:77], v[60:61], v[54:55] op_sel_hi:[1,0,1]
	s_delay_alu instid0(VALU_DEP_4) | instskip(SKIP_4) | instid1(VALU_DEP_4)
	v_pk_add_f32 v[56:57], v[56:57], v[112:113]
	v_pk_fma_f32 v[74:75], v[78:79], v[62:63], v[116:117] op_sel_hi:[1,0,1]
	v_pk_fma_f32 v[54:55], v[76:77], v[60:61], v[54:55] neg_lo:[0,0,1] neg_hi:[0,0,1]
	v_pk_fma_f32 v[60:61], v[78:79], v[62:63], v[116:117] neg_lo:[0,0,1] neg_hi:[0,0,1]
	v_pk_mul_f32 v[50:51], v[106:107], v[50:51] op_sel_hi:[1,0]
	v_dual_mov_b32 v55, v59 :: v_dual_mov_b32 v61, v75
	v_pk_add_f32 v[56:57], v[56:57], v[114:115]
	v_pk_mul_f32 v[52:53], v[82:83], v[66:67] op_sel:[1,1] op_sel_hi:[0,1]
	s_delay_alu instid0(VALU_DEP_4)
	v_pk_fma_f32 v[62:63], v[80:81], v[64:65], v[50:51] op_sel_hi:[1,0,1]
	v_pk_fma_f32 v[50:51], v[80:81], v[64:65], v[50:51] neg_lo:[0,0,1] neg_hi:[0,0,1]
	v_pk_mul_f32 v[74:75], v[108:109], v[90:91] op_sel_hi:[1,0]
	v_pk_add_f32 v[54:55], v[56:57], v[54:55]
	v_pk_fma_f32 v[56:57], v[82:83], v[66:67], v[52:53] op_sel_hi:[1,0,1]
	s_wait_loadcnt 0x2
	v_dual_mov_b32 v51, v63 :: v_dual_mov_b32 v56, v73
	v_pk_fma_f32 v[52:53], v[82:83], v[66:67], v[52:53] neg_lo:[0,0,1] neg_hi:[0,0,1]
	v_pk_add_f32 v[54:55], v[54:55], v[60:61]
	v_pk_mul_f32 v[58:59], v[86:87], v[70:71] op_sel:[1,1] op_sel_hi:[0,1]
	v_pk_fma_f32 v[60:61], v[84:85], v[68:69], v[74:75] op_sel_hi:[1,0,1]
	v_mov_b32_e32 v53, v57
	v_pk_fma_f32 v[62:63], v[84:85], v[68:69], v[74:75] neg_lo:[0,0,1] neg_hi:[0,0,1]
	v_pk_add_f32 v[50:51], v[54:55], v[50:51]
	v_pk_fma_f32 v[54:55], v[86:87], v[70:71], v[58:59] op_sel_hi:[1,0,1]
	v_pk_mul_f32 v[56:57], v[110:111], v[56:57] op_sel_hi:[1,0]
	v_mov_b32_e32 v63, v61
	s_delay_alu instid0(VALU_DEP_4)
	v_pk_add_f32 v[50:51], v[50:51], v[52:53]
	v_pk_fma_f32 v[52:53], v[86:87], v[70:71], v[58:59] neg_lo:[0,0,1] neg_hi:[0,0,1]
	v_mov_b32_e32 v53, v55
	v_pk_fma_f32 v[54:55], v[88:89], v[72:73], v[56:57] op_sel_hi:[1,0,1]
	s_wait_loadcnt_dscnt 0x100
	v_pk_mul_f32 v[58:59], v[102:103], v[98:99] op_sel:[1,1] op_sel_hi:[0,1]
	v_pk_add_f32 v[50:51], v[50:51], v[62:63]
	v_pk_fma_f32 v[56:57], v[88:89], v[72:73], v[56:57] neg_lo:[0,0,1] neg_hi:[0,0,1]
	v_mov_b32_e32 v57, v55
	s_delay_alu instid0(VALU_DEP_4) | instskip(NEXT) | instid1(VALU_DEP_4)
	v_pk_fma_f32 v[54:55], v[102:103], v[98:99], v[58:59] neg_lo:[0,0,1] neg_hi:[0,0,1]
	v_pk_add_f32 v[50:51], v[50:51], v[52:53]
	v_pk_fma_f32 v[52:53], v[102:103], v[98:99], v[58:59] op_sel_hi:[1,0,1]
	s_delay_alu instid0(VALU_DEP_2) | instskip(NEXT) | instid1(VALU_DEP_2)
	v_pk_add_f32 v[50:51], v[50:51], v[56:57]
	v_mov_b32_e32 v55, v53
	s_delay_alu instid0(VALU_DEP_1) | instskip(SKIP_1) | instid1(VALU_DEP_1)
	v_pk_add_f32 v[50:51], v[50:51], v[54:55]
	s_wait_loadcnt 0x0
	v_pk_add_f32 v[50:51], v[100:101], v[50:51] neg_lo:[0,1] neg_hi:[0,1]
	scratch_store_b64 off, v[50:51], off offset:80
	s_wait_xcnt 0x0
	v_cmpx_lt_u32_e32 9, v0
	s_cbranch_execz .LBB23_139
; %bb.138:
	scratch_load_b64 v[50:51], off, off offset:72
	v_mov_b64_e32 v[52:53], 0
	scratch_store_b64 off, v[52:53], off offset:72
	s_wait_loadcnt 0x0
	ds_store_b64 v1, v[50:51]
.LBB23_139:
	s_wait_xcnt 0x0
	s_or_b32 exec_lo, exec_lo, s0
	s_wait_storecnt_dscnt 0x0
	s_barrier_signal -1
	s_barrier_wait -1
	s_clause 0x7
	scratch_load_b128 v[50:53], off, off offset:80
	scratch_load_b128 v[54:57], off, off offset:96
	;; [unrolled: 1-line block ×7, first 2 shown]
	scratch_load_b64 v[106:107], off, off offset:72
	ds_load_b128 v[78:81], v5 offset:320
	ds_load_b128 v[82:85], v5 offset:336
	;; [unrolled: 1-line block ×7, first 2 shown]
	s_mov_b32 s0, exec_lo
	s_wait_dscnt 0x6
	v_dual_mov_b32 v108, v81 :: v_dual_mov_b32 v109, v80
	s_wait_dscnt 0x5
	v_dual_mov_b32 v110, v85 :: v_dual_mov_b32 v111, v84
	s_wait_dscnt 0x4
	v_dual_mov_b32 v112, v89 :: v_dual_mov_b32 v113, v88
	s_wait_dscnt 0x3
	v_dual_mov_b32 v114, v93 :: v_dual_mov_b32 v115, v92
	s_wait_loadcnt_dscnt 0x702
	v_dual_mul_f32 v5, v94, v51 :: v_dual_mul_f32 v9, v96, v53
	v_dual_mul_f32 v15, v95, v51 :: v_dual_mul_f32 v17, v97, v53
	s_wait_loadcnt_dscnt 0x601
	v_dual_mul_f32 v11, v98, v55 :: v_dual_mul_f32 v13, v100, v57
	s_delay_alu instid0(VALU_DEP_2) | instskip(SKIP_1) | instid1(VALU_DEP_2)
	v_dual_fmac_f32 v5, v95, v50 :: v_dual_fma_f32 v15, v94, v50, -v15
	v_dual_mul_f32 v19, v99, v55 :: v_dual_mul_f32 v21, v101, v57
	v_dual_fmac_f32 v9, v97, v52 :: v_dual_add_f32 v5, 0, v5
	s_delay_alu instid0(VALU_DEP_3) | instskip(SKIP_2) | instid1(VALU_DEP_3)
	v_dual_fma_f32 v17, v96, v52, -v17 :: v_dual_add_f32 v15, 0, v15
	s_wait_loadcnt 0x4
	v_dual_mov_b32 v52, v65 :: v_dual_fmac_f32 v11, v99, v54
	v_dual_fma_f32 v19, v98, v54, -v19 :: v_dual_add_f32 v5, v5, v9
	s_delay_alu instid0(VALU_DEP_3)
	v_dual_add_f32 v9, v15, v17 :: v_dual_fmac_f32 v13, v101, v56
	s_wait_dscnt 0x0
	v_dual_mul_f32 v117, v102, v59 :: v_dual_mul_f32 v119, v104, v61
	v_dual_mul_f32 v23, v103, v59 :: v_dual_mul_f32 v25, v105, v61
	v_pk_mul_f32 v[50:51], v[78:79], v[62:63] op_sel:[1,1] op_sel_hi:[0,1]
	s_wait_loadcnt 0x3
	v_pk_mul_f32 v[54:55], v[82:83], v[66:67] op_sel:[1,1] op_sel_hi:[0,1]
	v_dual_fma_f32 v15, v100, v56, -v21 :: v_dual_add_f32 v5, v5, v11
	v_dual_add_f32 v9, v9, v19 :: v_dual_fmac_f32 v117, v103, v58
	v_dual_mov_b32 v56, v69 :: v_dual_fma_f32 v116, v102, v58, -v23
	s_delay_alu instid0(VALU_DEP_3)
	v_dual_add_f32 v59, v5, v13 :: v_dual_fma_f32 v118, v104, v60, -v25
	v_fmac_f32_e32 v119, v105, v60
	v_pk_fma_f32 v[60:61], v[78:79], v[62:63], v[50:51] op_sel_hi:[1,0,1]
	v_pk_fma_f32 v[50:51], v[78:79], v[62:63], v[50:51] neg_lo:[0,0,1] neg_hi:[0,0,1]
	v_pk_fma_f32 v[62:63], v[82:83], v[66:67], v[54:55] op_sel_hi:[1,0,1]
	v_add_f32_e32 v58, v9, v15
	v_pk_fma_f32 v[54:55], v[82:83], v[66:67], v[54:55] neg_lo:[0,0,1] neg_hi:[0,0,1]
	v_pk_mul_f32 v[52:53], v[108:109], v[52:53] op_sel_hi:[1,0]
	s_delay_alu instid0(VALU_DEP_4) | instskip(NEXT) | instid1(VALU_DEP_4)
	v_dual_mov_b32 v51, v61 :: v_dual_mov_b32 v55, v63
	v_pk_add_f32 v[58:59], v[58:59], v[116:117]
	v_pk_mul_f32 v[56:57], v[110:111], v[56:57] op_sel_hi:[1,0]
	s_delay_alu instid0(VALU_DEP_4)
	v_pk_fma_f32 v[60:61], v[80:81], v[64:65], v[52:53] op_sel_hi:[1,0,1]
	v_pk_fma_f32 v[52:53], v[80:81], v[64:65], v[52:53] neg_lo:[0,0,1] neg_hi:[0,0,1]
	s_wait_loadcnt 0x2
	v_pk_mul_f32 v[94:95], v[86:87], v[70:71] op_sel:[1,1] op_sel_hi:[0,1]
	v_pk_add_f32 v[58:59], v[58:59], v[118:119]
	v_mov_b32_e32 v53, v61
	v_pk_fma_f32 v[60:61], v[84:85], v[68:69], v[56:57] op_sel_hi:[1,0,1]
	v_pk_fma_f32 v[56:57], v[84:85], v[68:69], v[56:57] neg_lo:[0,0,1] neg_hi:[0,0,1]
	s_delay_alu instid0(VALU_DEP_4) | instskip(NEXT) | instid1(VALU_DEP_3)
	v_pk_add_f32 v[50:51], v[58:59], v[50:51]
	v_dual_mov_b32 v58, v73 :: v_dual_mov_b32 v57, v61
	v_pk_fma_f32 v[60:61], v[86:87], v[70:71], v[94:95] neg_lo:[0,0,1] neg_hi:[0,0,1]
	s_delay_alu instid0(VALU_DEP_3) | instskip(SKIP_1) | instid1(VALU_DEP_4)
	v_pk_add_f32 v[50:51], v[50:51], v[52:53]
	v_pk_fma_f32 v[52:53], v[86:87], v[70:71], v[94:95] op_sel_hi:[1,0,1]
	v_pk_mul_f32 v[58:59], v[112:113], v[58:59] op_sel_hi:[1,0]
	s_delay_alu instid0(VALU_DEP_3) | instskip(NEXT) | instid1(VALU_DEP_3)
	v_pk_add_f32 v[50:51], v[50:51], v[54:55]
	v_mov_b32_e32 v61, v53
	s_delay_alu instid0(VALU_DEP_3)
	v_pk_fma_f32 v[52:53], v[88:89], v[72:73], v[58:59] op_sel_hi:[1,0,1]
	s_wait_loadcnt 0x1
	v_pk_mul_f32 v[54:55], v[90:91], v[74:75] op_sel:[1,1] op_sel_hi:[0,1]
	v_mov_b32_e32 v52, v77
	v_pk_add_f32 v[50:51], v[50:51], v[56:57]
	v_pk_fma_f32 v[58:59], v[88:89], v[72:73], v[58:59] neg_lo:[0,0,1] neg_hi:[0,0,1]
	s_delay_alu instid0(VALU_DEP_4) | instskip(SKIP_1) | instid1(VALU_DEP_4)
	v_pk_fma_f32 v[56:57], v[90:91], v[74:75], v[54:55] op_sel_hi:[1,0,1]
	v_mov_b32_e32 v59, v53
	v_pk_add_f32 v[50:51], v[50:51], v[60:61]
	v_pk_mul_f32 v[52:53], v[114:115], v[52:53] op_sel_hi:[1,0]
	v_pk_fma_f32 v[54:55], v[90:91], v[74:75], v[54:55] neg_lo:[0,0,1] neg_hi:[0,0,1]
	v_mov_b32_e32 v55, v57
	s_delay_alu instid0(VALU_DEP_4) | instskip(NEXT) | instid1(VALU_DEP_4)
	v_pk_add_f32 v[50:51], v[50:51], v[58:59]
	v_pk_fma_f32 v[56:57], v[92:93], v[76:77], v[52:53] op_sel_hi:[1,0,1]
	v_pk_fma_f32 v[52:53], v[92:93], v[76:77], v[52:53] neg_lo:[0,0,1] neg_hi:[0,0,1]
	s_delay_alu instid0(VALU_DEP_3) | instskip(NEXT) | instid1(VALU_DEP_3)
	v_pk_add_f32 v[50:51], v[50:51], v[54:55]
	v_mov_b32_e32 v53, v57
	s_delay_alu instid0(VALU_DEP_1) | instskip(SKIP_1) | instid1(VALU_DEP_1)
	v_pk_add_f32 v[50:51], v[50:51], v[52:53]
	s_wait_loadcnt 0x0
	v_pk_add_f32 v[50:51], v[106:107], v[50:51] neg_lo:[0,1] neg_hi:[0,1]
	scratch_store_b64 off, v[50:51], off offset:72
	s_wait_xcnt 0x0
	v_cmpx_lt_u32_e32 8, v0
	s_cbranch_execz .LBB23_141
; %bb.140:
	scratch_load_b64 v[50:51], off, off offset:64
	v_mov_b64_e32 v[52:53], 0
	scratch_store_b64 off, v[52:53], off offset:64
	s_wait_loadcnt 0x0
	ds_store_b64 v1, v[50:51]
.LBB23_141:
	s_wait_xcnt 0x0
	s_or_b32 exec_lo, exec_lo, s0
	s_wait_storecnt_dscnt 0x0
	s_barrier_signal -1
	s_barrier_wait -1
	s_clause 0x8
	scratch_load_b128 v[50:53], off, off offset:72
	scratch_load_b128 v[54:57], off, off offset:88
	;; [unrolled: 1-line block ×7, first 2 shown]
	scratch_load_b64 v[106:107], off, off offset:184
	scratch_load_b64 v[108:109], off, off offset:64
	v_mov_b32_e32 v5, 0
	ds_load_2addr_b64 v[78:81], v5 offset0:39 offset1:40
	ds_load_2addr_b64 v[82:85], v5 offset0:41 offset1:42
	;; [unrolled: 1-line block ×7, first 2 shown]
	ds_load_b64 v[110:111], v5 offset:376
	s_mov_b32 s0, exec_lo
	s_wait_dscnt 0x7
	v_dual_mov_b32 v112, v81 :: v_dual_mov_b32 v113, v80
	s_wait_dscnt 0x4
	v_dual_mov_b32 v114, v85 :: v_dual_mov_b32 v119, v92
	v_dual_mov_b32 v115, v84 :: v_dual_mov_b32 v116, v89
	;; [unrolled: 1-line block ×3, first 2 shown]
	s_wait_loadcnt_dscnt 0x803
	v_dual_mul_f32 v9, v94, v51 :: v_dual_mul_f32 v19, v95, v51
	v_dual_mul_f32 v21, v97, v53 :: v_dual_mul_f32 v11, v96, v53
	s_wait_loadcnt_dscnt 0x702
	v_mul_f32_e32 v13, v98, v55
	s_wait_loadcnt 0x5
	v_dual_mul_f32 v31, v79, v63 :: v_dual_fma_f32 v19, v94, v50, -v19
	v_dual_fmac_f32 v9, v95, v50 :: v_dual_mov_b32 v50, v65
	v_dual_mul_f32 v23, v99, v55 :: v_dual_mul_f32 v25, v101, v57
	v_dual_fmac_f32 v11, v97, v52 :: v_dual_fma_f32 v21, v96, v52, -v21
	s_delay_alu instid0(VALU_DEP_3) | instskip(SKIP_3) | instid1(VALU_DEP_3)
	v_dual_add_f32 v9, 0, v9 :: v_dual_add_f32 v19, 0, v19
	s_wait_dscnt 0x1
	v_dual_mul_f32 v15, v100, v57 :: v_dual_mul_f32 v17, v102, v59
	v_dual_fmac_f32 v13, v99, v54 :: v_dual_fma_f32 v23, v98, v54, -v23
	v_dual_add_f32 v9, v9, v11 :: v_dual_add_f32 v11, v19, v21
	v_dual_mul_f32 v27, v103, v59 :: v_dual_mul_f32 v29, v105, v61
	s_wait_loadcnt 0x4
	v_dual_mov_b32 v54, v69 :: v_dual_fma_f32 v19, v100, v56, -v25
	s_delay_alu instid0(VALU_DEP_3) | instskip(SKIP_2) | instid1(VALU_DEP_2)
	v_dual_fmac_f32 v15, v101, v56 :: v_dual_add_f32 v11, v11, v23
	v_dual_add_f32 v9, v9, v13 :: v_dual_fmac_f32 v17, v103, v58
	v_dual_mul_f32 v121, v104, v61 :: v_dual_mul_f32 v123, v78, v63
	v_dual_fma_f32 v13, v102, v58, -v27 :: v_dual_add_f32 v9, v9, v15
	s_delay_alu instid0(VALU_DEP_2) | instskip(SKIP_1) | instid1(VALU_DEP_3)
	v_dual_add_f32 v11, v11, v19 :: v_dual_fmac_f32 v121, v105, v60
	v_pk_mul_f32 v[52:53], v[82:83], v[66:67] op_sel:[1,1] op_sel_hi:[0,1]
	v_dual_fma_f32 v120, v104, v60, -v29 :: v_dual_add_f32 v59, v9, v17
	v_pk_mul_f32 v[50:51], v[112:113], v[50:51] op_sel_hi:[1,0]
	s_wait_loadcnt 0x3
	v_dual_add_f32 v58, v11, v13 :: v_dual_mov_b32 v60, v73
	v_fmac_f32_e32 v123, v79, v62
	v_fma_f32 v122, v78, v62, -v31
	v_pk_fma_f32 v[62:63], v[80:81], v[64:65], v[50:51] op_sel_hi:[1,0,1]
	s_delay_alu instid0(VALU_DEP_4) | instskip(SKIP_4) | instid1(VALU_DEP_4)
	v_pk_add_f32 v[58:59], v[58:59], v[120:121]
	v_pk_fma_f32 v[78:79], v[82:83], v[66:67], v[52:53] op_sel_hi:[1,0,1]
	v_pk_fma_f32 v[50:51], v[80:81], v[64:65], v[50:51] neg_lo:[0,0,1] neg_hi:[0,0,1]
	v_pk_fma_f32 v[52:53], v[82:83], v[66:67], v[52:53] neg_lo:[0,0,1] neg_hi:[0,0,1]
	v_pk_mul_f32 v[54:55], v[114:115], v[54:55] op_sel_hi:[1,0]
	v_dual_mov_b32 v51, v63 :: v_dual_mov_b32 v53, v79
	v_pk_add_f32 v[58:59], v[58:59], v[122:123]
	v_pk_mul_f32 v[56:57], v[86:87], v[70:71] op_sel:[1,1] op_sel_hi:[0,1]
	s_delay_alu instid0(VALU_DEP_4)
	v_pk_fma_f32 v[64:65], v[84:85], v[68:69], v[54:55] op_sel_hi:[1,0,1]
	v_pk_fma_f32 v[54:55], v[84:85], v[68:69], v[54:55] neg_lo:[0,0,1] neg_hi:[0,0,1]
	v_pk_mul_f32 v[60:61], v[116:117], v[60:61] op_sel_hi:[1,0]
	v_pk_add_f32 v[50:51], v[58:59], v[50:51]
	v_pk_fma_f32 v[58:59], v[86:87], v[70:71], v[56:57] op_sel_hi:[1,0,1]
	v_mov_b32_e32 v55, v65
	v_pk_fma_f32 v[56:57], v[86:87], v[70:71], v[56:57] neg_lo:[0,0,1] neg_hi:[0,0,1]
	s_wait_loadcnt 0x2
	v_pk_mul_f32 v[62:63], v[90:91], v[74:75] op_sel:[1,1] op_sel_hi:[0,1]
	v_pk_add_f32 v[50:51], v[50:51], v[52:53]
	v_dual_mov_b32 v52, v77 :: v_dual_mov_b32 v57, v59
	v_pk_fma_f32 v[58:59], v[88:89], v[72:73], v[60:61] op_sel_hi:[1,0,1]
	v_pk_fma_f32 v[60:61], v[88:89], v[72:73], v[60:61] neg_lo:[0,0,1] neg_hi:[0,0,1]
	s_delay_alu instid0(VALU_DEP_4)
	v_pk_add_f32 v[50:51], v[50:51], v[54:55]
	v_pk_fma_f32 v[54:55], v[90:91], v[74:75], v[62:63] op_sel_hi:[1,0,1]
	v_pk_mul_f32 v[52:53], v[118:119], v[52:53] op_sel_hi:[1,0]
	v_mov_b32_e32 v61, v59
	s_wait_loadcnt_dscnt 0x100
	v_pk_mul_f32 v[58:59], v[110:111], v[106:107] op_sel:[1,1] op_sel_hi:[0,1]
	v_pk_add_f32 v[50:51], v[50:51], v[56:57]
	v_pk_fma_f32 v[56:57], v[90:91], v[74:75], v[62:63] neg_lo:[0,0,1] neg_hi:[0,0,1]
	v_mov_b32_e32 v57, v55
	v_pk_fma_f32 v[54:55], v[92:93], v[76:77], v[52:53] op_sel_hi:[1,0,1]
	v_pk_fma_f32 v[52:53], v[92:93], v[76:77], v[52:53] neg_lo:[0,0,1] neg_hi:[0,0,1]
	v_pk_add_f32 v[50:51], v[50:51], v[60:61]
	s_delay_alu instid0(VALU_DEP_3) | instskip(SKIP_1) | instid1(VALU_DEP_3)
	v_mov_b32_e32 v53, v55
	v_pk_fma_f32 v[54:55], v[110:111], v[106:107], v[58:59] op_sel_hi:[1,0,1]
	v_pk_add_f32 v[50:51], v[50:51], v[56:57]
	v_pk_fma_f32 v[56:57], v[110:111], v[106:107], v[58:59] neg_lo:[0,0,1] neg_hi:[0,0,1]
	s_delay_alu instid0(VALU_DEP_3) | instskip(NEXT) | instid1(VALU_DEP_3)
	v_mov_b32_e32 v57, v55
	v_pk_add_f32 v[50:51], v[50:51], v[52:53]
	s_delay_alu instid0(VALU_DEP_1) | instskip(SKIP_1) | instid1(VALU_DEP_1)
	v_pk_add_f32 v[50:51], v[50:51], v[56:57]
	s_wait_loadcnt 0x0
	v_pk_add_f32 v[50:51], v[108:109], v[50:51] neg_lo:[0,1] neg_hi:[0,1]
	scratch_store_b64 off, v[50:51], off offset:64
	s_wait_xcnt 0x0
	v_cmpx_lt_u32_e32 7, v0
	s_cbranch_execz .LBB23_143
; %bb.142:
	scratch_load_b64 v[50:51], off, off offset:56
	v_mov_b64_e32 v[52:53], 0
	scratch_store_b64 off, v[52:53], off offset:56
	s_wait_loadcnt 0x0
	ds_store_b64 v1, v[50:51]
.LBB23_143:
	s_wait_xcnt 0x0
	s_or_b32 exec_lo, exec_lo, s0
	s_wait_storecnt_dscnt 0x0
	s_barrier_signal -1
	s_barrier_wait -1
	s_clause 0x8
	scratch_load_b128 v[50:53], off, off offset:64
	scratch_load_b128 v[54:57], off, off offset:80
	;; [unrolled: 1-line block ×8, first 2 shown]
	scratch_load_b64 v[114:115], off, off offset:56
	ds_load_b128 v[82:85], v5 offset:320
	ds_load_b128 v[86:89], v5 offset:336
	;; [unrolled: 1-line block ×8, first 2 shown]
	s_mov_b32 s0, exec_lo
	s_wait_dscnt 0x7
	v_dual_mov_b32 v116, v85 :: v_dual_mov_b32 v117, v84
	s_wait_dscnt 0x6
	v_dual_mov_b32 v118, v89 :: v_dual_mov_b32 v119, v88
	;; [unrolled: 2-line block ×4, first 2 shown]
	s_wait_loadcnt_dscnt 0x803
	v_dual_mul_f32 v5, v98, v51 :: v_dual_mul_f32 v9, v100, v53
	v_dual_mul_f32 v19, v99, v51 :: v_dual_mul_f32 v21, v101, v53
	s_wait_loadcnt_dscnt 0x702
	v_dual_mul_f32 v11, v102, v55 :: v_dual_mul_f32 v13, v104, v57
	s_delay_alu instid0(VALU_DEP_2) | instskip(SKIP_3) | instid1(VALU_DEP_3)
	v_dual_fmac_f32 v5, v99, v50 :: v_dual_fma_f32 v19, v98, v50, -v19
	v_dual_mul_f32 v23, v103, v55 :: v_dual_mul_f32 v25, v105, v57
	s_wait_loadcnt_dscnt 0x500
	v_dual_mul_f32 v31, v111, v63 :: v_dual_fmac_f32 v9, v101, v52
	v_dual_fma_f32 v21, v100, v52, -v21 :: v_dual_add_f32 v5, 0, v5
	v_dual_add_f32 v19, 0, v19 :: v_dual_mul_f32 v33, v113, v65
	v_fmac_f32_e32 v11, v103, v54
	s_delay_alu instid0(VALU_DEP_3) | instskip(NEXT) | instid1(VALU_DEP_3)
	v_dual_fma_f32 v23, v102, v54, -v23 :: v_dual_add_f32 v5, v5, v9
	v_dual_add_f32 v9, v19, v21 :: v_dual_mul_f32 v15, v106, v59
	v_dual_mul_f32 v17, v108, v61 :: v_dual_mul_f32 v27, v107, v59
	v_mul_f32_e32 v29, v109, v61
	s_delay_alu instid0(VALU_DEP_3) | instskip(SKIP_1) | instid1(VALU_DEP_4)
	v_dual_fmac_f32 v13, v105, v56 :: v_dual_fmac_f32 v15, v107, v58
	v_dual_fma_f32 v19, v104, v56, -v25 :: v_dual_add_f32 v5, v5, v11
	v_dual_add_f32 v9, v9, v23 :: v_dual_fma_f32 v11, v106, v58, -v27
	v_dual_mul_f32 v125, v110, v63 :: v_dual_mul_f32 v127, v112, v65
	s_delay_alu instid0(VALU_DEP_3) | instskip(NEXT) | instid1(VALU_DEP_3)
	v_add_f32_e32 v5, v5, v13
	v_dual_add_f32 v9, v9, v19 :: v_dual_fma_f32 v124, v110, v62, -v31
	s_wait_loadcnt 0x4
	v_dual_mov_b32 v52, v69 :: v_dual_fma_f32 v13, v108, v60, -v29
	v_fmac_f32_e32 v17, v109, v60
	s_delay_alu instid0(VALU_DEP_3) | instskip(SKIP_2) | instid1(VALU_DEP_3)
	v_dual_add_f32 v9, v9, v11 :: v_dual_fmac_f32 v125, v111, v62
	v_dual_add_f32 v5, v5, v15 :: v_dual_fma_f32 v126, v112, v64, -v33
	v_pk_mul_f32 v[50:51], v[82:83], v[66:67] op_sel:[1,1] op_sel_hi:[0,1]
	v_add_f32_e32 v58, v9, v13
	v_fmac_f32_e32 v127, v113, v64
	s_delay_alu instid0(VALU_DEP_4)
	v_add_f32_e32 v59, v5, v17
	v_pk_mul_f32 v[52:53], v[116:117], v[52:53] op_sel_hi:[1,0]
	v_pk_fma_f32 v[60:61], v[82:83], v[66:67], v[50:51] op_sel_hi:[1,0,1]
	v_pk_fma_f32 v[50:51], v[82:83], v[66:67], v[50:51] neg_lo:[0,0,1] neg_hi:[0,0,1]
	s_wait_loadcnt 0x3
	v_pk_mul_f32 v[54:55], v[86:87], v[70:71] op_sel:[1,1] op_sel_hi:[0,1]
	v_pk_add_f32 v[58:59], v[58:59], v[124:125]
	v_dual_mov_b32 v56, v73 :: v_dual_mov_b32 v51, v61
	v_pk_fma_f32 v[60:61], v[84:85], v[68:69], v[52:53] op_sel_hi:[1,0,1]
	v_pk_fma_f32 v[52:53], v[84:85], v[68:69], v[52:53] neg_lo:[0,0,1] neg_hi:[0,0,1]
	s_delay_alu instid0(VALU_DEP_4)
	v_pk_add_f32 v[58:59], v[58:59], v[126:127]
	v_pk_fma_f32 v[64:65], v[86:87], v[70:71], v[54:55] op_sel_hi:[1,0,1]
	v_pk_mul_f32 v[56:57], v[118:119], v[56:57] op_sel_hi:[1,0]
	v_mov_b32_e32 v53, v61
	s_wait_loadcnt 0x2
	v_pk_mul_f32 v[62:63], v[90:91], v[74:75] op_sel:[1,1] op_sel_hi:[0,1]
	v_pk_add_f32 v[50:51], v[58:59], v[50:51]
	v_mov_b32_e32 v58, v77
	v_pk_fma_f32 v[54:55], v[86:87], v[70:71], v[54:55] neg_lo:[0,0,1] neg_hi:[0,0,1]
	v_pk_fma_f32 v[60:61], v[88:89], v[72:73], v[56:57] op_sel_hi:[1,0,1]
	v_mov_b32_e32 v55, v65
	v_pk_add_f32 v[50:51], v[50:51], v[52:53]
	v_pk_fma_f32 v[52:53], v[90:91], v[74:75], v[62:63] op_sel_hi:[1,0,1]
	v_pk_mul_f32 v[58:59], v[120:121], v[58:59] op_sel_hi:[1,0]
	v_pk_fma_f32 v[56:57], v[88:89], v[72:73], v[56:57] neg_lo:[0,0,1] neg_hi:[0,0,1]
	v_mov_b32_e32 v57, v61
	v_pk_add_f32 v[50:51], v[50:51], v[54:55]
	v_pk_fma_f32 v[60:61], v[90:91], v[74:75], v[62:63] neg_lo:[0,0,1] neg_hi:[0,0,1]
	v_mov_b32_e32 v61, v53
	v_pk_fma_f32 v[52:53], v[92:93], v[76:77], v[58:59] op_sel_hi:[1,0,1]
	s_wait_loadcnt 0x1
	v_pk_mul_f32 v[54:55], v[94:95], v[78:79] op_sel:[1,1] op_sel_hi:[0,1]
	v_pk_add_f32 v[50:51], v[50:51], v[56:57]
	v_mov_b32_e32 v52, v81
	v_pk_fma_f32 v[58:59], v[92:93], v[76:77], v[58:59] neg_lo:[0,0,1] neg_hi:[0,0,1]
	s_delay_alu instid0(VALU_DEP_4)
	v_pk_fma_f32 v[56:57], v[94:95], v[78:79], v[54:55] op_sel_hi:[1,0,1]
	v_mov_b32_e32 v59, v53
	v_pk_add_f32 v[50:51], v[50:51], v[60:61]
	v_pk_mul_f32 v[52:53], v[122:123], v[52:53] op_sel_hi:[1,0]
	v_pk_fma_f32 v[54:55], v[94:95], v[78:79], v[54:55] neg_lo:[0,0,1] neg_hi:[0,0,1]
	v_mov_b32_e32 v55, v57
	s_delay_alu instid0(VALU_DEP_4) | instskip(NEXT) | instid1(VALU_DEP_4)
	v_pk_add_f32 v[50:51], v[50:51], v[58:59]
	v_pk_fma_f32 v[56:57], v[96:97], v[80:81], v[52:53] op_sel_hi:[1,0,1]
	v_pk_fma_f32 v[52:53], v[96:97], v[80:81], v[52:53] neg_lo:[0,0,1] neg_hi:[0,0,1]
	s_delay_alu instid0(VALU_DEP_3) | instskip(NEXT) | instid1(VALU_DEP_3)
	v_pk_add_f32 v[50:51], v[50:51], v[54:55]
	v_mov_b32_e32 v53, v57
	s_delay_alu instid0(VALU_DEP_1) | instskip(SKIP_1) | instid1(VALU_DEP_1)
	v_pk_add_f32 v[50:51], v[50:51], v[52:53]
	s_wait_loadcnt 0x0
	v_pk_add_f32 v[50:51], v[114:115], v[50:51] neg_lo:[0,1] neg_hi:[0,1]
	scratch_store_b64 off, v[50:51], off offset:56
	s_wait_xcnt 0x0
	v_cmpx_lt_u32_e32 6, v0
	s_cbranch_execz .LBB23_145
; %bb.144:
	scratch_load_b64 v[50:51], off, off offset:48
	v_mov_b64_e32 v[52:53], 0
	scratch_store_b64 off, v[52:53], off offset:48
	s_wait_loadcnt 0x0
	ds_store_b64 v1, v[50:51]
.LBB23_145:
	s_wait_xcnt 0x0
	s_or_b32 exec_lo, exec_lo, s0
	s_wait_storecnt_dscnt 0x0
	s_barrier_signal -1
	s_barrier_wait -1
	s_clause 0x9
	scratch_load_b128 v[50:53], off, off offset:56
	scratch_load_b128 v[54:57], off, off offset:72
	;; [unrolled: 1-line block ×8, first 2 shown]
	scratch_load_b64 v[114:115], off, off offset:184
	scratch_load_b64 v[116:117], off, off offset:48
	v_mov_b32_e32 v5, 0
	ds_load_2addr_b64 v[82:85], v5 offset0:39 offset1:40
	ds_load_2addr_b64 v[86:89], v5 offset0:41 offset1:42
	;; [unrolled: 1-line block ×8, first 2 shown]
	ds_load_b64 v[118:119], v5 offset:376
	s_mov_b32 s0, exec_lo
	s_wait_dscnt 0x8
	v_dual_mov_b32 v120, v85 :: v_dual_mov_b32 v121, v84
	s_wait_dscnt 0x5
	v_dual_mov_b32 v122, v89 :: v_dual_mov_b32 v127, v96
	v_dual_mov_b32 v123, v88 :: v_dual_mov_b32 v124, v93
	;; [unrolled: 1-line block ×3, first 2 shown]
	s_wait_loadcnt_dscnt 0x904
	v_dual_mul_f32 v9, v98, v51 :: v_dual_mul_f32 v23, v99, v51
	v_dual_mul_f32 v25, v101, v53 :: v_dual_mul_f32 v11, v100, v53
	s_wait_loadcnt_dscnt 0x803
	v_mul_f32_e32 v13, v102, v55
	s_wait_loadcnt_dscnt 0x601
	v_dual_mul_f32 v35, v111, v63 :: v_dual_fma_f32 v23, v98, v50, -v23
	v_dual_fmac_f32 v9, v99, v50 :: v_dual_mul_f32 v37, v113, v65
	v_dual_mul_f32 v27, v103, v55 :: v_dual_mul_f32 v29, v105, v57
	v_dual_fmac_f32 v11, v101, v52 :: v_dual_fma_f32 v25, v100, v52, -v25
	s_delay_alu instid0(VALU_DEP_3) | instskip(SKIP_3) | instid1(VALU_DEP_3)
	v_dual_add_f32 v9, 0, v9 :: v_dual_add_f32 v23, 0, v23
	v_dual_mul_f32 v15, v104, v57 :: v_dual_mul_f32 v17, v106, v59
	s_wait_loadcnt 0x5
	v_dual_mul_f32 v39, v83, v67 :: v_dual_fma_f32 v27, v102, v54, -v27
	v_dual_fmac_f32 v13, v103, v54 :: v_dual_add_f32 v9, v9, v11
	v_dual_add_f32 v11, v23, v25 :: v_dual_mov_b32 v50, v69
	v_dual_mul_f32 v31, v107, v59 :: v_dual_mul_f32 v33, v109, v61
	v_dual_fmac_f32 v15, v105, v56 :: v_dual_fma_f32 v23, v104, v56, -v29
	s_delay_alu instid0(VALU_DEP_3) | instskip(SKIP_1) | instid1(VALU_DEP_4)
	v_dual_add_f32 v9, v9, v13 :: v_dual_add_f32 v11, v11, v27
	v_dual_mul_f32 v19, v108, v61 :: v_dual_mul_f32 v21, v110, v63
	v_dual_fmac_f32 v17, v107, v58 :: v_dual_fma_f32 v13, v106, v58, -v31
	s_delay_alu instid0(VALU_DEP_3) | instskip(SKIP_3) | instid1(VALU_DEP_3)
	v_dual_add_f32 v9, v9, v15 :: v_dual_fma_f32 v15, v108, v60, -v33
	s_wait_loadcnt 0x4
	v_dual_add_f32 v11, v11, v23 :: v_dual_mov_b32 v54, v73
	v_fmac_f32_e32 v19, v109, v60
	v_dual_add_f32 v9, v9, v17 :: v_dual_fmac_f32 v21, v111, v62
	s_delay_alu instid0(VALU_DEP_3) | instskip(SKIP_1) | instid1(VALU_DEP_3)
	v_add_f32_e32 v11, v11, v13
	v_dual_mul_f32 v129, v112, v65 :: v_dual_mul_f32 v131, v82, v67
	v_dual_fma_f32 v13, v110, v62, -v35 :: v_dual_add_f32 v9, v9, v19
	s_delay_alu instid0(VALU_DEP_2) | instskip(SKIP_1) | instid1(VALU_DEP_3)
	v_dual_add_f32 v11, v11, v15 :: v_dual_fmac_f32 v129, v113, v64
	v_pk_mul_f32 v[52:53], v[86:87], v[70:71] op_sel:[1,1] op_sel_hi:[0,1]
	v_dual_fma_f32 v128, v112, v64, -v37 :: v_dual_add_f32 v59, v9, v21
	v_pk_mul_f32 v[50:51], v[120:121], v[50:51] op_sel_hi:[1,0]
	s_wait_loadcnt 0x3
	v_dual_add_f32 v58, v11, v13 :: v_dual_mov_b32 v60, v77
	v_pk_fma_f32 v[64:65], v[86:87], v[70:71], v[52:53] op_sel_hi:[1,0,1]
	v_fmac_f32_e32 v131, v83, v66
	v_pk_fma_f32 v[62:63], v[84:85], v[68:69], v[50:51] op_sel_hi:[1,0,1]
	v_fma_f32 v130, v82, v66, -v39
	v_pk_add_f32 v[58:59], v[58:59], v[128:129]
	v_pk_fma_f32 v[50:51], v[84:85], v[68:69], v[50:51] neg_lo:[0,0,1] neg_hi:[0,0,1]
	v_pk_fma_f32 v[52:53], v[86:87], v[70:71], v[52:53] neg_lo:[0,0,1] neg_hi:[0,0,1]
	v_pk_mul_f32 v[54:55], v[122:123], v[54:55] op_sel_hi:[1,0]
	v_dual_mov_b32 v51, v63 :: v_dual_mov_b32 v53, v65
	v_pk_add_f32 v[58:59], v[58:59], v[130:131]
	v_pk_mul_f32 v[56:57], v[90:91], v[74:75] op_sel:[1,1] op_sel_hi:[0,1]
	s_delay_alu instid0(VALU_DEP_4)
	v_pk_fma_f32 v[64:65], v[88:89], v[72:73], v[54:55] op_sel_hi:[1,0,1]
	v_pk_fma_f32 v[54:55], v[88:89], v[72:73], v[54:55] neg_lo:[0,0,1] neg_hi:[0,0,1]
	v_pk_mul_f32 v[60:61], v[124:125], v[60:61] op_sel_hi:[1,0]
	v_pk_add_f32 v[50:51], v[58:59], v[50:51]
	v_pk_fma_f32 v[58:59], v[90:91], v[74:75], v[56:57] op_sel_hi:[1,0,1]
	v_mov_b32_e32 v55, v65
	v_pk_fma_f32 v[56:57], v[90:91], v[74:75], v[56:57] neg_lo:[0,0,1] neg_hi:[0,0,1]
	s_wait_loadcnt 0x2
	v_pk_mul_f32 v[62:63], v[94:95], v[78:79] op_sel:[1,1] op_sel_hi:[0,1]
	v_pk_add_f32 v[50:51], v[50:51], v[52:53]
	v_dual_mov_b32 v52, v81 :: v_dual_mov_b32 v57, v59
	v_pk_fma_f32 v[58:59], v[92:93], v[76:77], v[60:61] op_sel_hi:[1,0,1]
	v_pk_fma_f32 v[60:61], v[92:93], v[76:77], v[60:61] neg_lo:[0,0,1] neg_hi:[0,0,1]
	s_delay_alu instid0(VALU_DEP_4)
	v_pk_add_f32 v[50:51], v[50:51], v[54:55]
	v_pk_fma_f32 v[54:55], v[94:95], v[78:79], v[62:63] op_sel_hi:[1,0,1]
	v_pk_mul_f32 v[52:53], v[126:127], v[52:53] op_sel_hi:[1,0]
	v_mov_b32_e32 v61, v59
	s_wait_loadcnt_dscnt 0x100
	v_pk_mul_f32 v[58:59], v[118:119], v[114:115] op_sel:[1,1] op_sel_hi:[0,1]
	v_pk_add_f32 v[50:51], v[50:51], v[56:57]
	v_pk_fma_f32 v[56:57], v[94:95], v[78:79], v[62:63] neg_lo:[0,0,1] neg_hi:[0,0,1]
	v_mov_b32_e32 v57, v55
	v_pk_fma_f32 v[54:55], v[96:97], v[80:81], v[52:53] op_sel_hi:[1,0,1]
	v_pk_fma_f32 v[52:53], v[96:97], v[80:81], v[52:53] neg_lo:[0,0,1] neg_hi:[0,0,1]
	v_pk_add_f32 v[50:51], v[50:51], v[60:61]
	s_delay_alu instid0(VALU_DEP_3) | instskip(SKIP_1) | instid1(VALU_DEP_3)
	v_mov_b32_e32 v53, v55
	v_pk_fma_f32 v[54:55], v[118:119], v[114:115], v[58:59] op_sel_hi:[1,0,1]
	v_pk_add_f32 v[50:51], v[50:51], v[56:57]
	v_pk_fma_f32 v[56:57], v[118:119], v[114:115], v[58:59] neg_lo:[0,0,1] neg_hi:[0,0,1]
	s_delay_alu instid0(VALU_DEP_3) | instskip(NEXT) | instid1(VALU_DEP_3)
	v_mov_b32_e32 v57, v55
	v_pk_add_f32 v[50:51], v[50:51], v[52:53]
	s_delay_alu instid0(VALU_DEP_1) | instskip(SKIP_1) | instid1(VALU_DEP_1)
	v_pk_add_f32 v[50:51], v[50:51], v[56:57]
	s_wait_loadcnt 0x0
	v_pk_add_f32 v[50:51], v[116:117], v[50:51] neg_lo:[0,1] neg_hi:[0,1]
	scratch_store_b64 off, v[50:51], off offset:48
	s_wait_xcnt 0x0
	v_cmpx_lt_u32_e32 5, v0
	s_cbranch_execz .LBB23_147
; %bb.146:
	scratch_load_b64 v[50:51], off, off offset:40
	v_mov_b64_e32 v[52:53], 0
	scratch_store_b64 off, v[52:53], off offset:40
	s_wait_loadcnt 0x0
	ds_store_b64 v1, v[50:51]
.LBB23_147:
	s_wait_xcnt 0x0
	s_or_b32 exec_lo, exec_lo, s0
	s_wait_storecnt_dscnt 0x0
	s_barrier_signal -1
	s_barrier_wait -1
	s_clause 0x9
	scratch_load_b128 v[50:53], off, off offset:48
	scratch_load_b128 v[54:57], off, off offset:64
	;; [unrolled: 1-line block ×9, first 2 shown]
	scratch_load_b64 v[122:123], off, off offset:40
	ds_load_b128 v[86:89], v5 offset:320
	ds_load_b128 v[90:93], v5 offset:336
	;; [unrolled: 1-line block ×9, first 2 shown]
	s_mov_b32 s0, exec_lo
	s_wait_dscnt 0x8
	v_dual_mov_b32 v124, v89 :: v_dual_mov_b32 v125, v88
	s_wait_dscnt 0x7
	v_dual_mov_b32 v126, v93 :: v_dual_mov_b32 v127, v92
	;; [unrolled: 2-line block ×4, first 2 shown]
	s_wait_loadcnt_dscnt 0x904
	v_dual_mul_f32 v5, v102, v51 :: v_dual_mul_f32 v9, v104, v53
	v_dual_mul_f32 v23, v103, v51 :: v_dual_mul_f32 v25, v105, v53
	s_wait_loadcnt_dscnt 0x803
	v_dual_mul_f32 v11, v106, v55 :: v_dual_mul_f32 v13, v108, v57
	s_delay_alu instid0(VALU_DEP_2) | instskip(SKIP_3) | instid1(VALU_DEP_3)
	v_dual_fmac_f32 v5, v103, v50 :: v_dual_fma_f32 v23, v102, v50, -v23
	v_dual_mul_f32 v27, v107, v55 :: v_dual_mul_f32 v29, v109, v57
	s_wait_loadcnt_dscnt 0x601
	v_dual_mul_f32 v35, v115, v63 :: v_dual_fmac_f32 v9, v105, v52
	v_dual_fma_f32 v25, v104, v52, -v25 :: v_dual_add_f32 v5, 0, v5
	v_dual_add_f32 v23, 0, v23 :: v_dual_mul_f32 v37, v117, v65
	v_fmac_f32_e32 v11, v107, v54
	s_delay_alu instid0(VALU_DEP_3) | instskip(NEXT) | instid1(VALU_DEP_3)
	v_dual_fma_f32 v27, v106, v54, -v27 :: v_dual_add_f32 v5, v5, v9
	v_dual_add_f32 v9, v23, v25 :: v_dual_mul_f32 v15, v110, v59
	v_dual_mul_f32 v17, v112, v61 :: v_dual_mul_f32 v31, v111, v59
	s_wait_loadcnt_dscnt 0x500
	v_dual_mul_f32 v33, v113, v61 :: v_dual_mul_f32 v23, v119, v67
	v_fmac_f32_e32 v13, v109, v56
	v_dual_fma_f32 v25, v108, v56, -v29 :: v_dual_add_f32 v5, v5, v11
	v_dual_add_f32 v9, v9, v27 :: v_dual_fmac_f32 v15, v111, v58
	v_dual_mul_f32 v19, v114, v63 :: v_dual_mul_f32 v21, v116, v65
	v_dual_mul_f32 v11, v121, v69 :: v_dual_fma_f32 v27, v110, v58, -v31
	s_delay_alu instid0(VALU_DEP_4) | instskip(NEXT) | instid1(VALU_DEP_3)
	v_dual_add_f32 v5, v5, v13 :: v_dual_fma_f32 v13, v112, v60, -v33
	v_dual_add_f32 v9, v9, v25 :: v_dual_fmac_f32 v19, v115, v62
	v_dual_mul_f32 v133, v118, v67 :: v_dual_mul_f32 v135, v120, v69
	v_fmac_f32_e32 v17, v113, v60
	s_delay_alu instid0(VALU_DEP_4) | instskip(NEXT) | instid1(VALU_DEP_3)
	v_add_f32_e32 v5, v5, v15
	v_dual_add_f32 v9, v9, v27 :: v_dual_fmac_f32 v133, v119, v66
	v_dual_fma_f32 v15, v114, v62, -v35 :: v_dual_fmac_f32 v21, v117, v64
	s_delay_alu instid0(VALU_DEP_2)
	v_dual_fma_f32 v132, v118, v66, -v23 :: v_dual_add_f32 v9, v9, v13
	v_fma_f32 v134, v120, v68, -v11
	v_dual_fma_f32 v13, v116, v64, -v37 :: v_dual_add_f32 v5, v5, v17
	s_wait_loadcnt 0x4
	v_pk_mul_f32 v[50:51], v[86:87], v[70:71] op_sel:[1,1] op_sel_hi:[0,1]
	v_add_f32_e32 v9, v9, v15
	s_wait_loadcnt 0x3
	v_dual_mov_b32 v52, v73 :: v_dual_mov_b32 v56, v77
	v_add_f32_e32 v5, v5, v19
	v_fmac_f32_e32 v135, v121, v68
	v_add_f32_e32 v58, v9, v13
	v_pk_fma_f32 v[60:61], v[86:87], v[70:71], v[50:51] op_sel_hi:[1,0,1]
	v_pk_mul_f32 v[52:53], v[124:125], v[52:53] op_sel_hi:[1,0]
	v_add_f32_e32 v59, v5, v21
	v_pk_fma_f32 v[50:51], v[86:87], v[70:71], v[50:51] neg_lo:[0,0,1] neg_hi:[0,0,1]
	v_pk_mul_f32 v[54:55], v[90:91], v[74:75] op_sel:[1,1] op_sel_hi:[0,1]
	v_mov_b32_e32 v51, v61
	v_pk_fma_f32 v[60:61], v[88:89], v[72:73], v[52:53] op_sel_hi:[1,0,1]
	v_pk_add_f32 v[58:59], v[58:59], v[132:133]
	v_pk_fma_f32 v[52:53], v[88:89], v[72:73], v[52:53] neg_lo:[0,0,1] neg_hi:[0,0,1]
	v_pk_fma_f32 v[64:65], v[90:91], v[74:75], v[54:55] op_sel_hi:[1,0,1]
	v_pk_mul_f32 v[56:57], v[126:127], v[56:57] op_sel_hi:[1,0]
	v_mov_b32_e32 v53, v61
	v_pk_add_f32 v[58:59], v[58:59], v[134:135]
	s_wait_loadcnt 0x2
	v_pk_mul_f32 v[62:63], v[94:95], v[78:79] op_sel:[1,1] op_sel_hi:[0,1]
	v_pk_fma_f32 v[54:55], v[90:91], v[74:75], v[54:55] neg_lo:[0,0,1] neg_hi:[0,0,1]
	v_mov_b32_e32 v55, v65
	v_pk_fma_f32 v[60:61], v[92:93], v[76:77], v[56:57] op_sel_hi:[1,0,1]
	v_pk_add_f32 v[50:51], v[58:59], v[50:51]
	v_mov_b32_e32 v58, v81
	v_pk_fma_f32 v[56:57], v[92:93], v[76:77], v[56:57] neg_lo:[0,0,1] neg_hi:[0,0,1]
	s_delay_alu instid0(VALU_DEP_3) | instskip(SKIP_1) | instid1(VALU_DEP_4)
	v_pk_add_f32 v[50:51], v[50:51], v[52:53]
	v_pk_fma_f32 v[52:53], v[94:95], v[78:79], v[62:63] op_sel_hi:[1,0,1]
	v_pk_mul_f32 v[58:59], v[128:129], v[58:59] op_sel_hi:[1,0]
	v_mov_b32_e32 v57, v61
	v_pk_fma_f32 v[60:61], v[94:95], v[78:79], v[62:63] neg_lo:[0,0,1] neg_hi:[0,0,1]
	v_pk_add_f32 v[50:51], v[50:51], v[54:55]
	v_mov_b32_e32 v61, v53
	v_pk_fma_f32 v[52:53], v[96:97], v[80:81], v[58:59] op_sel_hi:[1,0,1]
	s_wait_loadcnt 0x1
	v_pk_mul_f32 v[54:55], v[98:99], v[82:83] op_sel:[1,1] op_sel_hi:[0,1]
	v_mov_b32_e32 v52, v85
	v_pk_add_f32 v[50:51], v[50:51], v[56:57]
	v_pk_fma_f32 v[58:59], v[96:97], v[80:81], v[58:59] neg_lo:[0,0,1] neg_hi:[0,0,1]
	v_mov_b32_e32 v59, v53
	v_pk_fma_f32 v[56:57], v[98:99], v[82:83], v[54:55] op_sel_hi:[1,0,1]
	v_pk_mul_f32 v[52:53], v[130:131], v[52:53] op_sel_hi:[1,0]
	v_pk_add_f32 v[50:51], v[50:51], v[60:61]
	v_pk_fma_f32 v[54:55], v[98:99], v[82:83], v[54:55] neg_lo:[0,0,1] neg_hi:[0,0,1]
	s_delay_alu instid0(VALU_DEP_4) | instskip(NEXT) | instid1(VALU_DEP_4)
	v_mov_b32_e32 v55, v57
	v_pk_fma_f32 v[56:57], v[100:101], v[84:85], v[52:53] op_sel_hi:[1,0,1]
	s_delay_alu instid0(VALU_DEP_4) | instskip(SKIP_1) | instid1(VALU_DEP_3)
	v_pk_add_f32 v[50:51], v[50:51], v[58:59]
	v_pk_fma_f32 v[52:53], v[100:101], v[84:85], v[52:53] neg_lo:[0,0,1] neg_hi:[0,0,1]
	v_mov_b32_e32 v53, v57
	s_delay_alu instid0(VALU_DEP_3) | instskip(NEXT) | instid1(VALU_DEP_1)
	v_pk_add_f32 v[50:51], v[50:51], v[54:55]
	v_pk_add_f32 v[50:51], v[50:51], v[52:53]
	s_wait_loadcnt 0x0
	s_delay_alu instid0(VALU_DEP_1)
	v_pk_add_f32 v[50:51], v[122:123], v[50:51] neg_lo:[0,1] neg_hi:[0,1]
	scratch_store_b64 off, v[50:51], off offset:40
	s_wait_xcnt 0x0
	v_cmpx_lt_u32_e32 4, v0
	s_cbranch_execz .LBB23_149
; %bb.148:
	scratch_load_b64 v[50:51], off, off offset:32
	v_mov_b64_e32 v[52:53], 0
	scratch_store_b64 off, v[52:53], off offset:32
	s_wait_loadcnt 0x0
	ds_store_b64 v1, v[50:51]
.LBB23_149:
	s_wait_xcnt 0x0
	s_or_b32 exec_lo, exec_lo, s0
	s_wait_storecnt_dscnt 0x0
	s_barrier_signal -1
	s_barrier_wait -1
	s_clause 0xa
	scratch_load_b128 v[50:53], off, off offset:40
	scratch_load_b128 v[54:57], off, off offset:56
	;; [unrolled: 1-line block ×9, first 2 shown]
	scratch_load_b64 v[122:123], off, off offset:184
	scratch_load_b64 v[124:125], off, off offset:32
	v_mov_b32_e32 v5, 0
	ds_load_2addr_b64 v[86:89], v5 offset0:39 offset1:40
	ds_load_2addr_b64 v[90:93], v5 offset0:41 offset1:42
	;; [unrolled: 1-line block ×9, first 2 shown]
	ds_load_b64 v[126:127], v5 offset:376
	s_mov_b32 s0, exec_lo
	s_wait_dscnt 0x9
	v_dual_mov_b32 v128, v89 :: v_dual_mov_b32 v129, v88
	s_wait_dscnt 0x6
	v_dual_mov_b32 v130, v93 :: v_dual_mov_b32 v135, v100
	v_dual_mov_b32 v131, v92 :: v_dual_mov_b32 v132, v97
	;; [unrolled: 1-line block ×3, first 2 shown]
	s_wait_loadcnt_dscnt 0xa05
	v_dual_mul_f32 v9, v102, v51 :: v_dual_mul_f32 v27, v103, v51
	v_dual_mul_f32 v29, v105, v53 :: v_dual_mul_f32 v11, v104, v53
	s_wait_loadcnt_dscnt 0x904
	v_mul_f32_e32 v13, v106, v55
	s_wait_loadcnt_dscnt 0x702
	v_dual_mul_f32 v39, v115, v63 :: v_dual_fma_f32 v27, v102, v50, -v27
	v_dual_fmac_f32 v9, v103, v50 :: v_dual_mul_f32 v41, v117, v65
	v_dual_mul_f32 v31, v107, v55 :: v_dual_mul_f32 v33, v109, v57
	v_dual_fmac_f32 v11, v105, v52 :: v_dual_fma_f32 v29, v104, v52, -v29
	s_delay_alu instid0(VALU_DEP_3) | instskip(SKIP_3) | instid1(VALU_DEP_3)
	v_dual_add_f32 v9, 0, v9 :: v_dual_add_f32 v27, 0, v27
	v_dual_mul_f32 v15, v108, v57 :: v_dual_mul_f32 v17, v110, v59
	s_wait_loadcnt_dscnt 0x601
	v_dual_mul_f32 v43, v119, v67 :: v_dual_fma_f32 v31, v106, v54, -v31
	v_dual_fmac_f32 v13, v107, v54 :: v_dual_add_f32 v9, v9, v11
	s_delay_alu instid0(VALU_DEP_3) | instskip(SKIP_2) | instid1(VALU_DEP_3)
	v_dual_add_f32 v11, v27, v29 :: v_dual_fmac_f32 v15, v109, v56
	v_dual_mul_f32 v35, v111, v59 :: v_dual_mul_f32 v37, v113, v61
	v_dual_mul_f32 v27, v121, v69 :: v_dual_fma_f32 v29, v108, v56, -v33
	v_dual_add_f32 v9, v9, v13 :: v_dual_add_f32 v11, v11, v31
	v_dual_mul_f32 v19, v112, v61 :: v_dual_mul_f32 v21, v114, v63
	s_wait_loadcnt 0x5
	v_dual_mul_f32 v13, v87, v71 :: v_dual_fma_f32 v31, v110, v58, -v35
	s_delay_alu instid0(VALU_DEP_3) | instskip(SKIP_2) | instid1(VALU_DEP_2)
	v_dual_fmac_f32 v17, v111, v58 :: v_dual_add_f32 v9, v9, v15
	v_dual_add_f32 v11, v11, v29 :: v_dual_mov_b32 v50, v73
	v_dual_fmac_f32 v19, v113, v60 :: v_dual_fma_f32 v15, v112, v60, -v37
	v_dual_add_f32 v9, v9, v17 :: v_dual_add_f32 v11, v11, v31
	v_dual_mul_f32 v23, v116, v65 :: v_dual_mul_f32 v25, v118, v67
	v_dual_fmac_f32 v21, v115, v62 :: v_dual_fma_f32 v17, v114, v62, -v39
	s_delay_alu instid0(VALU_DEP_3) | instskip(SKIP_3) | instid1(VALU_DEP_3)
	v_add_f32_e32 v9, v9, v19
	s_wait_loadcnt 0x4
	v_dual_add_f32 v11, v11, v15 :: v_dual_mov_b32 v54, v77
	v_dual_fmac_f32 v23, v117, v64 :: v_dual_fma_f32 v15, v116, v64, -v41
	v_dual_add_f32 v9, v9, v21 :: v_dual_fmac_f32 v25, v119, v66
	s_delay_alu instid0(VALU_DEP_3) | instskip(SKIP_1) | instid1(VALU_DEP_3)
	v_add_f32_e32 v11, v11, v17
	v_dual_mul_f32 v137, v120, v69 :: v_dual_mul_f32 v139, v86, v71
	v_dual_fma_f32 v17, v118, v66, -v43 :: v_dual_add_f32 v9, v9, v23
	s_delay_alu instid0(VALU_DEP_2) | instskip(SKIP_2) | instid1(VALU_DEP_4)
	v_dual_add_f32 v11, v11, v15 :: v_dual_fmac_f32 v137, v121, v68
	v_fma_f32 v136, v120, v68, -v27
	v_pk_mul_f32 v[50:51], v[128:129], v[50:51] op_sel_hi:[1,0]
	v_add_f32_e32 v59, v9, v25
	s_wait_loadcnt 0x3
	v_dual_add_f32 v58, v11, v17 :: v_dual_mov_b32 v60, v81
	v_pk_mul_f32 v[52:53], v[90:91], v[74:75] op_sel:[1,1] op_sel_hi:[0,1]
	v_dual_fmac_f32 v139, v87, v70 :: v_dual_fma_f32 v138, v86, v70, -v13
	v_pk_fma_f32 v[62:63], v[88:89], v[72:73], v[50:51] op_sel_hi:[1,0,1]
	s_delay_alu instid0(VALU_DEP_4)
	v_pk_add_f32 v[58:59], v[58:59], v[136:137]
	v_pk_fma_f32 v[50:51], v[88:89], v[72:73], v[50:51] neg_lo:[0,0,1] neg_hi:[0,0,1]
	v_pk_fma_f32 v[64:65], v[90:91], v[74:75], v[52:53] op_sel_hi:[1,0,1]
	v_pk_mul_f32 v[54:55], v[130:131], v[54:55] op_sel_hi:[1,0]
	v_mov_b32_e32 v51, v63
	v_pk_add_f32 v[58:59], v[58:59], v[138:139]
	v_pk_fma_f32 v[52:53], v[90:91], v[74:75], v[52:53] neg_lo:[0,0,1] neg_hi:[0,0,1]
	v_pk_mul_f32 v[56:57], v[94:95], v[78:79] op_sel:[1,1] op_sel_hi:[0,1]
	v_mov_b32_e32 v53, v65
	v_pk_fma_f32 v[64:65], v[92:93], v[76:77], v[54:55] op_sel_hi:[1,0,1]
	v_pk_add_f32 v[50:51], v[58:59], v[50:51]
	v_pk_fma_f32 v[54:55], v[92:93], v[76:77], v[54:55] neg_lo:[0,0,1] neg_hi:[0,0,1]
	v_pk_fma_f32 v[58:59], v[94:95], v[78:79], v[56:57] op_sel_hi:[1,0,1]
	v_pk_mul_f32 v[60:61], v[132:133], v[60:61] op_sel_hi:[1,0]
	v_mov_b32_e32 v55, v65
	v_pk_add_f32 v[50:51], v[50:51], v[52:53]
	v_pk_fma_f32 v[56:57], v[94:95], v[78:79], v[56:57] neg_lo:[0,0,1] neg_hi:[0,0,1]
	s_wait_loadcnt 0x2
	v_pk_mul_f32 v[62:63], v[98:99], v[82:83] op_sel:[1,1] op_sel_hi:[0,1]
	v_dual_mov_b32 v52, v85 :: v_dual_mov_b32 v57, v59
	v_pk_fma_f32 v[58:59], v[96:97], v[80:81], v[60:61] op_sel_hi:[1,0,1]
	v_pk_add_f32 v[50:51], v[50:51], v[54:55]
	v_pk_fma_f32 v[60:61], v[96:97], v[80:81], v[60:61] neg_lo:[0,0,1] neg_hi:[0,0,1]
	v_pk_fma_f32 v[54:55], v[98:99], v[82:83], v[62:63] op_sel_hi:[1,0,1]
	v_pk_mul_f32 v[52:53], v[134:135], v[52:53] op_sel_hi:[1,0]
	v_mov_b32_e32 v61, v59
	v_pk_add_f32 v[50:51], v[50:51], v[56:57]
	v_pk_fma_f32 v[56:57], v[98:99], v[82:83], v[62:63] neg_lo:[0,0,1] neg_hi:[0,0,1]
	v_mov_b32_e32 v57, v55
	v_pk_fma_f32 v[54:55], v[100:101], v[84:85], v[52:53] op_sel_hi:[1,0,1]
	s_wait_loadcnt_dscnt 0x100
	v_pk_mul_f32 v[58:59], v[126:127], v[122:123] op_sel:[1,1] op_sel_hi:[0,1]
	v_pk_add_f32 v[50:51], v[50:51], v[60:61]
	v_pk_fma_f32 v[52:53], v[100:101], v[84:85], v[52:53] neg_lo:[0,0,1] neg_hi:[0,0,1]
	v_mov_b32_e32 v53, v55
	s_delay_alu instid0(VALU_DEP_4) | instskip(NEXT) | instid1(VALU_DEP_4)
	v_pk_fma_f32 v[54:55], v[126:127], v[122:123], v[58:59] op_sel_hi:[1,0,1]
	v_pk_add_f32 v[50:51], v[50:51], v[56:57]
	v_pk_fma_f32 v[56:57], v[126:127], v[122:123], v[58:59] neg_lo:[0,0,1] neg_hi:[0,0,1]
	s_delay_alu instid0(VALU_DEP_3) | instskip(NEXT) | instid1(VALU_DEP_3)
	v_mov_b32_e32 v57, v55
	v_pk_add_f32 v[50:51], v[50:51], v[52:53]
	s_delay_alu instid0(VALU_DEP_1) | instskip(SKIP_1) | instid1(VALU_DEP_1)
	v_pk_add_f32 v[50:51], v[50:51], v[56:57]
	s_wait_loadcnt 0x0
	v_pk_add_f32 v[50:51], v[124:125], v[50:51] neg_lo:[0,1] neg_hi:[0,1]
	scratch_store_b64 off, v[50:51], off offset:32
	s_wait_xcnt 0x0
	v_cmpx_lt_u32_e32 3, v0
	s_cbranch_execz .LBB23_151
; %bb.150:
	scratch_load_b64 v[50:51], off, off offset:24
	v_mov_b64_e32 v[52:53], 0
	scratch_store_b64 off, v[52:53], off offset:24
	s_wait_loadcnt 0x0
	ds_store_b64 v1, v[50:51]
.LBB23_151:
	s_wait_xcnt 0x0
	s_or_b32 exec_lo, exec_lo, s0
	s_wait_storecnt_dscnt 0x0
	s_barrier_signal -1
	s_barrier_wait -1
	s_clause 0xa
	scratch_load_b128 v[50:53], off, off offset:32
	scratch_load_b128 v[54:57], off, off offset:48
	;; [unrolled: 1-line block ×10, first 2 shown]
	scratch_load_b64 v[130:131], off, off offset:24
	ds_load_b128 v[90:93], v5 offset:320
	ds_load_b128 v[94:97], v5 offset:336
	;; [unrolled: 1-line block ×10, first 2 shown]
	s_mov_b32 s0, exec_lo
	s_wait_dscnt 0x9
	v_dual_mov_b32 v132, v93 :: v_dual_mov_b32 v133, v92
	s_wait_dscnt 0x8
	v_dual_mov_b32 v134, v97 :: v_dual_mov_b32 v135, v96
	;; [unrolled: 2-line block ×4, first 2 shown]
	s_wait_loadcnt_dscnt 0xa05
	v_dual_mul_f32 v5, v106, v51 :: v_dual_mul_f32 v9, v108, v53
	v_dual_mul_f32 v27, v107, v51 :: v_dual_mul_f32 v29, v109, v53
	s_wait_loadcnt_dscnt 0x904
	v_dual_mul_f32 v11, v110, v55 :: v_dual_mul_f32 v13, v112, v57
	s_delay_alu instid0(VALU_DEP_2) | instskip(SKIP_3) | instid1(VALU_DEP_3)
	v_dual_fmac_f32 v5, v107, v50 :: v_dual_fma_f32 v27, v106, v50, -v27
	v_dual_mul_f32 v31, v111, v55 :: v_dual_mul_f32 v33, v113, v57
	s_wait_loadcnt_dscnt 0x702
	v_dual_mul_f32 v39, v119, v63 :: v_dual_fmac_f32 v9, v109, v52
	v_dual_fma_f32 v29, v108, v52, -v29 :: v_dual_add_f32 v5, 0, v5
	v_dual_add_f32 v27, 0, v27 :: v_dual_mul_f32 v41, v121, v65
	v_fmac_f32_e32 v11, v111, v54
	s_delay_alu instid0(VALU_DEP_3) | instskip(NEXT) | instid1(VALU_DEP_3)
	v_dual_fma_f32 v31, v110, v54, -v31 :: v_dual_add_f32 v5, v5, v9
	v_dual_add_f32 v9, v27, v29 :: v_dual_mul_f32 v15, v114, v59
	v_dual_mul_f32 v17, v116, v61 :: v_dual_mul_f32 v35, v115, v59
	s_wait_loadcnt_dscnt 0x601
	v_dual_mul_f32 v37, v117, v61 :: v_dual_mul_f32 v27, v123, v67
	v_fmac_f32_e32 v13, v113, v56
	v_dual_fma_f32 v29, v112, v56, -v33 :: v_dual_add_f32 v5, v5, v11
	v_dual_add_f32 v9, v9, v31 :: v_dual_fmac_f32 v15, v115, v58
	v_dual_mul_f32 v11, v125, v69 :: v_dual_fma_f32 v31, v114, v58, -v35
	s_wait_loadcnt_dscnt 0x500
	s_delay_alu instid0(VALU_DEP_3) | instskip(NEXT) | instid1(VALU_DEP_3)
	v_dual_add_f32 v5, v5, v13 :: v_dual_mul_f32 v13, v127, v71
	v_dual_add_f32 v9, v9, v29 :: v_dual_fma_f32 v29, v116, v60, -v37
	v_dual_mul_f32 v19, v118, v63 :: v_dual_mul_f32 v21, v120, v65
	v_fmac_f32_e32 v17, v117, v60
	s_delay_alu instid0(VALU_DEP_4) | instskip(NEXT) | instid1(VALU_DEP_3)
	v_add_f32_e32 v5, v5, v15
	v_dual_add_f32 v9, v9, v31 :: v_dual_fmac_f32 v19, v119, v62
	v_fma_f32 v31, v118, v62, -v39
	v_dual_mul_f32 v23, v122, v67 :: v_dual_mul_f32 v25, v124, v69
	s_delay_alu instid0(VALU_DEP_4) | instskip(NEXT) | instid1(VALU_DEP_4)
	v_dual_add_f32 v5, v5, v17 :: v_dual_fma_f32 v17, v120, v64, -v41
	v_dual_add_f32 v9, v9, v29 :: v_dual_fma_f32 v11, v124, v68, -v11
	v_dual_mul_f32 v141, v126, v71 :: v_dual_mul_f32 v143, v128, v73
	v_fmac_f32_e32 v21, v121, v64
	s_delay_alu instid0(VALU_DEP_4) | instskip(NEXT) | instid1(VALU_DEP_4)
	v_add_f32_e32 v5, v5, v19
	v_dual_add_f32 v9, v9, v31 :: v_dual_fma_f32 v140, v126, v70, -v13
	v_dual_mul_f32 v15, v129, v73 :: v_dual_fmac_f32 v23, v123, v66
	s_delay_alu instid0(VALU_DEP_2) | instskip(NEXT) | instid1(VALU_DEP_4)
	v_dual_fma_f32 v19, v122, v66, -v27 :: v_dual_add_f32 v9, v9, v17
	v_dual_fmac_f32 v141, v127, v70 :: v_dual_add_f32 v5, v5, v21
	s_delay_alu instid0(VALU_DEP_3) | instskip(SKIP_1) | instid1(VALU_DEP_4)
	v_fma_f32 v142, v128, v72, -v15
	v_fmac_f32_e32 v25, v125, v68
	v_add_f32_e32 v9, v9, v19
	s_wait_loadcnt 0x4
	v_pk_mul_f32 v[50:51], v[90:91], v[74:75] op_sel:[1,1] op_sel_hi:[0,1]
	v_add_f32_e32 v5, v5, v23
	s_wait_loadcnt 0x3
	v_dual_mov_b32 v52, v77 :: v_dual_mov_b32 v56, v81
	v_add_f32_e32 v58, v9, v11
	v_fmac_f32_e32 v143, v129, v72
	v_add_f32_e32 v59, v5, v25
	v_pk_fma_f32 v[60:61], v[90:91], v[74:75], v[50:51] op_sel_hi:[1,0,1]
	v_pk_mul_f32 v[52:53], v[132:133], v[52:53] op_sel_hi:[1,0]
	v_pk_fma_f32 v[50:51], v[90:91], v[74:75], v[50:51] neg_lo:[0,0,1] neg_hi:[0,0,1]
	v_pk_mul_f32 v[54:55], v[94:95], v[78:79] op_sel:[1,1] op_sel_hi:[0,1]
	v_pk_add_f32 v[58:59], v[58:59], v[140:141]
	v_mov_b32_e32 v51, v61
	v_pk_fma_f32 v[60:61], v[92:93], v[76:77], v[52:53] op_sel_hi:[1,0,1]
	v_pk_fma_f32 v[52:53], v[92:93], v[76:77], v[52:53] neg_lo:[0,0,1] neg_hi:[0,0,1]
	v_pk_fma_f32 v[64:65], v[94:95], v[78:79], v[54:55] op_sel_hi:[1,0,1]
	v_pk_add_f32 v[58:59], v[58:59], v[142:143]
	v_pk_mul_f32 v[56:57], v[134:135], v[56:57] op_sel_hi:[1,0]
	v_mov_b32_e32 v53, v61
	s_wait_loadcnt 0x2
	v_pk_mul_f32 v[62:63], v[98:99], v[82:83] op_sel:[1,1] op_sel_hi:[0,1]
	v_pk_fma_f32 v[54:55], v[94:95], v[78:79], v[54:55] neg_lo:[0,0,1] neg_hi:[0,0,1]
	v_pk_add_f32 v[50:51], v[58:59], v[50:51]
	v_dual_mov_b32 v58, v85 :: v_dual_mov_b32 v55, v65
	v_pk_fma_f32 v[60:61], v[96:97], v[80:81], v[56:57] op_sel_hi:[1,0,1]
	v_pk_fma_f32 v[56:57], v[96:97], v[80:81], v[56:57] neg_lo:[0,0,1] neg_hi:[0,0,1]
	s_delay_alu instid0(VALU_DEP_4)
	v_pk_add_f32 v[50:51], v[50:51], v[52:53]
	v_pk_fma_f32 v[52:53], v[98:99], v[82:83], v[62:63] op_sel_hi:[1,0,1]
	v_pk_mul_f32 v[58:59], v[136:137], v[58:59] op_sel_hi:[1,0]
	v_mov_b32_e32 v57, v61
	v_pk_fma_f32 v[60:61], v[98:99], v[82:83], v[62:63] neg_lo:[0,0,1] neg_hi:[0,0,1]
	v_pk_add_f32 v[50:51], v[50:51], v[54:55]
	v_mov_b32_e32 v61, v53
	v_pk_fma_f32 v[52:53], v[100:101], v[84:85], v[58:59] op_sel_hi:[1,0,1]
	s_wait_loadcnt 0x1
	v_pk_mul_f32 v[54:55], v[102:103], v[86:87] op_sel:[1,1] op_sel_hi:[0,1]
	v_mov_b32_e32 v52, v89
	v_pk_add_f32 v[50:51], v[50:51], v[56:57]
	v_pk_fma_f32 v[58:59], v[100:101], v[84:85], v[58:59] neg_lo:[0,0,1] neg_hi:[0,0,1]
	v_mov_b32_e32 v59, v53
	v_pk_fma_f32 v[56:57], v[102:103], v[86:87], v[54:55] op_sel_hi:[1,0,1]
	v_pk_mul_f32 v[52:53], v[138:139], v[52:53] op_sel_hi:[1,0]
	v_pk_add_f32 v[50:51], v[50:51], v[60:61]
	v_pk_fma_f32 v[54:55], v[102:103], v[86:87], v[54:55] neg_lo:[0,0,1] neg_hi:[0,0,1]
	s_delay_alu instid0(VALU_DEP_4) | instskip(NEXT) | instid1(VALU_DEP_4)
	v_mov_b32_e32 v55, v57
	v_pk_fma_f32 v[56:57], v[104:105], v[88:89], v[52:53] op_sel_hi:[1,0,1]
	s_delay_alu instid0(VALU_DEP_4) | instskip(SKIP_1) | instid1(VALU_DEP_3)
	v_pk_add_f32 v[50:51], v[50:51], v[58:59]
	v_pk_fma_f32 v[52:53], v[104:105], v[88:89], v[52:53] neg_lo:[0,0,1] neg_hi:[0,0,1]
	v_mov_b32_e32 v53, v57
	s_delay_alu instid0(VALU_DEP_3) | instskip(NEXT) | instid1(VALU_DEP_1)
	v_pk_add_f32 v[50:51], v[50:51], v[54:55]
	v_pk_add_f32 v[50:51], v[50:51], v[52:53]
	s_wait_loadcnt 0x0
	s_delay_alu instid0(VALU_DEP_1)
	v_pk_add_f32 v[50:51], v[130:131], v[50:51] neg_lo:[0,1] neg_hi:[0,1]
	scratch_store_b64 off, v[50:51], off offset:24
	s_wait_xcnt 0x0
	v_cmpx_lt_u32_e32 2, v0
	s_cbranch_execz .LBB23_153
; %bb.152:
	scratch_load_b64 v[50:51], off, off offset:16
	v_mov_b64_e32 v[52:53], 0
	scratch_store_b64 off, v[52:53], off offset:16
	s_wait_loadcnt 0x0
	ds_store_b64 v1, v[50:51]
.LBB23_153:
	s_wait_xcnt 0x0
	s_or_b32 exec_lo, exec_lo, s0
	s_wait_storecnt_dscnt 0x0
	s_barrier_signal -1
	s_barrier_wait -1
	s_clause 0xb
	scratch_load_b128 v[50:53], off, off offset:24
	scratch_load_b128 v[54:57], off, off offset:40
	;; [unrolled: 1-line block ×10, first 2 shown]
	scratch_load_b64 v[130:131], off, off offset:184
	scratch_load_b64 v[132:133], off, off offset:16
	v_mov_b32_e32 v29, 0
	ds_load_2addr_b64 v[90:93], v29 offset0:39 offset1:40
	ds_load_2addr_b64 v[94:97], v29 offset0:41 offset1:42
	;; [unrolled: 1-line block ×10, first 2 shown]
	ds_load_b64 v[134:135], v29 offset:376
	s_mov_b32 s0, exec_lo
	s_wait_dscnt 0xa
	v_dual_mov_b32 v136, v93 :: v_dual_mov_b32 v137, v92
	s_wait_dscnt 0x7
	v_dual_mov_b32 v138, v97 :: v_dual_mov_b32 v143, v104
	v_dual_mov_b32 v139, v96 :: v_dual_mov_b32 v140, v101
	;; [unrolled: 1-line block ×3, first 2 shown]
	s_wait_loadcnt_dscnt 0xb06
	v_dual_mul_f32 v5, v106, v51 :: v_dual_mul_f32 v31, v107, v51
	v_dual_mul_f32 v33, v109, v53 :: v_dual_mul_f32 v9, v108, v53
	s_wait_loadcnt_dscnt 0xa05
	v_mul_f32_e32 v11, v110, v55
	s_wait_loadcnt_dscnt 0x803
	v_dual_mul_f32 v43, v119, v63 :: v_dual_fma_f32 v31, v106, v50, -v31
	v_dual_fmac_f32 v5, v107, v50 :: v_dual_mul_f32 v45, v121, v65
	v_dual_mul_f32 v35, v111, v55 :: v_dual_mul_f32 v37, v113, v57
	s_delay_alu instid0(VALU_DEP_2) | instskip(NEXT) | instid1(VALU_DEP_4)
	v_dual_fmac_f32 v9, v109, v52 :: v_dual_add_f32 v5, 0, v5
	v_dual_fma_f32 v33, v108, v52, -v33 :: v_dual_add_f32 v31, 0, v31
	v_dual_mul_f32 v13, v112, v57 :: v_dual_mul_f32 v15, v114, v59
	s_wait_loadcnt_dscnt 0x702
	v_dual_mul_f32 v47, v123, v67 :: v_dual_fma_f32 v35, v110, v54, -v35
	v_dual_fmac_f32 v11, v111, v54 :: v_dual_add_f32 v5, v5, v9
	s_delay_alu instid0(VALU_DEP_3) | instskip(SKIP_2) | instid1(VALU_DEP_4)
	v_dual_add_f32 v9, v31, v33 :: v_dual_fmac_f32 v13, v113, v56
	v_dual_mul_f32 v39, v115, v59 :: v_dual_mul_f32 v41, v117, v61
	v_dual_mul_f32 v31, v125, v69 :: v_dual_fma_f32 v33, v112, v56, -v37
	v_dual_add_f32 v5, v5, v11 :: v_dual_fmac_f32 v15, v115, v58
	s_delay_alu instid0(VALU_DEP_3) | instskip(SKIP_2) | instid1(VALU_DEP_3)
	v_dual_add_f32 v9, v9, v35 :: v_dual_fma_f32 v35, v114, v58, -v39
	v_dual_mul_f32 v17, v116, v61 :: v_dual_mul_f32 v19, v118, v63
	s_wait_loadcnt_dscnt 0x601
	v_dual_mul_f32 v11, v127, v71 :: v_dual_add_f32 v5, v5, v13
	s_delay_alu instid0(VALU_DEP_3) | instskip(NEXT) | instid1(VALU_DEP_3)
	v_dual_add_f32 v9, v9, v33 :: v_dual_fma_f32 v33, v116, v60, -v41
	v_dual_fmac_f32 v17, v117, v60 :: v_dual_fmac_f32 v19, v119, v62
	s_delay_alu instid0(VALU_DEP_3) | instskip(NEXT) | instid1(VALU_DEP_3)
	v_add_f32_e32 v5, v5, v15
	v_dual_add_f32 v9, v9, v35 :: v_dual_mul_f32 v21, v120, v65
	v_mul_f32_e32 v23, v122, v67
	s_delay_alu instid0(VALU_DEP_3) | instskip(NEXT) | instid1(VALU_DEP_3)
	v_dual_fma_f32 v35, v118, v62, -v43 :: v_dual_add_f32 v5, v5, v17
	v_dual_fma_f32 v17, v120, v64, -v45 :: v_dual_add_f32 v9, v9, v33
	v_dual_mul_f32 v25, v124, v69 :: v_dual_mul_f32 v27, v126, v71
	s_wait_loadcnt 0x4
	v_dual_mov_b32 v50, v77 :: v_dual_mov_b32 v54, v81
	v_dual_fmac_f32 v21, v121, v64 :: v_dual_fmac_f32 v23, v123, v66
	v_dual_add_f32 v5, v5, v19 :: v_dual_fma_f32 v19, v122, v66, -v47
	v_dual_add_f32 v9, v9, v35 :: v_dual_fma_f32 v11, v126, v70, -v11
	v_dual_mul_f32 v145, v128, v73 :: v_dual_mul_f32 v147, v90, v75
	v_dual_mul_f32 v13, v129, v73 :: v_dual_mul_f32 v15, v91, v75
	s_delay_alu instid0(VALU_DEP_3) | instskip(SKIP_1) | instid1(VALU_DEP_3)
	v_dual_add_f32 v9, v9, v17 :: v_dual_fma_f32 v17, v124, v68, -v31
	v_dual_fmac_f32 v27, v127, v70 :: v_dual_add_f32 v5, v5, v21
	v_fma_f32 v144, v128, v72, -v13
	v_pk_mul_f32 v[50:51], v[136:137], v[50:51] op_sel_hi:[1,0]
	v_dual_fmac_f32 v25, v125, v68 :: v_dual_fma_f32 v146, v90, v74, -v15
	v_dual_fmac_f32 v147, v91, v74 :: v_dual_add_f32 v9, v9, v19
	s_delay_alu instid0(VALU_DEP_3) | instskip(SKIP_3) | instid1(VALU_DEP_4)
	v_pk_fma_f32 v[62:63], v[92:93], v[76:77], v[50:51] op_sel_hi:[1,0,1]
	v_add_f32_e32 v5, v5, v23
	v_pk_fma_f32 v[50:51], v[92:93], v[76:77], v[50:51] neg_lo:[0,0,1] neg_hi:[0,0,1]
	v_fmac_f32_e32 v145, v129, v72
	v_dual_add_f32 v9, v9, v17 :: v_dual_mov_b32 v51, v63
	s_delay_alu instid0(VALU_DEP_4) | instskip(SKIP_2) | instid1(VALU_DEP_4)
	v_add_f32_e32 v5, v5, v25
	v_pk_mul_f32 v[52:53], v[94:95], v[78:79] op_sel:[1,1] op_sel_hi:[0,1]
	v_pk_mul_f32 v[54:55], v[138:139], v[54:55] op_sel_hi:[1,0]
	v_add_f32_e32 v58, v9, v11
	s_wait_loadcnt 0x3
	v_pk_mul_f32 v[56:57], v[98:99], v[82:83] op_sel:[1,1] op_sel_hi:[0,1]
	v_add_f32_e32 v59, v5, v27
	v_pk_fma_f32 v[64:65], v[94:95], v[78:79], v[52:53] op_sel_hi:[1,0,1]
	v_pk_fma_f32 v[52:53], v[94:95], v[78:79], v[52:53] neg_lo:[0,0,1] neg_hi:[0,0,1]
	v_mov_b32_e32 v60, v85
	s_wait_loadcnt 0x2
	v_pk_mul_f32 v[62:63], v[102:103], v[86:87] op_sel:[1,1] op_sel_hi:[0,1]
	v_pk_add_f32 v[58:59], v[58:59], v[144:145]
	v_mov_b32_e32 v53, v65
	v_pk_fma_f32 v[64:65], v[96:97], v[80:81], v[54:55] op_sel_hi:[1,0,1]
	v_pk_fma_f32 v[54:55], v[96:97], v[80:81], v[54:55] neg_lo:[0,0,1] neg_hi:[0,0,1]
	v_pk_mul_f32 v[60:61], v[140:141], v[60:61] op_sel_hi:[1,0]
	v_pk_add_f32 v[58:59], v[58:59], v[146:147]
	s_delay_alu instid0(VALU_DEP_4) | instskip(NEXT) | instid1(VALU_DEP_2)
	v_mov_b32_e32 v55, v65
	v_pk_add_f32 v[50:51], v[58:59], v[50:51]
	v_pk_fma_f32 v[58:59], v[98:99], v[82:83], v[56:57] op_sel_hi:[1,0,1]
	v_pk_fma_f32 v[56:57], v[98:99], v[82:83], v[56:57] neg_lo:[0,0,1] neg_hi:[0,0,1]
	s_delay_alu instid0(VALU_DEP_3) | instskip(NEXT) | instid1(VALU_DEP_3)
	v_pk_add_f32 v[50:51], v[50:51], v[52:53]
	v_dual_mov_b32 v52, v89 :: v_dual_mov_b32 v57, v59
	v_pk_fma_f32 v[58:59], v[100:101], v[84:85], v[60:61] op_sel_hi:[1,0,1]
	v_pk_fma_f32 v[60:61], v[100:101], v[84:85], v[60:61] neg_lo:[0,0,1] neg_hi:[0,0,1]
	s_delay_alu instid0(VALU_DEP_4)
	v_pk_add_f32 v[50:51], v[50:51], v[54:55]
	v_pk_fma_f32 v[54:55], v[102:103], v[86:87], v[62:63] op_sel_hi:[1,0,1]
	v_pk_mul_f32 v[52:53], v[142:143], v[52:53] op_sel_hi:[1,0]
	v_mov_b32_e32 v61, v59
	s_wait_loadcnt_dscnt 0x100
	v_pk_mul_f32 v[58:59], v[134:135], v[130:131] op_sel:[1,1] op_sel_hi:[0,1]
	v_pk_add_f32 v[50:51], v[50:51], v[56:57]
	v_pk_fma_f32 v[56:57], v[102:103], v[86:87], v[62:63] neg_lo:[0,0,1] neg_hi:[0,0,1]
	v_mov_b32_e32 v57, v55
	v_pk_fma_f32 v[54:55], v[104:105], v[88:89], v[52:53] op_sel_hi:[1,0,1]
	v_pk_fma_f32 v[52:53], v[104:105], v[88:89], v[52:53] neg_lo:[0,0,1] neg_hi:[0,0,1]
	v_pk_add_f32 v[50:51], v[50:51], v[60:61]
	s_delay_alu instid0(VALU_DEP_3) | instskip(SKIP_1) | instid1(VALU_DEP_3)
	v_mov_b32_e32 v53, v55
	v_pk_fma_f32 v[54:55], v[134:135], v[130:131], v[58:59] op_sel_hi:[1,0,1]
	v_pk_add_f32 v[50:51], v[50:51], v[56:57]
	v_pk_fma_f32 v[56:57], v[134:135], v[130:131], v[58:59] neg_lo:[0,0,1] neg_hi:[0,0,1]
	s_delay_alu instid0(VALU_DEP_3) | instskip(NEXT) | instid1(VALU_DEP_3)
	v_mov_b32_e32 v57, v55
	v_pk_add_f32 v[50:51], v[50:51], v[52:53]
	s_delay_alu instid0(VALU_DEP_1) | instskip(SKIP_1) | instid1(VALU_DEP_1)
	v_pk_add_f32 v[50:51], v[50:51], v[56:57]
	s_wait_loadcnt 0x0
	v_pk_add_f32 v[50:51], v[132:133], v[50:51] neg_lo:[0,1] neg_hi:[0,1]
	scratch_store_b64 off, v[50:51], off offset:16
	s_wait_xcnt 0x0
	v_cmpx_lt_u32_e32 1, v0
	s_cbranch_execz .LBB23_155
; %bb.154:
	scratch_load_b64 v[50:51], off, off offset:8
	v_mov_b64_e32 v[52:53], 0
	scratch_store_b64 off, v[52:53], off offset:8
	s_wait_loadcnt 0x0
	ds_store_b64 v1, v[50:51]
.LBB23_155:
	s_wait_xcnt 0x0
	s_or_b32 exec_lo, exec_lo, s0
	s_wait_storecnt_dscnt 0x0
	s_barrier_signal -1
	s_barrier_wait -1
	s_clause 0xb
	scratch_load_b128 v[50:53], off, off offset:16
	scratch_load_b128 v[54:57], off, off offset:32
	scratch_load_b128 v[58:61], off, off offset:48
	scratch_load_b128 v[62:65], off, off offset:64
	scratch_load_b128 v[66:69], off, off offset:80
	scratch_load_b128 v[70:73], off, off offset:96
	scratch_load_b128 v[74:77], off, off offset:112
	scratch_load_b128 v[78:81], off, off offset:128
	scratch_load_b128 v[82:85], off, off offset:144
	scratch_load_b128 v[86:89], off, off offset:160
	scratch_load_b128 v[90:93], off, off offset:176
	scratch_load_b64 v[138:139], off, off offset:8
	ds_load_b128 v[94:97], v29 offset:208
	ds_load_b128 v[98:101], v29 offset:304
	;; [unrolled: 1-line block ×11, first 2 shown]
	v_ashrrev_i32_e32 v25, 31, v24
	v_dual_ashrrev_i32 v5, 31, v4 :: v_dual_ashrrev_i32 v11, 31, v10
	v_dual_ashrrev_i32 v9, 31, v8 :: v_dual_ashrrev_i32 v15, 31, v14
	;; [unrolled: 1-line block ×5, first 2 shown]
	s_mov_b32 s0, exec_lo
	s_wait_dscnt 0x8
	v_dual_mov_b32 v140, v105 :: v_dual_mov_b32 v141, v104
	s_wait_dscnt 0x5
	v_dual_mov_b32 v147, v116 :: v_dual_mov_b32 v142, v109
	v_dual_mov_b32 v143, v108 :: v_dual_mov_b32 v144, v113
	;; [unrolled: 1-line block ×3, first 2 shown]
	s_wait_loadcnt 0xb
	v_dual_mul_f32 v29, v94, v51 :: v_dual_mul_f32 v31, v96, v53
	v_dual_mul_f32 v33, v95, v51 :: v_dual_mul_f32 v35, v97, v53
	s_wait_loadcnt_dscnt 0xa04
	s_delay_alu instid0(VALU_DEP_2) | instskip(SKIP_1) | instid1(VALU_DEP_2)
	v_dual_mul_f32 v37, v118, v55 :: v_dual_fmac_f32 v29, v95, v50
	s_wait_loadcnt 0x5
	v_dual_mul_f32 v53, v100, v77 :: v_dual_fma_f32 v33, v94, v50, -v33
	s_wait_dscnt 0x2
	v_dual_mul_f32 v50, v127, v63 :: v_dual_mul_f32 v39, v120, v57
	v_dual_mul_f32 v41, v119, v55 :: v_dual_fmac_f32 v31, v97, v52
	v_dual_add_f32 v29, 0, v29 :: v_dual_fma_f32 v35, v96, v52, -v35
	v_add_f32_e32 v33, 0, v33
	v_dual_mul_f32 v43, v121, v57 :: v_dual_mul_f32 v45, v122, v59
	v_dual_mul_f32 v52, v129, v65 :: v_dual_fmac_f32 v37, v119, v54
	s_delay_alu instid0(VALU_DEP_4) | instskip(NEXT) | instid1(VALU_DEP_3)
	v_dual_fma_f32 v41, v118, v54, -v41 :: v_dual_add_f32 v29, v29, v31
	v_dual_add_f32 v31, v33, v35 :: v_dual_fma_f32 v35, v120, v56, -v43
	v_dual_mul_f32 v47, v124, v61 :: v_dual_mul_f32 v49, v123, v59
	s_wait_dscnt 0x1
	v_dual_mul_f32 v33, v131, v67 :: v_dual_fmac_f32 v39, v121, v56
	v_dual_add_f32 v29, v29, v37 :: v_dual_fmac_f32 v45, v123, v58
	s_delay_alu instid0(VALU_DEP_3) | instskip(SKIP_1) | instid1(VALU_DEP_2)
	v_dual_add_f32 v31, v31, v41 :: v_dual_fma_f32 v41, v122, v58, -v49
	v_dual_mul_f32 v55, v125, v61 :: v_dual_mul_f32 v57, v126, v63
	v_dual_mul_f32 v37, v133, v69 :: v_dual_add_f32 v31, v31, v35
	s_delay_alu instid0(VALU_DEP_2) | instskip(SKIP_2) | instid1(VALU_DEP_3)
	v_dual_add_f32 v29, v29, v39 :: v_dual_fma_f32 v39, v124, v60, -v55
	s_wait_dscnt 0x0
	v_dual_mul_f32 v35, v135, v71 :: v_dual_fmac_f32 v47, v125, v60
	v_dual_add_f32 v31, v31, v41 :: v_dual_fma_f32 v43, v126, v62, -v50
	s_delay_alu instid0(VALU_DEP_3) | instskip(SKIP_1) | instid1(VALU_DEP_3)
	v_dual_add_f32 v29, v29, v45 :: v_dual_fmac_f32 v57, v127, v62
	v_dual_mul_f32 v59, v128, v65 :: v_dual_mul_f32 v61, v130, v67
	v_dual_mul_f32 v41, v137, v73 :: v_dual_add_f32 v31, v31, v39
	s_delay_alu instid0(VALU_DEP_3) | instskip(NEXT) | instid1(VALU_DEP_3)
	v_dual_add_f32 v29, v29, v47 :: v_dual_fma_f32 v45, v128, v64, -v52
	v_dual_mul_f32 v39, v99, v75 :: v_dual_fmac_f32 v59, v129, v64
	s_delay_alu instid0(VALU_DEP_2) | instskip(SKIP_2) | instid1(VALU_DEP_3)
	v_dual_add_f32 v31, v31, v43 :: v_dual_add_f32 v29, v29, v57
	v_dual_mul_f32 v148, v132, v69 :: v_dual_mul_f32 v149, v134, v71
	v_dual_mul_f32 v43, v101, v77 :: v_dual_fmac_f32 v61, v131, v66
	v_dual_fma_f32 v33, v130, v66, -v33 :: v_dual_add_f32 v29, v29, v59
	s_delay_alu instid0(VALU_DEP_3) | instskip(SKIP_2) | instid1(VALU_DEP_4)
	v_dual_add_f32 v31, v31, v45 :: v_dual_fmac_f32 v148, v133, v68
	v_fma_f32 v37, v132, v68, -v37
	v_dual_mul_f32 v150, v136, v73 :: v_dual_mul_f32 v51, v98, v75
	v_add_f32_e32 v29, v29, v61
	s_wait_loadcnt 0x4
	v_dual_add_f32 v31, v31, v33 :: v_dual_mov_b32 v56, v81
	v_dual_fmac_f32 v149, v135, v70 :: v_dual_fma_f32 v33, v134, v70, -v35
	s_delay_alu instid0(VALU_DEP_2) | instskip(SKIP_2) | instid1(VALU_DEP_3)
	v_dual_add_f32 v29, v29, v148 :: v_dual_add_f32 v31, v31, v37
	v_dual_fmac_f32 v150, v137, v72 :: v_dual_fma_f32 v35, v136, v72, -v41
	v_pk_mul_f32 v[54:55], v[102:103], v[78:79] op_sel:[1,1] op_sel_hi:[0,1]
	v_dual_add_f32 v29, v29, v149 :: v_dual_fmac_f32 v51, v99, v74
	s_wait_loadcnt 0x3
	v_dual_add_f32 v31, v31, v33 :: v_dual_mov_b32 v60, v85
	v_fma_f32 v50, v98, v74, -v39
	s_delay_alu instid0(VALU_DEP_3) | instskip(NEXT) | instid1(VALU_DEP_3)
	v_dual_add_f32 v63, v29, v150 :: v_dual_fma_f32 v52, v100, v76, -v43
	v_dual_add_f32 v62, v31, v35 :: v_dual_fmac_f32 v53, v101, v76
	v_pk_fma_f32 v[64:65], v[102:103], v[78:79], v[54:55] op_sel_hi:[1,0,1]
	v_pk_mul_f32 v[56:57], v[140:141], v[56:57] op_sel_hi:[1,0]
	v_pk_fma_f32 v[54:55], v[102:103], v[78:79], v[54:55] neg_lo:[0,0,1] neg_hi:[0,0,1]
	s_delay_alu instid0(VALU_DEP_4)
	v_pk_add_f32 v[50:51], v[62:63], v[50:51]
	v_pk_mul_f32 v[58:59], v[106:107], v[82:83] op_sel:[1,1] op_sel_hi:[0,1]
	v_mov_b32_e32 v55, v65
	v_pk_fma_f32 v[64:65], v[104:105], v[80:81], v[56:57] op_sel_hi:[1,0,1]
	v_pk_fma_f32 v[56:57], v[104:105], v[80:81], v[56:57] neg_lo:[0,0,1] neg_hi:[0,0,1]
	v_pk_add_f32 v[50:51], v[50:51], v[52:53]
	v_pk_fma_f32 v[52:53], v[106:107], v[82:83], v[58:59] op_sel_hi:[1,0,1]
	v_pk_mul_f32 v[60:61], v[142:143], v[60:61] op_sel_hi:[1,0]
	v_mov_b32_e32 v57, v65
	s_wait_loadcnt 0x2
	v_pk_mul_f32 v[62:63], v[110:111], v[86:87] op_sel:[1,1] op_sel_hi:[0,1]
	v_pk_add_f32 v[50:51], v[50:51], v[54:55]
	v_mov_b32_e32 v52, v89
	v_pk_fma_f32 v[54:55], v[106:107], v[82:83], v[58:59] neg_lo:[0,0,1] neg_hi:[0,0,1]
	v_mov_b32_e32 v55, v53
	v_pk_fma_f32 v[58:59], v[108:109], v[84:85], v[60:61] op_sel_hi:[1,0,1]
	v_pk_add_f32 v[50:51], v[50:51], v[56:57]
	v_pk_fma_f32 v[56:57], v[110:111], v[86:87], v[62:63] op_sel_hi:[1,0,1]
	v_pk_mul_f32 v[52:53], v[144:145], v[52:53] op_sel_hi:[1,0]
	v_pk_fma_f32 v[60:61], v[108:109], v[84:85], v[60:61] neg_lo:[0,0,1] neg_hi:[0,0,1]
	v_mov_b32_e32 v61, v59
	v_pk_add_f32 v[50:51], v[50:51], v[54:55]
	v_pk_fma_f32 v[58:59], v[110:111], v[86:87], v[62:63] neg_lo:[0,0,1] neg_hi:[0,0,1]
	v_mov_b32_e32 v59, v57
	v_pk_fma_f32 v[56:57], v[112:113], v[88:89], v[52:53] op_sel_hi:[1,0,1]
	s_wait_loadcnt 0x1
	v_pk_mul_f32 v[54:55], v[114:115], v[90:91] op_sel:[1,1] op_sel_hi:[0,1]
	v_pk_add_f32 v[50:51], v[50:51], v[60:61]
	v_mov_b32_e32 v56, v93
	v_pk_fma_f32 v[52:53], v[112:113], v[88:89], v[52:53] neg_lo:[0,0,1] neg_hi:[0,0,1]
	v_dual_mov_b32 v53, v57 :: v_dual_ashrrev_i32 v29, 31, v28
	v_pk_fma_f32 v[60:61], v[114:115], v[90:91], v[54:55] op_sel_hi:[1,0,1]
	v_pk_add_f32 v[50:51], v[50:51], v[58:59]
	v_pk_mul_f32 v[56:57], v[146:147], v[56:57] op_sel_hi:[1,0]
	v_pk_fma_f32 v[54:55], v[114:115], v[90:91], v[54:55] neg_lo:[0,0,1] neg_hi:[0,0,1]
	s_delay_alu instid0(VALU_DEP_4) | instskip(NEXT) | instid1(VALU_DEP_4)
	v_dual_ashrrev_i32 v31, 31, v30 :: v_dual_mov_b32 v55, v61
	v_pk_add_f32 v[50:51], v[50:51], v[52:53]
	s_delay_alu instid0(VALU_DEP_4)
	v_pk_fma_f32 v[52:53], v[116:117], v[92:93], v[56:57] op_sel_hi:[1,0,1]
	v_pk_fma_f32 v[56:57], v[116:117], v[92:93], v[56:57] neg_lo:[0,0,1] neg_hi:[0,0,1]
	v_dual_ashrrev_i32 v33, 31, v32 :: v_dual_ashrrev_i32 v35, 31, v34
	v_ashrrev_i32_e32 v37, 31, v36
	v_pk_add_f32 v[50:51], v[50:51], v[54:55]
	v_dual_mov_b32 v57, v53 :: v_dual_ashrrev_i32 v39, 31, v38
	v_dual_ashrrev_i32 v41, 31, v40 :: v_dual_ashrrev_i32 v43, 31, v42
	v_ashrrev_i32_e32 v45, 31, v44
	s_delay_alu instid0(VALU_DEP_3) | instskip(SKIP_2) | instid1(VALU_DEP_2)
	v_pk_add_f32 v[50:51], v[50:51], v[56:57]
	v_dual_ashrrev_i32 v47, 31, v46 :: v_dual_ashrrev_i32 v49, 31, v48
	s_wait_loadcnt 0x0
	v_pk_add_f32 v[50:51], v[138:139], v[50:51] neg_lo:[0,1] neg_hi:[0,1]
	scratch_store_b64 off, v[50:51], off offset:8
	s_wait_xcnt 0x0
	v_cmpx_ne_u32_e32 0, v0
	s_cbranch_execz .LBB23_157
; %bb.156:
	scratch_load_b64 v[50:51], off, off
	v_mov_b64_e32 v[52:53], 0
	scratch_store_b64 off, v[52:53], off
	s_wait_loadcnt 0x0
	ds_store_b64 v1, v[50:51]
.LBB23_157:
	s_wait_xcnt 0x0
	s_or_b32 exec_lo, exec_lo, s0
	s_wait_storecnt_dscnt 0x0
	s_barrier_signal -1
	s_barrier_wait -1
	s_clause 0xc
	scratch_load_b128 v[52:55], off, off offset:8
	scratch_load_b128 v[56:59], off, off offset:24
	;; [unrolled: 1-line block ×11, first 2 shown]
	scratch_load_b64 v[0:1], off, off offset:184
	scratch_load_b64 v[140:141], off, off
	v_mov_b32_e32 v50, 0
	ds_load_2addr_b64 v[96:99], v50 offset0:39 offset1:40
	ds_load_2addr_b64 v[100:103], v50 offset0:41 offset1:42
	;; [unrolled: 1-line block ×11, first 2 shown]
	ds_load_b64 v[142:143], v50 offset:376
	s_and_b32 vcc_lo, exec_lo, s18
	s_wait_dscnt 0xb
	v_dual_mov_b32 v144, v99 :: v_dual_mov_b32 v145, v98
	s_wait_dscnt 0x8
	v_dual_mov_b32 v146, v103 :: v_dual_mov_b32 v151, v110
	v_dual_mov_b32 v147, v102 :: v_dual_mov_b32 v148, v107
	;; [unrolled: 1-line block ×3, first 2 shown]
	s_wait_loadcnt_dscnt 0xc07
	v_dual_mul_f32 v51, v112, v53 :: v_dual_mul_f32 v53, v113, v53
	s_wait_loadcnt_dscnt 0xb06
	v_dual_mul_f32 v152, v114, v55 :: v_dual_mul_f32 v154, v116, v57
	s_wait_loadcnt_dscnt 0x904
	v_dual_mul_f32 v158, v122, v63 :: v_dual_mul_f32 v159, v124, v65
	v_dual_mul_f32 v55, v115, v55 :: v_dual_mul_f32 v65, v125, v65
	v_dual_fmac_f32 v51, v113, v52 :: v_dual_fma_f32 v52, v112, v52, -v53
	v_dual_mul_f32 v57, v117, v57 :: v_dual_mul_f32 v53, v127, v67
	s_delay_alu instid0(VALU_DEP_3) | instskip(NEXT) | instid1(VALU_DEP_3)
	v_dual_fmac_f32 v152, v115, v54 :: v_dual_fma_f32 v54, v114, v54, -v55
	v_dual_add_f32 v51, 0, v51 :: v_dual_add_f32 v52, 0, v52
	v_dual_mul_f32 v156, v118, v59 :: v_dual_mul_f32 v157, v120, v61
	s_wait_loadcnt_dscnt 0x803
	v_dual_mul_f32 v59, v119, v59 :: v_dual_mul_f32 v55, v129, v69
	s_delay_alu instid0(VALU_DEP_3) | instskip(SKIP_1) | instid1(VALU_DEP_3)
	v_dual_fmac_f32 v154, v117, v56 :: v_dual_add_f32 v52, v52, v54
	v_fma_f32 v56, v116, v56, -v57
	v_dual_add_f32 v51, v51, v152 :: v_dual_fma_f32 v57, v118, v58, -v59
	v_dual_mul_f32 v61, v121, v61 :: v_dual_mul_f32 v63, v123, v63
	s_delay_alu instid0(VALU_DEP_3)
	v_dual_mul_f32 v54, v131, v71 :: v_dual_add_f32 v52, v52, v56
	s_wait_loadcnt_dscnt 0x701
	v_dual_fmac_f32 v156, v119, v58 :: v_dual_mul_f32 v56, v137, v73
	v_dual_add_f32 v51, v51, v154 :: v_dual_fmac_f32 v157, v121, v60
	v_fma_f32 v58, v120, v60, -v61
	v_dual_add_f32 v52, v52, v57 :: v_dual_mul_f32 v57, v139, v75
	s_delay_alu instid0(VALU_DEP_3) | instskip(SKIP_1) | instid1(VALU_DEP_3)
	v_add_f32_e32 v51, v51, v156
	v_dual_fmac_f32 v158, v123, v62 :: v_dual_fma_f32 v59, v122, v62, -v63
	v_dual_add_f32 v52, v52, v58 :: v_dual_mul_f32 v160, v126, v67
	v_mul_f32_e32 v161, v128, v69
	s_delay_alu instid0(VALU_DEP_4)
	v_add_f32_e32 v51, v51, v157
	s_wait_loadcnt 0x6
	v_dual_mul_f32 v60, v133, v77 :: v_dual_fma_f32 v58, v124, v64, -v65
	v_dual_fmac_f32 v159, v125, v64 :: v_dual_add_f32 v52, v52, v59
	v_fmac_f32_e32 v160, v127, v66
	v_add_f32_e32 v51, v51, v158
	v_dual_mul_f32 v61, v135, v79 :: v_dual_fma_f32 v53, v126, v66, -v53
	s_delay_alu instid0(VALU_DEP_4) | instskip(NEXT) | instid1(VALU_DEP_3)
	v_dual_add_f32 v52, v52, v58 :: v_dual_mul_f32 v162, v130, v71
	v_dual_mul_f32 v163, v136, v73 :: v_dual_add_f32 v51, v51, v159
	s_wait_loadcnt 0x5
	v_dual_mul_f32 v63, v97, v81 :: v_dual_fma_f32 v55, v128, v68, -v55
	s_delay_alu instid0(VALU_DEP_3) | instskip(NEXT) | instid1(VALU_DEP_3)
	v_dual_fmac_f32 v161, v129, v68 :: v_dual_add_f32 v53, v52, v53
	v_dual_add_f32 v51, v51, v160 :: v_dual_fma_f32 v58, v130, v70, -v54
	v_mov_b32_e32 v52, v83
	v_dual_fmac_f32 v162, v131, v70 :: v_dual_fmac_f32 v163, v137, v72
	s_delay_alu instid0(VALU_DEP_3) | instskip(SKIP_4) | instid1(VALU_DEP_3)
	v_dual_add_f32 v51, v51, v161 :: v_dual_fma_f32 v59, v136, v72, -v56
	v_add_f32_e32 v53, v53, v55
	v_dual_mul_f32 v164, v138, v75 :: v_dual_mul_f32 v165, v132, v77
	s_wait_loadcnt 0x4
	v_dual_mov_b32 v56, v87 :: v_dual_fma_f32 v57, v138, v74, -v57
	v_add_f32_e32 v53, v53, v58
	v_add_f32_e32 v51, v51, v162
	v_dual_fmac_f32 v164, v139, v74 :: v_dual_mul_f32 v153, v134, v79
	s_delay_alu instid0(VALU_DEP_3) | instskip(NEXT) | instid1(VALU_DEP_3)
	v_dual_mul_f32 v155, v96, v81 :: v_dual_add_f32 v53, v53, v59
	v_dual_add_f32 v51, v51, v163 :: v_dual_fmac_f32 v165, v133, v76
	v_dual_fma_f32 v60, v132, v76, -v60 :: v_dual_fma_f32 v152, v134, v78, -v61
	s_delay_alu instid0(VALU_DEP_2) | instskip(SKIP_3) | instid1(VALU_DEP_4)
	v_dual_add_f32 v57, v53, v57 :: v_dual_add_f32 v51, v51, v164
	v_fmac_f32_e32 v153, v135, v78
	v_pk_mul_f32 v[52:53], v[144:145], v[52:53] op_sel_hi:[1,0]
	v_pk_mul_f32 v[54:55], v[100:101], v[84:85] op_sel:[1,1] op_sel_hi:[0,1]
	v_dual_add_f32 v60, v57, v60 :: v_dual_add_f32 v61, v51, v165
	s_wait_loadcnt 0x3
	v_dual_fmac_f32 v155, v97, v80 :: v_dual_mov_b32 v62, v91
	v_fma_f32 v154, v96, v80, -v63
	v_pk_fma_f32 v[64:65], v[98:99], v[82:83], v[52:53] op_sel_hi:[1,0,1]
	v_pk_add_f32 v[60:61], v[60:61], v[152:153]
	v_pk_fma_f32 v[52:53], v[98:99], v[82:83], v[52:53] neg_lo:[0,0,1] neg_hi:[0,0,1]
	v_pk_fma_f32 v[66:67], v[100:101], v[84:85], v[54:55] op_sel_hi:[1,0,1]
	v_pk_mul_f32 v[56:57], v[146:147], v[56:57] op_sel_hi:[1,0]
	v_mov_b32_e32 v53, v65
	v_pk_add_f32 v[60:61], v[60:61], v[154:155]
	v_pk_fma_f32 v[54:55], v[100:101], v[84:85], v[54:55] neg_lo:[0,0,1] neg_hi:[0,0,1]
	v_pk_mul_f32 v[58:59], v[104:105], v[88:89] op_sel:[1,1] op_sel_hi:[0,1]
	v_mov_b32_e32 v55, v67
	v_pk_fma_f32 v[66:67], v[102:103], v[86:87], v[56:57] op_sel_hi:[1,0,1]
	v_pk_add_f32 v[52:53], v[60:61], v[52:53]
	v_pk_fma_f32 v[56:57], v[102:103], v[86:87], v[56:57] neg_lo:[0,0,1] neg_hi:[0,0,1]
	v_pk_fma_f32 v[60:61], v[104:105], v[88:89], v[58:59] op_sel_hi:[1,0,1]
	v_pk_mul_f32 v[62:63], v[148:149], v[62:63] op_sel_hi:[1,0]
	v_mov_b32_e32 v57, v67
	v_pk_add_f32 v[52:53], v[52:53], v[54:55]
	v_pk_fma_f32 v[58:59], v[104:105], v[88:89], v[58:59] neg_lo:[0,0,1] neg_hi:[0,0,1]
	s_wait_loadcnt 0x2
	v_pk_mul_f32 v[64:65], v[108:109], v[92:93] op_sel:[1,1] op_sel_hi:[0,1]
	v_dual_mov_b32 v54, v95 :: v_dual_mov_b32 v59, v61
	v_pk_fma_f32 v[60:61], v[106:107], v[90:91], v[62:63] op_sel_hi:[1,0,1]
	v_pk_add_f32 v[52:53], v[52:53], v[56:57]
	v_pk_fma_f32 v[62:63], v[106:107], v[90:91], v[62:63] neg_lo:[0,0,1] neg_hi:[0,0,1]
	v_pk_fma_f32 v[56:57], v[108:109], v[92:93], v[64:65] op_sel_hi:[1,0,1]
	v_pk_mul_f32 v[54:55], v[150:151], v[54:55] op_sel_hi:[1,0]
	v_mov_b32_e32 v63, v61
	v_pk_add_f32 v[52:53], v[52:53], v[58:59]
	v_pk_fma_f32 v[60:61], v[108:109], v[92:93], v[64:65] neg_lo:[0,0,1] neg_hi:[0,0,1]
	s_wait_loadcnt_dscnt 0x100
	v_pk_mul_f32 v[58:59], v[142:143], v[0:1] op_sel:[1,1] op_sel_hi:[0,1]
	v_mov_b32_e32 v61, v57
	v_pk_fma_f32 v[56:57], v[110:111], v[94:95], v[54:55] op_sel_hi:[1,0,1]
	v_pk_add_f32 v[52:53], v[52:53], v[62:63]
	v_pk_fma_f32 v[54:55], v[110:111], v[94:95], v[54:55] neg_lo:[0,0,1] neg_hi:[0,0,1]
	v_pk_fma_f32 v[62:63], v[142:143], v[0:1], v[58:59] op_sel_hi:[1,0,1]
	v_pk_fma_f32 v[0:1], v[142:143], v[0:1], v[58:59] neg_lo:[0,0,1] neg_hi:[0,0,1]
	v_mov_b32_e32 v55, v57
	v_pk_add_f32 v[52:53], v[52:53], v[60:61]
	s_delay_alu instid0(VALU_DEP_4) | instskip(NEXT) | instid1(VALU_DEP_2)
	v_mov_b32_e32 v1, v63
	v_pk_add_f32 v[52:53], v[52:53], v[54:55]
	s_delay_alu instid0(VALU_DEP_1) | instskip(SKIP_1) | instid1(VALU_DEP_1)
	v_pk_add_f32 v[0:1], v[52:53], v[0:1]
	s_wait_loadcnt 0x0
	v_pk_add_f32 v[0:1], v[140:141], v[0:1] neg_lo:[0,1] neg_hi:[0,1]
	scratch_store_b64 off, v[0:1], off
	s_cbranch_vccz .LBB23_204
; %bb.158:
	global_load_b32 v0, v50, s[2:3] offset:88
	s_wait_loadcnt 0x0
	v_cmp_ne_u32_e32 vcc_lo, 23, v0
	s_cbranch_vccz .LBB23_160
; %bb.159:
	v_lshlrev_b32_e32 v0, 3, v0
	s_delay_alu instid0(VALU_DEP_1)
	v_mov_b32_e32 v52, v0
	scratch_load_b64 v[0:1], v52, off offset:-8
	scratch_load_b64 v[50:51], off, off offset:176
	s_wait_loadcnt 0x1
	scratch_store_b64 off, v[0:1], off offset:176
	s_wait_loadcnt 0x0
	scratch_store_b64 v52, v[50:51], off offset:-8
.LBB23_160:
	s_wait_xcnt 0x1
	v_mov_b32_e32 v0, 0
	global_load_b32 v1, v0, s[2:3] offset:84
	s_wait_loadcnt 0x0
	v_cmp_eq_u32_e32 vcc_lo, 22, v1
	s_cbranch_vccnz .LBB23_162
; %bb.161:
	v_lshlrev_b32_e32 v1, 3, v1
	scratch_load_b64 v[50:51], v1, off offset:-8
	scratch_load_b64 v[52:53], off, off offset:168
	s_wait_loadcnt 0x1
	scratch_store_b64 off, v[50:51], off offset:168
	s_wait_loadcnt 0x0
	scratch_store_b64 v1, v[52:53], off offset:-8
.LBB23_162:
	global_load_b32 v0, v0, s[2:3] offset:80
	s_wait_loadcnt 0x0
	v_cmp_eq_u32_e32 vcc_lo, 21, v0
	s_cbranch_vccnz .LBB23_164
; %bb.163:
	s_wait_xcnt 0x0
	v_lshlrev_b32_e32 v0, 3, v0
	s_delay_alu instid0(VALU_DEP_1)
	v_mov_b32_e32 v52, v0
	scratch_load_b64 v[0:1], v52, off offset:-8
	scratch_load_b64 v[50:51], off, off offset:160
	s_wait_loadcnt 0x1
	scratch_store_b64 off, v[0:1], off offset:160
	s_wait_loadcnt 0x0
	scratch_store_b64 v52, v[50:51], off offset:-8
.LBB23_164:
	s_wait_xcnt 0x0
	v_mov_b32_e32 v0, 0
	global_load_b32 v1, v0, s[2:3] offset:76
	s_wait_loadcnt 0x0
	v_cmp_eq_u32_e32 vcc_lo, 20, v1
	s_cbranch_vccnz .LBB23_166
; %bb.165:
	v_lshlrev_b32_e32 v1, 3, v1
	scratch_load_b64 v[50:51], v1, off offset:-8
	scratch_load_b64 v[52:53], off, off offset:152
	s_wait_loadcnt 0x1
	scratch_store_b64 off, v[50:51], off offset:152
	s_wait_loadcnt 0x0
	scratch_store_b64 v1, v[52:53], off offset:-8
.LBB23_166:
	global_load_b32 v0, v0, s[2:3] offset:72
	s_wait_loadcnt 0x0
	v_cmp_eq_u32_e32 vcc_lo, 19, v0
	s_cbranch_vccnz .LBB23_168
; %bb.167:
	s_wait_xcnt 0x0
	v_lshlrev_b32_e32 v0, 3, v0
	s_delay_alu instid0(VALU_DEP_1)
	v_mov_b32_e32 v52, v0
	scratch_load_b64 v[0:1], v52, off offset:-8
	scratch_load_b64 v[50:51], off, off offset:144
	s_wait_loadcnt 0x1
	scratch_store_b64 off, v[0:1], off offset:144
	s_wait_loadcnt 0x0
	scratch_store_b64 v52, v[50:51], off offset:-8
.LBB23_168:
	;; [unrolled: 31-line block ×10, first 2 shown]
	s_wait_xcnt 0x0
	v_mov_b32_e32 v0, 0
	global_load_b32 v1, v0, s[2:3] offset:4
	s_wait_loadcnt 0x0
	v_cmp_eq_u32_e32 vcc_lo, 2, v1
	s_cbranch_vccnz .LBB23_202
; %bb.201:
	v_lshlrev_b32_e32 v1, 3, v1
	scratch_load_b64 v[50:51], v1, off offset:-8
	scratch_load_b64 v[52:53], off, off offset:8
	s_wait_loadcnt 0x1
	scratch_store_b64 off, v[50:51], off offset:8
	s_wait_loadcnt 0x0
	scratch_store_b64 v1, v[52:53], off offset:-8
.LBB23_202:
	global_load_b32 v50, v0, s[2:3]
	scratch_load_b64 v[0:1], off, off
	s_wait_loadcnt 0x1
	v_cmp_eq_u32_e32 vcc_lo, 1, v50
	s_cbranch_vccnz .LBB23_204
; %bb.203:
	v_lshlrev_b32_e32 v50, 3, v50
	s_delay_alu instid0(VALU_DEP_1)
	v_mov_b32_e32 v52, v50
	scratch_load_b64 v[50:51], v52, off offset:-8
	s_wait_loadcnt 0x0
	scratch_store_b64 off, v[50:51], off
	scratch_store_b64 v52, v[0:1], off offset:-8
	scratch_load_b64 v[0:1], off, off
.LBB23_204:
	s_clause 0xb
	scratch_load_b128 v[50:53], off, off offset:8
	scratch_load_b128 v[54:57], off, off offset:24
	;; [unrolled: 1-line block ×11, first 2 shown]
	scratch_load_b64 v[94:95], off, off offset:184
	v_lshl_add_u64 v[4:5], v[4:5], 3, s[4:5]
	v_lshl_add_u64 v[8:9], v[8:9], 3, s[4:5]
	;; [unrolled: 1-line block ×22, first 2 shown]
	s_wait_loadcnt 0xc
	global_store_b64 v[2:3], v[0:1], off
	s_wait_loadcnt 0xb
	s_clause 0x1
	global_store_b64 v[6:7], v[50:51], off
	global_store_b64 v[4:5], v[52:53], off
	s_wait_loadcnt 0xa
	s_clause 0x1
	global_store_b64 v[8:9], v[54:55], off
	;; [unrolled: 4-line block ×11, first 2 shown]
	global_store_b64 v[46:47], v[92:93], off
	s_wait_loadcnt 0x0
	global_store_b64 v[48:49], v[94:95], off
	s_sendmsg sendmsg(MSG_DEALLOC_VGPRS)
	s_endpgm
	.section	.rodata,"a",@progbits
	.p2align	6, 0x0
	.amdhsa_kernel _ZN9rocsolver6v33100L18getri_kernel_smallILi24E19rocblas_complex_numIfEPS3_EEvT1_iilPiilS6_bb
		.amdhsa_group_segment_fixed_size 388
		.amdhsa_private_segment_fixed_size 208
		.amdhsa_kernarg_size 60
		.amdhsa_user_sgpr_count 2
		.amdhsa_user_sgpr_dispatch_ptr 0
		.amdhsa_user_sgpr_queue_ptr 0
		.amdhsa_user_sgpr_kernarg_segment_ptr 1
		.amdhsa_user_sgpr_dispatch_id 0
		.amdhsa_user_sgpr_kernarg_preload_length 0
		.amdhsa_user_sgpr_kernarg_preload_offset 0
		.amdhsa_user_sgpr_private_segment_size 0
		.amdhsa_wavefront_size32 1
		.amdhsa_uses_dynamic_stack 0
		.amdhsa_enable_private_segment 1
		.amdhsa_system_sgpr_workgroup_id_x 1
		.amdhsa_system_sgpr_workgroup_id_y 0
		.amdhsa_system_sgpr_workgroup_id_z 0
		.amdhsa_system_sgpr_workgroup_info 0
		.amdhsa_system_vgpr_workitem_id 0
		.amdhsa_next_free_vgpr 166
		.amdhsa_next_free_sgpr 19
		.amdhsa_named_barrier_count 0
		.amdhsa_reserve_vcc 1
		.amdhsa_float_round_mode_32 0
		.amdhsa_float_round_mode_16_64 0
		.amdhsa_float_denorm_mode_32 3
		.amdhsa_float_denorm_mode_16_64 3
		.amdhsa_fp16_overflow 0
		.amdhsa_memory_ordered 1
		.amdhsa_forward_progress 1
		.amdhsa_inst_pref_size 225
		.amdhsa_round_robin_scheduling 0
		.amdhsa_exception_fp_ieee_invalid_op 0
		.amdhsa_exception_fp_denorm_src 0
		.amdhsa_exception_fp_ieee_div_zero 0
		.amdhsa_exception_fp_ieee_overflow 0
		.amdhsa_exception_fp_ieee_underflow 0
		.amdhsa_exception_fp_ieee_inexact 0
		.amdhsa_exception_int_div_zero 0
	.end_amdhsa_kernel
	.section	.text._ZN9rocsolver6v33100L18getri_kernel_smallILi24E19rocblas_complex_numIfEPS3_EEvT1_iilPiilS6_bb,"axG",@progbits,_ZN9rocsolver6v33100L18getri_kernel_smallILi24E19rocblas_complex_numIfEPS3_EEvT1_iilPiilS6_bb,comdat
.Lfunc_end23:
	.size	_ZN9rocsolver6v33100L18getri_kernel_smallILi24E19rocblas_complex_numIfEPS3_EEvT1_iilPiilS6_bb, .Lfunc_end23-_ZN9rocsolver6v33100L18getri_kernel_smallILi24E19rocblas_complex_numIfEPS3_EEvT1_iilPiilS6_bb
                                        ; -- End function
	.set _ZN9rocsolver6v33100L18getri_kernel_smallILi24E19rocblas_complex_numIfEPS3_EEvT1_iilPiilS6_bb.num_vgpr, 166
	.set _ZN9rocsolver6v33100L18getri_kernel_smallILi24E19rocblas_complex_numIfEPS3_EEvT1_iilPiilS6_bb.num_agpr, 0
	.set _ZN9rocsolver6v33100L18getri_kernel_smallILi24E19rocblas_complex_numIfEPS3_EEvT1_iilPiilS6_bb.numbered_sgpr, 19
	.set _ZN9rocsolver6v33100L18getri_kernel_smallILi24E19rocblas_complex_numIfEPS3_EEvT1_iilPiilS6_bb.num_named_barrier, 0
	.set _ZN9rocsolver6v33100L18getri_kernel_smallILi24E19rocblas_complex_numIfEPS3_EEvT1_iilPiilS6_bb.private_seg_size, 208
	.set _ZN9rocsolver6v33100L18getri_kernel_smallILi24E19rocblas_complex_numIfEPS3_EEvT1_iilPiilS6_bb.uses_vcc, 1
	.set _ZN9rocsolver6v33100L18getri_kernel_smallILi24E19rocblas_complex_numIfEPS3_EEvT1_iilPiilS6_bb.uses_flat_scratch, 1
	.set _ZN9rocsolver6v33100L18getri_kernel_smallILi24E19rocblas_complex_numIfEPS3_EEvT1_iilPiilS6_bb.has_dyn_sized_stack, 0
	.set _ZN9rocsolver6v33100L18getri_kernel_smallILi24E19rocblas_complex_numIfEPS3_EEvT1_iilPiilS6_bb.has_recursion, 0
	.set _ZN9rocsolver6v33100L18getri_kernel_smallILi24E19rocblas_complex_numIfEPS3_EEvT1_iilPiilS6_bb.has_indirect_call, 0
	.section	.AMDGPU.csdata,"",@progbits
; Kernel info:
; codeLenInByte = 28676
; TotalNumSgprs: 21
; NumVgprs: 166
; ScratchSize: 208
; MemoryBound: 0
; FloatMode: 240
; IeeeMode: 1
; LDSByteSize: 388 bytes/workgroup (compile time only)
; SGPRBlocks: 0
; VGPRBlocks: 10
; NumSGPRsForWavesPerEU: 21
; NumVGPRsForWavesPerEU: 166
; NamedBarCnt: 0
; Occupancy: 5
; WaveLimiterHint : 1
; COMPUTE_PGM_RSRC2:SCRATCH_EN: 1
; COMPUTE_PGM_RSRC2:USER_SGPR: 2
; COMPUTE_PGM_RSRC2:TRAP_HANDLER: 0
; COMPUTE_PGM_RSRC2:TGID_X_EN: 1
; COMPUTE_PGM_RSRC2:TGID_Y_EN: 0
; COMPUTE_PGM_RSRC2:TGID_Z_EN: 0
; COMPUTE_PGM_RSRC2:TIDIG_COMP_CNT: 0
	.section	.text._ZN9rocsolver6v33100L18getri_kernel_smallILi25E19rocblas_complex_numIfEPS3_EEvT1_iilPiilS6_bb,"axG",@progbits,_ZN9rocsolver6v33100L18getri_kernel_smallILi25E19rocblas_complex_numIfEPS3_EEvT1_iilPiilS6_bb,comdat
	.globl	_ZN9rocsolver6v33100L18getri_kernel_smallILi25E19rocblas_complex_numIfEPS3_EEvT1_iilPiilS6_bb ; -- Begin function _ZN9rocsolver6v33100L18getri_kernel_smallILi25E19rocblas_complex_numIfEPS3_EEvT1_iilPiilS6_bb
	.p2align	8
	.type	_ZN9rocsolver6v33100L18getri_kernel_smallILi25E19rocblas_complex_numIfEPS3_EEvT1_iilPiilS6_bb,@function
_ZN9rocsolver6v33100L18getri_kernel_smallILi25E19rocblas_complex_numIfEPS3_EEvT1_iilPiilS6_bb: ; @_ZN9rocsolver6v33100L18getri_kernel_smallILi25E19rocblas_complex_numIfEPS3_EEvT1_iilPiilS6_bb
; %bb.0:
	s_mov_b32 s2, exec_lo
	v_cmpx_gt_u32_e32 25, v0
	s_cbranch_execz .LBB24_114
; %bb.1:
	s_clause 0x2
	s_load_b32 s2, s[0:1], 0x38
	s_load_b128 s[12:15], s[0:1], 0x10
	s_load_b128 s[4:7], s[0:1], 0x28
	s_getreg_b32 s9, hwreg(HW_REG_IB_STS2, 6, 4)
	s_wait_kmcnt 0x0
	s_bitcmp1_b32 s2, 8
	s_cselect_b32 s18, -1, 0
	s_bfe_u32 s3, ttmp6, 0x4000c
	s_and_b32 s8, ttmp6, 15
	s_add_co_i32 s3, s3, 1
	s_delay_alu instid0(SALU_CYCLE_1) | instskip(NEXT) | instid1(SALU_CYCLE_1)
	s_mul_i32 s3, ttmp9, s3
	s_add_co_i32 s8, s8, s3
	s_cmp_eq_u32 s9, 0
	s_cselect_b32 s16, ttmp9, s8
	s_bfe_u32 s2, s2, 0x10008
	s_ashr_i32 s17, s16, 31
	s_cmp_eq_u32 s2, 0
                                        ; implicit-def: $sgpr2_sgpr3
	s_cbranch_scc1 .LBB24_3
; %bb.2:
	s_load_b32 s2, s[0:1], 0x20
	s_mul_u64 s[4:5], s[4:5], s[16:17]
	s_delay_alu instid0(SALU_CYCLE_1) | instskip(NEXT) | instid1(SALU_CYCLE_1)
	s_lshl_b64 s[4:5], s[4:5], 2
	s_add_nc_u64 s[4:5], s[14:15], s[4:5]
	s_wait_kmcnt 0x0
	s_ashr_i32 s3, s2, 31
	s_delay_alu instid0(SALU_CYCLE_1) | instskip(NEXT) | instid1(SALU_CYCLE_1)
	s_lshl_b64 s[2:3], s[2:3], 2
	s_add_nc_u64 s[2:3], s[4:5], s[2:3]
.LBB24_3:
	s_clause 0x1
	s_load_b128 s[8:11], s[0:1], 0x0
	s_load_b32 s14, s[0:1], 0x38
	s_wait_xcnt 0x0
	s_mul_u64 s[0:1], s[12:13], s[16:17]
	v_mov_b32_e32 v53, 0
	s_lshl_b64 s[0:1], s[0:1], 3
	s_wait_kmcnt 0x0
	v_add3_u32 v4, s11, s11, v0
	s_ashr_i32 s5, s10, 31
	s_mov_b32 s4, s10
	s_add_nc_u64 s[0:1], s[8:9], s[0:1]
	s_lshl_b64 s[4:5], s[4:5], 3
	v_add_nc_u32_e32 v8, s11, v4
	s_add_nc_u64 s[4:5], s[0:1], s[4:5]
	s_ashr_i32 s1, s11, 31
	s_mov_b32 s0, s11
	s_bitcmp0_b32 s14, 0
	v_add_nc_u32_e32 v10, s11, v8
	s_delay_alu instid0(VALU_DEP_1) | instskip(NEXT) | instid1(VALU_DEP_1)
	v_add_nc_u32_e32 v12, s11, v10
	v_add_nc_u32_e32 v14, s11, v12
	s_delay_alu instid0(VALU_DEP_1) | instskip(NEXT) | instid1(VALU_DEP_1)
	v_add_nc_u32_e32 v16, s11, v14
	;; [unrolled: 3-line block ×5, first 2 shown]
	v_add_nc_u32_e32 v30, s11, v28
	s_delay_alu instid0(VALU_DEP_1) | instskip(NEXT) | instid1(VALU_DEP_1)
	v_dual_lshlrev_b32 v52, 3, v0 :: v_dual_add_nc_u32 v32, s11, v30
	v_add_nc_u64_e32 v[2:3], s[4:5], v[52:53]
	s_delay_alu instid0(VALU_DEP_2) | instskip(NEXT) | instid1(VALU_DEP_2)
	v_add_nc_u32_e32 v34, s11, v32
	v_lshl_add_u64 v[6:7], s[0:1], 3, v[2:3]
	s_mov_b32 s1, -1
	s_delay_alu instid0(VALU_DEP_2)
	v_add_nc_u32_e32 v36, s11, v34
	s_clause 0x9
	global_load_b64 v[54:55], v0, s[4:5] scale_offset
	global_load_b64 v[56:57], v[6:7], off
	global_load_b64 v[58:59], v4, s[4:5] scale_offset
	global_load_b64 v[60:61], v8, s[4:5] scale_offset
	;; [unrolled: 1-line block ×8, first 2 shown]
	v_add_nc_u32_e32 v38, s11, v36
	s_clause 0x3
	global_load_b64 v[74:75], v22, s[4:5] scale_offset
	global_load_b64 v[76:77], v24, s[4:5] scale_offset
	;; [unrolled: 1-line block ×4, first 2 shown]
	v_add_nc_u32_e32 v40, s11, v38
	s_clause 0x3
	global_load_b64 v[82:83], v30, s[4:5] scale_offset
	global_load_b64 v[84:85], v32, s[4:5] scale_offset
	;; [unrolled: 1-line block ×4, first 2 shown]
	v_add_nc_u32_e32 v42, s11, v40
	s_delay_alu instid0(VALU_DEP_1) | instskip(NEXT) | instid1(VALU_DEP_1)
	v_add_nc_u32_e32 v44, s11, v42
	v_add_nc_u32_e32 v46, s11, v44
	s_delay_alu instid0(VALU_DEP_1)
	v_add_nc_u32_e32 v48, s11, v46
	s_clause 0x3
	global_load_b64 v[90:91], v38, s[4:5] scale_offset
	global_load_b64 v[92:93], v40, s[4:5] scale_offset
	;; [unrolled: 1-line block ×4, first 2 shown]
	v_add_nc_u32_e32 v50, s11, v48
	s_clause 0x2
	global_load_b64 v[98:99], v46, s[4:5] scale_offset
	global_load_b64 v[100:101], v48, s[4:5] scale_offset
	;; [unrolled: 1-line block ×3, first 2 shown]
	s_wait_loadcnt 0x17
	scratch_store_b128 off, v[54:57], off
	s_wait_loadcnt 0x15
	scratch_store_b128 off, v[58:61], off offset:16
	s_wait_loadcnt 0x13
	scratch_store_b128 off, v[62:65], off offset:32
	s_wait_loadcnt 0x11
	scratch_store_b128 off, v[66:69], off offset:48
	s_wait_loadcnt 0xf
	scratch_store_b128 off, v[70:73], off offset:64
	s_wait_loadcnt 0xd
	scratch_store_b128 off, v[74:77], off offset:80
	s_wait_loadcnt 0xb
	scratch_store_b128 off, v[78:81], off offset:96
	s_wait_loadcnt 0x9
	scratch_store_b128 off, v[82:85], off offset:112
	s_wait_loadcnt 0x7
	scratch_store_b128 off, v[86:89], off offset:128
	s_wait_loadcnt 0x5
	scratch_store_b128 off, v[90:93], off offset:144
	s_wait_loadcnt 0x3
	scratch_store_b128 off, v[94:97], off offset:160
	s_wait_loadcnt 0x1
	scratch_store_b128 off, v[98:101], off offset:176
	s_wait_loadcnt 0x0
	scratch_store_b64 off, v[102:103], off offset:192
	s_cbranch_scc1 .LBB24_112
; %bb.4:
	v_cmp_eq_u32_e64 s0, 0, v0
	s_wait_xcnt 0x0
	s_and_saveexec_b32 s1, s0
; %bb.5:
	v_mov_b32_e32 v1, 0
	ds_store_b32 v1, v1 offset:200
; %bb.6:
	s_or_b32 exec_lo, exec_lo, s1
	s_wait_storecnt_dscnt 0x0
	s_barrier_signal -1
	s_barrier_wait -1
	scratch_load_b64 v[54:55], v0, off scale_offset
	s_wait_loadcnt 0x0
	v_cmp_eq_f32_e32 vcc_lo, 0, v54
	v_cmp_eq_f32_e64 s1, 0, v55
	s_and_b32 s1, vcc_lo, s1
	s_delay_alu instid0(SALU_CYCLE_1)
	s_and_saveexec_b32 s8, s1
	s_cbranch_execz .LBB24_10
; %bb.7:
	v_mov_b32_e32 v1, 0
	s_mov_b32 s9, 0
	ds_load_b32 v5, v1 offset:200
	s_wait_dscnt 0x0
	v_readfirstlane_b32 s1, v5
	v_add_nc_u32_e32 v5, 1, v0
	s_cmp_eq_u32 s1, 0
	s_delay_alu instid0(VALU_DEP_1) | instskip(SKIP_1) | instid1(SALU_CYCLE_1)
	v_cmp_gt_i32_e32 vcc_lo, s1, v5
	s_cselect_b32 s10, -1, 0
	s_or_b32 s10, s10, vcc_lo
	s_delay_alu instid0(SALU_CYCLE_1)
	s_and_b32 exec_lo, exec_lo, s10
	s_cbranch_execz .LBB24_10
; %bb.8:
	v_mov_b32_e32 v9, s1
.LBB24_9:                               ; =>This Inner Loop Header: Depth=1
	ds_cmpstore_rtn_b32 v9, v1, v5, v9 offset:200
	s_wait_dscnt 0x0
	v_cmp_ne_u32_e32 vcc_lo, 0, v9
	v_cmp_le_i32_e64 s1, v9, v5
	s_and_b32 s1, vcc_lo, s1
	s_delay_alu instid0(SALU_CYCLE_1) | instskip(NEXT) | instid1(SALU_CYCLE_1)
	s_and_b32 s1, exec_lo, s1
	s_or_b32 s9, s1, s9
	s_delay_alu instid0(SALU_CYCLE_1)
	s_and_not1_b32 exec_lo, exec_lo, s9
	s_cbranch_execnz .LBB24_9
.LBB24_10:
	s_or_b32 exec_lo, exec_lo, s8
	v_mov_b32_e32 v1, 0
	s_barrier_signal -1
	s_barrier_wait -1
	ds_load_b32 v5, v1 offset:200
	s_and_saveexec_b32 s1, s0
	s_cbranch_execz .LBB24_12
; %bb.11:
	s_lshl_b64 s[8:9], s[16:17], 2
	s_delay_alu instid0(SALU_CYCLE_1)
	s_add_nc_u64 s[8:9], s[6:7], s[8:9]
	s_wait_dscnt 0x0
	global_store_b32 v1, v5, s[8:9]
.LBB24_12:
	s_wait_xcnt 0x0
	s_or_b32 exec_lo, exec_lo, s1
	s_wait_dscnt 0x0
	v_cmp_ne_u32_e32 vcc_lo, 0, v5
	s_mov_b32 s1, 0
	s_cbranch_vccnz .LBB24_112
; %bb.13:
	v_lshl_add_u32 v5, v0, 3, 0
                                        ; implicit-def: $vgpr57
                                        ; implicit-def: $vgpr58
	scratch_load_b64 v[54:55], v5, off
	s_wait_loadcnt 0x0
	v_cmp_ngt_f32_e64 s1, |v54|, |v55|
	s_wait_xcnt 0x0
	s_and_saveexec_b32 s8, s1
	s_delay_alu instid0(SALU_CYCLE_1)
	s_xor_b32 s1, exec_lo, s8
	s_cbranch_execz .LBB24_15
; %bb.14:
	v_div_scale_f32 v1, null, v55, v55, v54
	v_div_scale_f32 v13, vcc_lo, v54, v55, v54
	s_delay_alu instid0(VALU_DEP_2) | instskip(SKIP_1) | instid1(TRANS32_DEP_1)
	v_rcp_f32_e32 v9, v1
	v_nop
	v_fma_f32 v11, -v1, v9, 1.0
	s_delay_alu instid0(VALU_DEP_1) | instskip(NEXT) | instid1(VALU_DEP_1)
	v_fmac_f32_e32 v9, v11, v9
	v_mul_f32_e32 v11, v13, v9
	s_delay_alu instid0(VALU_DEP_1) | instskip(NEXT) | instid1(VALU_DEP_1)
	v_fma_f32 v15, -v1, v11, v13
	v_fmac_f32_e32 v11, v15, v9
	s_delay_alu instid0(VALU_DEP_1) | instskip(NEXT) | instid1(VALU_DEP_1)
	v_fma_f32 v1, -v1, v11, v13
	v_div_fmas_f32 v1, v1, v9, v11
	s_delay_alu instid0(VALU_DEP_1) | instskip(NEXT) | instid1(VALU_DEP_1)
	v_div_fixup_f32 v1, v1, v55, v54
	v_fmac_f32_e32 v55, v54, v1
	s_delay_alu instid0(VALU_DEP_1) | instskip(NEXT) | instid1(VALU_DEP_1)
	v_div_scale_f32 v9, null, v55, v55, -1.0
	v_rcp_f32_e32 v11, v9
	v_nop
	s_delay_alu instid0(TRANS32_DEP_1) | instskip(NEXT) | instid1(VALU_DEP_1)
	v_fma_f32 v13, -v9, v11, 1.0
	v_fmac_f32_e32 v11, v13, v11
	v_div_scale_f32 v13, vcc_lo, -1.0, v55, -1.0
	s_delay_alu instid0(VALU_DEP_1) | instskip(NEXT) | instid1(VALU_DEP_1)
	v_mul_f32_e32 v15, v13, v11
	v_fma_f32 v17, -v9, v15, v13
	s_delay_alu instid0(VALU_DEP_1) | instskip(NEXT) | instid1(VALU_DEP_1)
	v_fmac_f32_e32 v15, v17, v11
	v_fma_f32 v9, -v9, v15, v13
	s_delay_alu instid0(VALU_DEP_1) | instskip(NEXT) | instid1(VALU_DEP_1)
	v_div_fmas_f32 v9, v9, v11, v15
	v_div_fixup_f32 v57, v9, v55, -1.0
                                        ; implicit-def: $vgpr54_vgpr55
	s_delay_alu instid0(VALU_DEP_1) | instskip(NEXT) | instid1(VALU_DEP_1)
	v_mul_f32_e32 v58, v1, v57
	v_xor_b32_e32 v56, 0x80000000, v58
.LBB24_15:
	s_and_not1_saveexec_b32 s1, s1
	s_cbranch_execz .LBB24_17
; %bb.16:
	v_div_scale_f32 v1, null, v54, v54, v55
	v_div_scale_f32 v13, vcc_lo, v55, v54, v55
	s_delay_alu instid0(VALU_DEP_2) | instskip(SKIP_1) | instid1(TRANS32_DEP_1)
	v_rcp_f32_e32 v9, v1
	v_nop
	v_fma_f32 v11, -v1, v9, 1.0
	s_delay_alu instid0(VALU_DEP_1) | instskip(NEXT) | instid1(VALU_DEP_1)
	v_fmac_f32_e32 v9, v11, v9
	v_mul_f32_e32 v11, v13, v9
	s_delay_alu instid0(VALU_DEP_1) | instskip(NEXT) | instid1(VALU_DEP_1)
	v_fma_f32 v15, -v1, v11, v13
	v_fmac_f32_e32 v11, v15, v9
	s_delay_alu instid0(VALU_DEP_1) | instskip(NEXT) | instid1(VALU_DEP_1)
	v_fma_f32 v1, -v1, v11, v13
	v_div_fmas_f32 v1, v1, v9, v11
	s_delay_alu instid0(VALU_DEP_1) | instskip(NEXT) | instid1(VALU_DEP_1)
	v_div_fixup_f32 v1, v1, v54, v55
	v_fmac_f32_e32 v54, v55, v1
	s_delay_alu instid0(VALU_DEP_1) | instskip(SKIP_1) | instid1(VALU_DEP_2)
	v_div_scale_f32 v9, null, v54, v54, 1.0
	v_div_scale_f32 v15, vcc_lo, 1.0, v54, 1.0
	v_rcp_f32_e32 v11, v9
	v_nop
	s_delay_alu instid0(TRANS32_DEP_1) | instskip(NEXT) | instid1(VALU_DEP_1)
	v_fma_f32 v13, -v9, v11, 1.0
	v_fmac_f32_e32 v11, v13, v11
	s_delay_alu instid0(VALU_DEP_1) | instskip(NEXT) | instid1(VALU_DEP_1)
	v_mul_f32_e32 v13, v15, v11
	v_fma_f32 v17, -v9, v13, v15
	s_delay_alu instid0(VALU_DEP_1) | instskip(NEXT) | instid1(VALU_DEP_1)
	v_fmac_f32_e32 v13, v17, v11
	v_fma_f32 v9, -v9, v13, v15
	s_delay_alu instid0(VALU_DEP_1) | instskip(NEXT) | instid1(VALU_DEP_1)
	v_div_fmas_f32 v9, v9, v11, v13
	v_div_fixup_f32 v56, v9, v54, 1.0
	s_delay_alu instid0(VALU_DEP_1)
	v_xor_b32_e32 v58, 0x80000000, v56
	v_mul_f32_e64 v57, v1, -v56
.LBB24_17:
	s_or_b32 exec_lo, exec_lo, s1
	scratch_store_b64 v5, v[56:57], off
	scratch_load_b64 v[54:55], off, off offset:8
	v_xor_b32_e32 v59, 0x80000000, v57
	v_add_nc_u32_e32 v1, 0xd0, v52
	s_wait_loadcnt 0x0
	ds_store_2addr_b64 v52, v[58:59], v[54:55] offset1:26
	s_wait_storecnt_dscnt 0x0
	s_barrier_signal -1
	s_barrier_wait -1
	s_wait_xcnt 0x0
	s_and_saveexec_b32 s1, s0
	s_cbranch_execz .LBB24_19
; %bb.18:
	scratch_load_b64 v[54:55], v5, off
	ds_load_b64 v[56:57], v1
	s_wait_loadcnt_dscnt 0x0
	v_pk_mul_f32 v[60:61], v[56:57], v[54:55] op_sel:[1,1] op_sel_hi:[0,1]
	s_delay_alu instid0(VALU_DEP_1) | instskip(SKIP_2) | instid1(VALU_DEP_3)
	v_pk_fma_f32 v[62:63], v[56:57], v[54:55], v[60:61] op_sel_hi:[1,0,1]
	v_mov_b32_e32 v9, 0
	v_pk_fma_f32 v[54:55], v[56:57], v[54:55], v[60:61] neg_lo:[0,0,1] neg_hi:[0,0,1]
	v_mov_b32_e32 v55, v63
	ds_load_b64 v[58:59], v9 offset:8
	v_pk_add_f32 v[54:55], v[54:55], 0 op_sel_hi:[1,0]
	s_wait_dscnt 0x0
	s_delay_alu instid0(VALU_DEP_1) | instskip(NEXT) | instid1(VALU_DEP_1)
	v_pk_mul_f32 v[56:57], v[54:55], v[58:59] op_sel:[1,1] op_sel_hi:[0,1]
	v_pk_fma_f32 v[60:61], v[54:55], v[58:59], v[56:57] op_sel_hi:[1,0,1]
	v_pk_fma_f32 v[54:55], v[54:55], v[58:59], v[56:57] neg_lo:[0,0,1] neg_hi:[0,0,1]
	s_delay_alu instid0(VALU_DEP_2)
	v_mov_b32_e32 v55, v61
	scratch_store_b64 off, v[54:55], off offset:8
.LBB24_19:
	s_wait_xcnt 0x0
	s_or_b32 exec_lo, exec_lo, s1
	s_wait_storecnt 0x0
	s_barrier_signal -1
	s_barrier_wait -1
	scratch_load_b64 v[54:55], off, off offset:16
	s_mov_b32 s1, exec_lo
	s_wait_loadcnt 0x0
	ds_store_b64 v1, v[54:55]
	s_wait_dscnt 0x0
	s_barrier_signal -1
	s_barrier_wait -1
	v_cmpx_gt_u32_e32 2, v0
	s_cbranch_execz .LBB24_23
; %bb.20:
	scratch_load_b64 v[54:55], v5, off
	ds_load_b64 v[56:57], v1
	s_wait_loadcnt_dscnt 0x0
	v_pk_mul_f32 v[58:59], v[56:57], v[54:55] op_sel:[1,1] op_sel_hi:[0,1]
	s_delay_alu instid0(VALU_DEP_1) | instskip(SKIP_1) | instid1(VALU_DEP_2)
	v_pk_fma_f32 v[60:61], v[56:57], v[54:55], v[58:59] op_sel_hi:[1,0,1]
	v_pk_fma_f32 v[54:55], v[56:57], v[54:55], v[58:59] neg_lo:[0,0,1] neg_hi:[0,0,1]
	v_mov_b32_e32 v55, v61
	s_delay_alu instid0(VALU_DEP_1)
	v_pk_add_f32 v[54:55], v[54:55], 0 op_sel_hi:[1,0]
	s_and_saveexec_b32 s8, s0
	s_cbranch_execz .LBB24_22
; %bb.21:
	scratch_load_b64 v[56:57], off, off offset:8
	v_mov_b32_e32 v5, 0
	ds_load_b64 v[58:59], v5 offset:216
	s_wait_loadcnt_dscnt 0x0
	v_pk_mul_f32 v[60:61], v[58:59], v[56:57] op_sel:[1,1] op_sel_hi:[0,1]
	s_delay_alu instid0(VALU_DEP_1) | instskip(SKIP_1) | instid1(VALU_DEP_2)
	v_pk_fma_f32 v[62:63], v[58:59], v[56:57], v[60:61] op_sel_hi:[1,0,1]
	v_pk_fma_f32 v[56:57], v[58:59], v[56:57], v[60:61] neg_lo:[0,0,1] neg_hi:[0,0,1]
	v_mov_b32_e32 v57, v63
	s_delay_alu instid0(VALU_DEP_1)
	v_pk_add_f32 v[54:55], v[54:55], v[56:57]
.LBB24_22:
	s_or_b32 exec_lo, exec_lo, s8
	v_mov_b32_e32 v5, 0
	ds_load_b64 v[56:57], v5 offset:16
	s_wait_dscnt 0x0
	v_pk_mul_f32 v[58:59], v[54:55], v[56:57] op_sel:[1,1] op_sel_hi:[0,1]
	s_delay_alu instid0(VALU_DEP_1) | instskip(SKIP_1) | instid1(VALU_DEP_2)
	v_pk_fma_f32 v[60:61], v[54:55], v[56:57], v[58:59] op_sel_hi:[1,0,1]
	v_pk_fma_f32 v[54:55], v[54:55], v[56:57], v[58:59] neg_lo:[0,0,1] neg_hi:[0,0,1]
	v_mov_b32_e32 v55, v61
	scratch_store_b64 off, v[54:55], off offset:16
.LBB24_23:
	s_wait_xcnt 0x0
	s_or_b32 exec_lo, exec_lo, s1
	s_wait_storecnt 0x0
	s_barrier_signal -1
	s_barrier_wait -1
	scratch_load_b64 v[54:55], off, off offset:24
	v_add_nc_u32_e32 v5, -1, v0
	s_mov_b32 s0, exec_lo
	s_wait_loadcnt 0x0
	ds_store_b64 v1, v[54:55]
	s_wait_dscnt 0x0
	s_barrier_signal -1
	s_barrier_wait -1
	v_cmpx_gt_u32_e32 3, v0
	s_cbranch_execz .LBB24_27
; %bb.24:
	v_dual_mov_b32 v54, 0 :: v_dual_add_nc_u32 v9, -1, v0
	v_add_nc_u32_e32 v11, 0xd0, v52
	v_mov_b32_e32 v13, v52
	s_mov_b32 s1, 0
	s_delay_alu instid0(VALU_DEP_3)
	v_mov_b32_e32 v55, v54
.LBB24_25:                              ; =>This Inner Loop Header: Depth=1
	scratch_load_b64 v[56:57], v13, off
	ds_load_b64 v[58:59], v11
	s_wait_xcnt 0x0
	v_dual_add_nc_u32 v11, 8, v11 :: v_dual_add_nc_u32 v13, 8, v13
	s_wait_loadcnt_dscnt 0x0
	v_pk_mul_f32 v[60:61], v[58:59], v[56:57] op_sel:[1,1] op_sel_hi:[0,1]
	s_delay_alu instid0(VALU_DEP_1) | instskip(SKIP_2) | instid1(VALU_DEP_3)
	v_pk_fma_f32 v[62:63], v[58:59], v[56:57], v[60:61] op_sel_hi:[1,0,1]
	v_add_nc_u32_e32 v9, 1, v9
	v_pk_fma_f32 v[56:57], v[58:59], v[56:57], v[60:61] neg_lo:[0,0,1] neg_hi:[0,0,1]
	v_mov_b32_e32 v57, v63
	s_delay_alu instid0(VALU_DEP_3) | instskip(NEXT) | instid1(VALU_DEP_2)
	v_cmp_lt_u32_e32 vcc_lo, 1, v9
	v_pk_add_f32 v[54:55], v[54:55], v[56:57]
	s_or_b32 s1, vcc_lo, s1
	s_delay_alu instid0(SALU_CYCLE_1)
	s_and_not1_b32 exec_lo, exec_lo, s1
	s_cbranch_execnz .LBB24_25
; %bb.26:
	s_or_b32 exec_lo, exec_lo, s1
	v_mov_b32_e32 v9, 0
	ds_load_b64 v[56:57], v9 offset:24
	s_wait_dscnt 0x0
	v_pk_mul_f32 v[58:59], v[54:55], v[56:57] op_sel:[1,1] op_sel_hi:[0,1]
	s_delay_alu instid0(VALU_DEP_1) | instskip(SKIP_1) | instid1(VALU_DEP_2)
	v_pk_fma_f32 v[60:61], v[54:55], v[56:57], v[58:59] op_sel_hi:[1,0,1]
	v_pk_fma_f32 v[54:55], v[54:55], v[56:57], v[58:59] neg_lo:[0,0,1] neg_hi:[0,0,1]
	v_mov_b32_e32 v55, v61
	scratch_store_b64 off, v[54:55], off offset:24
.LBB24_27:
	s_wait_xcnt 0x0
	s_or_b32 exec_lo, exec_lo, s0
	s_wait_storecnt 0x0
	s_barrier_signal -1
	s_barrier_wait -1
	scratch_load_b64 v[54:55], off, off offset:32
	s_mov_b32 s0, exec_lo
	s_wait_loadcnt 0x0
	ds_store_b64 v1, v[54:55]
	s_wait_dscnt 0x0
	s_barrier_signal -1
	s_barrier_wait -1
	v_cmpx_gt_u32_e32 4, v0
	s_cbranch_execz .LBB24_31
; %bb.28:
	v_dual_mov_b32 v54, 0 :: v_dual_add_nc_u32 v9, -1, v0
	v_add_nc_u32_e32 v11, 0xd0, v52
	v_mov_b32_e32 v13, v52
	s_mov_b32 s1, 0
	s_delay_alu instid0(VALU_DEP_3)
	v_mov_b32_e32 v55, v54
.LBB24_29:                              ; =>This Inner Loop Header: Depth=1
	scratch_load_b64 v[56:57], v13, off
	ds_load_b64 v[58:59], v11
	s_wait_xcnt 0x0
	v_dual_add_nc_u32 v11, 8, v11 :: v_dual_add_nc_u32 v13, 8, v13
	s_wait_loadcnt_dscnt 0x0
	v_pk_mul_f32 v[60:61], v[58:59], v[56:57] op_sel:[1,1] op_sel_hi:[0,1]
	s_delay_alu instid0(VALU_DEP_1) | instskip(SKIP_2) | instid1(VALU_DEP_3)
	v_pk_fma_f32 v[62:63], v[58:59], v[56:57], v[60:61] op_sel_hi:[1,0,1]
	v_add_nc_u32_e32 v9, 1, v9
	v_pk_fma_f32 v[56:57], v[58:59], v[56:57], v[60:61] neg_lo:[0,0,1] neg_hi:[0,0,1]
	v_mov_b32_e32 v57, v63
	s_delay_alu instid0(VALU_DEP_3) | instskip(NEXT) | instid1(VALU_DEP_2)
	v_cmp_lt_u32_e32 vcc_lo, 2, v9
	v_pk_add_f32 v[54:55], v[54:55], v[56:57]
	s_or_b32 s1, vcc_lo, s1
	s_delay_alu instid0(SALU_CYCLE_1)
	s_and_not1_b32 exec_lo, exec_lo, s1
	s_cbranch_execnz .LBB24_29
; %bb.30:
	s_or_b32 exec_lo, exec_lo, s1
	v_mov_b32_e32 v9, 0
	ds_load_b64 v[56:57], v9 offset:32
	s_wait_dscnt 0x0
	v_pk_mul_f32 v[58:59], v[54:55], v[56:57] op_sel:[1,1] op_sel_hi:[0,1]
	s_delay_alu instid0(VALU_DEP_1) | instskip(SKIP_1) | instid1(VALU_DEP_2)
	v_pk_fma_f32 v[60:61], v[54:55], v[56:57], v[58:59] op_sel_hi:[1,0,1]
	v_pk_fma_f32 v[54:55], v[54:55], v[56:57], v[58:59] neg_lo:[0,0,1] neg_hi:[0,0,1]
	v_mov_b32_e32 v55, v61
	scratch_store_b64 off, v[54:55], off offset:32
.LBB24_31:
	s_wait_xcnt 0x0
	s_or_b32 exec_lo, exec_lo, s0
	s_wait_storecnt 0x0
	s_barrier_signal -1
	s_barrier_wait -1
	scratch_load_b64 v[54:55], off, off offset:40
	;; [unrolled: 52-line block ×19, first 2 shown]
	s_mov_b32 s0, exec_lo
	s_wait_loadcnt 0x0
	ds_store_b64 v1, v[54:55]
	s_wait_dscnt 0x0
	s_barrier_signal -1
	s_barrier_wait -1
	v_cmpx_gt_u32_e32 22, v0
	s_cbranch_execz .LBB24_103
; %bb.100:
	v_dual_mov_b32 v54, 0 :: v_dual_add_nc_u32 v9, -1, v0
	v_add_nc_u32_e32 v11, 0xd0, v52
	v_mov_b32_e32 v13, v52
	s_mov_b32 s1, 0
	s_delay_alu instid0(VALU_DEP_3)
	v_mov_b32_e32 v55, v54
.LBB24_101:                             ; =>This Inner Loop Header: Depth=1
	scratch_load_b64 v[56:57], v13, off
	ds_load_b64 v[58:59], v11
	s_wait_xcnt 0x0
	v_dual_add_nc_u32 v11, 8, v11 :: v_dual_add_nc_u32 v13, 8, v13
	s_wait_loadcnt_dscnt 0x0
	v_pk_mul_f32 v[60:61], v[58:59], v[56:57] op_sel:[1,1] op_sel_hi:[0,1]
	s_delay_alu instid0(VALU_DEP_1) | instskip(SKIP_2) | instid1(VALU_DEP_3)
	v_pk_fma_f32 v[62:63], v[58:59], v[56:57], v[60:61] op_sel_hi:[1,0,1]
	v_add_nc_u32_e32 v9, 1, v9
	v_pk_fma_f32 v[56:57], v[58:59], v[56:57], v[60:61] neg_lo:[0,0,1] neg_hi:[0,0,1]
	v_mov_b32_e32 v57, v63
	s_delay_alu instid0(VALU_DEP_3) | instskip(NEXT) | instid1(VALU_DEP_2)
	v_cmp_lt_u32_e32 vcc_lo, 20, v9
	v_pk_add_f32 v[54:55], v[54:55], v[56:57]
	s_or_b32 s1, vcc_lo, s1
	s_delay_alu instid0(SALU_CYCLE_1)
	s_and_not1_b32 exec_lo, exec_lo, s1
	s_cbranch_execnz .LBB24_101
; %bb.102:
	s_or_b32 exec_lo, exec_lo, s1
	v_mov_b32_e32 v9, 0
	ds_load_b64 v[56:57], v9 offset:176
	s_wait_dscnt 0x0
	v_pk_mul_f32 v[58:59], v[54:55], v[56:57] op_sel:[1,1] op_sel_hi:[0,1]
	s_delay_alu instid0(VALU_DEP_1) | instskip(SKIP_1) | instid1(VALU_DEP_2)
	v_pk_fma_f32 v[60:61], v[54:55], v[56:57], v[58:59] op_sel_hi:[1,0,1]
	v_pk_fma_f32 v[54:55], v[54:55], v[56:57], v[58:59] neg_lo:[0,0,1] neg_hi:[0,0,1]
	v_mov_b32_e32 v55, v61
	scratch_store_b64 off, v[54:55], off offset:176
.LBB24_103:
	s_wait_xcnt 0x0
	s_or_b32 exec_lo, exec_lo, s0
	s_wait_storecnt 0x0
	s_barrier_signal -1
	s_barrier_wait -1
	scratch_load_b64 v[54:55], off, off offset:184
	s_mov_b32 s0, exec_lo
	s_wait_loadcnt 0x0
	ds_store_b64 v1, v[54:55]
	s_wait_dscnt 0x0
	s_barrier_signal -1
	s_barrier_wait -1
	v_cmpx_gt_u32_e32 23, v0
	s_cbranch_execz .LBB24_107
; %bb.104:
	v_dual_mov_b32 v54, 0 :: v_dual_add_nc_u32 v9, -1, v0
	v_add_nc_u32_e32 v11, 0xd0, v52
	v_mov_b32_e32 v13, v52
	s_mov_b32 s1, 0
	s_delay_alu instid0(VALU_DEP_3)
	v_mov_b32_e32 v55, v54
.LBB24_105:                             ; =>This Inner Loop Header: Depth=1
	scratch_load_b64 v[56:57], v13, off
	ds_load_b64 v[58:59], v11
	s_wait_xcnt 0x0
	v_dual_add_nc_u32 v11, 8, v11 :: v_dual_add_nc_u32 v13, 8, v13
	s_wait_loadcnt_dscnt 0x0
	v_pk_mul_f32 v[60:61], v[58:59], v[56:57] op_sel:[1,1] op_sel_hi:[0,1]
	s_delay_alu instid0(VALU_DEP_1) | instskip(SKIP_2) | instid1(VALU_DEP_3)
	v_pk_fma_f32 v[62:63], v[58:59], v[56:57], v[60:61] op_sel_hi:[1,0,1]
	v_add_nc_u32_e32 v9, 1, v9
	v_pk_fma_f32 v[56:57], v[58:59], v[56:57], v[60:61] neg_lo:[0,0,1] neg_hi:[0,0,1]
	v_mov_b32_e32 v57, v63
	s_delay_alu instid0(VALU_DEP_3) | instskip(NEXT) | instid1(VALU_DEP_2)
	v_cmp_lt_u32_e32 vcc_lo, 21, v9
	v_pk_add_f32 v[54:55], v[54:55], v[56:57]
	s_or_b32 s1, vcc_lo, s1
	s_delay_alu instid0(SALU_CYCLE_1)
	s_and_not1_b32 exec_lo, exec_lo, s1
	s_cbranch_execnz .LBB24_105
; %bb.106:
	s_or_b32 exec_lo, exec_lo, s1
	v_mov_b32_e32 v9, 0
	ds_load_b64 v[56:57], v9 offset:184
	s_wait_dscnt 0x0
	v_pk_mul_f32 v[58:59], v[54:55], v[56:57] op_sel:[1,1] op_sel_hi:[0,1]
	s_delay_alu instid0(VALU_DEP_1) | instskip(SKIP_1) | instid1(VALU_DEP_2)
	v_pk_fma_f32 v[60:61], v[54:55], v[56:57], v[58:59] op_sel_hi:[1,0,1]
	v_pk_fma_f32 v[54:55], v[54:55], v[56:57], v[58:59] neg_lo:[0,0,1] neg_hi:[0,0,1]
	v_mov_b32_e32 v55, v61
	scratch_store_b64 off, v[54:55], off offset:184
.LBB24_107:
	s_wait_xcnt 0x0
	s_or_b32 exec_lo, exec_lo, s0
	s_wait_storecnt 0x0
	s_barrier_signal -1
	s_barrier_wait -1
	scratch_load_b64 v[54:55], off, off offset:192
	s_mov_b32 s0, exec_lo
	s_wait_loadcnt 0x0
	ds_store_b64 v1, v[54:55]
	s_wait_dscnt 0x0
	s_barrier_signal -1
	s_barrier_wait -1
	v_cmpx_ne_u32_e32 24, v0
	s_cbranch_execz .LBB24_111
; %bb.108:
	v_dual_mov_b32 v54, 0 :: v_dual_mov_b32 v9, v52
	s_mov_b32 s1, 0
	s_delay_alu instid0(VALU_DEP_1)
	v_mov_b32_e32 v55, v54
.LBB24_109:                             ; =>This Inner Loop Header: Depth=1
	scratch_load_b64 v[52:53], v9, off
	ds_load_b64 v[56:57], v1
	v_add_nc_u32_e32 v1, 8, v1
	s_wait_xcnt 0x0
	v_add_nc_u32_e32 v9, 8, v9
	s_wait_loadcnt_dscnt 0x0
	v_pk_mul_f32 v[58:59], v[56:57], v[52:53] op_sel:[1,1] op_sel_hi:[0,1]
	s_delay_alu instid0(VALU_DEP_1) | instskip(SKIP_2) | instid1(VALU_DEP_3)
	v_pk_fma_f32 v[60:61], v[56:57], v[52:53], v[58:59] op_sel_hi:[1,0,1]
	v_add_nc_u32_e32 v5, 1, v5
	v_pk_fma_f32 v[52:53], v[56:57], v[52:53], v[58:59] neg_lo:[0,0,1] neg_hi:[0,0,1]
	v_mov_b32_e32 v53, v61
	s_delay_alu instid0(VALU_DEP_3) | instskip(NEXT) | instid1(VALU_DEP_2)
	v_cmp_lt_u32_e32 vcc_lo, 22, v5
	v_pk_add_f32 v[54:55], v[54:55], v[52:53]
	s_or_b32 s1, vcc_lo, s1
	s_delay_alu instid0(SALU_CYCLE_1)
	s_and_not1_b32 exec_lo, exec_lo, s1
	s_cbranch_execnz .LBB24_109
; %bb.110:
	s_or_b32 exec_lo, exec_lo, s1
	v_mov_b32_e32 v1, 0
	ds_load_b64 v[52:53], v1 offset:192
	s_wait_dscnt 0x0
	v_pk_mul_f32 v[56:57], v[54:55], v[52:53] op_sel:[1,1] op_sel_hi:[0,1]
	s_delay_alu instid0(VALU_DEP_1) | instskip(SKIP_1) | instid1(VALU_DEP_2)
	v_pk_fma_f32 v[58:59], v[54:55], v[52:53], v[56:57] op_sel_hi:[1,0,1]
	v_pk_fma_f32 v[52:53], v[54:55], v[52:53], v[56:57] neg_lo:[0,0,1] neg_hi:[0,0,1]
	v_mov_b32_e32 v53, v59
	scratch_store_b64 off, v[52:53], off offset:192
.LBB24_111:
	s_wait_xcnt 0x0
	s_or_b32 exec_lo, exec_lo, s0
	s_mov_b32 s1, -1
	s_wait_storecnt 0x0
	s_barrier_signal -1
	s_barrier_wait -1
.LBB24_112:
	s_and_b32 vcc_lo, exec_lo, s1
	s_cbranch_vccz .LBB24_114
; %bb.113:
	v_mov_b32_e32 v1, 0
	s_lshl_b64 s[0:1], s[16:17], 2
	s_delay_alu instid0(SALU_CYCLE_1)
	s_add_nc_u64 s[0:1], s[6:7], s[0:1]
	global_load_b32 v1, v1, s[0:1]
	s_wait_loadcnt 0x0
	v_cmp_ne_u32_e32 vcc_lo, 0, v1
	s_cbranch_vccz .LBB24_115
.LBB24_114:
	s_sendmsg sendmsg(MSG_DEALLOC_VGPRS)
	s_endpgm
.LBB24_115:
	s_wait_xcnt 0x0
	v_lshl_add_u32 v1, v0, 3, 0xd0
	s_mov_b32 s0, exec_lo
	v_cmpx_eq_u32_e32 24, v0
	s_cbranch_execz .LBB24_117
; %bb.116:
	scratch_load_b64 v[52:53], off, off offset:184
	v_mov_b64_e32 v[54:55], 0
	scratch_store_b64 off, v[54:55], off offset:184
	s_wait_loadcnt 0x0
	ds_store_b64 v1, v[52:53]
.LBB24_117:
	s_wait_xcnt 0x0
	s_or_b32 exec_lo, exec_lo, s0
	s_wait_storecnt_dscnt 0x0
	s_barrier_signal -1
	s_barrier_wait -1
	s_clause 0x1
	scratch_load_b64 v[52:53], off, off offset:192
	scratch_load_b64 v[54:55], off, off offset:184
	v_mov_b32_e32 v5, 0
	s_mov_b32 s0, exec_lo
	ds_load_b64 v[56:57], v5 offset:400
	s_wait_loadcnt_dscnt 0x100
	v_pk_mul_f32 v[58:59], v[56:57], v[52:53] op_sel:[1,1] op_sel_hi:[0,1]
	s_delay_alu instid0(VALU_DEP_1) | instskip(SKIP_1) | instid1(VALU_DEP_2)
	v_pk_fma_f32 v[60:61], v[56:57], v[52:53], v[58:59] op_sel_hi:[1,0,1]
	v_pk_fma_f32 v[52:53], v[56:57], v[52:53], v[58:59] neg_lo:[0,0,1] neg_hi:[0,0,1]
	v_mov_b32_e32 v53, v61
	s_delay_alu instid0(VALU_DEP_1) | instskip(SKIP_1) | instid1(VALU_DEP_1)
	v_pk_add_f32 v[52:53], v[52:53], 0 op_sel_hi:[1,0]
	s_wait_loadcnt 0x0
	v_pk_add_f32 v[52:53], v[54:55], v[52:53] neg_lo:[0,1] neg_hi:[0,1]
	scratch_store_b64 off, v[52:53], off offset:184
	s_wait_xcnt 0x0
	v_cmpx_lt_u32_e32 22, v0
	s_cbranch_execz .LBB24_119
; %bb.118:
	scratch_load_b64 v[52:53], off, off offset:176
	v_mov_b64_e32 v[54:55], 0
	scratch_store_b64 off, v[54:55], off offset:176
	s_wait_loadcnt 0x0
	ds_store_b64 v1, v[52:53]
.LBB24_119:
	s_wait_xcnt 0x0
	s_or_b32 exec_lo, exec_lo, s0
	s_wait_storecnt_dscnt 0x0
	s_barrier_signal -1
	s_barrier_wait -1
	s_clause 0x1
	scratch_load_b128 v[52:55], off, off offset:184
	scratch_load_b64 v[60:61], off, off offset:176
	ds_load_2addr_b64 v[56:59], v5 offset0:49 offset1:50
	s_mov_b32 s0, exec_lo
	s_wait_dscnt 0x0
	v_dual_mov_b32 v62, v59 :: v_dual_mov_b32 v63, v58
	s_wait_loadcnt 0x1
	v_pk_mul_f32 v[64:65], v[56:57], v[52:53] op_sel:[1,1] op_sel_hi:[0,1]
	s_delay_alu instid0(VALU_DEP_1) | instskip(SKIP_2) | instid1(VALU_DEP_3)
	v_pk_fma_f32 v[68:69], v[56:57], v[52:53], v[64:65] op_sel_hi:[1,0,1]
	v_mov_b32_e32 v66, v55
	v_pk_fma_f32 v[52:53], v[56:57], v[52:53], v[64:65] neg_lo:[0,0,1] neg_hi:[0,0,1]
	v_mov_b32_e32 v53, v69
	s_delay_alu instid0(VALU_DEP_3) | instskip(NEXT) | instid1(VALU_DEP_2)
	v_pk_mul_f32 v[62:63], v[62:63], v[66:67] op_sel_hi:[1,0]
	v_pk_add_f32 v[52:53], v[52:53], 0 op_sel_hi:[1,0]
	s_delay_alu instid0(VALU_DEP_2) | instskip(SKIP_1) | instid1(VALU_DEP_2)
	v_pk_fma_f32 v[56:57], v[58:59], v[54:55], v[62:63] op_sel_hi:[1,0,1]
	v_pk_fma_f32 v[54:55], v[58:59], v[54:55], v[62:63] neg_lo:[0,0,1] neg_hi:[0,0,1]
	v_mov_b32_e32 v55, v57
	s_delay_alu instid0(VALU_DEP_1) | instskip(SKIP_1) | instid1(VALU_DEP_1)
	v_pk_add_f32 v[52:53], v[52:53], v[54:55]
	s_wait_loadcnt 0x0
	v_pk_add_f32 v[52:53], v[60:61], v[52:53] neg_lo:[0,1] neg_hi:[0,1]
	scratch_store_b64 off, v[52:53], off offset:176
	s_wait_xcnt 0x0
	v_cmpx_lt_u32_e32 21, v0
	s_cbranch_execz .LBB24_121
; %bb.120:
	scratch_load_b64 v[52:53], off, off offset:168
	v_mov_b64_e32 v[54:55], 0
	scratch_store_b64 off, v[54:55], off offset:168
	s_wait_loadcnt 0x0
	ds_store_b64 v1, v[52:53]
.LBB24_121:
	s_wait_xcnt 0x0
	s_or_b32 exec_lo, exec_lo, s0
	s_wait_storecnt_dscnt 0x0
	s_barrier_signal -1
	s_barrier_wait -1
	s_clause 0x2
	scratch_load_b128 v[52:55], off, off offset:176
	scratch_load_b64 v[60:61], off, off offset:192
	scratch_load_b64 v[62:63], off, off offset:168
	v_mov_b32_e32 v5, 0
	ds_load_b128 v[56:59], v5 offset:384
	ds_load_b64 v[64:65], v5 offset:400
	s_mov_b32 s0, exec_lo
	s_wait_dscnt 0x1
	v_dual_mov_b32 v66, v59 :: v_dual_mov_b32 v67, v58
	s_wait_loadcnt 0x2
	v_mov_b32_e32 v70, v55
	v_pk_mul_f32 v[68:69], v[56:57], v[52:53] op_sel:[1,1] op_sel_hi:[0,1]
	s_delay_alu instid0(VALU_DEP_2) | instskip(NEXT) | instid1(VALU_DEP_2)
	v_pk_mul_f32 v[66:67], v[66:67], v[70:71] op_sel_hi:[1,0]
	v_pk_fma_f32 v[72:73], v[56:57], v[52:53], v[68:69] op_sel_hi:[1,0,1]
	v_pk_fma_f32 v[52:53], v[56:57], v[52:53], v[68:69] neg_lo:[0,0,1] neg_hi:[0,0,1]
	s_wait_loadcnt_dscnt 0x100
	v_pk_mul_f32 v[68:69], v[64:65], v[60:61] op_sel:[1,1] op_sel_hi:[0,1]
	v_pk_fma_f32 v[56:57], v[58:59], v[54:55], v[66:67] op_sel_hi:[1,0,1]
	v_mov_b32_e32 v53, v73
	v_pk_fma_f32 v[54:55], v[58:59], v[54:55], v[66:67] neg_lo:[0,0,1] neg_hi:[0,0,1]
	s_delay_alu instid0(VALU_DEP_4) | instskip(NEXT) | instid1(VALU_DEP_4)
	v_pk_fma_f32 v[58:59], v[64:65], v[60:61], v[68:69] neg_lo:[0,0,1] neg_hi:[0,0,1]
	v_mov_b32_e32 v55, v57
	s_delay_alu instid0(VALU_DEP_4) | instskip(SKIP_1) | instid1(VALU_DEP_2)
	v_pk_add_f32 v[52:53], v[52:53], 0 op_sel_hi:[1,0]
	v_pk_fma_f32 v[56:57], v[64:65], v[60:61], v[68:69] op_sel_hi:[1,0,1]
	v_pk_add_f32 v[52:53], v[52:53], v[54:55]
	s_delay_alu instid0(VALU_DEP_2) | instskip(NEXT) | instid1(VALU_DEP_1)
	v_mov_b32_e32 v59, v57
	v_pk_add_f32 v[52:53], v[52:53], v[58:59]
	s_wait_loadcnt 0x0
	s_delay_alu instid0(VALU_DEP_1)
	v_pk_add_f32 v[52:53], v[62:63], v[52:53] neg_lo:[0,1] neg_hi:[0,1]
	scratch_store_b64 off, v[52:53], off offset:168
	s_wait_xcnt 0x0
	v_cmpx_lt_u32_e32 20, v0
	s_cbranch_execz .LBB24_123
; %bb.122:
	scratch_load_b64 v[52:53], off, off offset:160
	v_mov_b64_e32 v[54:55], 0
	scratch_store_b64 off, v[54:55], off offset:160
	s_wait_loadcnt 0x0
	ds_store_b64 v1, v[52:53]
.LBB24_123:
	s_wait_xcnt 0x0
	s_or_b32 exec_lo, exec_lo, s0
	s_wait_storecnt_dscnt 0x0
	s_barrier_signal -1
	s_barrier_wait -1
	s_clause 0x2
	scratch_load_b128 v[52:55], off, off offset:168
	scratch_load_b128 v[56:59], off, off offset:184
	scratch_load_b64 v[68:69], off, off offset:160
	ds_load_2addr_b64 v[60:63], v5 offset0:47 offset1:48
	ds_load_2addr_b64 v[64:67], v5 offset0:49 offset1:50
	s_mov_b32 s0, exec_lo
	s_wait_dscnt 0x1
	v_dual_mov_b32 v70, v63 :: v_dual_mov_b32 v71, v62
	s_wait_loadcnt_dscnt 0x200
	v_dual_mov_b32 v76, v67 :: v_dual_mov_b32 v74, v55
	v_pk_mul_f32 v[72:73], v[60:61], v[52:53] op_sel:[1,1] op_sel_hi:[0,1]
	s_delay_alu instid0(VALU_DEP_2) | instskip(NEXT) | instid1(VALU_DEP_2)
	v_pk_mul_f32 v[70:71], v[70:71], v[74:75] op_sel_hi:[1,0]
	v_pk_fma_f32 v[78:79], v[60:61], v[52:53], v[72:73] op_sel_hi:[1,0,1]
	v_pk_fma_f32 v[52:53], v[60:61], v[52:53], v[72:73] neg_lo:[0,0,1] neg_hi:[0,0,1]
	v_mov_b32_e32 v77, v66
	s_wait_loadcnt 0x1
	v_pk_mul_f32 v[74:75], v[64:65], v[56:57] op_sel:[1,1] op_sel_hi:[0,1]
	v_pk_fma_f32 v[60:61], v[62:63], v[54:55], v[70:71] op_sel_hi:[1,0,1]
	v_dual_mov_b32 v53, v79 :: v_dual_mov_b32 v60, v59
	v_pk_fma_f32 v[54:55], v[62:63], v[54:55], v[70:71] neg_lo:[0,0,1] neg_hi:[0,0,1]
	s_delay_alu instid0(VALU_DEP_4) | instskip(NEXT) | instid1(VALU_DEP_4)
	v_pk_fma_f32 v[72:73], v[64:65], v[56:57], v[74:75] op_sel_hi:[1,0,1]
	v_mov_b32_e32 v55, v61
	s_delay_alu instid0(VALU_DEP_4) | instskip(SKIP_2) | instid1(VALU_DEP_3)
	v_pk_add_f32 v[52:53], v[52:53], 0 op_sel_hi:[1,0]
	v_pk_mul_f32 v[60:61], v[76:77], v[60:61] op_sel_hi:[1,0]
	v_pk_fma_f32 v[56:57], v[64:65], v[56:57], v[74:75] neg_lo:[0,0,1] neg_hi:[0,0,1]
	v_pk_add_f32 v[52:53], v[52:53], v[54:55]
	s_delay_alu instid0(VALU_DEP_3) | instskip(SKIP_2) | instid1(VALU_DEP_3)
	v_pk_fma_f32 v[54:55], v[66:67], v[58:59], v[60:61] op_sel_hi:[1,0,1]
	v_mov_b32_e32 v57, v73
	v_pk_fma_f32 v[58:59], v[66:67], v[58:59], v[60:61] neg_lo:[0,0,1] neg_hi:[0,0,1]
	v_mov_b32_e32 v59, v55
	s_delay_alu instid0(VALU_DEP_3) | instskip(NEXT) | instid1(VALU_DEP_1)
	v_pk_add_f32 v[52:53], v[52:53], v[56:57]
	v_pk_add_f32 v[52:53], v[52:53], v[58:59]
	s_wait_loadcnt 0x0
	s_delay_alu instid0(VALU_DEP_1)
	v_pk_add_f32 v[52:53], v[68:69], v[52:53] neg_lo:[0,1] neg_hi:[0,1]
	scratch_store_b64 off, v[52:53], off offset:160
	s_wait_xcnt 0x0
	v_cmpx_lt_u32_e32 19, v0
	s_cbranch_execz .LBB24_125
; %bb.124:
	scratch_load_b64 v[52:53], off, off offset:152
	v_mov_b64_e32 v[54:55], 0
	scratch_store_b64 off, v[54:55], off offset:152
	s_wait_loadcnt 0x0
	ds_store_b64 v1, v[52:53]
.LBB24_125:
	s_wait_xcnt 0x0
	s_or_b32 exec_lo, exec_lo, s0
	s_wait_storecnt_dscnt 0x0
	s_barrier_signal -1
	s_barrier_wait -1
	s_clause 0x3
	scratch_load_b128 v[52:55], off, off offset:160
	scratch_load_b128 v[56:59], off, off offset:176
	scratch_load_b64 v[68:69], off, off offset:192
	scratch_load_b64 v[70:71], off, off offset:152
	v_mov_b32_e32 v5, 0
	ds_load_b128 v[60:63], v5 offset:368
	ds_load_b128 v[64:67], v5 offset:384
	s_mov_b32 s0, exec_lo
	s_wait_dscnt 0x1
	v_dual_mov_b32 v72, v63 :: v_dual_mov_b32 v73, v62
	ds_load_b64 v[78:79], v5 offset:400
	s_wait_dscnt 0x1
	v_dual_mov_b32 v80, v67 :: v_dual_mov_b32 v81, v66
	s_wait_loadcnt 0x3
	v_pk_mul_f32 v[74:75], v[60:61], v[52:53] op_sel:[1,1] op_sel_hi:[0,1]
	v_mov_b32_e32 v76, v55
	s_delay_alu instid0(VALU_DEP_2) | instskip(NEXT) | instid1(VALU_DEP_2)
	v_pk_fma_f32 v[82:83], v[60:61], v[52:53], v[74:75] op_sel_hi:[1,0,1]
	v_pk_mul_f32 v[72:73], v[72:73], v[76:77] op_sel_hi:[1,0]
	v_pk_fma_f32 v[52:53], v[60:61], v[52:53], v[74:75] neg_lo:[0,0,1] neg_hi:[0,0,1]
	s_wait_loadcnt 0x2
	v_pk_mul_f32 v[76:77], v[64:65], v[56:57] op_sel:[1,1] op_sel_hi:[0,1]
	v_dual_mov_b32 v82, v59 :: v_dual_mov_b32 v53, v83
	v_pk_fma_f32 v[60:61], v[62:63], v[54:55], v[72:73] op_sel_hi:[1,0,1]
	v_pk_fma_f32 v[54:55], v[62:63], v[54:55], v[72:73] neg_lo:[0,0,1] neg_hi:[0,0,1]
	s_delay_alu instid0(VALU_DEP_4) | instskip(NEXT) | instid1(VALU_DEP_4)
	v_pk_fma_f32 v[74:75], v[64:65], v[56:57], v[76:77] op_sel_hi:[1,0,1]
	v_pk_mul_f32 v[80:81], v[80:81], v[82:83] op_sel_hi:[1,0]
	v_pk_add_f32 v[52:53], v[52:53], 0 op_sel_hi:[1,0]
	v_mov_b32_e32 v55, v61
	v_pk_fma_f32 v[56:57], v[64:65], v[56:57], v[76:77] neg_lo:[0,0,1] neg_hi:[0,0,1]
	v_mov_b32_e32 v57, v75
	v_pk_fma_f32 v[60:61], v[66:67], v[58:59], v[80:81] op_sel_hi:[1,0,1]
	v_pk_fma_f32 v[58:59], v[66:67], v[58:59], v[80:81] neg_lo:[0,0,1] neg_hi:[0,0,1]
	v_pk_add_f32 v[52:53], v[52:53], v[54:55]
	s_wait_loadcnt_dscnt 0x100
	v_pk_mul_f32 v[54:55], v[78:79], v[68:69] op_sel:[1,1] op_sel_hi:[0,1]
	s_delay_alu instid0(VALU_DEP_2) | instskip(NEXT) | instid1(VALU_DEP_2)
	v_pk_add_f32 v[52:53], v[52:53], v[56:57]
	v_pk_fma_f32 v[56:57], v[78:79], v[68:69], v[54:55] op_sel_hi:[1,0,1]
	v_mov_b32_e32 v59, v61
	v_pk_fma_f32 v[54:55], v[78:79], v[68:69], v[54:55] neg_lo:[0,0,1] neg_hi:[0,0,1]
	s_delay_alu instid0(VALU_DEP_3) | instskip(NEXT) | instid1(VALU_DEP_3)
	v_mov_b32_e32 v55, v57
	v_pk_add_f32 v[52:53], v[52:53], v[58:59]
	s_delay_alu instid0(VALU_DEP_1) | instskip(SKIP_1) | instid1(VALU_DEP_1)
	v_pk_add_f32 v[52:53], v[52:53], v[54:55]
	s_wait_loadcnt 0x0
	v_pk_add_f32 v[52:53], v[70:71], v[52:53] neg_lo:[0,1] neg_hi:[0,1]
	scratch_store_b64 off, v[52:53], off offset:152
	s_wait_xcnt 0x0
	v_cmpx_lt_u32_e32 18, v0
	s_cbranch_execz .LBB24_127
; %bb.126:
	scratch_load_b64 v[52:53], off, off offset:144
	v_mov_b64_e32 v[54:55], 0
	scratch_store_b64 off, v[54:55], off offset:144
	s_wait_loadcnt 0x0
	ds_store_b64 v1, v[52:53]
.LBB24_127:
	s_wait_xcnt 0x0
	s_or_b32 exec_lo, exec_lo, s0
	s_wait_storecnt_dscnt 0x0
	s_barrier_signal -1
	s_barrier_wait -1
	s_clause 0x3
	scratch_load_b128 v[52:55], off, off offset:152
	scratch_load_b128 v[56:59], off, off offset:168
	;; [unrolled: 1-line block ×3, first 2 shown]
	scratch_load_b64 v[76:77], off, off offset:144
	ds_load_2addr_b64 v[64:67], v5 offset0:45 offset1:46
	ds_load_2addr_b64 v[68:71], v5 offset0:47 offset1:48
	;; [unrolled: 1-line block ×3, first 2 shown]
	s_mov_b32 s0, exec_lo
	s_wait_dscnt 0x2
	v_dual_mov_b32 v78, v67 :: v_dual_mov_b32 v79, v66
	s_wait_dscnt 0x1
	v_dual_mov_b32 v80, v71 :: v_dual_mov_b32 v81, v70
	;; [unrolled: 2-line block ×3, first 2 shown]
	s_wait_loadcnt 0x3
	v_pk_mul_f32 v[82:83], v[64:65], v[52:53] op_sel:[1,1] op_sel_hi:[0,1]
	v_mov_b32_e32 v84, v55
	s_delay_alu instid0(VALU_DEP_2) | instskip(NEXT) | instid1(VALU_DEP_2)
	v_pk_fma_f32 v[88:89], v[64:65], v[52:53], v[82:83] op_sel_hi:[1,0,1]
	v_pk_mul_f32 v[78:79], v[78:79], v[84:85] op_sel_hi:[1,0]
	v_pk_fma_f32 v[52:53], v[64:65], v[52:53], v[82:83] neg_lo:[0,0,1] neg_hi:[0,0,1]
	s_wait_loadcnt 0x2
	v_pk_mul_f32 v[84:85], v[68:69], v[56:57] op_sel:[1,1] op_sel_hi:[0,1]
	v_mov_b32_e32 v88, v59
	v_pk_fma_f32 v[64:65], v[66:67], v[54:55], v[78:79] op_sel_hi:[1,0,1]
	v_mov_b32_e32 v53, v89
	v_pk_fma_f32 v[54:55], v[66:67], v[54:55], v[78:79] neg_lo:[0,0,1] neg_hi:[0,0,1]
	v_pk_fma_f32 v[82:83], v[68:69], v[56:57], v[84:85] op_sel_hi:[1,0,1]
	v_pk_mul_f32 v[80:81], v[80:81], v[88:89] op_sel_hi:[1,0]
	v_mov_b32_e32 v55, v65
	v_pk_add_f32 v[52:53], v[52:53], 0 op_sel_hi:[1,0]
	v_pk_fma_f32 v[56:57], v[68:69], v[56:57], v[84:85] neg_lo:[0,0,1] neg_hi:[0,0,1]
	s_wait_loadcnt 0x1
	v_pk_mul_f32 v[64:65], v[72:73], v[60:61] op_sel:[1,1] op_sel_hi:[0,1]
	v_mov_b32_e32 v57, v83
	v_pk_fma_f32 v[66:67], v[70:71], v[58:59], v[80:81] op_sel_hi:[1,0,1]
	v_pk_add_f32 v[52:53], v[52:53], v[54:55]
	v_mov_b32_e32 v54, v63
	v_pk_fma_f32 v[58:59], v[70:71], v[58:59], v[80:81] neg_lo:[0,0,1] neg_hi:[0,0,1]
	v_pk_fma_f32 v[68:69], v[72:73], v[60:61], v[64:65] op_sel_hi:[1,0,1]
	v_mov_b32_e32 v59, v67
	v_pk_add_f32 v[52:53], v[52:53], v[56:57]
	v_pk_mul_f32 v[54:55], v[86:87], v[54:55] op_sel_hi:[1,0]
	v_pk_fma_f32 v[56:57], v[72:73], v[60:61], v[64:65] neg_lo:[0,0,1] neg_hi:[0,0,1]
	v_mov_b32_e32 v57, v69
	s_delay_alu instid0(VALU_DEP_4) | instskip(NEXT) | instid1(VALU_DEP_4)
	v_pk_add_f32 v[52:53], v[52:53], v[58:59]
	v_pk_fma_f32 v[58:59], v[74:75], v[62:63], v[54:55] op_sel_hi:[1,0,1]
	v_pk_fma_f32 v[54:55], v[74:75], v[62:63], v[54:55] neg_lo:[0,0,1] neg_hi:[0,0,1]
	s_delay_alu instid0(VALU_DEP_3) | instskip(NEXT) | instid1(VALU_DEP_3)
	v_pk_add_f32 v[52:53], v[52:53], v[56:57]
	v_mov_b32_e32 v55, v59
	s_delay_alu instid0(VALU_DEP_1) | instskip(SKIP_1) | instid1(VALU_DEP_1)
	v_pk_add_f32 v[52:53], v[52:53], v[54:55]
	s_wait_loadcnt 0x0
	v_pk_add_f32 v[52:53], v[76:77], v[52:53] neg_lo:[0,1] neg_hi:[0,1]
	scratch_store_b64 off, v[52:53], off offset:144
	s_wait_xcnt 0x0
	v_cmpx_lt_u32_e32 17, v0
	s_cbranch_execz .LBB24_129
; %bb.128:
	scratch_load_b64 v[52:53], off, off offset:136
	v_mov_b64_e32 v[54:55], 0
	scratch_store_b64 off, v[54:55], off offset:136
	s_wait_loadcnt 0x0
	ds_store_b64 v1, v[52:53]
.LBB24_129:
	s_wait_xcnt 0x0
	s_or_b32 exec_lo, exec_lo, s0
	s_wait_storecnt_dscnt 0x0
	s_barrier_signal -1
	s_barrier_wait -1
	s_clause 0x4
	scratch_load_b128 v[52:55], off, off offset:144
	scratch_load_b128 v[56:59], off, off offset:160
	;; [unrolled: 1-line block ×3, first 2 shown]
	scratch_load_b64 v[76:77], off, off offset:192
	scratch_load_b64 v[78:79], off, off offset:136
	v_mov_b32_e32 v5, 0
	ds_load_b128 v[64:67], v5 offset:352
	ds_load_b128 v[68:71], v5 offset:368
	;; [unrolled: 1-line block ×3, first 2 shown]
	ds_load_b64 v[80:81], v5 offset:400
	s_mov_b32 s0, exec_lo
	s_wait_dscnt 0x3
	v_dual_mov_b32 v82, v67 :: v_dual_mov_b32 v83, v66
	s_wait_dscnt 0x2
	v_dual_mov_b32 v84, v71 :: v_dual_mov_b32 v85, v70
	;; [unrolled: 2-line block ×3, first 2 shown]
	s_wait_loadcnt 0x4
	v_pk_mul_f32 v[86:87], v[64:65], v[52:53] op_sel:[1,1] op_sel_hi:[0,1]
	v_mov_b32_e32 v88, v55
	s_wait_loadcnt 0x3
	v_pk_mul_f32 v[92:93], v[68:69], v[56:57] op_sel:[1,1] op_sel_hi:[0,1]
	s_wait_loadcnt 0x2
	v_pk_mul_f32 v[96:97], v[72:73], v[60:61] op_sel:[1,1] op_sel_hi:[0,1]
	v_pk_fma_f32 v[94:95], v[64:65], v[52:53], v[86:87] op_sel_hi:[1,0,1]
	v_pk_mul_f32 v[82:83], v[82:83], v[88:89] op_sel_hi:[1,0]
	v_pk_fma_f32 v[52:53], v[64:65], v[52:53], v[86:87] neg_lo:[0,0,1] neg_hi:[0,0,1]
	v_mov_b32_e32 v88, v59
	v_pk_fma_f32 v[86:87], v[68:69], v[56:57], v[92:93] op_sel_hi:[1,0,1]
	v_mov_b32_e32 v53, v95
	v_pk_fma_f32 v[64:65], v[66:67], v[54:55], v[82:83] op_sel_hi:[1,0,1]
	v_pk_fma_f32 v[54:55], v[66:67], v[54:55], v[82:83] neg_lo:[0,0,1] neg_hi:[0,0,1]
	v_pk_mul_f32 v[84:85], v[84:85], v[88:89] op_sel_hi:[1,0]
	v_pk_fma_f32 v[56:57], v[68:69], v[56:57], v[92:93] neg_lo:[0,0,1] neg_hi:[0,0,1]
	v_pk_add_f32 v[52:53], v[52:53], 0 op_sel_hi:[1,0]
	v_dual_mov_b32 v55, v65 :: v_dual_mov_b32 v64, v63
	s_delay_alu instid0(VALU_DEP_4) | instskip(SKIP_2) | instid1(VALU_DEP_4)
	v_pk_fma_f32 v[66:67], v[70:71], v[58:59], v[84:85] op_sel_hi:[1,0,1]
	v_mov_b32_e32 v57, v87
	v_pk_fma_f32 v[58:59], v[70:71], v[58:59], v[84:85] neg_lo:[0,0,1] neg_hi:[0,0,1]
	v_pk_add_f32 v[52:53], v[52:53], v[54:55]
	v_pk_fma_f32 v[54:55], v[72:73], v[60:61], v[96:97] op_sel_hi:[1,0,1]
	v_pk_mul_f32 v[64:65], v[90:91], v[64:65] op_sel_hi:[1,0]
	v_mov_b32_e32 v59, v67
	s_delay_alu instid0(VALU_DEP_4)
	v_pk_add_f32 v[52:53], v[52:53], v[56:57]
	v_pk_fma_f32 v[56:57], v[72:73], v[60:61], v[96:97] neg_lo:[0,0,1] neg_hi:[0,0,1]
	v_mov_b32_e32 v57, v55
	v_pk_fma_f32 v[54:55], v[74:75], v[62:63], v[64:65] op_sel_hi:[1,0,1]
	v_pk_fma_f32 v[60:61], v[74:75], v[62:63], v[64:65] neg_lo:[0,0,1] neg_hi:[0,0,1]
	v_pk_add_f32 v[52:53], v[52:53], v[58:59]
	s_wait_loadcnt_dscnt 0x100
	v_pk_mul_f32 v[58:59], v[80:81], v[76:77] op_sel:[1,1] op_sel_hi:[0,1]
	v_mov_b32_e32 v61, v55
	s_delay_alu instid0(VALU_DEP_3) | instskip(NEXT) | instid1(VALU_DEP_3)
	v_pk_add_f32 v[52:53], v[52:53], v[56:57]
	v_pk_fma_f32 v[54:55], v[80:81], v[76:77], v[58:59] op_sel_hi:[1,0,1]
	v_pk_fma_f32 v[56:57], v[80:81], v[76:77], v[58:59] neg_lo:[0,0,1] neg_hi:[0,0,1]
	s_delay_alu instid0(VALU_DEP_3) | instskip(NEXT) | instid1(VALU_DEP_3)
	v_pk_add_f32 v[52:53], v[52:53], v[60:61]
	v_mov_b32_e32 v57, v55
	s_delay_alu instid0(VALU_DEP_1) | instskip(SKIP_1) | instid1(VALU_DEP_1)
	v_pk_add_f32 v[52:53], v[52:53], v[56:57]
	s_wait_loadcnt 0x0
	v_pk_add_f32 v[52:53], v[78:79], v[52:53] neg_lo:[0,1] neg_hi:[0,1]
	scratch_store_b64 off, v[52:53], off offset:136
	s_wait_xcnt 0x0
	v_cmpx_lt_u32_e32 16, v0
	s_cbranch_execz .LBB24_131
; %bb.130:
	scratch_load_b64 v[52:53], off, off offset:128
	v_mov_b64_e32 v[54:55], 0
	scratch_store_b64 off, v[54:55], off offset:128
	s_wait_loadcnt 0x0
	ds_store_b64 v1, v[52:53]
.LBB24_131:
	s_wait_xcnt 0x0
	s_or_b32 exec_lo, exec_lo, s0
	s_wait_storecnt_dscnt 0x0
	s_barrier_signal -1
	s_barrier_wait -1
	s_clause 0x4
	scratch_load_b128 v[52:55], off, off offset:136
	scratch_load_b128 v[56:59], off, off offset:152
	;; [unrolled: 1-line block ×4, first 2 shown]
	scratch_load_b64 v[84:85], off, off offset:128
	ds_load_2addr_b64 v[68:71], v5 offset0:43 offset1:44
	ds_load_2addr_b64 v[72:75], v5 offset0:45 offset1:46
	;; [unrolled: 1-line block ×4, first 2 shown]
	s_mov_b32 s0, exec_lo
	s_wait_dscnt 0x3
	v_dual_mov_b32 v86, v71 :: v_dual_mov_b32 v87, v70
	s_wait_dscnt 0x2
	v_dual_mov_b32 v88, v75 :: v_dual_mov_b32 v89, v74
	;; [unrolled: 2-line block ×3, first 2 shown]
	v_dual_mov_b32 v91, v78 :: v_dual_mov_b32 v96, v83
	s_wait_loadcnt 0x4
	v_mov_b32_e32 v94, v55
	v_pk_mul_f32 v[92:93], v[68:69], v[52:53] op_sel:[1,1] op_sel_hi:[0,1]
	s_wait_loadcnt 0x3
	v_pk_mul_f32 v[98:99], v[72:73], v[56:57] op_sel:[1,1] op_sel_hi:[0,1]
	s_wait_loadcnt 0x2
	v_pk_mul_f32 v[102:103], v[76:77], v[60:61] op_sel:[1,1] op_sel_hi:[0,1]
	v_pk_mul_f32 v[86:87], v[86:87], v[94:95] op_sel_hi:[1,0]
	v_pk_fma_f32 v[100:101], v[68:69], v[52:53], v[92:93] op_sel_hi:[1,0,1]
	v_pk_fma_f32 v[52:53], v[68:69], v[52:53], v[92:93] neg_lo:[0,0,1] neg_hi:[0,0,1]
	v_mov_b32_e32 v94, v59
	v_pk_fma_f32 v[92:93], v[72:73], v[56:57], v[98:99] op_sel_hi:[1,0,1]
	v_pk_fma_f32 v[68:69], v[70:71], v[54:55], v[86:87] op_sel_hi:[1,0,1]
	v_mov_b32_e32 v53, v101
	v_pk_fma_f32 v[54:55], v[70:71], v[54:55], v[86:87] neg_lo:[0,0,1] neg_hi:[0,0,1]
	v_pk_mul_f32 v[88:89], v[88:89], v[94:95] op_sel_hi:[1,0]
	s_delay_alu instid0(VALU_DEP_4) | instskip(NEXT) | instid1(VALU_DEP_4)
	v_dual_mov_b32 v68, v63 :: v_dual_mov_b32 v55, v69
	v_pk_add_f32 v[52:53], v[52:53], 0 op_sel_hi:[1,0]
	v_pk_fma_f32 v[56:57], v[72:73], v[56:57], v[98:99] neg_lo:[0,0,1] neg_hi:[0,0,1]
	v_mov_b32_e32 v57, v93
	v_pk_fma_f32 v[70:71], v[74:75], v[58:59], v[88:89] op_sel_hi:[1,0,1]
	v_pk_mul_f32 v[68:69], v[90:91], v[68:69] op_sel_hi:[1,0]
	v_pk_add_f32 v[52:53], v[52:53], v[54:55]
	v_pk_fma_f32 v[54:55], v[76:77], v[60:61], v[102:103] op_sel_hi:[1,0,1]
	v_pk_fma_f32 v[58:59], v[74:75], v[58:59], v[88:89] neg_lo:[0,0,1] neg_hi:[0,0,1]
	v_mov_b32_e32 v59, v71
	v_pk_fma_f32 v[60:61], v[76:77], v[60:61], v[102:103] neg_lo:[0,0,1] neg_hi:[0,0,1]
	v_pk_add_f32 v[52:53], v[52:53], v[56:57]
	v_mov_b32_e32 v61, v55
	v_pk_fma_f32 v[54:55], v[78:79], v[62:63], v[68:69] op_sel_hi:[1,0,1]
	s_wait_loadcnt 0x1
	v_pk_mul_f32 v[56:57], v[80:81], v[64:65] op_sel:[1,1] op_sel_hi:[0,1]
	v_mov_b32_e32 v54, v67
	v_pk_add_f32 v[52:53], v[52:53], v[58:59]
	v_pk_fma_f32 v[62:63], v[78:79], v[62:63], v[68:69] neg_lo:[0,0,1] neg_hi:[0,0,1]
	v_mov_b32_e32 v63, v55
	v_pk_fma_f32 v[58:59], v[80:81], v[64:65], v[56:57] op_sel_hi:[1,0,1]
	v_pk_mul_f32 v[54:55], v[96:97], v[54:55] op_sel_hi:[1,0]
	v_pk_add_f32 v[52:53], v[52:53], v[60:61]
	v_pk_fma_f32 v[56:57], v[80:81], v[64:65], v[56:57] neg_lo:[0,0,1] neg_hi:[0,0,1]
	s_delay_alu instid0(VALU_DEP_4) | instskip(NEXT) | instid1(VALU_DEP_4)
	v_mov_b32_e32 v57, v59
	v_pk_fma_f32 v[58:59], v[82:83], v[66:67], v[54:55] op_sel_hi:[1,0,1]
	s_delay_alu instid0(VALU_DEP_4) | instskip(SKIP_1) | instid1(VALU_DEP_3)
	v_pk_add_f32 v[52:53], v[52:53], v[62:63]
	v_pk_fma_f32 v[54:55], v[82:83], v[66:67], v[54:55] neg_lo:[0,0,1] neg_hi:[0,0,1]
	v_mov_b32_e32 v55, v59
	s_delay_alu instid0(VALU_DEP_3) | instskip(NEXT) | instid1(VALU_DEP_1)
	v_pk_add_f32 v[52:53], v[52:53], v[56:57]
	v_pk_add_f32 v[52:53], v[52:53], v[54:55]
	s_wait_loadcnt 0x0
	s_delay_alu instid0(VALU_DEP_1)
	v_pk_add_f32 v[52:53], v[84:85], v[52:53] neg_lo:[0,1] neg_hi:[0,1]
	scratch_store_b64 off, v[52:53], off offset:128
	s_wait_xcnt 0x0
	v_cmpx_lt_u32_e32 15, v0
	s_cbranch_execz .LBB24_133
; %bb.132:
	scratch_load_b64 v[52:53], off, off offset:120
	v_mov_b64_e32 v[54:55], 0
	scratch_store_b64 off, v[54:55], off offset:120
	s_wait_loadcnt 0x0
	ds_store_b64 v1, v[52:53]
.LBB24_133:
	s_wait_xcnt 0x0
	s_or_b32 exec_lo, exec_lo, s0
	s_wait_storecnt_dscnt 0x0
	s_barrier_signal -1
	s_barrier_wait -1
	s_clause 0x5
	scratch_load_b128 v[52:55], off, off offset:128
	scratch_load_b128 v[56:59], off, off offset:144
	;; [unrolled: 1-line block ×4, first 2 shown]
	scratch_load_b64 v[84:85], off, off offset:192
	scratch_load_b64 v[86:87], off, off offset:120
	v_mov_b32_e32 v5, 0
	ds_load_b128 v[68:71], v5 offset:336
	ds_load_b128 v[72:75], v5 offset:352
	;; [unrolled: 1-line block ×4, first 2 shown]
	ds_load_b64 v[88:89], v5 offset:400
	s_mov_b32 s0, exec_lo
	s_wait_dscnt 0x4
	v_dual_mov_b32 v90, v71 :: v_dual_mov_b32 v91, v70
	s_wait_dscnt 0x1
	v_dual_mov_b32 v92, v75 :: v_dual_mov_b32 v97, v82
	v_dual_mov_b32 v93, v74 :: v_dual_mov_b32 v94, v79
	;; [unrolled: 1-line block ×3, first 2 shown]
	s_wait_loadcnt 0x5
	v_dual_mov_b32 v98, v55 :: v_dual_mul_f32 v99, v68, v53
	v_mul_f32_e32 v9, v69, v53
	s_wait_loadcnt 0x4
	v_pk_mul_f32 v[100:101], v[72:73], v[56:57] op_sel:[1,1] op_sel_hi:[0,1]
	v_mov_b32_e32 v102, v59
	s_wait_loadcnt 0x3
	v_pk_mul_f32 v[104:105], v[76:77], v[60:61] op_sel:[1,1] op_sel_hi:[0,1]
	v_pk_mul_f32 v[90:91], v[90:91], v[98:99] op_sel_hi:[1,0]
	v_dual_fmac_f32 v99, v69, v52 :: v_dual_fma_f32 v98, v68, v52, -v9
	v_mov_b32_e32 v52, v63
	v_pk_fma_f32 v[106:107], v[72:73], v[56:57], v[100:101] op_sel_hi:[1,0,1]
	s_delay_alu instid0(VALU_DEP_4)
	v_pk_fma_f32 v[68:69], v[70:71], v[54:55], v[90:91] op_sel_hi:[1,0,1]
	v_pk_fma_f32 v[54:55], v[70:71], v[54:55], v[90:91] neg_lo:[0,0,1] neg_hi:[0,0,1]
	v_pk_mul_f32 v[92:93], v[92:93], v[102:103] op_sel_hi:[1,0]
	v_pk_add_f32 v[98:99], v[98:99], 0 op_sel_hi:[1,0]
	v_pk_fma_f32 v[56:57], v[72:73], v[56:57], v[100:101] neg_lo:[0,0,1] neg_hi:[0,0,1]
	v_dual_mov_b32 v55, v69 :: v_dual_mov_b32 v57, v107
	s_delay_alu instid0(VALU_DEP_4) | instskip(SKIP_2) | instid1(VALU_DEP_4)
	v_pk_fma_f32 v[70:71], v[74:75], v[58:59], v[92:93] op_sel_hi:[1,0,1]
	v_pk_fma_f32 v[58:59], v[74:75], v[58:59], v[92:93] neg_lo:[0,0,1] neg_hi:[0,0,1]
	v_pk_fma_f32 v[72:73], v[76:77], v[60:61], v[104:105] op_sel_hi:[1,0,1]
	v_pk_add_f32 v[54:55], v[98:99], v[54:55]
	v_pk_mul_f32 v[52:53], v[94:95], v[52:53] op_sel_hi:[1,0]
	v_mov_b32_e32 v59, v71
	v_pk_fma_f32 v[60:61], v[76:77], v[60:61], v[104:105] neg_lo:[0,0,1] neg_hi:[0,0,1]
	s_wait_loadcnt 0x2
	v_pk_mul_f32 v[68:69], v[80:81], v[64:65] op_sel:[1,1] op_sel_hi:[0,1]
	v_pk_add_f32 v[54:55], v[54:55], v[56:57]
	v_mov_b32_e32 v56, v67
	v_pk_fma_f32 v[70:71], v[78:79], v[62:63], v[52:53] op_sel_hi:[1,0,1]
	v_mov_b32_e32 v61, v73
	v_pk_fma_f32 v[52:53], v[78:79], v[62:63], v[52:53] neg_lo:[0,0,1] neg_hi:[0,0,1]
	v_pk_add_f32 v[54:55], v[54:55], v[58:59]
	v_pk_fma_f32 v[58:59], v[80:81], v[64:65], v[68:69] op_sel_hi:[1,0,1]
	v_pk_mul_f32 v[56:57], v[96:97], v[56:57] op_sel_hi:[1,0]
	v_mov_b32_e32 v53, v71
	s_delay_alu instid0(VALU_DEP_4)
	v_pk_add_f32 v[54:55], v[54:55], v[60:61]
	v_pk_fma_f32 v[60:61], v[80:81], v[64:65], v[68:69] neg_lo:[0,0,1] neg_hi:[0,0,1]
	v_mov_b32_e32 v61, v59
	v_pk_fma_f32 v[58:59], v[82:83], v[66:67], v[56:57] op_sel_hi:[1,0,1]
	v_pk_fma_f32 v[56:57], v[82:83], v[66:67], v[56:57] neg_lo:[0,0,1] neg_hi:[0,0,1]
	v_pk_add_f32 v[52:53], v[54:55], v[52:53]
	s_wait_loadcnt_dscnt 0x100
	v_pk_mul_f32 v[54:55], v[88:89], v[84:85] op_sel:[1,1] op_sel_hi:[0,1]
	v_mov_b32_e32 v57, v59
	s_delay_alu instid0(VALU_DEP_3) | instskip(NEXT) | instid1(VALU_DEP_3)
	v_pk_add_f32 v[52:53], v[52:53], v[60:61]
	v_pk_fma_f32 v[58:59], v[88:89], v[84:85], v[54:55] op_sel_hi:[1,0,1]
	v_pk_fma_f32 v[54:55], v[88:89], v[84:85], v[54:55] neg_lo:[0,0,1] neg_hi:[0,0,1]
	s_delay_alu instid0(VALU_DEP_3) | instskip(NEXT) | instid1(VALU_DEP_3)
	v_pk_add_f32 v[52:53], v[52:53], v[56:57]
	v_mov_b32_e32 v55, v59
	s_delay_alu instid0(VALU_DEP_1) | instskip(SKIP_1) | instid1(VALU_DEP_1)
	v_pk_add_f32 v[52:53], v[52:53], v[54:55]
	s_wait_loadcnt 0x0
	v_pk_add_f32 v[52:53], v[86:87], v[52:53] neg_lo:[0,1] neg_hi:[0,1]
	scratch_store_b64 off, v[52:53], off offset:120
	s_wait_xcnt 0x0
	v_cmpx_lt_u32_e32 14, v0
	s_cbranch_execz .LBB24_135
; %bb.134:
	scratch_load_b64 v[52:53], off, off offset:112
	v_mov_b64_e32 v[54:55], 0
	scratch_store_b64 off, v[54:55], off offset:112
	s_wait_loadcnt 0x0
	ds_store_b64 v1, v[52:53]
.LBB24_135:
	s_wait_xcnt 0x0
	s_or_b32 exec_lo, exec_lo, s0
	s_wait_storecnt_dscnt 0x0
	s_barrier_signal -1
	s_barrier_wait -1
	s_clause 0x5
	scratch_load_b128 v[52:55], off, off offset:120
	scratch_load_b128 v[56:59], off, off offset:136
	;; [unrolled: 1-line block ×5, first 2 shown]
	scratch_load_b64 v[92:93], off, off offset:112
	ds_load_2addr_b64 v[72:75], v5 offset0:43 offset1:44
	ds_load_2addr_b64 v[76:79], v5 offset0:45 offset1:46
	;; [unrolled: 1-line block ×5, first 2 shown]
	s_mov_b32 s0, exec_lo
	s_wait_dscnt 0x4
	v_dual_mov_b32 v94, v75 :: v_dual_mov_b32 v95, v74
	s_wait_dscnt 0x3
	v_dual_mov_b32 v96, v79 :: v_dual_mov_b32 v97, v78
	;; [unrolled: 2-line block ×4, first 2 shown]
	s_wait_loadcnt_dscnt 0x500
	v_dual_mul_f32 v103, v88, v53 :: v_dual_mul_f32 v105, v90, v55
	v_dual_mul_f32 v5, v89, v53 :: v_dual_mul_f32 v9, v91, v55
	s_wait_loadcnt 0x4
	v_pk_mul_f32 v[106:107], v[72:73], v[56:57] op_sel:[1,1] op_sel_hi:[0,1]
	s_wait_loadcnt 0x3
	v_dual_mov_b32 v108, v59 :: v_dual_mov_b32 v112, v63
	v_dual_fmac_f32 v103, v89, v52 :: v_dual_fma_f32 v102, v88, v52, -v5
	v_fma_f32 v104, v90, v54, -v9
	v_pk_fma_f32 v[52:53], v[72:73], v[56:57], v[106:107] op_sel_hi:[1,0,1]
	v_fmac_f32_e32 v105, v91, v54
	v_pk_mul_f32 v[54:55], v[94:95], v[108:109] op_sel_hi:[1,0]
	v_pk_fma_f32 v[56:57], v[72:73], v[56:57], v[106:107] neg_lo:[0,0,1] neg_hi:[0,0,1]
	v_pk_add_f32 v[88:89], v[102:103], 0 op_sel_hi:[1,0]
	v_mov_b32_e32 v57, v53
	v_pk_mul_f32 v[110:111], v[76:77], v[60:61] op_sel:[1,1] op_sel_hi:[0,1]
	v_pk_fma_f32 v[52:53], v[74:75], v[58:59], v[54:55] op_sel_hi:[1,0,1]
	v_pk_fma_f32 v[54:55], v[74:75], v[58:59], v[54:55] neg_lo:[0,0,1] neg_hi:[0,0,1]
	v_pk_mul_f32 v[94:95], v[96:97], v[112:113] op_sel_hi:[1,0]
	s_wait_loadcnt 0x2
	v_pk_mul_f32 v[90:91], v[80:81], v[64:65] op_sel:[1,1] op_sel_hi:[0,1]
	v_pk_fma_f32 v[58:59], v[76:77], v[60:61], v[110:111] neg_lo:[0,0,1] neg_hi:[0,0,1]
	v_mov_b32_e32 v55, v53
	v_pk_add_f32 v[72:73], v[88:89], v[104:105]
	v_pk_fma_f32 v[88:89], v[76:77], v[60:61], v[110:111] op_sel_hi:[1,0,1]
	v_pk_fma_f32 v[60:61], v[78:79], v[62:63], v[94:95] op_sel_hi:[1,0,1]
	v_pk_fma_f32 v[62:63], v[78:79], v[62:63], v[94:95] neg_lo:[0,0,1] neg_hi:[0,0,1]
	s_delay_alu instid0(VALU_DEP_4) | instskip(NEXT) | instid1(VALU_DEP_4)
	v_pk_add_f32 v[52:53], v[72:73], v[56:57]
	v_dual_mov_b32 v56, v67 :: v_dual_mov_b32 v59, v89
	s_delay_alu instid0(VALU_DEP_2) | instskip(SKIP_1) | instid1(VALU_DEP_3)
	v_pk_add_f32 v[52:53], v[52:53], v[54:55]
	v_pk_fma_f32 v[54:55], v[80:81], v[64:65], v[90:91] op_sel_hi:[1,0,1]
	v_pk_mul_f32 v[56:57], v[98:99], v[56:57] op_sel_hi:[1,0]
	v_mov_b32_e32 v63, v61
	v_pk_fma_f32 v[60:61], v[80:81], v[64:65], v[90:91] neg_lo:[0,0,1] neg_hi:[0,0,1]
	v_pk_add_f32 v[52:53], v[52:53], v[58:59]
	v_mov_b32_e32 v61, v55
	v_pk_fma_f32 v[54:55], v[82:83], v[66:67], v[56:57] op_sel_hi:[1,0,1]
	s_wait_loadcnt 0x1
	v_pk_mul_f32 v[58:59], v[84:85], v[68:69] op_sel:[1,1] op_sel_hi:[0,1]
	v_mov_b32_e32 v54, v71
	v_pk_add_f32 v[52:53], v[52:53], v[62:63]
	v_pk_fma_f32 v[56:57], v[82:83], v[66:67], v[56:57] neg_lo:[0,0,1] neg_hi:[0,0,1]
	v_mov_b32_e32 v57, v55
	v_pk_fma_f32 v[62:63], v[84:85], v[68:69], v[58:59] op_sel_hi:[1,0,1]
	v_pk_mul_f32 v[54:55], v[100:101], v[54:55] op_sel_hi:[1,0]
	v_pk_add_f32 v[52:53], v[52:53], v[60:61]
	v_pk_fma_f32 v[58:59], v[84:85], v[68:69], v[58:59] neg_lo:[0,0,1] neg_hi:[0,0,1]
	s_delay_alu instid0(VALU_DEP_2) | instskip(NEXT) | instid1(VALU_DEP_4)
	v_pk_add_f32 v[52:53], v[52:53], v[56:57]
	v_pk_fma_f32 v[56:57], v[86:87], v[70:71], v[54:55] op_sel_hi:[1,0,1]
	v_mov_b32_e32 v59, v63
	v_pk_fma_f32 v[54:55], v[86:87], v[70:71], v[54:55] neg_lo:[0,0,1] neg_hi:[0,0,1]
	s_delay_alu instid0(VALU_DEP_3) | instskip(NEXT) | instid1(VALU_DEP_3)
	v_mov_b32_e32 v55, v57
	v_pk_add_f32 v[52:53], v[52:53], v[58:59]
	s_delay_alu instid0(VALU_DEP_1) | instskip(SKIP_1) | instid1(VALU_DEP_1)
	v_pk_add_f32 v[52:53], v[52:53], v[54:55]
	s_wait_loadcnt 0x0
	v_pk_add_f32 v[52:53], v[92:93], v[52:53] neg_lo:[0,1] neg_hi:[0,1]
	scratch_store_b64 off, v[52:53], off offset:112
	s_wait_xcnt 0x0
	v_cmpx_lt_u32_e32 13, v0
	s_cbranch_execz .LBB24_137
; %bb.136:
	scratch_load_b64 v[52:53], off, off offset:104
	v_mov_b64_e32 v[54:55], 0
	scratch_store_b64 off, v[54:55], off offset:104
	s_wait_loadcnt 0x0
	ds_store_b64 v1, v[52:53]
.LBB24_137:
	s_wait_xcnt 0x0
	s_or_b32 exec_lo, exec_lo, s0
	s_wait_storecnt_dscnt 0x0
	s_barrier_signal -1
	s_barrier_wait -1
	s_clause 0x6
	scratch_load_b128 v[52:55], off, off offset:112
	scratch_load_b128 v[56:59], off, off offset:128
	;; [unrolled: 1-line block ×5, first 2 shown]
	scratch_load_b64 v[92:93], off, off offset:192
	scratch_load_b64 v[94:95], off, off offset:104
	v_mov_b32_e32 v5, 0
	ds_load_b128 v[72:75], v5 offset:336
	ds_load_b128 v[76:79], v5 offset:352
	;; [unrolled: 1-line block ×5, first 2 shown]
	ds_load_b64 v[96:97], v5 offset:400
	s_mov_b32 s0, exec_lo
	s_wait_dscnt 0x5
	v_dual_mov_b32 v98, v75 :: v_dual_mov_b32 v99, v74
	s_wait_dscnt 0x2
	v_dual_mov_b32 v100, v79 :: v_dual_mov_b32 v105, v86
	v_dual_mov_b32 v101, v78 :: v_dual_mov_b32 v102, v83
	;; [unrolled: 1-line block ×3, first 2 shown]
	s_wait_loadcnt_dscnt 0x601
	v_dual_mul_f32 v9, v88, v53 :: v_dual_mul_f32 v11, v89, v53
	v_dual_mul_f32 v13, v91, v55 :: v_dual_mul_f32 v107, v90, v55
	s_wait_loadcnt 0x5
	v_dual_mul_f32 v109, v72, v57 :: v_dual_mul_f32 v15, v73, v57
	s_wait_loadcnt 0x4
	v_dual_mov_b32 v108, v59 :: v_dual_mov_b32 v112, v63
	v_dual_fmac_f32 v9, v89, v52 :: v_dual_fma_f32 v11, v88, v52, -v11
	v_dual_fma_f32 v106, v90, v54, -v13 :: v_dual_fmac_f32 v107, v91, v54
	s_delay_alu instid0(VALU_DEP_3) | instskip(NEXT) | instid1(VALU_DEP_3)
	v_pk_mul_f32 v[52:53], v[98:99], v[108:109] op_sel_hi:[1,0]
	v_dual_add_f32 v55, 0, v9 :: v_dual_add_f32 v54, 0, v11
	s_wait_loadcnt 0x3
	v_mov_b32_e32 v88, v67
	v_pk_mul_f32 v[110:111], v[76:77], v[60:61] op_sel:[1,1] op_sel_hi:[0,1]
	v_dual_fmac_f32 v109, v73, v56 :: v_dual_fma_f32 v108, v72, v56, -v15
	v_pk_fma_f32 v[56:57], v[74:75], v[58:59], v[52:53] op_sel_hi:[1,0,1]
	v_pk_add_f32 v[54:55], v[54:55], v[106:107]
	v_pk_fma_f32 v[52:53], v[74:75], v[58:59], v[52:53] neg_lo:[0,0,1] neg_hi:[0,0,1]
	v_pk_fma_f32 v[72:73], v[76:77], v[60:61], v[110:111] op_sel_hi:[1,0,1]
	v_pk_mul_f32 v[90:91], v[100:101], v[112:113] op_sel_hi:[1,0]
	v_mov_b32_e32 v53, v57
	v_pk_add_f32 v[54:55], v[54:55], v[108:109]
	v_pk_fma_f32 v[58:59], v[76:77], v[60:61], v[110:111] neg_lo:[0,0,1] neg_hi:[0,0,1]
	v_pk_mul_f32 v[114:115], v[80:81], v[64:65] op_sel:[1,1] op_sel_hi:[0,1]
	v_mov_b32_e32 v59, v73
	v_pk_fma_f32 v[60:61], v[78:79], v[62:63], v[90:91] op_sel_hi:[1,0,1]
	v_pk_add_f32 v[52:53], v[54:55], v[52:53]
	v_pk_fma_f32 v[62:63], v[78:79], v[62:63], v[90:91] neg_lo:[0,0,1] neg_hi:[0,0,1]
	v_pk_fma_f32 v[54:55], v[80:81], v[64:65], v[114:115] op_sel_hi:[1,0,1]
	v_pk_mul_f32 v[72:73], v[102:103], v[88:89] op_sel_hi:[1,0]
	s_wait_loadcnt 0x2
	v_dual_mov_b32 v63, v61 :: v_dual_mov_b32 v54, v71
	v_pk_add_f32 v[52:53], v[52:53], v[58:59]
	v_pk_fma_f32 v[58:59], v[80:81], v[64:65], v[114:115] neg_lo:[0,0,1] neg_hi:[0,0,1]
	v_pk_mul_f32 v[56:57], v[84:85], v[68:69] op_sel:[1,1] op_sel_hi:[0,1]
	v_pk_fma_f32 v[60:61], v[82:83], v[66:67], v[72:73] op_sel_hi:[1,0,1]
	v_mov_b32_e32 v59, v55
	v_pk_add_f32 v[52:53], v[52:53], v[62:63]
	v_pk_fma_f32 v[64:65], v[82:83], v[66:67], v[72:73] neg_lo:[0,0,1] neg_hi:[0,0,1]
	v_pk_fma_f32 v[62:63], v[84:85], v[68:69], v[56:57] op_sel_hi:[1,0,1]
	v_pk_mul_f32 v[54:55], v[104:105], v[54:55] op_sel_hi:[1,0]
	v_mov_b32_e32 v65, v61
	v_pk_add_f32 v[52:53], v[52:53], v[58:59]
	v_pk_fma_f32 v[56:57], v[84:85], v[68:69], v[56:57] neg_lo:[0,0,1] neg_hi:[0,0,1]
	s_wait_loadcnt_dscnt 0x100
	v_pk_mul_f32 v[60:61], v[96:97], v[92:93] op_sel:[1,1] op_sel_hi:[0,1]
	v_pk_fma_f32 v[58:59], v[86:87], v[70:71], v[54:55] op_sel_hi:[1,0,1]
	v_mov_b32_e32 v57, v63
	v_pk_add_f32 v[52:53], v[52:53], v[64:65]
	v_pk_fma_f32 v[54:55], v[86:87], v[70:71], v[54:55] neg_lo:[0,0,1] neg_hi:[0,0,1]
	s_delay_alu instid0(VALU_DEP_4) | instskip(SKIP_1) | instid1(VALU_DEP_4)
	v_mov_b32_e32 v55, v59
	v_pk_fma_f32 v[58:59], v[96:97], v[92:93], v[60:61] neg_lo:[0,0,1] neg_hi:[0,0,1]
	v_pk_add_f32 v[52:53], v[52:53], v[56:57]
	v_pk_fma_f32 v[56:57], v[96:97], v[92:93], v[60:61] op_sel_hi:[1,0,1]
	s_delay_alu instid0(VALU_DEP_2) | instskip(NEXT) | instid1(VALU_DEP_2)
	v_pk_add_f32 v[52:53], v[52:53], v[54:55]
	v_mov_b32_e32 v59, v57
	s_delay_alu instid0(VALU_DEP_1) | instskip(SKIP_1) | instid1(VALU_DEP_1)
	v_pk_add_f32 v[52:53], v[52:53], v[58:59]
	s_wait_loadcnt 0x0
	v_pk_add_f32 v[52:53], v[94:95], v[52:53] neg_lo:[0,1] neg_hi:[0,1]
	scratch_store_b64 off, v[52:53], off offset:104
	s_wait_xcnt 0x0
	v_cmpx_lt_u32_e32 12, v0
	s_cbranch_execz .LBB24_139
; %bb.138:
	scratch_load_b64 v[52:53], off, off offset:96
	v_mov_b64_e32 v[54:55], 0
	scratch_store_b64 off, v[54:55], off offset:96
	s_wait_loadcnt 0x0
	ds_store_b64 v1, v[52:53]
.LBB24_139:
	s_wait_xcnt 0x0
	s_or_b32 exec_lo, exec_lo, s0
	s_wait_storecnt_dscnt 0x0
	s_barrier_signal -1
	s_barrier_wait -1
	s_clause 0x6
	scratch_load_b128 v[52:55], off, off offset:104
	scratch_load_b128 v[56:59], off, off offset:120
	;; [unrolled: 1-line block ×6, first 2 shown]
	scratch_load_b64 v[100:101], off, off offset:96
	ds_load_2addr_b64 v[76:79], v5 offset0:43 offset1:44
	ds_load_2addr_b64 v[80:83], v5 offset0:45 offset1:46
	;; [unrolled: 1-line block ×6, first 2 shown]
	s_mov_b32 s0, exec_lo
	s_wait_dscnt 0x5
	v_dual_mov_b32 v102, v79 :: v_dual_mov_b32 v103, v78
	s_wait_dscnt 0x4
	v_dual_mov_b32 v104, v83 :: v_dual_mov_b32 v105, v82
	;; [unrolled: 2-line block ×4, first 2 shown]
	s_wait_loadcnt_dscnt 0x601
	v_dual_mul_f32 v5, v92, v53 :: v_dual_mul_f32 v9, v94, v55
	v_dual_mul_f32 v11, v93, v53 :: v_dual_mul_f32 v13, v95, v55
	s_wait_loadcnt 0x4
	s_delay_alu instid0(VALU_DEP_2)
	v_dual_mov_b32 v116, v63 :: v_dual_fmac_f32 v5, v93, v52
	s_wait_dscnt 0x0
	v_dual_mul_f32 v111, v96, v57 :: v_dual_mul_f32 v113, v98, v59
	v_dual_fma_f32 v11, v92, v52, -v11 :: v_dual_fmac_f32 v9, v95, v54
	v_dual_mul_f32 v15, v97, v57 :: v_dual_mul_f32 v17, v99, v59
	v_dual_fma_f32 v13, v94, v54, -v13 :: v_dual_add_f32 v5, 0, v5
	s_wait_loadcnt 0x3
	s_delay_alu instid0(VALU_DEP_3)
	v_dual_add_f32 v11, 0, v11 :: v_dual_mov_b32 v54, v67
	v_pk_mul_f32 v[114:115], v[76:77], v[60:61] op_sel:[1,1] op_sel_hi:[0,1]
	v_pk_mul_f32 v[52:53], v[80:81], v[64:65] op_sel:[1,1] op_sel_hi:[0,1]
	v_fmac_f32_e32 v111, v97, v56
	v_dual_fma_f32 v110, v96, v56, -v15 :: v_dual_add_f32 v57, v5, v9
	v_add_f32_e32 v56, v11, v13
	v_fmac_f32_e32 v113, v99, v58
	v_fma_f32 v112, v98, v58, -v17
	v_pk_fma_f32 v[58:59], v[76:77], v[60:61], v[114:115] op_sel_hi:[1,0,1]
	v_pk_mul_f32 v[92:93], v[102:103], v[116:117] op_sel_hi:[1,0]
	v_pk_add_f32 v[56:57], v[56:57], v[110:111]
	v_pk_fma_f32 v[60:61], v[76:77], v[60:61], v[114:115] neg_lo:[0,0,1] neg_hi:[0,0,1]
	v_pk_fma_f32 v[76:77], v[80:81], v[64:65], v[52:53] op_sel_hi:[1,0,1]
	v_pk_fma_f32 v[52:53], v[80:81], v[64:65], v[52:53] neg_lo:[0,0,1] neg_hi:[0,0,1]
	v_mov_b32_e32 v61, v59
	v_pk_fma_f32 v[58:59], v[78:79], v[62:63], v[92:93] op_sel_hi:[1,0,1]
	v_pk_fma_f32 v[62:63], v[78:79], v[62:63], v[92:93] neg_lo:[0,0,1] neg_hi:[0,0,1]
	v_mov_b32_e32 v53, v77
	v_pk_add_f32 v[56:57], v[56:57], v[112:113]
	v_pk_mul_f32 v[54:55], v[104:105], v[54:55] op_sel_hi:[1,0]
	s_wait_loadcnt 0x2
	v_dual_mov_b32 v63, v59 :: v_dual_mov_b32 v58, v71
	v_pk_mul_f32 v[94:95], v[84:85], v[68:69] op_sel:[1,1] op_sel_hi:[0,1]
	v_pk_add_f32 v[56:57], v[56:57], v[60:61]
	v_pk_fma_f32 v[60:61], v[82:83], v[66:67], v[54:55] op_sel_hi:[1,0,1]
	v_pk_fma_f32 v[54:55], v[82:83], v[66:67], v[54:55] neg_lo:[0,0,1] neg_hi:[0,0,1]
	v_pk_mul_f32 v[58:59], v[106:107], v[58:59] op_sel_hi:[1,0]
	s_delay_alu instid0(VALU_DEP_4) | instskip(SKIP_3) | instid1(VALU_DEP_4)
	v_pk_add_f32 v[56:57], v[56:57], v[62:63]
	v_pk_fma_f32 v[62:63], v[84:85], v[68:69], v[94:95] op_sel_hi:[1,0,1]
	v_mov_b32_e32 v55, v61
	v_pk_fma_f32 v[60:61], v[84:85], v[68:69], v[94:95] neg_lo:[0,0,1] neg_hi:[0,0,1]
	v_pk_add_f32 v[52:53], v[56:57], v[52:53]
	s_wait_loadcnt 0x1
	v_pk_mul_f32 v[56:57], v[88:89], v[72:73] op_sel:[1,1] op_sel_hi:[0,1]
	v_mov_b32_e32 v61, v63
	v_pk_fma_f32 v[62:63], v[86:87], v[70:71], v[58:59] op_sel_hi:[1,0,1]
	v_pk_fma_f32 v[58:59], v[86:87], v[70:71], v[58:59] neg_lo:[0,0,1] neg_hi:[0,0,1]
	v_pk_add_f32 v[52:53], v[52:53], v[54:55]
	v_mov_b32_e32 v54, v75
	v_pk_fma_f32 v[64:65], v[88:89], v[72:73], v[56:57] op_sel_hi:[1,0,1]
	v_mov_b32_e32 v59, v63
	v_pk_fma_f32 v[56:57], v[88:89], v[72:73], v[56:57] neg_lo:[0,0,1] neg_hi:[0,0,1]
	v_pk_add_f32 v[52:53], v[52:53], v[60:61]
	v_pk_mul_f32 v[54:55], v[108:109], v[54:55] op_sel_hi:[1,0]
	s_delay_alu instid0(VALU_DEP_2) | instskip(NEXT) | instid1(VALU_DEP_2)
	v_pk_add_f32 v[52:53], v[52:53], v[58:59]
	v_pk_fma_f32 v[58:59], v[90:91], v[74:75], v[54:55] op_sel_hi:[1,0,1]
	v_mov_b32_e32 v57, v65
	v_pk_fma_f32 v[54:55], v[90:91], v[74:75], v[54:55] neg_lo:[0,0,1] neg_hi:[0,0,1]
	s_delay_alu instid0(VALU_DEP_3) | instskip(NEXT) | instid1(VALU_DEP_3)
	v_mov_b32_e32 v55, v59
	v_pk_add_f32 v[52:53], v[52:53], v[56:57]
	s_delay_alu instid0(VALU_DEP_1) | instskip(SKIP_1) | instid1(VALU_DEP_1)
	v_pk_add_f32 v[52:53], v[52:53], v[54:55]
	s_wait_loadcnt 0x0
	v_pk_add_f32 v[52:53], v[100:101], v[52:53] neg_lo:[0,1] neg_hi:[0,1]
	scratch_store_b64 off, v[52:53], off offset:96
	s_wait_xcnt 0x0
	v_cmpx_lt_u32_e32 11, v0
	s_cbranch_execz .LBB24_141
; %bb.140:
	scratch_load_b64 v[52:53], off, off offset:88
	v_mov_b64_e32 v[54:55], 0
	scratch_store_b64 off, v[54:55], off offset:88
	s_wait_loadcnt 0x0
	ds_store_b64 v1, v[52:53]
.LBB24_141:
	s_wait_xcnt 0x0
	s_or_b32 exec_lo, exec_lo, s0
	s_wait_storecnt_dscnt 0x0
	s_barrier_signal -1
	s_barrier_wait -1
	s_clause 0x7
	scratch_load_b128 v[52:55], off, off offset:96
	scratch_load_b128 v[56:59], off, off offset:112
	;; [unrolled: 1-line block ×6, first 2 shown]
	scratch_load_b64 v[100:101], off, off offset:192
	scratch_load_b64 v[102:103], off, off offset:88
	v_mov_b32_e32 v5, 0
	ds_load_b128 v[76:79], v5 offset:336
	ds_load_b128 v[80:83], v5 offset:352
	;; [unrolled: 1-line block ×6, first 2 shown]
	ds_load_b64 v[104:105], v5 offset:400
	s_mov_b32 s0, exec_lo
	s_wait_dscnt 0x6
	v_dual_mov_b32 v106, v79 :: v_dual_mov_b32 v107, v78
	s_wait_dscnt 0x3
	v_dual_mov_b32 v108, v83 :: v_dual_mov_b32 v113, v90
	v_dual_mov_b32 v109, v82 :: v_dual_mov_b32 v110, v87
	;; [unrolled: 1-line block ×3, first 2 shown]
	s_wait_loadcnt_dscnt 0x702
	v_dual_mul_f32 v9, v92, v53 :: v_dual_mul_f32 v15, v93, v53
	v_dual_mul_f32 v17, v95, v55 :: v_dual_mul_f32 v11, v94, v55
	s_wait_loadcnt_dscnt 0x601
	s_delay_alu instid0(VALU_DEP_2) | instskip(NEXT) | instid1(VALU_DEP_3)
	v_dual_mul_f32 v13, v96, v57 :: v_dual_fmac_f32 v9, v93, v52
	v_dual_fma_f32 v15, v92, v52, -v15 :: v_dual_mul_f32 v19, v97, v57
	v_mul_f32_e32 v21, v99, v59
	s_wait_loadcnt 0x4
	v_dual_mov_b32 v52, v67 :: v_dual_fma_f32 v17, v94, v54, -v17
	v_dual_fmac_f32 v11, v95, v54 :: v_dual_add_f32 v9, 0, v9
	v_dual_add_f32 v15, 0, v15 :: v_dual_fmac_f32 v13, v97, v56
	v_dual_mul_f32 v115, v98, v59 :: v_dual_mul_f32 v117, v76, v61
	v_dual_mul_f32 v23, v77, v61 :: v_dual_mov_b32 v116, v63
	s_delay_alu instid0(VALU_DEP_4) | instskip(NEXT) | instid1(VALU_DEP_4)
	v_dual_fma_f32 v19, v96, v56, -v19 :: v_dual_add_f32 v9, v9, v11
	v_dual_add_f32 v11, v15, v17 :: v_dual_fma_f32 v114, v98, v58, -v21
	s_delay_alu instid0(VALU_DEP_4) | instskip(NEXT) | instid1(VALU_DEP_4)
	v_fmac_f32_e32 v115, v99, v58
	v_pk_mul_f32 v[56:57], v[106:107], v[116:117] op_sel_hi:[1,0]
	s_delay_alu instid0(VALU_DEP_3)
	v_dual_add_f32 v59, v9, v13 :: v_dual_add_f32 v58, v11, v19
	v_fmac_f32_e32 v117, v77, v60
	v_pk_mul_f32 v[118:119], v[80:81], v[64:65] op_sel:[1,1] op_sel_hi:[0,1]
	s_wait_loadcnt 0x3
	v_dual_mov_b32 v92, v71 :: v_dual_fma_f32 v116, v76, v60, -v23
	v_pk_fma_f32 v[60:61], v[78:79], v[62:63], v[56:57] op_sel_hi:[1,0,1]
	v_pk_add_f32 v[58:59], v[58:59], v[114:115]
	v_pk_fma_f32 v[56:57], v[78:79], v[62:63], v[56:57] neg_lo:[0,0,1] neg_hi:[0,0,1]
	v_pk_fma_f32 v[76:77], v[80:81], v[64:65], v[118:119] op_sel_hi:[1,0,1]
	v_pk_mul_f32 v[52:53], v[108:109], v[52:53] op_sel_hi:[1,0]
	v_mov_b32_e32 v57, v61
	v_pk_add_f32 v[58:59], v[58:59], v[116:117]
	v_pk_fma_f32 v[62:63], v[80:81], v[64:65], v[118:119] neg_lo:[0,0,1] neg_hi:[0,0,1]
	v_pk_mul_f32 v[54:55], v[84:85], v[68:69] op_sel:[1,1] op_sel_hi:[0,1]
	v_mov_b32_e32 v63, v77
	v_pk_fma_f32 v[64:65], v[82:83], v[66:67], v[52:53] op_sel_hi:[1,0,1]
	v_pk_add_f32 v[56:57], v[58:59], v[56:57]
	v_pk_fma_f32 v[52:53], v[82:83], v[66:67], v[52:53] neg_lo:[0,0,1] neg_hi:[0,0,1]
	v_pk_fma_f32 v[58:59], v[84:85], v[68:69], v[54:55] op_sel_hi:[1,0,1]
	v_pk_mul_f32 v[76:77], v[110:111], v[92:93] op_sel_hi:[1,0]
	s_wait_loadcnt 0x2
	v_dual_mov_b32 v53, v65 :: v_dual_mov_b32 v58, v75
	v_pk_add_f32 v[56:57], v[56:57], v[62:63]
	v_pk_fma_f32 v[54:55], v[84:85], v[68:69], v[54:55] neg_lo:[0,0,1] neg_hi:[0,0,1]
	v_pk_mul_f32 v[60:61], v[88:89], v[72:73] op_sel:[1,1] op_sel_hi:[0,1]
	v_pk_fma_f32 v[62:63], v[86:87], v[70:71], v[76:77] op_sel_hi:[1,0,1]
	v_mov_b32_e32 v55, v59
	v_pk_add_f32 v[52:53], v[56:57], v[52:53]
	v_pk_fma_f32 v[64:65], v[86:87], v[70:71], v[76:77] neg_lo:[0,0,1] neg_hi:[0,0,1]
	v_pk_fma_f32 v[56:57], v[88:89], v[72:73], v[60:61] op_sel_hi:[1,0,1]
	v_pk_mul_f32 v[58:59], v[112:113], v[58:59] op_sel_hi:[1,0]
	v_mov_b32_e32 v65, v63
	v_pk_add_f32 v[52:53], v[52:53], v[54:55]
	v_pk_fma_f32 v[54:55], v[88:89], v[72:73], v[60:61] neg_lo:[0,0,1] neg_hi:[0,0,1]
	v_mov_b32_e32 v55, v57
	v_pk_fma_f32 v[56:57], v[90:91], v[74:75], v[58:59] op_sel_hi:[1,0,1]
	s_wait_loadcnt_dscnt 0x100
	v_pk_mul_f32 v[60:61], v[104:105], v[100:101] op_sel:[1,1] op_sel_hi:[0,1]
	v_pk_add_f32 v[52:53], v[52:53], v[64:65]
	v_pk_fma_f32 v[58:59], v[90:91], v[74:75], v[58:59] neg_lo:[0,0,1] neg_hi:[0,0,1]
	v_mov_b32_e32 v59, v57
	s_delay_alu instid0(VALU_DEP_4) | instskip(NEXT) | instid1(VALU_DEP_4)
	v_pk_fma_f32 v[56:57], v[104:105], v[100:101], v[60:61] neg_lo:[0,0,1] neg_hi:[0,0,1]
	v_pk_add_f32 v[52:53], v[52:53], v[54:55]
	v_pk_fma_f32 v[54:55], v[104:105], v[100:101], v[60:61] op_sel_hi:[1,0,1]
	s_delay_alu instid0(VALU_DEP_2) | instskip(NEXT) | instid1(VALU_DEP_2)
	v_pk_add_f32 v[52:53], v[52:53], v[58:59]
	v_mov_b32_e32 v57, v55
	s_delay_alu instid0(VALU_DEP_1) | instskip(SKIP_1) | instid1(VALU_DEP_1)
	v_pk_add_f32 v[52:53], v[52:53], v[56:57]
	s_wait_loadcnt 0x0
	v_pk_add_f32 v[52:53], v[102:103], v[52:53] neg_lo:[0,1] neg_hi:[0,1]
	scratch_store_b64 off, v[52:53], off offset:88
	s_wait_xcnt 0x0
	v_cmpx_lt_u32_e32 10, v0
	s_cbranch_execz .LBB24_143
; %bb.142:
	scratch_load_b64 v[52:53], off, off offset:80
	v_mov_b64_e32 v[54:55], 0
	scratch_store_b64 off, v[54:55], off offset:80
	s_wait_loadcnt 0x0
	ds_store_b64 v1, v[52:53]
.LBB24_143:
	s_wait_xcnt 0x0
	s_or_b32 exec_lo, exec_lo, s0
	s_wait_storecnt_dscnt 0x0
	s_barrier_signal -1
	s_barrier_wait -1
	s_clause 0x7
	scratch_load_b128 v[52:55], off, off offset:88
	scratch_load_b128 v[56:59], off, off offset:104
	;; [unrolled: 1-line block ×7, first 2 shown]
	scratch_load_b64 v[108:109], off, off offset:80
	ds_load_2addr_b64 v[80:83], v5 offset0:43 offset1:44
	ds_load_2addr_b64 v[84:87], v5 offset0:45 offset1:46
	;; [unrolled: 1-line block ×7, first 2 shown]
	s_mov_b32 s0, exec_lo
	s_wait_dscnt 0x6
	v_dual_mov_b32 v110, v83 :: v_dual_mov_b32 v111, v82
	s_wait_dscnt 0x5
	v_dual_mov_b32 v112, v87 :: v_dual_mov_b32 v113, v86
	;; [unrolled: 2-line block ×4, first 2 shown]
	s_wait_loadcnt_dscnt 0x702
	v_dual_mul_f32 v5, v96, v53 :: v_dual_mul_f32 v9, v98, v55
	v_dual_mul_f32 v15, v97, v53 :: v_dual_mul_f32 v17, v99, v55
	s_wait_loadcnt_dscnt 0x601
	v_dual_mul_f32 v11, v100, v57 :: v_dual_mul_f32 v13, v102, v59
	s_delay_alu instid0(VALU_DEP_2) | instskip(SKIP_1) | instid1(VALU_DEP_2)
	v_dual_fmac_f32 v5, v97, v52 :: v_dual_fma_f32 v15, v96, v52, -v15
	v_dual_mul_f32 v19, v101, v57 :: v_dual_mul_f32 v21, v103, v59
	v_dual_fmac_f32 v9, v99, v54 :: v_dual_add_f32 v5, 0, v5
	s_delay_alu instid0(VALU_DEP_3) | instskip(SKIP_2) | instid1(VALU_DEP_3)
	v_dual_fma_f32 v17, v98, v54, -v17 :: v_dual_add_f32 v15, 0, v15
	s_wait_loadcnt 0x4
	v_dual_mov_b32 v54, v67 :: v_dual_fmac_f32 v11, v101, v56
	v_dual_fma_f32 v19, v100, v56, -v19 :: v_dual_add_f32 v5, v5, v9
	s_delay_alu instid0(VALU_DEP_3)
	v_dual_add_f32 v9, v15, v17 :: v_dual_fma_f32 v15, v102, v58, -v21
	s_wait_dscnt 0x0
	v_dual_mul_f32 v119, v104, v61 :: v_dual_mul_f32 v121, v106, v63
	v_dual_mul_f32 v23, v105, v61 :: v_dual_mul_f32 v25, v107, v63
	v_dual_fmac_f32 v13, v103, v58 :: v_dual_add_f32 v5, v5, v11
	s_wait_loadcnt 0x3
	v_dual_add_f32 v9, v9, v19 :: v_dual_mov_b32 v58, v71
	v_pk_mul_f32 v[52:53], v[80:81], v[64:65] op_sel:[1,1] op_sel_hi:[0,1]
	v_dual_fmac_f32 v119, v105, v60 :: v_dual_fmac_f32 v121, v107, v62
	v_dual_fma_f32 v118, v104, v60, -v23 :: v_dual_add_f32 v61, v5, v13
	s_delay_alu instid0(VALU_DEP_4) | instskip(NEXT) | instid1(VALU_DEP_4)
	v_dual_add_f32 v60, v9, v15 :: v_dual_fma_f32 v120, v106, v62, -v25
	v_pk_fma_f32 v[62:63], v[80:81], v[64:65], v[52:53] op_sel_hi:[1,0,1]
	v_pk_mul_f32 v[54:55], v[110:111], v[54:55] op_sel_hi:[1,0]
	v_pk_fma_f32 v[52:53], v[80:81], v[64:65], v[52:53] neg_lo:[0,0,1] neg_hi:[0,0,1]
	s_delay_alu instid0(VALU_DEP_4)
	v_pk_add_f32 v[60:61], v[60:61], v[118:119]
	v_pk_mul_f32 v[56:57], v[84:85], v[68:69] op_sel:[1,1] op_sel_hi:[0,1]
	v_mov_b32_e32 v53, v63
	v_pk_fma_f32 v[62:63], v[82:83], v[66:67], v[54:55] op_sel_hi:[1,0,1]
	v_pk_fma_f32 v[54:55], v[82:83], v[66:67], v[54:55] neg_lo:[0,0,1] neg_hi:[0,0,1]
	v_pk_add_f32 v[60:61], v[60:61], v[120:121]
	v_pk_fma_f32 v[64:65], v[84:85], v[68:69], v[56:57] op_sel_hi:[1,0,1]
	v_pk_mul_f32 v[58:59], v[112:113], v[58:59] op_sel_hi:[1,0]
	v_mov_b32_e32 v55, v63
	s_wait_loadcnt 0x2
	v_pk_mul_f32 v[96:97], v[88:89], v[72:73] op_sel:[1,1] op_sel_hi:[0,1]
	v_pk_add_f32 v[52:53], v[60:61], v[52:53]
	v_mov_b32_e32 v60, v75
	v_pk_fma_f32 v[56:57], v[84:85], v[68:69], v[56:57] neg_lo:[0,0,1] neg_hi:[0,0,1]
	v_mov_b32_e32 v57, v65
	v_pk_fma_f32 v[62:63], v[86:87], v[70:71], v[58:59] op_sel_hi:[1,0,1]
	v_pk_add_f32 v[52:53], v[52:53], v[54:55]
	v_pk_fma_f32 v[54:55], v[88:89], v[72:73], v[96:97] op_sel_hi:[1,0,1]
	v_pk_mul_f32 v[60:61], v[114:115], v[60:61] op_sel_hi:[1,0]
	v_pk_fma_f32 v[58:59], v[86:87], v[70:71], v[58:59] neg_lo:[0,0,1] neg_hi:[0,0,1]
	v_mov_b32_e32 v59, v63
	v_pk_add_f32 v[52:53], v[52:53], v[56:57]
	v_pk_fma_f32 v[62:63], v[88:89], v[72:73], v[96:97] neg_lo:[0,0,1] neg_hi:[0,0,1]
	v_mov_b32_e32 v63, v55
	v_pk_fma_f32 v[54:55], v[90:91], v[74:75], v[60:61] op_sel_hi:[1,0,1]
	s_wait_loadcnt 0x1
	v_pk_mul_f32 v[56:57], v[92:93], v[76:77] op_sel:[1,1] op_sel_hi:[0,1]
	v_pk_add_f32 v[52:53], v[52:53], v[58:59]
	v_mov_b32_e32 v54, v79
	v_pk_fma_f32 v[60:61], v[90:91], v[74:75], v[60:61] neg_lo:[0,0,1] neg_hi:[0,0,1]
	v_mov_b32_e32 v61, v55
	v_pk_fma_f32 v[58:59], v[92:93], v[76:77], v[56:57] op_sel_hi:[1,0,1]
	v_pk_add_f32 v[52:53], v[52:53], v[62:63]
	v_pk_mul_f32 v[54:55], v[116:117], v[54:55] op_sel_hi:[1,0]
	v_pk_fma_f32 v[56:57], v[92:93], v[76:77], v[56:57] neg_lo:[0,0,1] neg_hi:[0,0,1]
	s_delay_alu instid0(VALU_DEP_4) | instskip(NEXT) | instid1(VALU_DEP_4)
	v_mov_b32_e32 v57, v59
	v_pk_add_f32 v[52:53], v[52:53], v[60:61]
	s_delay_alu instid0(VALU_DEP_4) | instskip(SKIP_1) | instid1(VALU_DEP_2)
	v_pk_fma_f32 v[58:59], v[94:95], v[78:79], v[54:55] op_sel_hi:[1,0,1]
	v_pk_fma_f32 v[54:55], v[94:95], v[78:79], v[54:55] neg_lo:[0,0,1] neg_hi:[0,0,1]
	v_mov_b32_e32 v55, v59
	s_delay_alu instid0(VALU_DEP_4) | instskip(NEXT) | instid1(VALU_DEP_1)
	v_pk_add_f32 v[52:53], v[52:53], v[56:57]
	v_pk_add_f32 v[52:53], v[52:53], v[54:55]
	s_wait_loadcnt 0x0
	s_delay_alu instid0(VALU_DEP_1)
	v_pk_add_f32 v[52:53], v[108:109], v[52:53] neg_lo:[0,1] neg_hi:[0,1]
	scratch_store_b64 off, v[52:53], off offset:80
	s_wait_xcnt 0x0
	v_cmpx_lt_u32_e32 9, v0
	s_cbranch_execz .LBB24_145
; %bb.144:
	scratch_load_b64 v[52:53], off, off offset:72
	v_mov_b64_e32 v[54:55], 0
	scratch_store_b64 off, v[54:55], off offset:72
	s_wait_loadcnt 0x0
	ds_store_b64 v1, v[52:53]
.LBB24_145:
	s_wait_xcnt 0x0
	s_or_b32 exec_lo, exec_lo, s0
	s_wait_storecnt_dscnt 0x0
	s_barrier_signal -1
	s_barrier_wait -1
	s_clause 0x8
	scratch_load_b128 v[52:55], off, off offset:80
	scratch_load_b128 v[56:59], off, off offset:96
	;; [unrolled: 1-line block ×7, first 2 shown]
	scratch_load_b64 v[108:109], off, off offset:192
	scratch_load_b64 v[110:111], off, off offset:72
	v_mov_b32_e32 v5, 0
	ds_load_b128 v[80:83], v5 offset:336
	ds_load_b128 v[84:87], v5 offset:352
	;; [unrolled: 1-line block ×7, first 2 shown]
	ds_load_b64 v[112:113], v5 offset:400
	s_mov_b32 s0, exec_lo
	s_wait_dscnt 0x7
	v_dual_mov_b32 v114, v83 :: v_dual_mov_b32 v115, v82
	s_wait_dscnt 0x4
	v_dual_mov_b32 v116, v87 :: v_dual_mov_b32 v121, v94
	v_dual_mov_b32 v117, v86 :: v_dual_mov_b32 v118, v91
	;; [unrolled: 1-line block ×3, first 2 shown]
	s_wait_loadcnt_dscnt 0x803
	v_dual_mul_f32 v9, v96, v53 :: v_dual_mul_f32 v19, v97, v53
	v_dual_mul_f32 v21, v99, v55 :: v_dual_mul_f32 v11, v98, v55
	s_wait_loadcnt_dscnt 0x702
	v_mul_f32_e32 v13, v100, v57
	s_wait_loadcnt 0x5
	v_dual_mul_f32 v31, v81, v65 :: v_dual_fma_f32 v19, v96, v52, -v19
	v_dual_fmac_f32 v9, v97, v52 :: v_dual_mov_b32 v52, v67
	v_dual_mul_f32 v23, v101, v57 :: v_dual_mul_f32 v25, v103, v59
	v_dual_fmac_f32 v11, v99, v54 :: v_dual_fma_f32 v21, v98, v54, -v21
	s_delay_alu instid0(VALU_DEP_3) | instskip(SKIP_3) | instid1(VALU_DEP_3)
	v_dual_add_f32 v9, 0, v9 :: v_dual_add_f32 v19, 0, v19
	s_wait_dscnt 0x1
	v_dual_mul_f32 v15, v102, v59 :: v_dual_mul_f32 v17, v104, v61
	v_dual_fmac_f32 v13, v101, v56 :: v_dual_fma_f32 v23, v100, v56, -v23
	v_dual_add_f32 v9, v9, v11 :: v_dual_add_f32 v11, v19, v21
	v_dual_mul_f32 v27, v105, v61 :: v_dual_mul_f32 v29, v107, v63
	s_wait_loadcnt 0x4
	v_dual_mov_b32 v56, v71 :: v_dual_fma_f32 v19, v102, v58, -v25
	s_delay_alu instid0(VALU_DEP_3) | instskip(SKIP_2) | instid1(VALU_DEP_3)
	v_dual_fmac_f32 v15, v103, v58 :: v_dual_add_f32 v9, v9, v13
	v_dual_add_f32 v11, v11, v23 :: v_dual_fmac_f32 v17, v105, v60
	v_dual_mul_f32 v123, v106, v63 :: v_dual_mul_f32 v125, v80, v65
	v_dual_fma_f32 v13, v104, v60, -v27 :: v_dual_add_f32 v9, v9, v15
	s_delay_alu instid0(VALU_DEP_3) | instskip(NEXT) | instid1(VALU_DEP_3)
	v_dual_add_f32 v11, v11, v19 :: v_dual_fma_f32 v122, v106, v62, -v29
	v_fmac_f32_e32 v123, v107, v62
	v_pk_mul_f32 v[52:53], v[114:115], v[52:53] op_sel_hi:[1,0]
	s_delay_alu instid0(VALU_DEP_4) | instskip(NEXT) | instid1(VALU_DEP_4)
	v_add_f32_e32 v61, v9, v17
	v_dual_add_f32 v60, v11, v13 :: v_dual_fmac_f32 v125, v81, v64
	v_pk_mul_f32 v[54:55], v[84:85], v[68:69] op_sel:[1,1] op_sel_hi:[0,1]
	s_wait_loadcnt 0x3
	v_dual_mov_b32 v62, v75 :: v_dual_fma_f32 v124, v80, v64, -v31
	v_pk_fma_f32 v[64:65], v[82:83], v[66:67], v[52:53] op_sel_hi:[1,0,1]
	v_pk_add_f32 v[60:61], v[60:61], v[122:123]
	v_pk_fma_f32 v[52:53], v[82:83], v[66:67], v[52:53] neg_lo:[0,0,1] neg_hi:[0,0,1]
	v_pk_fma_f32 v[80:81], v[84:85], v[68:69], v[54:55] op_sel_hi:[1,0,1]
	v_pk_mul_f32 v[56:57], v[116:117], v[56:57] op_sel_hi:[1,0]
	v_mov_b32_e32 v53, v65
	v_pk_add_f32 v[60:61], v[60:61], v[124:125]
	v_pk_fma_f32 v[54:55], v[84:85], v[68:69], v[54:55] neg_lo:[0,0,1] neg_hi:[0,0,1]
	v_pk_mul_f32 v[58:59], v[88:89], v[72:73] op_sel:[1,1] op_sel_hi:[0,1]
	v_mov_b32_e32 v55, v81
	v_pk_fma_f32 v[66:67], v[86:87], v[70:71], v[56:57] op_sel_hi:[1,0,1]
	v_pk_add_f32 v[52:53], v[60:61], v[52:53]
	v_pk_fma_f32 v[56:57], v[86:87], v[70:71], v[56:57] neg_lo:[0,0,1] neg_hi:[0,0,1]
	v_pk_fma_f32 v[60:61], v[88:89], v[72:73], v[58:59] op_sel_hi:[1,0,1]
	v_pk_mul_f32 v[62:63], v[118:119], v[62:63] op_sel_hi:[1,0]
	v_mov_b32_e32 v57, v67
	v_pk_add_f32 v[52:53], v[52:53], v[54:55]
	v_pk_fma_f32 v[58:59], v[88:89], v[72:73], v[58:59] neg_lo:[0,0,1] neg_hi:[0,0,1]
	s_wait_loadcnt 0x2
	v_pk_mul_f32 v[64:65], v[92:93], v[76:77] op_sel:[1,1] op_sel_hi:[0,1]
	v_dual_mov_b32 v54, v79 :: v_dual_mov_b32 v59, v61
	v_pk_fma_f32 v[60:61], v[90:91], v[74:75], v[62:63] op_sel_hi:[1,0,1]
	v_pk_add_f32 v[52:53], v[52:53], v[56:57]
	v_pk_fma_f32 v[62:63], v[90:91], v[74:75], v[62:63] neg_lo:[0,0,1] neg_hi:[0,0,1]
	v_pk_fma_f32 v[56:57], v[92:93], v[76:77], v[64:65] op_sel_hi:[1,0,1]
	v_pk_mul_f32 v[54:55], v[120:121], v[54:55] op_sel_hi:[1,0]
	v_mov_b32_e32 v63, v61
	v_pk_add_f32 v[52:53], v[52:53], v[58:59]
	v_pk_fma_f32 v[58:59], v[92:93], v[76:77], v[64:65] neg_lo:[0,0,1] neg_hi:[0,0,1]
	v_mov_b32_e32 v59, v57
	v_pk_fma_f32 v[56:57], v[94:95], v[78:79], v[54:55] op_sel_hi:[1,0,1]
	s_wait_loadcnt_dscnt 0x100
	v_pk_mul_f32 v[60:61], v[112:113], v[108:109] op_sel:[1,1] op_sel_hi:[0,1]
	v_pk_add_f32 v[52:53], v[52:53], v[62:63]
	v_pk_fma_f32 v[54:55], v[94:95], v[78:79], v[54:55] neg_lo:[0,0,1] neg_hi:[0,0,1]
	v_mov_b32_e32 v55, v57
	s_delay_alu instid0(VALU_DEP_4) | instskip(NEXT) | instid1(VALU_DEP_4)
	v_pk_fma_f32 v[56:57], v[112:113], v[108:109], v[60:61] op_sel_hi:[1,0,1]
	v_pk_add_f32 v[52:53], v[52:53], v[58:59]
	v_pk_fma_f32 v[58:59], v[112:113], v[108:109], v[60:61] neg_lo:[0,0,1] neg_hi:[0,0,1]
	s_delay_alu instid0(VALU_DEP_3) | instskip(NEXT) | instid1(VALU_DEP_3)
	v_mov_b32_e32 v59, v57
	v_pk_add_f32 v[52:53], v[52:53], v[54:55]
	s_delay_alu instid0(VALU_DEP_1) | instskip(SKIP_1) | instid1(VALU_DEP_1)
	v_pk_add_f32 v[52:53], v[52:53], v[58:59]
	s_wait_loadcnt 0x0
	v_pk_add_f32 v[52:53], v[110:111], v[52:53] neg_lo:[0,1] neg_hi:[0,1]
	scratch_store_b64 off, v[52:53], off offset:72
	s_wait_xcnt 0x0
	v_cmpx_lt_u32_e32 8, v0
	s_cbranch_execz .LBB24_147
; %bb.146:
	scratch_load_b64 v[52:53], off, off offset:64
	v_mov_b64_e32 v[54:55], 0
	scratch_store_b64 off, v[54:55], off offset:64
	s_wait_loadcnt 0x0
	ds_store_b64 v1, v[52:53]
.LBB24_147:
	s_wait_xcnt 0x0
	s_or_b32 exec_lo, exec_lo, s0
	s_wait_storecnt_dscnt 0x0
	s_barrier_signal -1
	s_barrier_wait -1
	s_clause 0x8
	scratch_load_b128 v[52:55], off, off offset:72
	scratch_load_b128 v[56:59], off, off offset:88
	;; [unrolled: 1-line block ×8, first 2 shown]
	scratch_load_b64 v[116:117], off, off offset:64
	ds_load_2addr_b64 v[84:87], v5 offset0:43 offset1:44
	ds_load_2addr_b64 v[88:91], v5 offset0:45 offset1:46
	;; [unrolled: 1-line block ×8, first 2 shown]
	s_mov_b32 s0, exec_lo
	s_wait_dscnt 0x7
	v_dual_mov_b32 v118, v87 :: v_dual_mov_b32 v119, v86
	s_wait_dscnt 0x6
	v_dual_mov_b32 v120, v91 :: v_dual_mov_b32 v121, v90
	;; [unrolled: 2-line block ×4, first 2 shown]
	s_wait_loadcnt_dscnt 0x803
	v_dual_mul_f32 v5, v100, v53 :: v_dual_mul_f32 v9, v102, v55
	v_dual_mul_f32 v19, v101, v53 :: v_dual_mul_f32 v21, v103, v55
	s_wait_loadcnt_dscnt 0x702
	v_dual_mul_f32 v11, v104, v57 :: v_dual_mul_f32 v13, v106, v59
	s_delay_alu instid0(VALU_DEP_2) | instskip(SKIP_3) | instid1(VALU_DEP_3)
	v_dual_fmac_f32 v5, v101, v52 :: v_dual_fma_f32 v19, v100, v52, -v19
	v_dual_mul_f32 v23, v105, v57 :: v_dual_mul_f32 v25, v107, v59
	s_wait_loadcnt_dscnt 0x500
	v_dual_mul_f32 v31, v113, v65 :: v_dual_fmac_f32 v9, v103, v54
	v_dual_fma_f32 v21, v102, v54, -v21 :: v_dual_add_f32 v5, 0, v5
	v_dual_add_f32 v19, 0, v19 :: v_dual_fmac_f32 v11, v105, v56
	v_dual_mul_f32 v33, v115, v67 :: v_dual_fma_f32 v23, v104, v56, -v23
	s_delay_alu instid0(VALU_DEP_3) | instskip(NEXT) | instid1(VALU_DEP_3)
	v_dual_add_f32 v5, v5, v9 :: v_dual_fmac_f32 v13, v107, v58
	v_dual_add_f32 v9, v19, v21 :: v_dual_fma_f32 v19, v106, v58, -v25
	v_dual_mul_f32 v15, v108, v61 :: v_dual_mul_f32 v17, v110, v63
	v_dual_mul_f32 v27, v109, v61 :: v_dual_mul_f32 v29, v111, v63
	s_wait_loadcnt 0x4
	v_dual_add_f32 v5, v5, v11 :: v_dual_mov_b32 v54, v71
	s_delay_alu instid0(VALU_DEP_2) | instskip(SKIP_2) | instid1(VALU_DEP_4)
	v_dual_add_f32 v9, v9, v23 :: v_dual_fma_f32 v11, v108, v60, -v27
	v_pk_mul_f32 v[52:53], v[84:85], v[68:69] op_sel:[1,1] op_sel_hi:[0,1]
	v_dual_fmac_f32 v15, v109, v60 :: v_dual_fmac_f32 v17, v111, v62
	v_dual_add_f32 v5, v5, v13 :: v_dual_fma_f32 v13, v110, v62, -v29
	s_wait_loadcnt 0x3
	v_dual_add_f32 v9, v9, v19 :: v_dual_mov_b32 v58, v75
	v_dual_mul_f32 v127, v112, v65 :: v_dual_mul_f32 v129, v114, v67
	s_delay_alu instid0(VALU_DEP_3) | instskip(NEXT) | instid1(VALU_DEP_3)
	v_dual_add_f32 v5, v5, v15 :: v_dual_fma_f32 v126, v112, v64, -v31
	v_add_f32_e32 v9, v9, v11
	v_pk_fma_f32 v[62:63], v[84:85], v[68:69], v[52:53] op_sel_hi:[1,0,1]
	v_pk_mul_f32 v[54:55], v[118:119], v[54:55] op_sel_hi:[1,0]
	v_pk_fma_f32 v[52:53], v[84:85], v[68:69], v[52:53] neg_lo:[0,0,1] neg_hi:[0,0,1]
	v_dual_fmac_f32 v127, v113, v64 :: v_dual_fma_f32 v128, v114, v66, -v33
	s_delay_alu instid0(VALU_DEP_4)
	v_dual_add_f32 v61, v5, v17 :: v_dual_mov_b32 v53, v63
	v_fmac_f32_e32 v129, v115, v66
	v_pk_fma_f32 v[62:63], v[86:87], v[70:71], v[54:55] op_sel_hi:[1,0,1]
	v_add_f32_e32 v60, v9, v13
	v_pk_fma_f32 v[54:55], v[86:87], v[70:71], v[54:55] neg_lo:[0,0,1] neg_hi:[0,0,1]
	v_pk_mul_f32 v[56:57], v[88:89], v[72:73] op_sel:[1,1] op_sel_hi:[0,1]
	v_pk_mul_f32 v[58:59], v[120:121], v[58:59] op_sel_hi:[1,0]
	v_mov_b32_e32 v55, v63
	v_pk_add_f32 v[60:61], v[60:61], v[126:127]
	s_wait_loadcnt 0x2
	v_pk_mul_f32 v[64:65], v[92:93], v[76:77] op_sel:[1,1] op_sel_hi:[0,1]
	v_pk_fma_f32 v[66:67], v[88:89], v[72:73], v[56:57] op_sel_hi:[1,0,1]
	v_pk_fma_f32 v[56:57], v[88:89], v[72:73], v[56:57] neg_lo:[0,0,1] neg_hi:[0,0,1]
	v_pk_fma_f32 v[62:63], v[90:91], v[74:75], v[58:59] op_sel_hi:[1,0,1]
	v_pk_add_f32 v[60:61], v[60:61], v[128:129]
	v_pk_fma_f32 v[58:59], v[90:91], v[74:75], v[58:59] neg_lo:[0,0,1] neg_hi:[0,0,1]
	v_mov_b32_e32 v57, v67
	s_delay_alu instid0(VALU_DEP_3) | instskip(SKIP_1) | instid1(VALU_DEP_2)
	v_pk_add_f32 v[52:53], v[60:61], v[52:53]
	v_mov_b32_e32 v60, v79
	v_pk_add_f32 v[52:53], v[52:53], v[54:55]
	v_pk_fma_f32 v[54:55], v[92:93], v[76:77], v[64:65] op_sel_hi:[1,0,1]
	s_delay_alu instid0(VALU_DEP_3)
	v_pk_mul_f32 v[60:61], v[122:123], v[60:61] op_sel_hi:[1,0]
	v_mov_b32_e32 v59, v63
	v_pk_fma_f32 v[62:63], v[92:93], v[76:77], v[64:65] neg_lo:[0,0,1] neg_hi:[0,0,1]
	v_pk_add_f32 v[52:53], v[52:53], v[56:57]
	v_mov_b32_e32 v63, v55
	v_pk_fma_f32 v[54:55], v[94:95], v[78:79], v[60:61] op_sel_hi:[1,0,1]
	s_wait_loadcnt 0x1
	v_pk_mul_f32 v[56:57], v[96:97], v[80:81] op_sel:[1,1] op_sel_hi:[0,1]
	v_mov_b32_e32 v54, v83
	v_pk_add_f32 v[52:53], v[52:53], v[58:59]
	v_pk_fma_f32 v[60:61], v[94:95], v[78:79], v[60:61] neg_lo:[0,0,1] neg_hi:[0,0,1]
	v_mov_b32_e32 v61, v55
	v_pk_fma_f32 v[58:59], v[96:97], v[80:81], v[56:57] op_sel_hi:[1,0,1]
	v_pk_mul_f32 v[54:55], v[124:125], v[54:55] op_sel_hi:[1,0]
	v_pk_add_f32 v[52:53], v[52:53], v[62:63]
	v_pk_fma_f32 v[56:57], v[96:97], v[80:81], v[56:57] neg_lo:[0,0,1] neg_hi:[0,0,1]
	s_delay_alu instid0(VALU_DEP_4) | instskip(NEXT) | instid1(VALU_DEP_4)
	v_mov_b32_e32 v57, v59
	v_pk_fma_f32 v[58:59], v[98:99], v[82:83], v[54:55] op_sel_hi:[1,0,1]
	s_delay_alu instid0(VALU_DEP_4) | instskip(SKIP_1) | instid1(VALU_DEP_3)
	v_pk_add_f32 v[52:53], v[52:53], v[60:61]
	v_pk_fma_f32 v[54:55], v[98:99], v[82:83], v[54:55] neg_lo:[0,0,1] neg_hi:[0,0,1]
	v_mov_b32_e32 v55, v59
	s_delay_alu instid0(VALU_DEP_3) | instskip(NEXT) | instid1(VALU_DEP_1)
	v_pk_add_f32 v[52:53], v[52:53], v[56:57]
	v_pk_add_f32 v[52:53], v[52:53], v[54:55]
	s_wait_loadcnt 0x0
	s_delay_alu instid0(VALU_DEP_1)
	v_pk_add_f32 v[52:53], v[116:117], v[52:53] neg_lo:[0,1] neg_hi:[0,1]
	scratch_store_b64 off, v[52:53], off offset:64
	s_wait_xcnt 0x0
	v_cmpx_lt_u32_e32 7, v0
	s_cbranch_execz .LBB24_149
; %bb.148:
	scratch_load_b64 v[52:53], off, off offset:56
	v_mov_b64_e32 v[54:55], 0
	scratch_store_b64 off, v[54:55], off offset:56
	s_wait_loadcnt 0x0
	ds_store_b64 v1, v[52:53]
.LBB24_149:
	s_wait_xcnt 0x0
	s_or_b32 exec_lo, exec_lo, s0
	s_wait_storecnt_dscnt 0x0
	s_barrier_signal -1
	s_barrier_wait -1
	s_clause 0x9
	scratch_load_b128 v[52:55], off, off offset:64
	scratch_load_b128 v[56:59], off, off offset:80
	;; [unrolled: 1-line block ×8, first 2 shown]
	scratch_load_b64 v[116:117], off, off offset:192
	scratch_load_b64 v[118:119], off, off offset:56
	v_mov_b32_e32 v5, 0
	ds_load_b128 v[84:87], v5 offset:336
	ds_load_b128 v[88:91], v5 offset:352
	;; [unrolled: 1-line block ×8, first 2 shown]
	ds_load_b64 v[120:121], v5 offset:400
	s_mov_b32 s0, exec_lo
	s_wait_dscnt 0x8
	v_dual_mov_b32 v122, v87 :: v_dual_mov_b32 v123, v86
	s_wait_dscnt 0x5
	v_dual_mov_b32 v124, v91 :: v_dual_mov_b32 v129, v98
	v_dual_mov_b32 v125, v90 :: v_dual_mov_b32 v126, v95
	;; [unrolled: 1-line block ×3, first 2 shown]
	s_wait_loadcnt_dscnt 0x904
	v_dual_mul_f32 v9, v100, v53 :: v_dual_mul_f32 v23, v101, v53
	v_dual_mul_f32 v25, v103, v55 :: v_dual_mul_f32 v11, v102, v55
	s_wait_loadcnt_dscnt 0x803
	v_mul_f32_e32 v13, v104, v57
	s_wait_loadcnt_dscnt 0x601
	v_dual_mul_f32 v35, v113, v65 :: v_dual_fma_f32 v23, v100, v52, -v23
	v_dual_fmac_f32 v9, v101, v52 :: v_dual_mul_f32 v37, v115, v67
	v_dual_mul_f32 v27, v105, v57 :: v_dual_mul_f32 v29, v107, v59
	v_dual_fmac_f32 v11, v103, v54 :: v_dual_fma_f32 v25, v102, v54, -v25
	s_delay_alu instid0(VALU_DEP_3)
	v_dual_add_f32 v9, 0, v9 :: v_dual_add_f32 v23, 0, v23
	v_dual_mul_f32 v15, v106, v59 :: v_dual_mul_f32 v17, v108, v61
	s_wait_loadcnt 0x5
	v_dual_mul_f32 v39, v85, v69 :: v_dual_fma_f32 v27, v104, v56, -v27
	v_fmac_f32_e32 v13, v105, v56
	v_dual_add_f32 v9, v9, v11 :: v_dual_mov_b32 v52, v71
	v_add_f32_e32 v11, v23, v25
	v_dual_mul_f32 v31, v109, v61 :: v_dual_mul_f32 v33, v111, v63
	v_dual_fmac_f32 v15, v107, v58 :: v_dual_fma_f32 v23, v106, v58, -v29
	s_delay_alu instid0(VALU_DEP_3) | instskip(SKIP_1) | instid1(VALU_DEP_4)
	v_dual_add_f32 v9, v9, v13 :: v_dual_add_f32 v11, v11, v27
	v_dual_mul_f32 v19, v110, v63 :: v_dual_mul_f32 v21, v112, v65
	v_dual_fmac_f32 v17, v109, v60 :: v_dual_fma_f32 v13, v108, v60, -v31
	s_wait_loadcnt 0x4
	s_delay_alu instid0(VALU_DEP_3) | instskip(SKIP_1) | instid1(VALU_DEP_2)
	v_dual_add_f32 v9, v9, v15 :: v_dual_mov_b32 v56, v75
	v_dual_add_f32 v11, v11, v23 :: v_dual_fma_f32 v15, v110, v62, -v33
	v_dual_fmac_f32 v19, v111, v62 :: v_dual_add_f32 v9, v9, v17
	v_dual_mul_f32 v131, v114, v67 :: v_dual_mul_f32 v133, v84, v69
	s_delay_alu instid0(VALU_DEP_3) | instskip(NEXT) | instid1(VALU_DEP_3)
	v_dual_add_f32 v11, v11, v13 :: v_dual_fmac_f32 v21, v113, v64
	v_dual_fma_f32 v13, v112, v64, -v35 :: v_dual_add_f32 v9, v9, v19
	s_delay_alu instid0(VALU_DEP_3) | instskip(NEXT) | instid1(VALU_DEP_3)
	v_fmac_f32_e32 v131, v115, v66
	v_dual_add_f32 v11, v11, v15 :: v_dual_fma_f32 v130, v114, v66, -v37
	v_pk_mul_f32 v[52:53], v[122:123], v[52:53] op_sel_hi:[1,0]
	s_delay_alu instid0(VALU_DEP_4) | instskip(SKIP_1) | instid1(VALU_DEP_4)
	v_add_f32_e32 v61, v9, v21
	v_pk_mul_f32 v[54:55], v[88:89], v[72:73] op_sel:[1,1] op_sel_hi:[0,1]
	v_dual_add_f32 v60, v11, v13 :: v_dual_fmac_f32 v133, v85, v68
	s_wait_loadcnt 0x3
	v_dual_mov_b32 v62, v79 :: v_dual_fma_f32 v132, v84, v68, -v39
	v_pk_fma_f32 v[64:65], v[86:87], v[70:71], v[52:53] op_sel_hi:[1,0,1]
	s_delay_alu instid0(VALU_DEP_3)
	v_pk_add_f32 v[60:61], v[60:61], v[130:131]
	v_pk_fma_f32 v[52:53], v[86:87], v[70:71], v[52:53] neg_lo:[0,0,1] neg_hi:[0,0,1]
	v_pk_fma_f32 v[66:67], v[88:89], v[72:73], v[54:55] op_sel_hi:[1,0,1]
	v_pk_mul_f32 v[56:57], v[124:125], v[56:57] op_sel_hi:[1,0]
	v_mov_b32_e32 v53, v65
	v_pk_add_f32 v[60:61], v[60:61], v[132:133]
	v_pk_fma_f32 v[54:55], v[88:89], v[72:73], v[54:55] neg_lo:[0,0,1] neg_hi:[0,0,1]
	v_pk_mul_f32 v[58:59], v[92:93], v[76:77] op_sel:[1,1] op_sel_hi:[0,1]
	v_mov_b32_e32 v55, v67
	v_pk_fma_f32 v[66:67], v[90:91], v[74:75], v[56:57] op_sel_hi:[1,0,1]
	v_pk_add_f32 v[52:53], v[60:61], v[52:53]
	v_pk_fma_f32 v[56:57], v[90:91], v[74:75], v[56:57] neg_lo:[0,0,1] neg_hi:[0,0,1]
	v_pk_fma_f32 v[60:61], v[92:93], v[76:77], v[58:59] op_sel_hi:[1,0,1]
	v_pk_mul_f32 v[62:63], v[126:127], v[62:63] op_sel_hi:[1,0]
	v_mov_b32_e32 v57, v67
	v_pk_add_f32 v[52:53], v[52:53], v[54:55]
	v_pk_fma_f32 v[58:59], v[92:93], v[76:77], v[58:59] neg_lo:[0,0,1] neg_hi:[0,0,1]
	s_wait_loadcnt 0x2
	v_pk_mul_f32 v[64:65], v[96:97], v[80:81] op_sel:[1,1] op_sel_hi:[0,1]
	v_dual_mov_b32 v54, v83 :: v_dual_mov_b32 v59, v61
	v_pk_fma_f32 v[60:61], v[94:95], v[78:79], v[62:63] op_sel_hi:[1,0,1]
	v_pk_add_f32 v[52:53], v[52:53], v[56:57]
	v_pk_fma_f32 v[62:63], v[94:95], v[78:79], v[62:63] neg_lo:[0,0,1] neg_hi:[0,0,1]
	v_pk_fma_f32 v[56:57], v[96:97], v[80:81], v[64:65] op_sel_hi:[1,0,1]
	v_pk_mul_f32 v[54:55], v[128:129], v[54:55] op_sel_hi:[1,0]
	v_mov_b32_e32 v63, v61
	v_pk_add_f32 v[52:53], v[52:53], v[58:59]
	v_pk_fma_f32 v[58:59], v[96:97], v[80:81], v[64:65] neg_lo:[0,0,1] neg_hi:[0,0,1]
	v_mov_b32_e32 v59, v57
	v_pk_fma_f32 v[56:57], v[98:99], v[82:83], v[54:55] op_sel_hi:[1,0,1]
	s_wait_loadcnt_dscnt 0x100
	v_pk_mul_f32 v[60:61], v[120:121], v[116:117] op_sel:[1,1] op_sel_hi:[0,1]
	v_pk_add_f32 v[52:53], v[52:53], v[62:63]
	v_pk_fma_f32 v[54:55], v[98:99], v[82:83], v[54:55] neg_lo:[0,0,1] neg_hi:[0,0,1]
	v_mov_b32_e32 v55, v57
	s_delay_alu instid0(VALU_DEP_4) | instskip(NEXT) | instid1(VALU_DEP_4)
	v_pk_fma_f32 v[56:57], v[120:121], v[116:117], v[60:61] op_sel_hi:[1,0,1]
	v_pk_add_f32 v[52:53], v[52:53], v[58:59]
	v_pk_fma_f32 v[58:59], v[120:121], v[116:117], v[60:61] neg_lo:[0,0,1] neg_hi:[0,0,1]
	s_delay_alu instid0(VALU_DEP_3) | instskip(NEXT) | instid1(VALU_DEP_3)
	v_mov_b32_e32 v59, v57
	v_pk_add_f32 v[52:53], v[52:53], v[54:55]
	s_delay_alu instid0(VALU_DEP_1) | instskip(SKIP_1) | instid1(VALU_DEP_1)
	v_pk_add_f32 v[52:53], v[52:53], v[58:59]
	s_wait_loadcnt 0x0
	v_pk_add_f32 v[52:53], v[118:119], v[52:53] neg_lo:[0,1] neg_hi:[0,1]
	scratch_store_b64 off, v[52:53], off offset:56
	s_wait_xcnt 0x0
	v_cmpx_lt_u32_e32 6, v0
	s_cbranch_execz .LBB24_151
; %bb.150:
	scratch_load_b64 v[52:53], off, off offset:48
	v_mov_b64_e32 v[54:55], 0
	scratch_store_b64 off, v[54:55], off offset:48
	s_wait_loadcnt 0x0
	ds_store_b64 v1, v[52:53]
.LBB24_151:
	s_wait_xcnt 0x0
	s_or_b32 exec_lo, exec_lo, s0
	s_wait_storecnt_dscnt 0x0
	s_barrier_signal -1
	s_barrier_wait -1
	s_clause 0x9
	scratch_load_b128 v[52:55], off, off offset:56
	scratch_load_b128 v[56:59], off, off offset:72
	;; [unrolled: 1-line block ×9, first 2 shown]
	scratch_load_b64 v[124:125], off, off offset:48
	ds_load_2addr_b64 v[88:91], v5 offset0:43 offset1:44
	ds_load_2addr_b64 v[92:95], v5 offset0:45 offset1:46
	ds_load_2addr_b64 v[96:99], v5 offset0:47 offset1:48
	ds_load_2addr_b64 v[100:103], v5 offset0:49 offset1:50
	ds_load_2addr_b64 v[104:107], v5 offset0:33 offset1:34
	ds_load_2addr_b64 v[108:111], v5 offset0:35 offset1:36
	ds_load_2addr_b64 v[112:115], v5 offset0:37 offset1:38
	ds_load_2addr_b64 v[116:119], v5 offset0:39 offset1:40
	ds_load_2addr_b64 v[120:123], v5 offset0:41 offset1:42
	s_mov_b32 s0, exec_lo
	s_wait_dscnt 0x8
	v_dual_mov_b32 v126, v91 :: v_dual_mov_b32 v127, v90
	s_wait_dscnt 0x7
	v_dual_mov_b32 v128, v95 :: v_dual_mov_b32 v129, v94
	;; [unrolled: 2-line block ×4, first 2 shown]
	s_wait_loadcnt_dscnt 0x904
	v_dual_mul_f32 v5, v104, v53 :: v_dual_mul_f32 v9, v106, v55
	v_dual_mul_f32 v23, v105, v53 :: v_dual_mul_f32 v25, v107, v55
	s_wait_loadcnt_dscnt 0x803
	v_dual_mul_f32 v11, v108, v57 :: v_dual_mul_f32 v13, v110, v59
	s_delay_alu instid0(VALU_DEP_2) | instskip(SKIP_3) | instid1(VALU_DEP_3)
	v_dual_fmac_f32 v5, v105, v52 :: v_dual_fma_f32 v23, v104, v52, -v23
	v_dual_mul_f32 v27, v109, v57 :: v_dual_mul_f32 v29, v111, v59
	s_wait_loadcnt_dscnt 0x601
	v_dual_mul_f32 v35, v117, v65 :: v_dual_fmac_f32 v9, v107, v54
	v_dual_fma_f32 v25, v106, v54, -v25 :: v_dual_add_f32 v5, 0, v5
	v_dual_add_f32 v23, 0, v23 :: v_dual_fmac_f32 v11, v109, v56
	v_dual_mul_f32 v37, v119, v67 :: v_dual_fma_f32 v27, v108, v56, -v27
	s_delay_alu instid0(VALU_DEP_3) | instskip(NEXT) | instid1(VALU_DEP_3)
	v_dual_add_f32 v5, v5, v9 :: v_dual_fmac_f32 v13, v111, v58
	v_dual_add_f32 v9, v23, v25 :: v_dual_fma_f32 v25, v110, v58, -v29
	v_dual_mul_f32 v15, v112, v61 :: v_dual_mul_f32 v17, v114, v63
	v_dual_mul_f32 v31, v113, v61 :: v_dual_mul_f32 v33, v115, v63
	s_delay_alu instid0(VALU_DEP_4) | instskip(NEXT) | instid1(VALU_DEP_3)
	v_add_f32_e32 v5, v5, v11
	v_dual_add_f32 v9, v9, v27 :: v_dual_fmac_f32 v17, v115, v62
	s_delay_alu instid0(VALU_DEP_4) | instskip(NEXT) | instid1(VALU_DEP_3)
	v_fmac_f32_e32 v15, v113, v60
	v_dual_fma_f32 v27, v112, v60, -v31 :: v_dual_add_f32 v5, v5, v13
	s_wait_loadcnt 0x4
	s_delay_alu instid0(VALU_DEP_3) | instskip(SKIP_1) | instid1(VALU_DEP_3)
	v_dual_mov_b32 v54, v75 :: v_dual_add_f32 v9, v9, v25
	v_dual_mul_f32 v19, v116, v65 :: v_dual_mul_f32 v21, v118, v67
	v_dual_fma_f32 v13, v114, v62, -v33 :: v_dual_add_f32 v5, v5, v15
	s_delay_alu instid0(VALU_DEP_3)
	v_dual_fma_f32 v15, v116, v64, -v35 :: v_dual_add_f32 v9, v9, v27
	s_wait_dscnt 0x0
	v_dual_mul_f32 v135, v120, v69 :: v_dual_mul_f32 v137, v122, v71
	v_dual_mul_f32 v23, v121, v69 :: v_dual_mul_f32 v11, v123, v71
	v_pk_mul_f32 v[52:53], v[88:89], v[72:73] op_sel:[1,1] op_sel_hi:[0,1]
	s_wait_loadcnt 0x3
	v_dual_fmac_f32 v19, v117, v64 :: v_dual_mov_b32 v58, v79
	v_dual_add_f32 v9, v9, v13 :: v_dual_fmac_f32 v137, v123, v70
	v_dual_fmac_f32 v21, v119, v66 :: v_dual_add_f32 v5, v5, v17
	v_fma_f32 v134, v120, v68, -v23
	v_pk_mul_f32 v[56:57], v[92:93], v[76:77] op_sel:[1,1] op_sel_hi:[0,1]
	v_fma_f32 v13, v118, v66, -v37
	v_pk_fma_f32 v[62:63], v[88:89], v[72:73], v[52:53] op_sel_hi:[1,0,1]
	v_dual_add_f32 v5, v5, v19 :: v_dual_fma_f32 v136, v122, v70, -v11
	v_add_f32_e32 v9, v9, v15
	v_pk_mul_f32 v[54:55], v[126:127], v[54:55] op_sel_hi:[1,0]
	v_pk_fma_f32 v[52:53], v[88:89], v[72:73], v[52:53] neg_lo:[0,0,1] neg_hi:[0,0,1]
	s_delay_alu instid0(VALU_DEP_4)
	v_dual_add_f32 v61, v5, v21 :: v_dual_mov_b32 v53, v63
	v_pk_fma_f32 v[66:67], v[92:93], v[76:77], v[56:57] op_sel_hi:[1,0,1]
	v_add_f32_e32 v60, v9, v13
	v_pk_fma_f32 v[62:63], v[90:91], v[74:75], v[54:55] op_sel_hi:[1,0,1]
	v_fmac_f32_e32 v135, v121, v68
	v_pk_fma_f32 v[54:55], v[90:91], v[74:75], v[54:55] neg_lo:[0,0,1] neg_hi:[0,0,1]
	v_pk_fma_f32 v[56:57], v[92:93], v[76:77], v[56:57] neg_lo:[0,0,1] neg_hi:[0,0,1]
	s_delay_alu instid0(VALU_DEP_4) | instskip(NEXT) | instid1(VALU_DEP_4)
	v_dual_mov_b32 v57, v67 :: v_dual_mov_b32 v55, v63
	v_pk_add_f32 v[60:61], v[60:61], v[134:135]
	v_pk_mul_f32 v[58:59], v[128:129], v[58:59] op_sel_hi:[1,0]
	s_wait_loadcnt 0x2
	v_pk_mul_f32 v[64:65], v[96:97], v[80:81] op_sel:[1,1] op_sel_hi:[0,1]
	s_delay_alu instid0(VALU_DEP_3) | instskip(NEXT) | instid1(VALU_DEP_3)
	v_pk_add_f32 v[60:61], v[60:61], v[136:137]
	v_pk_fma_f32 v[62:63], v[94:95], v[78:79], v[58:59] op_sel_hi:[1,0,1]
	v_pk_fma_f32 v[58:59], v[94:95], v[78:79], v[58:59] neg_lo:[0,0,1] neg_hi:[0,0,1]
	s_delay_alu instid0(VALU_DEP_3) | instskip(SKIP_1) | instid1(VALU_DEP_2)
	v_pk_add_f32 v[52:53], v[60:61], v[52:53]
	v_mov_b32_e32 v60, v83
	v_pk_add_f32 v[52:53], v[52:53], v[54:55]
	v_pk_fma_f32 v[54:55], v[96:97], v[80:81], v[64:65] op_sel_hi:[1,0,1]
	s_delay_alu instid0(VALU_DEP_3)
	v_pk_mul_f32 v[60:61], v[130:131], v[60:61] op_sel_hi:[1,0]
	v_mov_b32_e32 v59, v63
	v_pk_fma_f32 v[62:63], v[96:97], v[80:81], v[64:65] neg_lo:[0,0,1] neg_hi:[0,0,1]
	v_pk_add_f32 v[52:53], v[52:53], v[56:57]
	v_mov_b32_e32 v63, v55
	v_pk_fma_f32 v[54:55], v[98:99], v[82:83], v[60:61] op_sel_hi:[1,0,1]
	s_wait_loadcnt 0x1
	v_pk_mul_f32 v[56:57], v[100:101], v[84:85] op_sel:[1,1] op_sel_hi:[0,1]
	v_mov_b32_e32 v54, v87
	v_pk_add_f32 v[52:53], v[52:53], v[58:59]
	v_pk_fma_f32 v[60:61], v[98:99], v[82:83], v[60:61] neg_lo:[0,0,1] neg_hi:[0,0,1]
	v_mov_b32_e32 v61, v55
	v_pk_fma_f32 v[58:59], v[100:101], v[84:85], v[56:57] op_sel_hi:[1,0,1]
	v_pk_mul_f32 v[54:55], v[132:133], v[54:55] op_sel_hi:[1,0]
	v_pk_add_f32 v[52:53], v[52:53], v[62:63]
	v_pk_fma_f32 v[56:57], v[100:101], v[84:85], v[56:57] neg_lo:[0,0,1] neg_hi:[0,0,1]
	s_delay_alu instid0(VALU_DEP_4) | instskip(NEXT) | instid1(VALU_DEP_4)
	v_mov_b32_e32 v57, v59
	v_pk_fma_f32 v[58:59], v[102:103], v[86:87], v[54:55] op_sel_hi:[1,0,1]
	s_delay_alu instid0(VALU_DEP_4) | instskip(SKIP_1) | instid1(VALU_DEP_3)
	v_pk_add_f32 v[52:53], v[52:53], v[60:61]
	v_pk_fma_f32 v[54:55], v[102:103], v[86:87], v[54:55] neg_lo:[0,0,1] neg_hi:[0,0,1]
	v_mov_b32_e32 v55, v59
	s_delay_alu instid0(VALU_DEP_3) | instskip(NEXT) | instid1(VALU_DEP_1)
	v_pk_add_f32 v[52:53], v[52:53], v[56:57]
	v_pk_add_f32 v[52:53], v[52:53], v[54:55]
	s_wait_loadcnt 0x0
	s_delay_alu instid0(VALU_DEP_1)
	v_pk_add_f32 v[52:53], v[124:125], v[52:53] neg_lo:[0,1] neg_hi:[0,1]
	scratch_store_b64 off, v[52:53], off offset:48
	s_wait_xcnt 0x0
	v_cmpx_lt_u32_e32 5, v0
	s_cbranch_execz .LBB24_153
; %bb.152:
	scratch_load_b64 v[52:53], off, off offset:40
	v_mov_b64_e32 v[54:55], 0
	scratch_store_b64 off, v[54:55], off offset:40
	s_wait_loadcnt 0x0
	ds_store_b64 v1, v[52:53]
.LBB24_153:
	s_wait_xcnt 0x0
	s_or_b32 exec_lo, exec_lo, s0
	s_wait_storecnt_dscnt 0x0
	s_barrier_signal -1
	s_barrier_wait -1
	s_clause 0xa
	scratch_load_b128 v[52:55], off, off offset:48
	scratch_load_b128 v[56:59], off, off offset:64
	;; [unrolled: 1-line block ×9, first 2 shown]
	scratch_load_b64 v[124:125], off, off offset:192
	scratch_load_b64 v[126:127], off, off offset:40
	v_mov_b32_e32 v5, 0
	ds_load_b128 v[88:91], v5 offset:336
	ds_load_b128 v[92:95], v5 offset:352
	ds_load_b128 v[96:99], v5 offset:368
	ds_load_b128 v[100:103], v5 offset:384
	ds_load_b128 v[104:107], v5 offset:256
	ds_load_b128 v[108:111], v5 offset:272
	ds_load_b128 v[112:115], v5 offset:288
	ds_load_b128 v[116:119], v5 offset:304
	ds_load_b128 v[120:123], v5 offset:320
	ds_load_b64 v[128:129], v5 offset:400
	s_mov_b32 s0, exec_lo
	s_wait_dscnt 0x9
	v_dual_mov_b32 v130, v91 :: v_dual_mov_b32 v131, v90
	s_wait_dscnt 0x6
	v_dual_mov_b32 v132, v95 :: v_dual_mov_b32 v137, v102
	v_dual_mov_b32 v133, v94 :: v_dual_mov_b32 v134, v99
	;; [unrolled: 1-line block ×3, first 2 shown]
	s_wait_loadcnt_dscnt 0xa05
	v_dual_mul_f32 v9, v104, v53 :: v_dual_mul_f32 v27, v105, v53
	v_dual_mul_f32 v29, v107, v55 :: v_dual_mul_f32 v11, v106, v55
	s_wait_loadcnt_dscnt 0x904
	v_mul_f32_e32 v13, v108, v57
	s_wait_loadcnt_dscnt 0x702
	v_dual_mul_f32 v39, v117, v65 :: v_dual_fma_f32 v27, v104, v52, -v27
	v_dual_fmac_f32 v9, v105, v52 :: v_dual_mul_f32 v41, v119, v67
	v_dual_mul_f32 v31, v109, v57 :: v_dual_mul_f32 v33, v111, v59
	v_dual_fmac_f32 v11, v107, v54 :: v_dual_fma_f32 v29, v106, v54, -v29
	s_delay_alu instid0(VALU_DEP_3) | instskip(SKIP_4) | instid1(VALU_DEP_3)
	v_dual_add_f32 v9, 0, v9 :: v_dual_add_f32 v27, 0, v27
	v_dual_mul_f32 v15, v110, v59 :: v_dual_mul_f32 v17, v112, v61
	s_wait_loadcnt_dscnt 0x601
	v_dual_mul_f32 v43, v121, v69 :: v_dual_fma_f32 v31, v108, v56, -v31
	v_fmac_f32_e32 v13, v109, v56
	v_dual_add_f32 v9, v9, v11 :: v_dual_fmac_f32 v15, v111, v58
	v_add_f32_e32 v11, v27, v29
	v_dual_mul_f32 v35, v113, v61 :: v_dual_mul_f32 v37, v115, v63
	v_dual_mul_f32 v27, v123, v71 :: v_dual_fma_f32 v29, v110, v58, -v33
	s_delay_alu instid0(VALU_DEP_3) | instskip(SKIP_3) | instid1(VALU_DEP_3)
	v_dual_add_f32 v9, v9, v13 :: v_dual_add_f32 v11, v11, v31
	v_dual_mul_f32 v19, v114, v63 :: v_dual_mul_f32 v21, v116, v65
	s_wait_loadcnt 0x5
	v_dual_mul_f32 v13, v89, v73 :: v_dual_fma_f32 v31, v112, v60, -v35
	v_dual_fmac_f32 v17, v113, v60 :: v_dual_add_f32 v11, v11, v29
	v_dual_add_f32 v9, v9, v15 :: v_dual_mov_b32 v52, v75
	v_dual_fmac_f32 v19, v115, v62 :: v_dual_fma_f32 v15, v114, v62, -v37
	s_delay_alu instid0(VALU_DEP_2) | instskip(SKIP_3) | instid1(VALU_DEP_3)
	v_dual_add_f32 v11, v11, v31 :: v_dual_add_f32 v9, v9, v17
	v_dual_mul_f32 v23, v118, v67 :: v_dual_mul_f32 v25, v120, v69
	v_dual_fmac_f32 v21, v117, v64 :: v_dual_fma_f32 v17, v116, v64, -v39
	s_wait_loadcnt 0x4
	v_dual_add_f32 v9, v9, v19 :: v_dual_mov_b32 v56, v79
	v_dual_add_f32 v11, v11, v15 :: v_dual_fma_f32 v15, v118, v66, -v41
	s_delay_alu instid0(VALU_DEP_2) | instskip(SKIP_1) | instid1(VALU_DEP_3)
	v_dual_fmac_f32 v23, v119, v66 :: v_dual_add_f32 v9, v9, v21
	v_dual_mul_f32 v139, v122, v71 :: v_dual_mul_f32 v141, v88, v73
	v_dual_add_f32 v11, v11, v17 :: v_dual_fmac_f32 v25, v121, v68
	s_delay_alu instid0(VALU_DEP_3) | instskip(NEXT) | instid1(VALU_DEP_3)
	v_dual_fma_f32 v17, v120, v68, -v43 :: v_dual_add_f32 v9, v9, v23
	v_fmac_f32_e32 v139, v123, v70
	s_delay_alu instid0(VALU_DEP_3) | instskip(SKIP_1) | instid1(VALU_DEP_4)
	v_dual_add_f32 v11, v11, v15 :: v_dual_fma_f32 v138, v122, v70, -v27
	v_pk_mul_f32 v[52:53], v[130:131], v[52:53] op_sel_hi:[1,0]
	v_add_f32_e32 v61, v9, v25
	v_pk_mul_f32 v[54:55], v[92:93], v[76:77] op_sel:[1,1] op_sel_hi:[0,1]
	s_delay_alu instid0(VALU_DEP_4) | instskip(SKIP_3) | instid1(VALU_DEP_3)
	v_dual_add_f32 v60, v11, v17 :: v_dual_fmac_f32 v141, v89, v72
	s_wait_loadcnt 0x3
	v_dual_mov_b32 v62, v83 :: v_dual_fma_f32 v140, v88, v72, -v13
	v_pk_fma_f32 v[64:65], v[90:91], v[74:75], v[52:53] op_sel_hi:[1,0,1]
	v_pk_add_f32 v[60:61], v[60:61], v[138:139]
	v_pk_fma_f32 v[52:53], v[90:91], v[74:75], v[52:53] neg_lo:[0,0,1] neg_hi:[0,0,1]
	v_pk_fma_f32 v[66:67], v[92:93], v[76:77], v[54:55] op_sel_hi:[1,0,1]
	v_pk_mul_f32 v[56:57], v[132:133], v[56:57] op_sel_hi:[1,0]
	v_mov_b32_e32 v53, v65
	v_pk_add_f32 v[60:61], v[60:61], v[140:141]
	v_pk_fma_f32 v[54:55], v[92:93], v[76:77], v[54:55] neg_lo:[0,0,1] neg_hi:[0,0,1]
	v_pk_mul_f32 v[58:59], v[96:97], v[80:81] op_sel:[1,1] op_sel_hi:[0,1]
	v_mov_b32_e32 v55, v67
	v_pk_fma_f32 v[66:67], v[94:95], v[78:79], v[56:57] op_sel_hi:[1,0,1]
	v_pk_add_f32 v[52:53], v[60:61], v[52:53]
	v_pk_fma_f32 v[56:57], v[94:95], v[78:79], v[56:57] neg_lo:[0,0,1] neg_hi:[0,0,1]
	v_pk_fma_f32 v[60:61], v[96:97], v[80:81], v[58:59] op_sel_hi:[1,0,1]
	v_pk_mul_f32 v[62:63], v[134:135], v[62:63] op_sel_hi:[1,0]
	v_mov_b32_e32 v57, v67
	v_pk_add_f32 v[52:53], v[52:53], v[54:55]
	v_pk_fma_f32 v[58:59], v[96:97], v[80:81], v[58:59] neg_lo:[0,0,1] neg_hi:[0,0,1]
	s_wait_loadcnt 0x2
	v_pk_mul_f32 v[64:65], v[100:101], v[84:85] op_sel:[1,1] op_sel_hi:[0,1]
	v_dual_mov_b32 v54, v87 :: v_dual_mov_b32 v59, v61
	v_pk_fma_f32 v[60:61], v[98:99], v[82:83], v[62:63] op_sel_hi:[1,0,1]
	v_pk_add_f32 v[52:53], v[52:53], v[56:57]
	v_pk_fma_f32 v[62:63], v[98:99], v[82:83], v[62:63] neg_lo:[0,0,1] neg_hi:[0,0,1]
	v_pk_fma_f32 v[56:57], v[100:101], v[84:85], v[64:65] op_sel_hi:[1,0,1]
	v_pk_mul_f32 v[54:55], v[136:137], v[54:55] op_sel_hi:[1,0]
	v_mov_b32_e32 v63, v61
	v_pk_add_f32 v[52:53], v[52:53], v[58:59]
	v_pk_fma_f32 v[58:59], v[100:101], v[84:85], v[64:65] neg_lo:[0,0,1] neg_hi:[0,0,1]
	v_mov_b32_e32 v59, v57
	v_pk_fma_f32 v[56:57], v[102:103], v[86:87], v[54:55] op_sel_hi:[1,0,1]
	s_wait_loadcnt_dscnt 0x100
	v_pk_mul_f32 v[60:61], v[128:129], v[124:125] op_sel:[1,1] op_sel_hi:[0,1]
	v_pk_add_f32 v[52:53], v[52:53], v[62:63]
	v_pk_fma_f32 v[54:55], v[102:103], v[86:87], v[54:55] neg_lo:[0,0,1] neg_hi:[0,0,1]
	v_mov_b32_e32 v55, v57
	s_delay_alu instid0(VALU_DEP_4) | instskip(NEXT) | instid1(VALU_DEP_4)
	v_pk_fma_f32 v[56:57], v[128:129], v[124:125], v[60:61] op_sel_hi:[1,0,1]
	v_pk_add_f32 v[52:53], v[52:53], v[58:59]
	v_pk_fma_f32 v[58:59], v[128:129], v[124:125], v[60:61] neg_lo:[0,0,1] neg_hi:[0,0,1]
	s_delay_alu instid0(VALU_DEP_3) | instskip(NEXT) | instid1(VALU_DEP_3)
	v_mov_b32_e32 v59, v57
	v_pk_add_f32 v[52:53], v[52:53], v[54:55]
	s_delay_alu instid0(VALU_DEP_1) | instskip(SKIP_1) | instid1(VALU_DEP_1)
	v_pk_add_f32 v[52:53], v[52:53], v[58:59]
	s_wait_loadcnt 0x0
	v_pk_add_f32 v[52:53], v[126:127], v[52:53] neg_lo:[0,1] neg_hi:[0,1]
	scratch_store_b64 off, v[52:53], off offset:40
	s_wait_xcnt 0x0
	v_cmpx_lt_u32_e32 4, v0
	s_cbranch_execz .LBB24_155
; %bb.154:
	scratch_load_b64 v[52:53], off, off offset:32
	v_mov_b64_e32 v[54:55], 0
	scratch_store_b64 off, v[54:55], off offset:32
	s_wait_loadcnt 0x0
	ds_store_b64 v1, v[52:53]
.LBB24_155:
	s_wait_xcnt 0x0
	s_or_b32 exec_lo, exec_lo, s0
	s_wait_storecnt_dscnt 0x0
	s_barrier_signal -1
	s_barrier_wait -1
	s_clause 0xa
	scratch_load_b128 v[52:55], off, off offset:40
	scratch_load_b128 v[56:59], off, off offset:56
	;; [unrolled: 1-line block ×10, first 2 shown]
	scratch_load_b64 v[132:133], off, off offset:32
	ds_load_2addr_b64 v[92:95], v5 offset0:43 offset1:44
	ds_load_2addr_b64 v[96:99], v5 offset0:45 offset1:46
	;; [unrolled: 1-line block ×10, first 2 shown]
	s_mov_b32 s0, exec_lo
	s_wait_dscnt 0x9
	v_dual_mov_b32 v134, v95 :: v_dual_mov_b32 v135, v94
	s_wait_dscnt 0x8
	v_dual_mov_b32 v136, v99 :: v_dual_mov_b32 v137, v98
	;; [unrolled: 2-line block ×4, first 2 shown]
	s_wait_loadcnt_dscnt 0xa05
	v_dual_mul_f32 v5, v108, v53 :: v_dual_mul_f32 v9, v110, v55
	v_dual_mul_f32 v27, v109, v53 :: v_dual_mul_f32 v29, v111, v55
	s_wait_loadcnt_dscnt 0x904
	v_dual_mul_f32 v11, v112, v57 :: v_dual_mul_f32 v13, v114, v59
	s_delay_alu instid0(VALU_DEP_2) | instskip(SKIP_3) | instid1(VALU_DEP_3)
	v_dual_fmac_f32 v5, v109, v52 :: v_dual_fma_f32 v27, v108, v52, -v27
	v_dual_mul_f32 v31, v113, v57 :: v_dual_mul_f32 v33, v115, v59
	s_wait_loadcnt_dscnt 0x702
	v_dual_mul_f32 v39, v121, v65 :: v_dual_fmac_f32 v9, v111, v54
	v_dual_fma_f32 v29, v110, v54, -v29 :: v_dual_add_f32 v5, 0, v5
	v_dual_add_f32 v27, 0, v27 :: v_dual_fmac_f32 v11, v113, v56
	v_dual_mul_f32 v41, v123, v67 :: v_dual_fma_f32 v31, v112, v56, -v31
	s_delay_alu instid0(VALU_DEP_3) | instskip(NEXT) | instid1(VALU_DEP_3)
	v_dual_add_f32 v5, v5, v9 :: v_dual_fmac_f32 v13, v115, v58
	v_dual_add_f32 v9, v27, v29 :: v_dual_fma_f32 v29, v114, v58, -v33
	v_dual_mul_f32 v15, v116, v61 :: v_dual_mul_f32 v17, v118, v63
	v_dual_mul_f32 v35, v117, v61 :: v_dual_mul_f32 v37, v119, v63
	s_delay_alu instid0(VALU_DEP_4) | instskip(NEXT) | instid1(VALU_DEP_3)
	v_add_f32_e32 v5, v5, v11
	v_dual_add_f32 v9, v9, v31 :: v_dual_fmac_f32 v17, v119, v62
	s_delay_alu instid0(VALU_DEP_4) | instskip(NEXT) | instid1(VALU_DEP_3)
	v_fmac_f32_e32 v15, v117, v60
	v_dual_fma_f32 v31, v116, v60, -v35 :: v_dual_add_f32 v5, v5, v13
	s_delay_alu instid0(VALU_DEP_3) | instskip(SKIP_1) | instid1(VALU_DEP_3)
	v_add_f32_e32 v9, v9, v29
	v_dual_mul_f32 v19, v120, v65 :: v_dual_mul_f32 v21, v122, v67
	v_dual_fma_f32 v29, v118, v62, -v37 :: v_dual_add_f32 v5, v5, v15
	s_wait_loadcnt 0x4
	s_delay_alu instid0(VALU_DEP_3)
	v_dual_add_f32 v9, v9, v31 :: v_dual_mov_b32 v54, v79
	s_wait_dscnt 0x1
	v_dual_mul_f32 v23, v124, v69 :: v_dual_mul_f32 v25, v126, v71
	v_dual_mul_f32 v27, v125, v69 :: v_dual_mul_f32 v11, v127, v71
	v_fmac_f32_e32 v19, v121, v64
	v_dual_fma_f32 v31, v120, v64, -v39 :: v_dual_add_f32 v5, v5, v17
	s_delay_alu instid0(VALU_DEP_3) | instskip(SKIP_3) | instid1(VALU_DEP_3)
	v_dual_add_f32 v9, v9, v29 :: v_dual_fma_f32 v11, v126, v70, -v11
	s_wait_dscnt 0x0
	v_dual_mul_f32 v13, v129, v73 :: v_dual_fmac_f32 v21, v123, v66
	v_pk_mul_f32 v[52:53], v[92:93], v[76:77] op_sel:[1,1] op_sel_hi:[0,1]
	v_dual_fma_f32 v17, v122, v66, -v41 :: v_dual_add_f32 v9, v9, v31
	s_delay_alu instid0(VALU_DEP_3)
	v_fma_f32 v142, v128, v72, -v13
	v_dual_fmac_f32 v25, v127, v70 :: v_dual_add_f32 v5, v5, v19
	s_wait_loadcnt 0x3
	v_dual_mov_b32 v58, v83 :: v_dual_mul_f32 v143, v128, v73
	v_dual_mul_f32 v145, v130, v75 :: v_dual_mul_f32 v15, v131, v75
	v_fmac_f32_e32 v23, v125, v68
	v_dual_fma_f32 v19, v124, v68, -v27 :: v_dual_add_f32 v5, v5, v21
	v_pk_fma_f32 v[62:63], v[92:93], v[76:77], v[52:53] op_sel_hi:[1,0,1]
	v_add_f32_e32 v9, v9, v17
	v_pk_mul_f32 v[54:55], v[134:135], v[54:55] op_sel_hi:[1,0]
	v_pk_fma_f32 v[52:53], v[92:93], v[76:77], v[52:53] neg_lo:[0,0,1] neg_hi:[0,0,1]
	v_pk_mul_f32 v[56:57], v[96:97], v[80:81] op_sel:[1,1] op_sel_hi:[0,1]
	v_dual_fmac_f32 v145, v131, v74 :: v_dual_fma_f32 v144, v130, v74, -v15
	v_dual_mov_b32 v53, v63 :: v_dual_add_f32 v9, v9, v19
	v_pk_fma_f32 v[62:63], v[94:95], v[78:79], v[54:55] op_sel_hi:[1,0,1]
	v_add_f32_e32 v5, v5, v23
	v_pk_mul_f32 v[58:59], v[136:137], v[58:59] op_sel_hi:[1,0]
	v_pk_fma_f32 v[54:55], v[94:95], v[78:79], v[54:55] neg_lo:[0,0,1] neg_hi:[0,0,1]
	v_add_f32_e32 v60, v9, v11
	v_pk_fma_f32 v[66:67], v[96:97], v[80:81], v[56:57] op_sel_hi:[1,0,1]
	v_dual_fmac_f32 v143, v129, v72 :: v_dual_mov_b32 v55, v63
	v_pk_fma_f32 v[62:63], v[98:99], v[82:83], v[58:59] op_sel_hi:[1,0,1]
	v_add_f32_e32 v61, v5, v25
	v_pk_fma_f32 v[56:57], v[96:97], v[80:81], v[56:57] neg_lo:[0,0,1] neg_hi:[0,0,1]
	v_pk_fma_f32 v[58:59], v[98:99], v[82:83], v[58:59] neg_lo:[0,0,1] neg_hi:[0,0,1]
	s_delay_alu instid0(VALU_DEP_4) | instskip(NEXT) | instid1(VALU_DEP_4)
	v_dual_mov_b32 v57, v67 :: v_dual_mov_b32 v59, v63
	v_pk_add_f32 v[60:61], v[60:61], v[142:143]
	s_wait_loadcnt 0x2
	v_pk_mul_f32 v[64:65], v[100:101], v[84:85] op_sel:[1,1] op_sel_hi:[0,1]
	s_delay_alu instid0(VALU_DEP_2) | instskip(NEXT) | instid1(VALU_DEP_2)
	v_pk_add_f32 v[60:61], v[60:61], v[144:145]
	v_pk_fma_f32 v[62:63], v[100:101], v[84:85], v[64:65] neg_lo:[0,0,1] neg_hi:[0,0,1]
	s_delay_alu instid0(VALU_DEP_2) | instskip(SKIP_1) | instid1(VALU_DEP_2)
	v_pk_add_f32 v[52:53], v[60:61], v[52:53]
	v_mov_b32_e32 v60, v87
	v_pk_add_f32 v[52:53], v[52:53], v[54:55]
	v_pk_fma_f32 v[54:55], v[100:101], v[84:85], v[64:65] op_sel_hi:[1,0,1]
	s_delay_alu instid0(VALU_DEP_3) | instskip(NEXT) | instid1(VALU_DEP_3)
	v_pk_mul_f32 v[60:61], v[138:139], v[60:61] op_sel_hi:[1,0]
	v_pk_add_f32 v[52:53], v[52:53], v[56:57]
	s_delay_alu instid0(VALU_DEP_3) | instskip(NEXT) | instid1(VALU_DEP_3)
	v_mov_b32_e32 v63, v55
	v_pk_fma_f32 v[54:55], v[102:103], v[86:87], v[60:61] op_sel_hi:[1,0,1]
	s_wait_loadcnt 0x1
	v_pk_mul_f32 v[56:57], v[104:105], v[88:89] op_sel:[1,1] op_sel_hi:[0,1]
	v_mov_b32_e32 v54, v91
	v_pk_add_f32 v[52:53], v[52:53], v[58:59]
	v_pk_fma_f32 v[60:61], v[102:103], v[86:87], v[60:61] neg_lo:[0,0,1] neg_hi:[0,0,1]
	v_mov_b32_e32 v61, v55
	v_pk_fma_f32 v[58:59], v[104:105], v[88:89], v[56:57] op_sel_hi:[1,0,1]
	v_pk_mul_f32 v[54:55], v[140:141], v[54:55] op_sel_hi:[1,0]
	v_pk_add_f32 v[52:53], v[52:53], v[62:63]
	v_pk_fma_f32 v[56:57], v[104:105], v[88:89], v[56:57] neg_lo:[0,0,1] neg_hi:[0,0,1]
	s_delay_alu instid0(VALU_DEP_4) | instskip(NEXT) | instid1(VALU_DEP_4)
	v_mov_b32_e32 v57, v59
	v_pk_fma_f32 v[58:59], v[106:107], v[90:91], v[54:55] op_sel_hi:[1,0,1]
	s_delay_alu instid0(VALU_DEP_4) | instskip(SKIP_1) | instid1(VALU_DEP_3)
	v_pk_add_f32 v[52:53], v[52:53], v[60:61]
	v_pk_fma_f32 v[54:55], v[106:107], v[90:91], v[54:55] neg_lo:[0,0,1] neg_hi:[0,0,1]
	v_mov_b32_e32 v55, v59
	s_delay_alu instid0(VALU_DEP_3) | instskip(NEXT) | instid1(VALU_DEP_1)
	v_pk_add_f32 v[52:53], v[52:53], v[56:57]
	v_pk_add_f32 v[52:53], v[52:53], v[54:55]
	s_wait_loadcnt 0x0
	s_delay_alu instid0(VALU_DEP_1)
	v_pk_add_f32 v[52:53], v[132:133], v[52:53] neg_lo:[0,1] neg_hi:[0,1]
	scratch_store_b64 off, v[52:53], off offset:32
	s_wait_xcnt 0x0
	v_cmpx_lt_u32_e32 3, v0
	s_cbranch_execz .LBB24_157
; %bb.156:
	scratch_load_b64 v[52:53], off, off offset:24
	v_mov_b64_e32 v[54:55], 0
	scratch_store_b64 off, v[54:55], off offset:24
	s_wait_loadcnt 0x0
	ds_store_b64 v1, v[52:53]
.LBB24_157:
	s_wait_xcnt 0x0
	s_or_b32 exec_lo, exec_lo, s0
	s_wait_storecnt_dscnt 0x0
	s_barrier_signal -1
	s_barrier_wait -1
	s_clause 0xb
	scratch_load_b128 v[52:55], off, off offset:32
	scratch_load_b128 v[56:59], off, off offset:48
	;; [unrolled: 1-line block ×10, first 2 shown]
	scratch_load_b64 v[132:133], off, off offset:192
	scratch_load_b64 v[134:135], off, off offset:24
	v_mov_b32_e32 v5, 0
	ds_load_b128 v[92:95], v5 offset:336
	ds_load_b128 v[96:99], v5 offset:352
	;; [unrolled: 1-line block ×10, first 2 shown]
	ds_load_b64 v[136:137], v5 offset:400
	s_mov_b32 s0, exec_lo
	s_wait_dscnt 0xa
	v_dual_mov_b32 v138, v95 :: v_dual_mov_b32 v139, v94
	s_wait_dscnt 0x7
	v_dual_mov_b32 v140, v99 :: v_dual_mov_b32 v145, v106
	v_dual_mov_b32 v141, v98 :: v_dual_mov_b32 v142, v103
	;; [unrolled: 1-line block ×3, first 2 shown]
	s_wait_loadcnt_dscnt 0xb06
	v_dual_mul_f32 v9, v108, v53 :: v_dual_mul_f32 v31, v109, v53
	v_dual_mul_f32 v33, v111, v55 :: v_dual_mul_f32 v11, v110, v55
	s_wait_loadcnt_dscnt 0xa05
	v_mul_f32_e32 v13, v112, v57
	s_wait_loadcnt_dscnt 0x803
	v_dual_mul_f32 v43, v121, v65 :: v_dual_fma_f32 v31, v108, v52, -v31
	v_dual_fmac_f32 v9, v109, v52 :: v_dual_mul_f32 v45, v123, v67
	v_dual_mul_f32 v35, v113, v57 :: v_dual_mul_f32 v37, v115, v59
	v_dual_fmac_f32 v11, v111, v54 :: v_dual_fma_f32 v33, v110, v54, -v33
	s_delay_alu instid0(VALU_DEP_3) | instskip(SKIP_4) | instid1(VALU_DEP_3)
	v_dual_add_f32 v9, 0, v9 :: v_dual_add_f32 v31, 0, v31
	v_dual_mul_f32 v15, v114, v59 :: v_dual_mul_f32 v17, v116, v61
	s_wait_loadcnt_dscnt 0x702
	v_dual_mul_f32 v47, v125, v69 :: v_dual_fma_f32 v35, v112, v56, -v35
	v_fmac_f32_e32 v13, v113, v56
	v_dual_add_f32 v9, v9, v11 :: v_dual_fmac_f32 v15, v115, v58
	v_add_f32_e32 v11, v31, v33
	v_dual_mul_f32 v39, v117, v61 :: v_dual_mul_f32 v41, v119, v63
	v_dual_mul_f32 v31, v127, v71 :: v_dual_fma_f32 v33, v114, v58, -v37
	s_delay_alu instid0(VALU_DEP_3) | instskip(SKIP_3) | instid1(VALU_DEP_3)
	v_dual_add_f32 v9, v9, v13 :: v_dual_add_f32 v11, v11, v35
	v_dual_mul_f32 v19, v118, v63 :: v_dual_mul_f32 v21, v120, v65
	s_wait_loadcnt_dscnt 0x601
	v_dual_mul_f32 v13, v129, v73 :: v_dual_fma_f32 v35, v116, v60, -v39
	v_dual_fmac_f32 v17, v117, v60 :: v_dual_add_f32 v11, v11, v33
	s_delay_alu instid0(VALU_DEP_3) | instskip(SKIP_1) | instid1(VALU_DEP_2)
	v_dual_add_f32 v9, v9, v15 :: v_dual_fmac_f32 v19, v119, v62
	v_dual_mul_f32 v15, v131, v75 :: v_dual_fma_f32 v33, v118, v62, -v41
	v_dual_add_f32 v11, v11, v35 :: v_dual_add_f32 v9, v9, v17
	v_dual_mul_f32 v23, v122, v67 :: v_dual_mul_f32 v25, v124, v69
	s_wait_loadcnt 0x5
	v_dual_mul_f32 v17, v93, v77 :: v_dual_fma_f32 v35, v120, v64, -v43
	s_delay_alu instid0(VALU_DEP_3) | instskip(SKIP_2) | instid1(VALU_DEP_2)
	v_dual_fmac_f32 v21, v121, v64 :: v_dual_add_f32 v11, v11, v33
	v_dual_add_f32 v9, v9, v19 :: v_dual_mov_b32 v52, v79
	v_dual_fmac_f32 v23, v123, v66 :: v_dual_fma_f32 v19, v122, v66, -v45
	v_dual_add_f32 v11, v11, v35 :: v_dual_add_f32 v9, v9, v21
	v_dual_mul_f32 v27, v126, v71 :: v_dual_mul_f32 v29, v128, v73
	v_dual_fmac_f32 v25, v125, v68 :: v_dual_fma_f32 v21, v124, v68, -v47
	s_wait_loadcnt 0x4
	s_delay_alu instid0(VALU_DEP_3) | instskip(SKIP_1) | instid1(VALU_DEP_2)
	v_dual_add_f32 v9, v9, v23 :: v_dual_mov_b32 v56, v83
	v_dual_add_f32 v11, v11, v19 :: v_dual_fma_f32 v19, v126, v70, -v31
	v_dual_fmac_f32 v27, v127, v70 :: v_dual_add_f32 v9, v9, v25
	v_dual_mul_f32 v147, v130, v75 :: v_dual_mul_f32 v149, v92, v77
	s_delay_alu instid0(VALU_DEP_3) | instskip(NEXT) | instid1(VALU_DEP_3)
	v_dual_add_f32 v11, v11, v21 :: v_dual_fmac_f32 v29, v129, v72
	v_dual_fma_f32 v13, v128, v72, -v13 :: v_dual_add_f32 v9, v9, v27
	s_delay_alu instid0(VALU_DEP_3) | instskip(NEXT) | instid1(VALU_DEP_3)
	v_fmac_f32_e32 v147, v131, v74
	v_dual_add_f32 v11, v11, v19 :: v_dual_fma_f32 v146, v130, v74, -v15
	v_pk_mul_f32 v[52:53], v[138:139], v[52:53] op_sel_hi:[1,0]
	s_delay_alu instid0(VALU_DEP_4) | instskip(SKIP_1) | instid1(VALU_DEP_4)
	v_add_f32_e32 v61, v9, v29
	v_pk_mul_f32 v[54:55], v[96:97], v[80:81] op_sel:[1,1] op_sel_hi:[0,1]
	v_dual_add_f32 v60, v11, v13 :: v_dual_fmac_f32 v149, v93, v76
	s_wait_loadcnt 0x3
	v_dual_mov_b32 v62, v87 :: v_dual_fma_f32 v148, v92, v76, -v17
	v_pk_fma_f32 v[64:65], v[94:95], v[78:79], v[52:53] op_sel_hi:[1,0,1]
	s_delay_alu instid0(VALU_DEP_3)
	v_pk_add_f32 v[60:61], v[60:61], v[146:147]
	v_pk_fma_f32 v[52:53], v[94:95], v[78:79], v[52:53] neg_lo:[0,0,1] neg_hi:[0,0,1]
	v_pk_fma_f32 v[66:67], v[96:97], v[80:81], v[54:55] op_sel_hi:[1,0,1]
	v_pk_mul_f32 v[56:57], v[140:141], v[56:57] op_sel_hi:[1,0]
	v_mov_b32_e32 v53, v65
	v_pk_add_f32 v[60:61], v[60:61], v[148:149]
	v_pk_fma_f32 v[54:55], v[96:97], v[80:81], v[54:55] neg_lo:[0,0,1] neg_hi:[0,0,1]
	v_pk_mul_f32 v[58:59], v[100:101], v[84:85] op_sel:[1,1] op_sel_hi:[0,1]
	v_mov_b32_e32 v55, v67
	v_pk_fma_f32 v[66:67], v[98:99], v[82:83], v[56:57] op_sel_hi:[1,0,1]
	v_pk_add_f32 v[52:53], v[60:61], v[52:53]
	v_pk_fma_f32 v[56:57], v[98:99], v[82:83], v[56:57] neg_lo:[0,0,1] neg_hi:[0,0,1]
	v_pk_fma_f32 v[60:61], v[100:101], v[84:85], v[58:59] op_sel_hi:[1,0,1]
	v_pk_mul_f32 v[62:63], v[142:143], v[62:63] op_sel_hi:[1,0]
	v_mov_b32_e32 v57, v67
	v_pk_add_f32 v[52:53], v[52:53], v[54:55]
	v_pk_fma_f32 v[58:59], v[100:101], v[84:85], v[58:59] neg_lo:[0,0,1] neg_hi:[0,0,1]
	s_wait_loadcnt 0x2
	v_pk_mul_f32 v[64:65], v[104:105], v[88:89] op_sel:[1,1] op_sel_hi:[0,1]
	v_dual_mov_b32 v54, v91 :: v_dual_mov_b32 v59, v61
	v_pk_fma_f32 v[60:61], v[102:103], v[86:87], v[62:63] op_sel_hi:[1,0,1]
	v_pk_add_f32 v[52:53], v[52:53], v[56:57]
	v_pk_fma_f32 v[62:63], v[102:103], v[86:87], v[62:63] neg_lo:[0,0,1] neg_hi:[0,0,1]
	v_pk_fma_f32 v[56:57], v[104:105], v[88:89], v[64:65] op_sel_hi:[1,0,1]
	v_pk_mul_f32 v[54:55], v[144:145], v[54:55] op_sel_hi:[1,0]
	v_mov_b32_e32 v63, v61
	v_pk_add_f32 v[52:53], v[52:53], v[58:59]
	v_pk_fma_f32 v[58:59], v[104:105], v[88:89], v[64:65] neg_lo:[0,0,1] neg_hi:[0,0,1]
	v_mov_b32_e32 v59, v57
	v_pk_fma_f32 v[56:57], v[106:107], v[90:91], v[54:55] op_sel_hi:[1,0,1]
	s_wait_loadcnt_dscnt 0x100
	v_pk_mul_f32 v[60:61], v[136:137], v[132:133] op_sel:[1,1] op_sel_hi:[0,1]
	v_pk_add_f32 v[52:53], v[52:53], v[62:63]
	v_pk_fma_f32 v[54:55], v[106:107], v[90:91], v[54:55] neg_lo:[0,0,1] neg_hi:[0,0,1]
	v_mov_b32_e32 v55, v57
	s_delay_alu instid0(VALU_DEP_4) | instskip(NEXT) | instid1(VALU_DEP_4)
	v_pk_fma_f32 v[56:57], v[136:137], v[132:133], v[60:61] op_sel_hi:[1,0,1]
	v_pk_add_f32 v[52:53], v[52:53], v[58:59]
	v_pk_fma_f32 v[58:59], v[136:137], v[132:133], v[60:61] neg_lo:[0,0,1] neg_hi:[0,0,1]
	s_delay_alu instid0(VALU_DEP_3) | instskip(NEXT) | instid1(VALU_DEP_3)
	v_mov_b32_e32 v59, v57
	v_pk_add_f32 v[52:53], v[52:53], v[54:55]
	s_delay_alu instid0(VALU_DEP_1) | instskip(SKIP_1) | instid1(VALU_DEP_1)
	v_pk_add_f32 v[52:53], v[52:53], v[58:59]
	s_wait_loadcnt 0x0
	v_pk_add_f32 v[52:53], v[134:135], v[52:53] neg_lo:[0,1] neg_hi:[0,1]
	scratch_store_b64 off, v[52:53], off offset:24
	s_wait_xcnt 0x0
	v_cmpx_lt_u32_e32 2, v0
	s_cbranch_execz .LBB24_159
; %bb.158:
	scratch_load_b64 v[52:53], off, off offset:16
	v_mov_b64_e32 v[54:55], 0
	scratch_store_b64 off, v[54:55], off offset:16
	s_wait_loadcnt 0x0
	ds_store_b64 v1, v[52:53]
.LBB24_159:
	s_wait_xcnt 0x0
	s_or_b32 exec_lo, exec_lo, s0
	s_wait_storecnt_dscnt 0x0
	s_barrier_signal -1
	s_barrier_wait -1
	s_clause 0xb
	scratch_load_b128 v[52:55], off, off offset:24
	scratch_load_b128 v[56:59], off, off offset:40
	;; [unrolled: 1-line block ×11, first 2 shown]
	scratch_load_b64 v[140:141], off, off offset:16
	ds_load_2addr_b64 v[96:99], v5 offset0:43 offset1:44
	ds_load_2addr_b64 v[100:103], v5 offset0:45 offset1:46
	;; [unrolled: 1-line block ×11, first 2 shown]
	s_mov_b32 s0, exec_lo
	s_wait_dscnt 0xa
	v_dual_mov_b32 v142, v99 :: v_dual_mov_b32 v143, v98
	s_wait_dscnt 0x9
	v_dual_mov_b32 v144, v103 :: v_dual_mov_b32 v145, v102
	s_wait_dscnt 0x8
	v_dual_mov_b32 v146, v107 :: v_dual_mov_b32 v147, v106
	s_wait_dscnt 0x7
	v_dual_mov_b32 v148, v111 :: v_dual_mov_b32 v149, v110
	s_wait_loadcnt_dscnt 0xb06
	v_dual_mul_f32 v5, v112, v53 :: v_dual_mul_f32 v9, v114, v55
	v_dual_mul_f32 v31, v113, v53 :: v_dual_mul_f32 v33, v115, v55
	s_wait_loadcnt_dscnt 0xa05
	v_dual_mul_f32 v11, v116, v57 :: v_dual_mul_f32 v13, v118, v59
	s_delay_alu instid0(VALU_DEP_2) | instskip(SKIP_3) | instid1(VALU_DEP_3)
	v_dual_fmac_f32 v5, v113, v52 :: v_dual_fma_f32 v31, v112, v52, -v31
	v_dual_mul_f32 v35, v117, v57 :: v_dual_mul_f32 v37, v119, v59
	s_wait_loadcnt_dscnt 0x803
	v_dual_mul_f32 v43, v125, v65 :: v_dual_fmac_f32 v9, v115, v54
	v_dual_fma_f32 v33, v114, v54, -v33 :: v_dual_add_f32 v5, 0, v5
	v_dual_add_f32 v31, 0, v31 :: v_dual_fmac_f32 v11, v117, v56
	v_dual_mul_f32 v45, v127, v67 :: v_dual_fma_f32 v35, v116, v56, -v35
	s_delay_alu instid0(VALU_DEP_3) | instskip(NEXT) | instid1(VALU_DEP_3)
	v_dual_add_f32 v5, v5, v9 :: v_dual_fmac_f32 v13, v119, v58
	v_dual_add_f32 v9, v31, v33 :: v_dual_fma_f32 v33, v118, v58, -v37
	v_dual_mul_f32 v15, v120, v61 :: v_dual_mul_f32 v17, v122, v63
	v_dual_mul_f32 v39, v121, v61 :: v_dual_mul_f32 v41, v123, v63
	s_delay_alu instid0(VALU_DEP_3) | instskip(NEXT) | instid1(VALU_DEP_3)
	v_add_f32_e32 v9, v9, v35
	v_dual_add_f32 v5, v5, v11 :: v_dual_fmac_f32 v17, v123, v62
	s_wait_loadcnt_dscnt 0x702
	s_delay_alu instid0(VALU_DEP_3) | instskip(NEXT) | instid1(VALU_DEP_3)
	v_dual_fma_f32 v35, v120, v60, -v39 :: v_dual_mul_f32 v31, v129, v69
	v_dual_mul_f32 v11, v131, v71 :: v_dual_add_f32 v9, v9, v33
	v_dual_fmac_f32 v15, v121, v60 :: v_dual_fma_f32 v33, v122, v62, -v41
	v_add_f32_e32 v5, v5, v13
	v_dual_mul_f32 v19, v124, v65 :: v_dual_mul_f32 v21, v126, v67
	s_delay_alu instid0(VALU_DEP_4) | instskip(NEXT) | instid1(VALU_DEP_3)
	v_dual_add_f32 v9, v9, v35 :: v_dual_fma_f32 v31, v128, v68, -v31
	v_dual_add_f32 v5, v5, v15 :: v_dual_fma_f32 v35, v124, v64, -v43
	v_dual_mul_f32 v23, v128, v69 :: v_dual_mul_f32 v25, v130, v71
	s_delay_alu instid0(VALU_DEP_3) | instskip(SKIP_2) | instid1(VALU_DEP_3)
	v_dual_add_f32 v9, v9, v33 :: v_dual_fma_f32 v11, v130, v70, -v11
	s_wait_loadcnt_dscnt 0x601
	v_dual_mul_f32 v27, v132, v73 :: v_dual_mul_f32 v29, v134, v75
	v_dual_fmac_f32 v19, v125, v64 :: v_dual_fmac_f32 v25, v131, v70
	v_dual_fma_f32 v33, v126, v66, -v45 :: v_dual_add_f32 v5, v5, v17
	s_delay_alu instid0(VALU_DEP_3) | instskip(SKIP_3) | instid1(VALU_DEP_2)
	v_dual_add_f32 v9, v9, v35 :: v_dual_fmac_f32 v29, v135, v74
	v_dual_mul_f32 v13, v133, v73 :: v_dual_fmac_f32 v21, v127, v66
	s_wait_loadcnt_dscnt 0x400
	v_dual_mul_f32 v17, v137, v77 :: v_dual_mov_b32 v54, v83
	v_dual_add_f32 v5, v5, v19 :: v_dual_fma_f32 v13, v132, v72, -v13
	s_delay_alu instid0(VALU_DEP_2)
	v_dual_add_f32 v9, v9, v33 :: v_dual_fma_f32 v150, v136, v76, -v17
	v_mul_f32_e32 v15, v135, v75
	v_dual_mul_f32 v19, v139, v79 :: v_dual_fmac_f32 v23, v129, v68
	s_wait_loadcnt 0x3
	v_dual_mov_b32 v58, v87 :: v_dual_add_f32 v5, v5, v21
	v_pk_mul_f32 v[52:53], v[96:97], v[80:81] op_sel:[1,1] op_sel_hi:[0,1]
	s_delay_alu instid0(VALU_DEP_3) | instskip(SKIP_1) | instid1(VALU_DEP_3)
	v_dual_add_f32 v9, v9, v31 :: v_dual_fma_f32 v152, v138, v78, -v19
	v_dual_mul_f32 v151, v136, v77 :: v_dual_mul_f32 v153, v138, v79
	v_pk_fma_f32 v[62:63], v[96:97], v[80:81], v[52:53] op_sel_hi:[1,0,1]
	s_delay_alu instid0(VALU_DEP_3) | instskip(NEXT) | instid1(VALU_DEP_3)
	v_dual_add_f32 v9, v9, v11 :: v_dual_fma_f32 v11, v134, v74, -v15
	v_dual_add_f32 v5, v5, v23 :: v_dual_fmac_f32 v153, v139, v78
	v_pk_mul_f32 v[54:55], v[142:143], v[54:55] op_sel_hi:[1,0]
	v_pk_fma_f32 v[52:53], v[96:97], v[80:81], v[52:53] neg_lo:[0,0,1] neg_hi:[0,0,1]
	v_dual_fmac_f32 v27, v133, v72 :: v_dual_mov_b32 v53, v63
	v_pk_mul_f32 v[56:57], v[100:101], v[84:85] op_sel:[1,1] op_sel_hi:[0,1]
	s_delay_alu instid0(VALU_DEP_4) | instskip(SKIP_4) | instid1(VALU_DEP_4)
	v_pk_fma_f32 v[62:63], v[98:99], v[82:83], v[54:55] op_sel_hi:[1,0,1]
	v_add_f32_e32 v5, v5, v25
	v_pk_mul_f32 v[58:59], v[144:145], v[58:59] op_sel_hi:[1,0]
	v_pk_fma_f32 v[54:55], v[98:99], v[82:83], v[54:55] neg_lo:[0,0,1] neg_hi:[0,0,1]
	v_pk_fma_f32 v[66:67], v[100:101], v[84:85], v[56:57] op_sel_hi:[1,0,1]
	v_dual_mov_b32 v55, v63 :: v_dual_add_f32 v5, v5, v27
	s_delay_alu instid0(VALU_DEP_4)
	v_pk_fma_f32 v[62:63], v[102:103], v[86:87], v[58:59] op_sel_hi:[1,0,1]
	v_add_f32_e32 v9, v9, v13
	v_pk_fma_f32 v[56:57], v[100:101], v[84:85], v[56:57] neg_lo:[0,0,1] neg_hi:[0,0,1]
	v_pk_fma_f32 v[58:59], v[102:103], v[86:87], v[58:59] neg_lo:[0,0,1] neg_hi:[0,0,1]
	v_dual_fmac_f32 v151, v137, v76 :: v_dual_mov_b32 v57, v67
	v_dual_add_f32 v61, v5, v29 :: v_dual_mov_b32 v59, v63
	v_add_f32_e32 v60, v9, v11
	s_wait_loadcnt 0x2
	v_pk_mul_f32 v[64:65], v[104:105], v[88:89] op_sel:[1,1] op_sel_hi:[0,1]
	s_delay_alu instid0(VALU_DEP_2) | instskip(NEXT) | instid1(VALU_DEP_2)
	v_pk_add_f32 v[60:61], v[60:61], v[150:151]
	v_pk_fma_f32 v[62:63], v[104:105], v[88:89], v[64:65] neg_lo:[0,0,1] neg_hi:[0,0,1]
	s_delay_alu instid0(VALU_DEP_2) | instskip(NEXT) | instid1(VALU_DEP_1)
	v_pk_add_f32 v[60:61], v[60:61], v[152:153]
	v_pk_add_f32 v[52:53], v[60:61], v[52:53]
	v_mov_b32_e32 v60, v91
	s_delay_alu instid0(VALU_DEP_2) | instskip(SKIP_1) | instid1(VALU_DEP_3)
	v_pk_add_f32 v[52:53], v[52:53], v[54:55]
	v_pk_fma_f32 v[54:55], v[104:105], v[88:89], v[64:65] op_sel_hi:[1,0,1]
	v_pk_mul_f32 v[60:61], v[146:147], v[60:61] op_sel_hi:[1,0]
	s_delay_alu instid0(VALU_DEP_3) | instskip(NEXT) | instid1(VALU_DEP_3)
	v_pk_add_f32 v[52:53], v[52:53], v[56:57]
	v_mov_b32_e32 v63, v55
	s_delay_alu instid0(VALU_DEP_3)
	v_pk_fma_f32 v[54:55], v[106:107], v[90:91], v[60:61] op_sel_hi:[1,0,1]
	s_wait_loadcnt 0x1
	v_pk_mul_f32 v[56:57], v[108:109], v[92:93] op_sel:[1,1] op_sel_hi:[0,1]
	v_mov_b32_e32 v54, v95
	v_pk_add_f32 v[52:53], v[52:53], v[58:59]
	v_pk_fma_f32 v[60:61], v[106:107], v[90:91], v[60:61] neg_lo:[0,0,1] neg_hi:[0,0,1]
	v_mov_b32_e32 v61, v55
	v_pk_fma_f32 v[58:59], v[108:109], v[92:93], v[56:57] op_sel_hi:[1,0,1]
	v_pk_mul_f32 v[54:55], v[148:149], v[54:55] op_sel_hi:[1,0]
	v_pk_add_f32 v[52:53], v[52:53], v[62:63]
	v_pk_fma_f32 v[56:57], v[108:109], v[92:93], v[56:57] neg_lo:[0,0,1] neg_hi:[0,0,1]
	s_delay_alu instid0(VALU_DEP_4) | instskip(NEXT) | instid1(VALU_DEP_4)
	v_mov_b32_e32 v57, v59
	v_pk_fma_f32 v[58:59], v[110:111], v[94:95], v[54:55] op_sel_hi:[1,0,1]
	s_delay_alu instid0(VALU_DEP_4) | instskip(SKIP_1) | instid1(VALU_DEP_3)
	v_pk_add_f32 v[52:53], v[52:53], v[60:61]
	v_pk_fma_f32 v[54:55], v[110:111], v[94:95], v[54:55] neg_lo:[0,0,1] neg_hi:[0,0,1]
	v_mov_b32_e32 v55, v59
	s_delay_alu instid0(VALU_DEP_3) | instskip(NEXT) | instid1(VALU_DEP_1)
	v_pk_add_f32 v[52:53], v[52:53], v[56:57]
	v_pk_add_f32 v[52:53], v[52:53], v[54:55]
	s_wait_loadcnt 0x0
	s_delay_alu instid0(VALU_DEP_1)
	v_pk_add_f32 v[52:53], v[140:141], v[52:53] neg_lo:[0,1] neg_hi:[0,1]
	scratch_store_b64 off, v[52:53], off offset:16
	s_wait_xcnt 0x0
	v_cmpx_lt_u32_e32 1, v0
	s_cbranch_execz .LBB24_161
; %bb.160:
	scratch_load_b64 v[52:53], off, off offset:8
	v_mov_b64_e32 v[54:55], 0
	scratch_store_b64 off, v[54:55], off offset:8
	s_wait_loadcnt 0x0
	ds_store_b64 v1, v[52:53]
.LBB24_161:
	s_wait_xcnt 0x0
	s_or_b32 exec_lo, exec_lo, s0
	s_wait_storecnt_dscnt 0x0
	s_barrier_signal -1
	s_barrier_wait -1
	s_clause 0xc
	scratch_load_b128 v[54:57], off, off offset:16
	scratch_load_b128 v[58:61], off, off offset:32
	;; [unrolled: 1-line block ×11, first 2 shown]
	scratch_load_b64 v[142:143], off, off offset:192
	scratch_load_b64 v[144:145], off, off offset:8
	v_dual_mov_b32 v52, 0 :: v_dual_ashrrev_i32 v5, 31, v4
	ds_load_b128 v[98:101], v52 offset:320
	ds_load_b128 v[102:105], v52 offset:336
	;; [unrolled: 1-line block ×11, first 2 shown]
	ds_load_b64 v[146:147], v52 offset:400
	v_dual_ashrrev_i32 v9, 31, v8 :: v_dual_ashrrev_i32 v11, 31, v10
	v_dual_ashrrev_i32 v13, 31, v12 :: v_dual_ashrrev_i32 v15, 31, v14
	;; [unrolled: 1-line block ×5, first 2 shown]
	s_mov_b32 s0, exec_lo
	s_wait_dscnt 0xa
	v_dual_mov_b32 v148, v105 :: v_dual_mov_b32 v149, v104
	s_wait_dscnt 0x7
	v_dual_mov_b32 v150, v109 :: v_dual_mov_b32 v151, v108
	s_wait_dscnt 0x6
	v_dual_mov_b32 v152, v113 :: v_dual_mov_b32 v153, v112
	s_wait_dscnt 0x5
	v_dual_mov_b32 v154, v117 :: v_dual_mov_b32 v155, v116
	s_wait_loadcnt 0xc
	v_dual_mul_f32 v29, v118, v55 :: v_dual_mul_f32 v31, v120, v57
	v_dual_mul_f32 v33, v119, v55 :: v_dual_mul_f32 v35, v121, v57
	s_wait_loadcnt 0xb
	v_dual_mul_f32 v37, v122, v59 :: v_dual_mul_f32 v39, v124, v61
	s_wait_loadcnt 0x5
	v_dual_fmac_f32 v29, v119, v54 :: v_dual_mul_f32 v57, v102, v83
	v_dual_fma_f32 v33, v118, v54, -v33 :: v_dual_fmac_f32 v31, v121, v56
	v_dual_mul_f32 v41, v123, v59 :: v_dual_mul_f32 v43, v125, v61
	s_delay_alu instid0(VALU_DEP_3) | instskip(SKIP_1) | instid1(VALU_DEP_3)
	v_dual_fma_f32 v35, v120, v56, -v35 :: v_dual_add_f32 v29, 0, v29
	s_wait_dscnt 0x2
	v_dual_add_f32 v33, 0, v33 :: v_dual_mul_f32 v54, v135, v71
	v_fmac_f32_e32 v37, v123, v58
	s_delay_alu instid0(VALU_DEP_3) | instskip(NEXT) | instid1(VALU_DEP_3)
	v_dual_fma_f32 v41, v122, v58, -v41 :: v_dual_add_f32 v29, v29, v31
	v_add_f32_e32 v31, v33, v35
	v_dual_mul_f32 v45, v126, v63 :: v_dual_mul_f32 v47, v128, v65
	v_dual_mul_f32 v49, v127, v63 :: v_dual_mul_f32 v51, v129, v65
	v_dual_mul_f32 v33, v137, v73 :: v_dual_fma_f32 v35, v124, v60, -v43
	s_delay_alu instid0(VALU_DEP_4) | instskip(SKIP_3) | instid1(VALU_DEP_3)
	v_dual_fmac_f32 v39, v125, v60 :: v_dual_add_f32 v31, v31, v41
	s_wait_dscnt 0x1
	v_dual_add_f32 v29, v29, v37 :: v_dual_mul_f32 v37, v139, v75
	v_fmac_f32_e32 v45, v127, v62
	v_dual_fma_f32 v41, v126, v62, -v49 :: v_dual_add_f32 v31, v31, v35
	s_delay_alu instid0(VALU_DEP_3)
	v_add_f32_e32 v29, v29, v39
	v_dual_mul_f32 v53, v130, v67 :: v_dual_mul_f32 v59, v132, v69
	v_dual_mul_f32 v63, v131, v67 :: v_dual_mul_f32 v67, v136, v73
	v_dual_mul_f32 v35, v141, v77 :: v_dual_fma_f32 v39, v128, v64, -v51
	v_dual_fmac_f32 v47, v129, v64 :: v_dual_add_f32 v31, v31, v41
	v_dual_add_f32 v29, v29, v45 :: v_dual_mul_f32 v41, v99, v79
	v_dual_mul_f32 v61, v134, v71 :: v_dual_mul_f32 v65, v133, v69
	v_dual_fmac_f32 v53, v131, v66 :: v_dual_fma_f32 v43, v130, v66, -v63
	s_delay_alu instid0(VALU_DEP_3) | instskip(SKIP_1) | instid1(VALU_DEP_4)
	v_add_f32_e32 v29, v29, v47
	v_dual_add_f32 v31, v31, v39 :: v_dual_mul_f32 v39, v101, v81
	v_dual_fmac_f32 v59, v133, v68 :: v_dual_fma_f32 v45, v132, v68, -v65
	s_delay_alu instid0(VALU_DEP_2) | instskip(SKIP_2) | instid1(VALU_DEP_3)
	v_dual_add_f32 v29, v29, v53 :: v_dual_add_f32 v31, v31, v43
	v_mul_f32_e32 v43, v103, v83
	v_dual_fmac_f32 v61, v135, v70 :: v_dual_fma_f32 v47, v134, v70, -v54
	v_dual_add_f32 v29, v29, v59 :: v_dual_add_f32 v31, v31, v45
	v_dual_mul_f32 v69, v138, v75 :: v_dual_mul_f32 v156, v140, v77
	v_dual_mov_b32 v56, v85 :: v_dual_fma_f32 v33, v136, v72, -v33
	s_delay_alu instid0(VALU_DEP_3) | instskip(NEXT) | instid1(VALU_DEP_3)
	v_dual_fmac_f32 v67, v137, v72 :: v_dual_add_f32 v31, v31, v47
	v_dual_add_f32 v29, v29, v61 :: v_dual_fmac_f32 v69, v139, v74
	v_fma_f32 v37, v138, v74, -v37
	v_dual_mul_f32 v157, v98, v79 :: v_dual_mul_f32 v55, v100, v81
	s_delay_alu instid0(VALU_DEP_3) | instskip(SKIP_3) | instid1(VALU_DEP_3)
	v_dual_add_f32 v29, v29, v67 :: v_dual_add_f32 v31, v31, v33
	s_wait_loadcnt 0x4
	v_mov_b32_e32 v60, v89
	v_dual_fmac_f32 v156, v141, v76 :: v_dual_fma_f32 v33, v140, v76, -v35
	v_dual_add_f32 v29, v29, v69 :: v_dual_fmac_f32 v157, v99, v78
	v_dual_add_f32 v31, v31, v37 :: v_dual_fma_f32 v35, v98, v78, -v41
	v_pk_mul_f32 v[64:65], v[148:149], v[56:57] op_sel_hi:[1,0]
	s_delay_alu instid0(VALU_DEP_3) | instskip(SKIP_1) | instid1(VALU_DEP_4)
	v_add_f32_e32 v29, v29, v156
	v_pk_mul_f32 v[58:59], v[106:107], v[86:87] op_sel:[1,1] op_sel_hi:[0,1]
	v_dual_add_f32 v31, v31, v33 :: v_dual_fmac_f32 v55, v101, v80
	s_delay_alu instid0(VALU_DEP_3) | instskip(SKIP_2) | instid1(VALU_DEP_3)
	v_dual_fma_f32 v54, v100, v80, -v39 :: v_dual_add_f32 v67, v29, v157
	s_wait_loadcnt 0x3
	v_dual_mov_b32 v68, v93 :: v_dual_fmac_f32 v57, v103, v82
	v_add_f32_e32 v66, v31, v35
	v_pk_fma_f32 v[70:71], v[104:105], v[84:85], v[64:65] op_sel_hi:[1,0,1]
	v_fma_f32 v56, v102, v82, -v43
	v_pk_fma_f32 v[64:65], v[104:105], v[84:85], v[64:65] neg_lo:[0,0,1] neg_hi:[0,0,1]
	v_pk_mul_f32 v[60:61], v[150:151], v[60:61] op_sel_hi:[1,0]
	v_pk_add_f32 v[54:55], v[66:67], v[54:55]
	v_pk_fma_f32 v[66:67], v[106:107], v[86:87], v[58:59] op_sel_hi:[1,0,1]
	v_mov_b32_e32 v65, v71
	v_pk_fma_f32 v[58:59], v[106:107], v[86:87], v[58:59] neg_lo:[0,0,1] neg_hi:[0,0,1]
	v_pk_mul_f32 v[62:63], v[110:111], v[90:91] op_sel:[1,1] op_sel_hi:[0,1]
	v_pk_add_f32 v[54:55], v[54:55], v[56:57]
	v_mov_b32_e32 v59, v67
	v_pk_fma_f32 v[66:67], v[108:109], v[88:89], v[60:61] op_sel_hi:[1,0,1]
	v_pk_fma_f32 v[60:61], v[108:109], v[88:89], v[60:61] neg_lo:[0,0,1] neg_hi:[0,0,1]
	v_pk_mul_f32 v[68:69], v[152:153], v[68:69] op_sel_hi:[1,0]
	v_pk_add_f32 v[54:55], v[54:55], v[64:65]
	v_pk_fma_f32 v[64:65], v[110:111], v[90:91], v[62:63] op_sel_hi:[1,0,1]
	v_mov_b32_e32 v61, v67
	v_pk_fma_f32 v[62:63], v[110:111], v[90:91], v[62:63] neg_lo:[0,0,1] neg_hi:[0,0,1]
	s_wait_loadcnt 0x2
	v_pk_mul_f32 v[56:57], v[114:115], v[94:95] op_sel:[1,1] op_sel_hi:[0,1]
	v_pk_add_f32 v[54:55], v[54:55], v[58:59]
	v_dual_mov_b32 v58, v97 :: v_dual_mov_b32 v63, v65
	v_pk_fma_f32 v[64:65], v[112:113], v[92:93], v[68:69] op_sel_hi:[1,0,1]
	v_pk_fma_f32 v[66:67], v[112:113], v[92:93], v[68:69] neg_lo:[0,0,1] neg_hi:[0,0,1]
	s_delay_alu instid0(VALU_DEP_4) | instskip(SKIP_3) | instid1(VALU_DEP_4)
	v_pk_add_f32 v[54:55], v[54:55], v[60:61]
	v_pk_fma_f32 v[60:61], v[114:115], v[94:95], v[56:57] op_sel_hi:[1,0,1]
	v_pk_mul_f32 v[58:59], v[154:155], v[58:59] op_sel_hi:[1,0]
	v_dual_mov_b32 v67, v65 :: v_dual_ashrrev_i32 v29, 31, v28
	v_pk_add_f32 v[54:55], v[54:55], v[62:63]
	v_pk_fma_f32 v[56:57], v[114:115], v[94:95], v[56:57] neg_lo:[0,0,1] neg_hi:[0,0,1]
	v_dual_mov_b32 v57, v61 :: v_dual_ashrrev_i32 v31, 31, v30
	v_pk_fma_f32 v[60:61], v[116:117], v[96:97], v[58:59] op_sel_hi:[1,0,1]
	s_delay_alu instid0(VALU_DEP_4)
	v_pk_add_f32 v[54:55], v[54:55], v[66:67]
	s_wait_loadcnt_dscnt 0x100
	v_pk_mul_f32 v[62:63], v[146:147], v[142:143] op_sel:[1,1] op_sel_hi:[0,1]
	v_pk_fma_f32 v[58:59], v[116:117], v[96:97], v[58:59] neg_lo:[0,0,1] neg_hi:[0,0,1]
	v_dual_ashrrev_i32 v33, 31, v32 :: v_dual_mov_b32 v59, v61
	v_pk_add_f32 v[54:55], v[54:55], v[56:57]
	s_delay_alu instid0(VALU_DEP_4)
	v_pk_fma_f32 v[56:57], v[146:147], v[142:143], v[62:63] op_sel_hi:[1,0,1]
	v_pk_fma_f32 v[60:61], v[146:147], v[142:143], v[62:63] neg_lo:[0,0,1] neg_hi:[0,0,1]
	v_dual_ashrrev_i32 v35, 31, v34 :: v_dual_ashrrev_i32 v37, 31, v36
	v_ashrrev_i32_e32 v39, 31, v38
	v_pk_add_f32 v[54:55], v[54:55], v[58:59]
	v_dual_mov_b32 v61, v57 :: v_dual_ashrrev_i32 v41, 31, v40
	v_dual_ashrrev_i32 v43, 31, v42 :: v_dual_ashrrev_i32 v45, 31, v44
	v_ashrrev_i32_e32 v47, 31, v46
	s_delay_alu instid0(VALU_DEP_3) | instskip(SKIP_2) | instid1(VALU_DEP_2)
	v_pk_add_f32 v[54:55], v[54:55], v[60:61]
	v_dual_ashrrev_i32 v49, 31, v48 :: v_dual_ashrrev_i32 v51, 31, v50
	s_wait_loadcnt 0x0
	v_pk_add_f32 v[54:55], v[144:145], v[54:55] neg_lo:[0,1] neg_hi:[0,1]
	scratch_store_b64 off, v[54:55], off offset:8
	s_wait_xcnt 0x0
	v_cmpx_ne_u32_e32 0, v0
	s_cbranch_execz .LBB24_163
; %bb.162:
	scratch_load_b64 v[54:55], off, off
	v_mov_b64_e32 v[56:57], 0
	scratch_store_b64 off, v[56:57], off
	s_wait_loadcnt 0x0
	ds_store_b64 v1, v[54:55]
.LBB24_163:
	s_wait_xcnt 0x0
	s_or_b32 exec_lo, exec_lo, s0
	s_wait_storecnt_dscnt 0x0
	s_barrier_signal -1
	s_barrier_wait -1
	s_clause 0xc
	scratch_load_b128 v[54:57], off, off offset:8
	scratch_load_b128 v[58:61], off, off offset:24
	;; [unrolled: 1-line block ×12, first 2 shown]
	scratch_load_b64 v[0:1], off, off
	ds_load_2addr_b64 v[102:105], v52 offset0:43 offset1:44
	ds_load_2addr_b64 v[106:109], v52 offset0:45 offset1:46
	;; [unrolled: 1-line block ×12, first 2 shown]
	s_and_b32 vcc_lo, exec_lo, s18
	s_wait_dscnt 0xb
	v_dual_mov_b32 v52, v105 :: v_dual_mov_b32 v53, v104
	s_wait_dscnt 0xa
	v_dual_mov_b32 v150, v109 :: v_dual_mov_b32 v151, v108
	;; [unrolled: 2-line block ×4, first 2 shown]
	s_wait_loadcnt_dscnt 0xc07
	v_dual_mul_f32 v156, v118, v55 :: v_dual_mul_f32 v158, v120, v57
	v_dual_mul_f32 v55, v119, v55 :: v_dual_mul_f32 v57, v121, v57
	s_wait_loadcnt_dscnt 0x904
	v_dual_mul_f32 v164, v130, v67 :: v_dual_mul_f32 v165, v132, v69
	v_mul_f32_e32 v67, v131, v67
	s_delay_alu instid0(VALU_DEP_3)
	v_dual_fmac_f32 v156, v119, v54 :: v_dual_fma_f32 v54, v118, v54, -v55
	v_dual_mul_f32 v160, v122, v59 :: v_dual_mul_f32 v161, v124, v61
	v_dual_mul_f32 v59, v123, v59 :: v_dual_mul_f32 v61, v125, v61
	v_mul_f32_e32 v55, v133, v69
	v_dual_fmac_f32 v158, v121, v56 :: v_dual_fma_f32 v56, v120, v56, -v57
	v_dual_add_f32 v57, 0, v156 :: v_dual_add_f32 v54, 0, v54
	s_wait_loadcnt_dscnt 0x803
	v_mul_f32_e32 v69, v135, v71
	v_dual_fmac_f32 v160, v123, v58 :: v_dual_fma_f32 v58, v122, v58, -v59
	s_delay_alu instid0(VALU_DEP_3) | instskip(SKIP_3) | instid1(VALU_DEP_3)
	v_dual_add_f32 v57, v57, v158 :: v_dual_fma_f32 v59, v124, v60, -v61
	v_add_f32_e32 v54, v54, v56
	v_dual_mul_f32 v162, v126, v63 :: v_dual_mul_f32 v163, v128, v65
	v_dual_mul_f32 v63, v127, v63 :: v_dual_mul_f32 v65, v129, v65
	v_dual_mul_f32 v56, v137, v73 :: v_dual_add_f32 v54, v54, v58
	s_wait_loadcnt_dscnt 0x702
	v_dual_fmac_f32 v161, v125, v60 :: v_dual_mul_f32 v58, v139, v75
	v_dual_add_f32 v57, v57, v160 :: v_dual_fmac_f32 v162, v127, v62
	v_fma_f32 v60, v126, v62, -v63
	v_dual_add_f32 v54, v54, v59 :: v_dual_mul_f32 v59, v141, v77
	s_delay_alu instid0(VALU_DEP_3) | instskip(SKIP_2) | instid1(VALU_DEP_3)
	v_add_f32_e32 v57, v57, v161
	v_dual_fmac_f32 v163, v129, v64 :: v_dual_fma_f32 v61, v128, v64, -v65
	s_wait_loadcnt_dscnt 0x601
	v_dual_add_f32 v54, v54, v60 :: v_dual_mul_f32 v60, v143, v79
	v_fma_f32 v62, v130, v66, -v67
	v_add_f32_e32 v57, v57, v162
	s_delay_alu instid0(VALU_DEP_3) | instskip(SKIP_1) | instid1(VALU_DEP_3)
	v_dual_fmac_f32 v164, v131, v66 :: v_dual_add_f32 v54, v54, v61
	v_dual_fmac_f32 v165, v133, v68 :: v_dual_mul_f32 v166, v134, v71
	v_dual_mul_f32 v167, v136, v73 :: v_dual_add_f32 v57, v57, v163
	v_dual_mul_f32 v61, v145, v81 :: v_dual_fma_f32 v55, v132, v68, -v55
	s_wait_loadcnt_dscnt 0x500
	v_dual_add_f32 v54, v54, v62 :: v_dual_mul_f32 v64, v147, v83
	s_delay_alu instid0(VALU_DEP_3) | instskip(NEXT) | instid1(VALU_DEP_2)
	v_dual_fma_f32 v62, v134, v70, -v69 :: v_dual_add_f32 v57, v57, v164
	v_dual_fmac_f32 v166, v135, v70 :: v_dual_add_f32 v54, v54, v55
	v_dual_mul_f32 v66, v149, v85 :: v_dual_mul_f32 v168, v138, v75
	v_mul_f32_e32 v169, v140, v77
	s_delay_alu instid0(VALU_DEP_4) | instskip(SKIP_3) | instid1(VALU_DEP_4)
	v_add_f32_e32 v57, v57, v165
	v_dual_fmac_f32 v167, v137, v72 :: v_dual_fma_f32 v56, v136, v72, -v56
	v_add_f32_e32 v62, v54, v62
	v_dual_fmac_f32 v168, v139, v74 :: v_dual_fma_f32 v58, v138, v74, -v58
	v_dual_add_f32 v57, v57, v166 :: v_dual_mul_f32 v170, v142, v79
	s_delay_alu instid0(VALU_DEP_3) | instskip(SKIP_2) | instid1(VALU_DEP_3)
	v_dual_mul_f32 v171, v144, v81 :: v_dual_add_f32 v62, v62, v56
	s_wait_loadcnt 0x4
	v_dual_mov_b32 v56, v89 :: v_dual_fma_f32 v63, v140, v76, -v59
	v_add_f32_e32 v57, v57, v167
	s_delay_alu instid0(VALU_DEP_3) | instskip(SKIP_1) | instid1(VALU_DEP_3)
	v_dual_fmac_f32 v169, v141, v76 :: v_dual_add_f32 v62, v62, v58
	v_dual_fmac_f32 v170, v143, v78 :: v_dual_mul_f32 v157, v146, v83
	v_dual_mul_f32 v159, v148, v85 :: v_dual_add_f32 v57, v57, v168
	v_fma_f32 v65, v142, v78, -v60
	s_wait_loadcnt 0x3
	v_dual_add_f32 v62, v62, v63 :: v_dual_mov_b32 v60, v93
	v_dual_fmac_f32 v171, v145, v80 :: v_dual_fma_f32 v61, v144, v80, -v61
	v_add_f32_e32 v57, v57, v169
	s_delay_alu instid0(VALU_DEP_3) | instskip(SKIP_2) | instid1(VALU_DEP_3)
	v_add_f32_e32 v67, v62, v65
	v_pk_mul_f32 v[54:55], v[102:103], v[86:87] op_sel:[1,1] op_sel_hi:[0,1]
	v_dual_fmac_f32 v157, v147, v82 :: v_dual_fma_f32 v156, v146, v82, -v64
	v_dual_add_f32 v57, v57, v170 :: v_dual_add_f32 v64, v67, v61
	v_dual_fmac_f32 v159, v149, v84 :: v_dual_fma_f32 v158, v148, v84, -v66
	s_delay_alu instid0(VALU_DEP_4) | instskip(NEXT) | instid1(VALU_DEP_3)
	v_pk_fma_f32 v[66:67], v[102:103], v[86:87], v[54:55] op_sel_hi:[1,0,1]
	v_add_f32_e32 v65, v57, v171
	v_pk_mul_f32 v[52:53], v[52:53], v[56:57] op_sel_hi:[1,0]
	v_pk_fma_f32 v[54:55], v[102:103], v[86:87], v[54:55] neg_lo:[0,0,1] neg_hi:[0,0,1]
	v_pk_mul_f32 v[58:59], v[106:107], v[90:91] op_sel:[1,1] op_sel_hi:[0,1]
	v_mov_b32_e32 v55, v67
	v_pk_add_f32 v[56:57], v[64:65], v[156:157]
	s_wait_loadcnt 0x2
	v_mov_b32_e32 v64, v97
	v_pk_fma_f32 v[66:67], v[104:105], v[88:89], v[52:53] op_sel_hi:[1,0,1]
	v_pk_fma_f32 v[52:53], v[104:105], v[88:89], v[52:53] neg_lo:[0,0,1] neg_hi:[0,0,1]
	v_pk_fma_f32 v[68:69], v[106:107], v[90:91], v[58:59] op_sel_hi:[1,0,1]
	v_pk_add_f32 v[56:57], v[56:57], v[158:159]
	v_pk_mul_f32 v[60:61], v[150:151], v[60:61] op_sel_hi:[1,0]
	v_mov_b32_e32 v53, v67
	v_pk_fma_f32 v[58:59], v[106:107], v[90:91], v[58:59] neg_lo:[0,0,1] neg_hi:[0,0,1]
	v_pk_mul_f32 v[62:63], v[110:111], v[94:95] op_sel:[1,1] op_sel_hi:[0,1]
	v_pk_add_f32 v[54:55], v[56:57], v[54:55]
	v_mov_b32_e32 v59, v69
	v_pk_fma_f32 v[66:67], v[108:109], v[92:93], v[60:61] op_sel_hi:[1,0,1]
	v_pk_fma_f32 v[60:61], v[108:109], v[92:93], v[60:61] neg_lo:[0,0,1] neg_hi:[0,0,1]
	v_pk_mul_f32 v[64:65], v[152:153], v[64:65] op_sel_hi:[1,0]
	v_pk_add_f32 v[52:53], v[54:55], v[52:53]
	v_pk_fma_f32 v[54:55], v[110:111], v[94:95], v[62:63] op_sel_hi:[1,0,1]
	s_wait_loadcnt 0x1
	v_dual_mov_b32 v61, v67 :: v_dual_mov_b32 v54, v101
	v_pk_mul_f32 v[56:57], v[114:115], v[98:99] op_sel:[1,1] op_sel_hi:[0,1]
	v_pk_add_f32 v[52:53], v[52:53], v[58:59]
	v_pk_fma_f32 v[58:59], v[110:111], v[94:95], v[62:63] neg_lo:[0,0,1] neg_hi:[0,0,1]
	v_pk_fma_f32 v[62:63], v[112:113], v[96:97], v[64:65] op_sel_hi:[1,0,1]
	v_mov_b32_e32 v59, v55
	v_pk_fma_f32 v[64:65], v[112:113], v[96:97], v[64:65] neg_lo:[0,0,1] neg_hi:[0,0,1]
	v_pk_add_f32 v[52:53], v[52:53], v[60:61]
	v_pk_fma_f32 v[60:61], v[114:115], v[98:99], v[56:57] op_sel_hi:[1,0,1]
	v_pk_mul_f32 v[54:55], v[154:155], v[54:55] op_sel_hi:[1,0]
	v_mov_b32_e32 v65, v63
	v_pk_fma_f32 v[56:57], v[114:115], v[98:99], v[56:57] neg_lo:[0,0,1] neg_hi:[0,0,1]
	v_pk_add_f32 v[52:53], v[52:53], v[58:59]
	s_delay_alu instid0(VALU_DEP_4) | instskip(SKIP_2) | instid1(VALU_DEP_4)
	v_pk_fma_f32 v[58:59], v[116:117], v[100:101], v[54:55] op_sel_hi:[1,0,1]
	v_mov_b32_e32 v57, v61
	v_pk_fma_f32 v[54:55], v[116:117], v[100:101], v[54:55] neg_lo:[0,0,1] neg_hi:[0,0,1]
	v_pk_add_f32 v[52:53], v[52:53], v[64:65]
	s_delay_alu instid0(VALU_DEP_4) | instskip(NEXT) | instid1(VALU_DEP_2)
	v_mov_b32_e32 v55, v59
	v_pk_add_f32 v[52:53], v[52:53], v[56:57]
	s_delay_alu instid0(VALU_DEP_1) | instskip(SKIP_1) | instid1(VALU_DEP_1)
	v_pk_add_f32 v[52:53], v[52:53], v[54:55]
	s_wait_loadcnt 0x0
	v_pk_add_f32 v[0:1], v[0:1], v[52:53] neg_lo:[0,1] neg_hi:[0,1]
	scratch_store_b64 off, v[0:1], off
	s_cbranch_vccz .LBB24_212
; %bb.164:
	s_wait_xcnt 0x0
	v_mov_b32_e32 v0, 0
	global_load_b32 v1, v0, s[2:3] offset:92
	s_wait_loadcnt 0x0
	v_cmp_ne_u32_e32 vcc_lo, 24, v1
	s_cbranch_vccz .LBB24_166
; %bb.165:
	v_lshlrev_b32_e32 v1, 3, v1
	scratch_load_b64 v[52:53], v1, off offset:-8
	scratch_load_b64 v[54:55], off, off offset:184
	s_wait_loadcnt 0x1
	scratch_store_b64 off, v[52:53], off offset:184
	s_wait_loadcnt 0x0
	scratch_store_b64 v1, v[54:55], off offset:-8
.LBB24_166:
	global_load_b32 v0, v0, s[2:3] offset:88
	s_wait_loadcnt 0x0
	v_cmp_eq_u32_e32 vcc_lo, 23, v0
	s_cbranch_vccnz .LBB24_168
; %bb.167:
	s_wait_xcnt 0x0
	v_lshlrev_b32_e32 v0, 3, v0
	s_delay_alu instid0(VALU_DEP_1)
	v_mov_b32_e32 v54, v0
	scratch_load_b64 v[0:1], v54, off offset:-8
	scratch_load_b64 v[52:53], off, off offset:176
	s_wait_loadcnt 0x1
	scratch_store_b64 off, v[0:1], off offset:176
	s_wait_loadcnt 0x0
	scratch_store_b64 v54, v[52:53], off offset:-8
.LBB24_168:
	s_wait_xcnt 0x0
	v_mov_b32_e32 v0, 0
	global_load_b32 v1, v0, s[2:3] offset:84
	s_wait_loadcnt 0x0
	v_cmp_eq_u32_e32 vcc_lo, 22, v1
	s_cbranch_vccnz .LBB24_170
; %bb.169:
	v_lshlrev_b32_e32 v1, 3, v1
	scratch_load_b64 v[52:53], v1, off offset:-8
	scratch_load_b64 v[54:55], off, off offset:168
	s_wait_loadcnt 0x1
	scratch_store_b64 off, v[52:53], off offset:168
	s_wait_loadcnt 0x0
	scratch_store_b64 v1, v[54:55], off offset:-8
.LBB24_170:
	global_load_b32 v0, v0, s[2:3] offset:80
	s_wait_loadcnt 0x0
	v_cmp_eq_u32_e32 vcc_lo, 21, v0
	s_cbranch_vccnz .LBB24_172
; %bb.171:
	s_wait_xcnt 0x0
	v_lshlrev_b32_e32 v0, 3, v0
	s_delay_alu instid0(VALU_DEP_1)
	v_mov_b32_e32 v54, v0
	scratch_load_b64 v[0:1], v54, off offset:-8
	scratch_load_b64 v[52:53], off, off offset:160
	s_wait_loadcnt 0x1
	scratch_store_b64 off, v[0:1], off offset:160
	s_wait_loadcnt 0x0
	scratch_store_b64 v54, v[52:53], off offset:-8
.LBB24_172:
	s_wait_xcnt 0x0
	v_mov_b32_e32 v0, 0
	global_load_b32 v1, v0, s[2:3] offset:76
	s_wait_loadcnt 0x0
	v_cmp_eq_u32_e32 vcc_lo, 20, v1
	s_cbranch_vccnz .LBB24_174
; %bb.173:
	v_lshlrev_b32_e32 v1, 3, v1
	scratch_load_b64 v[52:53], v1, off offset:-8
	scratch_load_b64 v[54:55], off, off offset:152
	s_wait_loadcnt 0x1
	scratch_store_b64 off, v[52:53], off offset:152
	s_wait_loadcnt 0x0
	scratch_store_b64 v1, v[54:55], off offset:-8
.LBB24_174:
	;; [unrolled: 31-line block ×11, first 2 shown]
	global_load_b32 v52, v0, s[2:3]
	scratch_load_b64 v[0:1], off, off
	s_wait_loadcnt 0x1
	v_cmp_eq_u32_e32 vcc_lo, 1, v52
	s_cbranch_vccnz .LBB24_212
; %bb.211:
	v_lshlrev_b32_e32 v52, 3, v52
	s_delay_alu instid0(VALU_DEP_1)
	v_mov_b32_e32 v54, v52
	scratch_load_b64 v[52:53], v54, off offset:-8
	s_wait_loadcnt 0x0
	scratch_store_b64 off, v[52:53], off
	scratch_store_b64 v54, v[0:1], off offset:-8
	scratch_load_b64 v[0:1], off, off
.LBB24_212:
	v_lshl_add_u64 v[52:53], v[4:5], 3, s[4:5]
	v_lshl_add_u64 v[54:55], v[8:9], 3, s[4:5]
	;; [unrolled: 1-line block ×4, first 2 shown]
	s_clause 0xb
	scratch_load_b128 v[48:51], off, off offset:8
	scratch_load_b128 v[56:59], off, off offset:24
	scratch_load_b128 v[60:63], off, off offset:40
	scratch_load_b128 v[64:67], off, off offset:56
	scratch_load_b128 v[68:71], off, off offset:72
	scratch_load_b128 v[72:75], off, off offset:88
	scratch_load_b128 v[76:79], off, off offset:104
	scratch_load_b128 v[80:83], off, off offset:120
	scratch_load_b128 v[84:87], off, off offset:136
	scratch_load_b128 v[88:91], off, off offset:152
	scratch_load_b128 v[92:95], off, off offset:168
	scratch_load_b128 v[96:99], off, off offset:184
	v_lshl_add_u64 v[10:11], v[10:11], 3, s[4:5]
	v_lshl_add_u64 v[12:13], v[12:13], 3, s[4:5]
	;; [unrolled: 1-line block ×19, first 2 shown]
	s_wait_loadcnt 0xc
	global_store_b64 v[2:3], v[0:1], off
	s_wait_loadcnt 0xb
	s_clause 0x1
	global_store_b64 v[6:7], v[48:49], off
	global_store_b64 v[52:53], v[50:51], off
	s_wait_loadcnt 0xa
	s_clause 0x1
	global_store_b64 v[54:55], v[56:57], off
	;; [unrolled: 4-line block ×12, first 2 shown]
	global_store_b64 v[8:9], v[98:99], off
	s_sendmsg sendmsg(MSG_DEALLOC_VGPRS)
	s_endpgm
	.section	.rodata,"a",@progbits
	.p2align	6, 0x0
	.amdhsa_kernel _ZN9rocsolver6v33100L18getri_kernel_smallILi25E19rocblas_complex_numIfEPS3_EEvT1_iilPiilS6_bb
		.amdhsa_group_segment_fixed_size 408
		.amdhsa_private_segment_fixed_size 208
		.amdhsa_kernarg_size 60
		.amdhsa_user_sgpr_count 2
		.amdhsa_user_sgpr_dispatch_ptr 0
		.amdhsa_user_sgpr_queue_ptr 0
		.amdhsa_user_sgpr_kernarg_segment_ptr 1
		.amdhsa_user_sgpr_dispatch_id 0
		.amdhsa_user_sgpr_kernarg_preload_length 0
		.amdhsa_user_sgpr_kernarg_preload_offset 0
		.amdhsa_user_sgpr_private_segment_size 0
		.amdhsa_wavefront_size32 1
		.amdhsa_uses_dynamic_stack 0
		.amdhsa_enable_private_segment 1
		.amdhsa_system_sgpr_workgroup_id_x 1
		.amdhsa_system_sgpr_workgroup_id_y 0
		.amdhsa_system_sgpr_workgroup_id_z 0
		.amdhsa_system_sgpr_workgroup_info 0
		.amdhsa_system_vgpr_workitem_id 0
		.amdhsa_next_free_vgpr 172
		.amdhsa_next_free_sgpr 19
		.amdhsa_named_barrier_count 0
		.amdhsa_reserve_vcc 1
		.amdhsa_float_round_mode_32 0
		.amdhsa_float_round_mode_16_64 0
		.amdhsa_float_denorm_mode_32 3
		.amdhsa_float_denorm_mode_16_64 3
		.amdhsa_fp16_overflow 0
		.amdhsa_memory_ordered 1
		.amdhsa_forward_progress 1
		.amdhsa_inst_pref_size 238
		.amdhsa_round_robin_scheduling 0
		.amdhsa_exception_fp_ieee_invalid_op 0
		.amdhsa_exception_fp_denorm_src 0
		.amdhsa_exception_fp_ieee_div_zero 0
		.amdhsa_exception_fp_ieee_overflow 0
		.amdhsa_exception_fp_ieee_underflow 0
		.amdhsa_exception_fp_ieee_inexact 0
		.amdhsa_exception_int_div_zero 0
	.end_amdhsa_kernel
	.section	.text._ZN9rocsolver6v33100L18getri_kernel_smallILi25E19rocblas_complex_numIfEPS3_EEvT1_iilPiilS6_bb,"axG",@progbits,_ZN9rocsolver6v33100L18getri_kernel_smallILi25E19rocblas_complex_numIfEPS3_EEvT1_iilPiilS6_bb,comdat
.Lfunc_end24:
	.size	_ZN9rocsolver6v33100L18getri_kernel_smallILi25E19rocblas_complex_numIfEPS3_EEvT1_iilPiilS6_bb, .Lfunc_end24-_ZN9rocsolver6v33100L18getri_kernel_smallILi25E19rocblas_complex_numIfEPS3_EEvT1_iilPiilS6_bb
                                        ; -- End function
	.set _ZN9rocsolver6v33100L18getri_kernel_smallILi25E19rocblas_complex_numIfEPS3_EEvT1_iilPiilS6_bb.num_vgpr, 172
	.set _ZN9rocsolver6v33100L18getri_kernel_smallILi25E19rocblas_complex_numIfEPS3_EEvT1_iilPiilS6_bb.num_agpr, 0
	.set _ZN9rocsolver6v33100L18getri_kernel_smallILi25E19rocblas_complex_numIfEPS3_EEvT1_iilPiilS6_bb.numbered_sgpr, 19
	.set _ZN9rocsolver6v33100L18getri_kernel_smallILi25E19rocblas_complex_numIfEPS3_EEvT1_iilPiilS6_bb.num_named_barrier, 0
	.set _ZN9rocsolver6v33100L18getri_kernel_smallILi25E19rocblas_complex_numIfEPS3_EEvT1_iilPiilS6_bb.private_seg_size, 208
	.set _ZN9rocsolver6v33100L18getri_kernel_smallILi25E19rocblas_complex_numIfEPS3_EEvT1_iilPiilS6_bb.uses_vcc, 1
	.set _ZN9rocsolver6v33100L18getri_kernel_smallILi25E19rocblas_complex_numIfEPS3_EEvT1_iilPiilS6_bb.uses_flat_scratch, 1
	.set _ZN9rocsolver6v33100L18getri_kernel_smallILi25E19rocblas_complex_numIfEPS3_EEvT1_iilPiilS6_bb.has_dyn_sized_stack, 0
	.set _ZN9rocsolver6v33100L18getri_kernel_smallILi25E19rocblas_complex_numIfEPS3_EEvT1_iilPiilS6_bb.has_recursion, 0
	.set _ZN9rocsolver6v33100L18getri_kernel_smallILi25E19rocblas_complex_numIfEPS3_EEvT1_iilPiilS6_bb.has_indirect_call, 0
	.section	.AMDGPU.csdata,"",@progbits
; Kernel info:
; codeLenInByte = 30432
; TotalNumSgprs: 21
; NumVgprs: 172
; ScratchSize: 208
; MemoryBound: 0
; FloatMode: 240
; IeeeMode: 1
; LDSByteSize: 408 bytes/workgroup (compile time only)
; SGPRBlocks: 0
; VGPRBlocks: 10
; NumSGPRsForWavesPerEU: 21
; NumVGPRsForWavesPerEU: 172
; NamedBarCnt: 0
; Occupancy: 5
; WaveLimiterHint : 1
; COMPUTE_PGM_RSRC2:SCRATCH_EN: 1
; COMPUTE_PGM_RSRC2:USER_SGPR: 2
; COMPUTE_PGM_RSRC2:TRAP_HANDLER: 0
; COMPUTE_PGM_RSRC2:TGID_X_EN: 1
; COMPUTE_PGM_RSRC2:TGID_Y_EN: 0
; COMPUTE_PGM_RSRC2:TGID_Z_EN: 0
; COMPUTE_PGM_RSRC2:TIDIG_COMP_CNT: 0
	.section	.text._ZN9rocsolver6v33100L18getri_kernel_smallILi26E19rocblas_complex_numIfEPS3_EEvT1_iilPiilS6_bb,"axG",@progbits,_ZN9rocsolver6v33100L18getri_kernel_smallILi26E19rocblas_complex_numIfEPS3_EEvT1_iilPiilS6_bb,comdat
	.globl	_ZN9rocsolver6v33100L18getri_kernel_smallILi26E19rocblas_complex_numIfEPS3_EEvT1_iilPiilS6_bb ; -- Begin function _ZN9rocsolver6v33100L18getri_kernel_smallILi26E19rocblas_complex_numIfEPS3_EEvT1_iilPiilS6_bb
	.p2align	8
	.type	_ZN9rocsolver6v33100L18getri_kernel_smallILi26E19rocblas_complex_numIfEPS3_EEvT1_iilPiilS6_bb,@function
_ZN9rocsolver6v33100L18getri_kernel_smallILi26E19rocblas_complex_numIfEPS3_EEvT1_iilPiilS6_bb: ; @_ZN9rocsolver6v33100L18getri_kernel_smallILi26E19rocblas_complex_numIfEPS3_EEvT1_iilPiilS6_bb
; %bb.0:
	s_mov_b32 s2, exec_lo
	v_cmpx_gt_u32_e32 26, v0
	s_cbranch_execz .LBB25_118
; %bb.1:
	s_clause 0x2
	s_load_b32 s2, s[0:1], 0x38
	s_load_b128 s[12:15], s[0:1], 0x10
	s_load_b128 s[4:7], s[0:1], 0x28
	s_getreg_b32 s9, hwreg(HW_REG_IB_STS2, 6, 4)
	s_wait_kmcnt 0x0
	s_bitcmp1_b32 s2, 8
	s_cselect_b32 s18, -1, 0
	s_bfe_u32 s3, ttmp6, 0x4000c
	s_and_b32 s8, ttmp6, 15
	s_add_co_i32 s3, s3, 1
	s_delay_alu instid0(SALU_CYCLE_1) | instskip(NEXT) | instid1(SALU_CYCLE_1)
	s_mul_i32 s3, ttmp9, s3
	s_add_co_i32 s8, s8, s3
	s_cmp_eq_u32 s9, 0
	s_cselect_b32 s16, ttmp9, s8
	s_bfe_u32 s2, s2, 0x10008
	s_ashr_i32 s17, s16, 31
	s_cmp_eq_u32 s2, 0
                                        ; implicit-def: $sgpr2_sgpr3
	s_cbranch_scc1 .LBB25_3
; %bb.2:
	s_load_b32 s2, s[0:1], 0x20
	s_mul_u64 s[4:5], s[4:5], s[16:17]
	s_delay_alu instid0(SALU_CYCLE_1) | instskip(NEXT) | instid1(SALU_CYCLE_1)
	s_lshl_b64 s[4:5], s[4:5], 2
	s_add_nc_u64 s[4:5], s[14:15], s[4:5]
	s_wait_kmcnt 0x0
	s_ashr_i32 s3, s2, 31
	s_delay_alu instid0(SALU_CYCLE_1) | instskip(NEXT) | instid1(SALU_CYCLE_1)
	s_lshl_b64 s[2:3], s[2:3], 2
	s_add_nc_u64 s[2:3], s[4:5], s[2:3]
.LBB25_3:
	s_clause 0x1
	s_load_b128 s[8:11], s[0:1], 0x0
	s_load_b32 s14, s[0:1], 0x38
	s_wait_xcnt 0x0
	s_mul_u64 s[0:1], s[12:13], s[16:17]
	v_lshlrev_b32_e32 v54, 3, v0
	s_lshl_b64 s[0:1], s[0:1], 3
	v_mov_b32_e32 v55, 0
	s_wait_kmcnt 0x0
	v_add3_u32 v4, s11, s11, v0
	s_ashr_i32 s5, s10, 31
	s_mov_b32 s4, s10
	s_add_nc_u64 s[0:1], s[8:9], s[0:1]
	s_lshl_b64 s[4:5], s[4:5], 3
	v_add_nc_u32_e32 v6, s11, v4
	s_add_nc_u64 s[4:5], s[0:1], s[4:5]
	s_ashr_i32 s1, s11, 31
	s_mov_b32 s0, s11
	s_bitcmp0_b32 s14, 0
	v_add_nc_u32_e32 v10, s11, v6
	v_add_nc_u64_e32 v[2:3], s[4:5], v[54:55]
	s_delay_alu instid0(VALU_DEP_2) | instskip(NEXT) | instid1(VALU_DEP_2)
	v_add_nc_u32_e32 v12, s11, v10
	v_lshl_add_u64 v[8:9], s[0:1], 3, v[2:3]
	s_mov_b32 s1, -1
	s_delay_alu instid0(VALU_DEP_2)
	v_add_nc_u32_e32 v14, s11, v12
	s_clause 0x5
	global_load_b64 v[56:57], v0, s[4:5] scale_offset
	global_load_b64 v[58:59], v[8:9], off
	global_load_b64 v[60:61], v4, s[4:5] scale_offset
	global_load_b64 v[62:63], v6, s[4:5] scale_offset
	;; [unrolled: 1-line block ×4, first 2 shown]
	v_add_nc_u32_e32 v16, s11, v14
	s_delay_alu instid0(VALU_DEP_1) | instskip(NEXT) | instid1(VALU_DEP_1)
	v_add_nc_u32_e32 v18, s11, v16
	v_add_nc_u32_e32 v20, s11, v18
	s_delay_alu instid0(VALU_DEP_1) | instskip(NEXT) | instid1(VALU_DEP_1)
	v_add_nc_u32_e32 v22, s11, v20
	v_add_nc_u32_e32 v24, s11, v22
	s_delay_alu instid0(VALU_DEP_1)
	v_add_nc_u32_e32 v26, s11, v24
	s_clause 0x3
	global_load_b64 v[68:69], v14, s[4:5] scale_offset
	global_load_b64 v[70:71], v16, s[4:5] scale_offset
	;; [unrolled: 1-line block ×4, first 2 shown]
	v_add_nc_u32_e32 v28, s11, v26
	s_clause 0x3
	global_load_b64 v[76:77], v22, s[4:5] scale_offset
	global_load_b64 v[78:79], v24, s[4:5] scale_offset
	;; [unrolled: 1-line block ×4, first 2 shown]
	v_add_nc_u32_e32 v30, s11, v28
	s_delay_alu instid0(VALU_DEP_1) | instskip(NEXT) | instid1(VALU_DEP_1)
	v_add_nc_u32_e32 v32, s11, v30
	v_add_nc_u32_e32 v34, s11, v32
	s_delay_alu instid0(VALU_DEP_1) | instskip(NEXT) | instid1(VALU_DEP_1)
	v_add_nc_u32_e32 v36, s11, v34
	;; [unrolled: 3-line block ×3, first 2 shown]
	v_add_nc_u32_e32 v42, s11, v40
	s_clause 0x3
	global_load_b64 v[84:85], v30, s[4:5] scale_offset
	global_load_b64 v[86:87], v32, s[4:5] scale_offset
	;; [unrolled: 1-line block ×4, first 2 shown]
	v_add_nc_u32_e32 v44, s11, v42
	s_delay_alu instid0(VALU_DEP_1) | instskip(NEXT) | instid1(VALU_DEP_1)
	v_add_nc_u32_e32 v46, s11, v44
	v_add_nc_u32_e32 v48, s11, v46
	s_delay_alu instid0(VALU_DEP_1)
	v_add_nc_u32_e32 v50, s11, v48
	s_clause 0x3
	global_load_b64 v[92:93], v38, s[4:5] scale_offset
	global_load_b64 v[94:95], v40, s[4:5] scale_offset
	;; [unrolled: 1-line block ×4, first 2 shown]
	v_add_nc_u32_e32 v52, s11, v50
	s_clause 0x3
	global_load_b64 v[100:101], v46, s[4:5] scale_offset
	global_load_b64 v[102:103], v48, s[4:5] scale_offset
	;; [unrolled: 1-line block ×4, first 2 shown]
	s_wait_loadcnt 0x18
	scratch_store_b128 off, v[56:59], off
	s_wait_loadcnt 0x16
	scratch_store_b128 off, v[60:63], off offset:16
	s_wait_loadcnt 0x14
	scratch_store_b128 off, v[64:67], off offset:32
	;; [unrolled: 2-line block ×12, first 2 shown]
	s_cbranch_scc1 .LBB25_116
; %bb.4:
	v_cmp_eq_u32_e64 s0, 0, v0
	s_wait_xcnt 0x0
	s_and_saveexec_b32 s1, s0
; %bb.5:
	v_mov_b32_e32 v1, 0
	ds_store_b32 v1, v1 offset:416
; %bb.6:
	s_or_b32 exec_lo, exec_lo, s1
	s_wait_storecnt_dscnt 0x0
	s_barrier_signal -1
	s_barrier_wait -1
	scratch_load_b64 v[56:57], v0, off scale_offset
	s_wait_loadcnt 0x0
	v_cmp_eq_f32_e32 vcc_lo, 0, v56
	v_cmp_eq_f32_e64 s1, 0, v57
	s_and_b32 s1, vcc_lo, s1
	s_delay_alu instid0(SALU_CYCLE_1)
	s_and_saveexec_b32 s8, s1
	s_cbranch_execz .LBB25_10
; %bb.7:
	v_mov_b32_e32 v1, 0
	s_mov_b32 s9, 0
	ds_load_b32 v5, v1 offset:416
	s_wait_dscnt 0x0
	v_readfirstlane_b32 s1, v5
	v_add_nc_u32_e32 v5, 1, v0
	s_cmp_eq_u32 s1, 0
	s_delay_alu instid0(VALU_DEP_1) | instskip(SKIP_1) | instid1(SALU_CYCLE_1)
	v_cmp_gt_i32_e32 vcc_lo, s1, v5
	s_cselect_b32 s10, -1, 0
	s_or_b32 s10, s10, vcc_lo
	s_delay_alu instid0(SALU_CYCLE_1)
	s_and_b32 exec_lo, exec_lo, s10
	s_cbranch_execz .LBB25_10
; %bb.8:
	v_mov_b32_e32 v7, s1
.LBB25_9:                               ; =>This Inner Loop Header: Depth=1
	ds_cmpstore_rtn_b32 v7, v1, v5, v7 offset:416
	s_wait_dscnt 0x0
	v_cmp_ne_u32_e32 vcc_lo, 0, v7
	v_cmp_le_i32_e64 s1, v7, v5
	s_and_b32 s1, vcc_lo, s1
	s_delay_alu instid0(SALU_CYCLE_1) | instskip(NEXT) | instid1(SALU_CYCLE_1)
	s_and_b32 s1, exec_lo, s1
	s_or_b32 s9, s1, s9
	s_delay_alu instid0(SALU_CYCLE_1)
	s_and_not1_b32 exec_lo, exec_lo, s9
	s_cbranch_execnz .LBB25_9
.LBB25_10:
	s_or_b32 exec_lo, exec_lo, s8
	v_mov_b32_e32 v1, 0
	s_barrier_signal -1
	s_barrier_wait -1
	ds_load_b32 v5, v1 offset:416
	s_and_saveexec_b32 s1, s0
	s_cbranch_execz .LBB25_12
; %bb.11:
	s_lshl_b64 s[8:9], s[16:17], 2
	s_delay_alu instid0(SALU_CYCLE_1)
	s_add_nc_u64 s[8:9], s[6:7], s[8:9]
	s_wait_dscnt 0x0
	global_store_b32 v1, v5, s[8:9]
.LBB25_12:
	s_wait_xcnt 0x0
	s_or_b32 exec_lo, exec_lo, s1
	s_wait_dscnt 0x0
	v_cmp_ne_u32_e32 vcc_lo, 0, v5
	s_mov_b32 s1, 0
	s_cbranch_vccnz .LBB25_116
; %bb.13:
	v_lshl_add_u32 v5, v0, 3, 0
                                        ; implicit-def: $vgpr59
                                        ; implicit-def: $vgpr60
	scratch_load_b64 v[56:57], v5, off
	s_wait_loadcnt 0x0
	v_cmp_ngt_f32_e64 s1, |v56|, |v57|
	s_wait_xcnt 0x0
	s_and_saveexec_b32 s8, s1
	s_delay_alu instid0(SALU_CYCLE_1)
	s_xor_b32 s1, exec_lo, s8
	s_cbranch_execz .LBB25_15
; %bb.14:
	v_div_scale_f32 v1, null, v57, v57, v56
	v_div_scale_f32 v13, vcc_lo, v56, v57, v56
	s_delay_alu instid0(VALU_DEP_2) | instskip(SKIP_1) | instid1(TRANS32_DEP_1)
	v_rcp_f32_e32 v7, v1
	v_nop
	v_fma_f32 v11, -v1, v7, 1.0
	s_delay_alu instid0(VALU_DEP_1) | instskip(NEXT) | instid1(VALU_DEP_1)
	v_fmac_f32_e32 v7, v11, v7
	v_mul_f32_e32 v11, v13, v7
	s_delay_alu instid0(VALU_DEP_1) | instskip(NEXT) | instid1(VALU_DEP_1)
	v_fma_f32 v15, -v1, v11, v13
	v_fmac_f32_e32 v11, v15, v7
	s_delay_alu instid0(VALU_DEP_1) | instskip(NEXT) | instid1(VALU_DEP_1)
	v_fma_f32 v1, -v1, v11, v13
	v_div_fmas_f32 v1, v1, v7, v11
	s_delay_alu instid0(VALU_DEP_1) | instskip(NEXT) | instid1(VALU_DEP_1)
	v_div_fixup_f32 v1, v1, v57, v56
	v_fmac_f32_e32 v57, v56, v1
	s_delay_alu instid0(VALU_DEP_1) | instskip(NEXT) | instid1(VALU_DEP_1)
	v_div_scale_f32 v7, null, v57, v57, -1.0
	v_rcp_f32_e32 v11, v7
	v_nop
	s_delay_alu instid0(TRANS32_DEP_1) | instskip(NEXT) | instid1(VALU_DEP_1)
	v_fma_f32 v13, -v7, v11, 1.0
	v_fmac_f32_e32 v11, v13, v11
	v_div_scale_f32 v13, vcc_lo, -1.0, v57, -1.0
	s_delay_alu instid0(VALU_DEP_1) | instskip(NEXT) | instid1(VALU_DEP_1)
	v_mul_f32_e32 v15, v13, v11
	v_fma_f32 v17, -v7, v15, v13
	s_delay_alu instid0(VALU_DEP_1) | instskip(NEXT) | instid1(VALU_DEP_1)
	v_fmac_f32_e32 v15, v17, v11
	v_fma_f32 v7, -v7, v15, v13
	s_delay_alu instid0(VALU_DEP_1) | instskip(NEXT) | instid1(VALU_DEP_1)
	v_div_fmas_f32 v7, v7, v11, v15
	v_div_fixup_f32 v59, v7, v57, -1.0
                                        ; implicit-def: $vgpr56_vgpr57
	s_delay_alu instid0(VALU_DEP_1) | instskip(NEXT) | instid1(VALU_DEP_1)
	v_mul_f32_e32 v60, v1, v59
	v_xor_b32_e32 v58, 0x80000000, v60
.LBB25_15:
	s_and_not1_saveexec_b32 s1, s1
	s_cbranch_execz .LBB25_17
; %bb.16:
	v_div_scale_f32 v1, null, v56, v56, v57
	v_div_scale_f32 v13, vcc_lo, v57, v56, v57
	s_delay_alu instid0(VALU_DEP_2) | instskip(SKIP_1) | instid1(TRANS32_DEP_1)
	v_rcp_f32_e32 v7, v1
	v_nop
	v_fma_f32 v11, -v1, v7, 1.0
	s_delay_alu instid0(VALU_DEP_1) | instskip(NEXT) | instid1(VALU_DEP_1)
	v_fmac_f32_e32 v7, v11, v7
	v_mul_f32_e32 v11, v13, v7
	s_delay_alu instid0(VALU_DEP_1) | instskip(NEXT) | instid1(VALU_DEP_1)
	v_fma_f32 v15, -v1, v11, v13
	v_fmac_f32_e32 v11, v15, v7
	s_delay_alu instid0(VALU_DEP_1) | instskip(NEXT) | instid1(VALU_DEP_1)
	v_fma_f32 v1, -v1, v11, v13
	v_div_fmas_f32 v1, v1, v7, v11
	s_delay_alu instid0(VALU_DEP_1) | instskip(NEXT) | instid1(VALU_DEP_1)
	v_div_fixup_f32 v1, v1, v56, v57
	v_fmac_f32_e32 v56, v57, v1
	s_delay_alu instid0(VALU_DEP_1) | instskip(SKIP_1) | instid1(VALU_DEP_2)
	v_div_scale_f32 v7, null, v56, v56, 1.0
	v_div_scale_f32 v15, vcc_lo, 1.0, v56, 1.0
	v_rcp_f32_e32 v11, v7
	v_nop
	s_delay_alu instid0(TRANS32_DEP_1) | instskip(NEXT) | instid1(VALU_DEP_1)
	v_fma_f32 v13, -v7, v11, 1.0
	v_fmac_f32_e32 v11, v13, v11
	s_delay_alu instid0(VALU_DEP_1) | instskip(NEXT) | instid1(VALU_DEP_1)
	v_mul_f32_e32 v13, v15, v11
	v_fma_f32 v17, -v7, v13, v15
	s_delay_alu instid0(VALU_DEP_1) | instskip(NEXT) | instid1(VALU_DEP_1)
	v_fmac_f32_e32 v13, v17, v11
	v_fma_f32 v7, -v7, v13, v15
	s_delay_alu instid0(VALU_DEP_1) | instskip(NEXT) | instid1(VALU_DEP_1)
	v_div_fmas_f32 v7, v7, v11, v13
	v_div_fixup_f32 v58, v7, v56, 1.0
	s_delay_alu instid0(VALU_DEP_1)
	v_xor_b32_e32 v60, 0x80000000, v58
	v_mul_f32_e64 v59, v1, -v58
.LBB25_17:
	s_or_b32 exec_lo, exec_lo, s1
	scratch_store_b64 v5, v[58:59], off
	scratch_load_b64 v[56:57], off, off offset:8
	v_xor_b32_e32 v61, 0x80000000, v59
	v_add_nc_u32_e32 v1, 0xd0, v54
	s_wait_loadcnt 0x0
	ds_store_2addr_b64 v54, v[60:61], v[56:57] offset1:26
	s_wait_storecnt_dscnt 0x0
	s_barrier_signal -1
	s_barrier_wait -1
	s_wait_xcnt 0x0
	s_and_saveexec_b32 s1, s0
	s_cbranch_execz .LBB25_19
; %bb.18:
	scratch_load_b64 v[56:57], v5, off
	ds_load_b64 v[58:59], v1
	s_wait_loadcnt_dscnt 0x0
	v_pk_mul_f32 v[62:63], v[58:59], v[56:57] op_sel:[1,1] op_sel_hi:[0,1]
	s_delay_alu instid0(VALU_DEP_1) | instskip(SKIP_2) | instid1(VALU_DEP_3)
	v_pk_fma_f32 v[64:65], v[58:59], v[56:57], v[62:63] op_sel_hi:[1,0,1]
	v_mov_b32_e32 v7, 0
	v_pk_fma_f32 v[56:57], v[58:59], v[56:57], v[62:63] neg_lo:[0,0,1] neg_hi:[0,0,1]
	v_mov_b32_e32 v57, v65
	ds_load_b64 v[60:61], v7 offset:8
	v_pk_add_f32 v[56:57], v[56:57], 0 op_sel_hi:[1,0]
	s_wait_dscnt 0x0
	s_delay_alu instid0(VALU_DEP_1) | instskip(NEXT) | instid1(VALU_DEP_1)
	v_pk_mul_f32 v[58:59], v[56:57], v[60:61] op_sel:[1,1] op_sel_hi:[0,1]
	v_pk_fma_f32 v[62:63], v[56:57], v[60:61], v[58:59] op_sel_hi:[1,0,1]
	v_pk_fma_f32 v[56:57], v[56:57], v[60:61], v[58:59] neg_lo:[0,0,1] neg_hi:[0,0,1]
	s_delay_alu instid0(VALU_DEP_2)
	v_mov_b32_e32 v57, v63
	scratch_store_b64 off, v[56:57], off offset:8
.LBB25_19:
	s_wait_xcnt 0x0
	s_or_b32 exec_lo, exec_lo, s1
	s_wait_storecnt 0x0
	s_barrier_signal -1
	s_barrier_wait -1
	scratch_load_b64 v[56:57], off, off offset:16
	s_mov_b32 s1, exec_lo
	s_wait_loadcnt 0x0
	ds_store_b64 v1, v[56:57]
	s_wait_dscnt 0x0
	s_barrier_signal -1
	s_barrier_wait -1
	v_cmpx_gt_u32_e32 2, v0
	s_cbranch_execz .LBB25_23
; %bb.20:
	scratch_load_b64 v[56:57], v5, off
	ds_load_b64 v[58:59], v1
	s_wait_loadcnt_dscnt 0x0
	v_pk_mul_f32 v[60:61], v[58:59], v[56:57] op_sel:[1,1] op_sel_hi:[0,1]
	s_delay_alu instid0(VALU_DEP_1) | instskip(SKIP_1) | instid1(VALU_DEP_2)
	v_pk_fma_f32 v[62:63], v[58:59], v[56:57], v[60:61] op_sel_hi:[1,0,1]
	v_pk_fma_f32 v[56:57], v[58:59], v[56:57], v[60:61] neg_lo:[0,0,1] neg_hi:[0,0,1]
	v_mov_b32_e32 v57, v63
	s_delay_alu instid0(VALU_DEP_1)
	v_pk_add_f32 v[56:57], v[56:57], 0 op_sel_hi:[1,0]
	s_and_saveexec_b32 s8, s0
	s_cbranch_execz .LBB25_22
; %bb.21:
	scratch_load_b64 v[58:59], off, off offset:8
	v_mov_b32_e32 v5, 0
	ds_load_b64 v[60:61], v5 offset:216
	s_wait_loadcnt_dscnt 0x0
	v_pk_mul_f32 v[62:63], v[60:61], v[58:59] op_sel:[1,1] op_sel_hi:[0,1]
	s_delay_alu instid0(VALU_DEP_1) | instskip(SKIP_1) | instid1(VALU_DEP_2)
	v_pk_fma_f32 v[64:65], v[60:61], v[58:59], v[62:63] op_sel_hi:[1,0,1]
	v_pk_fma_f32 v[58:59], v[60:61], v[58:59], v[62:63] neg_lo:[0,0,1] neg_hi:[0,0,1]
	v_mov_b32_e32 v59, v65
	s_delay_alu instid0(VALU_DEP_1)
	v_pk_add_f32 v[56:57], v[56:57], v[58:59]
.LBB25_22:
	s_or_b32 exec_lo, exec_lo, s8
	v_mov_b32_e32 v5, 0
	ds_load_b64 v[58:59], v5 offset:16
	s_wait_dscnt 0x0
	v_pk_mul_f32 v[60:61], v[56:57], v[58:59] op_sel:[1,1] op_sel_hi:[0,1]
	s_delay_alu instid0(VALU_DEP_1) | instskip(SKIP_1) | instid1(VALU_DEP_2)
	v_pk_fma_f32 v[62:63], v[56:57], v[58:59], v[60:61] op_sel_hi:[1,0,1]
	v_pk_fma_f32 v[56:57], v[56:57], v[58:59], v[60:61] neg_lo:[0,0,1] neg_hi:[0,0,1]
	v_mov_b32_e32 v57, v63
	scratch_store_b64 off, v[56:57], off offset:16
.LBB25_23:
	s_wait_xcnt 0x0
	s_or_b32 exec_lo, exec_lo, s1
	s_wait_storecnt 0x0
	s_barrier_signal -1
	s_barrier_wait -1
	scratch_load_b64 v[56:57], off, off offset:24
	v_add_nc_u32_e32 v5, -1, v0
	s_mov_b32 s0, exec_lo
	s_wait_loadcnt 0x0
	ds_store_b64 v1, v[56:57]
	s_wait_dscnt 0x0
	s_barrier_signal -1
	s_barrier_wait -1
	v_cmpx_gt_u32_e32 3, v0
	s_cbranch_execz .LBB25_27
; %bb.24:
	v_dual_mov_b32 v56, 0 :: v_dual_add_nc_u32 v7, -1, v0
	v_add_nc_u32_e32 v11, 0xd0, v54
	v_mov_b32_e32 v13, v54
	s_mov_b32 s1, 0
	s_delay_alu instid0(VALU_DEP_3)
	v_mov_b32_e32 v57, v56
.LBB25_25:                              ; =>This Inner Loop Header: Depth=1
	scratch_load_b64 v[58:59], v13, off
	ds_load_b64 v[60:61], v11
	s_wait_xcnt 0x0
	v_dual_add_nc_u32 v11, 8, v11 :: v_dual_add_nc_u32 v13, 8, v13
	s_wait_loadcnt_dscnt 0x0
	v_pk_mul_f32 v[62:63], v[60:61], v[58:59] op_sel:[1,1] op_sel_hi:[0,1]
	s_delay_alu instid0(VALU_DEP_1) | instskip(SKIP_2) | instid1(VALU_DEP_3)
	v_pk_fma_f32 v[64:65], v[60:61], v[58:59], v[62:63] op_sel_hi:[1,0,1]
	v_add_nc_u32_e32 v7, 1, v7
	v_pk_fma_f32 v[58:59], v[60:61], v[58:59], v[62:63] neg_lo:[0,0,1] neg_hi:[0,0,1]
	v_mov_b32_e32 v59, v65
	s_delay_alu instid0(VALU_DEP_3) | instskip(NEXT) | instid1(VALU_DEP_2)
	v_cmp_lt_u32_e32 vcc_lo, 1, v7
	v_pk_add_f32 v[56:57], v[56:57], v[58:59]
	s_or_b32 s1, vcc_lo, s1
	s_delay_alu instid0(SALU_CYCLE_1)
	s_and_not1_b32 exec_lo, exec_lo, s1
	s_cbranch_execnz .LBB25_25
; %bb.26:
	s_or_b32 exec_lo, exec_lo, s1
	v_mov_b32_e32 v7, 0
	ds_load_b64 v[58:59], v7 offset:24
	s_wait_dscnt 0x0
	v_pk_mul_f32 v[60:61], v[56:57], v[58:59] op_sel:[1,1] op_sel_hi:[0,1]
	s_delay_alu instid0(VALU_DEP_1) | instskip(SKIP_1) | instid1(VALU_DEP_2)
	v_pk_fma_f32 v[62:63], v[56:57], v[58:59], v[60:61] op_sel_hi:[1,0,1]
	v_pk_fma_f32 v[56:57], v[56:57], v[58:59], v[60:61] neg_lo:[0,0,1] neg_hi:[0,0,1]
	v_mov_b32_e32 v57, v63
	scratch_store_b64 off, v[56:57], off offset:24
.LBB25_27:
	s_wait_xcnt 0x0
	s_or_b32 exec_lo, exec_lo, s0
	s_wait_storecnt 0x0
	s_barrier_signal -1
	s_barrier_wait -1
	scratch_load_b64 v[56:57], off, off offset:32
	s_mov_b32 s0, exec_lo
	s_wait_loadcnt 0x0
	ds_store_b64 v1, v[56:57]
	s_wait_dscnt 0x0
	s_barrier_signal -1
	s_barrier_wait -1
	v_cmpx_gt_u32_e32 4, v0
	s_cbranch_execz .LBB25_31
; %bb.28:
	v_dual_mov_b32 v56, 0 :: v_dual_add_nc_u32 v7, -1, v0
	v_add_nc_u32_e32 v11, 0xd0, v54
	v_mov_b32_e32 v13, v54
	s_mov_b32 s1, 0
	s_delay_alu instid0(VALU_DEP_3)
	v_mov_b32_e32 v57, v56
.LBB25_29:                              ; =>This Inner Loop Header: Depth=1
	scratch_load_b64 v[58:59], v13, off
	ds_load_b64 v[60:61], v11
	s_wait_xcnt 0x0
	v_dual_add_nc_u32 v11, 8, v11 :: v_dual_add_nc_u32 v13, 8, v13
	s_wait_loadcnt_dscnt 0x0
	v_pk_mul_f32 v[62:63], v[60:61], v[58:59] op_sel:[1,1] op_sel_hi:[0,1]
	s_delay_alu instid0(VALU_DEP_1) | instskip(SKIP_2) | instid1(VALU_DEP_3)
	v_pk_fma_f32 v[64:65], v[60:61], v[58:59], v[62:63] op_sel_hi:[1,0,1]
	v_add_nc_u32_e32 v7, 1, v7
	v_pk_fma_f32 v[58:59], v[60:61], v[58:59], v[62:63] neg_lo:[0,0,1] neg_hi:[0,0,1]
	v_mov_b32_e32 v59, v65
	s_delay_alu instid0(VALU_DEP_3) | instskip(NEXT) | instid1(VALU_DEP_2)
	v_cmp_lt_u32_e32 vcc_lo, 2, v7
	v_pk_add_f32 v[56:57], v[56:57], v[58:59]
	s_or_b32 s1, vcc_lo, s1
	s_delay_alu instid0(SALU_CYCLE_1)
	s_and_not1_b32 exec_lo, exec_lo, s1
	s_cbranch_execnz .LBB25_29
; %bb.30:
	s_or_b32 exec_lo, exec_lo, s1
	v_mov_b32_e32 v7, 0
	ds_load_b64 v[58:59], v7 offset:32
	s_wait_dscnt 0x0
	v_pk_mul_f32 v[60:61], v[56:57], v[58:59] op_sel:[1,1] op_sel_hi:[0,1]
	s_delay_alu instid0(VALU_DEP_1) | instskip(SKIP_1) | instid1(VALU_DEP_2)
	v_pk_fma_f32 v[62:63], v[56:57], v[58:59], v[60:61] op_sel_hi:[1,0,1]
	v_pk_fma_f32 v[56:57], v[56:57], v[58:59], v[60:61] neg_lo:[0,0,1] neg_hi:[0,0,1]
	v_mov_b32_e32 v57, v63
	scratch_store_b64 off, v[56:57], off offset:32
.LBB25_31:
	s_wait_xcnt 0x0
	s_or_b32 exec_lo, exec_lo, s0
	s_wait_storecnt 0x0
	s_barrier_signal -1
	s_barrier_wait -1
	scratch_load_b64 v[56:57], off, off offset:40
	;; [unrolled: 52-line block ×19, first 2 shown]
	s_mov_b32 s0, exec_lo
	s_wait_loadcnt 0x0
	ds_store_b64 v1, v[56:57]
	s_wait_dscnt 0x0
	s_barrier_signal -1
	s_barrier_wait -1
	v_cmpx_gt_u32_e32 22, v0
	s_cbranch_execz .LBB25_103
; %bb.100:
	v_dual_mov_b32 v56, 0 :: v_dual_add_nc_u32 v7, -1, v0
	v_add_nc_u32_e32 v11, 0xd0, v54
	v_mov_b32_e32 v13, v54
	s_mov_b32 s1, 0
	s_delay_alu instid0(VALU_DEP_3)
	v_mov_b32_e32 v57, v56
.LBB25_101:                             ; =>This Inner Loop Header: Depth=1
	scratch_load_b64 v[58:59], v13, off
	ds_load_b64 v[60:61], v11
	s_wait_xcnt 0x0
	v_dual_add_nc_u32 v11, 8, v11 :: v_dual_add_nc_u32 v13, 8, v13
	s_wait_loadcnt_dscnt 0x0
	v_pk_mul_f32 v[62:63], v[60:61], v[58:59] op_sel:[1,1] op_sel_hi:[0,1]
	s_delay_alu instid0(VALU_DEP_1) | instskip(SKIP_2) | instid1(VALU_DEP_3)
	v_pk_fma_f32 v[64:65], v[60:61], v[58:59], v[62:63] op_sel_hi:[1,0,1]
	v_add_nc_u32_e32 v7, 1, v7
	v_pk_fma_f32 v[58:59], v[60:61], v[58:59], v[62:63] neg_lo:[0,0,1] neg_hi:[0,0,1]
	v_mov_b32_e32 v59, v65
	s_delay_alu instid0(VALU_DEP_3) | instskip(NEXT) | instid1(VALU_DEP_2)
	v_cmp_lt_u32_e32 vcc_lo, 20, v7
	v_pk_add_f32 v[56:57], v[56:57], v[58:59]
	s_or_b32 s1, vcc_lo, s1
	s_delay_alu instid0(SALU_CYCLE_1)
	s_and_not1_b32 exec_lo, exec_lo, s1
	s_cbranch_execnz .LBB25_101
; %bb.102:
	s_or_b32 exec_lo, exec_lo, s1
	v_mov_b32_e32 v7, 0
	ds_load_b64 v[58:59], v7 offset:176
	s_wait_dscnt 0x0
	v_pk_mul_f32 v[60:61], v[56:57], v[58:59] op_sel:[1,1] op_sel_hi:[0,1]
	s_delay_alu instid0(VALU_DEP_1) | instskip(SKIP_1) | instid1(VALU_DEP_2)
	v_pk_fma_f32 v[62:63], v[56:57], v[58:59], v[60:61] op_sel_hi:[1,0,1]
	v_pk_fma_f32 v[56:57], v[56:57], v[58:59], v[60:61] neg_lo:[0,0,1] neg_hi:[0,0,1]
	v_mov_b32_e32 v57, v63
	scratch_store_b64 off, v[56:57], off offset:176
.LBB25_103:
	s_wait_xcnt 0x0
	s_or_b32 exec_lo, exec_lo, s0
	s_wait_storecnt 0x0
	s_barrier_signal -1
	s_barrier_wait -1
	scratch_load_b64 v[56:57], off, off offset:184
	s_mov_b32 s0, exec_lo
	s_wait_loadcnt 0x0
	ds_store_b64 v1, v[56:57]
	s_wait_dscnt 0x0
	s_barrier_signal -1
	s_barrier_wait -1
	v_cmpx_gt_u32_e32 23, v0
	s_cbranch_execz .LBB25_107
; %bb.104:
	v_dual_mov_b32 v56, 0 :: v_dual_add_nc_u32 v7, -1, v0
	v_add_nc_u32_e32 v11, 0xd0, v54
	v_mov_b32_e32 v13, v54
	s_mov_b32 s1, 0
	s_delay_alu instid0(VALU_DEP_3)
	v_mov_b32_e32 v57, v56
.LBB25_105:                             ; =>This Inner Loop Header: Depth=1
	scratch_load_b64 v[58:59], v13, off
	ds_load_b64 v[60:61], v11
	s_wait_xcnt 0x0
	v_dual_add_nc_u32 v11, 8, v11 :: v_dual_add_nc_u32 v13, 8, v13
	s_wait_loadcnt_dscnt 0x0
	v_pk_mul_f32 v[62:63], v[60:61], v[58:59] op_sel:[1,1] op_sel_hi:[0,1]
	s_delay_alu instid0(VALU_DEP_1) | instskip(SKIP_2) | instid1(VALU_DEP_3)
	v_pk_fma_f32 v[64:65], v[60:61], v[58:59], v[62:63] op_sel_hi:[1,0,1]
	v_add_nc_u32_e32 v7, 1, v7
	v_pk_fma_f32 v[58:59], v[60:61], v[58:59], v[62:63] neg_lo:[0,0,1] neg_hi:[0,0,1]
	v_mov_b32_e32 v59, v65
	s_delay_alu instid0(VALU_DEP_3) | instskip(NEXT) | instid1(VALU_DEP_2)
	v_cmp_lt_u32_e32 vcc_lo, 21, v7
	v_pk_add_f32 v[56:57], v[56:57], v[58:59]
	s_or_b32 s1, vcc_lo, s1
	s_delay_alu instid0(SALU_CYCLE_1)
	s_and_not1_b32 exec_lo, exec_lo, s1
	s_cbranch_execnz .LBB25_105
; %bb.106:
	s_or_b32 exec_lo, exec_lo, s1
	v_mov_b32_e32 v7, 0
	ds_load_b64 v[58:59], v7 offset:184
	s_wait_dscnt 0x0
	v_pk_mul_f32 v[60:61], v[56:57], v[58:59] op_sel:[1,1] op_sel_hi:[0,1]
	s_delay_alu instid0(VALU_DEP_1) | instskip(SKIP_1) | instid1(VALU_DEP_2)
	v_pk_fma_f32 v[62:63], v[56:57], v[58:59], v[60:61] op_sel_hi:[1,0,1]
	v_pk_fma_f32 v[56:57], v[56:57], v[58:59], v[60:61] neg_lo:[0,0,1] neg_hi:[0,0,1]
	v_mov_b32_e32 v57, v63
	scratch_store_b64 off, v[56:57], off offset:184
.LBB25_107:
	s_wait_xcnt 0x0
	s_or_b32 exec_lo, exec_lo, s0
	s_wait_storecnt 0x0
	s_barrier_signal -1
	s_barrier_wait -1
	scratch_load_b64 v[56:57], off, off offset:192
	;; [unrolled: 52-line block ×3, first 2 shown]
	s_mov_b32 s0, exec_lo
	s_wait_loadcnt 0x0
	ds_store_b64 v1, v[56:57]
	s_wait_dscnt 0x0
	s_barrier_signal -1
	s_barrier_wait -1
	v_cmpx_ne_u32_e32 25, v0
	s_cbranch_execz .LBB25_115
; %bb.112:
	v_dual_mov_b32 v56, 0 :: v_dual_mov_b32 v7, v54
	s_mov_b32 s1, 0
	s_delay_alu instid0(VALU_DEP_1)
	v_mov_b32_e32 v57, v56
.LBB25_113:                             ; =>This Inner Loop Header: Depth=1
	scratch_load_b64 v[54:55], v7, off
	ds_load_b64 v[58:59], v1
	s_wait_xcnt 0x0
	v_dual_add_nc_u32 v1, 8, v1 :: v_dual_add_nc_u32 v7, 8, v7
	s_wait_loadcnt_dscnt 0x0
	v_pk_mul_f32 v[60:61], v[58:59], v[54:55] op_sel:[1,1] op_sel_hi:[0,1]
	s_delay_alu instid0(VALU_DEP_1) | instskip(SKIP_2) | instid1(VALU_DEP_3)
	v_pk_fma_f32 v[62:63], v[58:59], v[54:55], v[60:61] op_sel_hi:[1,0,1]
	v_add_nc_u32_e32 v5, 1, v5
	v_pk_fma_f32 v[54:55], v[58:59], v[54:55], v[60:61] neg_lo:[0,0,1] neg_hi:[0,0,1]
	v_mov_b32_e32 v55, v63
	s_delay_alu instid0(VALU_DEP_3) | instskip(NEXT) | instid1(VALU_DEP_2)
	v_cmp_lt_u32_e32 vcc_lo, 23, v5
	v_pk_add_f32 v[56:57], v[56:57], v[54:55]
	s_or_b32 s1, vcc_lo, s1
	s_delay_alu instid0(SALU_CYCLE_1)
	s_and_not1_b32 exec_lo, exec_lo, s1
	s_cbranch_execnz .LBB25_113
; %bb.114:
	s_or_b32 exec_lo, exec_lo, s1
	v_mov_b32_e32 v1, 0
	ds_load_b64 v[54:55], v1 offset:200
	s_wait_dscnt 0x0
	v_pk_mul_f32 v[58:59], v[56:57], v[54:55] op_sel:[1,1] op_sel_hi:[0,1]
	s_delay_alu instid0(VALU_DEP_1) | instskip(SKIP_1) | instid1(VALU_DEP_2)
	v_pk_fma_f32 v[60:61], v[56:57], v[54:55], v[58:59] op_sel_hi:[1,0,1]
	v_pk_fma_f32 v[54:55], v[56:57], v[54:55], v[58:59] neg_lo:[0,0,1] neg_hi:[0,0,1]
	v_mov_b32_e32 v55, v61
	scratch_store_b64 off, v[54:55], off offset:200
.LBB25_115:
	s_wait_xcnt 0x0
	s_or_b32 exec_lo, exec_lo, s0
	s_mov_b32 s1, -1
	s_wait_storecnt 0x0
	s_barrier_signal -1
	s_barrier_wait -1
.LBB25_116:
	s_and_b32 vcc_lo, exec_lo, s1
	s_cbranch_vccz .LBB25_118
; %bb.117:
	v_mov_b32_e32 v1, 0
	s_lshl_b64 s[0:1], s[16:17], 2
	s_delay_alu instid0(SALU_CYCLE_1)
	s_add_nc_u64 s[0:1], s[6:7], s[0:1]
	global_load_b32 v1, v1, s[0:1]
	s_wait_loadcnt 0x0
	v_cmp_ne_u32_e32 vcc_lo, 0, v1
	s_cbranch_vccz .LBB25_119
.LBB25_118:
	s_sendmsg sendmsg(MSG_DEALLOC_VGPRS)
	s_endpgm
.LBB25_119:
	s_wait_xcnt 0x0
	v_lshl_add_u32 v1, v0, 3, 0xd0
	s_mov_b32 s0, exec_lo
	v_cmpx_eq_u32_e32 25, v0
	s_cbranch_execz .LBB25_121
; %bb.120:
	scratch_load_b64 v[54:55], off, off offset:192
	v_mov_b64_e32 v[56:57], 0
	scratch_store_b64 off, v[56:57], off offset:192
	s_wait_loadcnt 0x0
	ds_store_b64 v1, v[54:55]
.LBB25_121:
	s_wait_xcnt 0x0
	s_or_b32 exec_lo, exec_lo, s0
	s_wait_storecnt_dscnt 0x0
	s_barrier_signal -1
	s_barrier_wait -1
	s_clause 0x1
	scratch_load_b64 v[54:55], off, off offset:200
	scratch_load_b64 v[56:57], off, off offset:192
	v_mov_b32_e32 v5, 0
	s_mov_b32 s0, exec_lo
	ds_load_b64 v[58:59], v5 offset:408
	s_wait_loadcnt_dscnt 0x100
	v_pk_mul_f32 v[60:61], v[58:59], v[54:55] op_sel:[1,1] op_sel_hi:[0,1]
	s_delay_alu instid0(VALU_DEP_1) | instskip(SKIP_1) | instid1(VALU_DEP_2)
	v_pk_fma_f32 v[62:63], v[58:59], v[54:55], v[60:61] op_sel_hi:[1,0,1]
	v_pk_fma_f32 v[54:55], v[58:59], v[54:55], v[60:61] neg_lo:[0,0,1] neg_hi:[0,0,1]
	v_mov_b32_e32 v55, v63
	s_delay_alu instid0(VALU_DEP_1) | instskip(SKIP_1) | instid1(VALU_DEP_1)
	v_pk_add_f32 v[54:55], v[54:55], 0 op_sel_hi:[1,0]
	s_wait_loadcnt 0x0
	v_pk_add_f32 v[54:55], v[56:57], v[54:55] neg_lo:[0,1] neg_hi:[0,1]
	scratch_store_b64 off, v[54:55], off offset:192
	s_wait_xcnt 0x0
	v_cmpx_lt_u32_e32 23, v0
	s_cbranch_execz .LBB25_123
; %bb.122:
	scratch_load_b64 v[54:55], off, off offset:184
	v_mov_b64_e32 v[56:57], 0
	scratch_store_b64 off, v[56:57], off offset:184
	s_wait_loadcnt 0x0
	ds_store_b64 v1, v[54:55]
.LBB25_123:
	s_wait_xcnt 0x0
	s_or_b32 exec_lo, exec_lo, s0
	s_wait_storecnt_dscnt 0x0
	s_barrier_signal -1
	s_barrier_wait -1
	s_clause 0x1
	scratch_load_b128 v[54:57], off, off offset:192
	scratch_load_b64 v[62:63], off, off offset:184
	ds_load_b128 v[58:61], v5 offset:400
	s_mov_b32 s0, exec_lo
	s_wait_dscnt 0x0
	v_dual_mov_b32 v64, v61 :: v_dual_mov_b32 v65, v60
	s_wait_loadcnt 0x1
	v_pk_mul_f32 v[66:67], v[58:59], v[54:55] op_sel:[1,1] op_sel_hi:[0,1]
	s_delay_alu instid0(VALU_DEP_1) | instskip(SKIP_2) | instid1(VALU_DEP_3)
	v_pk_fma_f32 v[70:71], v[58:59], v[54:55], v[66:67] op_sel_hi:[1,0,1]
	v_mov_b32_e32 v68, v57
	v_pk_fma_f32 v[54:55], v[58:59], v[54:55], v[66:67] neg_lo:[0,0,1] neg_hi:[0,0,1]
	v_mov_b32_e32 v55, v71
	s_delay_alu instid0(VALU_DEP_3) | instskip(NEXT) | instid1(VALU_DEP_2)
	v_pk_mul_f32 v[64:65], v[64:65], v[68:69] op_sel_hi:[1,0]
	v_pk_add_f32 v[54:55], v[54:55], 0 op_sel_hi:[1,0]
	s_delay_alu instid0(VALU_DEP_2) | instskip(SKIP_1) | instid1(VALU_DEP_2)
	v_pk_fma_f32 v[58:59], v[60:61], v[56:57], v[64:65] op_sel_hi:[1,0,1]
	v_pk_fma_f32 v[56:57], v[60:61], v[56:57], v[64:65] neg_lo:[0,0,1] neg_hi:[0,0,1]
	v_mov_b32_e32 v57, v59
	s_delay_alu instid0(VALU_DEP_1) | instskip(SKIP_1) | instid1(VALU_DEP_1)
	v_pk_add_f32 v[54:55], v[54:55], v[56:57]
	s_wait_loadcnt 0x0
	v_pk_add_f32 v[54:55], v[62:63], v[54:55] neg_lo:[0,1] neg_hi:[0,1]
	scratch_store_b64 off, v[54:55], off offset:184
	s_wait_xcnt 0x0
	v_cmpx_lt_u32_e32 22, v0
	s_cbranch_execz .LBB25_125
; %bb.124:
	scratch_load_b64 v[54:55], off, off offset:176
	v_mov_b64_e32 v[56:57], 0
	scratch_store_b64 off, v[56:57], off offset:176
	s_wait_loadcnt 0x0
	ds_store_b64 v1, v[54:55]
.LBB25_125:
	s_wait_xcnt 0x0
	s_or_b32 exec_lo, exec_lo, s0
	s_wait_storecnt_dscnt 0x0
	s_barrier_signal -1
	s_barrier_wait -1
	s_clause 0x2
	scratch_load_b128 v[54:57], off, off offset:184
	scratch_load_b64 v[62:63], off, off offset:200
	scratch_load_b64 v[64:65], off, off offset:176
	v_mov_b32_e32 v5, 0
	ds_load_2addr_b64 v[58:61], v5 offset0:49 offset1:50
	ds_load_b64 v[66:67], v5 offset:408
	s_mov_b32 s0, exec_lo
	s_wait_dscnt 0x1
	v_dual_mov_b32 v68, v61 :: v_dual_mov_b32 v69, v60
	s_wait_loadcnt 0x2
	v_mov_b32_e32 v72, v57
	v_pk_mul_f32 v[70:71], v[58:59], v[54:55] op_sel:[1,1] op_sel_hi:[0,1]
	s_delay_alu instid0(VALU_DEP_2) | instskip(NEXT) | instid1(VALU_DEP_2)
	v_pk_mul_f32 v[68:69], v[68:69], v[72:73] op_sel_hi:[1,0]
	v_pk_fma_f32 v[74:75], v[58:59], v[54:55], v[70:71] op_sel_hi:[1,0,1]
	v_pk_fma_f32 v[54:55], v[58:59], v[54:55], v[70:71] neg_lo:[0,0,1] neg_hi:[0,0,1]
	s_wait_loadcnt_dscnt 0x100
	v_pk_mul_f32 v[70:71], v[66:67], v[62:63] op_sel:[1,1] op_sel_hi:[0,1]
	v_pk_fma_f32 v[58:59], v[60:61], v[56:57], v[68:69] op_sel_hi:[1,0,1]
	v_mov_b32_e32 v55, v75
	v_pk_fma_f32 v[56:57], v[60:61], v[56:57], v[68:69] neg_lo:[0,0,1] neg_hi:[0,0,1]
	s_delay_alu instid0(VALU_DEP_4) | instskip(NEXT) | instid1(VALU_DEP_4)
	v_pk_fma_f32 v[60:61], v[66:67], v[62:63], v[70:71] neg_lo:[0,0,1] neg_hi:[0,0,1]
	v_mov_b32_e32 v57, v59
	s_delay_alu instid0(VALU_DEP_4) | instskip(SKIP_1) | instid1(VALU_DEP_2)
	v_pk_add_f32 v[54:55], v[54:55], 0 op_sel_hi:[1,0]
	v_pk_fma_f32 v[58:59], v[66:67], v[62:63], v[70:71] op_sel_hi:[1,0,1]
	v_pk_add_f32 v[54:55], v[54:55], v[56:57]
	s_delay_alu instid0(VALU_DEP_2) | instskip(NEXT) | instid1(VALU_DEP_1)
	v_mov_b32_e32 v61, v59
	v_pk_add_f32 v[54:55], v[54:55], v[60:61]
	s_wait_loadcnt 0x0
	s_delay_alu instid0(VALU_DEP_1)
	v_pk_add_f32 v[54:55], v[64:65], v[54:55] neg_lo:[0,1] neg_hi:[0,1]
	scratch_store_b64 off, v[54:55], off offset:176
	s_wait_xcnt 0x0
	v_cmpx_lt_u32_e32 21, v0
	s_cbranch_execz .LBB25_127
; %bb.126:
	scratch_load_b64 v[54:55], off, off offset:168
	v_mov_b64_e32 v[56:57], 0
	scratch_store_b64 off, v[56:57], off offset:168
	s_wait_loadcnt 0x0
	ds_store_b64 v1, v[54:55]
.LBB25_127:
	s_wait_xcnt 0x0
	s_or_b32 exec_lo, exec_lo, s0
	s_wait_storecnt_dscnt 0x0
	s_barrier_signal -1
	s_barrier_wait -1
	s_clause 0x2
	scratch_load_b128 v[54:57], off, off offset:176
	scratch_load_b128 v[58:61], off, off offset:192
	scratch_load_b64 v[70:71], off, off offset:168
	ds_load_b128 v[62:65], v5 offset:384
	ds_load_b128 v[66:69], v5 offset:400
	s_mov_b32 s0, exec_lo
	s_wait_dscnt 0x1
	v_dual_mov_b32 v72, v65 :: v_dual_mov_b32 v73, v64
	s_wait_loadcnt_dscnt 0x200
	v_dual_mov_b32 v78, v69 :: v_dual_mov_b32 v76, v57
	v_pk_mul_f32 v[74:75], v[62:63], v[54:55] op_sel:[1,1] op_sel_hi:[0,1]
	s_delay_alu instid0(VALU_DEP_2) | instskip(NEXT) | instid1(VALU_DEP_2)
	v_pk_mul_f32 v[72:73], v[72:73], v[76:77] op_sel_hi:[1,0]
	v_pk_fma_f32 v[80:81], v[62:63], v[54:55], v[74:75] op_sel_hi:[1,0,1]
	v_pk_fma_f32 v[54:55], v[62:63], v[54:55], v[74:75] neg_lo:[0,0,1] neg_hi:[0,0,1]
	v_mov_b32_e32 v79, v68
	s_wait_loadcnt 0x1
	v_pk_mul_f32 v[76:77], v[66:67], v[58:59] op_sel:[1,1] op_sel_hi:[0,1]
	v_pk_fma_f32 v[62:63], v[64:65], v[56:57], v[72:73] op_sel_hi:[1,0,1]
	v_dual_mov_b32 v55, v81 :: v_dual_mov_b32 v62, v61
	v_pk_fma_f32 v[56:57], v[64:65], v[56:57], v[72:73] neg_lo:[0,0,1] neg_hi:[0,0,1]
	s_delay_alu instid0(VALU_DEP_4) | instskip(NEXT) | instid1(VALU_DEP_4)
	v_pk_fma_f32 v[74:75], v[66:67], v[58:59], v[76:77] op_sel_hi:[1,0,1]
	v_mov_b32_e32 v57, v63
	s_delay_alu instid0(VALU_DEP_4) | instskip(SKIP_2) | instid1(VALU_DEP_3)
	v_pk_add_f32 v[54:55], v[54:55], 0 op_sel_hi:[1,0]
	v_pk_mul_f32 v[62:63], v[78:79], v[62:63] op_sel_hi:[1,0]
	v_pk_fma_f32 v[58:59], v[66:67], v[58:59], v[76:77] neg_lo:[0,0,1] neg_hi:[0,0,1]
	v_pk_add_f32 v[54:55], v[54:55], v[56:57]
	s_delay_alu instid0(VALU_DEP_3) | instskip(SKIP_2) | instid1(VALU_DEP_3)
	v_pk_fma_f32 v[56:57], v[68:69], v[60:61], v[62:63] op_sel_hi:[1,0,1]
	v_mov_b32_e32 v59, v75
	v_pk_fma_f32 v[60:61], v[68:69], v[60:61], v[62:63] neg_lo:[0,0,1] neg_hi:[0,0,1]
	v_mov_b32_e32 v61, v57
	s_delay_alu instid0(VALU_DEP_3) | instskip(NEXT) | instid1(VALU_DEP_1)
	v_pk_add_f32 v[54:55], v[54:55], v[58:59]
	v_pk_add_f32 v[54:55], v[54:55], v[60:61]
	s_wait_loadcnt 0x0
	s_delay_alu instid0(VALU_DEP_1)
	v_pk_add_f32 v[54:55], v[70:71], v[54:55] neg_lo:[0,1] neg_hi:[0,1]
	scratch_store_b64 off, v[54:55], off offset:168
	s_wait_xcnt 0x0
	v_cmpx_lt_u32_e32 20, v0
	s_cbranch_execz .LBB25_129
; %bb.128:
	scratch_load_b64 v[54:55], off, off offset:160
	v_mov_b64_e32 v[56:57], 0
	scratch_store_b64 off, v[56:57], off offset:160
	s_wait_loadcnt 0x0
	ds_store_b64 v1, v[54:55]
.LBB25_129:
	s_wait_xcnt 0x0
	s_or_b32 exec_lo, exec_lo, s0
	s_wait_storecnt_dscnt 0x0
	s_barrier_signal -1
	s_barrier_wait -1
	s_clause 0x3
	scratch_load_b128 v[54:57], off, off offset:168
	scratch_load_b128 v[58:61], off, off offset:184
	scratch_load_b64 v[70:71], off, off offset:200
	scratch_load_b64 v[72:73], off, off offset:160
	v_mov_b32_e32 v5, 0
	ds_load_2addr_b64 v[62:65], v5 offset0:47 offset1:48
	ds_load_2addr_b64 v[66:69], v5 offset0:49 offset1:50
	s_mov_b32 s0, exec_lo
	s_wait_dscnt 0x1
	v_dual_mov_b32 v74, v65 :: v_dual_mov_b32 v75, v64
	ds_load_b64 v[80:81], v5 offset:408
	s_wait_dscnt 0x1
	v_dual_mov_b32 v82, v69 :: v_dual_mov_b32 v83, v68
	s_wait_loadcnt 0x3
	v_pk_mul_f32 v[76:77], v[62:63], v[54:55] op_sel:[1,1] op_sel_hi:[0,1]
	v_mov_b32_e32 v78, v57
	s_delay_alu instid0(VALU_DEP_2) | instskip(NEXT) | instid1(VALU_DEP_2)
	v_pk_fma_f32 v[84:85], v[62:63], v[54:55], v[76:77] op_sel_hi:[1,0,1]
	v_pk_mul_f32 v[74:75], v[74:75], v[78:79] op_sel_hi:[1,0]
	v_pk_fma_f32 v[54:55], v[62:63], v[54:55], v[76:77] neg_lo:[0,0,1] neg_hi:[0,0,1]
	s_wait_loadcnt 0x2
	v_pk_mul_f32 v[78:79], v[66:67], v[58:59] op_sel:[1,1] op_sel_hi:[0,1]
	v_dual_mov_b32 v84, v61 :: v_dual_mov_b32 v55, v85
	v_pk_fma_f32 v[62:63], v[64:65], v[56:57], v[74:75] op_sel_hi:[1,0,1]
	v_pk_fma_f32 v[56:57], v[64:65], v[56:57], v[74:75] neg_lo:[0,0,1] neg_hi:[0,0,1]
	s_delay_alu instid0(VALU_DEP_4) | instskip(NEXT) | instid1(VALU_DEP_4)
	v_pk_fma_f32 v[76:77], v[66:67], v[58:59], v[78:79] op_sel_hi:[1,0,1]
	v_pk_mul_f32 v[82:83], v[82:83], v[84:85] op_sel_hi:[1,0]
	v_pk_add_f32 v[54:55], v[54:55], 0 op_sel_hi:[1,0]
	v_mov_b32_e32 v57, v63
	v_pk_fma_f32 v[58:59], v[66:67], v[58:59], v[78:79] neg_lo:[0,0,1] neg_hi:[0,0,1]
	v_mov_b32_e32 v59, v77
	v_pk_fma_f32 v[62:63], v[68:69], v[60:61], v[82:83] op_sel_hi:[1,0,1]
	v_pk_fma_f32 v[60:61], v[68:69], v[60:61], v[82:83] neg_lo:[0,0,1] neg_hi:[0,0,1]
	v_pk_add_f32 v[54:55], v[54:55], v[56:57]
	s_wait_loadcnt_dscnt 0x100
	v_pk_mul_f32 v[56:57], v[80:81], v[70:71] op_sel:[1,1] op_sel_hi:[0,1]
	s_delay_alu instid0(VALU_DEP_2) | instskip(NEXT) | instid1(VALU_DEP_2)
	v_pk_add_f32 v[54:55], v[54:55], v[58:59]
	v_pk_fma_f32 v[58:59], v[80:81], v[70:71], v[56:57] op_sel_hi:[1,0,1]
	v_mov_b32_e32 v61, v63
	v_pk_fma_f32 v[56:57], v[80:81], v[70:71], v[56:57] neg_lo:[0,0,1] neg_hi:[0,0,1]
	s_delay_alu instid0(VALU_DEP_3) | instskip(NEXT) | instid1(VALU_DEP_3)
	v_mov_b32_e32 v57, v59
	v_pk_add_f32 v[54:55], v[54:55], v[60:61]
	s_delay_alu instid0(VALU_DEP_1) | instskip(SKIP_1) | instid1(VALU_DEP_1)
	v_pk_add_f32 v[54:55], v[54:55], v[56:57]
	s_wait_loadcnt 0x0
	v_pk_add_f32 v[54:55], v[72:73], v[54:55] neg_lo:[0,1] neg_hi:[0,1]
	scratch_store_b64 off, v[54:55], off offset:160
	s_wait_xcnt 0x0
	v_cmpx_lt_u32_e32 19, v0
	s_cbranch_execz .LBB25_131
; %bb.130:
	scratch_load_b64 v[54:55], off, off offset:152
	v_mov_b64_e32 v[56:57], 0
	scratch_store_b64 off, v[56:57], off offset:152
	s_wait_loadcnt 0x0
	ds_store_b64 v1, v[54:55]
.LBB25_131:
	s_wait_xcnt 0x0
	s_or_b32 exec_lo, exec_lo, s0
	s_wait_storecnt_dscnt 0x0
	s_barrier_signal -1
	s_barrier_wait -1
	s_clause 0x3
	scratch_load_b128 v[54:57], off, off offset:160
	scratch_load_b128 v[58:61], off, off offset:176
	;; [unrolled: 1-line block ×3, first 2 shown]
	scratch_load_b64 v[78:79], off, off offset:152
	ds_load_b128 v[66:69], v5 offset:368
	ds_load_b128 v[70:73], v5 offset:384
	;; [unrolled: 1-line block ×3, first 2 shown]
	s_mov_b32 s0, exec_lo
	s_wait_dscnt 0x2
	v_dual_mov_b32 v80, v69 :: v_dual_mov_b32 v81, v68
	s_wait_dscnt 0x1
	v_dual_mov_b32 v82, v73 :: v_dual_mov_b32 v83, v72
	;; [unrolled: 2-line block ×3, first 2 shown]
	s_wait_loadcnt 0x3
	v_pk_mul_f32 v[84:85], v[66:67], v[54:55] op_sel:[1,1] op_sel_hi:[0,1]
	v_mov_b32_e32 v86, v57
	s_delay_alu instid0(VALU_DEP_2) | instskip(NEXT) | instid1(VALU_DEP_2)
	v_pk_fma_f32 v[90:91], v[66:67], v[54:55], v[84:85] op_sel_hi:[1,0,1]
	v_pk_mul_f32 v[80:81], v[80:81], v[86:87] op_sel_hi:[1,0]
	v_pk_fma_f32 v[54:55], v[66:67], v[54:55], v[84:85] neg_lo:[0,0,1] neg_hi:[0,0,1]
	s_wait_loadcnt 0x2
	v_pk_mul_f32 v[86:87], v[70:71], v[58:59] op_sel:[1,1] op_sel_hi:[0,1]
	v_mov_b32_e32 v90, v61
	v_pk_fma_f32 v[66:67], v[68:69], v[56:57], v[80:81] op_sel_hi:[1,0,1]
	v_mov_b32_e32 v55, v91
	v_pk_fma_f32 v[56:57], v[68:69], v[56:57], v[80:81] neg_lo:[0,0,1] neg_hi:[0,0,1]
	v_pk_fma_f32 v[84:85], v[70:71], v[58:59], v[86:87] op_sel_hi:[1,0,1]
	v_pk_mul_f32 v[82:83], v[82:83], v[90:91] op_sel_hi:[1,0]
	v_mov_b32_e32 v57, v67
	v_pk_add_f32 v[54:55], v[54:55], 0 op_sel_hi:[1,0]
	v_pk_fma_f32 v[58:59], v[70:71], v[58:59], v[86:87] neg_lo:[0,0,1] neg_hi:[0,0,1]
	s_wait_loadcnt 0x1
	v_pk_mul_f32 v[66:67], v[74:75], v[62:63] op_sel:[1,1] op_sel_hi:[0,1]
	v_mov_b32_e32 v59, v85
	v_pk_fma_f32 v[68:69], v[72:73], v[60:61], v[82:83] op_sel_hi:[1,0,1]
	v_pk_add_f32 v[54:55], v[54:55], v[56:57]
	v_mov_b32_e32 v56, v65
	v_pk_fma_f32 v[60:61], v[72:73], v[60:61], v[82:83] neg_lo:[0,0,1] neg_hi:[0,0,1]
	v_pk_fma_f32 v[70:71], v[74:75], v[62:63], v[66:67] op_sel_hi:[1,0,1]
	v_mov_b32_e32 v61, v69
	v_pk_add_f32 v[54:55], v[54:55], v[58:59]
	v_pk_mul_f32 v[56:57], v[88:89], v[56:57] op_sel_hi:[1,0]
	v_pk_fma_f32 v[58:59], v[74:75], v[62:63], v[66:67] neg_lo:[0,0,1] neg_hi:[0,0,1]
	v_mov_b32_e32 v59, v71
	s_delay_alu instid0(VALU_DEP_4) | instskip(NEXT) | instid1(VALU_DEP_4)
	v_pk_add_f32 v[54:55], v[54:55], v[60:61]
	v_pk_fma_f32 v[60:61], v[76:77], v[64:65], v[56:57] op_sel_hi:[1,0,1]
	v_pk_fma_f32 v[56:57], v[76:77], v[64:65], v[56:57] neg_lo:[0,0,1] neg_hi:[0,0,1]
	s_delay_alu instid0(VALU_DEP_3) | instskip(NEXT) | instid1(VALU_DEP_3)
	v_pk_add_f32 v[54:55], v[54:55], v[58:59]
	v_mov_b32_e32 v57, v61
	s_delay_alu instid0(VALU_DEP_1) | instskip(SKIP_1) | instid1(VALU_DEP_1)
	v_pk_add_f32 v[54:55], v[54:55], v[56:57]
	s_wait_loadcnt 0x0
	v_pk_add_f32 v[54:55], v[78:79], v[54:55] neg_lo:[0,1] neg_hi:[0,1]
	scratch_store_b64 off, v[54:55], off offset:152
	s_wait_xcnt 0x0
	v_cmpx_lt_u32_e32 18, v0
	s_cbranch_execz .LBB25_133
; %bb.132:
	scratch_load_b64 v[54:55], off, off offset:144
	v_mov_b64_e32 v[56:57], 0
	scratch_store_b64 off, v[56:57], off offset:144
	s_wait_loadcnt 0x0
	ds_store_b64 v1, v[54:55]
.LBB25_133:
	s_wait_xcnt 0x0
	s_or_b32 exec_lo, exec_lo, s0
	s_wait_storecnt_dscnt 0x0
	s_barrier_signal -1
	s_barrier_wait -1
	s_clause 0x4
	scratch_load_b128 v[54:57], off, off offset:152
	scratch_load_b128 v[58:61], off, off offset:168
	;; [unrolled: 1-line block ×3, first 2 shown]
	scratch_load_b64 v[78:79], off, off offset:200
	scratch_load_b64 v[80:81], off, off offset:144
	v_mov_b32_e32 v5, 0
	ds_load_2addr_b64 v[66:69], v5 offset0:45 offset1:46
	ds_load_2addr_b64 v[70:73], v5 offset0:47 offset1:48
	;; [unrolled: 1-line block ×3, first 2 shown]
	ds_load_b64 v[82:83], v5 offset:408
	s_mov_b32 s0, exec_lo
	s_wait_dscnt 0x3
	v_dual_mov_b32 v84, v69 :: v_dual_mov_b32 v85, v68
	s_wait_dscnt 0x2
	v_dual_mov_b32 v86, v73 :: v_dual_mov_b32 v87, v72
	;; [unrolled: 2-line block ×3, first 2 shown]
	s_wait_loadcnt 0x4
	v_pk_mul_f32 v[88:89], v[66:67], v[54:55] op_sel:[1,1] op_sel_hi:[0,1]
	v_mov_b32_e32 v90, v57
	s_wait_loadcnt 0x3
	v_pk_mul_f32 v[94:95], v[70:71], v[58:59] op_sel:[1,1] op_sel_hi:[0,1]
	s_wait_loadcnt 0x2
	v_pk_mul_f32 v[98:99], v[74:75], v[62:63] op_sel:[1,1] op_sel_hi:[0,1]
	v_pk_fma_f32 v[96:97], v[66:67], v[54:55], v[88:89] op_sel_hi:[1,0,1]
	v_pk_mul_f32 v[84:85], v[84:85], v[90:91] op_sel_hi:[1,0]
	v_pk_fma_f32 v[54:55], v[66:67], v[54:55], v[88:89] neg_lo:[0,0,1] neg_hi:[0,0,1]
	v_mov_b32_e32 v90, v61
	v_pk_fma_f32 v[88:89], v[70:71], v[58:59], v[94:95] op_sel_hi:[1,0,1]
	v_mov_b32_e32 v55, v97
	v_pk_fma_f32 v[66:67], v[68:69], v[56:57], v[84:85] op_sel_hi:[1,0,1]
	v_pk_fma_f32 v[56:57], v[68:69], v[56:57], v[84:85] neg_lo:[0,0,1] neg_hi:[0,0,1]
	v_pk_mul_f32 v[86:87], v[86:87], v[90:91] op_sel_hi:[1,0]
	v_pk_fma_f32 v[58:59], v[70:71], v[58:59], v[94:95] neg_lo:[0,0,1] neg_hi:[0,0,1]
	v_pk_add_f32 v[54:55], v[54:55], 0 op_sel_hi:[1,0]
	v_dual_mov_b32 v57, v67 :: v_dual_mov_b32 v66, v65
	s_delay_alu instid0(VALU_DEP_4) | instskip(SKIP_2) | instid1(VALU_DEP_4)
	v_pk_fma_f32 v[68:69], v[72:73], v[60:61], v[86:87] op_sel_hi:[1,0,1]
	v_mov_b32_e32 v59, v89
	v_pk_fma_f32 v[60:61], v[72:73], v[60:61], v[86:87] neg_lo:[0,0,1] neg_hi:[0,0,1]
	v_pk_add_f32 v[54:55], v[54:55], v[56:57]
	v_pk_fma_f32 v[56:57], v[74:75], v[62:63], v[98:99] op_sel_hi:[1,0,1]
	v_pk_mul_f32 v[66:67], v[92:93], v[66:67] op_sel_hi:[1,0]
	v_mov_b32_e32 v61, v69
	s_delay_alu instid0(VALU_DEP_4)
	v_pk_add_f32 v[54:55], v[54:55], v[58:59]
	v_pk_fma_f32 v[58:59], v[74:75], v[62:63], v[98:99] neg_lo:[0,0,1] neg_hi:[0,0,1]
	v_mov_b32_e32 v59, v57
	v_pk_fma_f32 v[56:57], v[76:77], v[64:65], v[66:67] op_sel_hi:[1,0,1]
	v_pk_fma_f32 v[62:63], v[76:77], v[64:65], v[66:67] neg_lo:[0,0,1] neg_hi:[0,0,1]
	v_pk_add_f32 v[54:55], v[54:55], v[60:61]
	s_wait_loadcnt_dscnt 0x100
	v_pk_mul_f32 v[60:61], v[82:83], v[78:79] op_sel:[1,1] op_sel_hi:[0,1]
	v_mov_b32_e32 v63, v57
	s_delay_alu instid0(VALU_DEP_3) | instskip(NEXT) | instid1(VALU_DEP_3)
	v_pk_add_f32 v[54:55], v[54:55], v[58:59]
	v_pk_fma_f32 v[56:57], v[82:83], v[78:79], v[60:61] op_sel_hi:[1,0,1]
	v_pk_fma_f32 v[58:59], v[82:83], v[78:79], v[60:61] neg_lo:[0,0,1] neg_hi:[0,0,1]
	s_delay_alu instid0(VALU_DEP_3) | instskip(NEXT) | instid1(VALU_DEP_3)
	v_pk_add_f32 v[54:55], v[54:55], v[62:63]
	v_mov_b32_e32 v59, v57
	s_delay_alu instid0(VALU_DEP_1) | instskip(SKIP_1) | instid1(VALU_DEP_1)
	v_pk_add_f32 v[54:55], v[54:55], v[58:59]
	s_wait_loadcnt 0x0
	v_pk_add_f32 v[54:55], v[80:81], v[54:55] neg_lo:[0,1] neg_hi:[0,1]
	scratch_store_b64 off, v[54:55], off offset:144
	s_wait_xcnt 0x0
	v_cmpx_lt_u32_e32 17, v0
	s_cbranch_execz .LBB25_135
; %bb.134:
	scratch_load_b64 v[54:55], off, off offset:136
	v_mov_b64_e32 v[56:57], 0
	scratch_store_b64 off, v[56:57], off offset:136
	s_wait_loadcnt 0x0
	ds_store_b64 v1, v[54:55]
.LBB25_135:
	s_wait_xcnt 0x0
	s_or_b32 exec_lo, exec_lo, s0
	s_wait_storecnt_dscnt 0x0
	s_barrier_signal -1
	s_barrier_wait -1
	s_clause 0x4
	scratch_load_b128 v[54:57], off, off offset:144
	scratch_load_b128 v[58:61], off, off offset:160
	;; [unrolled: 1-line block ×4, first 2 shown]
	scratch_load_b64 v[86:87], off, off offset:136
	ds_load_b128 v[70:73], v5 offset:352
	ds_load_b128 v[74:77], v5 offset:368
	;; [unrolled: 1-line block ×4, first 2 shown]
	s_mov_b32 s0, exec_lo
	s_wait_dscnt 0x3
	v_dual_mov_b32 v88, v73 :: v_dual_mov_b32 v89, v72
	s_wait_dscnt 0x2
	v_dual_mov_b32 v90, v77 :: v_dual_mov_b32 v91, v76
	s_wait_dscnt 0x0
	v_dual_mov_b32 v99, v84 :: v_dual_mov_b32 v92, v81
	v_dual_mov_b32 v93, v80 :: v_dual_mov_b32 v98, v85
	s_wait_loadcnt 0x4
	v_mov_b32_e32 v96, v57
	v_pk_mul_f32 v[94:95], v[70:71], v[54:55] op_sel:[1,1] op_sel_hi:[0,1]
	s_wait_loadcnt 0x3
	v_pk_mul_f32 v[100:101], v[74:75], v[58:59] op_sel:[1,1] op_sel_hi:[0,1]
	s_wait_loadcnt 0x2
	v_pk_mul_f32 v[104:105], v[78:79], v[62:63] op_sel:[1,1] op_sel_hi:[0,1]
	v_pk_mul_f32 v[88:89], v[88:89], v[96:97] op_sel_hi:[1,0]
	v_pk_fma_f32 v[102:103], v[70:71], v[54:55], v[94:95] op_sel_hi:[1,0,1]
	v_pk_fma_f32 v[54:55], v[70:71], v[54:55], v[94:95] neg_lo:[0,0,1] neg_hi:[0,0,1]
	v_mov_b32_e32 v96, v61
	v_pk_fma_f32 v[94:95], v[74:75], v[58:59], v[100:101] op_sel_hi:[1,0,1]
	v_pk_fma_f32 v[70:71], v[72:73], v[56:57], v[88:89] op_sel_hi:[1,0,1]
	v_mov_b32_e32 v55, v103
	v_pk_fma_f32 v[56:57], v[72:73], v[56:57], v[88:89] neg_lo:[0,0,1] neg_hi:[0,0,1]
	v_pk_mul_f32 v[90:91], v[90:91], v[96:97] op_sel_hi:[1,0]
	s_delay_alu instid0(VALU_DEP_4) | instskip(NEXT) | instid1(VALU_DEP_4)
	v_dual_mov_b32 v70, v65 :: v_dual_mov_b32 v57, v71
	v_pk_add_f32 v[54:55], v[54:55], 0 op_sel_hi:[1,0]
	v_pk_fma_f32 v[58:59], v[74:75], v[58:59], v[100:101] neg_lo:[0,0,1] neg_hi:[0,0,1]
	v_mov_b32_e32 v59, v95
	v_pk_fma_f32 v[72:73], v[76:77], v[60:61], v[90:91] op_sel_hi:[1,0,1]
	v_pk_mul_f32 v[70:71], v[92:93], v[70:71] op_sel_hi:[1,0]
	v_pk_add_f32 v[54:55], v[54:55], v[56:57]
	v_pk_fma_f32 v[56:57], v[78:79], v[62:63], v[104:105] op_sel_hi:[1,0,1]
	v_pk_fma_f32 v[60:61], v[76:77], v[60:61], v[90:91] neg_lo:[0,0,1] neg_hi:[0,0,1]
	v_mov_b32_e32 v61, v73
	v_pk_fma_f32 v[62:63], v[78:79], v[62:63], v[104:105] neg_lo:[0,0,1] neg_hi:[0,0,1]
	v_pk_add_f32 v[54:55], v[54:55], v[58:59]
	v_mov_b32_e32 v63, v57
	v_pk_fma_f32 v[56:57], v[80:81], v[64:65], v[70:71] op_sel_hi:[1,0,1]
	s_wait_loadcnt 0x1
	v_pk_mul_f32 v[58:59], v[82:83], v[66:67] op_sel:[1,1] op_sel_hi:[0,1]
	v_mov_b32_e32 v56, v69
	v_pk_add_f32 v[54:55], v[54:55], v[60:61]
	v_pk_fma_f32 v[64:65], v[80:81], v[64:65], v[70:71] neg_lo:[0,0,1] neg_hi:[0,0,1]
	v_mov_b32_e32 v65, v57
	v_pk_fma_f32 v[60:61], v[82:83], v[66:67], v[58:59] op_sel_hi:[1,0,1]
	v_pk_mul_f32 v[56:57], v[98:99], v[56:57] op_sel_hi:[1,0]
	v_pk_add_f32 v[54:55], v[54:55], v[62:63]
	v_pk_fma_f32 v[58:59], v[82:83], v[66:67], v[58:59] neg_lo:[0,0,1] neg_hi:[0,0,1]
	s_delay_alu instid0(VALU_DEP_4) | instskip(NEXT) | instid1(VALU_DEP_4)
	v_mov_b32_e32 v59, v61
	v_pk_fma_f32 v[60:61], v[84:85], v[68:69], v[56:57] op_sel_hi:[1,0,1]
	s_delay_alu instid0(VALU_DEP_4) | instskip(SKIP_1) | instid1(VALU_DEP_3)
	v_pk_add_f32 v[54:55], v[54:55], v[64:65]
	v_pk_fma_f32 v[56:57], v[84:85], v[68:69], v[56:57] neg_lo:[0,0,1] neg_hi:[0,0,1]
	v_mov_b32_e32 v57, v61
	s_delay_alu instid0(VALU_DEP_3) | instskip(NEXT) | instid1(VALU_DEP_1)
	v_pk_add_f32 v[54:55], v[54:55], v[58:59]
	v_pk_add_f32 v[54:55], v[54:55], v[56:57]
	s_wait_loadcnt 0x0
	s_delay_alu instid0(VALU_DEP_1)
	v_pk_add_f32 v[54:55], v[86:87], v[54:55] neg_lo:[0,1] neg_hi:[0,1]
	scratch_store_b64 off, v[54:55], off offset:136
	s_wait_xcnt 0x0
	v_cmpx_lt_u32_e32 16, v0
	s_cbranch_execz .LBB25_137
; %bb.136:
	scratch_load_b64 v[54:55], off, off offset:128
	v_mov_b64_e32 v[56:57], 0
	scratch_store_b64 off, v[56:57], off offset:128
	s_wait_loadcnt 0x0
	ds_store_b64 v1, v[54:55]
.LBB25_137:
	s_wait_xcnt 0x0
	s_or_b32 exec_lo, exec_lo, s0
	s_wait_storecnt_dscnt 0x0
	s_barrier_signal -1
	s_barrier_wait -1
	s_clause 0x5
	scratch_load_b128 v[54:57], off, off offset:136
	scratch_load_b128 v[58:61], off, off offset:152
	;; [unrolled: 1-line block ×4, first 2 shown]
	scratch_load_b64 v[86:87], off, off offset:200
	scratch_load_b64 v[88:89], off, off offset:128
	v_mov_b32_e32 v5, 0
	ds_load_2addr_b64 v[70:73], v5 offset0:43 offset1:44
	ds_load_2addr_b64 v[74:77], v5 offset0:45 offset1:46
	;; [unrolled: 1-line block ×4, first 2 shown]
	ds_load_b64 v[90:91], v5 offset:408
	s_mov_b32 s0, exec_lo
	s_wait_dscnt 0x4
	v_dual_mov_b32 v92, v73 :: v_dual_mov_b32 v93, v72
	s_wait_dscnt 0x1
	v_dual_mov_b32 v94, v77 :: v_dual_mov_b32 v99, v84
	v_dual_mov_b32 v95, v76 :: v_dual_mov_b32 v96, v81
	v_dual_mov_b32 v97, v80 :: v_dual_mov_b32 v98, v85
	s_wait_loadcnt 0x5
	v_dual_mov_b32 v100, v57 :: v_dual_mul_f32 v101, v70, v55
	v_mul_f32_e32 v7, v71, v55
	s_wait_loadcnt 0x4
	v_pk_mul_f32 v[102:103], v[74:75], v[58:59] op_sel:[1,1] op_sel_hi:[0,1]
	v_mov_b32_e32 v104, v61
	s_wait_loadcnt 0x3
	v_pk_mul_f32 v[106:107], v[78:79], v[62:63] op_sel:[1,1] op_sel_hi:[0,1]
	v_pk_mul_f32 v[92:93], v[92:93], v[100:101] op_sel_hi:[1,0]
	v_dual_fmac_f32 v101, v71, v54 :: v_dual_fma_f32 v100, v70, v54, -v7
	v_mov_b32_e32 v54, v65
	v_pk_fma_f32 v[108:109], v[74:75], v[58:59], v[102:103] op_sel_hi:[1,0,1]
	s_delay_alu instid0(VALU_DEP_4)
	v_pk_fma_f32 v[70:71], v[72:73], v[56:57], v[92:93] op_sel_hi:[1,0,1]
	v_pk_fma_f32 v[56:57], v[72:73], v[56:57], v[92:93] neg_lo:[0,0,1] neg_hi:[0,0,1]
	v_pk_mul_f32 v[94:95], v[94:95], v[104:105] op_sel_hi:[1,0]
	v_pk_add_f32 v[100:101], v[100:101], 0 op_sel_hi:[1,0]
	v_pk_fma_f32 v[58:59], v[74:75], v[58:59], v[102:103] neg_lo:[0,0,1] neg_hi:[0,0,1]
	v_dual_mov_b32 v57, v71 :: v_dual_mov_b32 v59, v109
	s_delay_alu instid0(VALU_DEP_4) | instskip(SKIP_2) | instid1(VALU_DEP_4)
	v_pk_fma_f32 v[72:73], v[76:77], v[60:61], v[94:95] op_sel_hi:[1,0,1]
	v_pk_fma_f32 v[60:61], v[76:77], v[60:61], v[94:95] neg_lo:[0,0,1] neg_hi:[0,0,1]
	v_pk_fma_f32 v[74:75], v[78:79], v[62:63], v[106:107] op_sel_hi:[1,0,1]
	v_pk_add_f32 v[56:57], v[100:101], v[56:57]
	v_pk_mul_f32 v[54:55], v[96:97], v[54:55] op_sel_hi:[1,0]
	v_mov_b32_e32 v61, v73
	v_pk_fma_f32 v[62:63], v[78:79], v[62:63], v[106:107] neg_lo:[0,0,1] neg_hi:[0,0,1]
	s_wait_loadcnt 0x2
	v_pk_mul_f32 v[70:71], v[82:83], v[66:67] op_sel:[1,1] op_sel_hi:[0,1]
	v_pk_add_f32 v[56:57], v[56:57], v[58:59]
	v_mov_b32_e32 v58, v69
	v_pk_fma_f32 v[72:73], v[80:81], v[64:65], v[54:55] op_sel_hi:[1,0,1]
	v_mov_b32_e32 v63, v75
	v_pk_fma_f32 v[54:55], v[80:81], v[64:65], v[54:55] neg_lo:[0,0,1] neg_hi:[0,0,1]
	v_pk_add_f32 v[56:57], v[56:57], v[60:61]
	v_pk_fma_f32 v[60:61], v[82:83], v[66:67], v[70:71] op_sel_hi:[1,0,1]
	v_pk_mul_f32 v[58:59], v[98:99], v[58:59] op_sel_hi:[1,0]
	v_mov_b32_e32 v55, v73
	s_delay_alu instid0(VALU_DEP_4)
	v_pk_add_f32 v[56:57], v[56:57], v[62:63]
	v_pk_fma_f32 v[62:63], v[82:83], v[66:67], v[70:71] neg_lo:[0,0,1] neg_hi:[0,0,1]
	v_mov_b32_e32 v63, v61
	v_pk_fma_f32 v[60:61], v[84:85], v[68:69], v[58:59] op_sel_hi:[1,0,1]
	v_pk_fma_f32 v[58:59], v[84:85], v[68:69], v[58:59] neg_lo:[0,0,1] neg_hi:[0,0,1]
	v_pk_add_f32 v[54:55], v[56:57], v[54:55]
	s_wait_loadcnt_dscnt 0x100
	v_pk_mul_f32 v[56:57], v[90:91], v[86:87] op_sel:[1,1] op_sel_hi:[0,1]
	v_mov_b32_e32 v59, v61
	s_delay_alu instid0(VALU_DEP_3) | instskip(NEXT) | instid1(VALU_DEP_3)
	v_pk_add_f32 v[54:55], v[54:55], v[62:63]
	v_pk_fma_f32 v[60:61], v[90:91], v[86:87], v[56:57] op_sel_hi:[1,0,1]
	v_pk_fma_f32 v[56:57], v[90:91], v[86:87], v[56:57] neg_lo:[0,0,1] neg_hi:[0,0,1]
	s_delay_alu instid0(VALU_DEP_3) | instskip(NEXT) | instid1(VALU_DEP_3)
	v_pk_add_f32 v[54:55], v[54:55], v[58:59]
	v_mov_b32_e32 v57, v61
	s_delay_alu instid0(VALU_DEP_1) | instskip(SKIP_1) | instid1(VALU_DEP_1)
	v_pk_add_f32 v[54:55], v[54:55], v[56:57]
	s_wait_loadcnt 0x0
	v_pk_add_f32 v[54:55], v[88:89], v[54:55] neg_lo:[0,1] neg_hi:[0,1]
	scratch_store_b64 off, v[54:55], off offset:128
	s_wait_xcnt 0x0
	v_cmpx_lt_u32_e32 15, v0
	s_cbranch_execz .LBB25_139
; %bb.138:
	scratch_load_b64 v[54:55], off, off offset:120
	v_mov_b64_e32 v[56:57], 0
	scratch_store_b64 off, v[56:57], off offset:120
	s_wait_loadcnt 0x0
	ds_store_b64 v1, v[54:55]
.LBB25_139:
	s_wait_xcnt 0x0
	s_or_b32 exec_lo, exec_lo, s0
	s_wait_storecnt_dscnt 0x0
	s_barrier_signal -1
	s_barrier_wait -1
	s_clause 0x5
	scratch_load_b128 v[54:57], off, off offset:128
	scratch_load_b128 v[58:61], off, off offset:144
	scratch_load_b128 v[62:65], off, off offset:160
	scratch_load_b128 v[66:69], off, off offset:176
	scratch_load_b128 v[70:73], off, off offset:192
	scratch_load_b64 v[94:95], off, off offset:120
	ds_load_b128 v[74:77], v5 offset:352
	ds_load_b128 v[78:81], v5 offset:368
	;; [unrolled: 1-line block ×5, first 2 shown]
	s_mov_b32 s0, exec_lo
	s_wait_dscnt 0x4
	v_dual_mov_b32 v96, v77 :: v_dual_mov_b32 v97, v76
	s_wait_dscnt 0x3
	v_dual_mov_b32 v98, v81 :: v_dual_mov_b32 v99, v80
	;; [unrolled: 2-line block ×4, first 2 shown]
	s_wait_loadcnt_dscnt 0x500
	v_dual_mul_f32 v105, v90, v55 :: v_dual_mul_f32 v107, v92, v57
	v_dual_mul_f32 v5, v91, v55 :: v_dual_mul_f32 v7, v93, v57
	s_wait_loadcnt 0x4
	v_pk_mul_f32 v[108:109], v[74:75], v[58:59] op_sel:[1,1] op_sel_hi:[0,1]
	s_wait_loadcnt 0x3
	v_dual_mov_b32 v110, v61 :: v_dual_mov_b32 v114, v65
	v_dual_fmac_f32 v105, v91, v54 :: v_dual_fmac_f32 v107, v93, v56
	v_dual_fma_f32 v104, v90, v54, -v5 :: v_dual_fma_f32 v106, v92, v56, -v7
	v_pk_fma_f32 v[54:55], v[74:75], v[58:59], v[108:109] op_sel_hi:[1,0,1]
	s_delay_alu instid0(VALU_DEP_4) | instskip(SKIP_1) | instid1(VALU_DEP_4)
	v_pk_mul_f32 v[56:57], v[96:97], v[110:111] op_sel_hi:[1,0]
	v_pk_fma_f32 v[58:59], v[74:75], v[58:59], v[108:109] neg_lo:[0,0,1] neg_hi:[0,0,1]
	v_pk_add_f32 v[90:91], v[104:105], 0 op_sel_hi:[1,0]
	v_pk_mul_f32 v[112:113], v[78:79], v[62:63] op_sel:[1,1] op_sel_hi:[0,1]
	v_mov_b32_e32 v59, v55
	v_pk_fma_f32 v[54:55], v[76:77], v[60:61], v[56:57] op_sel_hi:[1,0,1]
	v_pk_fma_f32 v[56:57], v[76:77], v[60:61], v[56:57] neg_lo:[0,0,1] neg_hi:[0,0,1]
	v_pk_add_f32 v[74:75], v[90:91], v[106:107]
	v_pk_fma_f32 v[90:91], v[78:79], v[62:63], v[112:113] op_sel_hi:[1,0,1]
	v_pk_mul_f32 v[96:97], v[98:99], v[114:115] op_sel_hi:[1,0]
	v_mov_b32_e32 v57, v55
	s_wait_loadcnt 0x2
	v_pk_mul_f32 v[92:93], v[82:83], v[66:67] op_sel:[1,1] op_sel_hi:[0,1]
	v_pk_add_f32 v[54:55], v[74:75], v[58:59]
	v_mov_b32_e32 v58, v69
	v_pk_fma_f32 v[60:61], v[78:79], v[62:63], v[112:113] neg_lo:[0,0,1] neg_hi:[0,0,1]
	v_mov_b32_e32 v61, v91
	v_pk_fma_f32 v[62:63], v[80:81], v[64:65], v[96:97] op_sel_hi:[1,0,1]
	v_pk_add_f32 v[54:55], v[54:55], v[56:57]
	v_pk_fma_f32 v[56:57], v[82:83], v[66:67], v[92:93] op_sel_hi:[1,0,1]
	v_pk_mul_f32 v[58:59], v[100:101], v[58:59] op_sel_hi:[1,0]
	v_pk_fma_f32 v[64:65], v[80:81], v[64:65], v[96:97] neg_lo:[0,0,1] neg_hi:[0,0,1]
	v_mov_b32_e32 v65, v63
	v_pk_add_f32 v[54:55], v[54:55], v[60:61]
	v_pk_fma_f32 v[62:63], v[82:83], v[66:67], v[92:93] neg_lo:[0,0,1] neg_hi:[0,0,1]
	v_mov_b32_e32 v63, v57
	v_pk_fma_f32 v[56:57], v[84:85], v[68:69], v[58:59] op_sel_hi:[1,0,1]
	s_wait_loadcnt 0x1
	v_pk_mul_f32 v[60:61], v[86:87], v[70:71] op_sel:[1,1] op_sel_hi:[0,1]
	v_pk_add_f32 v[54:55], v[54:55], v[64:65]
	v_mov_b32_e32 v56, v73
	v_pk_fma_f32 v[58:59], v[84:85], v[68:69], v[58:59] neg_lo:[0,0,1] neg_hi:[0,0,1]
	v_mov_b32_e32 v59, v57
	v_pk_fma_f32 v[64:65], v[86:87], v[70:71], v[60:61] op_sel_hi:[1,0,1]
	v_pk_add_f32 v[54:55], v[54:55], v[62:63]
	v_pk_mul_f32 v[56:57], v[102:103], v[56:57] op_sel_hi:[1,0]
	v_pk_fma_f32 v[60:61], v[86:87], v[70:71], v[60:61] neg_lo:[0,0,1] neg_hi:[0,0,1]
	s_delay_alu instid0(VALU_DEP_3) | instskip(NEXT) | instid1(VALU_DEP_3)
	v_pk_add_f32 v[54:55], v[54:55], v[58:59]
	v_pk_fma_f32 v[58:59], v[88:89], v[72:73], v[56:57] op_sel_hi:[1,0,1]
	v_mov_b32_e32 v61, v65
	v_pk_fma_f32 v[56:57], v[88:89], v[72:73], v[56:57] neg_lo:[0,0,1] neg_hi:[0,0,1]
	s_delay_alu instid0(VALU_DEP_3) | instskip(NEXT) | instid1(VALU_DEP_3)
	v_mov_b32_e32 v57, v59
	v_pk_add_f32 v[54:55], v[54:55], v[60:61]
	s_delay_alu instid0(VALU_DEP_1) | instskip(SKIP_1) | instid1(VALU_DEP_1)
	v_pk_add_f32 v[54:55], v[54:55], v[56:57]
	s_wait_loadcnt 0x0
	v_pk_add_f32 v[54:55], v[94:95], v[54:55] neg_lo:[0,1] neg_hi:[0,1]
	scratch_store_b64 off, v[54:55], off offset:120
	s_wait_xcnt 0x0
	v_cmpx_lt_u32_e32 14, v0
	s_cbranch_execz .LBB25_141
; %bb.140:
	scratch_load_b64 v[54:55], off, off offset:112
	v_mov_b64_e32 v[56:57], 0
	scratch_store_b64 off, v[56:57], off offset:112
	s_wait_loadcnt 0x0
	ds_store_b64 v1, v[54:55]
.LBB25_141:
	s_wait_xcnt 0x0
	s_or_b32 exec_lo, exec_lo, s0
	s_wait_storecnt_dscnt 0x0
	s_barrier_signal -1
	s_barrier_wait -1
	s_clause 0x6
	scratch_load_b128 v[54:57], off, off offset:120
	scratch_load_b128 v[58:61], off, off offset:136
	;; [unrolled: 1-line block ×5, first 2 shown]
	scratch_load_b64 v[94:95], off, off offset:200
	scratch_load_b64 v[96:97], off, off offset:112
	v_mov_b32_e32 v5, 0
	ds_load_2addr_b64 v[74:77], v5 offset0:43 offset1:44
	ds_load_2addr_b64 v[78:81], v5 offset0:45 offset1:46
	;; [unrolled: 1-line block ×5, first 2 shown]
	ds_load_b64 v[98:99], v5 offset:408
	s_mov_b32 s0, exec_lo
	s_wait_dscnt 0x5
	v_dual_mov_b32 v100, v77 :: v_dual_mov_b32 v101, v76
	s_wait_dscnt 0x2
	v_dual_mov_b32 v102, v81 :: v_dual_mov_b32 v107, v88
	v_dual_mov_b32 v103, v80 :: v_dual_mov_b32 v104, v85
	;; [unrolled: 1-line block ×3, first 2 shown]
	s_wait_loadcnt_dscnt 0x601
	v_dual_mul_f32 v7, v90, v55 :: v_dual_mul_f32 v11, v91, v55
	v_dual_mul_f32 v13, v93, v57 :: v_dual_mul_f32 v109, v92, v57
	s_wait_loadcnt 0x5
	v_dual_mul_f32 v111, v74, v59 :: v_dual_mul_f32 v15, v75, v59
	s_wait_loadcnt 0x4
	v_dual_mov_b32 v110, v61 :: v_dual_mov_b32 v114, v65
	v_fmac_f32_e32 v7, v91, v54
	v_dual_fma_f32 v11, v90, v54, -v11 :: v_dual_fmac_f32 v109, v93, v56
	v_pk_mul_f32 v[112:113], v[78:79], v[62:63] op_sel:[1,1] op_sel_hi:[0,1]
	s_delay_alu instid0(VALU_DEP_3)
	v_dual_fma_f32 v108, v92, v56, -v13 :: v_dual_add_f32 v57, 0, v7
	v_pk_mul_f32 v[54:55], v[100:101], v[110:111] op_sel_hi:[1,0]
	s_wait_loadcnt 0x3
	v_dual_add_f32 v56, 0, v11 :: v_dual_mov_b32 v90, v69
	v_fmac_f32_e32 v111, v75, v58
	v_fma_f32 v110, v74, v58, -v15
	v_pk_fma_f32 v[58:59], v[76:77], v[60:61], v[54:55] op_sel_hi:[1,0,1]
	s_delay_alu instid0(VALU_DEP_4) | instskip(SKIP_4) | instid1(VALU_DEP_4)
	v_pk_add_f32 v[56:57], v[56:57], v[108:109]
	v_pk_fma_f32 v[74:75], v[78:79], v[62:63], v[112:113] op_sel_hi:[1,0,1]
	v_pk_fma_f32 v[54:55], v[76:77], v[60:61], v[54:55] neg_lo:[0,0,1] neg_hi:[0,0,1]
	v_pk_fma_f32 v[60:61], v[78:79], v[62:63], v[112:113] neg_lo:[0,0,1] neg_hi:[0,0,1]
	v_pk_mul_f32 v[92:93], v[102:103], v[114:115] op_sel_hi:[1,0]
	v_dual_mov_b32 v55, v59 :: v_dual_mov_b32 v61, v75
	v_pk_add_f32 v[56:57], v[56:57], v[110:111]
	v_pk_mul_f32 v[116:117], v[82:83], v[66:67] op_sel:[1,1] op_sel_hi:[0,1]
	s_delay_alu instid0(VALU_DEP_4)
	v_pk_fma_f32 v[62:63], v[80:81], v[64:65], v[92:93] op_sel_hi:[1,0,1]
	v_pk_fma_f32 v[64:65], v[80:81], v[64:65], v[92:93] neg_lo:[0,0,1] neg_hi:[0,0,1]
	v_pk_mul_f32 v[74:75], v[104:105], v[90:91] op_sel_hi:[1,0]
	v_pk_add_f32 v[54:55], v[56:57], v[54:55]
	v_pk_fma_f32 v[56:57], v[82:83], v[66:67], v[116:117] op_sel_hi:[1,0,1]
	s_wait_loadcnt 0x2
	v_dual_mov_b32 v65, v63 :: v_dual_mov_b32 v56, v73
	v_pk_mul_f32 v[58:59], v[86:87], v[70:71] op_sel:[1,1] op_sel_hi:[0,1]
	v_pk_add_f32 v[54:55], v[54:55], v[60:61]
	v_pk_fma_f32 v[60:61], v[82:83], v[66:67], v[116:117] neg_lo:[0,0,1] neg_hi:[0,0,1]
	v_pk_fma_f32 v[62:63], v[84:85], v[68:69], v[74:75] op_sel_hi:[1,0,1]
	v_mov_b32_e32 v61, v57
	v_pk_fma_f32 v[66:67], v[84:85], v[68:69], v[74:75] neg_lo:[0,0,1] neg_hi:[0,0,1]
	v_pk_add_f32 v[54:55], v[54:55], v[64:65]
	v_pk_fma_f32 v[64:65], v[86:87], v[70:71], v[58:59] op_sel_hi:[1,0,1]
	v_pk_mul_f32 v[56:57], v[106:107], v[56:57] op_sel_hi:[1,0]
	v_mov_b32_e32 v67, v63
	v_pk_fma_f32 v[58:59], v[86:87], v[70:71], v[58:59] neg_lo:[0,0,1] neg_hi:[0,0,1]
	v_pk_add_f32 v[54:55], v[54:55], v[60:61]
	s_wait_loadcnt_dscnt 0x100
	v_pk_mul_f32 v[62:63], v[98:99], v[94:95] op_sel:[1,1] op_sel_hi:[0,1]
	v_pk_fma_f32 v[60:61], v[88:89], v[72:73], v[56:57] op_sel_hi:[1,0,1]
	v_mov_b32_e32 v59, v65
	v_pk_fma_f32 v[56:57], v[88:89], v[72:73], v[56:57] neg_lo:[0,0,1] neg_hi:[0,0,1]
	v_pk_add_f32 v[54:55], v[54:55], v[66:67]
	s_delay_alu instid0(VALU_DEP_4) | instskip(SKIP_1) | instid1(VALU_DEP_3)
	v_mov_b32_e32 v57, v61
	v_pk_fma_f32 v[60:61], v[98:99], v[94:95], v[62:63] neg_lo:[0,0,1] neg_hi:[0,0,1]
	v_pk_add_f32 v[54:55], v[54:55], v[58:59]
	v_pk_fma_f32 v[58:59], v[98:99], v[94:95], v[62:63] op_sel_hi:[1,0,1]
	s_delay_alu instid0(VALU_DEP_2) | instskip(NEXT) | instid1(VALU_DEP_2)
	v_pk_add_f32 v[54:55], v[54:55], v[56:57]
	v_mov_b32_e32 v61, v59
	s_delay_alu instid0(VALU_DEP_1) | instskip(SKIP_1) | instid1(VALU_DEP_1)
	v_pk_add_f32 v[54:55], v[54:55], v[60:61]
	s_wait_loadcnt 0x0
	v_pk_add_f32 v[54:55], v[96:97], v[54:55] neg_lo:[0,1] neg_hi:[0,1]
	scratch_store_b64 off, v[54:55], off offset:112
	s_wait_xcnt 0x0
	v_cmpx_lt_u32_e32 13, v0
	s_cbranch_execz .LBB25_143
; %bb.142:
	scratch_load_b64 v[54:55], off, off offset:104
	v_mov_b64_e32 v[56:57], 0
	scratch_store_b64 off, v[56:57], off offset:104
	s_wait_loadcnt 0x0
	ds_store_b64 v1, v[54:55]
.LBB25_143:
	s_wait_xcnt 0x0
	s_or_b32 exec_lo, exec_lo, s0
	s_wait_storecnt_dscnt 0x0
	s_barrier_signal -1
	s_barrier_wait -1
	s_clause 0x6
	scratch_load_b128 v[54:57], off, off offset:112
	scratch_load_b128 v[58:61], off, off offset:128
	;; [unrolled: 1-line block ×6, first 2 shown]
	scratch_load_b64 v[102:103], off, off offset:104
	ds_load_b128 v[78:81], v5 offset:352
	ds_load_b128 v[82:85], v5 offset:368
	;; [unrolled: 1-line block ×6, first 2 shown]
	s_mov_b32 s0, exec_lo
	s_wait_dscnt 0x5
	v_dual_mov_b32 v104, v81 :: v_dual_mov_b32 v105, v80
	s_wait_dscnt 0x4
	v_dual_mov_b32 v106, v85 :: v_dual_mov_b32 v107, v84
	;; [unrolled: 2-line block ×4, first 2 shown]
	s_wait_loadcnt_dscnt 0x601
	v_dual_mul_f32 v5, v94, v55 :: v_dual_mul_f32 v7, v96, v57
	v_dual_mul_f32 v11, v95, v55 :: v_dual_mul_f32 v13, v97, v57
	s_wait_loadcnt 0x4
	s_delay_alu instid0(VALU_DEP_2)
	v_dual_mov_b32 v118, v65 :: v_dual_fmac_f32 v5, v95, v54
	s_wait_dscnt 0x0
	v_dual_mul_f32 v113, v98, v59 :: v_dual_mul_f32 v115, v100, v61
	v_dual_fma_f32 v11, v94, v54, -v11 :: v_dual_fma_f32 v13, v96, v56, -v13
	v_dual_mul_f32 v15, v99, v59 :: v_dual_mul_f32 v17, v101, v61
	v_dual_fmac_f32 v7, v97, v56 :: v_dual_add_f32 v5, 0, v5
	s_wait_loadcnt 0x3
	s_delay_alu instid0(VALU_DEP_3) | instskip(SKIP_2) | instid1(VALU_DEP_3)
	v_dual_add_f32 v11, 0, v11 :: v_dual_mov_b32 v56, v69
	v_pk_mul_f32 v[116:117], v[78:79], v[62:63] op_sel:[1,1] op_sel_hi:[0,1]
	v_dual_fmac_f32 v113, v99, v58 :: v_dual_fma_f32 v112, v98, v58, -v15
	v_dual_add_f32 v59, v5, v7 :: v_dual_add_f32 v58, v11, v13
	v_dual_fmac_f32 v115, v101, v60 :: v_dual_fma_f32 v114, v100, v60, -v17
	s_delay_alu instid0(VALU_DEP_4) | instskip(SKIP_1) | instid1(VALU_DEP_4)
	v_pk_fma_f32 v[60:61], v[78:79], v[62:63], v[116:117] op_sel_hi:[1,0,1]
	v_pk_mul_f32 v[94:95], v[104:105], v[118:119] op_sel_hi:[1,0]
	v_pk_add_f32 v[58:59], v[58:59], v[112:113]
	v_pk_fma_f32 v[62:63], v[78:79], v[62:63], v[116:117] neg_lo:[0,0,1] neg_hi:[0,0,1]
	v_pk_mul_f32 v[54:55], v[82:83], v[66:67] op_sel:[1,1] op_sel_hi:[0,1]
	v_mov_b32_e32 v63, v61
	v_pk_fma_f32 v[60:61], v[80:81], v[64:65], v[94:95] op_sel_hi:[1,0,1]
	v_pk_add_f32 v[58:59], v[58:59], v[114:115]
	v_pk_fma_f32 v[64:65], v[80:81], v[64:65], v[94:95] neg_lo:[0,0,1] neg_hi:[0,0,1]
	v_pk_fma_f32 v[78:79], v[82:83], v[66:67], v[54:55] op_sel_hi:[1,0,1]
	v_pk_mul_f32 v[56:57], v[106:107], v[56:57] op_sel_hi:[1,0]
	v_mov_b32_e32 v65, v61
	v_pk_add_f32 v[58:59], v[58:59], v[62:63]
	v_pk_fma_f32 v[54:55], v[82:83], v[66:67], v[54:55] neg_lo:[0,0,1] neg_hi:[0,0,1]
	s_wait_loadcnt 0x2
	v_pk_mul_f32 v[96:97], v[86:87], v[70:71] op_sel:[1,1] op_sel_hi:[0,1]
	v_dual_mov_b32 v60, v73 :: v_dual_mov_b32 v55, v79
	v_pk_fma_f32 v[62:63], v[84:85], v[68:69], v[56:57] op_sel_hi:[1,0,1]
	v_pk_add_f32 v[58:59], v[58:59], v[64:65]
	v_pk_fma_f32 v[56:57], v[84:85], v[68:69], v[56:57] neg_lo:[0,0,1] neg_hi:[0,0,1]
	v_pk_fma_f32 v[64:65], v[86:87], v[70:71], v[96:97] op_sel_hi:[1,0,1]
	v_pk_mul_f32 v[60:61], v[108:109], v[60:61] op_sel_hi:[1,0]
	v_mov_b32_e32 v57, v63
	v_pk_add_f32 v[54:55], v[58:59], v[54:55]
	v_pk_fma_f32 v[62:63], v[86:87], v[70:71], v[96:97] neg_lo:[0,0,1] neg_hi:[0,0,1]
	s_wait_loadcnt 0x1
	v_pk_mul_f32 v[58:59], v[90:91], v[74:75] op_sel:[1,1] op_sel_hi:[0,1]
	v_mov_b32_e32 v63, v65
	v_pk_fma_f32 v[64:65], v[88:89], v[72:73], v[60:61] op_sel_hi:[1,0,1]
	v_pk_add_f32 v[54:55], v[54:55], v[56:57]
	v_mov_b32_e32 v56, v77
	v_pk_fma_f32 v[60:61], v[88:89], v[72:73], v[60:61] neg_lo:[0,0,1] neg_hi:[0,0,1]
	v_pk_fma_f32 v[66:67], v[90:91], v[74:75], v[58:59] op_sel_hi:[1,0,1]
	v_mov_b32_e32 v61, v65
	v_pk_add_f32 v[54:55], v[54:55], v[62:63]
	v_pk_mul_f32 v[56:57], v[110:111], v[56:57] op_sel_hi:[1,0]
	v_pk_fma_f32 v[58:59], v[90:91], v[74:75], v[58:59] neg_lo:[0,0,1] neg_hi:[0,0,1]
	s_delay_alu instid0(VALU_DEP_3) | instskip(NEXT) | instid1(VALU_DEP_3)
	v_pk_add_f32 v[54:55], v[54:55], v[60:61]
	v_pk_fma_f32 v[60:61], v[92:93], v[76:77], v[56:57] op_sel_hi:[1,0,1]
	v_mov_b32_e32 v59, v67
	v_pk_fma_f32 v[56:57], v[92:93], v[76:77], v[56:57] neg_lo:[0,0,1] neg_hi:[0,0,1]
	s_delay_alu instid0(VALU_DEP_3) | instskip(NEXT) | instid1(VALU_DEP_3)
	v_mov_b32_e32 v57, v61
	v_pk_add_f32 v[54:55], v[54:55], v[58:59]
	s_delay_alu instid0(VALU_DEP_1) | instskip(SKIP_1) | instid1(VALU_DEP_1)
	v_pk_add_f32 v[54:55], v[54:55], v[56:57]
	s_wait_loadcnt 0x0
	v_pk_add_f32 v[54:55], v[102:103], v[54:55] neg_lo:[0,1] neg_hi:[0,1]
	scratch_store_b64 off, v[54:55], off offset:104
	s_wait_xcnt 0x0
	v_cmpx_lt_u32_e32 12, v0
	s_cbranch_execz .LBB25_145
; %bb.144:
	scratch_load_b64 v[54:55], off, off offset:96
	v_mov_b64_e32 v[56:57], 0
	scratch_store_b64 off, v[56:57], off offset:96
	s_wait_loadcnt 0x0
	ds_store_b64 v1, v[54:55]
.LBB25_145:
	s_wait_xcnt 0x0
	s_or_b32 exec_lo, exec_lo, s0
	s_wait_storecnt_dscnt 0x0
	s_barrier_signal -1
	s_barrier_wait -1
	s_clause 0x7
	scratch_load_b128 v[54:57], off, off offset:104
	scratch_load_b128 v[58:61], off, off offset:120
	;; [unrolled: 1-line block ×6, first 2 shown]
	scratch_load_b64 v[102:103], off, off offset:200
	scratch_load_b64 v[104:105], off, off offset:96
	v_mov_b32_e32 v5, 0
	ds_load_2addr_b64 v[78:81], v5 offset0:43 offset1:44
	ds_load_2addr_b64 v[82:85], v5 offset0:45 offset1:46
	;; [unrolled: 1-line block ×6, first 2 shown]
	ds_load_b64 v[106:107], v5 offset:408
	s_mov_b32 s0, exec_lo
	s_wait_dscnt 0x6
	v_dual_mov_b32 v108, v81 :: v_dual_mov_b32 v109, v80
	s_wait_dscnt 0x3
	v_dual_mov_b32 v110, v85 :: v_dual_mov_b32 v115, v92
	v_dual_mov_b32 v111, v84 :: v_dual_mov_b32 v112, v89
	;; [unrolled: 1-line block ×3, first 2 shown]
	s_wait_loadcnt_dscnt 0x702
	v_dual_mul_f32 v7, v94, v55 :: v_dual_mul_f32 v15, v95, v55
	v_dual_mul_f32 v17, v97, v57 :: v_dual_mul_f32 v11, v96, v57
	s_wait_loadcnt_dscnt 0x601
	s_delay_alu instid0(VALU_DEP_2) | instskip(NEXT) | instid1(VALU_DEP_2)
	v_dual_mul_f32 v13, v98, v59 :: v_dual_fmac_f32 v7, v95, v54
	v_dual_fma_f32 v15, v94, v54, -v15 :: v_dual_fma_f32 v17, v96, v56, -v17
	v_dual_mul_f32 v19, v99, v59 :: v_dual_mul_f32 v21, v101, v61
	s_wait_loadcnt 0x4
	v_mov_b32_e32 v54, v69
	v_dual_fmac_f32 v11, v97, v56 :: v_dual_add_f32 v7, 0, v7
	v_dual_add_f32 v15, 0, v15 :: v_dual_fmac_f32 v13, v99, v58
	v_dual_mul_f32 v117, v100, v61 :: v_dual_mul_f32 v119, v78, v63
	v_dual_mul_f32 v23, v79, v63 :: v_dual_mov_b32 v118, v65
	s_delay_alu instid0(VALU_DEP_4) | instskip(NEXT) | instid1(VALU_DEP_3)
	v_dual_fma_f32 v19, v98, v58, -v19 :: v_dual_add_f32 v7, v7, v11
	v_dual_add_f32 v11, v15, v17 :: v_dual_fmac_f32 v117, v101, v60
	v_pk_mul_f32 v[120:121], v[82:83], v[66:67] op_sel:[1,1] op_sel_hi:[0,1]
	s_delay_alu instid0(VALU_DEP_3)
	v_dual_fma_f32 v116, v100, v60, -v21 :: v_dual_add_f32 v61, v7, v13
	v_pk_mul_f32 v[58:59], v[108:109], v[118:119] op_sel_hi:[1,0]
	s_wait_loadcnt 0x3
	v_dual_add_f32 v60, v11, v19 :: v_dual_mov_b32 v94, v73
	v_fmac_f32_e32 v119, v79, v62
	v_fma_f32 v118, v78, v62, -v23
	v_pk_fma_f32 v[62:63], v[80:81], v[64:65], v[58:59] op_sel_hi:[1,0,1]
	s_delay_alu instid0(VALU_DEP_4) | instskip(SKIP_4) | instid1(VALU_DEP_4)
	v_pk_add_f32 v[60:61], v[60:61], v[116:117]
	v_pk_fma_f32 v[78:79], v[82:83], v[66:67], v[120:121] op_sel_hi:[1,0,1]
	v_pk_fma_f32 v[58:59], v[80:81], v[64:65], v[58:59] neg_lo:[0,0,1] neg_hi:[0,0,1]
	v_pk_fma_f32 v[64:65], v[82:83], v[66:67], v[120:121] neg_lo:[0,0,1] neg_hi:[0,0,1]
	v_pk_mul_f32 v[54:55], v[110:111], v[54:55] op_sel_hi:[1,0]
	v_dual_mov_b32 v59, v63 :: v_dual_mov_b32 v65, v79
	v_pk_add_f32 v[60:61], v[60:61], v[118:119]
	v_pk_mul_f32 v[56:57], v[86:87], v[70:71] op_sel:[1,1] op_sel_hi:[0,1]
	s_delay_alu instid0(VALU_DEP_4)
	v_pk_fma_f32 v[66:67], v[84:85], v[68:69], v[54:55] op_sel_hi:[1,0,1]
	v_pk_fma_f32 v[54:55], v[84:85], v[68:69], v[54:55] neg_lo:[0,0,1] neg_hi:[0,0,1]
	v_pk_mul_f32 v[78:79], v[112:113], v[94:95] op_sel_hi:[1,0]
	v_pk_add_f32 v[58:59], v[60:61], v[58:59]
	v_pk_fma_f32 v[60:61], v[86:87], v[70:71], v[56:57] op_sel_hi:[1,0,1]
	s_wait_loadcnt 0x2
	v_dual_mov_b32 v55, v67 :: v_dual_mov_b32 v60, v77
	v_pk_fma_f32 v[56:57], v[86:87], v[70:71], v[56:57] neg_lo:[0,0,1] neg_hi:[0,0,1]
	v_pk_add_f32 v[58:59], v[58:59], v[64:65]
	v_pk_mul_f32 v[62:63], v[90:91], v[74:75] op_sel:[1,1] op_sel_hi:[0,1]
	v_pk_fma_f32 v[64:65], v[88:89], v[72:73], v[78:79] op_sel_hi:[1,0,1]
	v_mov_b32_e32 v57, v61
	v_pk_fma_f32 v[66:67], v[88:89], v[72:73], v[78:79] neg_lo:[0,0,1] neg_hi:[0,0,1]
	v_pk_add_f32 v[54:55], v[58:59], v[54:55]
	v_pk_fma_f32 v[58:59], v[90:91], v[74:75], v[62:63] op_sel_hi:[1,0,1]
	v_pk_mul_f32 v[60:61], v[114:115], v[60:61] op_sel_hi:[1,0]
	v_mov_b32_e32 v67, v65
	s_delay_alu instid0(VALU_DEP_4)
	v_pk_add_f32 v[54:55], v[54:55], v[56:57]
	v_pk_fma_f32 v[56:57], v[90:91], v[74:75], v[62:63] neg_lo:[0,0,1] neg_hi:[0,0,1]
	v_mov_b32_e32 v57, v59
	v_pk_fma_f32 v[58:59], v[92:93], v[76:77], v[60:61] op_sel_hi:[1,0,1]
	s_wait_loadcnt_dscnt 0x100
	v_pk_mul_f32 v[62:63], v[106:107], v[102:103] op_sel:[1,1] op_sel_hi:[0,1]
	v_pk_add_f32 v[54:55], v[54:55], v[66:67]
	v_pk_fma_f32 v[60:61], v[92:93], v[76:77], v[60:61] neg_lo:[0,0,1] neg_hi:[0,0,1]
	v_mov_b32_e32 v61, v59
	s_delay_alu instid0(VALU_DEP_4) | instskip(NEXT) | instid1(VALU_DEP_4)
	v_pk_fma_f32 v[58:59], v[106:107], v[102:103], v[62:63] neg_lo:[0,0,1] neg_hi:[0,0,1]
	v_pk_add_f32 v[54:55], v[54:55], v[56:57]
	v_pk_fma_f32 v[56:57], v[106:107], v[102:103], v[62:63] op_sel_hi:[1,0,1]
	s_delay_alu instid0(VALU_DEP_2) | instskip(NEXT) | instid1(VALU_DEP_2)
	v_pk_add_f32 v[54:55], v[54:55], v[60:61]
	v_mov_b32_e32 v59, v57
	s_delay_alu instid0(VALU_DEP_1) | instskip(SKIP_1) | instid1(VALU_DEP_1)
	v_pk_add_f32 v[54:55], v[54:55], v[58:59]
	s_wait_loadcnt 0x0
	v_pk_add_f32 v[54:55], v[104:105], v[54:55] neg_lo:[0,1] neg_hi:[0,1]
	scratch_store_b64 off, v[54:55], off offset:96
	s_wait_xcnt 0x0
	v_cmpx_lt_u32_e32 11, v0
	s_cbranch_execz .LBB25_147
; %bb.146:
	scratch_load_b64 v[54:55], off, off offset:88
	v_mov_b64_e32 v[56:57], 0
	scratch_store_b64 off, v[56:57], off offset:88
	s_wait_loadcnt 0x0
	ds_store_b64 v1, v[54:55]
.LBB25_147:
	s_wait_xcnt 0x0
	s_or_b32 exec_lo, exec_lo, s0
	s_wait_storecnt_dscnt 0x0
	s_barrier_signal -1
	s_barrier_wait -1
	s_clause 0x7
	scratch_load_b128 v[54:57], off, off offset:96
	scratch_load_b128 v[58:61], off, off offset:112
	;; [unrolled: 1-line block ×7, first 2 shown]
	scratch_load_b64 v[110:111], off, off offset:88
	ds_load_b128 v[82:85], v5 offset:352
	ds_load_b128 v[86:89], v5 offset:368
	ds_load_b128 v[90:93], v5 offset:384
	ds_load_b128 v[94:97], v5 offset:400
	ds_load_b128 v[98:101], v5 offset:304
	ds_load_b128 v[102:105], v5 offset:320
	ds_load_b128 v[106:109], v5 offset:336
	s_mov_b32 s0, exec_lo
	s_wait_dscnt 0x6
	v_dual_mov_b32 v112, v85 :: v_dual_mov_b32 v113, v84
	s_wait_dscnt 0x5
	v_dual_mov_b32 v114, v89 :: v_dual_mov_b32 v115, v88
	;; [unrolled: 2-line block ×4, first 2 shown]
	s_wait_loadcnt_dscnt 0x702
	v_dual_mul_f32 v5, v98, v55 :: v_dual_mul_f32 v7, v100, v57
	v_dual_mul_f32 v15, v99, v55 :: v_dual_mul_f32 v17, v101, v57
	s_wait_loadcnt_dscnt 0x601
	v_dual_mul_f32 v11, v102, v59 :: v_dual_mul_f32 v13, v104, v61
	s_delay_alu instid0(VALU_DEP_2) | instskip(SKIP_2) | instid1(VALU_DEP_3)
	v_dual_fmac_f32 v5, v99, v54 :: v_dual_fma_f32 v15, v98, v54, -v15
	v_dual_mul_f32 v19, v103, v59 :: v_dual_mul_f32 v21, v105, v61
	v_dual_fmac_f32 v7, v101, v56 :: v_dual_fma_f32 v17, v100, v56, -v17
	v_dual_add_f32 v5, 0, v5 :: v_dual_add_f32 v15, 0, v15
	s_wait_loadcnt 0x4
	v_dual_mov_b32 v56, v69 :: v_dual_fmac_f32 v11, v103, v58
	s_delay_alu instid0(VALU_DEP_2) | instskip(NEXT) | instid1(VALU_DEP_3)
	v_dual_fma_f32 v19, v102, v58, -v19 :: v_dual_add_f32 v5, v5, v7
	v_dual_add_f32 v7, v15, v17 :: v_dual_fmac_f32 v13, v105, v60
	s_wait_dscnt 0x0
	v_dual_mul_f32 v121, v106, v63 :: v_dual_mul_f32 v123, v108, v65
	v_dual_mul_f32 v23, v107, v63 :: v_dual_mul_f32 v25, v109, v65
	v_dual_fma_f32 v15, v104, v60, -v21 :: v_dual_add_f32 v5, v5, v11
	s_wait_loadcnt 0x3
	v_dual_add_f32 v7, v7, v19 :: v_dual_mov_b32 v60, v73
	v_pk_mul_f32 v[54:55], v[82:83], v[66:67] op_sel:[1,1] op_sel_hi:[0,1]
	v_dual_fmac_f32 v121, v107, v62 :: v_dual_fma_f32 v120, v106, v62, -v23
	s_delay_alu instid0(VALU_DEP_3) | instskip(SKIP_1) | instid1(VALU_DEP_4)
	v_dual_add_f32 v63, v5, v13 :: v_dual_add_f32 v62, v7, v15
	v_dual_fmac_f32 v123, v109, v64 :: v_dual_fma_f32 v122, v108, v64, -v25
	v_pk_fma_f32 v[64:65], v[82:83], v[66:67], v[54:55] op_sel_hi:[1,0,1]
	v_pk_mul_f32 v[56:57], v[112:113], v[56:57] op_sel_hi:[1,0]
	s_delay_alu instid0(VALU_DEP_4)
	v_pk_add_f32 v[62:63], v[62:63], v[120:121]
	v_pk_fma_f32 v[54:55], v[82:83], v[66:67], v[54:55] neg_lo:[0,0,1] neg_hi:[0,0,1]
	v_pk_mul_f32 v[58:59], v[86:87], v[70:71] op_sel:[1,1] op_sel_hi:[0,1]
	v_mov_b32_e32 v55, v65
	v_pk_fma_f32 v[64:65], v[84:85], v[68:69], v[56:57] op_sel_hi:[1,0,1]
	v_pk_add_f32 v[62:63], v[62:63], v[122:123]
	v_pk_fma_f32 v[56:57], v[84:85], v[68:69], v[56:57] neg_lo:[0,0,1] neg_hi:[0,0,1]
	v_pk_fma_f32 v[66:67], v[86:87], v[70:71], v[58:59] op_sel_hi:[1,0,1]
	v_pk_mul_f32 v[60:61], v[114:115], v[60:61] op_sel_hi:[1,0]
	v_mov_b32_e32 v57, v65
	v_pk_add_f32 v[54:55], v[62:63], v[54:55]
	s_wait_loadcnt 0x2
	v_pk_mul_f32 v[98:99], v[90:91], v[74:75] op_sel:[1,1] op_sel_hi:[0,1]
	v_mov_b32_e32 v62, v77
	v_pk_fma_f32 v[58:59], v[86:87], v[70:71], v[58:59] neg_lo:[0,0,1] neg_hi:[0,0,1]
	v_mov_b32_e32 v59, v67
	v_pk_fma_f32 v[64:65], v[88:89], v[72:73], v[60:61] op_sel_hi:[1,0,1]
	v_pk_add_f32 v[54:55], v[54:55], v[56:57]
	v_pk_fma_f32 v[56:57], v[90:91], v[74:75], v[98:99] op_sel_hi:[1,0,1]
	v_pk_mul_f32 v[62:63], v[116:117], v[62:63] op_sel_hi:[1,0]
	v_pk_fma_f32 v[60:61], v[88:89], v[72:73], v[60:61] neg_lo:[0,0,1] neg_hi:[0,0,1]
	v_mov_b32_e32 v61, v65
	v_pk_add_f32 v[54:55], v[54:55], v[58:59]
	v_pk_fma_f32 v[64:65], v[90:91], v[74:75], v[98:99] neg_lo:[0,0,1] neg_hi:[0,0,1]
	v_mov_b32_e32 v65, v57
	v_pk_fma_f32 v[56:57], v[92:93], v[76:77], v[62:63] op_sel_hi:[1,0,1]
	s_wait_loadcnt 0x1
	v_pk_mul_f32 v[58:59], v[94:95], v[78:79] op_sel:[1,1] op_sel_hi:[0,1]
	v_pk_add_f32 v[54:55], v[54:55], v[60:61]
	v_mov_b32_e32 v56, v81
	v_pk_fma_f32 v[62:63], v[92:93], v[76:77], v[62:63] neg_lo:[0,0,1] neg_hi:[0,0,1]
	v_mov_b32_e32 v63, v57
	v_pk_fma_f32 v[60:61], v[94:95], v[78:79], v[58:59] op_sel_hi:[1,0,1]
	v_pk_add_f32 v[54:55], v[54:55], v[64:65]
	v_pk_mul_f32 v[56:57], v[118:119], v[56:57] op_sel_hi:[1,0]
	v_pk_fma_f32 v[58:59], v[94:95], v[78:79], v[58:59] neg_lo:[0,0,1] neg_hi:[0,0,1]
	s_delay_alu instid0(VALU_DEP_4) | instskip(NEXT) | instid1(VALU_DEP_4)
	v_mov_b32_e32 v59, v61
	v_pk_add_f32 v[54:55], v[54:55], v[62:63]
	s_delay_alu instid0(VALU_DEP_4) | instskip(SKIP_1) | instid1(VALU_DEP_2)
	v_pk_fma_f32 v[60:61], v[96:97], v[80:81], v[56:57] op_sel_hi:[1,0,1]
	v_pk_fma_f32 v[56:57], v[96:97], v[80:81], v[56:57] neg_lo:[0,0,1] neg_hi:[0,0,1]
	v_mov_b32_e32 v57, v61
	s_delay_alu instid0(VALU_DEP_4) | instskip(NEXT) | instid1(VALU_DEP_1)
	v_pk_add_f32 v[54:55], v[54:55], v[58:59]
	v_pk_add_f32 v[54:55], v[54:55], v[56:57]
	s_wait_loadcnt 0x0
	s_delay_alu instid0(VALU_DEP_1)
	v_pk_add_f32 v[54:55], v[110:111], v[54:55] neg_lo:[0,1] neg_hi:[0,1]
	scratch_store_b64 off, v[54:55], off offset:88
	s_wait_xcnt 0x0
	v_cmpx_lt_u32_e32 10, v0
	s_cbranch_execz .LBB25_149
; %bb.148:
	scratch_load_b64 v[54:55], off, off offset:80
	v_mov_b64_e32 v[56:57], 0
	scratch_store_b64 off, v[56:57], off offset:80
	s_wait_loadcnt 0x0
	ds_store_b64 v1, v[54:55]
.LBB25_149:
	s_wait_xcnt 0x0
	s_or_b32 exec_lo, exec_lo, s0
	s_wait_storecnt_dscnt 0x0
	s_barrier_signal -1
	s_barrier_wait -1
	s_clause 0x8
	scratch_load_b128 v[54:57], off, off offset:88
	scratch_load_b128 v[58:61], off, off offset:104
	;; [unrolled: 1-line block ×7, first 2 shown]
	scratch_load_b64 v[110:111], off, off offset:200
	scratch_load_b64 v[112:113], off, off offset:80
	v_mov_b32_e32 v5, 0
	ds_load_2addr_b64 v[82:85], v5 offset0:43 offset1:44
	ds_load_2addr_b64 v[86:89], v5 offset0:45 offset1:46
	;; [unrolled: 1-line block ×7, first 2 shown]
	ds_load_b64 v[114:115], v5 offset:408
	s_mov_b32 s0, exec_lo
	s_wait_dscnt 0x7
	v_dual_mov_b32 v116, v85 :: v_dual_mov_b32 v117, v84
	s_wait_dscnt 0x4
	v_dual_mov_b32 v118, v89 :: v_dual_mov_b32 v123, v96
	v_dual_mov_b32 v119, v88 :: v_dual_mov_b32 v120, v93
	;; [unrolled: 1-line block ×3, first 2 shown]
	s_wait_loadcnt_dscnt 0x803
	v_dual_mul_f32 v7, v98, v55 :: v_dual_mul_f32 v19, v99, v55
	v_dual_mul_f32 v21, v101, v57 :: v_dual_mul_f32 v11, v100, v57
	s_wait_loadcnt_dscnt 0x702
	v_mul_f32_e32 v13, v102, v59
	s_wait_loadcnt 0x5
	v_dual_mul_f32 v31, v83, v67 :: v_dual_fma_f32 v19, v98, v54, -v19
	v_dual_fmac_f32 v7, v99, v54 :: v_dual_mov_b32 v54, v69
	v_dual_mul_f32 v23, v103, v59 :: v_dual_mul_f32 v25, v105, v61
	v_dual_fmac_f32 v11, v101, v56 :: v_dual_fma_f32 v21, v100, v56, -v21
	s_delay_alu instid0(VALU_DEP_3) | instskip(NEXT) | instid1(VALU_DEP_3)
	v_dual_add_f32 v7, 0, v7 :: v_dual_fmac_f32 v13, v103, v58
	v_dual_add_f32 v19, 0, v19 :: v_dual_fma_f32 v23, v102, v58, -v23
	s_wait_dscnt 0x1
	v_dual_mul_f32 v15, v104, v61 :: v_dual_mul_f32 v17, v106, v63
	s_wait_loadcnt 0x4
	v_dual_add_f32 v7, v7, v11 :: v_dual_mov_b32 v58, v73
	s_delay_alu instid0(VALU_DEP_2) | instskip(SKIP_1) | instid1(VALU_DEP_3)
	v_dual_add_f32 v11, v19, v21 :: v_dual_fmac_f32 v15, v105, v60
	v_dual_mul_f32 v27, v107, v63 :: v_dual_mul_f32 v29, v109, v65
	v_dual_fma_f32 v19, v104, v60, -v25 :: v_dual_add_f32 v7, v7, v13
	s_delay_alu instid0(VALU_DEP_2) | instskip(SKIP_2) | instid1(VALU_DEP_4)
	v_dual_add_f32 v11, v11, v23 :: v_dual_fma_f32 v13, v106, v62, -v27
	v_dual_mul_f32 v125, v108, v65 :: v_dual_mul_f32 v127, v82, v67
	v_fmac_f32_e32 v17, v107, v62
	v_add_f32_e32 v7, v7, v15
	s_delay_alu instid0(VALU_DEP_4)
	v_dual_add_f32 v11, v11, v19 :: v_dual_fma_f32 v124, v108, v64, -v29
	v_pk_mul_f32 v[54:55], v[116:117], v[54:55] op_sel_hi:[1,0]
	v_pk_mul_f32 v[58:59], v[118:119], v[58:59] op_sel_hi:[1,0]
	v_pk_mul_f32 v[56:57], v[86:87], v[70:71] op_sel:[1,1] op_sel_hi:[0,1]
	v_fmac_f32_e32 v125, v109, v64
	s_wait_loadcnt 0x3
	v_dual_mov_b32 v64, v77 :: v_dual_add_f32 v63, v7, v17
	v_fma_f32 v126, v82, v66, -v31
	v_fmac_f32_e32 v127, v83, v66
	v_pk_fma_f32 v[66:67], v[84:85], v[68:69], v[54:55] op_sel_hi:[1,0,1]
	v_pk_fma_f32 v[54:55], v[84:85], v[68:69], v[54:55] neg_lo:[0,0,1] neg_hi:[0,0,1]
	v_pk_fma_f32 v[68:69], v[88:89], v[72:73], v[58:59] op_sel_hi:[1,0,1]
	v_add_f32_e32 v62, v11, v13
	v_pk_fma_f32 v[58:59], v[88:89], v[72:73], v[58:59] neg_lo:[0,0,1] neg_hi:[0,0,1]
	v_pk_fma_f32 v[82:83], v[86:87], v[70:71], v[56:57] op_sel_hi:[1,0,1]
	v_pk_fma_f32 v[56:57], v[86:87], v[70:71], v[56:57] neg_lo:[0,0,1] neg_hi:[0,0,1]
	v_mov_b32_e32 v59, v69
	v_pk_add_f32 v[62:63], v[62:63], v[124:125]
	s_delay_alu instid0(VALU_DEP_4) | instskip(SKIP_2) | instid1(VALU_DEP_4)
	v_dual_mov_b32 v55, v67 :: v_dual_mov_b32 v57, v83
	v_pk_mul_f32 v[60:61], v[90:91], v[74:75] op_sel:[1,1] op_sel_hi:[0,1]
	v_pk_mul_f32 v[64:65], v[120:121], v[64:65] op_sel_hi:[1,0]
	v_pk_add_f32 v[62:63], v[62:63], v[126:127]
	s_wait_loadcnt 0x2
	v_pk_mul_f32 v[66:67], v[94:95], v[78:79] op_sel:[1,1] op_sel_hi:[0,1]
	s_delay_alu instid0(VALU_DEP_2) | instskip(SKIP_2) | instid1(VALU_DEP_3)
	v_pk_add_f32 v[54:55], v[62:63], v[54:55]
	v_pk_fma_f32 v[62:63], v[90:91], v[74:75], v[60:61] op_sel_hi:[1,0,1]
	v_pk_fma_f32 v[60:61], v[90:91], v[74:75], v[60:61] neg_lo:[0,0,1] neg_hi:[0,0,1]
	v_pk_add_f32 v[54:55], v[54:55], v[56:57]
	s_delay_alu instid0(VALU_DEP_3) | instskip(SKIP_2) | instid1(VALU_DEP_4)
	v_dual_mov_b32 v56, v81 :: v_dual_mov_b32 v61, v63
	v_pk_fma_f32 v[62:63], v[92:93], v[76:77], v[64:65] op_sel_hi:[1,0,1]
	v_pk_fma_f32 v[64:65], v[92:93], v[76:77], v[64:65] neg_lo:[0,0,1] neg_hi:[0,0,1]
	v_pk_add_f32 v[54:55], v[54:55], v[58:59]
	v_pk_fma_f32 v[58:59], v[94:95], v[78:79], v[66:67] op_sel_hi:[1,0,1]
	v_pk_mul_f32 v[56:57], v[122:123], v[56:57] op_sel_hi:[1,0]
	v_mov_b32_e32 v65, v63
	s_wait_loadcnt_dscnt 0x100
	v_pk_mul_f32 v[62:63], v[114:115], v[110:111] op_sel:[1,1] op_sel_hi:[0,1]
	v_pk_add_f32 v[54:55], v[54:55], v[60:61]
	v_pk_fma_f32 v[60:61], v[94:95], v[78:79], v[66:67] neg_lo:[0,0,1] neg_hi:[0,0,1]
	v_mov_b32_e32 v61, v59
	v_pk_fma_f32 v[58:59], v[96:97], v[80:81], v[56:57] op_sel_hi:[1,0,1]
	v_pk_fma_f32 v[56:57], v[96:97], v[80:81], v[56:57] neg_lo:[0,0,1] neg_hi:[0,0,1]
	v_pk_add_f32 v[54:55], v[54:55], v[64:65]
	s_delay_alu instid0(VALU_DEP_3) | instskip(SKIP_1) | instid1(VALU_DEP_3)
	v_mov_b32_e32 v57, v59
	v_pk_fma_f32 v[58:59], v[114:115], v[110:111], v[62:63] op_sel_hi:[1,0,1]
	v_pk_add_f32 v[54:55], v[54:55], v[60:61]
	v_pk_fma_f32 v[60:61], v[114:115], v[110:111], v[62:63] neg_lo:[0,0,1] neg_hi:[0,0,1]
	s_delay_alu instid0(VALU_DEP_3) | instskip(NEXT) | instid1(VALU_DEP_3)
	v_mov_b32_e32 v61, v59
	v_pk_add_f32 v[54:55], v[54:55], v[56:57]
	s_delay_alu instid0(VALU_DEP_1) | instskip(SKIP_1) | instid1(VALU_DEP_1)
	v_pk_add_f32 v[54:55], v[54:55], v[60:61]
	s_wait_loadcnt 0x0
	v_pk_add_f32 v[54:55], v[112:113], v[54:55] neg_lo:[0,1] neg_hi:[0,1]
	scratch_store_b64 off, v[54:55], off offset:80
	s_wait_xcnt 0x0
	v_cmpx_lt_u32_e32 9, v0
	s_cbranch_execz .LBB25_151
; %bb.150:
	scratch_load_b64 v[54:55], off, off offset:72
	v_mov_b64_e32 v[56:57], 0
	scratch_store_b64 off, v[56:57], off offset:72
	s_wait_loadcnt 0x0
	ds_store_b64 v1, v[54:55]
.LBB25_151:
	s_wait_xcnt 0x0
	s_or_b32 exec_lo, exec_lo, s0
	s_wait_storecnt_dscnt 0x0
	s_barrier_signal -1
	s_barrier_wait -1
	s_clause 0x8
	scratch_load_b128 v[54:57], off, off offset:80
	scratch_load_b128 v[58:61], off, off offset:96
	scratch_load_b128 v[62:65], off, off offset:112
	scratch_load_b128 v[66:69], off, off offset:128
	scratch_load_b128 v[70:73], off, off offset:144
	scratch_load_b128 v[74:77], off, off offset:160
	scratch_load_b128 v[78:81], off, off offset:176
	scratch_load_b128 v[82:85], off, off offset:192
	scratch_load_b64 v[118:119], off, off offset:72
	ds_load_b128 v[86:89], v5 offset:352
	ds_load_b128 v[90:93], v5 offset:368
	;; [unrolled: 1-line block ×8, first 2 shown]
	s_mov_b32 s0, exec_lo
	s_wait_dscnt 0x7
	v_dual_mov_b32 v120, v89 :: v_dual_mov_b32 v121, v88
	s_wait_dscnt 0x6
	v_dual_mov_b32 v122, v93 :: v_dual_mov_b32 v123, v92
	;; [unrolled: 2-line block ×4, first 2 shown]
	s_wait_loadcnt_dscnt 0x803
	v_dual_mul_f32 v5, v102, v55 :: v_dual_mul_f32 v7, v104, v57
	v_dual_mul_f32 v19, v103, v55 :: v_dual_mul_f32 v21, v105, v57
	s_wait_loadcnt_dscnt 0x702
	v_dual_mul_f32 v11, v106, v59 :: v_dual_mul_f32 v13, v108, v61
	s_delay_alu instid0(VALU_DEP_2) | instskip(SKIP_3) | instid1(VALU_DEP_3)
	v_dual_fmac_f32 v5, v103, v54 :: v_dual_fma_f32 v19, v102, v54, -v19
	v_dual_mul_f32 v23, v107, v59 :: v_dual_mul_f32 v25, v109, v61
	s_wait_loadcnt_dscnt 0x500
	v_dual_mul_f32 v31, v115, v67 :: v_dual_fmac_f32 v7, v105, v56
	v_dual_fma_f32 v21, v104, v56, -v21 :: v_dual_add_f32 v5, 0, v5
	v_dual_add_f32 v19, 0, v19 :: v_dual_mul_f32 v33, v117, v69
	v_fmac_f32_e32 v11, v107, v58
	s_delay_alu instid0(VALU_DEP_3) | instskip(NEXT) | instid1(VALU_DEP_3)
	v_dual_fma_f32 v23, v106, v58, -v23 :: v_dual_add_f32 v5, v5, v7
	v_dual_add_f32 v7, v19, v21 :: v_dual_mul_f32 v15, v110, v63
	v_dual_mul_f32 v17, v112, v65 :: v_dual_mul_f32 v27, v111, v63
	v_mul_f32_e32 v29, v113, v65
	s_delay_alu instid0(VALU_DEP_3) | instskip(SKIP_3) | instid1(VALU_DEP_2)
	v_dual_fmac_f32 v13, v109, v60 :: v_dual_add_f32 v7, v7, v23
	v_dual_fma_f32 v19, v108, v60, -v25 :: v_dual_add_f32 v5, v5, v11
	s_wait_loadcnt 0x4
	v_dual_mov_b32 v56, v73 :: v_dual_fmac_f32 v15, v111, v62
	v_dual_fma_f32 v11, v110, v62, -v27 :: v_dual_add_f32 v7, v7, v19
	v_fmac_f32_e32 v17, v113, v64
	v_dual_add_f32 v5, v5, v13 :: v_dual_mul_f32 v129, v114, v67
	v_mul_f32_e32 v131, v116, v69
	s_delay_alu instid0(VALU_DEP_4)
	v_dual_fma_f32 v13, v112, v64, -v29 :: v_dual_add_f32 v7, v7, v11
	s_wait_loadcnt 0x3
	v_mov_b32_e32 v60, v77
	v_add_f32_e32 v5, v5, v15
	v_pk_mul_f32 v[54:55], v[86:87], v[70:71] op_sel:[1,1] op_sel_hi:[0,1]
	v_dual_fmac_f32 v129, v115, v66 :: v_dual_fma_f32 v128, v114, v66, -v31
	v_dual_add_f32 v62, v7, v13 :: v_dual_fmac_f32 v131, v117, v68
	s_delay_alu instid0(VALU_DEP_4) | instskip(NEXT) | instid1(VALU_DEP_4)
	v_dual_add_f32 v63, v5, v17 :: v_dual_fma_f32 v130, v116, v68, -v33
	v_pk_fma_f32 v[64:65], v[86:87], v[70:71], v[54:55] op_sel_hi:[1,0,1]
	v_pk_mul_f32 v[56:57], v[120:121], v[56:57] op_sel_hi:[1,0]
	v_pk_fma_f32 v[54:55], v[86:87], v[70:71], v[54:55] neg_lo:[0,0,1] neg_hi:[0,0,1]
	s_delay_alu instid0(VALU_DEP_4)
	v_pk_add_f32 v[62:63], v[62:63], v[128:129]
	v_pk_mul_f32 v[58:59], v[90:91], v[74:75] op_sel:[1,1] op_sel_hi:[0,1]
	v_mov_b32_e32 v55, v65
	v_pk_fma_f32 v[64:65], v[88:89], v[72:73], v[56:57] op_sel_hi:[1,0,1]
	v_pk_fma_f32 v[56:57], v[88:89], v[72:73], v[56:57] neg_lo:[0,0,1] neg_hi:[0,0,1]
	v_pk_add_f32 v[62:63], v[62:63], v[130:131]
	v_pk_fma_f32 v[68:69], v[90:91], v[74:75], v[58:59] op_sel_hi:[1,0,1]
	v_pk_mul_f32 v[60:61], v[122:123], v[60:61] op_sel_hi:[1,0]
	v_mov_b32_e32 v57, v65
	s_wait_loadcnt 0x2
	v_pk_mul_f32 v[66:67], v[94:95], v[78:79] op_sel:[1,1] op_sel_hi:[0,1]
	v_pk_add_f32 v[54:55], v[62:63], v[54:55]
	v_mov_b32_e32 v62, v81
	v_pk_fma_f32 v[58:59], v[90:91], v[74:75], v[58:59] neg_lo:[0,0,1] neg_hi:[0,0,1]
	v_mov_b32_e32 v59, v69
	v_pk_fma_f32 v[64:65], v[92:93], v[76:77], v[60:61] op_sel_hi:[1,0,1]
	v_pk_add_f32 v[54:55], v[54:55], v[56:57]
	v_pk_fma_f32 v[56:57], v[94:95], v[78:79], v[66:67] op_sel_hi:[1,0,1]
	v_pk_mul_f32 v[62:63], v[124:125], v[62:63] op_sel_hi:[1,0]
	v_pk_fma_f32 v[60:61], v[92:93], v[76:77], v[60:61] neg_lo:[0,0,1] neg_hi:[0,0,1]
	v_mov_b32_e32 v61, v65
	v_pk_add_f32 v[54:55], v[54:55], v[58:59]
	v_pk_fma_f32 v[64:65], v[94:95], v[78:79], v[66:67] neg_lo:[0,0,1] neg_hi:[0,0,1]
	v_mov_b32_e32 v65, v57
	v_pk_fma_f32 v[56:57], v[96:97], v[80:81], v[62:63] op_sel_hi:[1,0,1]
	s_wait_loadcnt 0x1
	v_pk_mul_f32 v[58:59], v[98:99], v[82:83] op_sel:[1,1] op_sel_hi:[0,1]
	v_pk_add_f32 v[54:55], v[54:55], v[60:61]
	v_mov_b32_e32 v56, v85
	v_pk_fma_f32 v[62:63], v[96:97], v[80:81], v[62:63] neg_lo:[0,0,1] neg_hi:[0,0,1]
	v_mov_b32_e32 v63, v57
	v_pk_fma_f32 v[60:61], v[98:99], v[82:83], v[58:59] op_sel_hi:[1,0,1]
	v_pk_add_f32 v[54:55], v[54:55], v[64:65]
	v_pk_mul_f32 v[56:57], v[126:127], v[56:57] op_sel_hi:[1,0]
	v_pk_fma_f32 v[58:59], v[98:99], v[82:83], v[58:59] neg_lo:[0,0,1] neg_hi:[0,0,1]
	s_delay_alu instid0(VALU_DEP_4) | instskip(NEXT) | instid1(VALU_DEP_4)
	v_mov_b32_e32 v59, v61
	v_pk_add_f32 v[54:55], v[54:55], v[62:63]
	s_delay_alu instid0(VALU_DEP_4) | instskip(SKIP_1) | instid1(VALU_DEP_2)
	v_pk_fma_f32 v[60:61], v[100:101], v[84:85], v[56:57] op_sel_hi:[1,0,1]
	v_pk_fma_f32 v[56:57], v[100:101], v[84:85], v[56:57] neg_lo:[0,0,1] neg_hi:[0,0,1]
	v_mov_b32_e32 v57, v61
	s_delay_alu instid0(VALU_DEP_4) | instskip(NEXT) | instid1(VALU_DEP_1)
	v_pk_add_f32 v[54:55], v[54:55], v[58:59]
	v_pk_add_f32 v[54:55], v[54:55], v[56:57]
	s_wait_loadcnt 0x0
	s_delay_alu instid0(VALU_DEP_1)
	v_pk_add_f32 v[54:55], v[118:119], v[54:55] neg_lo:[0,1] neg_hi:[0,1]
	scratch_store_b64 off, v[54:55], off offset:72
	s_wait_xcnt 0x0
	v_cmpx_lt_u32_e32 8, v0
	s_cbranch_execz .LBB25_153
; %bb.152:
	scratch_load_b64 v[54:55], off, off offset:64
	v_mov_b64_e32 v[56:57], 0
	scratch_store_b64 off, v[56:57], off offset:64
	s_wait_loadcnt 0x0
	ds_store_b64 v1, v[54:55]
.LBB25_153:
	s_wait_xcnt 0x0
	s_or_b32 exec_lo, exec_lo, s0
	s_wait_storecnt_dscnt 0x0
	s_barrier_signal -1
	s_barrier_wait -1
	s_clause 0x9
	scratch_load_b128 v[54:57], off, off offset:72
	scratch_load_b128 v[58:61], off, off offset:88
	;; [unrolled: 1-line block ×8, first 2 shown]
	scratch_load_b64 v[118:119], off, off offset:200
	scratch_load_b64 v[120:121], off, off offset:64
	v_mov_b32_e32 v5, 0
	ds_load_2addr_b64 v[86:89], v5 offset0:43 offset1:44
	ds_load_2addr_b64 v[90:93], v5 offset0:45 offset1:46
	;; [unrolled: 1-line block ×8, first 2 shown]
	ds_load_b64 v[122:123], v5 offset:408
	s_mov_b32 s0, exec_lo
	s_wait_dscnt 0x7
	v_dual_mov_b32 v125, v88 :: v_dual_mov_b32 v126, v93
	s_wait_dscnt 0x6
	v_dual_mov_b32 v127, v92 :: v_dual_mov_b32 v128, v97
	;; [unrolled: 2-line block ×3, first 2 shown]
	v_dual_mov_b32 v129, v96 :: v_dual_mov_b32 v130, v101
	s_wait_loadcnt_dscnt 0x904
	v_dual_mul_f32 v7, v102, v55 :: v_dual_mul_f32 v23, v103, v55
	v_dual_mul_f32 v25, v105, v57 :: v_dual_mul_f32 v11, v104, v57
	s_wait_loadcnt_dscnt 0x803
	v_mul_f32_e32 v13, v106, v59
	s_wait_loadcnt_dscnt 0x601
	v_dual_mul_f32 v35, v115, v67 :: v_dual_fma_f32 v23, v102, v54, -v23
	v_dual_fmac_f32 v7, v103, v54 :: v_dual_mul_f32 v37, v117, v69
	v_dual_mul_f32 v27, v107, v59 :: v_dual_mul_f32 v29, v109, v61
	v_dual_fmac_f32 v11, v105, v56 :: v_dual_fma_f32 v25, v104, v56, -v25
	s_delay_alu instid0(VALU_DEP_3) | instskip(NEXT) | instid1(VALU_DEP_3)
	v_dual_add_f32 v7, 0, v7 :: v_dual_fmac_f32 v13, v107, v58
	v_dual_add_f32 v23, 0, v23 :: v_dual_fma_f32 v27, v106, v58, -v27
	v_dual_mul_f32 v15, v108, v61 :: v_dual_mul_f32 v17, v110, v63
	s_delay_alu instid0(VALU_DEP_3) | instskip(NEXT) | instid1(VALU_DEP_3)
	v_add_f32_e32 v7, v7, v11
	v_dual_add_f32 v11, v23, v25 :: v_dual_fma_f32 v23, v108, v60, -v29
	v_dual_mul_f32 v31, v111, v63 :: v_dual_mul_f32 v33, v113, v65
	s_delay_alu instid0(VALU_DEP_3) | instskip(SKIP_1) | instid1(VALU_DEP_3)
	v_dual_fmac_f32 v15, v109, v60 :: v_dual_add_f32 v7, v7, v13
	s_wait_loadcnt 0x4
	v_dual_add_f32 v11, v11, v27 :: v_dual_mov_b32 v58, v77
	v_dual_mul_f32 v19, v112, v65 :: v_dual_mul_f32 v21, v114, v67
	v_dual_fmac_f32 v17, v111, v62 :: v_dual_fma_f32 v13, v110, v62, -v31
	v_dual_add_f32 v7, v7, v15 :: v_dual_fma_f32 v15, v112, v64, -v33
	s_delay_alu instid0(VALU_DEP_4) | instskip(SKIP_2) | instid1(VALU_DEP_4)
	v_dual_add_f32 v11, v11, v23 :: v_dual_mul_f32 v133, v116, v69
	v_mul_f32_e32 v135, v86, v71
	v_pk_mul_f32 v[56:57], v[90:91], v[74:75] op_sel:[1,1] op_sel_hi:[0,1]
	v_dual_fmac_f32 v19, v113, v64 :: v_dual_add_f32 v7, v7, v17
	s_delay_alu instid0(VALU_DEP_4) | instskip(SKIP_4) | instid1(VALU_DEP_3)
	v_dual_fmac_f32 v133, v117, v68 :: v_dual_add_f32 v11, v11, v13
	v_dual_fma_f32 v132, v116, v68, -v37 :: v_dual_mul_f32 v39, v87, v71
	v_dual_mov_b32 v54, v73 :: v_dual_fmac_f32 v21, v115, v66
	s_wait_loadcnt 0x3
	v_dual_mov_b32 v64, v81 :: v_dual_fma_f32 v13, v114, v66, -v35
	v_dual_add_f32 v7, v7, v19 :: v_dual_fma_f32 v134, v86, v70, -v39
	v_pk_fma_f32 v[68:69], v[90:91], v[74:75], v[56:57] op_sel_hi:[1,0,1]
	v_add_f32_e32 v11, v11, v15
	v_pk_mul_f32 v[58:59], v[126:127], v[58:59] op_sel_hi:[1,0]
	v_pk_fma_f32 v[56:57], v[90:91], v[74:75], v[56:57] neg_lo:[0,0,1] neg_hi:[0,0,1]
	v_pk_mul_f32 v[54:55], v[124:125], v[54:55] op_sel_hi:[1,0]
	s_delay_alu instid0(VALU_DEP_4) | instskip(NEXT) | instid1(VALU_DEP_4)
	v_dual_mov_b32 v57, v69 :: v_dual_add_f32 v62, v11, v13
	v_pk_fma_f32 v[68:69], v[92:93], v[76:77], v[58:59] op_sel_hi:[1,0,1]
	v_add_f32_e32 v63, v7, v21
	v_pk_fma_f32 v[58:59], v[92:93], v[76:77], v[58:59] neg_lo:[0,0,1] neg_hi:[0,0,1]
	v_fmac_f32_e32 v135, v87, v70
	v_pk_fma_f32 v[66:67], v[88:89], v[72:73], v[54:55] op_sel_hi:[1,0,1]
	v_mov_b32_e32 v59, v69
	v_pk_add_f32 v[62:63], v[62:63], v[132:133]
	v_pk_fma_f32 v[54:55], v[88:89], v[72:73], v[54:55] neg_lo:[0,0,1] neg_hi:[0,0,1]
	v_pk_mul_f32 v[60:61], v[94:95], v[78:79] op_sel:[1,1] op_sel_hi:[0,1]
	v_mov_b32_e32 v55, v67
	v_pk_mul_f32 v[64:65], v[128:129], v[64:65] op_sel_hi:[1,0]
	v_pk_add_f32 v[62:63], v[62:63], v[134:135]
	s_wait_loadcnt 0x2
	v_pk_mul_f32 v[66:67], v[98:99], v[82:83] op_sel:[1,1] op_sel_hi:[0,1]
	s_delay_alu instid0(VALU_DEP_2) | instskip(SKIP_2) | instid1(VALU_DEP_3)
	v_pk_add_f32 v[54:55], v[62:63], v[54:55]
	v_pk_fma_f32 v[62:63], v[94:95], v[78:79], v[60:61] op_sel_hi:[1,0,1]
	v_pk_fma_f32 v[60:61], v[94:95], v[78:79], v[60:61] neg_lo:[0,0,1] neg_hi:[0,0,1]
	v_pk_add_f32 v[54:55], v[54:55], v[56:57]
	s_delay_alu instid0(VALU_DEP_3) | instskip(SKIP_2) | instid1(VALU_DEP_4)
	v_dual_mov_b32 v56, v85 :: v_dual_mov_b32 v61, v63
	v_pk_fma_f32 v[62:63], v[96:97], v[80:81], v[64:65] op_sel_hi:[1,0,1]
	v_pk_fma_f32 v[64:65], v[96:97], v[80:81], v[64:65] neg_lo:[0,0,1] neg_hi:[0,0,1]
	v_pk_add_f32 v[54:55], v[54:55], v[58:59]
	v_pk_fma_f32 v[58:59], v[98:99], v[82:83], v[66:67] op_sel_hi:[1,0,1]
	v_pk_mul_f32 v[56:57], v[130:131], v[56:57] op_sel_hi:[1,0]
	v_mov_b32_e32 v65, v63
	s_wait_loadcnt_dscnt 0x100
	v_pk_mul_f32 v[62:63], v[122:123], v[118:119] op_sel:[1,1] op_sel_hi:[0,1]
	v_pk_add_f32 v[54:55], v[54:55], v[60:61]
	v_pk_fma_f32 v[60:61], v[98:99], v[82:83], v[66:67] neg_lo:[0,0,1] neg_hi:[0,0,1]
	v_mov_b32_e32 v61, v59
	v_pk_fma_f32 v[58:59], v[100:101], v[84:85], v[56:57] op_sel_hi:[1,0,1]
	v_pk_fma_f32 v[56:57], v[100:101], v[84:85], v[56:57] neg_lo:[0,0,1] neg_hi:[0,0,1]
	v_pk_add_f32 v[54:55], v[54:55], v[64:65]
	s_delay_alu instid0(VALU_DEP_3) | instskip(SKIP_1) | instid1(VALU_DEP_3)
	v_mov_b32_e32 v57, v59
	v_pk_fma_f32 v[58:59], v[122:123], v[118:119], v[62:63] op_sel_hi:[1,0,1]
	v_pk_add_f32 v[54:55], v[54:55], v[60:61]
	v_pk_fma_f32 v[60:61], v[122:123], v[118:119], v[62:63] neg_lo:[0,0,1] neg_hi:[0,0,1]
	s_delay_alu instid0(VALU_DEP_3) | instskip(NEXT) | instid1(VALU_DEP_3)
	v_mov_b32_e32 v61, v59
	v_pk_add_f32 v[54:55], v[54:55], v[56:57]
	s_delay_alu instid0(VALU_DEP_1) | instskip(SKIP_1) | instid1(VALU_DEP_1)
	v_pk_add_f32 v[54:55], v[54:55], v[60:61]
	s_wait_loadcnt 0x0
	v_pk_add_f32 v[54:55], v[120:121], v[54:55] neg_lo:[0,1] neg_hi:[0,1]
	scratch_store_b64 off, v[54:55], off offset:64
	s_wait_xcnt 0x0
	v_cmpx_lt_u32_e32 7, v0
	s_cbranch_execz .LBB25_155
; %bb.154:
	scratch_load_b64 v[54:55], off, off offset:56
	v_mov_b64_e32 v[56:57], 0
	scratch_store_b64 off, v[56:57], off offset:56
	s_wait_loadcnt 0x0
	ds_store_b64 v1, v[54:55]
.LBB25_155:
	s_wait_xcnt 0x0
	s_or_b32 exec_lo, exec_lo, s0
	s_wait_storecnt_dscnt 0x0
	s_barrier_signal -1
	s_barrier_wait -1
	s_clause 0x9
	scratch_load_b128 v[54:57], off, off offset:64
	scratch_load_b128 v[58:61], off, off offset:80
	;; [unrolled: 1-line block ×9, first 2 shown]
	scratch_load_b64 v[126:127], off, off offset:56
	ds_load_b128 v[90:93], v5 offset:352
	ds_load_b128 v[94:97], v5 offset:368
	;; [unrolled: 1-line block ×9, first 2 shown]
	s_mov_b32 s0, exec_lo
	s_wait_dscnt 0x8
	v_dual_mov_b32 v128, v93 :: v_dual_mov_b32 v129, v92
	s_wait_dscnt 0x7
	v_dual_mov_b32 v130, v97 :: v_dual_mov_b32 v131, v96
	;; [unrolled: 2-line block ×4, first 2 shown]
	s_wait_loadcnt_dscnt 0x904
	v_dual_mul_f32 v5, v106, v55 :: v_dual_mul_f32 v7, v108, v57
	v_dual_mul_f32 v23, v107, v55 :: v_dual_mul_f32 v25, v109, v57
	s_wait_loadcnt_dscnt 0x803
	v_dual_mul_f32 v11, v110, v59 :: v_dual_mul_f32 v13, v112, v61
	s_delay_alu instid0(VALU_DEP_2) | instskip(SKIP_3) | instid1(VALU_DEP_3)
	v_dual_fmac_f32 v5, v107, v54 :: v_dual_fma_f32 v23, v106, v54, -v23
	v_dual_mul_f32 v27, v111, v59 :: v_dual_mul_f32 v29, v113, v61
	s_wait_loadcnt_dscnt 0x601
	v_dual_mul_f32 v35, v119, v67 :: v_dual_fmac_f32 v7, v109, v56
	v_dual_fma_f32 v25, v108, v56, -v25 :: v_dual_add_f32 v5, 0, v5
	v_dual_add_f32 v23, 0, v23 :: v_dual_mul_f32 v37, v121, v69
	v_fmac_f32_e32 v11, v111, v58
	s_delay_alu instid0(VALU_DEP_3) | instskip(NEXT) | instid1(VALU_DEP_3)
	v_dual_fma_f32 v27, v110, v58, -v27 :: v_dual_add_f32 v5, v5, v7
	v_dual_add_f32 v7, v23, v25 :: v_dual_mul_f32 v15, v114, v63
	v_dual_mul_f32 v17, v116, v65 :: v_dual_mul_f32 v31, v115, v63
	s_wait_loadcnt_dscnt 0x500
	v_dual_mul_f32 v33, v117, v65 :: v_dual_mul_f32 v23, v123, v71
	v_fmac_f32_e32 v13, v113, v60
	v_dual_fma_f32 v25, v112, v60, -v29 :: v_dual_add_f32 v5, v5, v11
	v_dual_add_f32 v7, v7, v27 :: v_dual_mul_f32 v11, v125, v73
	v_fmac_f32_e32 v15, v115, v62
	s_delay_alu instid0(VALU_DEP_3) | instskip(NEXT) | instid1(VALU_DEP_3)
	v_dual_fma_f32 v27, v114, v62, -v31 :: v_dual_add_f32 v5, v5, v13
	v_dual_add_f32 v7, v7, v25 :: v_dual_mul_f32 v19, v118, v67
	v_dual_mul_f32 v21, v120, v69 :: v_dual_fmac_f32 v17, v117, v64
	s_delay_alu instid0(VALU_DEP_3) | instskip(SKIP_1) | instid1(VALU_DEP_3)
	v_dual_fma_f32 v13, v116, v64, -v33 :: v_dual_add_f32 v5, v5, v15
	s_wait_loadcnt 0x4
	v_dual_add_f32 v7, v7, v27 :: v_dual_mov_b32 v56, v77
	v_fmac_f32_e32 v19, v119, v66
	s_delay_alu instid0(VALU_DEP_3) | instskip(NEXT) | instid1(VALU_DEP_3)
	v_dual_fma_f32 v15, v118, v66, -v35 :: v_dual_add_f32 v5, v5, v17
	v_dual_add_f32 v7, v7, v13 :: v_dual_fmac_f32 v21, v121, v68
	v_dual_mul_f32 v137, v122, v71 :: v_dual_mul_f32 v139, v124, v73
	s_delay_alu instid0(VALU_DEP_3) | instskip(SKIP_1) | instid1(VALU_DEP_3)
	v_dual_fma_f32 v13, v120, v68, -v37 :: v_dual_add_f32 v5, v5, v19
	s_wait_loadcnt 0x3
	v_dual_add_f32 v7, v7, v15 :: v_dual_mov_b32 v60, v81
	v_pk_mul_f32 v[54:55], v[90:91], v[74:75] op_sel:[1,1] op_sel_hi:[0,1]
	v_dual_fmac_f32 v137, v123, v70 :: v_dual_fma_f32 v136, v122, v70, -v23
	v_dual_add_f32 v63, v5, v21 :: v_dual_fma_f32 v138, v124, v72, -v11
	s_delay_alu instid0(VALU_DEP_4) | instskip(NEXT) | instid1(VALU_DEP_4)
	v_dual_add_f32 v62, v7, v13 :: v_dual_fmac_f32 v139, v125, v72
	v_pk_fma_f32 v[64:65], v[90:91], v[74:75], v[54:55] op_sel_hi:[1,0,1]
	v_pk_mul_f32 v[56:57], v[128:129], v[56:57] op_sel_hi:[1,0]
	v_pk_fma_f32 v[54:55], v[90:91], v[74:75], v[54:55] neg_lo:[0,0,1] neg_hi:[0,0,1]
	s_delay_alu instid0(VALU_DEP_4)
	v_pk_add_f32 v[62:63], v[62:63], v[136:137]
	v_pk_mul_f32 v[58:59], v[94:95], v[78:79] op_sel:[1,1] op_sel_hi:[0,1]
	v_mov_b32_e32 v55, v65
	v_pk_fma_f32 v[64:65], v[92:93], v[76:77], v[56:57] op_sel_hi:[1,0,1]
	v_pk_fma_f32 v[56:57], v[92:93], v[76:77], v[56:57] neg_lo:[0,0,1] neg_hi:[0,0,1]
	v_pk_add_f32 v[62:63], v[62:63], v[138:139]
	v_pk_fma_f32 v[68:69], v[94:95], v[78:79], v[58:59] op_sel_hi:[1,0,1]
	v_pk_mul_f32 v[60:61], v[130:131], v[60:61] op_sel_hi:[1,0]
	v_mov_b32_e32 v57, v65
	s_wait_loadcnt 0x2
	v_pk_mul_f32 v[66:67], v[98:99], v[82:83] op_sel:[1,1] op_sel_hi:[0,1]
	v_pk_add_f32 v[54:55], v[62:63], v[54:55]
	v_mov_b32_e32 v62, v85
	v_pk_fma_f32 v[58:59], v[94:95], v[78:79], v[58:59] neg_lo:[0,0,1] neg_hi:[0,0,1]
	v_mov_b32_e32 v59, v69
	v_pk_fma_f32 v[64:65], v[96:97], v[80:81], v[60:61] op_sel_hi:[1,0,1]
	v_pk_add_f32 v[54:55], v[54:55], v[56:57]
	v_pk_fma_f32 v[56:57], v[98:99], v[82:83], v[66:67] op_sel_hi:[1,0,1]
	v_pk_mul_f32 v[62:63], v[132:133], v[62:63] op_sel_hi:[1,0]
	v_pk_fma_f32 v[60:61], v[96:97], v[80:81], v[60:61] neg_lo:[0,0,1] neg_hi:[0,0,1]
	v_mov_b32_e32 v61, v65
	v_pk_add_f32 v[54:55], v[54:55], v[58:59]
	v_pk_fma_f32 v[64:65], v[98:99], v[82:83], v[66:67] neg_lo:[0,0,1] neg_hi:[0,0,1]
	v_mov_b32_e32 v65, v57
	v_pk_fma_f32 v[56:57], v[100:101], v[84:85], v[62:63] op_sel_hi:[1,0,1]
	s_wait_loadcnt 0x1
	v_pk_mul_f32 v[58:59], v[102:103], v[86:87] op_sel:[1,1] op_sel_hi:[0,1]
	v_pk_add_f32 v[54:55], v[54:55], v[60:61]
	v_mov_b32_e32 v56, v89
	v_pk_fma_f32 v[62:63], v[100:101], v[84:85], v[62:63] neg_lo:[0,0,1] neg_hi:[0,0,1]
	v_mov_b32_e32 v63, v57
	v_pk_fma_f32 v[60:61], v[102:103], v[86:87], v[58:59] op_sel_hi:[1,0,1]
	v_pk_add_f32 v[54:55], v[54:55], v[64:65]
	v_pk_mul_f32 v[56:57], v[134:135], v[56:57] op_sel_hi:[1,0]
	v_pk_fma_f32 v[58:59], v[102:103], v[86:87], v[58:59] neg_lo:[0,0,1] neg_hi:[0,0,1]
	s_delay_alu instid0(VALU_DEP_4) | instskip(NEXT) | instid1(VALU_DEP_4)
	v_mov_b32_e32 v59, v61
	v_pk_add_f32 v[54:55], v[54:55], v[62:63]
	s_delay_alu instid0(VALU_DEP_4) | instskip(SKIP_1) | instid1(VALU_DEP_2)
	v_pk_fma_f32 v[60:61], v[104:105], v[88:89], v[56:57] op_sel_hi:[1,0,1]
	v_pk_fma_f32 v[56:57], v[104:105], v[88:89], v[56:57] neg_lo:[0,0,1] neg_hi:[0,0,1]
	v_mov_b32_e32 v57, v61
	s_delay_alu instid0(VALU_DEP_4) | instskip(NEXT) | instid1(VALU_DEP_1)
	v_pk_add_f32 v[54:55], v[54:55], v[58:59]
	v_pk_add_f32 v[54:55], v[54:55], v[56:57]
	s_wait_loadcnt 0x0
	s_delay_alu instid0(VALU_DEP_1)
	v_pk_add_f32 v[54:55], v[126:127], v[54:55] neg_lo:[0,1] neg_hi:[0,1]
	scratch_store_b64 off, v[54:55], off offset:56
	s_wait_xcnt 0x0
	v_cmpx_lt_u32_e32 6, v0
	s_cbranch_execz .LBB25_157
; %bb.156:
	scratch_load_b64 v[54:55], off, off offset:48
	v_mov_b64_e32 v[56:57], 0
	scratch_store_b64 off, v[56:57], off offset:48
	s_wait_loadcnt 0x0
	ds_store_b64 v1, v[54:55]
.LBB25_157:
	s_wait_xcnt 0x0
	s_or_b32 exec_lo, exec_lo, s0
	s_wait_storecnt_dscnt 0x0
	s_barrier_signal -1
	s_barrier_wait -1
	s_clause 0xa
	scratch_load_b128 v[54:57], off, off offset:56
	scratch_load_b128 v[58:61], off, off offset:72
	;; [unrolled: 1-line block ×9, first 2 shown]
	scratch_load_b64 v[126:127], off, off offset:200
	scratch_load_b64 v[128:129], off, off offset:48
	v_mov_b32_e32 v5, 0
	ds_load_2addr_b64 v[90:93], v5 offset0:43 offset1:44
	ds_load_2addr_b64 v[94:97], v5 offset0:45 offset1:46
	;; [unrolled: 1-line block ×9, first 2 shown]
	ds_load_b64 v[130:131], v5 offset:408
	s_mov_b32 s0, exec_lo
	s_wait_dscnt 0x8
	v_dual_mov_b32 v133, v92 :: v_dual_mov_b32 v134, v97
	s_wait_dscnt 0x7
	v_dual_mov_b32 v135, v96 :: v_dual_mov_b32 v136, v101
	;; [unrolled: 2-line block ×3, first 2 shown]
	v_dual_mov_b32 v137, v100 :: v_dual_mov_b32 v138, v105
	s_wait_loadcnt_dscnt 0xa05
	v_dual_mul_f32 v7, v106, v55 :: v_dual_mul_f32 v27, v107, v55
	v_dual_mul_f32 v29, v109, v57 :: v_dual_mul_f32 v11, v108, v57
	s_wait_loadcnt_dscnt 0x904
	v_mul_f32_e32 v13, v110, v59
	s_wait_loadcnt_dscnt 0x702
	v_dual_mul_f32 v39, v119, v67 :: v_dual_fma_f32 v27, v106, v54, -v27
	v_dual_fmac_f32 v7, v107, v54 :: v_dual_mul_f32 v41, v121, v69
	v_dual_mul_f32 v31, v111, v59 :: v_dual_mul_f32 v33, v113, v61
	v_dual_fmac_f32 v11, v109, v56 :: v_dual_fma_f32 v29, v108, v56, -v29
	s_delay_alu instid0(VALU_DEP_3) | instskip(NEXT) | instid1(VALU_DEP_3)
	v_dual_add_f32 v7, 0, v7 :: v_dual_fmac_f32 v13, v111, v58
	v_dual_add_f32 v27, 0, v27 :: v_dual_fma_f32 v31, v110, v58, -v31
	v_dual_mul_f32 v15, v112, v61 :: v_dual_mul_f32 v17, v114, v63
	s_delay_alu instid0(VALU_DEP_3) | instskip(NEXT) | instid1(VALU_DEP_3)
	v_add_f32_e32 v7, v7, v11
	v_dual_add_f32 v11, v27, v29 :: v_dual_fma_f32 v29, v112, v60, -v33
	v_dual_mul_f32 v35, v115, v63 :: v_dual_mul_f32 v37, v117, v65
	s_delay_alu instid0(VALU_DEP_3) | instskip(SKIP_1) | instid1(VALU_DEP_3)
	v_dual_fmac_f32 v15, v113, v60 :: v_dual_add_f32 v7, v7, v13
	s_wait_loadcnt 0x5
	v_dual_add_f32 v11, v11, v31 :: v_dual_mov_b32 v54, v77
	v_dual_mul_f32 v19, v116, v65 :: v_dual_mul_f32 v21, v118, v67
	s_wait_loadcnt 0x4
	v_dual_fmac_f32 v17, v115, v62 :: v_dual_mov_b32 v58, v81
	v_dual_fma_f32 v31, v114, v62, -v35 :: v_dual_add_f32 v7, v7, v15
	v_dual_fma_f32 v15, v116, v64, -v37 :: v_dual_add_f32 v11, v11, v29
	s_wait_dscnt 0x1
	v_dual_mul_f32 v23, v120, v69 :: v_dual_mul_f32 v25, v122, v71
	v_dual_mul_f32 v13, v91, v75 :: v_dual_fmac_f32 v19, v117, v64
	s_delay_alu instid0(VALU_DEP_2)
	v_dual_add_f32 v7, v7, v17 :: v_dual_fmac_f32 v23, v121, v68
	v_dual_fma_f32 v17, v118, v66, -v39 :: v_dual_add_f32 v11, v11, v31
	v_dual_mul_f32 v141, v124, v73 :: v_dual_mul_f32 v143, v90, v75
	v_dual_mul_f32 v43, v123, v71 :: v_dual_mul_f32 v27, v125, v73
	v_pk_mul_f32 v[56:57], v[94:95], v[78:79] op_sel:[1,1] op_sel_hi:[0,1]
	v_fmac_f32_e32 v21, v119, v66
	v_add_f32_e32 v7, v7, v19
	v_dual_add_f32 v11, v11, v15 :: v_dual_fmac_f32 v141, v125, v72
	v_fma_f32 v15, v120, v68, -v41
	v_fma_f32 v140, v124, v72, -v27
	v_pk_fma_f32 v[68:69], v[94:95], v[78:79], v[56:57] op_sel_hi:[1,0,1]
	s_delay_alu instid0(VALU_DEP_4)
	v_dual_add_f32 v11, v11, v17 :: v_dual_fma_f32 v142, v90, v74, -v13
	v_dual_fma_f32 v17, v122, v70, -v43 :: v_dual_add_f32 v7, v7, v21
	s_wait_loadcnt 0x3
	v_mov_b32_e32 v64, v85
	v_pk_mul_f32 v[58:59], v[134:135], v[58:59] op_sel_hi:[1,0]
	v_pk_fma_f32 v[56:57], v[94:95], v[78:79], v[56:57] neg_lo:[0,0,1] neg_hi:[0,0,1]
	v_dual_fmac_f32 v25, v123, v70 :: v_dual_mov_b32 v57, v69
	v_add_f32_e32 v11, v11, v15
	s_delay_alu instid0(VALU_DEP_4) | instskip(SKIP_3) | instid1(VALU_DEP_4)
	v_pk_fma_f32 v[68:69], v[96:97], v[80:81], v[58:59] op_sel_hi:[1,0,1]
	v_add_f32_e32 v7, v7, v23
	v_pk_fma_f32 v[58:59], v[96:97], v[80:81], v[58:59] neg_lo:[0,0,1] neg_hi:[0,0,1]
	v_pk_mul_f32 v[54:55], v[132:133], v[54:55] op_sel_hi:[1,0]
	v_dual_add_f32 v62, v11, v17 :: v_dual_mov_b32 v59, v69
	s_delay_alu instid0(VALU_DEP_4) | instskip(SKIP_1) | instid1(VALU_DEP_4)
	v_add_f32_e32 v63, v7, v25
	v_fmac_f32_e32 v143, v91, v74
	v_pk_fma_f32 v[66:67], v[92:93], v[76:77], v[54:55] op_sel_hi:[1,0,1]
	v_pk_fma_f32 v[54:55], v[92:93], v[76:77], v[54:55] neg_lo:[0,0,1] neg_hi:[0,0,1]
	v_pk_mul_f32 v[60:61], v[98:99], v[82:83] op_sel:[1,1] op_sel_hi:[0,1]
	v_pk_add_f32 v[62:63], v[62:63], v[140:141]
	v_pk_mul_f32 v[64:65], v[136:137], v[64:65] op_sel_hi:[1,0]
	v_mov_b32_e32 v55, v67
	s_wait_loadcnt 0x2
	v_pk_mul_f32 v[66:67], v[102:103], v[86:87] op_sel:[1,1] op_sel_hi:[0,1]
	v_pk_add_f32 v[62:63], v[62:63], v[142:143]
	s_delay_alu instid0(VALU_DEP_1) | instskip(SKIP_2) | instid1(VALU_DEP_3)
	v_pk_add_f32 v[54:55], v[62:63], v[54:55]
	v_pk_fma_f32 v[62:63], v[98:99], v[82:83], v[60:61] op_sel_hi:[1,0,1]
	v_pk_fma_f32 v[60:61], v[98:99], v[82:83], v[60:61] neg_lo:[0,0,1] neg_hi:[0,0,1]
	v_pk_add_f32 v[54:55], v[54:55], v[56:57]
	s_delay_alu instid0(VALU_DEP_3) | instskip(SKIP_2) | instid1(VALU_DEP_4)
	v_dual_mov_b32 v56, v89 :: v_dual_mov_b32 v61, v63
	v_pk_fma_f32 v[62:63], v[100:101], v[84:85], v[64:65] op_sel_hi:[1,0,1]
	v_pk_fma_f32 v[64:65], v[100:101], v[84:85], v[64:65] neg_lo:[0,0,1] neg_hi:[0,0,1]
	v_pk_add_f32 v[54:55], v[54:55], v[58:59]
	v_pk_fma_f32 v[58:59], v[102:103], v[86:87], v[66:67] op_sel_hi:[1,0,1]
	v_pk_mul_f32 v[56:57], v[138:139], v[56:57] op_sel_hi:[1,0]
	v_mov_b32_e32 v65, v63
	s_wait_loadcnt_dscnt 0x100
	v_pk_mul_f32 v[62:63], v[130:131], v[126:127] op_sel:[1,1] op_sel_hi:[0,1]
	v_pk_add_f32 v[54:55], v[54:55], v[60:61]
	v_pk_fma_f32 v[60:61], v[102:103], v[86:87], v[66:67] neg_lo:[0,0,1] neg_hi:[0,0,1]
	v_mov_b32_e32 v61, v59
	v_pk_fma_f32 v[58:59], v[104:105], v[88:89], v[56:57] op_sel_hi:[1,0,1]
	v_pk_fma_f32 v[56:57], v[104:105], v[88:89], v[56:57] neg_lo:[0,0,1] neg_hi:[0,0,1]
	v_pk_add_f32 v[54:55], v[54:55], v[64:65]
	s_delay_alu instid0(VALU_DEP_3) | instskip(SKIP_1) | instid1(VALU_DEP_3)
	v_mov_b32_e32 v57, v59
	v_pk_fma_f32 v[58:59], v[130:131], v[126:127], v[62:63] op_sel_hi:[1,0,1]
	v_pk_add_f32 v[54:55], v[54:55], v[60:61]
	v_pk_fma_f32 v[60:61], v[130:131], v[126:127], v[62:63] neg_lo:[0,0,1] neg_hi:[0,0,1]
	s_delay_alu instid0(VALU_DEP_3) | instskip(NEXT) | instid1(VALU_DEP_3)
	v_mov_b32_e32 v61, v59
	v_pk_add_f32 v[54:55], v[54:55], v[56:57]
	s_delay_alu instid0(VALU_DEP_1) | instskip(SKIP_1) | instid1(VALU_DEP_1)
	v_pk_add_f32 v[54:55], v[54:55], v[60:61]
	s_wait_loadcnt 0x0
	v_pk_add_f32 v[54:55], v[128:129], v[54:55] neg_lo:[0,1] neg_hi:[0,1]
	scratch_store_b64 off, v[54:55], off offset:48
	s_wait_xcnt 0x0
	v_cmpx_lt_u32_e32 5, v0
	s_cbranch_execz .LBB25_159
; %bb.158:
	scratch_load_b64 v[54:55], off, off offset:40
	v_mov_b64_e32 v[56:57], 0
	scratch_store_b64 off, v[56:57], off offset:40
	s_wait_loadcnt 0x0
	ds_store_b64 v1, v[54:55]
.LBB25_159:
	s_wait_xcnt 0x0
	s_or_b32 exec_lo, exec_lo, s0
	s_wait_storecnt_dscnt 0x0
	s_barrier_signal -1
	s_barrier_wait -1
	s_clause 0xa
	scratch_load_b128 v[54:57], off, off offset:48
	scratch_load_b128 v[58:61], off, off offset:64
	;; [unrolled: 1-line block ×10, first 2 shown]
	scratch_load_b64 v[134:135], off, off offset:40
	ds_load_b128 v[94:97], v5 offset:352
	ds_load_b128 v[98:101], v5 offset:368
	;; [unrolled: 1-line block ×10, first 2 shown]
	s_mov_b32 s0, exec_lo
	s_wait_dscnt 0x9
	v_dual_mov_b32 v136, v97 :: v_dual_mov_b32 v137, v96
	s_wait_dscnt 0x8
	v_dual_mov_b32 v138, v101 :: v_dual_mov_b32 v139, v100
	;; [unrolled: 2-line block ×4, first 2 shown]
	s_wait_loadcnt_dscnt 0xa05
	v_dual_mul_f32 v5, v110, v55 :: v_dual_mul_f32 v7, v112, v57
	v_dual_mul_f32 v27, v111, v55 :: v_dual_mul_f32 v29, v113, v57
	s_wait_loadcnt_dscnt 0x904
	v_dual_mul_f32 v11, v114, v59 :: v_dual_mul_f32 v13, v116, v61
	s_delay_alu instid0(VALU_DEP_2) | instskip(SKIP_3) | instid1(VALU_DEP_3)
	v_dual_fmac_f32 v5, v111, v54 :: v_dual_fma_f32 v27, v110, v54, -v27
	v_dual_mul_f32 v31, v115, v59 :: v_dual_mul_f32 v33, v117, v61
	s_wait_loadcnt_dscnt 0x702
	v_dual_mul_f32 v39, v123, v67 :: v_dual_fmac_f32 v7, v113, v56
	v_dual_fma_f32 v29, v112, v56, -v29 :: v_dual_add_f32 v5, 0, v5
	v_dual_add_f32 v27, 0, v27 :: v_dual_mul_f32 v41, v125, v69
	v_fmac_f32_e32 v11, v115, v58
	s_delay_alu instid0(VALU_DEP_3) | instskip(NEXT) | instid1(VALU_DEP_3)
	v_dual_fma_f32 v31, v114, v58, -v31 :: v_dual_add_f32 v5, v5, v7
	v_dual_add_f32 v7, v27, v29 :: v_dual_mul_f32 v15, v118, v63
	v_dual_mul_f32 v17, v120, v65 :: v_dual_mul_f32 v35, v119, v63
	s_wait_loadcnt_dscnt 0x601
	v_dual_mul_f32 v37, v121, v65 :: v_dual_mul_f32 v27, v127, v71
	v_fmac_f32_e32 v13, v117, v60
	v_dual_fma_f32 v29, v116, v60, -v33 :: v_dual_add_f32 v5, v5, v11
	v_dual_add_f32 v7, v7, v31 :: v_dual_mul_f32 v11, v129, v73
	v_fmac_f32_e32 v15, v119, v62
	s_delay_alu instid0(VALU_DEP_3) | instskip(NEXT) | instid1(VALU_DEP_3)
	v_dual_fma_f32 v31, v118, v62, -v35 :: v_dual_add_f32 v5, v5, v13
	v_dual_add_f32 v7, v7, v29 :: v_dual_mul_f32 v19, v122, v67
	s_wait_loadcnt_dscnt 0x500
	v_dual_mul_f32 v21, v124, v69 :: v_dual_mul_f32 v13, v131, v75
	v_fmac_f32_e32 v17, v121, v64
	v_dual_fma_f32 v29, v120, v64, -v37 :: v_dual_add_f32 v5, v5, v15
	v_dual_add_f32 v7, v7, v31 :: v_dual_mul_f32 v15, v133, v77
	v_fmac_f32_e32 v19, v123, v66
	s_delay_alu instid0(VALU_DEP_3) | instskip(NEXT) | instid1(VALU_DEP_3)
	v_dual_fma_f32 v31, v122, v66, -v39 :: v_dual_add_f32 v5, v5, v17
	v_dual_add_f32 v7, v7, v29 :: v_dual_mul_f32 v23, v126, v71
	v_dual_mul_f32 v25, v128, v73 :: v_dual_fmac_f32 v21, v125, v68
	s_delay_alu instid0(VALU_DEP_3) | instskip(SKIP_1) | instid1(VALU_DEP_3)
	v_dual_fma_f32 v17, v124, v68, -v41 :: v_dual_add_f32 v5, v5, v19
	s_wait_loadcnt 0x4
	v_dual_add_f32 v7, v7, v31 :: v_dual_mov_b32 v56, v81
	v_fmac_f32_e32 v23, v127, v70
	s_delay_alu instid0(VALU_DEP_3) | instskip(NEXT) | instid1(VALU_DEP_3)
	v_dual_fma_f32 v19, v126, v70, -v27 :: v_dual_add_f32 v5, v5, v21
	v_dual_add_f32 v7, v7, v17 :: v_dual_fmac_f32 v25, v129, v72
	v_dual_mul_f32 v145, v130, v75 :: v_dual_mul_f32 v147, v132, v77
	s_delay_alu instid0(VALU_DEP_3) | instskip(SKIP_1) | instid1(VALU_DEP_3)
	v_dual_fma_f32 v11, v128, v72, -v11 :: v_dual_add_f32 v5, v5, v23
	s_wait_loadcnt 0x3
	v_dual_add_f32 v7, v7, v19 :: v_dual_mov_b32 v60, v85
	v_pk_mul_f32 v[54:55], v[94:95], v[78:79] op_sel:[1,1] op_sel_hi:[0,1]
	s_delay_alu instid0(VALU_DEP_3) | instskip(NEXT) | instid1(VALU_DEP_3)
	v_dual_fmac_f32 v145, v131, v74 :: v_dual_add_f32 v63, v5, v25
	v_dual_fma_f32 v144, v130, v74, -v13 :: v_dual_add_f32 v62, v7, v11
	v_fmac_f32_e32 v147, v133, v76
	s_delay_alu instid0(VALU_DEP_4)
	v_pk_fma_f32 v[64:65], v[94:95], v[78:79], v[54:55] op_sel_hi:[1,0,1]
	v_fma_f32 v146, v132, v76, -v15
	v_pk_mul_f32 v[56:57], v[136:137], v[56:57] op_sel_hi:[1,0]
	v_pk_add_f32 v[62:63], v[62:63], v[144:145]
	v_pk_fma_f32 v[54:55], v[94:95], v[78:79], v[54:55] neg_lo:[0,0,1] neg_hi:[0,0,1]
	v_pk_mul_f32 v[58:59], v[98:99], v[82:83] op_sel:[1,1] op_sel_hi:[0,1]
	v_mov_b32_e32 v55, v65
	v_pk_fma_f32 v[64:65], v[96:97], v[80:81], v[56:57] op_sel_hi:[1,0,1]
	v_pk_add_f32 v[62:63], v[62:63], v[146:147]
	v_pk_fma_f32 v[56:57], v[96:97], v[80:81], v[56:57] neg_lo:[0,0,1] neg_hi:[0,0,1]
	v_pk_fma_f32 v[68:69], v[98:99], v[82:83], v[58:59] op_sel_hi:[1,0,1]
	v_pk_mul_f32 v[60:61], v[138:139], v[60:61] op_sel_hi:[1,0]
	v_mov_b32_e32 v57, v65
	v_pk_add_f32 v[54:55], v[62:63], v[54:55]
	s_wait_loadcnt 0x2
	v_pk_mul_f32 v[66:67], v[102:103], v[86:87] op_sel:[1,1] op_sel_hi:[0,1]
	v_mov_b32_e32 v62, v89
	v_pk_fma_f32 v[58:59], v[98:99], v[82:83], v[58:59] neg_lo:[0,0,1] neg_hi:[0,0,1]
	v_pk_fma_f32 v[64:65], v[100:101], v[84:85], v[60:61] op_sel_hi:[1,0,1]
	v_mov_b32_e32 v59, v69
	v_pk_add_f32 v[54:55], v[54:55], v[56:57]
	v_pk_fma_f32 v[56:57], v[102:103], v[86:87], v[66:67] op_sel_hi:[1,0,1]
	v_pk_mul_f32 v[62:63], v[140:141], v[62:63] op_sel_hi:[1,0]
	v_pk_fma_f32 v[60:61], v[100:101], v[84:85], v[60:61] neg_lo:[0,0,1] neg_hi:[0,0,1]
	v_mov_b32_e32 v61, v65
	v_pk_add_f32 v[54:55], v[54:55], v[58:59]
	v_pk_fma_f32 v[64:65], v[102:103], v[86:87], v[66:67] neg_lo:[0,0,1] neg_hi:[0,0,1]
	v_mov_b32_e32 v65, v57
	v_pk_fma_f32 v[56:57], v[104:105], v[88:89], v[62:63] op_sel_hi:[1,0,1]
	s_wait_loadcnt 0x1
	v_pk_mul_f32 v[58:59], v[106:107], v[90:91] op_sel:[1,1] op_sel_hi:[0,1]
	v_pk_add_f32 v[54:55], v[54:55], v[60:61]
	v_mov_b32_e32 v56, v93
	v_pk_fma_f32 v[62:63], v[104:105], v[88:89], v[62:63] neg_lo:[0,0,1] neg_hi:[0,0,1]
	s_delay_alu instid0(VALU_DEP_4)
	v_pk_fma_f32 v[60:61], v[106:107], v[90:91], v[58:59] op_sel_hi:[1,0,1]
	v_mov_b32_e32 v63, v57
	v_pk_add_f32 v[54:55], v[54:55], v[64:65]
	v_pk_mul_f32 v[56:57], v[142:143], v[56:57] op_sel_hi:[1,0]
	v_pk_fma_f32 v[58:59], v[106:107], v[90:91], v[58:59] neg_lo:[0,0,1] neg_hi:[0,0,1]
	v_mov_b32_e32 v59, v61
	s_delay_alu instid0(VALU_DEP_4) | instskip(NEXT) | instid1(VALU_DEP_4)
	v_pk_add_f32 v[54:55], v[54:55], v[62:63]
	v_pk_fma_f32 v[60:61], v[108:109], v[92:93], v[56:57] op_sel_hi:[1,0,1]
	v_pk_fma_f32 v[56:57], v[108:109], v[92:93], v[56:57] neg_lo:[0,0,1] neg_hi:[0,0,1]
	s_delay_alu instid0(VALU_DEP_3) | instskip(NEXT) | instid1(VALU_DEP_3)
	v_pk_add_f32 v[54:55], v[54:55], v[58:59]
	v_mov_b32_e32 v57, v61
	s_delay_alu instid0(VALU_DEP_1) | instskip(SKIP_1) | instid1(VALU_DEP_1)
	v_pk_add_f32 v[54:55], v[54:55], v[56:57]
	s_wait_loadcnt 0x0
	v_pk_add_f32 v[54:55], v[134:135], v[54:55] neg_lo:[0,1] neg_hi:[0,1]
	scratch_store_b64 off, v[54:55], off offset:40
	s_wait_xcnt 0x0
	v_cmpx_lt_u32_e32 4, v0
	s_cbranch_execz .LBB25_161
; %bb.160:
	scratch_load_b64 v[54:55], off, off offset:32
	v_mov_b64_e32 v[56:57], 0
	scratch_store_b64 off, v[56:57], off offset:32
	s_wait_loadcnt 0x0
	ds_store_b64 v1, v[54:55]
.LBB25_161:
	s_wait_xcnt 0x0
	s_or_b32 exec_lo, exec_lo, s0
	s_wait_storecnt_dscnt 0x0
	s_barrier_signal -1
	s_barrier_wait -1
	s_clause 0xb
	scratch_load_b128 v[54:57], off, off offset:40
	scratch_load_b128 v[58:61], off, off offset:56
	;; [unrolled: 1-line block ×10, first 2 shown]
	scratch_load_b64 v[134:135], off, off offset:200
	scratch_load_b64 v[136:137], off, off offset:32
	v_mov_b32_e32 v5, 0
	ds_load_2addr_b64 v[94:97], v5 offset0:43 offset1:44
	ds_load_2addr_b64 v[98:101], v5 offset0:45 offset1:46
	;; [unrolled: 1-line block ×10, first 2 shown]
	ds_load_b64 v[138:139], v5 offset:408
	s_mov_b32 s0, exec_lo
	s_wait_dscnt 0x9
	v_dual_mov_b32 v141, v96 :: v_dual_mov_b32 v142, v101
	s_wait_dscnt 0x8
	v_dual_mov_b32 v143, v100 :: v_dual_mov_b32 v144, v105
	;; [unrolled: 2-line block ×3, first 2 shown]
	v_dual_mov_b32 v145, v104 :: v_dual_mov_b32 v146, v109
	s_wait_loadcnt_dscnt 0xb06
	v_dual_mul_f32 v7, v110, v55 :: v_dual_mul_f32 v31, v111, v55
	v_dual_mul_f32 v33, v113, v57 :: v_dual_mul_f32 v11, v112, v57
	s_wait_loadcnt_dscnt 0xa05
	v_mul_f32_e32 v13, v114, v59
	s_wait_loadcnt_dscnt 0x803
	v_dual_mul_f32 v43, v123, v67 :: v_dual_fma_f32 v31, v110, v54, -v31
	v_dual_fmac_f32 v7, v111, v54 :: v_dual_mul_f32 v45, v125, v69
	v_dual_mul_f32 v35, v115, v59 :: v_dual_mul_f32 v37, v117, v61
	v_dual_fmac_f32 v11, v113, v56 :: v_dual_fma_f32 v33, v112, v56, -v33
	s_delay_alu instid0(VALU_DEP_3) | instskip(NEXT) | instid1(VALU_DEP_3)
	v_dual_add_f32 v7, 0, v7 :: v_dual_fmac_f32 v13, v115, v58
	v_dual_add_f32 v31, 0, v31 :: v_dual_fma_f32 v35, v114, v58, -v35
	v_dual_mul_f32 v15, v116, v61 :: v_dual_mul_f32 v17, v118, v63
	s_delay_alu instid0(VALU_DEP_3) | instskip(NEXT) | instid1(VALU_DEP_3)
	v_add_f32_e32 v7, v7, v11
	v_dual_add_f32 v11, v31, v33 :: v_dual_fma_f32 v33, v116, v60, -v37
	v_dual_mul_f32 v39, v119, v63 :: v_dual_mul_f32 v41, v121, v65
	s_delay_alu instid0(VALU_DEP_3) | instskip(NEXT) | instid1(VALU_DEP_3)
	v_dual_fmac_f32 v15, v117, v60 :: v_dual_add_f32 v7, v7, v13
	v_dual_add_f32 v11, v11, v35 :: v_dual_mul_f32 v19, v120, v65
	v_dual_mul_f32 v21, v122, v67 :: v_dual_fmac_f32 v17, v119, v62
	s_wait_loadcnt 0x5
	v_dual_mov_b32 v54, v81 :: v_dual_fma_f32 v35, v118, v62, -v39
	s_wait_dscnt 0x1
	v_dual_add_f32 v7, v7, v15 :: v_dual_mul_f32 v15, v133, v77
	v_add_f32_e32 v11, v11, v33
	v_dual_mul_f32 v23, v124, v69 :: v_dual_mul_f32 v25, v126, v71
	v_dual_mul_f32 v13, v131, v75 :: v_dual_fmac_f32 v19, v121, v64
	s_delay_alu instid0(VALU_DEP_4) | instskip(NEXT) | instid1(VALU_DEP_3)
	v_dual_fma_f32 v33, v120, v64, -v41 :: v_dual_add_f32 v7, v7, v17
	v_dual_fmac_f32 v23, v125, v68 :: v_dual_add_f32 v11, v11, v35
	v_dual_mul_f32 v27, v128, v73 :: v_dual_mul_f32 v29, v130, v75
	v_dual_mul_f32 v47, v127, v71 :: v_dual_mul_f32 v31, v129, v73
	s_wait_loadcnt 0x4
	v_dual_fmac_f32 v21, v123, v66 :: v_dual_mov_b32 v58, v85
	v_dual_fma_f32 v35, v122, v66, -v43 :: v_dual_add_f32 v7, v7, v19
	v_fmac_f32_e32 v27, v129, v72
	v_dual_fma_f32 v19, v124, v68, -v45 :: v_dual_add_f32 v11, v11, v33
	v_dual_mul_f32 v149, v132, v77 :: v_dual_mul_f32 v151, v94, v79
	s_delay_alu instid0(VALU_DEP_4) | instskip(NEXT) | instid1(VALU_DEP_2)
	v_dual_add_f32 v7, v7, v21 :: v_dual_fma_f32 v13, v130, v74, -v13
	v_dual_add_f32 v11, v11, v35 :: v_dual_fmac_f32 v149, v133, v76
	v_pk_mul_f32 v[56:57], v[98:99], v[82:83] op_sel:[1,1] op_sel_hi:[0,1]
	v_dual_mul_f32 v17, v95, v79 :: v_dual_fma_f32 v21, v126, v70, -v47
	v_dual_fmac_f32 v25, v127, v70 :: v_dual_fma_f32 v148, v132, v76, -v15
	s_wait_loadcnt 0x3
	v_dual_add_f32 v7, v7, v23 :: v_dual_mov_b32 v64, v89
	s_delay_alu instid0(VALU_DEP_3) | instskip(SKIP_4) | instid1(VALU_DEP_4)
	v_dual_add_f32 v11, v11, v19 :: v_dual_fma_f32 v150, v94, v78, -v17
	v_pk_fma_f32 v[68:69], v[98:99], v[82:83], v[56:57] op_sel_hi:[1,0,1]
	v_pk_mul_f32 v[58:59], v[142:143], v[58:59] op_sel_hi:[1,0]
	v_pk_fma_f32 v[56:57], v[98:99], v[82:83], v[56:57] neg_lo:[0,0,1] neg_hi:[0,0,1]
	v_dual_fma_f32 v19, v128, v72, -v31 :: v_dual_add_f32 v7, v7, v25
	v_mov_b32_e32 v57, v69
	s_delay_alu instid0(VALU_DEP_4) | instskip(SKIP_3) | instid1(VALU_DEP_4)
	v_pk_fma_f32 v[68:69], v[100:101], v[84:85], v[58:59] op_sel_hi:[1,0,1]
	v_add_f32_e32 v11, v11, v21
	v_pk_fma_f32 v[58:59], v[100:101], v[84:85], v[58:59] neg_lo:[0,0,1] neg_hi:[0,0,1]
	v_fmac_f32_e32 v29, v131, v74
	v_dual_add_f32 v7, v7, v27 :: v_dual_mov_b32 v59, v69
	s_delay_alu instid0(VALU_DEP_4) | instskip(SKIP_2) | instid1(VALU_DEP_4)
	v_add_f32_e32 v11, v11, v19
	v_pk_mul_f32 v[54:55], v[140:141], v[54:55] op_sel_hi:[1,0]
	v_fmac_f32_e32 v151, v95, v78
	v_add_f32_e32 v63, v7, v29
	v_pk_mul_f32 v[60:61], v[102:103], v[86:87] op_sel:[1,1] op_sel_hi:[0,1]
	v_add_f32_e32 v62, v11, v13
	v_pk_fma_f32 v[66:67], v[96:97], v[80:81], v[54:55] op_sel_hi:[1,0,1]
	v_pk_fma_f32 v[54:55], v[96:97], v[80:81], v[54:55] neg_lo:[0,0,1] neg_hi:[0,0,1]
	v_pk_mul_f32 v[64:65], v[144:145], v[64:65] op_sel_hi:[1,0]
	s_delay_alu instid0(VALU_DEP_4) | instskip(NEXT) | instid1(VALU_DEP_4)
	v_pk_add_f32 v[62:63], v[62:63], v[148:149]
	v_mov_b32_e32 v55, v67
	s_wait_loadcnt 0x2
	v_pk_mul_f32 v[66:67], v[106:107], v[90:91] op_sel:[1,1] op_sel_hi:[0,1]
	s_delay_alu instid0(VALU_DEP_3) | instskip(NEXT) | instid1(VALU_DEP_1)
	v_pk_add_f32 v[62:63], v[62:63], v[150:151]
	v_pk_add_f32 v[54:55], v[62:63], v[54:55]
	v_pk_fma_f32 v[62:63], v[102:103], v[86:87], v[60:61] op_sel_hi:[1,0,1]
	v_pk_fma_f32 v[60:61], v[102:103], v[86:87], v[60:61] neg_lo:[0,0,1] neg_hi:[0,0,1]
	s_delay_alu instid0(VALU_DEP_3) | instskip(NEXT) | instid1(VALU_DEP_3)
	v_pk_add_f32 v[54:55], v[54:55], v[56:57]
	v_dual_mov_b32 v56, v93 :: v_dual_mov_b32 v61, v63
	v_pk_fma_f32 v[62:63], v[104:105], v[88:89], v[64:65] op_sel_hi:[1,0,1]
	v_pk_fma_f32 v[64:65], v[104:105], v[88:89], v[64:65] neg_lo:[0,0,1] neg_hi:[0,0,1]
	s_delay_alu instid0(VALU_DEP_4)
	v_pk_add_f32 v[54:55], v[54:55], v[58:59]
	v_pk_fma_f32 v[58:59], v[106:107], v[90:91], v[66:67] op_sel_hi:[1,0,1]
	v_pk_mul_f32 v[56:57], v[146:147], v[56:57] op_sel_hi:[1,0]
	v_mov_b32_e32 v65, v63
	s_wait_loadcnt_dscnt 0x100
	v_pk_mul_f32 v[62:63], v[138:139], v[134:135] op_sel:[1,1] op_sel_hi:[0,1]
	v_pk_add_f32 v[54:55], v[54:55], v[60:61]
	v_pk_fma_f32 v[60:61], v[106:107], v[90:91], v[66:67] neg_lo:[0,0,1] neg_hi:[0,0,1]
	v_mov_b32_e32 v61, v59
	v_pk_fma_f32 v[58:59], v[108:109], v[92:93], v[56:57] op_sel_hi:[1,0,1]
	v_pk_fma_f32 v[56:57], v[108:109], v[92:93], v[56:57] neg_lo:[0,0,1] neg_hi:[0,0,1]
	v_pk_add_f32 v[54:55], v[54:55], v[64:65]
	s_delay_alu instid0(VALU_DEP_3) | instskip(SKIP_1) | instid1(VALU_DEP_3)
	v_mov_b32_e32 v57, v59
	v_pk_fma_f32 v[58:59], v[138:139], v[134:135], v[62:63] op_sel_hi:[1,0,1]
	v_pk_add_f32 v[54:55], v[54:55], v[60:61]
	v_pk_fma_f32 v[60:61], v[138:139], v[134:135], v[62:63] neg_lo:[0,0,1] neg_hi:[0,0,1]
	s_delay_alu instid0(VALU_DEP_3) | instskip(NEXT) | instid1(VALU_DEP_3)
	v_mov_b32_e32 v61, v59
	v_pk_add_f32 v[54:55], v[54:55], v[56:57]
	s_delay_alu instid0(VALU_DEP_1) | instskip(SKIP_1) | instid1(VALU_DEP_1)
	v_pk_add_f32 v[54:55], v[54:55], v[60:61]
	s_wait_loadcnt 0x0
	v_pk_add_f32 v[54:55], v[136:137], v[54:55] neg_lo:[0,1] neg_hi:[0,1]
	scratch_store_b64 off, v[54:55], off offset:32
	s_wait_xcnt 0x0
	v_cmpx_lt_u32_e32 3, v0
	s_cbranch_execz .LBB25_163
; %bb.162:
	scratch_load_b64 v[54:55], off, off offset:24
	v_mov_b64_e32 v[56:57], 0
	scratch_store_b64 off, v[56:57], off offset:24
	s_wait_loadcnt 0x0
	ds_store_b64 v1, v[54:55]
.LBB25_163:
	s_wait_xcnt 0x0
	s_or_b32 exec_lo, exec_lo, s0
	s_wait_storecnt_dscnt 0x0
	s_barrier_signal -1
	s_barrier_wait -1
	s_clause 0xb
	scratch_load_b128 v[54:57], off, off offset:32
	scratch_load_b128 v[58:61], off, off offset:48
	;; [unrolled: 1-line block ×11, first 2 shown]
	scratch_load_b64 v[142:143], off, off offset:24
	ds_load_b128 v[98:101], v5 offset:352
	ds_load_b128 v[102:105], v5 offset:368
	;; [unrolled: 1-line block ×11, first 2 shown]
	s_mov_b32 s0, exec_lo
	s_wait_dscnt 0xa
	v_dual_mov_b32 v144, v101 :: v_dual_mov_b32 v145, v100
	s_wait_dscnt 0x9
	v_dual_mov_b32 v146, v105 :: v_dual_mov_b32 v147, v104
	;; [unrolled: 2-line block ×4, first 2 shown]
	s_wait_loadcnt_dscnt 0xb06
	v_dual_mul_f32 v5, v114, v55 :: v_dual_mul_f32 v7, v116, v57
	v_dual_mul_f32 v31, v115, v55 :: v_dual_mul_f32 v33, v117, v57
	s_wait_loadcnt_dscnt 0xa05
	v_dual_mul_f32 v11, v118, v59 :: v_dual_mul_f32 v13, v120, v61
	s_delay_alu instid0(VALU_DEP_2) | instskip(SKIP_3) | instid1(VALU_DEP_3)
	v_dual_fmac_f32 v5, v115, v54 :: v_dual_fma_f32 v31, v114, v54, -v31
	v_dual_mul_f32 v35, v119, v59 :: v_dual_mul_f32 v37, v121, v61
	s_wait_loadcnt_dscnt 0x803
	v_dual_mul_f32 v43, v127, v67 :: v_dual_fmac_f32 v7, v117, v56
	v_dual_fma_f32 v33, v116, v56, -v33 :: v_dual_add_f32 v5, 0, v5
	v_dual_add_f32 v31, 0, v31 :: v_dual_mul_f32 v45, v129, v69
	v_fmac_f32_e32 v11, v119, v58
	s_delay_alu instid0(VALU_DEP_3) | instskip(NEXT) | instid1(VALU_DEP_3)
	v_dual_fma_f32 v35, v118, v58, -v35 :: v_dual_add_f32 v5, v5, v7
	v_dual_add_f32 v7, v31, v33 :: v_dual_mul_f32 v15, v122, v63
	v_dual_mul_f32 v17, v124, v65 :: v_dual_mul_f32 v39, v123, v63
	s_wait_loadcnt_dscnt 0x702
	v_dual_mul_f32 v41, v125, v65 :: v_dual_mul_f32 v31, v131, v71
	v_fmac_f32_e32 v13, v121, v60
	v_dual_fma_f32 v33, v120, v60, -v37 :: v_dual_add_f32 v5, v5, v11
	v_dual_add_f32 v7, v7, v35 :: v_dual_mul_f32 v11, v133, v73
	v_fmac_f32_e32 v15, v123, v62
	s_delay_alu instid0(VALU_DEP_3) | instskip(NEXT) | instid1(VALU_DEP_3)
	v_dual_fma_f32 v35, v122, v62, -v39 :: v_dual_add_f32 v5, v5, v13
	v_dual_add_f32 v7, v7, v33 :: v_dual_mul_f32 v19, v126, v67
	s_wait_loadcnt_dscnt 0x601
	v_dual_mul_f32 v21, v128, v69 :: v_dual_mul_f32 v13, v135, v75
	v_fmac_f32_e32 v17, v125, v64
	v_dual_fma_f32 v33, v124, v64, -v41 :: v_dual_add_f32 v5, v5, v15
	v_dual_add_f32 v7, v7, v35 :: v_dual_mul_f32 v15, v137, v77
	v_fmac_f32_e32 v19, v127, v66
	s_delay_alu instid0(VALU_DEP_3) | instskip(NEXT) | instid1(VALU_DEP_3)
	v_dual_fma_f32 v35, v126, v66, -v43 :: v_dual_add_f32 v5, v5, v17
	v_dual_add_f32 v7, v7, v33 :: v_dual_mul_f32 v23, v130, v71
	;; [unrolled: 9-line block ×3, first 2 shown]
	v_dual_mul_f32 v29, v136, v77 :: v_dual_fmac_f32 v25, v133, v72
	s_delay_alu instid0(VALU_DEP_3) | instskip(NEXT) | instid1(VALU_DEP_3)
	v_dual_fma_f32 v11, v132, v72, -v11 :: v_dual_add_f32 v5, v5, v23
	v_fmac_f32_e32 v27, v135, v74
	s_wait_loadcnt 0x4
	v_dual_add_f32 v7, v7, v31 :: v_dual_mov_b32 v56, v85
	s_delay_alu instid0(VALU_DEP_3) | instskip(SKIP_1) | instid1(VALU_DEP_3)
	v_dual_fma_f32 v13, v134, v74, -v13 :: v_dual_add_f32 v5, v5, v25
	v_dual_mul_f32 v153, v138, v79 :: v_dual_mul_f32 v155, v140, v81
	v_dual_add_f32 v7, v7, v11 :: v_dual_fmac_f32 v29, v137, v76
	s_delay_alu instid0(VALU_DEP_3) | instskip(SKIP_2) | instid1(VALU_DEP_3)
	v_dual_fma_f32 v11, v136, v76, -v15 :: v_dual_add_f32 v5, v5, v27
	v_pk_mul_f32 v[54:55], v[98:99], v[82:83] op_sel:[1,1] op_sel_hi:[0,1]
	s_wait_loadcnt 0x3
	v_dual_add_f32 v7, v7, v13 :: v_dual_mov_b32 v60, v89
	s_delay_alu instid0(VALU_DEP_3) | instskip(NEXT) | instid1(VALU_DEP_2)
	v_dual_fmac_f32 v153, v139, v78 :: v_dual_add_f32 v63, v5, v29
	v_dual_fma_f32 v152, v138, v78, -v17 :: v_dual_add_f32 v62, v7, v11
	v_fmac_f32_e32 v155, v141, v80
	v_pk_fma_f32 v[64:65], v[98:99], v[82:83], v[54:55] op_sel_hi:[1,0,1]
	v_fma_f32 v154, v140, v80, -v19
	v_pk_mul_f32 v[56:57], v[144:145], v[56:57] op_sel_hi:[1,0]
	v_pk_add_f32 v[62:63], v[62:63], v[152:153]
	v_pk_fma_f32 v[54:55], v[98:99], v[82:83], v[54:55] neg_lo:[0,0,1] neg_hi:[0,0,1]
	v_pk_mul_f32 v[58:59], v[102:103], v[86:87] op_sel:[1,1] op_sel_hi:[0,1]
	v_mov_b32_e32 v55, v65
	v_pk_fma_f32 v[64:65], v[100:101], v[84:85], v[56:57] op_sel_hi:[1,0,1]
	v_pk_add_f32 v[62:63], v[62:63], v[154:155]
	v_pk_fma_f32 v[56:57], v[100:101], v[84:85], v[56:57] neg_lo:[0,0,1] neg_hi:[0,0,1]
	v_pk_fma_f32 v[68:69], v[102:103], v[86:87], v[58:59] op_sel_hi:[1,0,1]
	v_pk_mul_f32 v[60:61], v[146:147], v[60:61] op_sel_hi:[1,0]
	v_mov_b32_e32 v57, v65
	v_pk_add_f32 v[54:55], v[62:63], v[54:55]
	s_wait_loadcnt 0x2
	v_pk_mul_f32 v[66:67], v[106:107], v[90:91] op_sel:[1,1] op_sel_hi:[0,1]
	v_mov_b32_e32 v62, v93
	v_pk_fma_f32 v[58:59], v[102:103], v[86:87], v[58:59] neg_lo:[0,0,1] neg_hi:[0,0,1]
	v_pk_fma_f32 v[64:65], v[104:105], v[88:89], v[60:61] op_sel_hi:[1,0,1]
	v_mov_b32_e32 v59, v69
	v_pk_add_f32 v[54:55], v[54:55], v[56:57]
	v_pk_fma_f32 v[56:57], v[106:107], v[90:91], v[66:67] op_sel_hi:[1,0,1]
	v_pk_mul_f32 v[62:63], v[148:149], v[62:63] op_sel_hi:[1,0]
	v_pk_fma_f32 v[60:61], v[104:105], v[88:89], v[60:61] neg_lo:[0,0,1] neg_hi:[0,0,1]
	v_mov_b32_e32 v61, v65
	v_pk_add_f32 v[54:55], v[54:55], v[58:59]
	v_pk_fma_f32 v[64:65], v[106:107], v[90:91], v[66:67] neg_lo:[0,0,1] neg_hi:[0,0,1]
	v_mov_b32_e32 v65, v57
	v_pk_fma_f32 v[56:57], v[108:109], v[92:93], v[62:63] op_sel_hi:[1,0,1]
	s_wait_loadcnt 0x1
	v_pk_mul_f32 v[58:59], v[110:111], v[94:95] op_sel:[1,1] op_sel_hi:[0,1]
	v_pk_add_f32 v[54:55], v[54:55], v[60:61]
	v_mov_b32_e32 v56, v97
	v_pk_fma_f32 v[62:63], v[108:109], v[92:93], v[62:63] neg_lo:[0,0,1] neg_hi:[0,0,1]
	s_delay_alu instid0(VALU_DEP_4)
	v_pk_fma_f32 v[60:61], v[110:111], v[94:95], v[58:59] op_sel_hi:[1,0,1]
	v_mov_b32_e32 v63, v57
	v_pk_add_f32 v[54:55], v[54:55], v[64:65]
	v_pk_mul_f32 v[56:57], v[150:151], v[56:57] op_sel_hi:[1,0]
	v_pk_fma_f32 v[58:59], v[110:111], v[94:95], v[58:59] neg_lo:[0,0,1] neg_hi:[0,0,1]
	v_mov_b32_e32 v59, v61
	s_delay_alu instid0(VALU_DEP_4) | instskip(NEXT) | instid1(VALU_DEP_4)
	v_pk_add_f32 v[54:55], v[54:55], v[62:63]
	v_pk_fma_f32 v[60:61], v[112:113], v[96:97], v[56:57] op_sel_hi:[1,0,1]
	v_pk_fma_f32 v[56:57], v[112:113], v[96:97], v[56:57] neg_lo:[0,0,1] neg_hi:[0,0,1]
	s_delay_alu instid0(VALU_DEP_3) | instskip(NEXT) | instid1(VALU_DEP_3)
	v_pk_add_f32 v[54:55], v[54:55], v[58:59]
	v_mov_b32_e32 v57, v61
	s_delay_alu instid0(VALU_DEP_1) | instskip(SKIP_1) | instid1(VALU_DEP_1)
	v_pk_add_f32 v[54:55], v[54:55], v[56:57]
	s_wait_loadcnt 0x0
	v_pk_add_f32 v[54:55], v[142:143], v[54:55] neg_lo:[0,1] neg_hi:[0,1]
	scratch_store_b64 off, v[54:55], off offset:24
	s_wait_xcnt 0x0
	v_cmpx_lt_u32_e32 2, v0
	s_cbranch_execz .LBB25_165
; %bb.164:
	scratch_load_b64 v[54:55], off, off offset:16
	v_mov_b64_e32 v[56:57], 0
	scratch_store_b64 off, v[56:57], off offset:16
	s_wait_loadcnt 0x0
	ds_store_b64 v1, v[54:55]
.LBB25_165:
	s_wait_xcnt 0x0
	s_or_b32 exec_lo, exec_lo, s0
	s_wait_storecnt_dscnt 0x0
	s_barrier_signal -1
	s_barrier_wait -1
	s_clause 0xc
	scratch_load_b128 v[54:57], off, off offset:24
	scratch_load_b128 v[58:61], off, off offset:40
	;; [unrolled: 1-line block ×11, first 2 shown]
	scratch_load_b64 v[142:143], off, off offset:200
	scratch_load_b64 v[144:145], off, off offset:16
	v_mov_b32_e32 v33, 0
	ds_load_2addr_b64 v[98:101], v33 offset0:43 offset1:44
	ds_load_2addr_b64 v[102:105], v33 offset0:45 offset1:46
	;; [unrolled: 1-line block ×11, first 2 shown]
	ds_load_b64 v[146:147], v33 offset:408
	s_mov_b32 s0, exec_lo
	s_wait_dscnt 0xb
	v_dual_mov_b32 v148, v101 :: v_dual_mov_b32 v149, v100
	s_wait_dscnt 0x8
	v_dual_mov_b32 v150, v105 :: v_dual_mov_b32 v155, v112
	v_dual_mov_b32 v151, v104 :: v_dual_mov_b32 v152, v109
	;; [unrolled: 1-line block ×3, first 2 shown]
	s_wait_loadcnt_dscnt 0xc07
	v_dual_mul_f32 v5, v114, v55 :: v_dual_mul_f32 v35, v115, v55
	v_dual_mul_f32 v37, v117, v57 :: v_dual_mul_f32 v7, v116, v57
	s_wait_loadcnt_dscnt 0xb06
	v_mul_f32_e32 v11, v118, v59
	s_wait_loadcnt_dscnt 0x904
	v_dual_mul_f32 v47, v127, v67 :: v_dual_fma_f32 v35, v114, v54, -v35
	v_dual_fmac_f32 v5, v115, v54 :: v_dual_mul_f32 v49, v129, v69
	v_dual_mul_f32 v39, v119, v59 :: v_dual_mul_f32 v41, v121, v61
	v_dual_fmac_f32 v7, v117, v56 :: v_dual_fma_f32 v37, v116, v56, -v37
	s_delay_alu instid0(VALU_DEP_3) | instskip(SKIP_3) | instid1(VALU_DEP_3)
	v_dual_add_f32 v5, 0, v5 :: v_dual_add_f32 v35, 0, v35
	v_dual_mul_f32 v13, v120, v61 :: v_dual_mul_f32 v15, v122, v63
	s_wait_loadcnt_dscnt 0x803
	v_dual_mul_f32 v51, v131, v71 :: v_dual_fma_f32 v39, v118, v58, -v39
	v_dual_fmac_f32 v11, v119, v58 :: v_dual_add_f32 v5, v5, v7
	s_delay_alu instid0(VALU_DEP_3) | instskip(SKIP_2) | instid1(VALU_DEP_4)
	v_dual_add_f32 v7, v35, v37 :: v_dual_fmac_f32 v13, v121, v60
	v_dual_mul_f32 v43, v123, v63 :: v_dual_mul_f32 v45, v125, v65
	v_dual_mul_f32 v35, v133, v73 :: v_dual_fma_f32 v37, v120, v60, -v41
	v_dual_add_f32 v5, v5, v11 :: v_dual_fmac_f32 v15, v123, v62
	s_delay_alu instid0(VALU_DEP_3) | instskip(SKIP_2) | instid1(VALU_DEP_3)
	v_dual_add_f32 v7, v7, v39 :: v_dual_fma_f32 v39, v122, v62, -v43
	v_dual_mul_f32 v17, v124, v65 :: v_dual_mul_f32 v19, v126, v67
	s_wait_loadcnt_dscnt 0x701
	v_dual_mul_f32 v11, v139, v75 :: v_dual_add_f32 v5, v5, v13
	s_delay_alu instid0(VALU_DEP_2) | instskip(SKIP_1) | instid1(VALU_DEP_3)
	v_dual_add_f32 v7, v7, v37 :: v_dual_fmac_f32 v17, v125, v64
	v_dual_mul_f32 v13, v141, v77 :: v_dual_fma_f32 v37, v124, v64, -v45
	v_dual_add_f32 v5, v5, v15 :: v_dual_fmac_f32 v19, v127, v66
	s_delay_alu instid0(VALU_DEP_3) | instskip(SKIP_2) | instid1(VALU_DEP_3)
	v_dual_add_f32 v7, v7, v39 :: v_dual_fma_f32 v39, v126, v66, -v47
	v_dual_mul_f32 v21, v128, v69 :: v_dual_mul_f32 v23, v130, v71
	s_wait_loadcnt 0x6
	v_dual_mul_f32 v15, v135, v79 :: v_dual_add_f32 v5, v5, v17
	s_delay_alu instid0(VALU_DEP_2) | instskip(SKIP_1) | instid1(VALU_DEP_3)
	v_dual_add_f32 v7, v7, v37 :: v_dual_fmac_f32 v21, v129, v68
	v_dual_mul_f32 v17, v137, v81 :: v_dual_fma_f32 v37, v128, v68, -v49
	v_dual_add_f32 v5, v5, v19 :: v_dual_fmac_f32 v23, v131, v70
	s_delay_alu instid0(VALU_DEP_3) | instskip(SKIP_2) | instid1(VALU_DEP_3)
	v_dual_add_f32 v7, v7, v39 :: v_dual_fma_f32 v39, v130, v70, -v51
	v_dual_mul_f32 v25, v132, v73 :: v_dual_mul_f32 v27, v138, v75
	s_wait_loadcnt 0x5
	v_dual_mul_f32 v19, v99, v83 :: v_dual_add_f32 v5, v5, v21
	s_delay_alu instid0(VALU_DEP_3) | instskip(NEXT) | instid1(VALU_DEP_3)
	v_dual_add_f32 v7, v7, v37 :: v_dual_mov_b32 v54, v85
	v_dual_fmac_f32 v25, v133, v72 :: v_dual_fma_f32 v21, v132, v72, -v35
	s_delay_alu instid0(VALU_DEP_3) | instskip(NEXT) | instid1(VALU_DEP_3)
	v_dual_add_f32 v5, v5, v23 :: v_dual_fmac_f32 v27, v139, v74
	v_dual_add_f32 v7, v7, v39 :: v_dual_fma_f32 v11, v138, v74, -v11
	v_dual_mul_f32 v29, v140, v77 :: v_dual_mul_f32 v31, v134, v79
	s_delay_alu instid0(VALU_DEP_3) | instskip(SKIP_1) | instid1(VALU_DEP_3)
	v_dual_add_f32 v5, v5, v25 :: v_dual_fma_f32 v13, v140, v76, -v13
	s_wait_loadcnt 0x4
	v_dual_add_f32 v7, v7, v21 :: v_dual_mov_b32 v58, v89
	s_delay_alu instid0(VALU_DEP_3) | instskip(NEXT) | instid1(VALU_DEP_3)
	v_fmac_f32_e32 v29, v141, v76
	v_dual_add_f32 v5, v5, v27 :: v_dual_fmac_f32 v31, v135, v78
	s_delay_alu instid0(VALU_DEP_3) | instskip(SKIP_1) | instid1(VALU_DEP_3)
	v_dual_add_f32 v7, v7, v11 :: v_dual_mul_f32 v157, v136, v81
	v_mul_f32_e32 v159, v98, v83
	v_dual_fma_f32 v11, v134, v78, -v15 :: v_dual_add_f32 v5, v5, v29
	s_delay_alu instid0(VALU_DEP_3) | instskip(SKIP_1) | instid1(VALU_DEP_3)
	v_dual_add_f32 v7, v7, v13 :: v_dual_fmac_f32 v157, v137, v80
	v_pk_mul_f32 v[56:57], v[102:103], v[86:87] op_sel:[1,1] op_sel_hi:[0,1]
	v_dual_fma_f32 v156, v136, v80, -v17 :: v_dual_add_f32 v63, v5, v31
	v_pk_mul_f32 v[54:55], v[148:149], v[54:55] op_sel_hi:[1,0]
	s_wait_loadcnt 0x3
	v_dual_add_f32 v62, v7, v11 :: v_dual_mov_b32 v64, v93
	v_pk_fma_f32 v[68:69], v[102:103], v[86:87], v[56:57] op_sel_hi:[1,0,1]
	v_fmac_f32_e32 v159, v99, v82
	v_pk_fma_f32 v[66:67], v[100:101], v[84:85], v[54:55] op_sel_hi:[1,0,1]
	v_fma_f32 v158, v98, v82, -v19
	v_pk_add_f32 v[62:63], v[62:63], v[156:157]
	v_pk_fma_f32 v[54:55], v[100:101], v[84:85], v[54:55] neg_lo:[0,0,1] neg_hi:[0,0,1]
	v_pk_fma_f32 v[56:57], v[102:103], v[86:87], v[56:57] neg_lo:[0,0,1] neg_hi:[0,0,1]
	v_pk_mul_f32 v[58:59], v[150:151], v[58:59] op_sel_hi:[1,0]
	v_dual_mov_b32 v55, v67 :: v_dual_mov_b32 v57, v69
	v_pk_add_f32 v[62:63], v[62:63], v[158:159]
	v_pk_mul_f32 v[60:61], v[106:107], v[90:91] op_sel:[1,1] op_sel_hi:[0,1]
	s_delay_alu instid0(VALU_DEP_4)
	v_pk_fma_f32 v[68:69], v[104:105], v[88:89], v[58:59] op_sel_hi:[1,0,1]
	v_pk_fma_f32 v[58:59], v[104:105], v[88:89], v[58:59] neg_lo:[0,0,1] neg_hi:[0,0,1]
	v_pk_mul_f32 v[64:65], v[152:153], v[64:65] op_sel_hi:[1,0]
	v_pk_add_f32 v[54:55], v[62:63], v[54:55]
	v_pk_fma_f32 v[62:63], v[106:107], v[90:91], v[60:61] op_sel_hi:[1,0,1]
	v_mov_b32_e32 v59, v69
	v_pk_fma_f32 v[60:61], v[106:107], v[90:91], v[60:61] neg_lo:[0,0,1] neg_hi:[0,0,1]
	s_wait_loadcnt 0x2
	v_pk_mul_f32 v[66:67], v[110:111], v[94:95] op_sel:[1,1] op_sel_hi:[0,1]
	v_pk_add_f32 v[54:55], v[54:55], v[56:57]
	v_dual_mov_b32 v56, v97 :: v_dual_mov_b32 v61, v63
	v_pk_fma_f32 v[62:63], v[108:109], v[92:93], v[64:65] op_sel_hi:[1,0,1]
	v_pk_fma_f32 v[64:65], v[108:109], v[92:93], v[64:65] neg_lo:[0,0,1] neg_hi:[0,0,1]
	s_delay_alu instid0(VALU_DEP_4)
	v_pk_add_f32 v[54:55], v[54:55], v[58:59]
	v_pk_fma_f32 v[58:59], v[110:111], v[94:95], v[66:67] op_sel_hi:[1,0,1]
	v_pk_mul_f32 v[56:57], v[154:155], v[56:57] op_sel_hi:[1,0]
	v_mov_b32_e32 v65, v63
	s_wait_loadcnt_dscnt 0x100
	v_pk_mul_f32 v[62:63], v[146:147], v[142:143] op_sel:[1,1] op_sel_hi:[0,1]
	v_pk_add_f32 v[54:55], v[54:55], v[60:61]
	v_pk_fma_f32 v[60:61], v[110:111], v[94:95], v[66:67] neg_lo:[0,0,1] neg_hi:[0,0,1]
	v_mov_b32_e32 v61, v59
	v_pk_fma_f32 v[58:59], v[112:113], v[96:97], v[56:57] op_sel_hi:[1,0,1]
	v_pk_fma_f32 v[56:57], v[112:113], v[96:97], v[56:57] neg_lo:[0,0,1] neg_hi:[0,0,1]
	v_pk_add_f32 v[54:55], v[54:55], v[64:65]
	s_delay_alu instid0(VALU_DEP_3) | instskip(SKIP_1) | instid1(VALU_DEP_3)
	v_mov_b32_e32 v57, v59
	v_pk_fma_f32 v[58:59], v[146:147], v[142:143], v[62:63] op_sel_hi:[1,0,1]
	v_pk_add_f32 v[54:55], v[54:55], v[60:61]
	v_pk_fma_f32 v[60:61], v[146:147], v[142:143], v[62:63] neg_lo:[0,0,1] neg_hi:[0,0,1]
	s_delay_alu instid0(VALU_DEP_3) | instskip(NEXT) | instid1(VALU_DEP_3)
	v_mov_b32_e32 v61, v59
	v_pk_add_f32 v[54:55], v[54:55], v[56:57]
	s_delay_alu instid0(VALU_DEP_1) | instskip(SKIP_1) | instid1(VALU_DEP_1)
	v_pk_add_f32 v[54:55], v[54:55], v[60:61]
	s_wait_loadcnt 0x0
	v_pk_add_f32 v[54:55], v[144:145], v[54:55] neg_lo:[0,1] neg_hi:[0,1]
	scratch_store_b64 off, v[54:55], off offset:16
	s_wait_xcnt 0x0
	v_cmpx_lt_u32_e32 1, v0
	s_cbranch_execz .LBB25_167
; %bb.166:
	scratch_load_b64 v[54:55], off, off offset:8
	v_mov_b64_e32 v[56:57], 0
	scratch_store_b64 off, v[56:57], off offset:8
	s_wait_loadcnt 0x0
	ds_store_b64 v1, v[54:55]
.LBB25_167:
	s_wait_xcnt 0x0
	s_or_b32 exec_lo, exec_lo, s0
	s_wait_storecnt_dscnt 0x0
	s_barrier_signal -1
	s_barrier_wait -1
	s_clause 0xc
	scratch_load_b128 v[54:57], off, off offset:16
	scratch_load_b128 v[58:61], off, off offset:32
	;; [unrolled: 1-line block ×12, first 2 shown]
	scratch_load_b64 v[150:151], off, off offset:8
	ds_load_b128 v[102:105], v33 offset:352
	ds_load_b128 v[106:109], v33 offset:368
	;; [unrolled: 1-line block ×12, first 2 shown]
	v_dual_ashrrev_i32 v31, 31, v30 :: v_dual_ashrrev_i32 v5, 31, v4
	v_ashrrev_i32_e32 v7, 31, v6
	v_dual_ashrrev_i32 v11, 31, v10 :: v_dual_ashrrev_i32 v13, 31, v12
	v_dual_ashrrev_i32 v15, 31, v14 :: v_dual_ashrrev_i32 v17, 31, v16
	;; [unrolled: 1-line block ×5, first 2 shown]
	s_mov_b32 s0, exec_lo
	s_wait_dscnt 0xa
	v_dual_mov_b32 v154, v109 :: v_dual_mov_b32 v153, v104
	s_wait_dscnt 0x7
	v_dual_mov_b32 v152, v105 :: v_dual_mov_b32 v159, v120
	v_dual_mov_b32 v155, v108 :: v_dual_mov_b32 v156, v117
	;; [unrolled: 1-line block ×3, first 2 shown]
	s_wait_loadcnt 0xc
	v_dual_mul_f32 v33, v110, v55 :: v_dual_mul_f32 v35, v112, v57
	v_dual_mul_f32 v37, v111, v55 :: v_dual_mul_f32 v39, v113, v57
	s_wait_loadcnt_dscnt 0xb06
	s_delay_alu instid0(VALU_DEP_2)
	v_dual_mul_f32 v41, v122, v59 :: v_dual_fmac_f32 v33, v111, v54
	v_dual_mul_f32 v43, v124, v61 :: v_dual_mul_f32 v45, v123, v59
	s_wait_loadcnt_dscnt 0x500
	v_dual_mul_f32 v57, v148, v85 :: v_dual_fma_f32 v37, v110, v54, -v37
	v_dual_mul_f32 v54, v131, v67 :: v_dual_fmac_f32 v35, v113, v56
	v_dual_add_f32 v33, 0, v33 :: v_dual_fma_f32 v39, v112, v56, -v39
	s_delay_alu instid0(VALU_DEP_3) | instskip(SKIP_2) | instid1(VALU_DEP_4)
	v_add_f32_e32 v37, 0, v37
	v_dual_mul_f32 v47, v125, v61 :: v_dual_mul_f32 v49, v126, v63
	v_dual_mul_f32 v56, v133, v69 :: v_dual_fmac_f32 v41, v123, v58
	v_dual_fma_f32 v45, v122, v58, -v45 :: v_dual_add_f32 v33, v33, v35
	s_delay_alu instid0(VALU_DEP_3) | instskip(SKIP_2) | instid1(VALU_DEP_4)
	v_dual_add_f32 v35, v37, v39 :: v_dual_fma_f32 v39, v124, v60, -v47
	v_dual_mul_f32 v162, v140, v77 :: v_dual_mul_f32 v63, v127, v63
	v_dual_mul_f32 v37, v135, v71 :: v_dual_fmac_f32 v43, v125, v60
	v_dual_add_f32 v33, v33, v41 :: v_dual_fmac_f32 v49, v127, v62
	s_delay_alu instid0(VALU_DEP_3) | instskip(SKIP_2) | instid1(VALU_DEP_3)
	v_dual_add_f32 v35, v35, v45 :: v_dual_fma_f32 v45, v126, v62, -v63
	v_dual_mul_f32 v51, v128, v65 :: v_dual_mul_f32 v53, v130, v67
	v_dual_mul_f32 v65, v129, v65 :: v_dual_mul_f32 v163, v142, v79
	v_dual_mul_f32 v41, v137, v73 :: v_dual_add_f32 v35, v35, v39
	s_delay_alu instid0(VALU_DEP_2) | instskip(NEXT) | instid1(VALU_DEP_4)
	v_dual_add_f32 v33, v33, v43 :: v_dual_fma_f32 v43, v128, v64, -v65
	v_dual_mul_f32 v39, v139, v75 :: v_dual_fmac_f32 v51, v129, v64
	s_delay_alu instid0(VALU_DEP_3) | instskip(NEXT) | instid1(VALU_DEP_3)
	v_dual_add_f32 v35, v35, v45 :: v_dual_fma_f32 v47, v130, v66, -v54
	v_dual_add_f32 v33, v33, v49 :: v_dual_fmac_f32 v53, v131, v66
	v_dual_mul_f32 v59, v132, v69 :: v_dual_mul_f32 v61, v134, v71
	s_delay_alu instid0(VALU_DEP_3) | instskip(NEXT) | instid1(VALU_DEP_3)
	v_dual_mul_f32 v45, v141, v77 :: v_dual_add_f32 v35, v35, v43
	v_dual_add_f32 v33, v33, v51 :: v_dual_fma_f32 v49, v132, v68, -v56
	s_delay_alu instid0(VALU_DEP_3) | instskip(NEXT) | instid1(VALU_DEP_2)
	v_dual_mul_f32 v43, v143, v79 :: v_dual_fmac_f32 v59, v133, v68
	v_dual_add_f32 v35, v35, v47 :: v_dual_add_f32 v33, v33, v53
	v_dual_mul_f32 v160, v136, v73 :: v_dual_mul_f32 v161, v138, v75
	v_dual_mul_f32 v47, v145, v81 :: v_dual_fmac_f32 v61, v135, v70
	s_delay_alu instid0(VALU_DEP_3) | instskip(NEXT) | instid1(VALU_DEP_3)
	v_dual_fma_f32 v37, v134, v70, -v37 :: v_dual_add_f32 v33, v33, v59
	v_dual_add_f32 v35, v35, v49 :: v_dual_fmac_f32 v160, v137, v72
	v_dual_mul_f32 v49, v147, v83 :: v_dual_fma_f32 v41, v136, v72, -v41
	s_delay_alu instid0(VALU_DEP_3) | instskip(NEXT) | instid1(VALU_DEP_3)
	v_dual_add_f32 v33, v33, v61 :: v_dual_fmac_f32 v161, v139, v74
	v_dual_add_f32 v35, v35, v37 :: v_dual_fma_f32 v39, v138, v74, -v39
	v_mul_f32_e32 v37, v149, v85
	s_delay_alu instid0(VALU_DEP_3) | instskip(NEXT) | instid1(VALU_DEP_3)
	v_dual_add_f32 v33, v33, v160 :: v_dual_mul_f32 v164, v144, v81
	v_dual_mul_f32 v55, v146, v83 :: v_dual_add_f32 v35, v35, v41
	v_dual_fmac_f32 v162, v141, v76 :: v_dual_fma_f32 v41, v140, v76, -v45
	s_delay_alu instid0(VALU_DEP_3) | instskip(SKIP_1) | instid1(VALU_DEP_3)
	v_dual_add_f32 v33, v33, v161 :: v_dual_fmac_f32 v163, v143, v78
	s_wait_loadcnt 0x4
	v_dual_add_f32 v35, v35, v39 :: v_dual_mov_b32 v60, v89
	v_fma_f32 v39, v142, v78, -v43
	s_delay_alu instid0(VALU_DEP_3) | instskip(NEXT) | instid1(VALU_DEP_3)
	v_add_f32_e32 v33, v33, v162
	v_dual_fmac_f32 v164, v145, v80 :: v_dual_add_f32 v35, v35, v41
	v_fma_f32 v41, v144, v80, -v47
	v_pk_mul_f32 v[58:59], v[102:103], v[86:87] op_sel:[1,1] op_sel_hi:[0,1]
	s_delay_alu instid0(VALU_DEP_4) | instskip(SKIP_2) | instid1(VALU_DEP_2)
	v_dual_add_f32 v33, v33, v163 :: v_dual_fmac_f32 v55, v147, v82
	s_wait_loadcnt 0x3
	v_dual_add_f32 v35, v35, v39 :: v_dual_mov_b32 v64, v93
	v_dual_fma_f32 v54, v146, v82, -v49 :: v_dual_add_f32 v67, v33, v164
	s_delay_alu instid0(VALU_DEP_2)
	v_dual_fmac_f32 v57, v149, v84 :: v_dual_add_f32 v66, v35, v41
	v_pk_fma_f32 v[68:69], v[102:103], v[86:87], v[58:59] op_sel_hi:[1,0,1]
	v_fma_f32 v56, v148, v84, -v37
	v_pk_mul_f32 v[60:61], v[152:153], v[60:61] op_sel_hi:[1,0]
	v_pk_fma_f32 v[58:59], v[102:103], v[86:87], v[58:59] neg_lo:[0,0,1] neg_hi:[0,0,1]
	v_pk_add_f32 v[54:55], v[66:67], v[54:55]
	v_pk_mul_f32 v[62:63], v[106:107], v[90:91] op_sel:[1,1] op_sel_hi:[0,1]
	v_mov_b32_e32 v59, v69
	v_pk_fma_f32 v[68:69], v[104:105], v[88:89], v[60:61] op_sel_hi:[1,0,1]
	v_pk_fma_f32 v[60:61], v[104:105], v[88:89], v[60:61] neg_lo:[0,0,1] neg_hi:[0,0,1]
	v_pk_add_f32 v[54:55], v[54:55], v[56:57]
	v_pk_fma_f32 v[56:57], v[106:107], v[90:91], v[62:63] op_sel_hi:[1,0,1]
	v_pk_mul_f32 v[64:65], v[154:155], v[64:65] op_sel_hi:[1,0]
	s_wait_loadcnt 0x2
	v_dual_mov_b32 v61, v69 :: v_dual_mov_b32 v56, v97
	v_pk_add_f32 v[54:55], v[54:55], v[58:59]
	v_pk_mul_f32 v[66:67], v[114:115], v[94:95] op_sel:[1,1] op_sel_hi:[0,1]
	v_pk_fma_f32 v[58:59], v[106:107], v[90:91], v[62:63] neg_lo:[0,0,1] neg_hi:[0,0,1]
	v_pk_fma_f32 v[62:63], v[108:109], v[92:93], v[64:65] op_sel_hi:[1,0,1]
	v_mov_b32_e32 v59, v57
	v_pk_add_f32 v[54:55], v[54:55], v[60:61]
	v_pk_fma_f32 v[60:61], v[114:115], v[94:95], v[66:67] op_sel_hi:[1,0,1]
	v_pk_mul_f32 v[56:57], v[156:157], v[56:57] op_sel_hi:[1,0]
	v_pk_fma_f32 v[64:65], v[108:109], v[92:93], v[64:65] neg_lo:[0,0,1] neg_hi:[0,0,1]
	v_mov_b32_e32 v65, v63
	v_pk_add_f32 v[54:55], v[54:55], v[58:59]
	v_pk_fma_f32 v[62:63], v[114:115], v[94:95], v[66:67] neg_lo:[0,0,1] neg_hi:[0,0,1]
	v_mov_b32_e32 v63, v61
	v_pk_fma_f32 v[60:61], v[116:117], v[96:97], v[56:57] op_sel_hi:[1,0,1]
	s_wait_loadcnt 0x1
	v_pk_mul_f32 v[58:59], v[118:119], v[98:99] op_sel:[1,1] op_sel_hi:[0,1]
	v_pk_add_f32 v[54:55], v[54:55], v[64:65]
	v_mov_b32_e32 v60, v101
	v_pk_fma_f32 v[56:57], v[116:117], v[96:97], v[56:57] neg_lo:[0,0,1] neg_hi:[0,0,1]
	v_dual_mov_b32 v57, v61 :: v_dual_ashrrev_i32 v33, 31, v32
	v_pk_fma_f32 v[64:65], v[118:119], v[98:99], v[58:59] op_sel_hi:[1,0,1]
	v_pk_add_f32 v[54:55], v[54:55], v[62:63]
	v_pk_mul_f32 v[60:61], v[158:159], v[60:61] op_sel_hi:[1,0]
	v_pk_fma_f32 v[58:59], v[118:119], v[98:99], v[58:59] neg_lo:[0,0,1] neg_hi:[0,0,1]
	s_delay_alu instid0(VALU_DEP_4) | instskip(NEXT) | instid1(VALU_DEP_4)
	v_dual_ashrrev_i32 v35, 31, v34 :: v_dual_mov_b32 v59, v65
	v_pk_add_f32 v[54:55], v[54:55], v[56:57]
	s_delay_alu instid0(VALU_DEP_4)
	v_pk_fma_f32 v[56:57], v[120:121], v[100:101], v[60:61] op_sel_hi:[1,0,1]
	v_pk_fma_f32 v[60:61], v[120:121], v[100:101], v[60:61] neg_lo:[0,0,1] neg_hi:[0,0,1]
	v_dual_ashrrev_i32 v37, 31, v36 :: v_dual_ashrrev_i32 v39, 31, v38
	v_ashrrev_i32_e32 v41, 31, v40
	v_pk_add_f32 v[54:55], v[54:55], v[58:59]
	v_dual_mov_b32 v61, v57 :: v_dual_ashrrev_i32 v43, 31, v42
	v_dual_ashrrev_i32 v45, 31, v44 :: v_dual_ashrrev_i32 v47, 31, v46
	v_ashrrev_i32_e32 v49, 31, v48
	s_delay_alu instid0(VALU_DEP_3) | instskip(SKIP_2) | instid1(VALU_DEP_2)
	v_pk_add_f32 v[54:55], v[54:55], v[60:61]
	v_dual_ashrrev_i32 v51, 31, v50 :: v_dual_ashrrev_i32 v53, 31, v52
	s_wait_loadcnt 0x0
	v_pk_add_f32 v[54:55], v[150:151], v[54:55] neg_lo:[0,1] neg_hi:[0,1]
	scratch_store_b64 off, v[54:55], off offset:8
	s_wait_xcnt 0x0
	v_cmpx_ne_u32_e32 0, v0
	s_cbranch_execz .LBB25_169
; %bb.168:
	scratch_load_b64 v[54:55], off, off
	v_mov_b64_e32 v[56:57], 0
	scratch_store_b64 off, v[56:57], off
	s_wait_loadcnt 0x0
	ds_store_b64 v1, v[54:55]
.LBB25_169:
	s_wait_xcnt 0x0
	s_or_b32 exec_lo, exec_lo, s0
	s_wait_storecnt_dscnt 0x0
	s_barrier_signal -1
	s_barrier_wait -1
	s_clause 0xd
	scratch_load_b128 v[56:59], off, off offset:8
	scratch_load_b128 v[60:63], off, off offset:24
	;; [unrolled: 1-line block ×12, first 2 shown]
	scratch_load_b64 v[0:1], off, off offset:200
	scratch_load_b64 v[152:153], off, off
	v_mov_b32_e32 v54, 0
	ds_load_2addr_b64 v[104:107], v54 offset0:43 offset1:44
	ds_load_2addr_b64 v[108:111], v54 offset0:45 offset1:46
	;; [unrolled: 1-line block ×12, first 2 shown]
	ds_load_b64 v[154:155], v54 offset:408
	s_and_b32 vcc_lo, exec_lo, s18
	s_wait_dscnt 0xc
	v_dual_mov_b32 v156, v107 :: v_dual_mov_b32 v157, v106
	s_wait_dscnt 0x9
	v_dual_mov_b32 v158, v111 :: v_dual_mov_b32 v163, v118
	v_dual_mov_b32 v159, v110 :: v_dual_mov_b32 v160, v115
	;; [unrolled: 1-line block ×3, first 2 shown]
	s_wait_loadcnt_dscnt 0xd08
	v_dual_mul_f32 v55, v120, v57 :: v_dual_mul_f32 v57, v121, v57
	s_wait_loadcnt_dscnt 0xc07
	v_dual_mul_f32 v164, v122, v59 :: v_dual_mul_f32 v166, v124, v61
	;; [unrolled: 2-line block ×3, first 2 shown]
	v_dual_mul_f32 v59, v123, v59 :: v_dual_mul_f32 v69, v133, v69
	v_dual_fmac_f32 v55, v121, v56 :: v_dual_fma_f32 v56, v120, v56, -v57
	v_dual_mul_f32 v61, v125, v61 :: v_dual_mul_f32 v57, v135, v71
	s_delay_alu instid0(VALU_DEP_3) | instskip(NEXT) | instid1(VALU_DEP_3)
	v_dual_fmac_f32 v164, v123, v58 :: v_dual_fma_f32 v58, v122, v58, -v59
	v_dual_add_f32 v55, 0, v55 :: v_dual_add_f32 v56, 0, v56
	v_dual_mul_f32 v168, v126, v63 :: v_dual_mul_f32 v169, v128, v65
	s_wait_loadcnt_dscnt 0x904
	v_dual_mul_f32 v63, v127, v63 :: v_dual_mul_f32 v59, v137, v73
	s_delay_alu instid0(VALU_DEP_3) | instskip(SKIP_1) | instid1(VALU_DEP_3)
	v_dual_fmac_f32 v166, v125, v60 :: v_dual_add_f32 v56, v56, v58
	v_fma_f32 v60, v124, v60, -v61
	v_dual_add_f32 v55, v55, v164 :: v_dual_fma_f32 v61, v126, v62, -v63
	v_dual_mul_f32 v65, v129, v65 :: v_dual_mul_f32 v67, v131, v67
	s_delay_alu instid0(VALU_DEP_3)
	v_dual_mul_f32 v58, v139, v75 :: v_dual_add_f32 v56, v56, v60
	s_wait_loadcnt_dscnt 0x803
	v_dual_fmac_f32 v168, v127, v62 :: v_dual_mul_f32 v60, v141, v77
	v_dual_add_f32 v55, v55, v166 :: v_dual_fmac_f32 v169, v129, v64
	v_fma_f32 v62, v128, v64, -v65
	v_dual_add_f32 v56, v56, v61 :: v_dual_mul_f32 v61, v143, v79
	s_delay_alu instid0(VALU_DEP_3) | instskip(SKIP_1) | instid1(VALU_DEP_3)
	v_add_f32_e32 v55, v55, v168
	v_dual_fmac_f32 v170, v131, v66 :: v_dual_fma_f32 v63, v130, v66, -v67
	v_dual_add_f32 v56, v56, v62 :: v_dual_mul_f32 v172, v134, v71
	v_mul_f32_e32 v173, v136, v73
	s_delay_alu instid0(VALU_DEP_4)
	v_add_f32_e32 v55, v55, v169
	s_wait_loadcnt_dscnt 0x702
	v_dual_mul_f32 v62, v145, v81 :: v_dual_fma_f32 v64, v132, v68, -v69
	v_dual_fmac_f32 v171, v133, v68 :: v_dual_add_f32 v56, v56, v63
	v_fmac_f32_e32 v172, v135, v70
	v_add_f32_e32 v55, v55, v170
	v_dual_mul_f32 v63, v147, v83 :: v_dual_fma_f32 v57, v134, v70, -v57
	s_delay_alu instid0(VALU_DEP_4) | instskip(NEXT) | instid1(VALU_DEP_3)
	v_dual_add_f32 v56, v56, v64 :: v_dual_mul_f32 v174, v138, v75
	v_dual_mul_f32 v175, v140, v77 :: v_dual_add_f32 v55, v55, v171
	s_wait_loadcnt_dscnt 0x601
	v_dual_mul_f32 v64, v149, v85 :: v_dual_fma_f32 v59, v136, v72, -v59
	s_delay_alu instid0(VALU_DEP_3) | instskip(NEXT) | instid1(VALU_DEP_3)
	v_dual_fmac_f32 v173, v137, v72 :: v_dual_add_f32 v56, v56, v57
	v_dual_add_f32 v55, v55, v172 :: v_dual_fma_f32 v58, v138, v74, -v58
	v_dual_fmac_f32 v174, v139, v74 :: v_dual_mul_f32 v176, v142, v79
	v_mul_f32_e32 v177, v144, v81
	s_delay_alu instid0(VALU_DEP_3) | instskip(SKIP_3) | instid1(VALU_DEP_4)
	v_dual_add_f32 v55, v55, v173 :: v_dual_fmac_f32 v175, v141, v76
	v_add_f32_e32 v56, v56, v59
	v_fma_f32 v59, v140, v76, -v60
	v_dual_fmac_f32 v176, v143, v78 :: v_dual_fma_f32 v60, v142, v78, -v61
	v_add_f32_e32 v55, v55, v174
	s_wait_loadcnt 0x5
	v_dual_add_f32 v58, v56, v58 :: v_dual_mov_b32 v56, v91
	v_dual_mul_f32 v178, v146, v83 :: v_dual_mul_f32 v179, v148, v85
	s_delay_alu instid0(VALU_DEP_3) | instskip(NEXT) | instid1(VALU_DEP_3)
	v_dual_add_f32 v55, v55, v175 :: v_dual_fmac_f32 v177, v145, v80
	v_dual_add_f32 v61, v58, v59 :: v_dual_fma_f32 v62, v144, v80, -v62
	s_delay_alu instid0(VALU_DEP_3) | instskip(NEXT) | instid1(VALU_DEP_3)
	v_dual_fmac_f32 v178, v147, v82 :: v_dual_fmac_f32 v179, v149, v84
	v_dual_add_f32 v55, v55, v176 :: v_dual_fma_f32 v65, v146, v82, -v63
	s_wait_loadcnt 0x4
	s_delay_alu instid0(VALU_DEP_3) | instskip(SKIP_1) | instid1(VALU_DEP_2)
	v_dual_add_f32 v61, v61, v60 :: v_dual_mov_b32 v60, v95
	v_dual_mul_f32 v165, v150, v87 :: v_dual_mul_f32 v167, v104, v89
	v_dual_add_f32 v55, v55, v177 :: v_dual_add_f32 v61, v61, v62
	v_dual_mul_f32 v57, v151, v87 :: v_dual_mul_f32 v67, v105, v89
	s_delay_alu instid0(VALU_DEP_2) | instskip(NEXT) | instid1(VALU_DEP_3)
	v_dual_fma_f32 v64, v148, v84, -v64 :: v_dual_add_f32 v55, v55, v178
	v_dual_add_f32 v61, v61, v65 :: v_dual_fmac_f32 v165, v151, v86
	v_pk_mul_f32 v[58:59], v[108:109], v[92:93] op_sel:[1,1] op_sel_hi:[0,1]
	s_delay_alu instid0(VALU_DEP_3)
	v_dual_fma_f32 v164, v150, v86, -v57 :: v_dual_add_f32 v65, v55, v179
	v_pk_mul_f32 v[56:57], v[156:157], v[56:57] op_sel_hi:[1,0]
	s_wait_loadcnt 0x3
	v_dual_add_f32 v64, v61, v64 :: v_dual_mov_b32 v66, v99
	v_pk_fma_f32 v[70:71], v[108:109], v[92:93], v[58:59] op_sel_hi:[1,0,1]
	v_fmac_f32_e32 v167, v105, v88
	v_pk_fma_f32 v[68:69], v[106:107], v[90:91], v[56:57] op_sel_hi:[1,0,1]
	v_fma_f32 v166, v104, v88, -v67
	v_pk_add_f32 v[64:65], v[64:65], v[164:165]
	v_pk_fma_f32 v[56:57], v[106:107], v[90:91], v[56:57] neg_lo:[0,0,1] neg_hi:[0,0,1]
	v_pk_fma_f32 v[58:59], v[108:109], v[92:93], v[58:59] neg_lo:[0,0,1] neg_hi:[0,0,1]
	v_pk_mul_f32 v[60:61], v[158:159], v[60:61] op_sel_hi:[1,0]
	v_dual_mov_b32 v57, v69 :: v_dual_mov_b32 v59, v71
	v_pk_add_f32 v[64:65], v[64:65], v[166:167]
	v_pk_mul_f32 v[62:63], v[112:113], v[96:97] op_sel:[1,1] op_sel_hi:[0,1]
	s_delay_alu instid0(VALU_DEP_4)
	v_pk_fma_f32 v[70:71], v[110:111], v[94:95], v[60:61] op_sel_hi:[1,0,1]
	v_pk_fma_f32 v[60:61], v[110:111], v[94:95], v[60:61] neg_lo:[0,0,1] neg_hi:[0,0,1]
	v_pk_mul_f32 v[66:67], v[160:161], v[66:67] op_sel_hi:[1,0]
	v_pk_add_f32 v[56:57], v[64:65], v[56:57]
	v_pk_fma_f32 v[64:65], v[112:113], v[96:97], v[62:63] op_sel_hi:[1,0,1]
	v_mov_b32_e32 v61, v71
	v_pk_fma_f32 v[62:63], v[112:113], v[96:97], v[62:63] neg_lo:[0,0,1] neg_hi:[0,0,1]
	s_wait_loadcnt 0x2
	v_pk_mul_f32 v[68:69], v[116:117], v[100:101] op_sel:[1,1] op_sel_hi:[0,1]
	v_pk_add_f32 v[56:57], v[56:57], v[58:59]
	v_dual_mov_b32 v58, v103 :: v_dual_mov_b32 v63, v65
	v_pk_fma_f32 v[64:65], v[114:115], v[98:99], v[66:67] op_sel_hi:[1,0,1]
	v_pk_fma_f32 v[66:67], v[114:115], v[98:99], v[66:67] neg_lo:[0,0,1] neg_hi:[0,0,1]
	s_delay_alu instid0(VALU_DEP_4)
	v_pk_add_f32 v[56:57], v[56:57], v[60:61]
	v_pk_fma_f32 v[60:61], v[116:117], v[100:101], v[68:69] op_sel_hi:[1,0,1]
	v_pk_mul_f32 v[58:59], v[162:163], v[58:59] op_sel_hi:[1,0]
	v_mov_b32_e32 v67, v65
	v_pk_fma_f32 v[64:65], v[116:117], v[100:101], v[68:69] neg_lo:[0,0,1] neg_hi:[0,0,1]
	v_pk_add_f32 v[56:57], v[56:57], v[62:63]
	s_wait_loadcnt_dscnt 0x100
	v_pk_mul_f32 v[62:63], v[154:155], v[0:1] op_sel:[1,1] op_sel_hi:[0,1]
	v_mov_b32_e32 v65, v61
	v_pk_fma_f32 v[60:61], v[118:119], v[102:103], v[58:59] op_sel_hi:[1,0,1]
	v_pk_fma_f32 v[58:59], v[118:119], v[102:103], v[58:59] neg_lo:[0,0,1] neg_hi:[0,0,1]
	v_pk_add_f32 v[56:57], v[56:57], v[66:67]
	v_pk_fma_f32 v[66:67], v[154:155], v[0:1], v[62:63] op_sel_hi:[1,0,1]
	v_pk_fma_f32 v[0:1], v[154:155], v[0:1], v[62:63] neg_lo:[0,0,1] neg_hi:[0,0,1]
	v_mov_b32_e32 v59, v61
	s_delay_alu instid0(VALU_DEP_4) | instskip(NEXT) | instid1(VALU_DEP_4)
	v_pk_add_f32 v[56:57], v[56:57], v[64:65]
	v_mov_b32_e32 v1, v67
	s_delay_alu instid0(VALU_DEP_2) | instskip(NEXT) | instid1(VALU_DEP_1)
	v_pk_add_f32 v[56:57], v[56:57], v[58:59]
	v_pk_add_f32 v[0:1], v[56:57], v[0:1]
	s_wait_loadcnt 0x0
	s_delay_alu instid0(VALU_DEP_1)
	v_pk_add_f32 v[0:1], v[152:153], v[0:1] neg_lo:[0,1] neg_hi:[0,1]
	scratch_store_b64 off, v[0:1], off
	s_cbranch_vccz .LBB25_220
; %bb.170:
	global_load_b32 v0, v54, s[2:3] offset:96
	s_wait_loadcnt 0x0
	v_cmp_ne_u32_e32 vcc_lo, 25, v0
	s_cbranch_vccz .LBB25_172
; %bb.171:
	v_lshlrev_b32_e32 v0, 3, v0
	s_delay_alu instid0(VALU_DEP_1)
	v_mov_b32_e32 v56, v0
	scratch_load_b64 v[0:1], v56, off offset:-8
	scratch_load_b64 v[54:55], off, off offset:192
	s_wait_loadcnt 0x1
	scratch_store_b64 off, v[0:1], off offset:192
	s_wait_loadcnt 0x0
	scratch_store_b64 v56, v[54:55], off offset:-8
.LBB25_172:
	s_wait_xcnt 0x1
	v_mov_b32_e32 v0, 0
	global_load_b32 v1, v0, s[2:3] offset:92
	s_wait_loadcnt 0x0
	v_cmp_eq_u32_e32 vcc_lo, 24, v1
	s_cbranch_vccnz .LBB25_174
; %bb.173:
	v_lshlrev_b32_e32 v1, 3, v1
	scratch_load_b64 v[54:55], v1, off offset:-8
	scratch_load_b64 v[56:57], off, off offset:184
	s_wait_loadcnt 0x1
	scratch_store_b64 off, v[54:55], off offset:184
	s_wait_loadcnt 0x0
	scratch_store_b64 v1, v[56:57], off offset:-8
.LBB25_174:
	global_load_b32 v0, v0, s[2:3] offset:88
	s_wait_loadcnt 0x0
	v_cmp_eq_u32_e32 vcc_lo, 23, v0
	s_cbranch_vccnz .LBB25_176
; %bb.175:
	s_wait_xcnt 0x0
	v_lshlrev_b32_e32 v0, 3, v0
	s_delay_alu instid0(VALU_DEP_1)
	v_mov_b32_e32 v56, v0
	scratch_load_b64 v[0:1], v56, off offset:-8
	scratch_load_b64 v[54:55], off, off offset:176
	s_wait_loadcnt 0x1
	scratch_store_b64 off, v[0:1], off offset:176
	s_wait_loadcnt 0x0
	scratch_store_b64 v56, v[54:55], off offset:-8
.LBB25_176:
	s_wait_xcnt 0x0
	v_mov_b32_e32 v0, 0
	global_load_b32 v1, v0, s[2:3] offset:84
	s_wait_loadcnt 0x0
	v_cmp_eq_u32_e32 vcc_lo, 22, v1
	s_cbranch_vccnz .LBB25_178
; %bb.177:
	v_lshlrev_b32_e32 v1, 3, v1
	scratch_load_b64 v[54:55], v1, off offset:-8
	scratch_load_b64 v[56:57], off, off offset:168
	s_wait_loadcnt 0x1
	scratch_store_b64 off, v[54:55], off offset:168
	s_wait_loadcnt 0x0
	scratch_store_b64 v1, v[56:57], off offset:-8
.LBB25_178:
	global_load_b32 v0, v0, s[2:3] offset:80
	s_wait_loadcnt 0x0
	v_cmp_eq_u32_e32 vcc_lo, 21, v0
	s_cbranch_vccnz .LBB25_180
; %bb.179:
	s_wait_xcnt 0x0
	v_lshlrev_b32_e32 v0, 3, v0
	s_delay_alu instid0(VALU_DEP_1)
	v_mov_b32_e32 v56, v0
	scratch_load_b64 v[0:1], v56, off offset:-8
	scratch_load_b64 v[54:55], off, off offset:160
	s_wait_loadcnt 0x1
	scratch_store_b64 off, v[0:1], off offset:160
	s_wait_loadcnt 0x0
	scratch_store_b64 v56, v[54:55], off offset:-8
.LBB25_180:
	;; [unrolled: 31-line block ×11, first 2 shown]
	s_wait_xcnt 0x0
	v_mov_b32_e32 v0, 0
	global_load_b32 v1, v0, s[2:3] offset:4
	s_wait_loadcnt 0x0
	v_cmp_eq_u32_e32 vcc_lo, 2, v1
	s_cbranch_vccnz .LBB25_218
; %bb.217:
	v_lshlrev_b32_e32 v1, 3, v1
	scratch_load_b64 v[54:55], v1, off offset:-8
	scratch_load_b64 v[56:57], off, off offset:8
	s_wait_loadcnt 0x1
	scratch_store_b64 off, v[54:55], off offset:8
	s_wait_loadcnt 0x0
	scratch_store_b64 v1, v[56:57], off offset:-8
.LBB25_218:
	global_load_b32 v54, v0, s[2:3]
	scratch_load_b64 v[0:1], off, off
	s_wait_loadcnt 0x1
	v_cmp_eq_u32_e32 vcc_lo, 1, v54
	s_cbranch_vccnz .LBB25_220
; %bb.219:
	v_lshlrev_b32_e32 v54, 3, v54
	s_delay_alu instid0(VALU_DEP_1)
	v_mov_b32_e32 v56, v54
	scratch_load_b64 v[54:55], v56, off offset:-8
	s_wait_loadcnt 0x0
	scratch_store_b64 off, v[54:55], off
	scratch_store_b64 v56, v[0:1], off offset:-8
	scratch_load_b64 v[0:1], off, off
.LBB25_220:
	s_clause 0xc
	scratch_load_b128 v[54:57], off, off offset:8
	scratch_load_b128 v[58:61], off, off offset:24
	;; [unrolled: 1-line block ×12, first 2 shown]
	scratch_load_b64 v[102:103], off, off offset:200
	v_lshl_add_u64 v[4:5], v[4:5], 3, s[4:5]
	v_lshl_add_u64 v[6:7], v[6:7], 3, s[4:5]
	;; [unrolled: 1-line block ×24, first 2 shown]
	s_wait_loadcnt 0xd
	global_store_b64 v[2:3], v[0:1], off
	s_wait_loadcnt 0xc
	s_clause 0x1
	global_store_b64 v[8:9], v[54:55], off
	global_store_b64 v[4:5], v[56:57], off
	s_wait_loadcnt 0xb
	s_clause 0x1
	global_store_b64 v[6:7], v[58:59], off
	;; [unrolled: 4-line block ×12, first 2 shown]
	global_store_b64 v[50:51], v[100:101], off
	s_wait_loadcnt 0x0
	global_store_b64 v[52:53], v[102:103], off
	s_sendmsg sendmsg(MSG_DEALLOC_VGPRS)
	s_endpgm
	.section	.rodata,"a",@progbits
	.p2align	6, 0x0
	.amdhsa_kernel _ZN9rocsolver6v33100L18getri_kernel_smallILi26E19rocblas_complex_numIfEPS3_EEvT1_iilPiilS6_bb
		.amdhsa_group_segment_fixed_size 420
		.amdhsa_private_segment_fixed_size 224
		.amdhsa_kernarg_size 60
		.amdhsa_user_sgpr_count 2
		.amdhsa_user_sgpr_dispatch_ptr 0
		.amdhsa_user_sgpr_queue_ptr 0
		.amdhsa_user_sgpr_kernarg_segment_ptr 1
		.amdhsa_user_sgpr_dispatch_id 0
		.amdhsa_user_sgpr_kernarg_preload_length 0
		.amdhsa_user_sgpr_kernarg_preload_offset 0
		.amdhsa_user_sgpr_private_segment_size 0
		.amdhsa_wavefront_size32 1
		.amdhsa_uses_dynamic_stack 0
		.amdhsa_enable_private_segment 1
		.amdhsa_system_sgpr_workgroup_id_x 1
		.amdhsa_system_sgpr_workgroup_id_y 0
		.amdhsa_system_sgpr_workgroup_id_z 0
		.amdhsa_system_sgpr_workgroup_info 0
		.amdhsa_system_vgpr_workitem_id 0
		.amdhsa_next_free_vgpr 180
		.amdhsa_next_free_sgpr 19
		.amdhsa_named_barrier_count 0
		.amdhsa_reserve_vcc 1
		.amdhsa_float_round_mode_32 0
		.amdhsa_float_round_mode_16_64 0
		.amdhsa_float_denorm_mode_32 3
		.amdhsa_float_denorm_mode_16_64 3
		.amdhsa_fp16_overflow 0
		.amdhsa_memory_ordered 1
		.amdhsa_forward_progress 1
		.amdhsa_inst_pref_size 253
		.amdhsa_round_robin_scheduling 0
		.amdhsa_exception_fp_ieee_invalid_op 0
		.amdhsa_exception_fp_denorm_src 0
		.amdhsa_exception_fp_ieee_div_zero 0
		.amdhsa_exception_fp_ieee_overflow 0
		.amdhsa_exception_fp_ieee_underflow 0
		.amdhsa_exception_fp_ieee_inexact 0
		.amdhsa_exception_int_div_zero 0
	.end_amdhsa_kernel
	.section	.text._ZN9rocsolver6v33100L18getri_kernel_smallILi26E19rocblas_complex_numIfEPS3_EEvT1_iilPiilS6_bb,"axG",@progbits,_ZN9rocsolver6v33100L18getri_kernel_smallILi26E19rocblas_complex_numIfEPS3_EEvT1_iilPiilS6_bb,comdat
.Lfunc_end25:
	.size	_ZN9rocsolver6v33100L18getri_kernel_smallILi26E19rocblas_complex_numIfEPS3_EEvT1_iilPiilS6_bb, .Lfunc_end25-_ZN9rocsolver6v33100L18getri_kernel_smallILi26E19rocblas_complex_numIfEPS3_EEvT1_iilPiilS6_bb
                                        ; -- End function
	.set _ZN9rocsolver6v33100L18getri_kernel_smallILi26E19rocblas_complex_numIfEPS3_EEvT1_iilPiilS6_bb.num_vgpr, 180
	.set _ZN9rocsolver6v33100L18getri_kernel_smallILi26E19rocblas_complex_numIfEPS3_EEvT1_iilPiilS6_bb.num_agpr, 0
	.set _ZN9rocsolver6v33100L18getri_kernel_smallILi26E19rocblas_complex_numIfEPS3_EEvT1_iilPiilS6_bb.numbered_sgpr, 19
	.set _ZN9rocsolver6v33100L18getri_kernel_smallILi26E19rocblas_complex_numIfEPS3_EEvT1_iilPiilS6_bb.num_named_barrier, 0
	.set _ZN9rocsolver6v33100L18getri_kernel_smallILi26E19rocblas_complex_numIfEPS3_EEvT1_iilPiilS6_bb.private_seg_size, 224
	.set _ZN9rocsolver6v33100L18getri_kernel_smallILi26E19rocblas_complex_numIfEPS3_EEvT1_iilPiilS6_bb.uses_vcc, 1
	.set _ZN9rocsolver6v33100L18getri_kernel_smallILi26E19rocblas_complex_numIfEPS3_EEvT1_iilPiilS6_bb.uses_flat_scratch, 1
	.set _ZN9rocsolver6v33100L18getri_kernel_smallILi26E19rocblas_complex_numIfEPS3_EEvT1_iilPiilS6_bb.has_dyn_sized_stack, 0
	.set _ZN9rocsolver6v33100L18getri_kernel_smallILi26E19rocblas_complex_numIfEPS3_EEvT1_iilPiilS6_bb.has_recursion, 0
	.set _ZN9rocsolver6v33100L18getri_kernel_smallILi26E19rocblas_complex_numIfEPS3_EEvT1_iilPiilS6_bb.has_indirect_call, 0
	.section	.AMDGPU.csdata,"",@progbits
; Kernel info:
; codeLenInByte = 32292
; TotalNumSgprs: 21
; NumVgprs: 180
; ScratchSize: 224
; MemoryBound: 0
; FloatMode: 240
; IeeeMode: 1
; LDSByteSize: 420 bytes/workgroup (compile time only)
; SGPRBlocks: 0
; VGPRBlocks: 11
; NumSGPRsForWavesPerEU: 21
; NumVGPRsForWavesPerEU: 180
; NamedBarCnt: 0
; Occupancy: 5
; WaveLimiterHint : 1
; COMPUTE_PGM_RSRC2:SCRATCH_EN: 1
; COMPUTE_PGM_RSRC2:USER_SGPR: 2
; COMPUTE_PGM_RSRC2:TRAP_HANDLER: 0
; COMPUTE_PGM_RSRC2:TGID_X_EN: 1
; COMPUTE_PGM_RSRC2:TGID_Y_EN: 0
; COMPUTE_PGM_RSRC2:TGID_Z_EN: 0
; COMPUTE_PGM_RSRC2:TIDIG_COMP_CNT: 0
	.section	.text._ZN9rocsolver6v33100L18getri_kernel_smallILi27E19rocblas_complex_numIfEPS3_EEvT1_iilPiilS6_bb,"axG",@progbits,_ZN9rocsolver6v33100L18getri_kernel_smallILi27E19rocblas_complex_numIfEPS3_EEvT1_iilPiilS6_bb,comdat
	.globl	_ZN9rocsolver6v33100L18getri_kernel_smallILi27E19rocblas_complex_numIfEPS3_EEvT1_iilPiilS6_bb ; -- Begin function _ZN9rocsolver6v33100L18getri_kernel_smallILi27E19rocblas_complex_numIfEPS3_EEvT1_iilPiilS6_bb
	.p2align	8
	.type	_ZN9rocsolver6v33100L18getri_kernel_smallILi27E19rocblas_complex_numIfEPS3_EEvT1_iilPiilS6_bb,@function
_ZN9rocsolver6v33100L18getri_kernel_smallILi27E19rocblas_complex_numIfEPS3_EEvT1_iilPiilS6_bb: ; @_ZN9rocsolver6v33100L18getri_kernel_smallILi27E19rocblas_complex_numIfEPS3_EEvT1_iilPiilS6_bb
; %bb.0:
	s_mov_b32 s2, exec_lo
	v_cmpx_gt_u32_e32 27, v0
	s_cbranch_execz .LBB26_122
; %bb.1:
	s_clause 0x2
	s_load_b32 s2, s[0:1], 0x38
	s_load_b128 s[12:15], s[0:1], 0x10
	s_load_b128 s[4:7], s[0:1], 0x28
	s_getreg_b32 s9, hwreg(HW_REG_IB_STS2, 6, 4)
	s_wait_kmcnt 0x0
	s_bitcmp1_b32 s2, 8
	s_cselect_b32 s18, -1, 0
	s_bfe_u32 s3, ttmp6, 0x4000c
	s_and_b32 s8, ttmp6, 15
	s_add_co_i32 s3, s3, 1
	s_delay_alu instid0(SALU_CYCLE_1) | instskip(NEXT) | instid1(SALU_CYCLE_1)
	s_mul_i32 s3, ttmp9, s3
	s_add_co_i32 s8, s8, s3
	s_cmp_eq_u32 s9, 0
	s_cselect_b32 s16, ttmp9, s8
	s_bfe_u32 s2, s2, 0x10008
	s_ashr_i32 s17, s16, 31
	s_cmp_eq_u32 s2, 0
                                        ; implicit-def: $sgpr2_sgpr3
	s_cbranch_scc1 .LBB26_3
; %bb.2:
	s_load_b32 s2, s[0:1], 0x20
	s_mul_u64 s[4:5], s[4:5], s[16:17]
	s_delay_alu instid0(SALU_CYCLE_1) | instskip(NEXT) | instid1(SALU_CYCLE_1)
	s_lshl_b64 s[4:5], s[4:5], 2
	s_add_nc_u64 s[4:5], s[14:15], s[4:5]
	s_wait_kmcnt 0x0
	s_ashr_i32 s3, s2, 31
	s_delay_alu instid0(SALU_CYCLE_1) | instskip(NEXT) | instid1(SALU_CYCLE_1)
	s_lshl_b64 s[2:3], s[2:3], 2
	s_add_nc_u64 s[2:3], s[4:5], s[2:3]
.LBB26_3:
	s_clause 0x1
	s_load_b128 s[8:11], s[0:1], 0x0
	s_load_b32 s14, s[0:1], 0x38
	s_wait_xcnt 0x0
	s_mul_u64 s[0:1], s[12:13], s[16:17]
	v_lshlrev_b32_e32 v56, 3, v0
	s_lshl_b64 s[0:1], s[0:1], 3
	v_mov_b32_e32 v57, 0
	s_wait_kmcnt 0x0
	v_add3_u32 v2, s11, s11, v0
	s_ashr_i32 s5, s10, 31
	s_mov_b32 s4, s10
	s_add_nc_u64 s[0:1], s[8:9], s[0:1]
	s_lshl_b64 s[4:5], s[4:5], 3
	v_add_nc_u32_e32 v6, s11, v2
	s_add_nc_u64 s[4:5], s[0:1], s[4:5]
	s_ashr_i32 s1, s11, 31
	s_mov_b32 s0, s11
	s_bitcmp0_b32 s14, 0
	v_add_nc_u32_e32 v10, s11, v6
	v_add_nc_u64_e32 v[4:5], s[4:5], v[56:57]
	s_delay_alu instid0(VALU_DEP_2) | instskip(NEXT) | instid1(VALU_DEP_2)
	v_add_nc_u32_e32 v12, s11, v10
	v_lshl_add_u64 v[8:9], s[0:1], 3, v[4:5]
	s_mov_b32 s1, -1
	s_delay_alu instid0(VALU_DEP_2) | instskip(SKIP_4) | instid1(VALU_DEP_1)
	v_add_nc_u32_e32 v14, s11, v12
	s_clause 0x1
	global_load_b64 v[58:59], v0, s[4:5] scale_offset
	global_load_b64 v[60:61], v[8:9], off
	v_add_nc_u32_e32 v16, s11, v14
	v_add_nc_u32_e32 v18, s11, v16
	s_delay_alu instid0(VALU_DEP_1) | instskip(NEXT) | instid1(VALU_DEP_1)
	v_add_nc_u32_e32 v20, s11, v18
	v_add_nc_u32_e32 v22, s11, v20
	s_clause 0x3
	global_load_b64 v[62:63], v2, s[4:5] scale_offset
	global_load_b64 v[64:65], v6, s[4:5] scale_offset
	;; [unrolled: 1-line block ×4, first 2 shown]
	v_add_nc_u32_e32 v24, s11, v22
	s_delay_alu instid0(VALU_DEP_1) | instskip(NEXT) | instid1(VALU_DEP_1)
	v_add_nc_u32_e32 v26, s11, v24
	v_add_nc_u32_e32 v28, s11, v26
	s_delay_alu instid0(VALU_DEP_1)
	v_add_nc_u32_e32 v30, s11, v28
	s_clause 0x3
	global_load_b64 v[70:71], v14, s[4:5] scale_offset
	global_load_b64 v[72:73], v16, s[4:5] scale_offset
	;; [unrolled: 1-line block ×4, first 2 shown]
	v_add_nc_u32_e32 v32, s11, v30
	s_delay_alu instid0(VALU_DEP_1)
	v_add_nc_u32_e32 v34, s11, v32
	s_clause 0x3
	global_load_b64 v[78:79], v22, s[4:5] scale_offset
	global_load_b64 v[80:81], v24, s[4:5] scale_offset
	;; [unrolled: 1-line block ×4, first 2 shown]
	v_add_nc_u32_e32 v36, s11, v34
	s_delay_alu instid0(VALU_DEP_1) | instskip(NEXT) | instid1(VALU_DEP_1)
	v_add_nc_u32_e32 v38, s11, v36
	v_add_nc_u32_e32 v40, s11, v38
	s_delay_alu instid0(VALU_DEP_1)
	v_add_nc_u32_e32 v42, s11, v40
	s_clause 0x3
	global_load_b64 v[86:87], v30, s[4:5] scale_offset
	global_load_b64 v[88:89], v32, s[4:5] scale_offset
	;; [unrolled: 1-line block ×4, first 2 shown]
	v_add_nc_u32_e32 v44, s11, v42
	s_delay_alu instid0(VALU_DEP_1)
	v_add_nc_u32_e32 v46, s11, v44
	s_clause 0x3
	global_load_b64 v[94:95], v38, s[4:5] scale_offset
	global_load_b64 v[96:97], v40, s[4:5] scale_offset
	;; [unrolled: 1-line block ×4, first 2 shown]
	v_add_nc_u32_e32 v48, s11, v46
	s_delay_alu instid0(VALU_DEP_1) | instskip(NEXT) | instid1(VALU_DEP_1)
	v_add_nc_u32_e32 v50, s11, v48
	v_add_nc_u32_e32 v52, s11, v50
	s_delay_alu instid0(VALU_DEP_1)
	v_add_nc_u32_e32 v54, s11, v52
	s_clause 0x4
	global_load_b64 v[102:103], v46, s[4:5] scale_offset
	global_load_b64 v[104:105], v48, s[4:5] scale_offset
	;; [unrolled: 1-line block ×5, first 2 shown]
	s_wait_loadcnt 0x19
	scratch_store_b128 off, v[58:61], off
	s_wait_loadcnt 0x17
	scratch_store_b128 off, v[62:65], off offset:16
	s_wait_loadcnt 0x15
	scratch_store_b128 off, v[66:69], off offset:32
	;; [unrolled: 2-line block ×12, first 2 shown]
	s_wait_loadcnt 0x0
	scratch_store_b64 off, v[110:111], off offset:208
	s_cbranch_scc1 .LBB26_120
; %bb.4:
	v_cmp_eq_u32_e64 s0, 0, v0
	s_wait_xcnt 0x0
	s_and_saveexec_b32 s1, s0
; %bb.5:
	v_mov_b32_e32 v1, 0
	ds_store_b32 v1, v1 offset:216
; %bb.6:
	s_or_b32 exec_lo, exec_lo, s1
	s_wait_storecnt_dscnt 0x0
	s_barrier_signal -1
	s_barrier_wait -1
	scratch_load_b64 v[58:59], v0, off scale_offset
	s_wait_loadcnt 0x0
	v_cmp_eq_f32_e32 vcc_lo, 0, v58
	v_cmp_eq_f32_e64 s1, 0, v59
	s_and_b32 s1, vcc_lo, s1
	s_delay_alu instid0(SALU_CYCLE_1)
	s_and_saveexec_b32 s8, s1
	s_cbranch_execz .LBB26_10
; %bb.7:
	v_mov_b32_e32 v1, 0
	s_mov_b32 s9, 0
	ds_load_b32 v3, v1 offset:216
	s_wait_dscnt 0x0
	v_readfirstlane_b32 s1, v3
	v_add_nc_u32_e32 v3, 1, v0
	s_cmp_eq_u32 s1, 0
	s_delay_alu instid0(VALU_DEP_1) | instskip(SKIP_1) | instid1(SALU_CYCLE_1)
	v_cmp_gt_i32_e32 vcc_lo, s1, v3
	s_cselect_b32 s10, -1, 0
	s_or_b32 s10, s10, vcc_lo
	s_delay_alu instid0(SALU_CYCLE_1)
	s_and_b32 exec_lo, exec_lo, s10
	s_cbranch_execz .LBB26_10
; %bb.8:
	v_mov_b32_e32 v7, s1
.LBB26_9:                               ; =>This Inner Loop Header: Depth=1
	ds_cmpstore_rtn_b32 v7, v1, v3, v7 offset:216
	s_wait_dscnt 0x0
	v_cmp_ne_u32_e32 vcc_lo, 0, v7
	v_cmp_le_i32_e64 s1, v7, v3
	s_and_b32 s1, vcc_lo, s1
	s_delay_alu instid0(SALU_CYCLE_1) | instskip(NEXT) | instid1(SALU_CYCLE_1)
	s_and_b32 s1, exec_lo, s1
	s_or_b32 s9, s1, s9
	s_delay_alu instid0(SALU_CYCLE_1)
	s_and_not1_b32 exec_lo, exec_lo, s9
	s_cbranch_execnz .LBB26_9
.LBB26_10:
	s_or_b32 exec_lo, exec_lo, s8
	v_mov_b32_e32 v1, 0
	s_barrier_signal -1
	s_barrier_wait -1
	ds_load_b32 v3, v1 offset:216
	s_and_saveexec_b32 s1, s0
	s_cbranch_execz .LBB26_12
; %bb.11:
	s_lshl_b64 s[8:9], s[16:17], 2
	s_delay_alu instid0(SALU_CYCLE_1)
	s_add_nc_u64 s[8:9], s[6:7], s[8:9]
	s_wait_dscnt 0x0
	global_store_b32 v1, v3, s[8:9]
.LBB26_12:
	s_wait_xcnt 0x0
	s_or_b32 exec_lo, exec_lo, s1
	s_wait_dscnt 0x0
	v_cmp_ne_u32_e32 vcc_lo, 0, v3
	s_mov_b32 s1, 0
	s_cbranch_vccnz .LBB26_120
; %bb.13:
	v_lshl_add_u32 v3, v0, 3, 0
                                        ; implicit-def: $vgpr61
                                        ; implicit-def: $vgpr62
	scratch_load_b64 v[58:59], v3, off
	s_wait_loadcnt 0x0
	v_cmp_ngt_f32_e64 s1, |v58|, |v59|
	s_wait_xcnt 0x0
	s_and_saveexec_b32 s8, s1
	s_delay_alu instid0(SALU_CYCLE_1)
	s_xor_b32 s1, exec_lo, s8
	s_cbranch_execz .LBB26_15
; %bb.14:
	v_div_scale_f32 v1, null, v59, v59, v58
	v_div_scale_f32 v13, vcc_lo, v58, v59, v58
	s_delay_alu instid0(VALU_DEP_2) | instskip(SKIP_1) | instid1(TRANS32_DEP_1)
	v_rcp_f32_e32 v7, v1
	v_nop
	v_fma_f32 v11, -v1, v7, 1.0
	s_delay_alu instid0(VALU_DEP_1) | instskip(NEXT) | instid1(VALU_DEP_1)
	v_fmac_f32_e32 v7, v11, v7
	v_mul_f32_e32 v11, v13, v7
	s_delay_alu instid0(VALU_DEP_1) | instskip(NEXT) | instid1(VALU_DEP_1)
	v_fma_f32 v15, -v1, v11, v13
	v_fmac_f32_e32 v11, v15, v7
	s_delay_alu instid0(VALU_DEP_1) | instskip(NEXT) | instid1(VALU_DEP_1)
	v_fma_f32 v1, -v1, v11, v13
	v_div_fmas_f32 v1, v1, v7, v11
	s_delay_alu instid0(VALU_DEP_1) | instskip(NEXT) | instid1(VALU_DEP_1)
	v_div_fixup_f32 v1, v1, v59, v58
	v_fmac_f32_e32 v59, v58, v1
	s_delay_alu instid0(VALU_DEP_1) | instskip(NEXT) | instid1(VALU_DEP_1)
	v_div_scale_f32 v7, null, v59, v59, -1.0
	v_rcp_f32_e32 v11, v7
	v_nop
	s_delay_alu instid0(TRANS32_DEP_1) | instskip(NEXT) | instid1(VALU_DEP_1)
	v_fma_f32 v13, -v7, v11, 1.0
	v_fmac_f32_e32 v11, v13, v11
	v_div_scale_f32 v13, vcc_lo, -1.0, v59, -1.0
	s_delay_alu instid0(VALU_DEP_1) | instskip(NEXT) | instid1(VALU_DEP_1)
	v_mul_f32_e32 v15, v13, v11
	v_fma_f32 v17, -v7, v15, v13
	s_delay_alu instid0(VALU_DEP_1) | instskip(NEXT) | instid1(VALU_DEP_1)
	v_fmac_f32_e32 v15, v17, v11
	v_fma_f32 v7, -v7, v15, v13
	s_delay_alu instid0(VALU_DEP_1) | instskip(NEXT) | instid1(VALU_DEP_1)
	v_div_fmas_f32 v7, v7, v11, v15
	v_div_fixup_f32 v61, v7, v59, -1.0
                                        ; implicit-def: $vgpr58_vgpr59
	s_delay_alu instid0(VALU_DEP_1) | instskip(NEXT) | instid1(VALU_DEP_1)
	v_mul_f32_e32 v62, v1, v61
	v_xor_b32_e32 v60, 0x80000000, v62
.LBB26_15:
	s_and_not1_saveexec_b32 s1, s1
	s_cbranch_execz .LBB26_17
; %bb.16:
	v_div_scale_f32 v1, null, v58, v58, v59
	v_div_scale_f32 v13, vcc_lo, v59, v58, v59
	s_delay_alu instid0(VALU_DEP_2) | instskip(SKIP_1) | instid1(TRANS32_DEP_1)
	v_rcp_f32_e32 v7, v1
	v_nop
	v_fma_f32 v11, -v1, v7, 1.0
	s_delay_alu instid0(VALU_DEP_1) | instskip(NEXT) | instid1(VALU_DEP_1)
	v_fmac_f32_e32 v7, v11, v7
	v_mul_f32_e32 v11, v13, v7
	s_delay_alu instid0(VALU_DEP_1) | instskip(NEXT) | instid1(VALU_DEP_1)
	v_fma_f32 v15, -v1, v11, v13
	v_fmac_f32_e32 v11, v15, v7
	s_delay_alu instid0(VALU_DEP_1) | instskip(NEXT) | instid1(VALU_DEP_1)
	v_fma_f32 v1, -v1, v11, v13
	v_div_fmas_f32 v1, v1, v7, v11
	s_delay_alu instid0(VALU_DEP_1) | instskip(NEXT) | instid1(VALU_DEP_1)
	v_div_fixup_f32 v1, v1, v58, v59
	v_fmac_f32_e32 v58, v59, v1
	s_delay_alu instid0(VALU_DEP_1) | instskip(SKIP_1) | instid1(VALU_DEP_2)
	v_div_scale_f32 v7, null, v58, v58, 1.0
	v_div_scale_f32 v15, vcc_lo, 1.0, v58, 1.0
	v_rcp_f32_e32 v11, v7
	v_nop
	s_delay_alu instid0(TRANS32_DEP_1) | instskip(NEXT) | instid1(VALU_DEP_1)
	v_fma_f32 v13, -v7, v11, 1.0
	v_fmac_f32_e32 v11, v13, v11
	s_delay_alu instid0(VALU_DEP_1) | instskip(NEXT) | instid1(VALU_DEP_1)
	v_mul_f32_e32 v13, v15, v11
	v_fma_f32 v17, -v7, v13, v15
	s_delay_alu instid0(VALU_DEP_1) | instskip(NEXT) | instid1(VALU_DEP_1)
	v_fmac_f32_e32 v13, v17, v11
	v_fma_f32 v7, -v7, v13, v15
	s_delay_alu instid0(VALU_DEP_1) | instskip(NEXT) | instid1(VALU_DEP_1)
	v_div_fmas_f32 v7, v7, v11, v13
	v_div_fixup_f32 v60, v7, v58, 1.0
	s_delay_alu instid0(VALU_DEP_1)
	v_xor_b32_e32 v62, 0x80000000, v60
	v_mul_f32_e64 v61, v1, -v60
.LBB26_17:
	s_or_b32 exec_lo, exec_lo, s1
	scratch_store_b64 v3, v[60:61], off
	scratch_load_b64 v[58:59], off, off offset:8
	v_xor_b32_e32 v63, 0x80000000, v61
	v_add_nc_u32_e32 v1, 0xe0, v56
	s_wait_loadcnt 0x0
	ds_store_2addr_b64 v56, v[62:63], v[58:59] offset1:28
	s_wait_storecnt_dscnt 0x0
	s_barrier_signal -1
	s_barrier_wait -1
	s_wait_xcnt 0x0
	s_and_saveexec_b32 s1, s0
	s_cbranch_execz .LBB26_19
; %bb.18:
	scratch_load_b64 v[58:59], v3, off
	ds_load_b64 v[60:61], v1
	s_wait_loadcnt_dscnt 0x0
	v_pk_mul_f32 v[64:65], v[60:61], v[58:59] op_sel:[1,1] op_sel_hi:[0,1]
	s_delay_alu instid0(VALU_DEP_1) | instskip(SKIP_2) | instid1(VALU_DEP_3)
	v_pk_fma_f32 v[66:67], v[60:61], v[58:59], v[64:65] op_sel_hi:[1,0,1]
	v_mov_b32_e32 v7, 0
	v_pk_fma_f32 v[58:59], v[60:61], v[58:59], v[64:65] neg_lo:[0,0,1] neg_hi:[0,0,1]
	v_mov_b32_e32 v59, v67
	ds_load_b64 v[62:63], v7 offset:8
	v_pk_add_f32 v[58:59], v[58:59], 0 op_sel_hi:[1,0]
	s_wait_dscnt 0x0
	s_delay_alu instid0(VALU_DEP_1) | instskip(NEXT) | instid1(VALU_DEP_1)
	v_pk_mul_f32 v[60:61], v[58:59], v[62:63] op_sel:[1,1] op_sel_hi:[0,1]
	v_pk_fma_f32 v[64:65], v[58:59], v[62:63], v[60:61] op_sel_hi:[1,0,1]
	v_pk_fma_f32 v[58:59], v[58:59], v[62:63], v[60:61] neg_lo:[0,0,1] neg_hi:[0,0,1]
	s_delay_alu instid0(VALU_DEP_2)
	v_mov_b32_e32 v59, v65
	scratch_store_b64 off, v[58:59], off offset:8
.LBB26_19:
	s_wait_xcnt 0x0
	s_or_b32 exec_lo, exec_lo, s1
	s_wait_storecnt 0x0
	s_barrier_signal -1
	s_barrier_wait -1
	scratch_load_b64 v[58:59], off, off offset:16
	s_mov_b32 s1, exec_lo
	s_wait_loadcnt 0x0
	ds_store_b64 v1, v[58:59]
	s_wait_dscnt 0x0
	s_barrier_signal -1
	s_barrier_wait -1
	v_cmpx_gt_u32_e32 2, v0
	s_cbranch_execz .LBB26_23
; %bb.20:
	scratch_load_b64 v[58:59], v3, off
	ds_load_b64 v[60:61], v1
	s_wait_loadcnt_dscnt 0x0
	v_pk_mul_f32 v[62:63], v[60:61], v[58:59] op_sel:[1,1] op_sel_hi:[0,1]
	s_delay_alu instid0(VALU_DEP_1) | instskip(SKIP_1) | instid1(VALU_DEP_2)
	v_pk_fma_f32 v[64:65], v[60:61], v[58:59], v[62:63] op_sel_hi:[1,0,1]
	v_pk_fma_f32 v[58:59], v[60:61], v[58:59], v[62:63] neg_lo:[0,0,1] neg_hi:[0,0,1]
	v_mov_b32_e32 v59, v65
	s_delay_alu instid0(VALU_DEP_1)
	v_pk_add_f32 v[58:59], v[58:59], 0 op_sel_hi:[1,0]
	s_and_saveexec_b32 s8, s0
	s_cbranch_execz .LBB26_22
; %bb.21:
	scratch_load_b64 v[60:61], off, off offset:8
	v_mov_b32_e32 v3, 0
	ds_load_b64 v[62:63], v3 offset:232
	s_wait_loadcnt_dscnt 0x0
	v_pk_mul_f32 v[64:65], v[62:63], v[60:61] op_sel:[1,1] op_sel_hi:[0,1]
	s_delay_alu instid0(VALU_DEP_1) | instskip(SKIP_1) | instid1(VALU_DEP_2)
	v_pk_fma_f32 v[66:67], v[62:63], v[60:61], v[64:65] op_sel_hi:[1,0,1]
	v_pk_fma_f32 v[60:61], v[62:63], v[60:61], v[64:65] neg_lo:[0,0,1] neg_hi:[0,0,1]
	v_mov_b32_e32 v61, v67
	s_delay_alu instid0(VALU_DEP_1)
	v_pk_add_f32 v[58:59], v[58:59], v[60:61]
.LBB26_22:
	s_or_b32 exec_lo, exec_lo, s8
	v_mov_b32_e32 v3, 0
	ds_load_b64 v[60:61], v3 offset:16
	s_wait_dscnt 0x0
	v_pk_mul_f32 v[62:63], v[58:59], v[60:61] op_sel:[1,1] op_sel_hi:[0,1]
	s_delay_alu instid0(VALU_DEP_1) | instskip(SKIP_1) | instid1(VALU_DEP_2)
	v_pk_fma_f32 v[64:65], v[58:59], v[60:61], v[62:63] op_sel_hi:[1,0,1]
	v_pk_fma_f32 v[58:59], v[58:59], v[60:61], v[62:63] neg_lo:[0,0,1] neg_hi:[0,0,1]
	v_mov_b32_e32 v59, v65
	scratch_store_b64 off, v[58:59], off offset:16
.LBB26_23:
	s_wait_xcnt 0x0
	s_or_b32 exec_lo, exec_lo, s1
	s_wait_storecnt 0x0
	s_barrier_signal -1
	s_barrier_wait -1
	scratch_load_b64 v[58:59], off, off offset:24
	v_add_nc_u32_e32 v3, -1, v0
	s_mov_b32 s0, exec_lo
	s_wait_loadcnt 0x0
	ds_store_b64 v1, v[58:59]
	s_wait_dscnt 0x0
	s_barrier_signal -1
	s_barrier_wait -1
	v_cmpx_gt_u32_e32 3, v0
	s_cbranch_execz .LBB26_27
; %bb.24:
	v_dual_mov_b32 v58, 0 :: v_dual_add_nc_u32 v7, -1, v0
	v_add_nc_u32_e32 v11, 0xe0, v56
	v_mov_b32_e32 v13, v56
	s_mov_b32 s1, 0
	s_delay_alu instid0(VALU_DEP_3)
	v_mov_b32_e32 v59, v58
.LBB26_25:                              ; =>This Inner Loop Header: Depth=1
	scratch_load_b64 v[60:61], v13, off
	ds_load_b64 v[62:63], v11
	s_wait_xcnt 0x0
	v_dual_add_nc_u32 v11, 8, v11 :: v_dual_add_nc_u32 v13, 8, v13
	s_wait_loadcnt_dscnt 0x0
	v_pk_mul_f32 v[64:65], v[62:63], v[60:61] op_sel:[1,1] op_sel_hi:[0,1]
	s_delay_alu instid0(VALU_DEP_1) | instskip(SKIP_2) | instid1(VALU_DEP_3)
	v_pk_fma_f32 v[66:67], v[62:63], v[60:61], v[64:65] op_sel_hi:[1,0,1]
	v_add_nc_u32_e32 v7, 1, v7
	v_pk_fma_f32 v[60:61], v[62:63], v[60:61], v[64:65] neg_lo:[0,0,1] neg_hi:[0,0,1]
	v_mov_b32_e32 v61, v67
	s_delay_alu instid0(VALU_DEP_3) | instskip(NEXT) | instid1(VALU_DEP_2)
	v_cmp_lt_u32_e32 vcc_lo, 1, v7
	v_pk_add_f32 v[58:59], v[58:59], v[60:61]
	s_or_b32 s1, vcc_lo, s1
	s_delay_alu instid0(SALU_CYCLE_1)
	s_and_not1_b32 exec_lo, exec_lo, s1
	s_cbranch_execnz .LBB26_25
; %bb.26:
	s_or_b32 exec_lo, exec_lo, s1
	v_mov_b32_e32 v7, 0
	ds_load_b64 v[60:61], v7 offset:24
	s_wait_dscnt 0x0
	v_pk_mul_f32 v[62:63], v[58:59], v[60:61] op_sel:[1,1] op_sel_hi:[0,1]
	s_delay_alu instid0(VALU_DEP_1) | instskip(SKIP_1) | instid1(VALU_DEP_2)
	v_pk_fma_f32 v[64:65], v[58:59], v[60:61], v[62:63] op_sel_hi:[1,0,1]
	v_pk_fma_f32 v[58:59], v[58:59], v[60:61], v[62:63] neg_lo:[0,0,1] neg_hi:[0,0,1]
	v_mov_b32_e32 v59, v65
	scratch_store_b64 off, v[58:59], off offset:24
.LBB26_27:
	s_wait_xcnt 0x0
	s_or_b32 exec_lo, exec_lo, s0
	s_wait_storecnt 0x0
	s_barrier_signal -1
	s_barrier_wait -1
	scratch_load_b64 v[58:59], off, off offset:32
	s_mov_b32 s0, exec_lo
	s_wait_loadcnt 0x0
	ds_store_b64 v1, v[58:59]
	s_wait_dscnt 0x0
	s_barrier_signal -1
	s_barrier_wait -1
	v_cmpx_gt_u32_e32 4, v0
	s_cbranch_execz .LBB26_31
; %bb.28:
	v_dual_mov_b32 v58, 0 :: v_dual_add_nc_u32 v7, -1, v0
	v_add_nc_u32_e32 v11, 0xe0, v56
	v_mov_b32_e32 v13, v56
	s_mov_b32 s1, 0
	s_delay_alu instid0(VALU_DEP_3)
	v_mov_b32_e32 v59, v58
.LBB26_29:                              ; =>This Inner Loop Header: Depth=1
	scratch_load_b64 v[60:61], v13, off
	ds_load_b64 v[62:63], v11
	s_wait_xcnt 0x0
	v_dual_add_nc_u32 v11, 8, v11 :: v_dual_add_nc_u32 v13, 8, v13
	s_wait_loadcnt_dscnt 0x0
	v_pk_mul_f32 v[64:65], v[62:63], v[60:61] op_sel:[1,1] op_sel_hi:[0,1]
	s_delay_alu instid0(VALU_DEP_1) | instskip(SKIP_2) | instid1(VALU_DEP_3)
	v_pk_fma_f32 v[66:67], v[62:63], v[60:61], v[64:65] op_sel_hi:[1,0,1]
	v_add_nc_u32_e32 v7, 1, v7
	v_pk_fma_f32 v[60:61], v[62:63], v[60:61], v[64:65] neg_lo:[0,0,1] neg_hi:[0,0,1]
	v_mov_b32_e32 v61, v67
	s_delay_alu instid0(VALU_DEP_3) | instskip(NEXT) | instid1(VALU_DEP_2)
	v_cmp_lt_u32_e32 vcc_lo, 2, v7
	v_pk_add_f32 v[58:59], v[58:59], v[60:61]
	s_or_b32 s1, vcc_lo, s1
	s_delay_alu instid0(SALU_CYCLE_1)
	s_and_not1_b32 exec_lo, exec_lo, s1
	s_cbranch_execnz .LBB26_29
; %bb.30:
	s_or_b32 exec_lo, exec_lo, s1
	v_mov_b32_e32 v7, 0
	ds_load_b64 v[60:61], v7 offset:32
	s_wait_dscnt 0x0
	v_pk_mul_f32 v[62:63], v[58:59], v[60:61] op_sel:[1,1] op_sel_hi:[0,1]
	s_delay_alu instid0(VALU_DEP_1) | instskip(SKIP_1) | instid1(VALU_DEP_2)
	v_pk_fma_f32 v[64:65], v[58:59], v[60:61], v[62:63] op_sel_hi:[1,0,1]
	v_pk_fma_f32 v[58:59], v[58:59], v[60:61], v[62:63] neg_lo:[0,0,1] neg_hi:[0,0,1]
	v_mov_b32_e32 v59, v65
	scratch_store_b64 off, v[58:59], off offset:32
.LBB26_31:
	s_wait_xcnt 0x0
	s_or_b32 exec_lo, exec_lo, s0
	s_wait_storecnt 0x0
	s_barrier_signal -1
	s_barrier_wait -1
	scratch_load_b64 v[58:59], off, off offset:40
	;; [unrolled: 52-line block ×19, first 2 shown]
	s_mov_b32 s0, exec_lo
	s_wait_loadcnt 0x0
	ds_store_b64 v1, v[58:59]
	s_wait_dscnt 0x0
	s_barrier_signal -1
	s_barrier_wait -1
	v_cmpx_gt_u32_e32 22, v0
	s_cbranch_execz .LBB26_103
; %bb.100:
	v_dual_mov_b32 v58, 0 :: v_dual_add_nc_u32 v7, -1, v0
	v_add_nc_u32_e32 v11, 0xe0, v56
	v_mov_b32_e32 v13, v56
	s_mov_b32 s1, 0
	s_delay_alu instid0(VALU_DEP_3)
	v_mov_b32_e32 v59, v58
.LBB26_101:                             ; =>This Inner Loop Header: Depth=1
	scratch_load_b64 v[60:61], v13, off
	ds_load_b64 v[62:63], v11
	s_wait_xcnt 0x0
	v_dual_add_nc_u32 v11, 8, v11 :: v_dual_add_nc_u32 v13, 8, v13
	s_wait_loadcnt_dscnt 0x0
	v_pk_mul_f32 v[64:65], v[62:63], v[60:61] op_sel:[1,1] op_sel_hi:[0,1]
	s_delay_alu instid0(VALU_DEP_1) | instskip(SKIP_2) | instid1(VALU_DEP_3)
	v_pk_fma_f32 v[66:67], v[62:63], v[60:61], v[64:65] op_sel_hi:[1,0,1]
	v_add_nc_u32_e32 v7, 1, v7
	v_pk_fma_f32 v[60:61], v[62:63], v[60:61], v[64:65] neg_lo:[0,0,1] neg_hi:[0,0,1]
	v_mov_b32_e32 v61, v67
	s_delay_alu instid0(VALU_DEP_3) | instskip(NEXT) | instid1(VALU_DEP_2)
	v_cmp_lt_u32_e32 vcc_lo, 20, v7
	v_pk_add_f32 v[58:59], v[58:59], v[60:61]
	s_or_b32 s1, vcc_lo, s1
	s_delay_alu instid0(SALU_CYCLE_1)
	s_and_not1_b32 exec_lo, exec_lo, s1
	s_cbranch_execnz .LBB26_101
; %bb.102:
	s_or_b32 exec_lo, exec_lo, s1
	v_mov_b32_e32 v7, 0
	ds_load_b64 v[60:61], v7 offset:176
	s_wait_dscnt 0x0
	v_pk_mul_f32 v[62:63], v[58:59], v[60:61] op_sel:[1,1] op_sel_hi:[0,1]
	s_delay_alu instid0(VALU_DEP_1) | instskip(SKIP_1) | instid1(VALU_DEP_2)
	v_pk_fma_f32 v[64:65], v[58:59], v[60:61], v[62:63] op_sel_hi:[1,0,1]
	v_pk_fma_f32 v[58:59], v[58:59], v[60:61], v[62:63] neg_lo:[0,0,1] neg_hi:[0,0,1]
	v_mov_b32_e32 v59, v65
	scratch_store_b64 off, v[58:59], off offset:176
.LBB26_103:
	s_wait_xcnt 0x0
	s_or_b32 exec_lo, exec_lo, s0
	s_wait_storecnt 0x0
	s_barrier_signal -1
	s_barrier_wait -1
	scratch_load_b64 v[58:59], off, off offset:184
	s_mov_b32 s0, exec_lo
	s_wait_loadcnt 0x0
	ds_store_b64 v1, v[58:59]
	s_wait_dscnt 0x0
	s_barrier_signal -1
	s_barrier_wait -1
	v_cmpx_gt_u32_e32 23, v0
	s_cbranch_execz .LBB26_107
; %bb.104:
	v_dual_mov_b32 v58, 0 :: v_dual_add_nc_u32 v7, -1, v0
	v_add_nc_u32_e32 v11, 0xe0, v56
	v_mov_b32_e32 v13, v56
	s_mov_b32 s1, 0
	s_delay_alu instid0(VALU_DEP_3)
	v_mov_b32_e32 v59, v58
.LBB26_105:                             ; =>This Inner Loop Header: Depth=1
	scratch_load_b64 v[60:61], v13, off
	ds_load_b64 v[62:63], v11
	s_wait_xcnt 0x0
	v_dual_add_nc_u32 v11, 8, v11 :: v_dual_add_nc_u32 v13, 8, v13
	s_wait_loadcnt_dscnt 0x0
	v_pk_mul_f32 v[64:65], v[62:63], v[60:61] op_sel:[1,1] op_sel_hi:[0,1]
	s_delay_alu instid0(VALU_DEP_1) | instskip(SKIP_2) | instid1(VALU_DEP_3)
	v_pk_fma_f32 v[66:67], v[62:63], v[60:61], v[64:65] op_sel_hi:[1,0,1]
	v_add_nc_u32_e32 v7, 1, v7
	v_pk_fma_f32 v[60:61], v[62:63], v[60:61], v[64:65] neg_lo:[0,0,1] neg_hi:[0,0,1]
	v_mov_b32_e32 v61, v67
	s_delay_alu instid0(VALU_DEP_3) | instskip(NEXT) | instid1(VALU_DEP_2)
	v_cmp_lt_u32_e32 vcc_lo, 21, v7
	v_pk_add_f32 v[58:59], v[58:59], v[60:61]
	s_or_b32 s1, vcc_lo, s1
	s_delay_alu instid0(SALU_CYCLE_1)
	s_and_not1_b32 exec_lo, exec_lo, s1
	s_cbranch_execnz .LBB26_105
; %bb.106:
	s_or_b32 exec_lo, exec_lo, s1
	v_mov_b32_e32 v7, 0
	ds_load_b64 v[60:61], v7 offset:184
	s_wait_dscnt 0x0
	v_pk_mul_f32 v[62:63], v[58:59], v[60:61] op_sel:[1,1] op_sel_hi:[0,1]
	s_delay_alu instid0(VALU_DEP_1) | instskip(SKIP_1) | instid1(VALU_DEP_2)
	v_pk_fma_f32 v[64:65], v[58:59], v[60:61], v[62:63] op_sel_hi:[1,0,1]
	v_pk_fma_f32 v[58:59], v[58:59], v[60:61], v[62:63] neg_lo:[0,0,1] neg_hi:[0,0,1]
	v_mov_b32_e32 v59, v65
	scratch_store_b64 off, v[58:59], off offset:184
.LBB26_107:
	s_wait_xcnt 0x0
	s_or_b32 exec_lo, exec_lo, s0
	s_wait_storecnt 0x0
	s_barrier_signal -1
	s_barrier_wait -1
	scratch_load_b64 v[58:59], off, off offset:192
	;; [unrolled: 52-line block ×4, first 2 shown]
	s_mov_b32 s0, exec_lo
	s_wait_loadcnt 0x0
	ds_store_b64 v1, v[58:59]
	s_wait_dscnt 0x0
	s_barrier_signal -1
	s_barrier_wait -1
	v_cmpx_ne_u32_e32 26, v0
	s_cbranch_execz .LBB26_119
; %bb.116:
	v_dual_mov_b32 v58, 0 :: v_dual_mov_b32 v7, v56
	s_mov_b32 s1, 0
	s_delay_alu instid0(VALU_DEP_1)
	v_mov_b32_e32 v59, v58
.LBB26_117:                             ; =>This Inner Loop Header: Depth=1
	scratch_load_b64 v[56:57], v7, off
	ds_load_b64 v[60:61], v1
	s_wait_xcnt 0x0
	v_dual_add_nc_u32 v1, 8, v1 :: v_dual_add_nc_u32 v7, 8, v7
	s_wait_loadcnt_dscnt 0x0
	v_pk_mul_f32 v[62:63], v[60:61], v[56:57] op_sel:[1,1] op_sel_hi:[0,1]
	s_delay_alu instid0(VALU_DEP_1) | instskip(SKIP_2) | instid1(VALU_DEP_3)
	v_pk_fma_f32 v[64:65], v[60:61], v[56:57], v[62:63] op_sel_hi:[1,0,1]
	v_add_nc_u32_e32 v3, 1, v3
	v_pk_fma_f32 v[56:57], v[60:61], v[56:57], v[62:63] neg_lo:[0,0,1] neg_hi:[0,0,1]
	v_mov_b32_e32 v57, v65
	s_delay_alu instid0(VALU_DEP_3) | instskip(NEXT) | instid1(VALU_DEP_2)
	v_cmp_lt_u32_e32 vcc_lo, 24, v3
	v_pk_add_f32 v[58:59], v[58:59], v[56:57]
	s_or_b32 s1, vcc_lo, s1
	s_delay_alu instid0(SALU_CYCLE_1)
	s_and_not1_b32 exec_lo, exec_lo, s1
	s_cbranch_execnz .LBB26_117
; %bb.118:
	s_or_b32 exec_lo, exec_lo, s1
	v_mov_b32_e32 v1, 0
	ds_load_b64 v[56:57], v1 offset:208
	s_wait_dscnt 0x0
	v_pk_mul_f32 v[60:61], v[58:59], v[56:57] op_sel:[1,1] op_sel_hi:[0,1]
	s_delay_alu instid0(VALU_DEP_1) | instskip(SKIP_1) | instid1(VALU_DEP_2)
	v_pk_fma_f32 v[62:63], v[58:59], v[56:57], v[60:61] op_sel_hi:[1,0,1]
	v_pk_fma_f32 v[56:57], v[58:59], v[56:57], v[60:61] neg_lo:[0,0,1] neg_hi:[0,0,1]
	v_mov_b32_e32 v57, v63
	scratch_store_b64 off, v[56:57], off offset:208
.LBB26_119:
	s_wait_xcnt 0x0
	s_or_b32 exec_lo, exec_lo, s0
	s_mov_b32 s1, -1
	s_wait_storecnt 0x0
	s_barrier_signal -1
	s_barrier_wait -1
.LBB26_120:
	s_and_b32 vcc_lo, exec_lo, s1
	s_cbranch_vccz .LBB26_122
; %bb.121:
	v_mov_b32_e32 v1, 0
	s_lshl_b64 s[0:1], s[16:17], 2
	s_delay_alu instid0(SALU_CYCLE_1)
	s_add_nc_u64 s[0:1], s[6:7], s[0:1]
	global_load_b32 v1, v1, s[0:1]
	s_wait_loadcnt 0x0
	v_cmp_ne_u32_e32 vcc_lo, 0, v1
	s_cbranch_vccz .LBB26_123
.LBB26_122:
	s_sendmsg sendmsg(MSG_DEALLOC_VGPRS)
	s_endpgm
.LBB26_123:
	s_wait_xcnt 0x0
	v_lshl_add_u32 v1, v0, 3, 0xe0
	s_mov_b32 s0, exec_lo
	v_cmpx_eq_u32_e32 26, v0
	s_cbranch_execz .LBB26_125
; %bb.124:
	scratch_load_b64 v[56:57], off, off offset:200
	v_mov_b64_e32 v[58:59], 0
	scratch_store_b64 off, v[58:59], off offset:200
	s_wait_loadcnt 0x0
	ds_store_b64 v1, v[56:57]
.LBB26_125:
	s_wait_xcnt 0x0
	s_or_b32 exec_lo, exec_lo, s0
	s_wait_storecnt_dscnt 0x0
	s_barrier_signal -1
	s_barrier_wait -1
	s_clause 0x1
	scratch_load_b64 v[56:57], off, off offset:208
	scratch_load_b64 v[58:59], off, off offset:200
	v_mov_b32_e32 v3, 0
	s_mov_b32 s0, exec_lo
	ds_load_b64 v[60:61], v3 offset:432
	s_wait_loadcnt_dscnt 0x100
	v_pk_mul_f32 v[62:63], v[60:61], v[56:57] op_sel:[1,1] op_sel_hi:[0,1]
	s_delay_alu instid0(VALU_DEP_1) | instskip(SKIP_1) | instid1(VALU_DEP_2)
	v_pk_fma_f32 v[64:65], v[60:61], v[56:57], v[62:63] op_sel_hi:[1,0,1]
	v_pk_fma_f32 v[56:57], v[60:61], v[56:57], v[62:63] neg_lo:[0,0,1] neg_hi:[0,0,1]
	v_mov_b32_e32 v57, v65
	s_delay_alu instid0(VALU_DEP_1) | instskip(SKIP_1) | instid1(VALU_DEP_1)
	v_pk_add_f32 v[56:57], v[56:57], 0 op_sel_hi:[1,0]
	s_wait_loadcnt 0x0
	v_pk_add_f32 v[56:57], v[58:59], v[56:57] neg_lo:[0,1] neg_hi:[0,1]
	scratch_store_b64 off, v[56:57], off offset:200
	s_wait_xcnt 0x0
	v_cmpx_lt_u32_e32 24, v0
	s_cbranch_execz .LBB26_127
; %bb.126:
	scratch_load_b64 v[56:57], off, off offset:192
	v_mov_b64_e32 v[58:59], 0
	scratch_store_b64 off, v[58:59], off offset:192
	s_wait_loadcnt 0x0
	ds_store_b64 v1, v[56:57]
.LBB26_127:
	s_wait_xcnt 0x0
	s_or_b32 exec_lo, exec_lo, s0
	s_wait_storecnt_dscnt 0x0
	s_barrier_signal -1
	s_barrier_wait -1
	s_clause 0x1
	scratch_load_b128 v[56:59], off, off offset:200
	scratch_load_b64 v[64:65], off, off offset:192
	ds_load_2addr_b64 v[60:63], v3 offset0:53 offset1:54
	s_mov_b32 s0, exec_lo
	s_wait_dscnt 0x0
	v_dual_mov_b32 v66, v63 :: v_dual_mov_b32 v67, v62
	s_wait_loadcnt 0x1
	v_pk_mul_f32 v[68:69], v[60:61], v[56:57] op_sel:[1,1] op_sel_hi:[0,1]
	s_delay_alu instid0(VALU_DEP_1) | instskip(SKIP_2) | instid1(VALU_DEP_3)
	v_pk_fma_f32 v[72:73], v[60:61], v[56:57], v[68:69] op_sel_hi:[1,0,1]
	v_mov_b32_e32 v70, v59
	v_pk_fma_f32 v[56:57], v[60:61], v[56:57], v[68:69] neg_lo:[0,0,1] neg_hi:[0,0,1]
	v_mov_b32_e32 v57, v73
	s_delay_alu instid0(VALU_DEP_3) | instskip(NEXT) | instid1(VALU_DEP_2)
	v_pk_mul_f32 v[66:67], v[66:67], v[70:71] op_sel_hi:[1,0]
	v_pk_add_f32 v[56:57], v[56:57], 0 op_sel_hi:[1,0]
	s_delay_alu instid0(VALU_DEP_2) | instskip(SKIP_1) | instid1(VALU_DEP_2)
	v_pk_fma_f32 v[60:61], v[62:63], v[58:59], v[66:67] op_sel_hi:[1,0,1]
	v_pk_fma_f32 v[58:59], v[62:63], v[58:59], v[66:67] neg_lo:[0,0,1] neg_hi:[0,0,1]
	v_mov_b32_e32 v59, v61
	s_delay_alu instid0(VALU_DEP_1) | instskip(SKIP_1) | instid1(VALU_DEP_1)
	v_pk_add_f32 v[56:57], v[56:57], v[58:59]
	s_wait_loadcnt 0x0
	v_pk_add_f32 v[56:57], v[64:65], v[56:57] neg_lo:[0,1] neg_hi:[0,1]
	scratch_store_b64 off, v[56:57], off offset:192
	s_wait_xcnt 0x0
	v_cmpx_lt_u32_e32 23, v0
	s_cbranch_execz .LBB26_129
; %bb.128:
	scratch_load_b64 v[56:57], off, off offset:184
	v_mov_b64_e32 v[58:59], 0
	scratch_store_b64 off, v[58:59], off offset:184
	s_wait_loadcnt 0x0
	ds_store_b64 v1, v[56:57]
.LBB26_129:
	s_wait_xcnt 0x0
	s_or_b32 exec_lo, exec_lo, s0
	s_wait_storecnt_dscnt 0x0
	s_barrier_signal -1
	s_barrier_wait -1
	s_clause 0x2
	scratch_load_b128 v[56:59], off, off offset:192
	scratch_load_b64 v[64:65], off, off offset:208
	scratch_load_b64 v[66:67], off, off offset:184
	v_mov_b32_e32 v3, 0
	ds_load_b128 v[60:63], v3 offset:416
	ds_load_b64 v[68:69], v3 offset:432
	s_mov_b32 s0, exec_lo
	s_wait_dscnt 0x1
	v_dual_mov_b32 v70, v63 :: v_dual_mov_b32 v71, v62
	s_wait_loadcnt 0x2
	v_mov_b32_e32 v74, v59
	v_pk_mul_f32 v[72:73], v[60:61], v[56:57] op_sel:[1,1] op_sel_hi:[0,1]
	s_delay_alu instid0(VALU_DEP_2) | instskip(NEXT) | instid1(VALU_DEP_2)
	v_pk_mul_f32 v[70:71], v[70:71], v[74:75] op_sel_hi:[1,0]
	v_pk_fma_f32 v[76:77], v[60:61], v[56:57], v[72:73] op_sel_hi:[1,0,1]
	v_pk_fma_f32 v[56:57], v[60:61], v[56:57], v[72:73] neg_lo:[0,0,1] neg_hi:[0,0,1]
	s_wait_loadcnt_dscnt 0x100
	v_pk_mul_f32 v[72:73], v[68:69], v[64:65] op_sel:[1,1] op_sel_hi:[0,1]
	v_pk_fma_f32 v[60:61], v[62:63], v[58:59], v[70:71] op_sel_hi:[1,0,1]
	v_mov_b32_e32 v57, v77
	v_pk_fma_f32 v[58:59], v[62:63], v[58:59], v[70:71] neg_lo:[0,0,1] neg_hi:[0,0,1]
	s_delay_alu instid0(VALU_DEP_4) | instskip(NEXT) | instid1(VALU_DEP_4)
	v_pk_fma_f32 v[62:63], v[68:69], v[64:65], v[72:73] neg_lo:[0,0,1] neg_hi:[0,0,1]
	v_mov_b32_e32 v59, v61
	s_delay_alu instid0(VALU_DEP_4) | instskip(SKIP_1) | instid1(VALU_DEP_2)
	v_pk_add_f32 v[56:57], v[56:57], 0 op_sel_hi:[1,0]
	v_pk_fma_f32 v[60:61], v[68:69], v[64:65], v[72:73] op_sel_hi:[1,0,1]
	v_pk_add_f32 v[56:57], v[56:57], v[58:59]
	s_delay_alu instid0(VALU_DEP_2) | instskip(NEXT) | instid1(VALU_DEP_1)
	v_mov_b32_e32 v63, v61
	v_pk_add_f32 v[56:57], v[56:57], v[62:63]
	s_wait_loadcnt 0x0
	s_delay_alu instid0(VALU_DEP_1)
	v_pk_add_f32 v[56:57], v[66:67], v[56:57] neg_lo:[0,1] neg_hi:[0,1]
	scratch_store_b64 off, v[56:57], off offset:184
	s_wait_xcnt 0x0
	v_cmpx_lt_u32_e32 22, v0
	s_cbranch_execz .LBB26_131
; %bb.130:
	scratch_load_b64 v[56:57], off, off offset:176
	v_mov_b64_e32 v[58:59], 0
	scratch_store_b64 off, v[58:59], off offset:176
	s_wait_loadcnt 0x0
	ds_store_b64 v1, v[56:57]
.LBB26_131:
	s_wait_xcnt 0x0
	s_or_b32 exec_lo, exec_lo, s0
	s_wait_storecnt_dscnt 0x0
	s_barrier_signal -1
	s_barrier_wait -1
	s_clause 0x2
	scratch_load_b128 v[56:59], off, off offset:184
	scratch_load_b128 v[60:63], off, off offset:200
	scratch_load_b64 v[72:73], off, off offset:176
	ds_load_2addr_b64 v[64:67], v3 offset0:51 offset1:52
	ds_load_2addr_b64 v[68:71], v3 offset0:53 offset1:54
	s_mov_b32 s0, exec_lo
	s_wait_dscnt 0x1
	v_dual_mov_b32 v74, v67 :: v_dual_mov_b32 v75, v66
	s_wait_loadcnt_dscnt 0x200
	v_dual_mov_b32 v80, v71 :: v_dual_mov_b32 v78, v59
	v_pk_mul_f32 v[76:77], v[64:65], v[56:57] op_sel:[1,1] op_sel_hi:[0,1]
	s_delay_alu instid0(VALU_DEP_2) | instskip(NEXT) | instid1(VALU_DEP_2)
	v_pk_mul_f32 v[74:75], v[74:75], v[78:79] op_sel_hi:[1,0]
	v_pk_fma_f32 v[82:83], v[64:65], v[56:57], v[76:77] op_sel_hi:[1,0,1]
	v_pk_fma_f32 v[56:57], v[64:65], v[56:57], v[76:77] neg_lo:[0,0,1] neg_hi:[0,0,1]
	v_mov_b32_e32 v81, v70
	s_wait_loadcnt 0x1
	v_pk_mul_f32 v[78:79], v[68:69], v[60:61] op_sel:[1,1] op_sel_hi:[0,1]
	v_pk_fma_f32 v[64:65], v[66:67], v[58:59], v[74:75] op_sel_hi:[1,0,1]
	v_dual_mov_b32 v57, v83 :: v_dual_mov_b32 v64, v63
	v_pk_fma_f32 v[58:59], v[66:67], v[58:59], v[74:75] neg_lo:[0,0,1] neg_hi:[0,0,1]
	s_delay_alu instid0(VALU_DEP_4) | instskip(NEXT) | instid1(VALU_DEP_4)
	v_pk_fma_f32 v[76:77], v[68:69], v[60:61], v[78:79] op_sel_hi:[1,0,1]
	v_mov_b32_e32 v59, v65
	s_delay_alu instid0(VALU_DEP_4) | instskip(SKIP_2) | instid1(VALU_DEP_3)
	v_pk_add_f32 v[56:57], v[56:57], 0 op_sel_hi:[1,0]
	v_pk_mul_f32 v[64:65], v[80:81], v[64:65] op_sel_hi:[1,0]
	v_pk_fma_f32 v[60:61], v[68:69], v[60:61], v[78:79] neg_lo:[0,0,1] neg_hi:[0,0,1]
	v_pk_add_f32 v[56:57], v[56:57], v[58:59]
	s_delay_alu instid0(VALU_DEP_3) | instskip(SKIP_2) | instid1(VALU_DEP_3)
	v_pk_fma_f32 v[58:59], v[70:71], v[62:63], v[64:65] op_sel_hi:[1,0,1]
	v_mov_b32_e32 v61, v77
	v_pk_fma_f32 v[62:63], v[70:71], v[62:63], v[64:65] neg_lo:[0,0,1] neg_hi:[0,0,1]
	v_mov_b32_e32 v63, v59
	s_delay_alu instid0(VALU_DEP_3) | instskip(NEXT) | instid1(VALU_DEP_1)
	v_pk_add_f32 v[56:57], v[56:57], v[60:61]
	v_pk_add_f32 v[56:57], v[56:57], v[62:63]
	s_wait_loadcnt 0x0
	s_delay_alu instid0(VALU_DEP_1)
	v_pk_add_f32 v[56:57], v[72:73], v[56:57] neg_lo:[0,1] neg_hi:[0,1]
	scratch_store_b64 off, v[56:57], off offset:176
	s_wait_xcnt 0x0
	v_cmpx_lt_u32_e32 21, v0
	s_cbranch_execz .LBB26_133
; %bb.132:
	scratch_load_b64 v[56:57], off, off offset:168
	v_mov_b64_e32 v[58:59], 0
	scratch_store_b64 off, v[58:59], off offset:168
	s_wait_loadcnt 0x0
	ds_store_b64 v1, v[56:57]
.LBB26_133:
	s_wait_xcnt 0x0
	s_or_b32 exec_lo, exec_lo, s0
	s_wait_storecnt_dscnt 0x0
	s_barrier_signal -1
	s_barrier_wait -1
	s_clause 0x3
	scratch_load_b128 v[56:59], off, off offset:176
	scratch_load_b128 v[60:63], off, off offset:192
	scratch_load_b64 v[72:73], off, off offset:208
	scratch_load_b64 v[74:75], off, off offset:168
	v_mov_b32_e32 v3, 0
	ds_load_b128 v[64:67], v3 offset:400
	ds_load_b128 v[68:71], v3 offset:416
	s_mov_b32 s0, exec_lo
	s_wait_dscnt 0x1
	v_dual_mov_b32 v76, v67 :: v_dual_mov_b32 v77, v66
	ds_load_b64 v[82:83], v3 offset:432
	s_wait_dscnt 0x1
	v_dual_mov_b32 v84, v71 :: v_dual_mov_b32 v85, v70
	s_wait_loadcnt 0x3
	v_pk_mul_f32 v[78:79], v[64:65], v[56:57] op_sel:[1,1] op_sel_hi:[0,1]
	v_mov_b32_e32 v80, v59
	s_delay_alu instid0(VALU_DEP_2) | instskip(NEXT) | instid1(VALU_DEP_2)
	v_pk_fma_f32 v[86:87], v[64:65], v[56:57], v[78:79] op_sel_hi:[1,0,1]
	v_pk_mul_f32 v[76:77], v[76:77], v[80:81] op_sel_hi:[1,0]
	v_pk_fma_f32 v[56:57], v[64:65], v[56:57], v[78:79] neg_lo:[0,0,1] neg_hi:[0,0,1]
	s_wait_loadcnt 0x2
	v_pk_mul_f32 v[80:81], v[68:69], v[60:61] op_sel:[1,1] op_sel_hi:[0,1]
	v_dual_mov_b32 v86, v63 :: v_dual_mov_b32 v57, v87
	v_pk_fma_f32 v[64:65], v[66:67], v[58:59], v[76:77] op_sel_hi:[1,0,1]
	v_pk_fma_f32 v[58:59], v[66:67], v[58:59], v[76:77] neg_lo:[0,0,1] neg_hi:[0,0,1]
	s_delay_alu instid0(VALU_DEP_4) | instskip(NEXT) | instid1(VALU_DEP_4)
	v_pk_fma_f32 v[78:79], v[68:69], v[60:61], v[80:81] op_sel_hi:[1,0,1]
	v_pk_mul_f32 v[84:85], v[84:85], v[86:87] op_sel_hi:[1,0]
	v_pk_add_f32 v[56:57], v[56:57], 0 op_sel_hi:[1,0]
	v_mov_b32_e32 v59, v65
	v_pk_fma_f32 v[60:61], v[68:69], v[60:61], v[80:81] neg_lo:[0,0,1] neg_hi:[0,0,1]
	v_mov_b32_e32 v61, v79
	v_pk_fma_f32 v[64:65], v[70:71], v[62:63], v[84:85] op_sel_hi:[1,0,1]
	v_pk_fma_f32 v[62:63], v[70:71], v[62:63], v[84:85] neg_lo:[0,0,1] neg_hi:[0,0,1]
	v_pk_add_f32 v[56:57], v[56:57], v[58:59]
	s_wait_loadcnt_dscnt 0x100
	v_pk_mul_f32 v[58:59], v[82:83], v[72:73] op_sel:[1,1] op_sel_hi:[0,1]
	s_delay_alu instid0(VALU_DEP_2) | instskip(NEXT) | instid1(VALU_DEP_2)
	v_pk_add_f32 v[56:57], v[56:57], v[60:61]
	v_pk_fma_f32 v[60:61], v[82:83], v[72:73], v[58:59] op_sel_hi:[1,0,1]
	v_mov_b32_e32 v63, v65
	v_pk_fma_f32 v[58:59], v[82:83], v[72:73], v[58:59] neg_lo:[0,0,1] neg_hi:[0,0,1]
	s_delay_alu instid0(VALU_DEP_3) | instskip(NEXT) | instid1(VALU_DEP_3)
	v_mov_b32_e32 v59, v61
	v_pk_add_f32 v[56:57], v[56:57], v[62:63]
	s_delay_alu instid0(VALU_DEP_1) | instskip(SKIP_1) | instid1(VALU_DEP_1)
	v_pk_add_f32 v[56:57], v[56:57], v[58:59]
	s_wait_loadcnt 0x0
	v_pk_add_f32 v[56:57], v[74:75], v[56:57] neg_lo:[0,1] neg_hi:[0,1]
	scratch_store_b64 off, v[56:57], off offset:168
	s_wait_xcnt 0x0
	v_cmpx_lt_u32_e32 20, v0
	s_cbranch_execz .LBB26_135
; %bb.134:
	scratch_load_b64 v[56:57], off, off offset:160
	v_mov_b64_e32 v[58:59], 0
	scratch_store_b64 off, v[58:59], off offset:160
	s_wait_loadcnt 0x0
	ds_store_b64 v1, v[56:57]
.LBB26_135:
	s_wait_xcnt 0x0
	s_or_b32 exec_lo, exec_lo, s0
	s_wait_storecnt_dscnt 0x0
	s_barrier_signal -1
	s_barrier_wait -1
	s_clause 0x3
	scratch_load_b128 v[56:59], off, off offset:168
	scratch_load_b128 v[60:63], off, off offset:184
	;; [unrolled: 1-line block ×3, first 2 shown]
	scratch_load_b64 v[80:81], off, off offset:160
	ds_load_2addr_b64 v[68:71], v3 offset0:49 offset1:50
	ds_load_2addr_b64 v[72:75], v3 offset0:51 offset1:52
	;; [unrolled: 1-line block ×3, first 2 shown]
	s_mov_b32 s0, exec_lo
	s_wait_dscnt 0x2
	v_dual_mov_b32 v82, v71 :: v_dual_mov_b32 v83, v70
	s_wait_dscnt 0x1
	v_dual_mov_b32 v84, v75 :: v_dual_mov_b32 v85, v74
	;; [unrolled: 2-line block ×3, first 2 shown]
	s_wait_loadcnt 0x3
	v_pk_mul_f32 v[86:87], v[68:69], v[56:57] op_sel:[1,1] op_sel_hi:[0,1]
	v_mov_b32_e32 v88, v59
	s_delay_alu instid0(VALU_DEP_2) | instskip(NEXT) | instid1(VALU_DEP_2)
	v_pk_fma_f32 v[92:93], v[68:69], v[56:57], v[86:87] op_sel_hi:[1,0,1]
	v_pk_mul_f32 v[82:83], v[82:83], v[88:89] op_sel_hi:[1,0]
	v_pk_fma_f32 v[56:57], v[68:69], v[56:57], v[86:87] neg_lo:[0,0,1] neg_hi:[0,0,1]
	s_wait_loadcnt 0x2
	v_pk_mul_f32 v[88:89], v[72:73], v[60:61] op_sel:[1,1] op_sel_hi:[0,1]
	v_mov_b32_e32 v92, v63
	v_pk_fma_f32 v[68:69], v[70:71], v[58:59], v[82:83] op_sel_hi:[1,0,1]
	v_mov_b32_e32 v57, v93
	v_pk_fma_f32 v[58:59], v[70:71], v[58:59], v[82:83] neg_lo:[0,0,1] neg_hi:[0,0,1]
	v_pk_fma_f32 v[86:87], v[72:73], v[60:61], v[88:89] op_sel_hi:[1,0,1]
	v_pk_mul_f32 v[84:85], v[84:85], v[92:93] op_sel_hi:[1,0]
	v_mov_b32_e32 v59, v69
	v_pk_add_f32 v[56:57], v[56:57], 0 op_sel_hi:[1,0]
	v_pk_fma_f32 v[60:61], v[72:73], v[60:61], v[88:89] neg_lo:[0,0,1] neg_hi:[0,0,1]
	s_wait_loadcnt 0x1
	v_pk_mul_f32 v[68:69], v[76:77], v[64:65] op_sel:[1,1] op_sel_hi:[0,1]
	v_mov_b32_e32 v61, v87
	v_pk_fma_f32 v[70:71], v[74:75], v[62:63], v[84:85] op_sel_hi:[1,0,1]
	v_pk_add_f32 v[56:57], v[56:57], v[58:59]
	v_mov_b32_e32 v58, v67
	v_pk_fma_f32 v[62:63], v[74:75], v[62:63], v[84:85] neg_lo:[0,0,1] neg_hi:[0,0,1]
	v_pk_fma_f32 v[72:73], v[76:77], v[64:65], v[68:69] op_sel_hi:[1,0,1]
	v_mov_b32_e32 v63, v71
	v_pk_add_f32 v[56:57], v[56:57], v[60:61]
	v_pk_mul_f32 v[58:59], v[90:91], v[58:59] op_sel_hi:[1,0]
	v_pk_fma_f32 v[60:61], v[76:77], v[64:65], v[68:69] neg_lo:[0,0,1] neg_hi:[0,0,1]
	v_mov_b32_e32 v61, v73
	s_delay_alu instid0(VALU_DEP_4) | instskip(NEXT) | instid1(VALU_DEP_4)
	v_pk_add_f32 v[56:57], v[56:57], v[62:63]
	v_pk_fma_f32 v[62:63], v[78:79], v[66:67], v[58:59] op_sel_hi:[1,0,1]
	v_pk_fma_f32 v[58:59], v[78:79], v[66:67], v[58:59] neg_lo:[0,0,1] neg_hi:[0,0,1]
	s_delay_alu instid0(VALU_DEP_3) | instskip(NEXT) | instid1(VALU_DEP_3)
	v_pk_add_f32 v[56:57], v[56:57], v[60:61]
	v_mov_b32_e32 v59, v63
	s_delay_alu instid0(VALU_DEP_1) | instskip(SKIP_1) | instid1(VALU_DEP_1)
	v_pk_add_f32 v[56:57], v[56:57], v[58:59]
	s_wait_loadcnt 0x0
	v_pk_add_f32 v[56:57], v[80:81], v[56:57] neg_lo:[0,1] neg_hi:[0,1]
	scratch_store_b64 off, v[56:57], off offset:160
	s_wait_xcnt 0x0
	v_cmpx_lt_u32_e32 19, v0
	s_cbranch_execz .LBB26_137
; %bb.136:
	scratch_load_b64 v[56:57], off, off offset:152
	v_mov_b64_e32 v[58:59], 0
	scratch_store_b64 off, v[58:59], off offset:152
	s_wait_loadcnt 0x0
	ds_store_b64 v1, v[56:57]
.LBB26_137:
	s_wait_xcnt 0x0
	s_or_b32 exec_lo, exec_lo, s0
	s_wait_storecnt_dscnt 0x0
	s_barrier_signal -1
	s_barrier_wait -1
	s_clause 0x4
	scratch_load_b128 v[56:59], off, off offset:160
	scratch_load_b128 v[60:63], off, off offset:176
	;; [unrolled: 1-line block ×3, first 2 shown]
	scratch_load_b64 v[80:81], off, off offset:208
	scratch_load_b64 v[82:83], off, off offset:152
	v_mov_b32_e32 v3, 0
	ds_load_b128 v[68:71], v3 offset:384
	ds_load_b128 v[72:75], v3 offset:400
	;; [unrolled: 1-line block ×3, first 2 shown]
	ds_load_b64 v[84:85], v3 offset:432
	s_mov_b32 s0, exec_lo
	s_wait_dscnt 0x3
	v_dual_mov_b32 v86, v71 :: v_dual_mov_b32 v87, v70
	s_wait_dscnt 0x2
	v_dual_mov_b32 v88, v75 :: v_dual_mov_b32 v89, v74
	;; [unrolled: 2-line block ×3, first 2 shown]
	s_wait_loadcnt 0x4
	v_pk_mul_f32 v[90:91], v[68:69], v[56:57] op_sel:[1,1] op_sel_hi:[0,1]
	v_mov_b32_e32 v92, v59
	s_wait_loadcnt 0x3
	v_pk_mul_f32 v[96:97], v[72:73], v[60:61] op_sel:[1,1] op_sel_hi:[0,1]
	s_wait_loadcnt 0x2
	v_pk_mul_f32 v[100:101], v[76:77], v[64:65] op_sel:[1,1] op_sel_hi:[0,1]
	v_pk_fma_f32 v[98:99], v[68:69], v[56:57], v[90:91] op_sel_hi:[1,0,1]
	v_pk_mul_f32 v[86:87], v[86:87], v[92:93] op_sel_hi:[1,0]
	v_pk_fma_f32 v[56:57], v[68:69], v[56:57], v[90:91] neg_lo:[0,0,1] neg_hi:[0,0,1]
	v_mov_b32_e32 v92, v63
	v_pk_fma_f32 v[90:91], v[72:73], v[60:61], v[96:97] op_sel_hi:[1,0,1]
	v_mov_b32_e32 v57, v99
	v_pk_fma_f32 v[68:69], v[70:71], v[58:59], v[86:87] op_sel_hi:[1,0,1]
	v_pk_fma_f32 v[58:59], v[70:71], v[58:59], v[86:87] neg_lo:[0,0,1] neg_hi:[0,0,1]
	v_pk_mul_f32 v[88:89], v[88:89], v[92:93] op_sel_hi:[1,0]
	v_pk_fma_f32 v[60:61], v[72:73], v[60:61], v[96:97] neg_lo:[0,0,1] neg_hi:[0,0,1]
	v_pk_add_f32 v[56:57], v[56:57], 0 op_sel_hi:[1,0]
	v_dual_mov_b32 v59, v69 :: v_dual_mov_b32 v68, v67
	s_delay_alu instid0(VALU_DEP_4) | instskip(SKIP_2) | instid1(VALU_DEP_4)
	v_pk_fma_f32 v[70:71], v[74:75], v[62:63], v[88:89] op_sel_hi:[1,0,1]
	v_mov_b32_e32 v61, v91
	v_pk_fma_f32 v[62:63], v[74:75], v[62:63], v[88:89] neg_lo:[0,0,1] neg_hi:[0,0,1]
	v_pk_add_f32 v[56:57], v[56:57], v[58:59]
	v_pk_fma_f32 v[58:59], v[76:77], v[64:65], v[100:101] op_sel_hi:[1,0,1]
	v_pk_mul_f32 v[68:69], v[94:95], v[68:69] op_sel_hi:[1,0]
	v_mov_b32_e32 v63, v71
	s_delay_alu instid0(VALU_DEP_4)
	v_pk_add_f32 v[56:57], v[56:57], v[60:61]
	v_pk_fma_f32 v[60:61], v[76:77], v[64:65], v[100:101] neg_lo:[0,0,1] neg_hi:[0,0,1]
	v_mov_b32_e32 v61, v59
	v_pk_fma_f32 v[58:59], v[78:79], v[66:67], v[68:69] op_sel_hi:[1,0,1]
	v_pk_fma_f32 v[64:65], v[78:79], v[66:67], v[68:69] neg_lo:[0,0,1] neg_hi:[0,0,1]
	v_pk_add_f32 v[56:57], v[56:57], v[62:63]
	s_wait_loadcnt_dscnt 0x100
	v_pk_mul_f32 v[62:63], v[84:85], v[80:81] op_sel:[1,1] op_sel_hi:[0,1]
	v_mov_b32_e32 v65, v59
	s_delay_alu instid0(VALU_DEP_3) | instskip(NEXT) | instid1(VALU_DEP_3)
	v_pk_add_f32 v[56:57], v[56:57], v[60:61]
	v_pk_fma_f32 v[58:59], v[84:85], v[80:81], v[62:63] op_sel_hi:[1,0,1]
	v_pk_fma_f32 v[60:61], v[84:85], v[80:81], v[62:63] neg_lo:[0,0,1] neg_hi:[0,0,1]
	s_delay_alu instid0(VALU_DEP_3) | instskip(NEXT) | instid1(VALU_DEP_3)
	v_pk_add_f32 v[56:57], v[56:57], v[64:65]
	v_mov_b32_e32 v61, v59
	s_delay_alu instid0(VALU_DEP_1) | instskip(SKIP_1) | instid1(VALU_DEP_1)
	v_pk_add_f32 v[56:57], v[56:57], v[60:61]
	s_wait_loadcnt 0x0
	v_pk_add_f32 v[56:57], v[82:83], v[56:57] neg_lo:[0,1] neg_hi:[0,1]
	scratch_store_b64 off, v[56:57], off offset:152
	s_wait_xcnt 0x0
	v_cmpx_lt_u32_e32 18, v0
	s_cbranch_execz .LBB26_139
; %bb.138:
	scratch_load_b64 v[56:57], off, off offset:144
	v_mov_b64_e32 v[58:59], 0
	scratch_store_b64 off, v[58:59], off offset:144
	s_wait_loadcnt 0x0
	ds_store_b64 v1, v[56:57]
.LBB26_139:
	s_wait_xcnt 0x0
	s_or_b32 exec_lo, exec_lo, s0
	s_wait_storecnt_dscnt 0x0
	s_barrier_signal -1
	s_barrier_wait -1
	s_clause 0x4
	scratch_load_b128 v[56:59], off, off offset:152
	scratch_load_b128 v[60:63], off, off offset:168
	;; [unrolled: 1-line block ×4, first 2 shown]
	scratch_load_b64 v[88:89], off, off offset:144
	ds_load_2addr_b64 v[72:75], v3 offset0:47 offset1:48
	ds_load_2addr_b64 v[76:79], v3 offset0:49 offset1:50
	;; [unrolled: 1-line block ×4, first 2 shown]
	s_mov_b32 s0, exec_lo
	s_wait_dscnt 0x3
	v_dual_mov_b32 v90, v75 :: v_dual_mov_b32 v91, v74
	s_wait_dscnt 0x2
	v_dual_mov_b32 v92, v79 :: v_dual_mov_b32 v93, v78
	;; [unrolled: 2-line block ×3, first 2 shown]
	v_dual_mov_b32 v95, v82 :: v_dual_mov_b32 v100, v87
	s_wait_loadcnt 0x4
	v_mov_b32_e32 v98, v59
	v_pk_mul_f32 v[96:97], v[72:73], v[56:57] op_sel:[1,1] op_sel_hi:[0,1]
	s_wait_loadcnt 0x3
	v_pk_mul_f32 v[102:103], v[76:77], v[60:61] op_sel:[1,1] op_sel_hi:[0,1]
	s_wait_loadcnt 0x2
	v_pk_mul_f32 v[106:107], v[80:81], v[64:65] op_sel:[1,1] op_sel_hi:[0,1]
	v_pk_mul_f32 v[90:91], v[90:91], v[98:99] op_sel_hi:[1,0]
	v_pk_fma_f32 v[104:105], v[72:73], v[56:57], v[96:97] op_sel_hi:[1,0,1]
	v_pk_fma_f32 v[56:57], v[72:73], v[56:57], v[96:97] neg_lo:[0,0,1] neg_hi:[0,0,1]
	v_mov_b32_e32 v98, v63
	v_pk_fma_f32 v[96:97], v[76:77], v[60:61], v[102:103] op_sel_hi:[1,0,1]
	v_pk_fma_f32 v[72:73], v[74:75], v[58:59], v[90:91] op_sel_hi:[1,0,1]
	v_mov_b32_e32 v57, v105
	v_pk_fma_f32 v[58:59], v[74:75], v[58:59], v[90:91] neg_lo:[0,0,1] neg_hi:[0,0,1]
	v_pk_mul_f32 v[92:93], v[92:93], v[98:99] op_sel_hi:[1,0]
	s_delay_alu instid0(VALU_DEP_4) | instskip(NEXT) | instid1(VALU_DEP_4)
	v_dual_mov_b32 v72, v67 :: v_dual_mov_b32 v59, v73
	v_pk_add_f32 v[56:57], v[56:57], 0 op_sel_hi:[1,0]
	v_pk_fma_f32 v[60:61], v[76:77], v[60:61], v[102:103] neg_lo:[0,0,1] neg_hi:[0,0,1]
	v_mov_b32_e32 v61, v97
	v_pk_fma_f32 v[74:75], v[78:79], v[62:63], v[92:93] op_sel_hi:[1,0,1]
	v_pk_mul_f32 v[72:73], v[94:95], v[72:73] op_sel_hi:[1,0]
	v_pk_add_f32 v[56:57], v[56:57], v[58:59]
	v_pk_fma_f32 v[58:59], v[80:81], v[64:65], v[106:107] op_sel_hi:[1,0,1]
	v_pk_fma_f32 v[62:63], v[78:79], v[62:63], v[92:93] neg_lo:[0,0,1] neg_hi:[0,0,1]
	v_mov_b32_e32 v63, v75
	v_pk_fma_f32 v[64:65], v[80:81], v[64:65], v[106:107] neg_lo:[0,0,1] neg_hi:[0,0,1]
	v_pk_add_f32 v[56:57], v[56:57], v[60:61]
	v_mov_b32_e32 v65, v59
	v_pk_fma_f32 v[58:59], v[82:83], v[66:67], v[72:73] op_sel_hi:[1,0,1]
	s_wait_loadcnt 0x1
	v_pk_mul_f32 v[60:61], v[84:85], v[68:69] op_sel:[1,1] op_sel_hi:[0,1]
	v_mov_b32_e32 v58, v71
	v_pk_add_f32 v[56:57], v[56:57], v[62:63]
	v_pk_fma_f32 v[66:67], v[82:83], v[66:67], v[72:73] neg_lo:[0,0,1] neg_hi:[0,0,1]
	v_mov_b32_e32 v67, v59
	v_pk_fma_f32 v[62:63], v[84:85], v[68:69], v[60:61] op_sel_hi:[1,0,1]
	v_pk_mul_f32 v[58:59], v[100:101], v[58:59] op_sel_hi:[1,0]
	v_pk_add_f32 v[56:57], v[56:57], v[64:65]
	v_pk_fma_f32 v[60:61], v[84:85], v[68:69], v[60:61] neg_lo:[0,0,1] neg_hi:[0,0,1]
	s_delay_alu instid0(VALU_DEP_4) | instskip(NEXT) | instid1(VALU_DEP_4)
	v_mov_b32_e32 v61, v63
	v_pk_fma_f32 v[62:63], v[86:87], v[70:71], v[58:59] op_sel_hi:[1,0,1]
	s_delay_alu instid0(VALU_DEP_4) | instskip(SKIP_1) | instid1(VALU_DEP_3)
	v_pk_add_f32 v[56:57], v[56:57], v[66:67]
	v_pk_fma_f32 v[58:59], v[86:87], v[70:71], v[58:59] neg_lo:[0,0,1] neg_hi:[0,0,1]
	v_mov_b32_e32 v59, v63
	s_delay_alu instid0(VALU_DEP_3) | instskip(NEXT) | instid1(VALU_DEP_1)
	v_pk_add_f32 v[56:57], v[56:57], v[60:61]
	v_pk_add_f32 v[56:57], v[56:57], v[58:59]
	s_wait_loadcnt 0x0
	s_delay_alu instid0(VALU_DEP_1)
	v_pk_add_f32 v[56:57], v[88:89], v[56:57] neg_lo:[0,1] neg_hi:[0,1]
	scratch_store_b64 off, v[56:57], off offset:144
	s_wait_xcnt 0x0
	v_cmpx_lt_u32_e32 17, v0
	s_cbranch_execz .LBB26_141
; %bb.140:
	scratch_load_b64 v[56:57], off, off offset:136
	v_mov_b64_e32 v[58:59], 0
	scratch_store_b64 off, v[58:59], off offset:136
	s_wait_loadcnt 0x0
	ds_store_b64 v1, v[56:57]
.LBB26_141:
	s_wait_xcnt 0x0
	s_or_b32 exec_lo, exec_lo, s0
	s_wait_storecnt_dscnt 0x0
	s_barrier_signal -1
	s_barrier_wait -1
	s_clause 0x5
	scratch_load_b128 v[56:59], off, off offset:144
	scratch_load_b128 v[60:63], off, off offset:160
	scratch_load_b128 v[64:67], off, off offset:176
	scratch_load_b128 v[68:71], off, off offset:192
	scratch_load_b64 v[88:89], off, off offset:208
	scratch_load_b64 v[90:91], off, off offset:136
	v_mov_b32_e32 v3, 0
	ds_load_b128 v[72:75], v3 offset:368
	ds_load_b128 v[76:79], v3 offset:384
	;; [unrolled: 1-line block ×4, first 2 shown]
	ds_load_b64 v[92:93], v3 offset:432
	s_mov_b32 s0, exec_lo
	s_wait_dscnt 0x4
	v_dual_mov_b32 v94, v75 :: v_dual_mov_b32 v95, v74
	s_wait_dscnt 0x1
	v_dual_mov_b32 v96, v79 :: v_dual_mov_b32 v101, v86
	v_dual_mov_b32 v97, v78 :: v_dual_mov_b32 v98, v83
	;; [unrolled: 1-line block ×3, first 2 shown]
	s_wait_loadcnt 0x5
	v_dual_mov_b32 v102, v59 :: v_dual_mul_f32 v103, v72, v57
	v_mul_f32_e32 v7, v73, v57
	s_wait_loadcnt 0x4
	v_pk_mul_f32 v[104:105], v[76:77], v[60:61] op_sel:[1,1] op_sel_hi:[0,1]
	v_mov_b32_e32 v106, v63
	s_wait_loadcnt 0x3
	v_pk_mul_f32 v[108:109], v[80:81], v[64:65] op_sel:[1,1] op_sel_hi:[0,1]
	v_pk_mul_f32 v[94:95], v[94:95], v[102:103] op_sel_hi:[1,0]
	v_fmac_f32_e32 v103, v73, v56
	v_dual_fma_f32 v102, v72, v56, -v7 :: v_dual_mov_b32 v56, v67
	v_pk_fma_f32 v[110:111], v[76:77], v[60:61], v[104:105] op_sel_hi:[1,0,1]
	s_delay_alu instid0(VALU_DEP_4)
	v_pk_fma_f32 v[72:73], v[74:75], v[58:59], v[94:95] op_sel_hi:[1,0,1]
	v_pk_fma_f32 v[58:59], v[74:75], v[58:59], v[94:95] neg_lo:[0,0,1] neg_hi:[0,0,1]
	v_pk_mul_f32 v[96:97], v[96:97], v[106:107] op_sel_hi:[1,0]
	v_pk_add_f32 v[102:103], v[102:103], 0 op_sel_hi:[1,0]
	v_pk_fma_f32 v[60:61], v[76:77], v[60:61], v[104:105] neg_lo:[0,0,1] neg_hi:[0,0,1]
	v_dual_mov_b32 v59, v73 :: v_dual_mov_b32 v61, v111
	s_delay_alu instid0(VALU_DEP_4) | instskip(SKIP_2) | instid1(VALU_DEP_4)
	v_pk_fma_f32 v[74:75], v[78:79], v[62:63], v[96:97] op_sel_hi:[1,0,1]
	v_pk_fma_f32 v[62:63], v[78:79], v[62:63], v[96:97] neg_lo:[0,0,1] neg_hi:[0,0,1]
	v_pk_fma_f32 v[76:77], v[80:81], v[64:65], v[108:109] op_sel_hi:[1,0,1]
	v_pk_add_f32 v[58:59], v[102:103], v[58:59]
	v_pk_mul_f32 v[56:57], v[98:99], v[56:57] op_sel_hi:[1,0]
	v_mov_b32_e32 v63, v75
	v_pk_fma_f32 v[64:65], v[80:81], v[64:65], v[108:109] neg_lo:[0,0,1] neg_hi:[0,0,1]
	s_wait_loadcnt 0x2
	v_pk_mul_f32 v[72:73], v[84:85], v[68:69] op_sel:[1,1] op_sel_hi:[0,1]
	v_pk_add_f32 v[58:59], v[58:59], v[60:61]
	v_mov_b32_e32 v60, v71
	v_pk_fma_f32 v[74:75], v[82:83], v[66:67], v[56:57] op_sel_hi:[1,0,1]
	v_mov_b32_e32 v65, v77
	v_pk_fma_f32 v[56:57], v[82:83], v[66:67], v[56:57] neg_lo:[0,0,1] neg_hi:[0,0,1]
	v_pk_add_f32 v[58:59], v[58:59], v[62:63]
	v_pk_fma_f32 v[62:63], v[84:85], v[68:69], v[72:73] op_sel_hi:[1,0,1]
	v_pk_mul_f32 v[60:61], v[100:101], v[60:61] op_sel_hi:[1,0]
	v_mov_b32_e32 v57, v75
	s_delay_alu instid0(VALU_DEP_4)
	v_pk_add_f32 v[58:59], v[58:59], v[64:65]
	v_pk_fma_f32 v[64:65], v[84:85], v[68:69], v[72:73] neg_lo:[0,0,1] neg_hi:[0,0,1]
	v_mov_b32_e32 v65, v63
	v_pk_fma_f32 v[62:63], v[86:87], v[70:71], v[60:61] op_sel_hi:[1,0,1]
	v_pk_fma_f32 v[60:61], v[86:87], v[70:71], v[60:61] neg_lo:[0,0,1] neg_hi:[0,0,1]
	v_pk_add_f32 v[56:57], v[58:59], v[56:57]
	s_wait_loadcnt_dscnt 0x100
	v_pk_mul_f32 v[58:59], v[92:93], v[88:89] op_sel:[1,1] op_sel_hi:[0,1]
	v_mov_b32_e32 v61, v63
	s_delay_alu instid0(VALU_DEP_3) | instskip(NEXT) | instid1(VALU_DEP_3)
	v_pk_add_f32 v[56:57], v[56:57], v[64:65]
	v_pk_fma_f32 v[62:63], v[92:93], v[88:89], v[58:59] op_sel_hi:[1,0,1]
	v_pk_fma_f32 v[58:59], v[92:93], v[88:89], v[58:59] neg_lo:[0,0,1] neg_hi:[0,0,1]
	s_delay_alu instid0(VALU_DEP_3) | instskip(NEXT) | instid1(VALU_DEP_3)
	v_pk_add_f32 v[56:57], v[56:57], v[60:61]
	v_mov_b32_e32 v59, v63
	s_delay_alu instid0(VALU_DEP_1) | instskip(SKIP_1) | instid1(VALU_DEP_1)
	v_pk_add_f32 v[56:57], v[56:57], v[58:59]
	s_wait_loadcnt 0x0
	v_pk_add_f32 v[56:57], v[90:91], v[56:57] neg_lo:[0,1] neg_hi:[0,1]
	scratch_store_b64 off, v[56:57], off offset:136
	s_wait_xcnt 0x0
	v_cmpx_lt_u32_e32 16, v0
	s_cbranch_execz .LBB26_143
; %bb.142:
	scratch_load_b64 v[56:57], off, off offset:128
	v_mov_b64_e32 v[58:59], 0
	scratch_store_b64 off, v[58:59], off offset:128
	s_wait_loadcnt 0x0
	ds_store_b64 v1, v[56:57]
.LBB26_143:
	s_wait_xcnt 0x0
	s_or_b32 exec_lo, exec_lo, s0
	s_wait_storecnt_dscnt 0x0
	s_barrier_signal -1
	s_barrier_wait -1
	s_clause 0x5
	scratch_load_b128 v[56:59], off, off offset:136
	scratch_load_b128 v[60:63], off, off offset:152
	;; [unrolled: 1-line block ×5, first 2 shown]
	scratch_load_b64 v[96:97], off, off offset:128
	ds_load_2addr_b64 v[76:79], v3 offset0:47 offset1:48
	ds_load_2addr_b64 v[80:83], v3 offset0:49 offset1:50
	;; [unrolled: 1-line block ×5, first 2 shown]
	s_mov_b32 s0, exec_lo
	s_wait_dscnt 0x4
	v_dual_mov_b32 v98, v79 :: v_dual_mov_b32 v99, v78
	s_wait_dscnt 0x3
	v_dual_mov_b32 v100, v83 :: v_dual_mov_b32 v101, v82
	s_wait_dscnt 0x2
	v_dual_mov_b32 v102, v87 :: v_dual_mov_b32 v103, v86
	s_wait_dscnt 0x1
	v_dual_mov_b32 v104, v91 :: v_dual_mov_b32 v105, v90
	s_wait_loadcnt_dscnt 0x500
	v_dual_mul_f32 v107, v92, v57 :: v_dual_mul_f32 v109, v94, v59
	v_dual_mul_f32 v3, v93, v57 :: v_dual_mul_f32 v7, v95, v59
	s_wait_loadcnt 0x4
	v_pk_mul_f32 v[110:111], v[76:77], v[60:61] op_sel:[1,1] op_sel_hi:[0,1]
	s_wait_loadcnt 0x3
	v_dual_mov_b32 v112, v63 :: v_dual_mov_b32 v116, v67
	v_dual_fmac_f32 v107, v93, v56 :: v_dual_fmac_f32 v109, v95, v58
	v_fma_f32 v106, v92, v56, -v3
	v_fma_f32 v108, v94, v58, -v7
	v_pk_fma_f32 v[56:57], v[76:77], v[60:61], v[110:111] op_sel_hi:[1,0,1]
	v_pk_mul_f32 v[58:59], v[98:99], v[112:113] op_sel_hi:[1,0]
	v_pk_fma_f32 v[60:61], v[76:77], v[60:61], v[110:111] neg_lo:[0,0,1] neg_hi:[0,0,1]
	v_pk_mul_f32 v[114:115], v[80:81], v[64:65] op_sel:[1,1] op_sel_hi:[0,1]
	v_pk_mul_f32 v[98:99], v[100:101], v[116:117] op_sel_hi:[1,0]
	v_mov_b32_e32 v61, v57
	v_pk_add_f32 v[92:93], v[106:107], 0 op_sel_hi:[1,0]
	v_pk_fma_f32 v[56:57], v[78:79], v[62:63], v[58:59] op_sel_hi:[1,0,1]
	v_pk_fma_f32 v[58:59], v[78:79], v[62:63], v[58:59] neg_lo:[0,0,1] neg_hi:[0,0,1]
	s_wait_loadcnt 0x2
	v_pk_mul_f32 v[94:95], v[84:85], v[68:69] op_sel:[1,1] op_sel_hi:[0,1]
	v_pk_fma_f32 v[62:63], v[80:81], v[64:65], v[114:115] neg_lo:[0,0,1] neg_hi:[0,0,1]
	v_mov_b32_e32 v59, v57
	v_pk_add_f32 v[76:77], v[92:93], v[108:109]
	v_pk_fma_f32 v[92:93], v[80:81], v[64:65], v[114:115] op_sel_hi:[1,0,1]
	v_pk_fma_f32 v[64:65], v[82:83], v[66:67], v[98:99] op_sel_hi:[1,0,1]
	v_pk_fma_f32 v[66:67], v[82:83], v[66:67], v[98:99] neg_lo:[0,0,1] neg_hi:[0,0,1]
	s_delay_alu instid0(VALU_DEP_4) | instskip(NEXT) | instid1(VALU_DEP_4)
	v_pk_add_f32 v[56:57], v[76:77], v[60:61]
	v_dual_mov_b32 v60, v71 :: v_dual_mov_b32 v63, v93
	s_delay_alu instid0(VALU_DEP_2) | instskip(SKIP_1) | instid1(VALU_DEP_3)
	v_pk_add_f32 v[56:57], v[56:57], v[58:59]
	v_pk_fma_f32 v[58:59], v[84:85], v[68:69], v[94:95] op_sel_hi:[1,0,1]
	v_pk_mul_f32 v[60:61], v[102:103], v[60:61] op_sel_hi:[1,0]
	v_mov_b32_e32 v67, v65
	v_pk_fma_f32 v[64:65], v[84:85], v[68:69], v[94:95] neg_lo:[0,0,1] neg_hi:[0,0,1]
	v_pk_add_f32 v[56:57], v[56:57], v[62:63]
	v_mov_b32_e32 v65, v59
	v_pk_fma_f32 v[58:59], v[86:87], v[70:71], v[60:61] op_sel_hi:[1,0,1]
	s_wait_loadcnt 0x1
	v_pk_mul_f32 v[62:63], v[88:89], v[72:73] op_sel:[1,1] op_sel_hi:[0,1]
	v_mov_b32_e32 v58, v75
	v_pk_add_f32 v[56:57], v[56:57], v[66:67]
	v_pk_fma_f32 v[60:61], v[86:87], v[70:71], v[60:61] neg_lo:[0,0,1] neg_hi:[0,0,1]
	v_mov_b32_e32 v61, v59
	v_pk_fma_f32 v[66:67], v[88:89], v[72:73], v[62:63] op_sel_hi:[1,0,1]
	v_pk_mul_f32 v[58:59], v[104:105], v[58:59] op_sel_hi:[1,0]
	v_pk_add_f32 v[56:57], v[56:57], v[64:65]
	v_pk_fma_f32 v[62:63], v[88:89], v[72:73], v[62:63] neg_lo:[0,0,1] neg_hi:[0,0,1]
	s_delay_alu instid0(VALU_DEP_2) | instskip(NEXT) | instid1(VALU_DEP_4)
	v_pk_add_f32 v[56:57], v[56:57], v[60:61]
	v_pk_fma_f32 v[60:61], v[90:91], v[74:75], v[58:59] op_sel_hi:[1,0,1]
	v_mov_b32_e32 v63, v67
	v_pk_fma_f32 v[58:59], v[90:91], v[74:75], v[58:59] neg_lo:[0,0,1] neg_hi:[0,0,1]
	s_delay_alu instid0(VALU_DEP_3) | instskip(NEXT) | instid1(VALU_DEP_3)
	v_mov_b32_e32 v59, v61
	v_pk_add_f32 v[56:57], v[56:57], v[62:63]
	s_delay_alu instid0(VALU_DEP_1) | instskip(SKIP_1) | instid1(VALU_DEP_1)
	v_pk_add_f32 v[56:57], v[56:57], v[58:59]
	s_wait_loadcnt 0x0
	v_pk_add_f32 v[56:57], v[96:97], v[56:57] neg_lo:[0,1] neg_hi:[0,1]
	scratch_store_b64 off, v[56:57], off offset:128
	s_wait_xcnt 0x0
	v_cmpx_lt_u32_e32 15, v0
	s_cbranch_execz .LBB26_145
; %bb.144:
	scratch_load_b64 v[56:57], off, off offset:120
	v_mov_b64_e32 v[58:59], 0
	scratch_store_b64 off, v[58:59], off offset:120
	s_wait_loadcnt 0x0
	ds_store_b64 v1, v[56:57]
.LBB26_145:
	s_wait_xcnt 0x0
	s_or_b32 exec_lo, exec_lo, s0
	s_wait_storecnt_dscnt 0x0
	s_barrier_signal -1
	s_barrier_wait -1
	s_clause 0x6
	scratch_load_b128 v[56:59], off, off offset:128
	scratch_load_b128 v[60:63], off, off offset:144
	;; [unrolled: 1-line block ×5, first 2 shown]
	scratch_load_b64 v[96:97], off, off offset:208
	scratch_load_b64 v[98:99], off, off offset:120
	v_mov_b32_e32 v3, 0
	ds_load_b128 v[76:79], v3 offset:368
	ds_load_b128 v[80:83], v3 offset:384
	;; [unrolled: 1-line block ×5, first 2 shown]
	ds_load_b64 v[100:101], v3 offset:432
	s_mov_b32 s0, exec_lo
	s_wait_dscnt 0x5
	v_dual_mov_b32 v102, v79 :: v_dual_mov_b32 v103, v78
	s_wait_dscnt 0x2
	v_dual_mov_b32 v104, v83 :: v_dual_mov_b32 v109, v90
	v_dual_mov_b32 v105, v82 :: v_dual_mov_b32 v106, v87
	;; [unrolled: 1-line block ×3, first 2 shown]
	s_wait_loadcnt_dscnt 0x601
	v_dual_mul_f32 v7, v92, v57 :: v_dual_mul_f32 v11, v93, v57
	v_dual_mul_f32 v13, v95, v59 :: v_dual_mul_f32 v111, v94, v59
	s_wait_loadcnt 0x5
	v_dual_mul_f32 v113, v76, v61 :: v_dual_mul_f32 v15, v77, v61
	s_wait_loadcnt 0x4
	v_dual_mov_b32 v112, v63 :: v_dual_mov_b32 v116, v67
	v_fmac_f32_e32 v7, v93, v56
	v_dual_fma_f32 v11, v92, v56, -v11 :: v_dual_fma_f32 v110, v94, v58, -v13
	v_fmac_f32_e32 v111, v95, v58
	s_delay_alu instid0(VALU_DEP_4) | instskip(NEXT) | instid1(VALU_DEP_4)
	v_pk_mul_f32 v[56:57], v[102:103], v[112:113] op_sel_hi:[1,0]
	v_add_f32_e32 v59, 0, v7
	s_wait_loadcnt 0x3
	v_dual_add_f32 v58, 0, v11 :: v_dual_mov_b32 v92, v71
	v_pk_mul_f32 v[114:115], v[80:81], v[64:65] op_sel:[1,1] op_sel_hi:[0,1]
	v_dual_fmac_f32 v113, v77, v60 :: v_dual_fma_f32 v112, v76, v60, -v15
	v_pk_fma_f32 v[60:61], v[78:79], v[62:63], v[56:57] op_sel_hi:[1,0,1]
	s_delay_alu instid0(VALU_DEP_4)
	v_pk_add_f32 v[58:59], v[58:59], v[110:111]
	v_pk_fma_f32 v[56:57], v[78:79], v[62:63], v[56:57] neg_lo:[0,0,1] neg_hi:[0,0,1]
	v_pk_fma_f32 v[76:77], v[80:81], v[64:65], v[114:115] op_sel_hi:[1,0,1]
	v_pk_mul_f32 v[94:95], v[104:105], v[116:117] op_sel_hi:[1,0]
	v_mov_b32_e32 v57, v61
	v_pk_add_f32 v[58:59], v[58:59], v[112:113]
	v_pk_fma_f32 v[62:63], v[80:81], v[64:65], v[114:115] neg_lo:[0,0,1] neg_hi:[0,0,1]
	v_pk_mul_f32 v[118:119], v[84:85], v[68:69] op_sel:[1,1] op_sel_hi:[0,1]
	v_mov_b32_e32 v63, v77
	v_pk_fma_f32 v[64:65], v[82:83], v[66:67], v[94:95] op_sel_hi:[1,0,1]
	v_pk_add_f32 v[56:57], v[58:59], v[56:57]
	v_pk_fma_f32 v[66:67], v[82:83], v[66:67], v[94:95] neg_lo:[0,0,1] neg_hi:[0,0,1]
	v_pk_fma_f32 v[58:59], v[84:85], v[68:69], v[118:119] op_sel_hi:[1,0,1]
	v_pk_mul_f32 v[76:77], v[106:107], v[92:93] op_sel_hi:[1,0]
	s_wait_loadcnt 0x2
	v_dual_mov_b32 v67, v65 :: v_dual_mov_b32 v58, v75
	v_pk_add_f32 v[56:57], v[56:57], v[62:63]
	v_pk_fma_f32 v[62:63], v[84:85], v[68:69], v[118:119] neg_lo:[0,0,1] neg_hi:[0,0,1]
	v_pk_mul_f32 v[60:61], v[88:89], v[72:73] op_sel:[1,1] op_sel_hi:[0,1]
	v_pk_fma_f32 v[64:65], v[86:87], v[70:71], v[76:77] op_sel_hi:[1,0,1]
	v_mov_b32_e32 v63, v59
	v_pk_add_f32 v[56:57], v[56:57], v[66:67]
	v_pk_fma_f32 v[68:69], v[86:87], v[70:71], v[76:77] neg_lo:[0,0,1] neg_hi:[0,0,1]
	v_pk_fma_f32 v[66:67], v[88:89], v[72:73], v[60:61] op_sel_hi:[1,0,1]
	v_pk_mul_f32 v[58:59], v[108:109], v[58:59] op_sel_hi:[1,0]
	v_mov_b32_e32 v69, v65
	v_pk_add_f32 v[56:57], v[56:57], v[62:63]
	v_pk_fma_f32 v[60:61], v[88:89], v[72:73], v[60:61] neg_lo:[0,0,1] neg_hi:[0,0,1]
	s_wait_loadcnt_dscnt 0x100
	v_pk_mul_f32 v[64:65], v[100:101], v[96:97] op_sel:[1,1] op_sel_hi:[0,1]
	v_pk_fma_f32 v[62:63], v[90:91], v[74:75], v[58:59] op_sel_hi:[1,0,1]
	v_mov_b32_e32 v61, v67
	v_pk_add_f32 v[56:57], v[56:57], v[68:69]
	v_pk_fma_f32 v[58:59], v[90:91], v[74:75], v[58:59] neg_lo:[0,0,1] neg_hi:[0,0,1]
	s_delay_alu instid0(VALU_DEP_4) | instskip(SKIP_1) | instid1(VALU_DEP_4)
	v_mov_b32_e32 v59, v63
	v_pk_fma_f32 v[62:63], v[100:101], v[96:97], v[64:65] neg_lo:[0,0,1] neg_hi:[0,0,1]
	v_pk_add_f32 v[56:57], v[56:57], v[60:61]
	v_pk_fma_f32 v[60:61], v[100:101], v[96:97], v[64:65] op_sel_hi:[1,0,1]
	s_delay_alu instid0(VALU_DEP_2) | instskip(NEXT) | instid1(VALU_DEP_2)
	v_pk_add_f32 v[56:57], v[56:57], v[58:59]
	v_mov_b32_e32 v63, v61
	s_delay_alu instid0(VALU_DEP_1) | instskip(SKIP_1) | instid1(VALU_DEP_1)
	v_pk_add_f32 v[56:57], v[56:57], v[62:63]
	s_wait_loadcnt 0x0
	v_pk_add_f32 v[56:57], v[98:99], v[56:57] neg_lo:[0,1] neg_hi:[0,1]
	scratch_store_b64 off, v[56:57], off offset:120
	s_wait_xcnt 0x0
	v_cmpx_lt_u32_e32 14, v0
	s_cbranch_execz .LBB26_147
; %bb.146:
	scratch_load_b64 v[56:57], off, off offset:112
	v_mov_b64_e32 v[58:59], 0
	scratch_store_b64 off, v[58:59], off offset:112
	s_wait_loadcnt 0x0
	ds_store_b64 v1, v[56:57]
.LBB26_147:
	s_wait_xcnt 0x0
	s_or_b32 exec_lo, exec_lo, s0
	s_wait_storecnt_dscnt 0x0
	s_barrier_signal -1
	s_barrier_wait -1
	s_clause 0x6
	scratch_load_b128 v[56:59], off, off offset:120
	scratch_load_b128 v[60:63], off, off offset:136
	;; [unrolled: 1-line block ×6, first 2 shown]
	scratch_load_b64 v[104:105], off, off offset:112
	ds_load_2addr_b64 v[80:83], v3 offset0:47 offset1:48
	ds_load_2addr_b64 v[84:87], v3 offset0:49 offset1:50
	;; [unrolled: 1-line block ×6, first 2 shown]
	s_mov_b32 s0, exec_lo
	s_wait_dscnt 0x5
	v_dual_mov_b32 v106, v83 :: v_dual_mov_b32 v107, v82
	s_wait_dscnt 0x4
	v_dual_mov_b32 v108, v87 :: v_dual_mov_b32 v109, v86
	;; [unrolled: 2-line block ×4, first 2 shown]
	s_wait_loadcnt_dscnt 0x601
	v_dual_mul_f32 v3, v96, v57 :: v_dual_mul_f32 v7, v98, v59
	v_dual_mul_f32 v11, v97, v57 :: v_dual_mul_f32 v13, v99, v59
	s_wait_loadcnt 0x4
	s_delay_alu instid0(VALU_DEP_2)
	v_dual_mov_b32 v120, v67 :: v_dual_fmac_f32 v3, v97, v56
	s_wait_dscnt 0x0
	v_dual_mul_f32 v115, v100, v61 :: v_dual_mul_f32 v117, v102, v63
	v_dual_fma_f32 v11, v96, v56, -v11 :: v_dual_fma_f32 v13, v98, v58, -v13
	v_dual_mul_f32 v15, v101, v61 :: v_dual_mul_f32 v17, v103, v63
	v_dual_fmac_f32 v7, v99, v58 :: v_dual_add_f32 v3, 0, v3
	s_wait_loadcnt 0x3
	s_delay_alu instid0(VALU_DEP_3) | instskip(SKIP_3) | instid1(VALU_DEP_4)
	v_dual_add_f32 v11, 0, v11 :: v_dual_mov_b32 v58, v71
	v_pk_mul_f32 v[118:119], v[80:81], v[64:65] op_sel:[1,1] op_sel_hi:[0,1]
	v_pk_mul_f32 v[56:57], v[84:85], v[68:69] op_sel:[1,1] op_sel_hi:[0,1]
	v_dual_fmac_f32 v115, v101, v60 :: v_dual_add_f32 v61, v3, v7
	v_dual_fma_f32 v114, v100, v60, -v15 :: v_dual_add_f32 v60, v11, v13
	v_fmac_f32_e32 v117, v103, v62
	v_fma_f32 v116, v102, v62, -v17
	v_pk_fma_f32 v[62:63], v[80:81], v[64:65], v[118:119] op_sel_hi:[1,0,1]
	v_pk_mul_f32 v[96:97], v[106:107], v[120:121] op_sel_hi:[1,0]
	v_pk_add_f32 v[60:61], v[60:61], v[114:115]
	v_pk_fma_f32 v[64:65], v[80:81], v[64:65], v[118:119] neg_lo:[0,0,1] neg_hi:[0,0,1]
	v_pk_fma_f32 v[80:81], v[84:85], v[68:69], v[56:57] op_sel_hi:[1,0,1]
	v_pk_fma_f32 v[56:57], v[84:85], v[68:69], v[56:57] neg_lo:[0,0,1] neg_hi:[0,0,1]
	v_mov_b32_e32 v65, v63
	v_pk_fma_f32 v[62:63], v[82:83], v[66:67], v[96:97] op_sel_hi:[1,0,1]
	v_pk_fma_f32 v[66:67], v[82:83], v[66:67], v[96:97] neg_lo:[0,0,1] neg_hi:[0,0,1]
	v_mov_b32_e32 v57, v81
	v_pk_add_f32 v[60:61], v[60:61], v[116:117]
	v_pk_mul_f32 v[58:59], v[108:109], v[58:59] op_sel_hi:[1,0]
	s_wait_loadcnt 0x2
	v_dual_mov_b32 v67, v63 :: v_dual_mov_b32 v62, v75
	v_pk_mul_f32 v[98:99], v[88:89], v[72:73] op_sel:[1,1] op_sel_hi:[0,1]
	v_pk_add_f32 v[60:61], v[60:61], v[64:65]
	v_pk_fma_f32 v[64:65], v[86:87], v[70:71], v[58:59] op_sel_hi:[1,0,1]
	v_pk_fma_f32 v[58:59], v[86:87], v[70:71], v[58:59] neg_lo:[0,0,1] neg_hi:[0,0,1]
	v_pk_mul_f32 v[62:63], v[110:111], v[62:63] op_sel_hi:[1,0]
	s_delay_alu instid0(VALU_DEP_4) | instskip(SKIP_3) | instid1(VALU_DEP_4)
	v_pk_add_f32 v[60:61], v[60:61], v[66:67]
	v_pk_fma_f32 v[66:67], v[88:89], v[72:73], v[98:99] op_sel_hi:[1,0,1]
	v_mov_b32_e32 v59, v65
	v_pk_fma_f32 v[64:65], v[88:89], v[72:73], v[98:99] neg_lo:[0,0,1] neg_hi:[0,0,1]
	v_pk_add_f32 v[56:57], v[60:61], v[56:57]
	s_wait_loadcnt 0x1
	v_pk_mul_f32 v[60:61], v[92:93], v[76:77] op_sel:[1,1] op_sel_hi:[0,1]
	v_mov_b32_e32 v65, v67
	v_pk_fma_f32 v[66:67], v[90:91], v[74:75], v[62:63] op_sel_hi:[1,0,1]
	v_pk_fma_f32 v[62:63], v[90:91], v[74:75], v[62:63] neg_lo:[0,0,1] neg_hi:[0,0,1]
	v_pk_add_f32 v[56:57], v[56:57], v[58:59]
	v_mov_b32_e32 v58, v79
	v_pk_fma_f32 v[68:69], v[92:93], v[76:77], v[60:61] op_sel_hi:[1,0,1]
	v_mov_b32_e32 v63, v67
	v_pk_fma_f32 v[60:61], v[92:93], v[76:77], v[60:61] neg_lo:[0,0,1] neg_hi:[0,0,1]
	v_pk_add_f32 v[56:57], v[56:57], v[64:65]
	v_pk_mul_f32 v[58:59], v[112:113], v[58:59] op_sel_hi:[1,0]
	s_delay_alu instid0(VALU_DEP_2) | instskip(NEXT) | instid1(VALU_DEP_2)
	v_pk_add_f32 v[56:57], v[56:57], v[62:63]
	v_pk_fma_f32 v[62:63], v[94:95], v[78:79], v[58:59] op_sel_hi:[1,0,1]
	v_mov_b32_e32 v61, v69
	v_pk_fma_f32 v[58:59], v[94:95], v[78:79], v[58:59] neg_lo:[0,0,1] neg_hi:[0,0,1]
	s_delay_alu instid0(VALU_DEP_3) | instskip(NEXT) | instid1(VALU_DEP_3)
	v_mov_b32_e32 v59, v63
	v_pk_add_f32 v[56:57], v[56:57], v[60:61]
	s_delay_alu instid0(VALU_DEP_1) | instskip(SKIP_1) | instid1(VALU_DEP_1)
	v_pk_add_f32 v[56:57], v[56:57], v[58:59]
	s_wait_loadcnt 0x0
	v_pk_add_f32 v[56:57], v[104:105], v[56:57] neg_lo:[0,1] neg_hi:[0,1]
	scratch_store_b64 off, v[56:57], off offset:112
	s_wait_xcnt 0x0
	v_cmpx_lt_u32_e32 13, v0
	s_cbranch_execz .LBB26_149
; %bb.148:
	scratch_load_b64 v[56:57], off, off offset:104
	v_mov_b64_e32 v[58:59], 0
	scratch_store_b64 off, v[58:59], off offset:104
	s_wait_loadcnt 0x0
	ds_store_b64 v1, v[56:57]
.LBB26_149:
	s_wait_xcnt 0x0
	s_or_b32 exec_lo, exec_lo, s0
	s_wait_storecnt_dscnt 0x0
	s_barrier_signal -1
	s_barrier_wait -1
	s_clause 0x7
	scratch_load_b128 v[56:59], off, off offset:112
	scratch_load_b128 v[60:63], off, off offset:128
	;; [unrolled: 1-line block ×6, first 2 shown]
	scratch_load_b64 v[104:105], off, off offset:208
	scratch_load_b64 v[106:107], off, off offset:104
	v_mov_b32_e32 v3, 0
	ds_load_b128 v[80:83], v3 offset:368
	ds_load_b128 v[84:87], v3 offset:384
	;; [unrolled: 1-line block ×6, first 2 shown]
	ds_load_b64 v[108:109], v3 offset:432
	s_mov_b32 s0, exec_lo
	s_wait_dscnt 0x6
	v_dual_mov_b32 v110, v83 :: v_dual_mov_b32 v111, v82
	s_wait_dscnt 0x3
	v_dual_mov_b32 v112, v87 :: v_dual_mov_b32 v117, v94
	v_dual_mov_b32 v113, v86 :: v_dual_mov_b32 v114, v91
	;; [unrolled: 1-line block ×3, first 2 shown]
	s_wait_loadcnt_dscnt 0x702
	v_dual_mul_f32 v7, v96, v57 :: v_dual_mul_f32 v15, v97, v57
	v_dual_mul_f32 v17, v99, v59 :: v_dual_mul_f32 v11, v98, v59
	s_wait_loadcnt_dscnt 0x601
	s_delay_alu instid0(VALU_DEP_2) | instskip(NEXT) | instid1(VALU_DEP_2)
	v_dual_mul_f32 v13, v100, v61 :: v_dual_fmac_f32 v7, v97, v56
	v_dual_fma_f32 v15, v96, v56, -v15 :: v_dual_fma_f32 v17, v98, v58, -v17
	s_wait_loadcnt 0x5
	v_dual_mul_f32 v119, v102, v63 :: v_dual_mul_f32 v121, v80, v65
	v_dual_mul_f32 v19, v101, v61 :: v_dual_mul_f32 v21, v103, v63
	v_dual_mul_f32 v23, v81, v65 :: v_dual_mov_b32 v120, v67
	s_wait_loadcnt 0x4
	v_mov_b32_e32 v56, v71
	v_dual_fmac_f32 v11, v99, v58 :: v_dual_add_f32 v7, 0, v7
	v_dual_add_f32 v15, 0, v15 :: v_dual_fmac_f32 v13, v101, v60
	v_fma_f32 v19, v100, v60, -v19
	v_pk_mul_f32 v[60:61], v[110:111], v[120:121] op_sel_hi:[1,0]
	s_delay_alu instid0(VALU_DEP_4) | instskip(NEXT) | instid1(VALU_DEP_4)
	v_add_f32_e32 v7, v7, v11
	v_dual_add_f32 v11, v15, v17 :: v_dual_fma_f32 v118, v102, v62, -v21
	v_dual_fmac_f32 v119, v103, v62 :: v_dual_fmac_f32 v121, v81, v64
	s_delay_alu instid0(VALU_DEP_3) | instskip(SKIP_1) | instid1(VALU_DEP_4)
	v_dual_add_f32 v63, v7, v13 :: v_dual_fma_f32 v120, v80, v64, -v23
	v_pk_fma_f32 v[64:65], v[82:83], v[66:67], v[60:61] op_sel_hi:[1,0,1]
	v_add_f32_e32 v62, v11, v19
	v_pk_fma_f32 v[60:61], v[82:83], v[66:67], v[60:61] neg_lo:[0,0,1] neg_hi:[0,0,1]
	v_pk_mul_f32 v[122:123], v[84:85], v[68:69] op_sel:[1,1] op_sel_hi:[0,1]
	v_pk_mul_f32 v[56:57], v[112:113], v[56:57] op_sel_hi:[1,0]
	v_mov_b32_e32 v61, v65
	v_pk_add_f32 v[62:63], v[62:63], v[118:119]
	s_wait_loadcnt 0x3
	v_pk_mul_f32 v[58:59], v[88:89], v[72:73] op_sel:[1,1] op_sel_hi:[0,1]
	v_pk_fma_f32 v[80:81], v[84:85], v[68:69], v[122:123] op_sel_hi:[1,0,1]
	v_pk_fma_f32 v[66:67], v[84:85], v[68:69], v[122:123] neg_lo:[0,0,1] neg_hi:[0,0,1]
	v_mov_b32_e32 v96, v75
	v_pk_add_f32 v[62:63], v[62:63], v[120:121]
	v_pk_fma_f32 v[68:69], v[86:87], v[70:71], v[56:57] op_sel_hi:[1,0,1]
	v_mov_b32_e32 v67, v81
	v_pk_fma_f32 v[56:57], v[86:87], v[70:71], v[56:57] neg_lo:[0,0,1] neg_hi:[0,0,1]
	v_pk_mul_f32 v[80:81], v[114:115], v[96:97] op_sel_hi:[1,0]
	v_pk_add_f32 v[60:61], v[62:63], v[60:61]
	v_pk_fma_f32 v[62:63], v[88:89], v[72:73], v[58:59] op_sel_hi:[1,0,1]
	s_wait_loadcnt 0x2
	v_dual_mov_b32 v57, v69 :: v_dual_mov_b32 v62, v79
	v_pk_fma_f32 v[58:59], v[88:89], v[72:73], v[58:59] neg_lo:[0,0,1] neg_hi:[0,0,1]
	v_pk_add_f32 v[60:61], v[60:61], v[66:67]
	v_pk_mul_f32 v[64:65], v[92:93], v[76:77] op_sel:[1,1] op_sel_hi:[0,1]
	v_pk_fma_f32 v[66:67], v[90:91], v[74:75], v[80:81] op_sel_hi:[1,0,1]
	v_mov_b32_e32 v59, v63
	v_pk_fma_f32 v[68:69], v[90:91], v[74:75], v[80:81] neg_lo:[0,0,1] neg_hi:[0,0,1]
	v_pk_add_f32 v[56:57], v[60:61], v[56:57]
	v_pk_fma_f32 v[60:61], v[92:93], v[76:77], v[64:65] op_sel_hi:[1,0,1]
	v_pk_mul_f32 v[62:63], v[116:117], v[62:63] op_sel_hi:[1,0]
	v_mov_b32_e32 v69, v67
	s_delay_alu instid0(VALU_DEP_4)
	v_pk_add_f32 v[56:57], v[56:57], v[58:59]
	v_pk_fma_f32 v[58:59], v[92:93], v[76:77], v[64:65] neg_lo:[0,0,1] neg_hi:[0,0,1]
	v_mov_b32_e32 v59, v61
	v_pk_fma_f32 v[60:61], v[94:95], v[78:79], v[62:63] op_sel_hi:[1,0,1]
	s_wait_loadcnt_dscnt 0x100
	v_pk_mul_f32 v[64:65], v[108:109], v[104:105] op_sel:[1,1] op_sel_hi:[0,1]
	v_pk_add_f32 v[56:57], v[56:57], v[68:69]
	v_pk_fma_f32 v[62:63], v[94:95], v[78:79], v[62:63] neg_lo:[0,0,1] neg_hi:[0,0,1]
	v_mov_b32_e32 v63, v61
	s_delay_alu instid0(VALU_DEP_4) | instskip(NEXT) | instid1(VALU_DEP_4)
	v_pk_fma_f32 v[60:61], v[108:109], v[104:105], v[64:65] neg_lo:[0,0,1] neg_hi:[0,0,1]
	v_pk_add_f32 v[56:57], v[56:57], v[58:59]
	v_pk_fma_f32 v[58:59], v[108:109], v[104:105], v[64:65] op_sel_hi:[1,0,1]
	s_delay_alu instid0(VALU_DEP_2) | instskip(NEXT) | instid1(VALU_DEP_2)
	v_pk_add_f32 v[56:57], v[56:57], v[62:63]
	v_mov_b32_e32 v61, v59
	s_delay_alu instid0(VALU_DEP_1) | instskip(SKIP_1) | instid1(VALU_DEP_1)
	v_pk_add_f32 v[56:57], v[56:57], v[60:61]
	s_wait_loadcnt 0x0
	v_pk_add_f32 v[56:57], v[106:107], v[56:57] neg_lo:[0,1] neg_hi:[0,1]
	scratch_store_b64 off, v[56:57], off offset:104
	s_wait_xcnt 0x0
	v_cmpx_lt_u32_e32 12, v0
	s_cbranch_execz .LBB26_151
; %bb.150:
	scratch_load_b64 v[56:57], off, off offset:96
	v_mov_b64_e32 v[58:59], 0
	scratch_store_b64 off, v[58:59], off offset:96
	s_wait_loadcnt 0x0
	ds_store_b64 v1, v[56:57]
.LBB26_151:
	s_wait_xcnt 0x0
	s_or_b32 exec_lo, exec_lo, s0
	s_wait_storecnt_dscnt 0x0
	s_barrier_signal -1
	s_barrier_wait -1
	s_clause 0x7
	scratch_load_b128 v[56:59], off, off offset:104
	scratch_load_b128 v[60:63], off, off offset:120
	;; [unrolled: 1-line block ×7, first 2 shown]
	scratch_load_b64 v[112:113], off, off offset:96
	ds_load_2addr_b64 v[84:87], v3 offset0:47 offset1:48
	ds_load_2addr_b64 v[88:91], v3 offset0:49 offset1:50
	;; [unrolled: 1-line block ×7, first 2 shown]
	s_mov_b32 s0, exec_lo
	s_wait_dscnt 0x6
	v_dual_mov_b32 v114, v87 :: v_dual_mov_b32 v115, v86
	s_wait_dscnt 0x5
	v_dual_mov_b32 v116, v91 :: v_dual_mov_b32 v117, v90
	;; [unrolled: 2-line block ×4, first 2 shown]
	s_wait_loadcnt_dscnt 0x702
	v_dual_mul_f32 v3, v100, v57 :: v_dual_mul_f32 v7, v102, v59
	v_dual_mul_f32 v15, v101, v57 :: v_dual_mul_f32 v17, v103, v59
	s_wait_loadcnt_dscnt 0x601
	v_dual_mul_f32 v11, v104, v61 :: v_dual_mul_f32 v13, v106, v63
	s_delay_alu instid0(VALU_DEP_3) | instskip(SKIP_2) | instid1(VALU_DEP_3)
	v_fmac_f32_e32 v3, v101, v56
	v_dual_mul_f32 v19, v105, v61 :: v_dual_mul_f32 v21, v107, v63
	v_dual_fma_f32 v17, v102, v58, -v17 :: v_dual_fma_f32 v15, v100, v56, -v15
	v_dual_add_f32 v3, 0, v3 :: v_dual_fmac_f32 v7, v103, v58
	s_wait_loadcnt 0x4
	v_dual_mov_b32 v58, v71 :: v_dual_fmac_f32 v11, v105, v60
	s_delay_alu instid0(VALU_DEP_3) | instskip(SKIP_2) | instid1(VALU_DEP_2)
	v_dual_add_f32 v15, 0, v15 :: v_dual_fma_f32 v19, v104, v60, -v19
	s_wait_dscnt 0x0
	v_dual_add_f32 v3, v3, v7 :: v_dual_mul_f32 v123, v108, v65
	v_dual_mul_f32 v125, v110, v67 :: v_dual_add_f32 v7, v15, v17
	v_dual_fma_f32 v15, v106, v62, -v21 :: v_dual_mul_f32 v23, v109, v65
	v_mul_f32_e32 v25, v111, v67
	v_pk_mul_f32 v[56:57], v[84:85], v[68:69] op_sel:[1,1] op_sel_hi:[0,1]
	s_wait_loadcnt 0x3
	v_pk_mul_f32 v[60:61], v[88:89], v[72:73] op_sel:[1,1] op_sel_hi:[0,1]
	v_dual_fmac_f32 v13, v107, v62 :: v_dual_fmac_f32 v123, v109, v64
	v_dual_add_f32 v3, v3, v11 :: v_dual_fma_f32 v122, v108, v64, -v23
	v_dual_add_f32 v7, v7, v19 :: v_dual_fma_f32 v124, v110, v66, -v25
	v_fmac_f32_e32 v125, v111, v66
	v_pk_fma_f32 v[66:67], v[84:85], v[68:69], v[56:57] op_sel_hi:[1,0,1]
	v_pk_fma_f32 v[56:57], v[84:85], v[68:69], v[56:57] neg_lo:[0,0,1] neg_hi:[0,0,1]
	s_delay_alu instid0(VALU_DEP_4)
	v_add_f32_e32 v64, v7, v15
	v_pk_fma_f32 v[68:69], v[88:89], v[72:73], v[60:61] op_sel_hi:[1,0,1]
	v_add_f32_e32 v65, v3, v13
	v_pk_fma_f32 v[60:61], v[88:89], v[72:73], v[60:61] neg_lo:[0,0,1] neg_hi:[0,0,1]
	v_pk_mul_f32 v[58:59], v[114:115], v[58:59] op_sel_hi:[1,0]
	v_dual_mov_b32 v62, v75 :: v_dual_mov_b32 v57, v67
	v_mov_b32_e32 v61, v69
	v_pk_add_f32 v[64:65], v[64:65], v[122:123]
	s_delay_alu instid0(VALU_DEP_4)
	v_pk_fma_f32 v[66:67], v[86:87], v[70:71], v[58:59] op_sel_hi:[1,0,1]
	v_pk_fma_f32 v[58:59], v[86:87], v[70:71], v[58:59] neg_lo:[0,0,1] neg_hi:[0,0,1]
	v_pk_mul_f32 v[62:63], v[116:117], v[62:63] op_sel_hi:[1,0]
	s_wait_loadcnt 0x2
	v_pk_mul_f32 v[100:101], v[92:93], v[76:77] op_sel:[1,1] op_sel_hi:[0,1]
	v_pk_add_f32 v[64:65], v[64:65], v[124:125]
	v_mov_b32_e32 v59, v67
	v_pk_fma_f32 v[66:67], v[90:91], v[74:75], v[62:63] op_sel_hi:[1,0,1]
	v_pk_fma_f32 v[62:63], v[90:91], v[74:75], v[62:63] neg_lo:[0,0,1] neg_hi:[0,0,1]
	s_delay_alu instid0(VALU_DEP_4) | instskip(SKIP_1) | instid1(VALU_DEP_2)
	v_pk_add_f32 v[56:57], v[64:65], v[56:57]
	v_mov_b32_e32 v64, v79
	v_pk_add_f32 v[56:57], v[56:57], v[58:59]
	v_pk_fma_f32 v[58:59], v[92:93], v[76:77], v[100:101] op_sel_hi:[1,0,1]
	s_delay_alu instid0(VALU_DEP_3)
	v_pk_mul_f32 v[64:65], v[118:119], v[64:65] op_sel_hi:[1,0]
	v_mov_b32_e32 v63, v67
	v_pk_fma_f32 v[66:67], v[92:93], v[76:77], v[100:101] neg_lo:[0,0,1] neg_hi:[0,0,1]
	v_pk_add_f32 v[56:57], v[56:57], v[60:61]
	v_mov_b32_e32 v67, v59
	v_pk_fma_f32 v[58:59], v[94:95], v[78:79], v[64:65] op_sel_hi:[1,0,1]
	s_wait_loadcnt 0x1
	v_pk_mul_f32 v[60:61], v[96:97], v[80:81] op_sel:[1,1] op_sel_hi:[0,1]
	v_mov_b32_e32 v58, v83
	v_pk_add_f32 v[56:57], v[56:57], v[62:63]
	v_pk_fma_f32 v[64:65], v[94:95], v[78:79], v[64:65] neg_lo:[0,0,1] neg_hi:[0,0,1]
	v_mov_b32_e32 v65, v59
	v_pk_fma_f32 v[62:63], v[96:97], v[80:81], v[60:61] op_sel_hi:[1,0,1]
	v_pk_mul_f32 v[58:59], v[120:121], v[58:59] op_sel_hi:[1,0]
	v_pk_add_f32 v[56:57], v[56:57], v[66:67]
	v_pk_fma_f32 v[60:61], v[96:97], v[80:81], v[60:61] neg_lo:[0,0,1] neg_hi:[0,0,1]
	s_delay_alu instid0(VALU_DEP_4) | instskip(NEXT) | instid1(VALU_DEP_4)
	v_mov_b32_e32 v61, v63
	v_pk_fma_f32 v[62:63], v[98:99], v[82:83], v[58:59] op_sel_hi:[1,0,1]
	s_delay_alu instid0(VALU_DEP_4) | instskip(SKIP_1) | instid1(VALU_DEP_3)
	v_pk_add_f32 v[56:57], v[56:57], v[64:65]
	v_pk_fma_f32 v[58:59], v[98:99], v[82:83], v[58:59] neg_lo:[0,0,1] neg_hi:[0,0,1]
	v_mov_b32_e32 v59, v63
	s_delay_alu instid0(VALU_DEP_3) | instskip(NEXT) | instid1(VALU_DEP_1)
	v_pk_add_f32 v[56:57], v[56:57], v[60:61]
	v_pk_add_f32 v[56:57], v[56:57], v[58:59]
	s_wait_loadcnt 0x0
	s_delay_alu instid0(VALU_DEP_1)
	v_pk_add_f32 v[56:57], v[112:113], v[56:57] neg_lo:[0,1] neg_hi:[0,1]
	scratch_store_b64 off, v[56:57], off offset:96
	s_wait_xcnt 0x0
	v_cmpx_lt_u32_e32 11, v0
	s_cbranch_execz .LBB26_153
; %bb.152:
	scratch_load_b64 v[56:57], off, off offset:88
	v_mov_b64_e32 v[58:59], 0
	scratch_store_b64 off, v[58:59], off offset:88
	s_wait_loadcnt 0x0
	ds_store_b64 v1, v[56:57]
.LBB26_153:
	s_wait_xcnt 0x0
	s_or_b32 exec_lo, exec_lo, s0
	s_wait_storecnt_dscnt 0x0
	s_barrier_signal -1
	s_barrier_wait -1
	s_clause 0x8
	scratch_load_b128 v[56:59], off, off offset:96
	scratch_load_b128 v[60:63], off, off offset:112
	;; [unrolled: 1-line block ×7, first 2 shown]
	scratch_load_b64 v[112:113], off, off offset:208
	scratch_load_b64 v[114:115], off, off offset:88
	v_mov_b32_e32 v3, 0
	ds_load_b128 v[84:87], v3 offset:368
	ds_load_b128 v[88:91], v3 offset:384
	;; [unrolled: 1-line block ×7, first 2 shown]
	ds_load_b64 v[116:117], v3 offset:432
	s_mov_b32 s0, exec_lo
	s_wait_dscnt 0x7
	v_dual_mov_b32 v118, v87 :: v_dual_mov_b32 v119, v86
	s_wait_dscnt 0x4
	v_dual_mov_b32 v120, v91 :: v_dual_mov_b32 v125, v98
	v_dual_mov_b32 v121, v90 :: v_dual_mov_b32 v122, v95
	;; [unrolled: 1-line block ×3, first 2 shown]
	s_wait_loadcnt_dscnt 0x803
	v_dual_mul_f32 v7, v100, v57 :: v_dual_mul_f32 v19, v101, v57
	v_dual_mul_f32 v21, v103, v59 :: v_dual_mul_f32 v11, v102, v59
	s_wait_loadcnt_dscnt 0x702
	v_mul_f32_e32 v13, v104, v61
	s_wait_loadcnt 0x5
	v_dual_mul_f32 v31, v85, v69 :: v_dual_fma_f32 v19, v100, v56, -v19
	v_dual_fmac_f32 v7, v101, v56 :: v_dual_mov_b32 v56, v71
	v_dual_mul_f32 v23, v105, v61 :: v_dual_mul_f32 v25, v107, v63
	v_dual_fmac_f32 v11, v103, v58 :: v_dual_fma_f32 v21, v102, v58, -v21
	s_delay_alu instid0(VALU_DEP_3) | instskip(NEXT) | instid1(VALU_DEP_3)
	v_dual_add_f32 v7, 0, v7 :: v_dual_fmac_f32 v13, v105, v60
	v_dual_add_f32 v19, 0, v19 :: v_dual_fma_f32 v23, v104, v60, -v23
	s_wait_dscnt 0x1
	v_dual_mul_f32 v15, v106, v63 :: v_dual_mul_f32 v17, v108, v65
	s_delay_alu instid0(VALU_DEP_3) | instskip(NEXT) | instid1(VALU_DEP_3)
	v_add_f32_e32 v7, v7, v11
	v_dual_add_f32 v11, v19, v21 :: v_dual_mul_f32 v127, v110, v67
	v_mul_f32_e32 v129, v84, v69
	v_dual_mul_f32 v27, v109, v65 :: v_dual_mul_f32 v29, v111, v67
	s_wait_loadcnt 0x4
	v_pk_mul_f32 v[58:59], v[88:89], v[72:73] op_sel:[1,1] op_sel_hi:[0,1]
	s_delay_alu instid0(VALU_DEP_3)
	v_dual_fmac_f32 v15, v107, v62 :: v_dual_fmac_f32 v129, v85, v68
	v_dual_fma_f32 v19, v106, v62, -v25 :: v_dual_add_f32 v7, v7, v13
	v_fma_f32 v126, v110, v66, -v29
	v_dual_fmac_f32 v17, v109, v64 :: v_dual_add_f32 v11, v11, v23
	v_fma_f32 v128, v84, v68, -v31
	v_pk_mul_f32 v[56:57], v[118:119], v[56:57] op_sel_hi:[1,0]
	v_dual_mov_b32 v60, v75 :: v_dual_fma_f32 v13, v108, v64, -v27
	v_pk_fma_f32 v[84:85], v[88:89], v[72:73], v[58:59] op_sel_hi:[1,0,1]
	v_add_f32_e32 v11, v11, v19
	s_delay_alu instid0(VALU_DEP_4) | instskip(SKIP_3) | instid1(VALU_DEP_4)
	v_pk_fma_f32 v[68:69], v[86:87], v[70:71], v[56:57] op_sel_hi:[1,0,1]
	v_add_f32_e32 v7, v7, v15
	v_pk_fma_f32 v[56:57], v[86:87], v[70:71], v[56:57] neg_lo:[0,0,1] neg_hi:[0,0,1]
	v_pk_fma_f32 v[58:59], v[88:89], v[72:73], v[58:59] neg_lo:[0,0,1] neg_hi:[0,0,1]
	v_dual_fmac_f32 v127, v111, v66 :: v_dual_mov_b32 v57, v69
	s_delay_alu instid0(VALU_DEP_4)
	v_dual_add_f32 v65, v7, v17 :: v_dual_mov_b32 v59, v85
	v_add_f32_e32 v64, v11, v13
	v_pk_mul_f32 v[60:61], v[120:121], v[60:61] op_sel_hi:[1,0]
	s_wait_loadcnt 0x3
	v_pk_mul_f32 v[62:63], v[92:93], v[76:77] op_sel:[1,1] op_sel_hi:[0,1]
	s_wait_loadcnt 0x2
	v_pk_mul_f32 v[68:69], v[96:97], v[80:81] op_sel:[1,1] op_sel_hi:[0,1]
	v_pk_add_f32 v[64:65], v[64:65], v[126:127]
	v_pk_fma_f32 v[70:71], v[90:91], v[74:75], v[60:61] op_sel_hi:[1,0,1]
	v_mov_b32_e32 v66, v79
	v_pk_fma_f32 v[60:61], v[90:91], v[74:75], v[60:61] neg_lo:[0,0,1] neg_hi:[0,0,1]
	s_delay_alu instid0(VALU_DEP_4) | instskip(NEXT) | instid1(VALU_DEP_4)
	v_pk_add_f32 v[64:65], v[64:65], v[128:129]
	v_mov_b32_e32 v61, v71
	s_delay_alu instid0(VALU_DEP_4) | instskip(NEXT) | instid1(VALU_DEP_3)
	v_pk_mul_f32 v[66:67], v[122:123], v[66:67] op_sel_hi:[1,0]
	v_pk_add_f32 v[56:57], v[64:65], v[56:57]
	v_pk_fma_f32 v[64:65], v[92:93], v[76:77], v[62:63] op_sel_hi:[1,0,1]
	v_pk_fma_f32 v[62:63], v[92:93], v[76:77], v[62:63] neg_lo:[0,0,1] neg_hi:[0,0,1]
	s_delay_alu instid0(VALU_DEP_3) | instskip(NEXT) | instid1(VALU_DEP_3)
	v_pk_add_f32 v[56:57], v[56:57], v[58:59]
	v_dual_mov_b32 v58, v83 :: v_dual_mov_b32 v63, v65
	v_pk_fma_f32 v[64:65], v[94:95], v[78:79], v[66:67] op_sel_hi:[1,0,1]
	v_pk_fma_f32 v[66:67], v[94:95], v[78:79], v[66:67] neg_lo:[0,0,1] neg_hi:[0,0,1]
	s_delay_alu instid0(VALU_DEP_4)
	v_pk_add_f32 v[56:57], v[56:57], v[60:61]
	v_pk_fma_f32 v[60:61], v[96:97], v[80:81], v[68:69] op_sel_hi:[1,0,1]
	v_pk_mul_f32 v[58:59], v[124:125], v[58:59] op_sel_hi:[1,0]
	v_mov_b32_e32 v67, v65
	s_wait_loadcnt_dscnt 0x100
	v_pk_mul_f32 v[64:65], v[116:117], v[112:113] op_sel:[1,1] op_sel_hi:[0,1]
	v_pk_add_f32 v[56:57], v[56:57], v[62:63]
	v_pk_fma_f32 v[62:63], v[96:97], v[80:81], v[68:69] neg_lo:[0,0,1] neg_hi:[0,0,1]
	v_mov_b32_e32 v63, v61
	v_pk_fma_f32 v[60:61], v[98:99], v[82:83], v[58:59] op_sel_hi:[1,0,1]
	v_pk_fma_f32 v[58:59], v[98:99], v[82:83], v[58:59] neg_lo:[0,0,1] neg_hi:[0,0,1]
	v_pk_add_f32 v[56:57], v[56:57], v[66:67]
	s_delay_alu instid0(VALU_DEP_3) | instskip(SKIP_1) | instid1(VALU_DEP_3)
	v_mov_b32_e32 v59, v61
	v_pk_fma_f32 v[60:61], v[116:117], v[112:113], v[64:65] op_sel_hi:[1,0,1]
	v_pk_add_f32 v[56:57], v[56:57], v[62:63]
	v_pk_fma_f32 v[62:63], v[116:117], v[112:113], v[64:65] neg_lo:[0,0,1] neg_hi:[0,0,1]
	s_delay_alu instid0(VALU_DEP_3) | instskip(NEXT) | instid1(VALU_DEP_3)
	v_mov_b32_e32 v63, v61
	v_pk_add_f32 v[56:57], v[56:57], v[58:59]
	s_delay_alu instid0(VALU_DEP_1) | instskip(SKIP_1) | instid1(VALU_DEP_1)
	v_pk_add_f32 v[56:57], v[56:57], v[62:63]
	s_wait_loadcnt 0x0
	v_pk_add_f32 v[56:57], v[114:115], v[56:57] neg_lo:[0,1] neg_hi:[0,1]
	scratch_store_b64 off, v[56:57], off offset:88
	s_wait_xcnt 0x0
	v_cmpx_lt_u32_e32 10, v0
	s_cbranch_execz .LBB26_155
; %bb.154:
	scratch_load_b64 v[56:57], off, off offset:80
	v_mov_b64_e32 v[58:59], 0
	scratch_store_b64 off, v[58:59], off offset:80
	s_wait_loadcnt 0x0
	ds_store_b64 v1, v[56:57]
.LBB26_155:
	s_wait_xcnt 0x0
	s_or_b32 exec_lo, exec_lo, s0
	s_wait_storecnt_dscnt 0x0
	s_barrier_signal -1
	s_barrier_wait -1
	s_clause 0x8
	scratch_load_b128 v[56:59], off, off offset:88
	scratch_load_b128 v[60:63], off, off offset:104
	;; [unrolled: 1-line block ×8, first 2 shown]
	scratch_load_b64 v[120:121], off, off offset:80
	ds_load_2addr_b64 v[88:91], v3 offset0:47 offset1:48
	ds_load_2addr_b64 v[92:95], v3 offset0:49 offset1:50
	;; [unrolled: 1-line block ×8, first 2 shown]
	s_mov_b32 s0, exec_lo
	s_wait_dscnt 0x7
	v_dual_mov_b32 v122, v91 :: v_dual_mov_b32 v123, v90
	s_wait_dscnt 0x6
	v_dual_mov_b32 v124, v95 :: v_dual_mov_b32 v125, v94
	;; [unrolled: 2-line block ×4, first 2 shown]
	s_wait_loadcnt_dscnt 0x803
	v_dual_mul_f32 v3, v104, v57 :: v_dual_mul_f32 v7, v106, v59
	v_dual_mul_f32 v19, v105, v57 :: v_dual_mul_f32 v21, v107, v59
	s_wait_loadcnt_dscnt 0x702
	v_dual_mul_f32 v11, v108, v61 :: v_dual_mul_f32 v13, v110, v63
	s_delay_alu instid0(VALU_DEP_3)
	v_fmac_f32_e32 v3, v105, v56
	s_wait_loadcnt_dscnt 0x500
	v_dual_fma_f32 v19, v104, v56, -v19 :: v_dual_mul_f32 v31, v117, v69
	v_dual_mul_f32 v23, v109, v61 :: v_dual_mul_f32 v25, v111, v63
	v_dual_fma_f32 v21, v106, v58, -v21 :: v_dual_fmac_f32 v7, v107, v58
	v_add_f32_e32 v3, 0, v3
	s_delay_alu instid0(VALU_DEP_4) | instskip(SKIP_2) | instid1(VALU_DEP_4)
	v_dual_add_f32 v19, 0, v19 :: v_dual_fmac_f32 v11, v109, v60
	v_dual_mul_f32 v15, v112, v65 :: v_dual_mul_f32 v17, v114, v67
	v_dual_mul_f32 v33, v119, v71 :: v_dual_fma_f32 v23, v108, v60, -v23
	v_add_f32_e32 v3, v3, v7
	s_delay_alu instid0(VALU_DEP_3) | instskip(SKIP_4) | instid1(VALU_DEP_4)
	v_dual_add_f32 v7, v19, v21 :: v_dual_fmac_f32 v15, v113, v64
	v_dual_mul_f32 v131, v116, v69 :: v_dual_mul_f32 v133, v118, v71
	v_dual_mul_f32 v27, v113, v65 :: v_dual_mul_f32 v29, v115, v67
	v_fmac_f32_e32 v13, v111, v62
	v_dual_fma_f32 v19, v110, v62, -v25 :: v_dual_add_f32 v3, v3, v11
	v_dual_add_f32 v7, v7, v23 :: v_dual_fmac_f32 v131, v117, v68
	s_delay_alu instid0(VALU_DEP_4) | instskip(NEXT) | instid1(VALU_DEP_3)
	v_dual_fma_f32 v11, v112, v64, -v27 :: v_dual_fmac_f32 v17, v115, v66
	v_dual_add_f32 v3, v3, v13 :: v_dual_fma_f32 v130, v116, v68, -v31
	s_delay_alu instid0(VALU_DEP_3) | instskip(NEXT) | instid1(VALU_DEP_2)
	v_dual_add_f32 v7, v7, v19 :: v_dual_fma_f32 v132, v118, v70, -v33
	v_dual_fma_f32 v13, v114, v66, -v29 :: v_dual_add_f32 v3, v3, v15
	s_wait_loadcnt 0x4
	v_pk_mul_f32 v[56:57], v[88:89], v[72:73] op_sel:[1,1] op_sel_hi:[0,1]
	s_delay_alu instid0(VALU_DEP_3)
	v_add_f32_e32 v7, v7, v11
	s_wait_loadcnt 0x3
	v_dual_mov_b32 v58, v75 :: v_dual_mov_b32 v62, v79
	v_add_f32_e32 v65, v3, v17
	v_fmac_f32_e32 v133, v119, v70
	v_add_f32_e32 v64, v7, v13
	v_pk_fma_f32 v[66:67], v[88:89], v[72:73], v[56:57] op_sel_hi:[1,0,1]
	v_pk_mul_f32 v[58:59], v[122:123], v[58:59] op_sel_hi:[1,0]
	v_pk_fma_f32 v[56:57], v[88:89], v[72:73], v[56:57] neg_lo:[0,0,1] neg_hi:[0,0,1]
	v_pk_mul_f32 v[60:61], v[92:93], v[76:77] op_sel:[1,1] op_sel_hi:[0,1]
	v_pk_add_f32 v[64:65], v[64:65], v[130:131]
	v_mov_b32_e32 v57, v67
	v_pk_fma_f32 v[66:67], v[90:91], v[74:75], v[58:59] op_sel_hi:[1,0,1]
	v_pk_fma_f32 v[58:59], v[90:91], v[74:75], v[58:59] neg_lo:[0,0,1] neg_hi:[0,0,1]
	v_pk_fma_f32 v[70:71], v[92:93], v[76:77], v[60:61] op_sel_hi:[1,0,1]
	v_pk_add_f32 v[64:65], v[64:65], v[132:133]
	v_pk_mul_f32 v[62:63], v[124:125], v[62:63] op_sel_hi:[1,0]
	v_mov_b32_e32 v59, v67
	s_wait_loadcnt 0x2
	v_pk_mul_f32 v[68:69], v[96:97], v[80:81] op_sel:[1,1] op_sel_hi:[0,1]
	v_pk_fma_f32 v[60:61], v[92:93], v[76:77], v[60:61] neg_lo:[0,0,1] neg_hi:[0,0,1]
	v_pk_add_f32 v[56:57], v[64:65], v[56:57]
	v_dual_mov_b32 v64, v83 :: v_dual_mov_b32 v61, v71
	v_pk_fma_f32 v[66:67], v[94:95], v[78:79], v[62:63] op_sel_hi:[1,0,1]
	v_pk_fma_f32 v[62:63], v[94:95], v[78:79], v[62:63] neg_lo:[0,0,1] neg_hi:[0,0,1]
	s_delay_alu instid0(VALU_DEP_4)
	v_pk_add_f32 v[56:57], v[56:57], v[58:59]
	v_pk_fma_f32 v[58:59], v[96:97], v[80:81], v[68:69] op_sel_hi:[1,0,1]
	v_pk_mul_f32 v[64:65], v[126:127], v[64:65] op_sel_hi:[1,0]
	v_mov_b32_e32 v63, v67
	v_pk_fma_f32 v[66:67], v[96:97], v[80:81], v[68:69] neg_lo:[0,0,1] neg_hi:[0,0,1]
	v_pk_add_f32 v[56:57], v[56:57], v[60:61]
	v_mov_b32_e32 v67, v59
	v_pk_fma_f32 v[58:59], v[98:99], v[82:83], v[64:65] op_sel_hi:[1,0,1]
	s_wait_loadcnt 0x1
	v_pk_mul_f32 v[60:61], v[100:101], v[84:85] op_sel:[1,1] op_sel_hi:[0,1]
	v_mov_b32_e32 v58, v87
	v_pk_add_f32 v[56:57], v[56:57], v[62:63]
	v_pk_fma_f32 v[64:65], v[98:99], v[82:83], v[64:65] neg_lo:[0,0,1] neg_hi:[0,0,1]
	v_mov_b32_e32 v65, v59
	v_pk_fma_f32 v[62:63], v[100:101], v[84:85], v[60:61] op_sel_hi:[1,0,1]
	v_pk_mul_f32 v[58:59], v[128:129], v[58:59] op_sel_hi:[1,0]
	v_pk_add_f32 v[56:57], v[56:57], v[66:67]
	v_pk_fma_f32 v[60:61], v[100:101], v[84:85], v[60:61] neg_lo:[0,0,1] neg_hi:[0,0,1]
	s_delay_alu instid0(VALU_DEP_4) | instskip(NEXT) | instid1(VALU_DEP_4)
	v_mov_b32_e32 v61, v63
	v_pk_fma_f32 v[62:63], v[102:103], v[86:87], v[58:59] op_sel_hi:[1,0,1]
	s_delay_alu instid0(VALU_DEP_4) | instskip(SKIP_1) | instid1(VALU_DEP_3)
	v_pk_add_f32 v[56:57], v[56:57], v[64:65]
	v_pk_fma_f32 v[58:59], v[102:103], v[86:87], v[58:59] neg_lo:[0,0,1] neg_hi:[0,0,1]
	v_mov_b32_e32 v59, v63
	s_delay_alu instid0(VALU_DEP_3) | instskip(NEXT) | instid1(VALU_DEP_1)
	v_pk_add_f32 v[56:57], v[56:57], v[60:61]
	v_pk_add_f32 v[56:57], v[56:57], v[58:59]
	s_wait_loadcnt 0x0
	s_delay_alu instid0(VALU_DEP_1)
	v_pk_add_f32 v[56:57], v[120:121], v[56:57] neg_lo:[0,1] neg_hi:[0,1]
	scratch_store_b64 off, v[56:57], off offset:80
	s_wait_xcnt 0x0
	v_cmpx_lt_u32_e32 9, v0
	s_cbranch_execz .LBB26_157
; %bb.156:
	scratch_load_b64 v[56:57], off, off offset:72
	v_mov_b64_e32 v[58:59], 0
	scratch_store_b64 off, v[58:59], off offset:72
	s_wait_loadcnt 0x0
	ds_store_b64 v1, v[56:57]
.LBB26_157:
	s_wait_xcnt 0x0
	s_or_b32 exec_lo, exec_lo, s0
	s_wait_storecnt_dscnt 0x0
	s_barrier_signal -1
	s_barrier_wait -1
	s_clause 0x9
	scratch_load_b128 v[56:59], off, off offset:80
	scratch_load_b128 v[60:63], off, off offset:96
	;; [unrolled: 1-line block ×8, first 2 shown]
	scratch_load_b64 v[120:121], off, off offset:208
	scratch_load_b64 v[122:123], off, off offset:72
	v_mov_b32_e32 v3, 0
	ds_load_b128 v[88:91], v3 offset:368
	ds_load_b128 v[92:95], v3 offset:384
	;; [unrolled: 1-line block ×8, first 2 shown]
	ds_load_b64 v[124:125], v3 offset:432
	s_mov_b32 s0, exec_lo
	s_wait_dscnt 0x8
	v_dual_mov_b32 v126, v91 :: v_dual_mov_b32 v127, v90
	s_wait_dscnt 0x5
	v_dual_mov_b32 v128, v95 :: v_dual_mov_b32 v133, v102
	v_dual_mov_b32 v129, v94 :: v_dual_mov_b32 v130, v99
	;; [unrolled: 1-line block ×3, first 2 shown]
	s_wait_loadcnt_dscnt 0x904
	v_dual_mul_f32 v7, v104, v57 :: v_dual_mul_f32 v23, v105, v57
	v_dual_mul_f32 v25, v107, v59 :: v_dual_mul_f32 v11, v106, v59
	s_wait_loadcnt_dscnt 0x803
	v_mul_f32_e32 v13, v108, v61
	s_wait_loadcnt_dscnt 0x601
	v_dual_mul_f32 v35, v117, v69 :: v_dual_fma_f32 v23, v104, v56, -v23
	v_dual_fmac_f32 v7, v105, v56 :: v_dual_mul_f32 v37, v119, v71
	v_dual_mul_f32 v27, v109, v61 :: v_dual_mul_f32 v29, v111, v63
	v_dual_fmac_f32 v11, v107, v58 :: v_dual_fma_f32 v25, v106, v58, -v25
	s_wait_loadcnt 0x5
	s_delay_alu instid0(VALU_DEP_3) | instskip(SKIP_2) | instid1(VALU_DEP_3)
	v_dual_add_f32 v7, 0, v7 :: v_dual_mul_f32 v39, v89, v73
	v_dual_add_f32 v23, 0, v23 :: v_dual_fmac_f32 v13, v109, v60
	v_dual_mul_f32 v15, v110, v63 :: v_dual_mul_f32 v17, v112, v65
	v_dual_fma_f32 v27, v108, v60, -v27 :: v_dual_add_f32 v7, v7, v11
	s_delay_alu instid0(VALU_DEP_3) | instskip(SKIP_3) | instid1(VALU_DEP_3)
	v_dual_add_f32 v11, v23, v25 :: v_dual_fma_f32 v23, v110, v62, -v29
	v_dual_mul_f32 v19, v114, v67 :: v_dual_mul_f32 v21, v116, v69
	v_dual_mul_f32 v31, v113, v65 :: v_dual_mul_f32 v33, v115, v67
	v_dual_mov_b32 v56, v75 :: v_dual_fmac_f32 v17, v113, v64
	v_dual_fmac_f32 v15, v111, v62 :: v_dual_fmac_f32 v21, v117, v68
	s_delay_alu instid0(VALU_DEP_3) | instskip(SKIP_1) | instid1(VALU_DEP_4)
	v_dual_add_f32 v7, v7, v13 :: v_dual_fma_f32 v13, v112, v64, -v31
	v_add_f32_e32 v11, v11, v27
	v_pk_mul_f32 v[56:57], v[126:127], v[56:57] op_sel_hi:[1,0]
	v_dual_mul_f32 v135, v118, v71 :: v_dual_mul_f32 v137, v88, v73
	s_delay_alu instid0(VALU_DEP_4) | instskip(NEXT) | instid1(VALU_DEP_4)
	v_dual_add_f32 v7, v7, v15 :: v_dual_fma_f32 v15, v114, v66, -v33
	v_dual_add_f32 v11, v11, v23 :: v_dual_fma_f32 v134, v118, v70, -v37
	s_delay_alu instid0(VALU_DEP_3) | instskip(NEXT) | instid1(VALU_DEP_2)
	v_dual_fmac_f32 v19, v115, v66 :: v_dual_fmac_f32 v137, v89, v72
	v_dual_fma_f32 v136, v88, v72, -v39 :: v_dual_add_f32 v11, v11, v13
	s_delay_alu instid0(VALU_DEP_4)
	v_dual_fma_f32 v13, v116, v68, -v35 :: v_dual_add_f32 v7, v7, v17
	v_pk_fma_f32 v[68:69], v[90:91], v[74:75], v[56:57] op_sel_hi:[1,0,1]
	v_pk_fma_f32 v[56:57], v[90:91], v[74:75], v[56:57] neg_lo:[0,0,1] neg_hi:[0,0,1]
	v_fmac_f32_e32 v135, v119, v70
	s_wait_loadcnt 0x4
	v_pk_mul_f32 v[58:59], v[92:93], v[76:77] op_sel:[1,1] op_sel_hi:[0,1]
	v_dual_add_f32 v7, v7, v19 :: v_dual_mov_b32 v57, v69
	v_add_f32_e32 v11, v11, v15
	s_wait_loadcnt 0x3
	v_dual_mov_b32 v60, v79 :: v_dual_mov_b32 v66, v83
	s_delay_alu instid0(VALU_DEP_3) | instskip(SKIP_2) | instid1(VALU_DEP_4)
	v_add_f32_e32 v65, v7, v21
	v_pk_fma_f32 v[70:71], v[92:93], v[76:77], v[58:59] op_sel_hi:[1,0,1]
	v_add_f32_e32 v64, v11, v13
	v_pk_mul_f32 v[60:61], v[128:129], v[60:61] op_sel_hi:[1,0]
	v_pk_fma_f32 v[58:59], v[92:93], v[76:77], v[58:59] neg_lo:[0,0,1] neg_hi:[0,0,1]
	v_pk_mul_f32 v[62:63], v[96:97], v[80:81] op_sel:[1,1] op_sel_hi:[0,1]
	v_mov_b32_e32 v59, v71
	v_pk_add_f32 v[64:65], v[64:65], v[134:135]
	v_pk_fma_f32 v[70:71], v[94:95], v[78:79], v[60:61] op_sel_hi:[1,0,1]
	v_pk_fma_f32 v[60:61], v[94:95], v[78:79], v[60:61] neg_lo:[0,0,1] neg_hi:[0,0,1]
	v_pk_mul_f32 v[66:67], v[130:131], v[66:67] op_sel_hi:[1,0]
	s_wait_loadcnt 0x2
	v_pk_mul_f32 v[68:69], v[100:101], v[84:85] op_sel:[1,1] op_sel_hi:[0,1]
	v_pk_add_f32 v[64:65], v[64:65], v[136:137]
	v_mov_b32_e32 v61, v71
	s_delay_alu instid0(VALU_DEP_2) | instskip(SKIP_2) | instid1(VALU_DEP_3)
	v_pk_add_f32 v[56:57], v[64:65], v[56:57]
	v_pk_fma_f32 v[64:65], v[96:97], v[80:81], v[62:63] op_sel_hi:[1,0,1]
	v_pk_fma_f32 v[62:63], v[96:97], v[80:81], v[62:63] neg_lo:[0,0,1] neg_hi:[0,0,1]
	v_pk_add_f32 v[56:57], v[56:57], v[58:59]
	s_delay_alu instid0(VALU_DEP_3) | instskip(SKIP_2) | instid1(VALU_DEP_4)
	v_dual_mov_b32 v58, v87 :: v_dual_mov_b32 v63, v65
	v_pk_fma_f32 v[64:65], v[98:99], v[82:83], v[66:67] op_sel_hi:[1,0,1]
	v_pk_fma_f32 v[66:67], v[98:99], v[82:83], v[66:67] neg_lo:[0,0,1] neg_hi:[0,0,1]
	v_pk_add_f32 v[56:57], v[56:57], v[60:61]
	v_pk_fma_f32 v[60:61], v[100:101], v[84:85], v[68:69] op_sel_hi:[1,0,1]
	v_pk_mul_f32 v[58:59], v[132:133], v[58:59] op_sel_hi:[1,0]
	v_mov_b32_e32 v67, v65
	s_wait_loadcnt_dscnt 0x100
	v_pk_mul_f32 v[64:65], v[124:125], v[120:121] op_sel:[1,1] op_sel_hi:[0,1]
	v_pk_add_f32 v[56:57], v[56:57], v[62:63]
	v_pk_fma_f32 v[62:63], v[100:101], v[84:85], v[68:69] neg_lo:[0,0,1] neg_hi:[0,0,1]
	v_mov_b32_e32 v63, v61
	v_pk_fma_f32 v[60:61], v[102:103], v[86:87], v[58:59] op_sel_hi:[1,0,1]
	v_pk_fma_f32 v[58:59], v[102:103], v[86:87], v[58:59] neg_lo:[0,0,1] neg_hi:[0,0,1]
	v_pk_add_f32 v[56:57], v[56:57], v[66:67]
	s_delay_alu instid0(VALU_DEP_3) | instskip(SKIP_1) | instid1(VALU_DEP_3)
	v_mov_b32_e32 v59, v61
	v_pk_fma_f32 v[60:61], v[124:125], v[120:121], v[64:65] op_sel_hi:[1,0,1]
	v_pk_add_f32 v[56:57], v[56:57], v[62:63]
	v_pk_fma_f32 v[62:63], v[124:125], v[120:121], v[64:65] neg_lo:[0,0,1] neg_hi:[0,0,1]
	s_delay_alu instid0(VALU_DEP_3) | instskip(NEXT) | instid1(VALU_DEP_3)
	v_mov_b32_e32 v63, v61
	v_pk_add_f32 v[56:57], v[56:57], v[58:59]
	s_delay_alu instid0(VALU_DEP_1) | instskip(SKIP_1) | instid1(VALU_DEP_1)
	v_pk_add_f32 v[56:57], v[56:57], v[62:63]
	s_wait_loadcnt 0x0
	v_pk_add_f32 v[56:57], v[122:123], v[56:57] neg_lo:[0,1] neg_hi:[0,1]
	scratch_store_b64 off, v[56:57], off offset:72
	s_wait_xcnt 0x0
	v_cmpx_lt_u32_e32 8, v0
	s_cbranch_execz .LBB26_159
; %bb.158:
	scratch_load_b64 v[56:57], off, off offset:64
	v_mov_b64_e32 v[58:59], 0
	scratch_store_b64 off, v[58:59], off offset:64
	s_wait_loadcnt 0x0
	ds_store_b64 v1, v[56:57]
.LBB26_159:
	s_wait_xcnt 0x0
	s_or_b32 exec_lo, exec_lo, s0
	s_wait_storecnt_dscnt 0x0
	s_barrier_signal -1
	s_barrier_wait -1
	s_clause 0x9
	scratch_load_b128 v[56:59], off, off offset:72
	scratch_load_b128 v[60:63], off, off offset:88
	;; [unrolled: 1-line block ×9, first 2 shown]
	scratch_load_b64 v[128:129], off, off offset:64
	ds_load_2addr_b64 v[92:95], v3 offset0:47 offset1:48
	ds_load_2addr_b64 v[96:99], v3 offset0:49 offset1:50
	;; [unrolled: 1-line block ×9, first 2 shown]
	s_mov_b32 s0, exec_lo
	s_wait_dscnt 0x8
	v_dual_mov_b32 v130, v95 :: v_dual_mov_b32 v131, v94
	s_wait_dscnt 0x7
	v_dual_mov_b32 v132, v99 :: v_dual_mov_b32 v133, v98
	s_wait_dscnt 0x6
	v_dual_mov_b32 v134, v103 :: v_dual_mov_b32 v135, v102
	s_wait_dscnt 0x5
	v_dual_mov_b32 v136, v107 :: v_dual_mov_b32 v137, v106
	s_wait_loadcnt_dscnt 0x904
	v_dual_mul_f32 v3, v108, v57 :: v_dual_mul_f32 v7, v110, v59
	v_dual_mul_f32 v23, v109, v57 :: v_dual_mul_f32 v25, v111, v59
	s_wait_loadcnt_dscnt 0x803
	v_dual_mul_f32 v11, v112, v61 :: v_dual_mul_f32 v13, v114, v63
	s_delay_alu instid0(VALU_DEP_3)
	v_fmac_f32_e32 v3, v109, v56
	s_wait_loadcnt_dscnt 0x601
	v_dual_fma_f32 v23, v108, v56, -v23 :: v_dual_mul_f32 v35, v121, v69
	v_dual_mul_f32 v27, v113, v61 :: v_dual_mul_f32 v29, v115, v63
	v_dual_fma_f32 v25, v110, v58, -v25 :: v_dual_fmac_f32 v7, v111, v58
	v_add_f32_e32 v3, 0, v3
	s_delay_alu instid0(VALU_DEP_4) | instskip(NEXT) | instid1(VALU_DEP_4)
	v_dual_add_f32 v23, 0, v23 :: v_dual_fmac_f32 v11, v113, v60
	v_dual_mul_f32 v37, v123, v71 :: v_dual_fma_f32 v27, v112, v60, -v27
	s_delay_alu instid0(VALU_DEP_3) | instskip(NEXT) | instid1(VALU_DEP_3)
	v_add_f32_e32 v3, v3, v7
	v_dual_add_f32 v7, v23, v25 :: v_dual_fma_f32 v25, v114, v62, -v29
	v_dual_mul_f32 v15, v116, v65 :: v_dual_mul_f32 v17, v118, v67
	v_dual_mul_f32 v31, v117, v65 :: v_dual_mul_f32 v33, v119, v67
	s_wait_loadcnt_dscnt 0x500
	v_dual_mul_f32 v23, v125, v73 :: v_dual_fmac_f32 v13, v115, v62
	s_delay_alu instid0(VALU_DEP_3) | instskip(SKIP_2) | instid1(VALU_DEP_3)
	v_dual_fmac_f32 v15, v117, v64 :: v_dual_add_f32 v3, v3, v11
	v_dual_add_f32 v7, v7, v27 :: v_dual_mul_f32 v19, v120, v69
	v_dual_mul_f32 v21, v122, v71 :: v_dual_fma_f32 v27, v116, v64, -v31
	v_dual_add_f32 v3, v3, v13 :: v_dual_fma_f32 v13, v118, v66, -v33
	s_delay_alu instid0(VALU_DEP_3) | instskip(SKIP_2) | instid1(VALU_DEP_2)
	v_add_f32_e32 v7, v7, v25
	v_dual_mul_f32 v139, v124, v73 :: v_dual_mul_f32 v141, v126, v75
	v_dual_mul_f32 v11, v127, v75 :: v_dual_fmac_f32 v19, v121, v68
	v_dual_fmac_f32 v17, v119, v66 :: v_dual_fmac_f32 v139, v125, v72
	v_dual_add_f32 v3, v3, v15 :: v_dual_fma_f32 v138, v124, v72, -v23
	s_delay_alu instid0(VALU_DEP_3) | instskip(NEXT) | instid1(VALU_DEP_2)
	v_dual_add_f32 v7, v7, v27 :: v_dual_fma_f32 v140, v126, v74, -v11
	v_dual_fma_f32 v15, v120, v68, -v35 :: v_dual_add_f32 v3, v3, v17
	v_fmac_f32_e32 v21, v123, v70
	s_delay_alu instid0(VALU_DEP_3)
	v_dual_add_f32 v7, v7, v13 :: v_dual_fma_f32 v13, v122, v70, -v37
	s_wait_loadcnt 0x4
	v_pk_mul_f32 v[56:57], v[92:93], v[76:77] op_sel:[1,1] op_sel_hi:[0,1]
	v_add_f32_e32 v3, v3, v19
	s_wait_loadcnt 0x3
	v_dual_mov_b32 v58, v79 :: v_dual_mov_b32 v62, v83
	v_add_f32_e32 v7, v7, v15
	v_fmac_f32_e32 v141, v127, v74
	v_add_f32_e32 v65, v3, v21
	v_pk_fma_f32 v[66:67], v[92:93], v[76:77], v[56:57] op_sel_hi:[1,0,1]
	v_pk_mul_f32 v[58:59], v[130:131], v[58:59] op_sel_hi:[1,0]
	v_add_f32_e32 v64, v7, v13
	v_pk_fma_f32 v[56:57], v[92:93], v[76:77], v[56:57] neg_lo:[0,0,1] neg_hi:[0,0,1]
	v_pk_mul_f32 v[60:61], v[96:97], v[80:81] op_sel:[1,1] op_sel_hi:[0,1]
	v_mov_b32_e32 v57, v67
	v_pk_fma_f32 v[66:67], v[94:95], v[78:79], v[58:59] op_sel_hi:[1,0,1]
	v_pk_add_f32 v[64:65], v[64:65], v[138:139]
	v_pk_fma_f32 v[58:59], v[94:95], v[78:79], v[58:59] neg_lo:[0,0,1] neg_hi:[0,0,1]
	v_pk_fma_f32 v[70:71], v[96:97], v[80:81], v[60:61] op_sel_hi:[1,0,1]
	v_pk_mul_f32 v[62:63], v[132:133], v[62:63] op_sel_hi:[1,0]
	v_mov_b32_e32 v59, v67
	v_pk_add_f32 v[64:65], v[64:65], v[140:141]
	s_wait_loadcnt 0x2
	v_pk_mul_f32 v[68:69], v[100:101], v[84:85] op_sel:[1,1] op_sel_hi:[0,1]
	v_pk_fma_f32 v[60:61], v[96:97], v[80:81], v[60:61] neg_lo:[0,0,1] neg_hi:[0,0,1]
	v_mov_b32_e32 v61, v71
	v_pk_fma_f32 v[66:67], v[98:99], v[82:83], v[62:63] op_sel_hi:[1,0,1]
	v_pk_add_f32 v[56:57], v[64:65], v[56:57]
	v_mov_b32_e32 v64, v87
	v_pk_fma_f32 v[62:63], v[98:99], v[82:83], v[62:63] neg_lo:[0,0,1] neg_hi:[0,0,1]
	s_delay_alu instid0(VALU_DEP_3) | instskip(SKIP_1) | instid1(VALU_DEP_4)
	v_pk_add_f32 v[56:57], v[56:57], v[58:59]
	v_pk_fma_f32 v[58:59], v[100:101], v[84:85], v[68:69] op_sel_hi:[1,0,1]
	v_pk_mul_f32 v[64:65], v[134:135], v[64:65] op_sel_hi:[1,0]
	v_mov_b32_e32 v63, v67
	v_pk_fma_f32 v[66:67], v[100:101], v[84:85], v[68:69] neg_lo:[0,0,1] neg_hi:[0,0,1]
	v_pk_add_f32 v[56:57], v[56:57], v[60:61]
	v_mov_b32_e32 v67, v59
	v_pk_fma_f32 v[58:59], v[102:103], v[86:87], v[64:65] op_sel_hi:[1,0,1]
	s_wait_loadcnt 0x1
	v_pk_mul_f32 v[60:61], v[104:105], v[88:89] op_sel:[1,1] op_sel_hi:[0,1]
	v_mov_b32_e32 v58, v91
	v_pk_add_f32 v[56:57], v[56:57], v[62:63]
	v_pk_fma_f32 v[64:65], v[102:103], v[86:87], v[64:65] neg_lo:[0,0,1] neg_hi:[0,0,1]
	v_mov_b32_e32 v65, v59
	v_pk_fma_f32 v[62:63], v[104:105], v[88:89], v[60:61] op_sel_hi:[1,0,1]
	v_pk_mul_f32 v[58:59], v[136:137], v[58:59] op_sel_hi:[1,0]
	v_pk_add_f32 v[56:57], v[56:57], v[66:67]
	v_pk_fma_f32 v[60:61], v[104:105], v[88:89], v[60:61] neg_lo:[0,0,1] neg_hi:[0,0,1]
	s_delay_alu instid0(VALU_DEP_4) | instskip(NEXT) | instid1(VALU_DEP_4)
	v_mov_b32_e32 v61, v63
	v_pk_fma_f32 v[62:63], v[106:107], v[90:91], v[58:59] op_sel_hi:[1,0,1]
	s_delay_alu instid0(VALU_DEP_4) | instskip(SKIP_1) | instid1(VALU_DEP_3)
	v_pk_add_f32 v[56:57], v[56:57], v[64:65]
	v_pk_fma_f32 v[58:59], v[106:107], v[90:91], v[58:59] neg_lo:[0,0,1] neg_hi:[0,0,1]
	v_mov_b32_e32 v59, v63
	s_delay_alu instid0(VALU_DEP_3) | instskip(NEXT) | instid1(VALU_DEP_1)
	v_pk_add_f32 v[56:57], v[56:57], v[60:61]
	v_pk_add_f32 v[56:57], v[56:57], v[58:59]
	s_wait_loadcnt 0x0
	s_delay_alu instid0(VALU_DEP_1)
	v_pk_add_f32 v[56:57], v[128:129], v[56:57] neg_lo:[0,1] neg_hi:[0,1]
	scratch_store_b64 off, v[56:57], off offset:64
	s_wait_xcnt 0x0
	v_cmpx_lt_u32_e32 7, v0
	s_cbranch_execz .LBB26_161
; %bb.160:
	scratch_load_b64 v[56:57], off, off offset:56
	v_mov_b64_e32 v[58:59], 0
	scratch_store_b64 off, v[58:59], off offset:56
	s_wait_loadcnt 0x0
	ds_store_b64 v1, v[56:57]
.LBB26_161:
	s_wait_xcnt 0x0
	s_or_b32 exec_lo, exec_lo, s0
	s_wait_storecnt_dscnt 0x0
	s_barrier_signal -1
	s_barrier_wait -1
	s_clause 0xa
	scratch_load_b128 v[56:59], off, off offset:64
	scratch_load_b128 v[60:63], off, off offset:80
	scratch_load_b128 v[64:67], off, off offset:96
	scratch_load_b128 v[68:71], off, off offset:112
	scratch_load_b128 v[72:75], off, off offset:128
	scratch_load_b128 v[76:79], off, off offset:144
	scratch_load_b128 v[80:83], off, off offset:160
	scratch_load_b128 v[84:87], off, off offset:176
	scratch_load_b128 v[88:91], off, off offset:192
	scratch_load_b64 v[128:129], off, off offset:208
	scratch_load_b64 v[130:131], off, off offset:56
	v_mov_b32_e32 v3, 0
	ds_load_b128 v[92:95], v3 offset:368
	ds_load_b128 v[96:99], v3 offset:384
	;; [unrolled: 1-line block ×9, first 2 shown]
	ds_load_b64 v[132:133], v3 offset:432
	s_mov_b32 s0, exec_lo
	s_wait_dscnt 0x9
	v_dual_mov_b32 v134, v95 :: v_dual_mov_b32 v135, v94
	s_wait_dscnt 0x6
	v_dual_mov_b32 v136, v99 :: v_dual_mov_b32 v141, v106
	v_dual_mov_b32 v137, v98 :: v_dual_mov_b32 v138, v103
	;; [unrolled: 1-line block ×3, first 2 shown]
	s_wait_loadcnt_dscnt 0xa05
	v_dual_mul_f32 v7, v108, v57 :: v_dual_mul_f32 v27, v109, v57
	v_dual_mul_f32 v29, v111, v59 :: v_dual_mul_f32 v11, v110, v59
	s_wait_loadcnt_dscnt 0x904
	v_mul_f32_e32 v13, v112, v61
	s_wait_loadcnt_dscnt 0x702
	v_dual_mul_f32 v39, v121, v69 :: v_dual_fma_f32 v27, v108, v56, -v27
	v_dual_fmac_f32 v7, v109, v56 :: v_dual_mul_f32 v41, v123, v71
	v_dual_mul_f32 v31, v113, v61 :: v_dual_mul_f32 v33, v115, v63
	v_dual_fmac_f32 v11, v111, v58 :: v_dual_fma_f32 v29, v110, v58, -v29
	s_wait_loadcnt_dscnt 0x601
	s_delay_alu instid0(VALU_DEP_3) | instskip(SKIP_2) | instid1(VALU_DEP_3)
	v_dual_add_f32 v7, 0, v7 :: v_dual_mul_f32 v43, v125, v73
	v_dual_add_f32 v27, 0, v27 :: v_dual_fmac_f32 v13, v113, v60
	v_dual_mul_f32 v15, v114, v63 :: v_dual_mul_f32 v17, v116, v65
	v_dual_fma_f32 v31, v112, v60, -v31 :: v_dual_add_f32 v7, v7, v11
	s_delay_alu instid0(VALU_DEP_3) | instskip(SKIP_1) | instid1(VALU_DEP_4)
	v_dual_add_f32 v11, v27, v29 :: v_dual_fma_f32 v29, v114, v62, -v33
	v_dual_mul_f32 v35, v117, v65 :: v_dual_mul_f32 v37, v119, v67
	v_dual_fmac_f32 v15, v115, v62 :: v_dual_fmac_f32 v17, v117, v64
	s_delay_alu instid0(VALU_DEP_4) | instskip(NEXT) | instid1(VALU_DEP_4)
	v_add_f32_e32 v7, v7, v13
	v_add_f32_e32 v11, v11, v31
	v_dual_mul_f32 v19, v118, v67 :: v_dual_mul_f32 v21, v120, v69
	s_delay_alu instid0(VALU_DEP_3) | instskip(NEXT) | instid1(VALU_DEP_3)
	v_dual_fma_f32 v31, v116, v64, -v35 :: v_dual_add_f32 v7, v7, v15
	v_dual_fma_f32 v15, v118, v66, -v37 :: v_dual_add_f32 v11, v11, v29
	v_dual_mul_f32 v23, v122, v71 :: v_dual_mul_f32 v25, v124, v73
	s_wait_loadcnt 0x4
	v_dual_mov_b32 v56, v79 :: v_dual_mov_b32 v60, v83
	v_dual_fmac_f32 v19, v119, v66 :: v_dual_fmac_f32 v21, v121, v68
	v_dual_add_f32 v7, v7, v17 :: v_dual_fma_f32 v17, v120, v68, -v39
	v_add_f32_e32 v11, v11, v31
	v_dual_mul_f32 v143, v126, v75 :: v_dual_mul_f32 v145, v92, v77
	v_dual_mul_f32 v27, v127, v75 :: v_dual_mul_f32 v13, v93, v77
	s_delay_alu instid0(VALU_DEP_3) | instskip(SKIP_1) | instid1(VALU_DEP_3)
	v_dual_add_f32 v11, v11, v15 :: v_dual_fma_f32 v15, v122, v70, -v41
	v_dual_fmac_f32 v25, v125, v72 :: v_dual_add_f32 v7, v7, v19
	v_fma_f32 v142, v126, v74, -v27
	v_pk_mul_f32 v[56:57], v[134:135], v[56:57] op_sel_hi:[1,0]
	v_dual_fmac_f32 v23, v123, v70 :: v_dual_fma_f32 v144, v92, v76, -v13
	v_dual_fmac_f32 v145, v93, v76 :: v_dual_add_f32 v11, v11, v17
	s_delay_alu instid0(VALU_DEP_3) | instskip(SKIP_2) | instid1(VALU_DEP_4)
	v_pk_fma_f32 v[68:69], v[94:95], v[78:79], v[56:57] op_sel_hi:[1,0,1]
	v_add_f32_e32 v7, v7, v21
	v_pk_fma_f32 v[56:57], v[94:95], v[78:79], v[56:57] neg_lo:[0,0,1] neg_hi:[0,0,1]
	v_dual_fma_f32 v17, v124, v72, -v43 :: v_dual_add_f32 v11, v11, v15
	s_delay_alu instid0(VALU_DEP_3) | instskip(SKIP_2) | instid1(VALU_DEP_4)
	v_dual_mov_b32 v57, v69 :: v_dual_add_f32 v7, v7, v23
	v_fmac_f32_e32 v143, v127, v74
	v_pk_mul_f32 v[58:59], v[96:97], v[80:81] op_sel:[1,1] op_sel_hi:[0,1]
	v_add_f32_e32 v64, v11, v17
	v_pk_mul_f32 v[60:61], v[136:137], v[60:61] op_sel_hi:[1,0]
	v_add_f32_e32 v65, v7, v25
	s_wait_loadcnt 0x3
	v_pk_mul_f32 v[62:63], v[100:101], v[84:85] op_sel:[1,1] op_sel_hi:[0,1]
	v_pk_fma_f32 v[70:71], v[96:97], v[80:81], v[58:59] op_sel_hi:[1,0,1]
	v_pk_fma_f32 v[58:59], v[96:97], v[80:81], v[58:59] neg_lo:[0,0,1] neg_hi:[0,0,1]
	v_mov_b32_e32 v66, v87
	v_pk_add_f32 v[64:65], v[64:65], v[142:143]
	s_wait_loadcnt 0x2
	v_pk_mul_f32 v[68:69], v[104:105], v[88:89] op_sel:[1,1] op_sel_hi:[0,1]
	v_mov_b32_e32 v59, v71
	v_pk_fma_f32 v[70:71], v[98:99], v[82:83], v[60:61] op_sel_hi:[1,0,1]
	v_pk_fma_f32 v[60:61], v[98:99], v[82:83], v[60:61] neg_lo:[0,0,1] neg_hi:[0,0,1]
	v_pk_add_f32 v[64:65], v[64:65], v[144:145]
	v_pk_mul_f32 v[66:67], v[138:139], v[66:67] op_sel_hi:[1,0]
	s_delay_alu instid0(VALU_DEP_4) | instskip(NEXT) | instid1(VALU_DEP_3)
	v_mov_b32_e32 v61, v71
	v_pk_add_f32 v[56:57], v[64:65], v[56:57]
	v_pk_fma_f32 v[64:65], v[100:101], v[84:85], v[62:63] op_sel_hi:[1,0,1]
	v_pk_fma_f32 v[62:63], v[100:101], v[84:85], v[62:63] neg_lo:[0,0,1] neg_hi:[0,0,1]
	s_delay_alu instid0(VALU_DEP_3) | instskip(NEXT) | instid1(VALU_DEP_3)
	v_pk_add_f32 v[56:57], v[56:57], v[58:59]
	v_dual_mov_b32 v58, v91 :: v_dual_mov_b32 v63, v65
	v_pk_fma_f32 v[64:65], v[102:103], v[86:87], v[66:67] op_sel_hi:[1,0,1]
	v_pk_fma_f32 v[66:67], v[102:103], v[86:87], v[66:67] neg_lo:[0,0,1] neg_hi:[0,0,1]
	s_delay_alu instid0(VALU_DEP_4)
	v_pk_add_f32 v[56:57], v[56:57], v[60:61]
	v_pk_fma_f32 v[60:61], v[104:105], v[88:89], v[68:69] op_sel_hi:[1,0,1]
	v_pk_mul_f32 v[58:59], v[140:141], v[58:59] op_sel_hi:[1,0]
	v_mov_b32_e32 v67, v65
	s_wait_loadcnt_dscnt 0x100
	v_pk_mul_f32 v[64:65], v[132:133], v[128:129] op_sel:[1,1] op_sel_hi:[0,1]
	v_pk_add_f32 v[56:57], v[56:57], v[62:63]
	v_pk_fma_f32 v[62:63], v[104:105], v[88:89], v[68:69] neg_lo:[0,0,1] neg_hi:[0,0,1]
	v_mov_b32_e32 v63, v61
	v_pk_fma_f32 v[60:61], v[106:107], v[90:91], v[58:59] op_sel_hi:[1,0,1]
	v_pk_fma_f32 v[58:59], v[106:107], v[90:91], v[58:59] neg_lo:[0,0,1] neg_hi:[0,0,1]
	v_pk_add_f32 v[56:57], v[56:57], v[66:67]
	s_delay_alu instid0(VALU_DEP_3) | instskip(SKIP_1) | instid1(VALU_DEP_3)
	v_mov_b32_e32 v59, v61
	v_pk_fma_f32 v[60:61], v[132:133], v[128:129], v[64:65] op_sel_hi:[1,0,1]
	v_pk_add_f32 v[56:57], v[56:57], v[62:63]
	v_pk_fma_f32 v[62:63], v[132:133], v[128:129], v[64:65] neg_lo:[0,0,1] neg_hi:[0,0,1]
	s_delay_alu instid0(VALU_DEP_3) | instskip(NEXT) | instid1(VALU_DEP_3)
	v_mov_b32_e32 v63, v61
	v_pk_add_f32 v[56:57], v[56:57], v[58:59]
	s_delay_alu instid0(VALU_DEP_1) | instskip(SKIP_1) | instid1(VALU_DEP_1)
	v_pk_add_f32 v[56:57], v[56:57], v[62:63]
	s_wait_loadcnt 0x0
	v_pk_add_f32 v[56:57], v[130:131], v[56:57] neg_lo:[0,1] neg_hi:[0,1]
	scratch_store_b64 off, v[56:57], off offset:56
	s_wait_xcnt 0x0
	v_cmpx_lt_u32_e32 6, v0
	s_cbranch_execz .LBB26_163
; %bb.162:
	scratch_load_b64 v[56:57], off, off offset:48
	v_mov_b64_e32 v[58:59], 0
	scratch_store_b64 off, v[58:59], off offset:48
	s_wait_loadcnt 0x0
	ds_store_b64 v1, v[56:57]
.LBB26_163:
	s_wait_xcnt 0x0
	s_or_b32 exec_lo, exec_lo, s0
	s_wait_storecnt_dscnt 0x0
	s_barrier_signal -1
	s_barrier_wait -1
	s_clause 0xa
	scratch_load_b128 v[56:59], off, off offset:56
	scratch_load_b128 v[60:63], off, off offset:72
	;; [unrolled: 1-line block ×10, first 2 shown]
	scratch_load_b64 v[136:137], off, off offset:48
	ds_load_2addr_b64 v[96:99], v3 offset0:47 offset1:48
	ds_load_2addr_b64 v[100:103], v3 offset0:49 offset1:50
	;; [unrolled: 1-line block ×10, first 2 shown]
	s_mov_b32 s0, exec_lo
	s_wait_dscnt 0x9
	v_dual_mov_b32 v138, v99 :: v_dual_mov_b32 v139, v98
	s_wait_dscnt 0x8
	v_dual_mov_b32 v140, v103 :: v_dual_mov_b32 v141, v102
	;; [unrolled: 2-line block ×4, first 2 shown]
	s_wait_loadcnt_dscnt 0xa05
	v_dual_mul_f32 v3, v112, v57 :: v_dual_mul_f32 v7, v114, v59
	v_dual_mul_f32 v27, v113, v57 :: v_dual_mul_f32 v29, v115, v59
	s_wait_loadcnt_dscnt 0x904
	v_dual_mul_f32 v11, v116, v61 :: v_dual_mul_f32 v13, v118, v63
	s_delay_alu instid0(VALU_DEP_3) | instskip(SKIP_3) | instid1(VALU_DEP_3)
	v_fmac_f32_e32 v3, v113, v56
	s_wait_loadcnt_dscnt 0x702
	v_dual_fma_f32 v27, v112, v56, -v27 :: v_dual_mul_f32 v39, v125, v69
	v_dual_fma_f32 v29, v114, v58, -v29 :: v_dual_fmac_f32 v7, v115, v58
	v_dual_add_f32 v3, 0, v3 :: v_dual_mul_f32 v31, v117, v61
	v_mul_f32_e32 v33, v119, v63
	s_delay_alu instid0(VALU_DEP_4) | instskip(NEXT) | instid1(VALU_DEP_3)
	v_dual_add_f32 v27, 0, v27 :: v_dual_fmac_f32 v11, v117, v60
	v_dual_add_f32 v3, v3, v7 :: v_dual_mul_f32 v15, v120, v65
	v_dual_mul_f32 v17, v122, v67 :: v_dual_mul_f32 v35, v121, v65
	v_mul_f32_e32 v37, v123, v67
	v_dual_mul_f32 v41, v127, v71 :: v_dual_fma_f32 v31, v116, v60, -v31
	v_dual_add_f32 v7, v27, v29 :: v_dual_fma_f32 v29, v118, v62, -v33
	s_wait_loadcnt_dscnt 0x601
	v_dual_mul_f32 v27, v129, v73 :: v_dual_fmac_f32 v13, v119, v62
	v_dual_fmac_f32 v15, v121, v64 :: v_dual_add_f32 v3, v3, v11
	v_dual_mul_f32 v19, v124, v69 :: v_dual_mul_f32 v21, v126, v71
	v_dual_add_f32 v7, v7, v31 :: v_dual_fma_f32 v31, v120, v64, -v35
	s_delay_alu instid0(VALU_DEP_2) | instskip(SKIP_4) | instid1(VALU_DEP_3)
	v_dual_add_f32 v3, v3, v13 :: v_dual_fmac_f32 v19, v125, v68
	v_dual_mul_f32 v23, v128, v73 :: v_dual_mul_f32 v25, v130, v75
	s_wait_loadcnt_dscnt 0x500
	v_mul_f32_e32 v13, v133, v77
	v_add_f32_e32 v7, v7, v29
	v_dual_fmac_f32 v17, v123, v66 :: v_dual_fmac_f32 v23, v129, v72
	v_dual_add_f32 v3, v3, v15 :: v_dual_mul_f32 v147, v132, v77
	v_mul_f32_e32 v149, v134, v79
	v_dual_mul_f32 v11, v131, v75 :: v_dual_fma_f32 v29, v122, v66, -v37
	v_add_f32_e32 v7, v7, v31
	s_delay_alu instid0(VALU_DEP_4) | instskip(NEXT) | instid1(VALU_DEP_3)
	v_dual_add_f32 v3, v3, v17 :: v_dual_fmac_f32 v147, v133, v76
	v_dual_mul_f32 v15, v135, v79 :: v_dual_fma_f32 v11, v130, v74, -v11
	s_delay_alu instid0(VALU_DEP_2) | instskip(NEXT) | instid1(VALU_DEP_4)
	v_dual_fma_f32 v31, v124, v68, -v39 :: v_dual_add_f32 v3, v3, v19
	v_dual_fma_f32 v19, v128, v72, -v27 :: v_dual_add_f32 v7, v7, v29
	v_fma_f32 v146, v132, v76, -v13
	v_fmac_f32_e32 v21, v127, v70
	v_fma_f32 v17, v126, v70, -v41
	s_delay_alu instid0(VALU_DEP_4) | instskip(SKIP_1) | instid1(VALU_DEP_4)
	v_dual_fma_f32 v148, v134, v78, -v15 :: v_dual_add_f32 v7, v7, v31
	v_fmac_f32_e32 v25, v131, v74
	v_add_f32_e32 v3, v3, v21
	s_wait_loadcnt 0x4
	v_pk_mul_f32 v[56:57], v[96:97], v[80:81] op_sel:[1,1] op_sel_hi:[0,1]
	s_wait_loadcnt 0x3
	v_dual_mov_b32 v58, v83 :: v_dual_mov_b32 v62, v87
	v_add_f32_e32 v7, v7, v17
	v_add_f32_e32 v3, v3, v23
	v_fmac_f32_e32 v149, v135, v78
	v_pk_fma_f32 v[66:67], v[96:97], v[80:81], v[56:57] op_sel_hi:[1,0,1]
	v_pk_mul_f32 v[58:59], v[138:139], v[58:59] op_sel_hi:[1,0]
	v_add_f32_e32 v7, v7, v19
	v_add_f32_e32 v65, v3, v25
	v_pk_fma_f32 v[56:57], v[96:97], v[80:81], v[56:57] neg_lo:[0,0,1] neg_hi:[0,0,1]
	v_pk_mul_f32 v[60:61], v[100:101], v[84:85] op_sel:[1,1] op_sel_hi:[0,1]
	v_mov_b32_e32 v57, v67
	v_add_f32_e32 v64, v7, v11
	v_pk_fma_f32 v[66:67], v[98:99], v[82:83], v[58:59] op_sel_hi:[1,0,1]
	v_pk_fma_f32 v[58:59], v[98:99], v[82:83], v[58:59] neg_lo:[0,0,1] neg_hi:[0,0,1]
	v_pk_fma_f32 v[70:71], v[100:101], v[84:85], v[60:61] op_sel_hi:[1,0,1]
	v_pk_mul_f32 v[62:63], v[140:141], v[62:63] op_sel_hi:[1,0]
	v_pk_add_f32 v[64:65], v[64:65], v[146:147]
	v_mov_b32_e32 v59, v67
	s_wait_loadcnt 0x2
	v_pk_mul_f32 v[68:69], v[104:105], v[88:89] op_sel:[1,1] op_sel_hi:[0,1]
	v_pk_fma_f32 v[60:61], v[100:101], v[84:85], v[60:61] neg_lo:[0,0,1] neg_hi:[0,0,1]
	v_mov_b32_e32 v61, v71
	v_pk_add_f32 v[64:65], v[64:65], v[148:149]
	v_pk_fma_f32 v[66:67], v[102:103], v[86:87], v[62:63] op_sel_hi:[1,0,1]
	v_pk_fma_f32 v[62:63], v[102:103], v[86:87], v[62:63] neg_lo:[0,0,1] neg_hi:[0,0,1]
	s_delay_alu instid0(VALU_DEP_3) | instskip(SKIP_1) | instid1(VALU_DEP_2)
	v_pk_add_f32 v[56:57], v[64:65], v[56:57]
	v_mov_b32_e32 v64, v91
	v_pk_add_f32 v[56:57], v[56:57], v[58:59]
	v_pk_fma_f32 v[58:59], v[104:105], v[88:89], v[68:69] op_sel_hi:[1,0,1]
	s_delay_alu instid0(VALU_DEP_3)
	v_pk_mul_f32 v[64:65], v[142:143], v[64:65] op_sel_hi:[1,0]
	v_mov_b32_e32 v63, v67
	v_pk_fma_f32 v[66:67], v[104:105], v[88:89], v[68:69] neg_lo:[0,0,1] neg_hi:[0,0,1]
	v_pk_add_f32 v[56:57], v[56:57], v[60:61]
	v_mov_b32_e32 v67, v59
	v_pk_fma_f32 v[58:59], v[106:107], v[90:91], v[64:65] op_sel_hi:[1,0,1]
	s_wait_loadcnt 0x1
	v_pk_mul_f32 v[60:61], v[108:109], v[92:93] op_sel:[1,1] op_sel_hi:[0,1]
	v_mov_b32_e32 v58, v95
	v_pk_add_f32 v[56:57], v[56:57], v[62:63]
	v_pk_fma_f32 v[64:65], v[106:107], v[90:91], v[64:65] neg_lo:[0,0,1] neg_hi:[0,0,1]
	v_mov_b32_e32 v65, v59
	v_pk_fma_f32 v[62:63], v[108:109], v[92:93], v[60:61] op_sel_hi:[1,0,1]
	v_pk_mul_f32 v[58:59], v[144:145], v[58:59] op_sel_hi:[1,0]
	v_pk_add_f32 v[56:57], v[56:57], v[66:67]
	v_pk_fma_f32 v[60:61], v[108:109], v[92:93], v[60:61] neg_lo:[0,0,1] neg_hi:[0,0,1]
	s_delay_alu instid0(VALU_DEP_4) | instskip(NEXT) | instid1(VALU_DEP_4)
	v_mov_b32_e32 v61, v63
	v_pk_fma_f32 v[62:63], v[110:111], v[94:95], v[58:59] op_sel_hi:[1,0,1]
	s_delay_alu instid0(VALU_DEP_4) | instskip(SKIP_1) | instid1(VALU_DEP_3)
	v_pk_add_f32 v[56:57], v[56:57], v[64:65]
	v_pk_fma_f32 v[58:59], v[110:111], v[94:95], v[58:59] neg_lo:[0,0,1] neg_hi:[0,0,1]
	v_mov_b32_e32 v59, v63
	s_delay_alu instid0(VALU_DEP_3) | instskip(NEXT) | instid1(VALU_DEP_1)
	v_pk_add_f32 v[56:57], v[56:57], v[60:61]
	v_pk_add_f32 v[56:57], v[56:57], v[58:59]
	s_wait_loadcnt 0x0
	s_delay_alu instid0(VALU_DEP_1)
	v_pk_add_f32 v[56:57], v[136:137], v[56:57] neg_lo:[0,1] neg_hi:[0,1]
	scratch_store_b64 off, v[56:57], off offset:48
	s_wait_xcnt 0x0
	v_cmpx_lt_u32_e32 5, v0
	s_cbranch_execz .LBB26_165
; %bb.164:
	scratch_load_b64 v[56:57], off, off offset:40
	v_mov_b64_e32 v[58:59], 0
	scratch_store_b64 off, v[58:59], off offset:40
	s_wait_loadcnt 0x0
	ds_store_b64 v1, v[56:57]
.LBB26_165:
	s_wait_xcnt 0x0
	s_or_b32 exec_lo, exec_lo, s0
	s_wait_storecnt_dscnt 0x0
	s_barrier_signal -1
	s_barrier_wait -1
	s_clause 0xb
	scratch_load_b128 v[56:59], off, off offset:48
	scratch_load_b128 v[60:63], off, off offset:64
	scratch_load_b128 v[64:67], off, off offset:80
	scratch_load_b128 v[68:71], off, off offset:96
	scratch_load_b128 v[72:75], off, off offset:112
	scratch_load_b128 v[76:79], off, off offset:128
	scratch_load_b128 v[80:83], off, off offset:144
	scratch_load_b128 v[84:87], off, off offset:160
	scratch_load_b128 v[88:91], off, off offset:176
	scratch_load_b128 v[92:95], off, off offset:192
	scratch_load_b64 v[136:137], off, off offset:208
	scratch_load_b64 v[138:139], off, off offset:40
	v_mov_b32_e32 v3, 0
	ds_load_b128 v[96:99], v3 offset:368
	ds_load_b128 v[100:103], v3 offset:384
	;; [unrolled: 1-line block ×10, first 2 shown]
	ds_load_b64 v[140:141], v3 offset:432
	s_mov_b32 s0, exec_lo
	s_wait_dscnt 0xa
	v_dual_mov_b32 v142, v99 :: v_dual_mov_b32 v143, v98
	s_wait_dscnt 0x7
	v_dual_mov_b32 v144, v103 :: v_dual_mov_b32 v149, v110
	v_dual_mov_b32 v145, v102 :: v_dual_mov_b32 v146, v107
	v_dual_mov_b32 v147, v106 :: v_dual_mov_b32 v148, v111
	s_wait_loadcnt_dscnt 0xb06
	v_dual_mul_f32 v7, v112, v57 :: v_dual_mul_f32 v11, v114, v59
	s_wait_loadcnt_dscnt 0xa05
	v_mul_f32_e32 v13, v116, v61
	v_dual_mul_f32 v31, v113, v57 :: v_dual_mul_f32 v33, v115, v59
	s_wait_loadcnt_dscnt 0x803
	v_dual_fmac_f32 v7, v113, v56 :: v_dual_mul_f32 v45, v127, v71
	v_dual_mul_f32 v35, v117, v61 :: v_dual_mul_f32 v37, v119, v63
	s_delay_alu instid0(VALU_DEP_3)
	v_dual_mul_f32 v43, v125, v69 :: v_dual_fma_f32 v31, v112, v56, -v31
	v_dual_fmac_f32 v11, v115, v58 :: v_dual_fma_f32 v33, v114, v58, -v33
	s_wait_loadcnt_dscnt 0x702
	v_dual_add_f32 v7, 0, v7 :: v_dual_mul_f32 v47, v129, v73
	v_dual_mul_f32 v15, v118, v63 :: v_dual_mul_f32 v17, v120, v65
	v_dual_add_f32 v31, 0, v31 :: v_dual_fmac_f32 v13, v117, v60
	s_delay_alu instid0(VALU_DEP_3) | instskip(SKIP_1) | instid1(VALU_DEP_3)
	v_dual_fma_f32 v35, v116, v60, -v35 :: v_dual_add_f32 v7, v7, v11
	v_dual_mul_f32 v39, v121, v65 :: v_dual_mul_f32 v41, v123, v67
	v_dual_add_f32 v11, v31, v33 :: v_dual_fma_f32 v33, v118, v62, -v37
	v_dual_fmac_f32 v15, v119, v62 :: v_dual_fmac_f32 v17, v121, v64
	s_delay_alu instid0(VALU_DEP_4) | instskip(NEXT) | instid1(VALU_DEP_3)
	v_dual_add_f32 v7, v7, v13 :: v_dual_mul_f32 v19, v122, v67
	v_dual_mul_f32 v21, v124, v69 :: v_dual_add_f32 v11, v11, v35
	s_delay_alu instid0(VALU_DEP_2) | instskip(SKIP_1) | instid1(VALU_DEP_3)
	v_dual_fma_f32 v35, v120, v64, -v39 :: v_dual_add_f32 v7, v7, v15
	v_dual_mul_f32 v23, v126, v71 :: v_dual_mul_f32 v25, v128, v73
	v_dual_add_f32 v11, v11, v33 :: v_dual_fmac_f32 v21, v125, v68
	v_fmac_f32_e32 v19, v123, v66
	s_delay_alu instid0(VALU_DEP_4) | instskip(SKIP_3) | instid1(VALU_DEP_3)
	v_add_f32_e32 v7, v7, v17
	s_wait_loadcnt_dscnt 0x601
	v_dual_mul_f32 v31, v131, v75 :: v_dual_mul_f32 v13, v133, v77
	v_dual_fma_f32 v33, v122, v66, -v41 :: v_dual_add_f32 v11, v11, v35
	v_dual_fmac_f32 v25, v129, v72 :: v_dual_add_f32 v7, v7, v19
	v_dual_mul_f32 v27, v130, v75 :: v_dual_mul_f32 v29, v132, v77
	v_dual_mul_f32 v15, v135, v79 :: v_dual_fma_f32 v35, v124, v68, -v43
	s_wait_loadcnt 0x4
	v_dual_mov_b32 v56, v83 :: v_dual_mov_b32 v60, v87
	s_delay_alu instid0(VALU_DEP_2) | instskip(SKIP_4) | instid1(VALU_DEP_4)
	v_dual_add_f32 v7, v7, v21 :: v_dual_fma_f32 v150, v134, v78, -v15
	v_dual_fma_f32 v21, v128, v72, -v47 :: v_dual_add_f32 v11, v11, v33
	v_dual_fmac_f32 v29, v133, v76 :: v_dual_mul_f32 v151, v134, v79
	v_dual_mul_f32 v153, v96, v81 :: v_dual_fmac_f32 v23, v127, v70
	v_fma_f32 v13, v132, v76, -v13
	v_dual_fma_f32 v19, v126, v70, -v45 :: v_dual_add_f32 v11, v11, v35
	s_delay_alu instid0(VALU_DEP_3) | instskip(SKIP_4) | instid1(VALU_DEP_4)
	v_fmac_f32_e32 v153, v97, v80
	v_pk_mul_f32 v[56:57], v[142:143], v[56:57] op_sel_hi:[1,0]
	v_dual_mul_f32 v17, v97, v81 :: v_dual_add_f32 v7, v7, v23
	v_fmac_f32_e32 v27, v131, v74
	v_fmac_f32_e32 v151, v135, v78
	v_pk_fma_f32 v[68:69], v[98:99], v[82:83], v[56:57] op_sel_hi:[1,0,1]
	v_add_f32_e32 v11, v11, v19
	v_pk_fma_f32 v[56:57], v[98:99], v[82:83], v[56:57] neg_lo:[0,0,1] neg_hi:[0,0,1]
	v_dual_fma_f32 v19, v130, v74, -v31 :: v_dual_fma_f32 v152, v96, v80, -v17
	s_delay_alu instid0(VALU_DEP_4) | instskip(NEXT) | instid1(VALU_DEP_4)
	v_dual_add_f32 v7, v7, v25 :: v_dual_mov_b32 v57, v69
	v_add_f32_e32 v11, v11, v21
	v_pk_mul_f32 v[58:59], v[100:101], v[84:85] op_sel:[1,1] op_sel_hi:[0,1]
	v_pk_mul_f32 v[60:61], v[144:145], v[60:61] op_sel_hi:[1,0]
	s_delay_alu instid0(VALU_DEP_4)
	v_add_f32_e32 v7, v7, v27
	s_wait_loadcnt 0x3
	v_pk_mul_f32 v[62:63], v[104:105], v[88:89] op_sel:[1,1] op_sel_hi:[0,1]
	v_add_f32_e32 v11, v11, v19
	v_pk_fma_f32 v[70:71], v[100:101], v[84:85], v[58:59] op_sel_hi:[1,0,1]
	v_pk_fma_f32 v[58:59], v[100:101], v[84:85], v[58:59] neg_lo:[0,0,1] neg_hi:[0,0,1]
	v_add_f32_e32 v65, v7, v29
	v_mov_b32_e32 v66, v91
	v_add_f32_e32 v64, v11, v13
	v_mov_b32_e32 v59, v71
	v_pk_fma_f32 v[70:71], v[102:103], v[86:87], v[60:61] op_sel_hi:[1,0,1]
	v_pk_fma_f32 v[60:61], v[102:103], v[86:87], v[60:61] neg_lo:[0,0,1] neg_hi:[0,0,1]
	v_pk_mul_f32 v[66:67], v[146:147], v[66:67] op_sel_hi:[1,0]
	v_pk_add_f32 v[64:65], v[64:65], v[150:151]
	s_wait_loadcnt 0x2
	v_pk_mul_f32 v[68:69], v[108:109], v[92:93] op_sel:[1,1] op_sel_hi:[0,1]
	v_mov_b32_e32 v61, v71
	s_delay_alu instid0(VALU_DEP_3) | instskip(NEXT) | instid1(VALU_DEP_1)
	v_pk_add_f32 v[64:65], v[64:65], v[152:153]
	v_pk_add_f32 v[56:57], v[64:65], v[56:57]
	v_pk_fma_f32 v[64:65], v[104:105], v[88:89], v[62:63] op_sel_hi:[1,0,1]
	v_pk_fma_f32 v[62:63], v[104:105], v[88:89], v[62:63] neg_lo:[0,0,1] neg_hi:[0,0,1]
	s_delay_alu instid0(VALU_DEP_3) | instskip(NEXT) | instid1(VALU_DEP_3)
	v_pk_add_f32 v[56:57], v[56:57], v[58:59]
	v_dual_mov_b32 v58, v95 :: v_dual_mov_b32 v63, v65
	v_pk_fma_f32 v[64:65], v[106:107], v[90:91], v[66:67] op_sel_hi:[1,0,1]
	v_pk_fma_f32 v[66:67], v[106:107], v[90:91], v[66:67] neg_lo:[0,0,1] neg_hi:[0,0,1]
	s_delay_alu instid0(VALU_DEP_4)
	v_pk_add_f32 v[56:57], v[56:57], v[60:61]
	v_pk_fma_f32 v[60:61], v[108:109], v[92:93], v[68:69] op_sel_hi:[1,0,1]
	v_pk_mul_f32 v[58:59], v[148:149], v[58:59] op_sel_hi:[1,0]
	v_mov_b32_e32 v67, v65
	s_wait_loadcnt_dscnt 0x100
	v_pk_mul_f32 v[64:65], v[140:141], v[136:137] op_sel:[1,1] op_sel_hi:[0,1]
	v_pk_add_f32 v[56:57], v[56:57], v[62:63]
	v_pk_fma_f32 v[62:63], v[108:109], v[92:93], v[68:69] neg_lo:[0,0,1] neg_hi:[0,0,1]
	v_mov_b32_e32 v63, v61
	v_pk_fma_f32 v[60:61], v[110:111], v[94:95], v[58:59] op_sel_hi:[1,0,1]
	v_pk_fma_f32 v[58:59], v[110:111], v[94:95], v[58:59] neg_lo:[0,0,1] neg_hi:[0,0,1]
	v_pk_add_f32 v[56:57], v[56:57], v[66:67]
	s_delay_alu instid0(VALU_DEP_3) | instskip(SKIP_1) | instid1(VALU_DEP_3)
	v_mov_b32_e32 v59, v61
	v_pk_fma_f32 v[60:61], v[140:141], v[136:137], v[64:65] op_sel_hi:[1,0,1]
	v_pk_add_f32 v[56:57], v[56:57], v[62:63]
	v_pk_fma_f32 v[62:63], v[140:141], v[136:137], v[64:65] neg_lo:[0,0,1] neg_hi:[0,0,1]
	s_delay_alu instid0(VALU_DEP_3) | instskip(NEXT) | instid1(VALU_DEP_3)
	v_mov_b32_e32 v63, v61
	v_pk_add_f32 v[56:57], v[56:57], v[58:59]
	s_delay_alu instid0(VALU_DEP_1) | instskip(SKIP_1) | instid1(VALU_DEP_1)
	v_pk_add_f32 v[56:57], v[56:57], v[62:63]
	s_wait_loadcnt 0x0
	v_pk_add_f32 v[56:57], v[138:139], v[56:57] neg_lo:[0,1] neg_hi:[0,1]
	scratch_store_b64 off, v[56:57], off offset:40
	s_wait_xcnt 0x0
	v_cmpx_lt_u32_e32 4, v0
	s_cbranch_execz .LBB26_167
; %bb.166:
	scratch_load_b64 v[56:57], off, off offset:32
	v_mov_b64_e32 v[58:59], 0
	scratch_store_b64 off, v[58:59], off offset:32
	s_wait_loadcnt 0x0
	ds_store_b64 v1, v[56:57]
.LBB26_167:
	s_wait_xcnt 0x0
	s_or_b32 exec_lo, exec_lo, s0
	s_wait_storecnt_dscnt 0x0
	s_barrier_signal -1
	s_barrier_wait -1
	s_clause 0xb
	scratch_load_b128 v[56:59], off, off offset:40
	scratch_load_b128 v[60:63], off, off offset:56
	;; [unrolled: 1-line block ×11, first 2 shown]
	scratch_load_b64 v[144:145], off, off offset:32
	ds_load_2addr_b64 v[100:103], v3 offset0:47 offset1:48
	ds_load_2addr_b64 v[104:107], v3 offset0:49 offset1:50
	;; [unrolled: 1-line block ×11, first 2 shown]
	s_mov_b32 s0, exec_lo
	s_wait_dscnt 0xa
	v_dual_mov_b32 v146, v103 :: v_dual_mov_b32 v147, v102
	s_wait_dscnt 0x9
	v_dual_mov_b32 v148, v107 :: v_dual_mov_b32 v149, v106
	;; [unrolled: 2-line block ×4, first 2 shown]
	s_wait_loadcnt_dscnt 0xb06
	v_dual_mul_f32 v3, v116, v57 :: v_dual_mul_f32 v7, v118, v59
	v_dual_mul_f32 v31, v117, v57 :: v_dual_mul_f32 v33, v119, v59
	s_wait_loadcnt_dscnt 0xa05
	v_dual_mul_f32 v11, v120, v61 :: v_dual_mul_f32 v13, v122, v63
	s_delay_alu instid0(VALU_DEP_3)
	v_fmac_f32_e32 v3, v117, v56
	s_wait_loadcnt_dscnt 0x803
	v_dual_fma_f32 v31, v116, v56, -v31 :: v_dual_mul_f32 v43, v129, v69
	v_dual_mul_f32 v35, v121, v61 :: v_dual_mul_f32 v37, v123, v63
	v_dual_fma_f32 v33, v118, v58, -v33 :: v_dual_fmac_f32 v7, v119, v58
	v_add_f32_e32 v3, 0, v3
	s_delay_alu instid0(VALU_DEP_4) | instskip(NEXT) | instid1(VALU_DEP_4)
	v_dual_add_f32 v31, 0, v31 :: v_dual_fmac_f32 v11, v121, v60
	v_dual_mul_f32 v45, v131, v71 :: v_dual_fma_f32 v35, v120, v60, -v35
	s_delay_alu instid0(VALU_DEP_3) | instskip(NEXT) | instid1(VALU_DEP_3)
	v_add_f32_e32 v3, v3, v7
	v_dual_add_f32 v7, v31, v33 :: v_dual_fma_f32 v33, v122, v62, -v37
	v_dual_mul_f32 v15, v124, v65 :: v_dual_mul_f32 v17, v126, v67
	v_dual_mul_f32 v39, v125, v65 :: v_dual_mul_f32 v41, v127, v67
	s_wait_loadcnt_dscnt 0x702
	v_dual_mul_f32 v31, v133, v73 :: v_dual_fmac_f32 v13, v123, v62
	s_delay_alu instid0(VALU_DEP_3) | instskip(SKIP_2) | instid1(VALU_DEP_3)
	v_dual_fmac_f32 v15, v125, v64 :: v_dual_add_f32 v3, v3, v11
	v_dual_add_f32 v7, v7, v35 :: v_dual_mul_f32 v19, v128, v69
	v_dual_mul_f32 v21, v130, v71 :: v_dual_fma_f32 v35, v124, v64, -v39
	v_add_f32_e32 v3, v3, v13
	s_wait_loadcnt_dscnt 0x601
	v_mul_f32_e32 v13, v137, v77
	v_add_f32_e32 v7, v7, v33
	v_dual_mul_f32 v23, v132, v73 :: v_dual_mul_f32 v25, v134, v75
	v_dual_mul_f32 v11, v135, v75 :: v_dual_fma_f32 v33, v126, v66, -v41
	s_delay_alu instid0(VALU_DEP_2) | instskip(NEXT) | instid1(VALU_DEP_4)
	v_dual_fmac_f32 v17, v127, v66 :: v_dual_fmac_f32 v23, v133, v72
	v_dual_add_f32 v7, v7, v35 :: v_dual_fmac_f32 v19, v129, v68
	v_dual_add_f32 v3, v3, v15 :: v_dual_mul_f32 v27, v136, v77
	v_dual_mul_f32 v29, v138, v79 :: v_dual_fma_f32 v35, v128, v68, -v43
	s_delay_alu instid0(VALU_DEP_3) | instskip(NEXT) | instid1(VALU_DEP_3)
	v_add_f32_e32 v7, v7, v33
	v_dual_add_f32 v3, v3, v17 :: v_dual_fma_f32 v11, v134, v74, -v11
	s_wait_loadcnt_dscnt 0x500
	v_dual_mul_f32 v155, v140, v81 :: v_dual_mul_f32 v157, v142, v83
	v_dual_mul_f32 v15, v139, v79 :: v_dual_fma_f32 v31, v132, v72, -v31
	v_dual_mul_f32 v17, v141, v81 :: v_dual_fmac_f32 v21, v131, v70
	s_delay_alu instid0(VALU_DEP_3) | instskip(SKIP_2) | instid1(VALU_DEP_4)
	v_dual_fmac_f32 v155, v141, v80 :: v_dual_fma_f32 v33, v130, v70, -v45
	v_dual_add_f32 v3, v3, v19 :: v_dual_fma_f32 v13, v136, v76, -v13
	v_dual_fmac_f32 v27, v137, v76 :: v_dual_add_f32 v7, v7, v35
	v_dual_mul_f32 v19, v143, v83 :: v_dual_fma_f32 v154, v140, v80, -v17
	s_delay_alu instid0(VALU_DEP_3) | instskip(SKIP_1) | instid1(VALU_DEP_3)
	v_add_f32_e32 v3, v3, v21
	v_fmac_f32_e32 v25, v135, v74
	v_dual_add_f32 v7, v7, v33 :: v_dual_fma_f32 v156, v142, v82, -v19
	v_fmac_f32_e32 v29, v139, v78
	s_delay_alu instid0(VALU_DEP_4)
	v_add_f32_e32 v3, v3, v23
	s_wait_loadcnt 0x4
	v_pk_mul_f32 v[56:57], v[100:101], v[84:85] op_sel:[1,1] op_sel_hi:[0,1]
	v_add_f32_e32 v7, v7, v31
	s_wait_loadcnt 0x3
	v_dual_mov_b32 v58, v87 :: v_dual_mov_b32 v62, v91
	v_add_f32_e32 v3, v3, v25
	v_fmac_f32_e32 v157, v143, v82
	v_dual_add_f32 v7, v7, v11 :: v_dual_fma_f32 v11, v138, v78, -v15
	v_pk_fma_f32 v[66:67], v[100:101], v[84:85], v[56:57] op_sel_hi:[1,0,1]
	s_delay_alu instid0(VALU_DEP_4) | instskip(SKIP_1) | instid1(VALU_DEP_4)
	v_add_f32_e32 v3, v3, v27
	v_pk_mul_f32 v[58:59], v[146:147], v[58:59] op_sel_hi:[1,0]
	v_add_f32_e32 v7, v7, v13
	v_pk_fma_f32 v[56:57], v[100:101], v[84:85], v[56:57] neg_lo:[0,0,1] neg_hi:[0,0,1]
	v_pk_mul_f32 v[60:61], v[104:105], v[88:89] op_sel:[1,1] op_sel_hi:[0,1]
	v_add_f32_e32 v65, v3, v29
	v_mov_b32_e32 v57, v67
	v_add_f32_e32 v64, v7, v11
	v_pk_fma_f32 v[66:67], v[102:103], v[86:87], v[58:59] op_sel_hi:[1,0,1]
	v_pk_fma_f32 v[58:59], v[102:103], v[86:87], v[58:59] neg_lo:[0,0,1] neg_hi:[0,0,1]
	v_pk_fma_f32 v[70:71], v[104:105], v[88:89], v[60:61] op_sel_hi:[1,0,1]
	v_pk_mul_f32 v[62:63], v[148:149], v[62:63] op_sel_hi:[1,0]
	v_pk_add_f32 v[64:65], v[64:65], v[154:155]
	v_mov_b32_e32 v59, v67
	s_wait_loadcnt 0x2
	v_pk_mul_f32 v[68:69], v[108:109], v[92:93] op_sel:[1,1] op_sel_hi:[0,1]
	v_pk_fma_f32 v[60:61], v[104:105], v[88:89], v[60:61] neg_lo:[0,0,1] neg_hi:[0,0,1]
	v_mov_b32_e32 v61, v71
	v_pk_add_f32 v[64:65], v[64:65], v[156:157]
	v_pk_fma_f32 v[66:67], v[106:107], v[90:91], v[62:63] op_sel_hi:[1,0,1]
	v_pk_fma_f32 v[62:63], v[106:107], v[90:91], v[62:63] neg_lo:[0,0,1] neg_hi:[0,0,1]
	s_delay_alu instid0(VALU_DEP_3) | instskip(SKIP_1) | instid1(VALU_DEP_2)
	v_pk_add_f32 v[56:57], v[64:65], v[56:57]
	v_mov_b32_e32 v64, v95
	v_pk_add_f32 v[56:57], v[56:57], v[58:59]
	v_pk_fma_f32 v[58:59], v[108:109], v[92:93], v[68:69] op_sel_hi:[1,0,1]
	s_delay_alu instid0(VALU_DEP_3)
	v_pk_mul_f32 v[64:65], v[150:151], v[64:65] op_sel_hi:[1,0]
	v_mov_b32_e32 v63, v67
	v_pk_fma_f32 v[66:67], v[108:109], v[92:93], v[68:69] neg_lo:[0,0,1] neg_hi:[0,0,1]
	v_pk_add_f32 v[56:57], v[56:57], v[60:61]
	v_mov_b32_e32 v67, v59
	v_pk_fma_f32 v[58:59], v[110:111], v[94:95], v[64:65] op_sel_hi:[1,0,1]
	s_wait_loadcnt 0x1
	v_pk_mul_f32 v[60:61], v[112:113], v[96:97] op_sel:[1,1] op_sel_hi:[0,1]
	v_mov_b32_e32 v58, v99
	v_pk_add_f32 v[56:57], v[56:57], v[62:63]
	v_pk_fma_f32 v[64:65], v[110:111], v[94:95], v[64:65] neg_lo:[0,0,1] neg_hi:[0,0,1]
	v_mov_b32_e32 v65, v59
	v_pk_fma_f32 v[62:63], v[112:113], v[96:97], v[60:61] op_sel_hi:[1,0,1]
	v_pk_mul_f32 v[58:59], v[152:153], v[58:59] op_sel_hi:[1,0]
	v_pk_add_f32 v[56:57], v[56:57], v[66:67]
	v_pk_fma_f32 v[60:61], v[112:113], v[96:97], v[60:61] neg_lo:[0,0,1] neg_hi:[0,0,1]
	s_delay_alu instid0(VALU_DEP_4) | instskip(NEXT) | instid1(VALU_DEP_4)
	v_mov_b32_e32 v61, v63
	v_pk_fma_f32 v[62:63], v[114:115], v[98:99], v[58:59] op_sel_hi:[1,0,1]
	s_delay_alu instid0(VALU_DEP_4) | instskip(SKIP_1) | instid1(VALU_DEP_3)
	v_pk_add_f32 v[56:57], v[56:57], v[64:65]
	v_pk_fma_f32 v[58:59], v[114:115], v[98:99], v[58:59] neg_lo:[0,0,1] neg_hi:[0,0,1]
	v_mov_b32_e32 v59, v63
	s_delay_alu instid0(VALU_DEP_3) | instskip(NEXT) | instid1(VALU_DEP_1)
	v_pk_add_f32 v[56:57], v[56:57], v[60:61]
	v_pk_add_f32 v[56:57], v[56:57], v[58:59]
	s_wait_loadcnt 0x0
	s_delay_alu instid0(VALU_DEP_1)
	v_pk_add_f32 v[56:57], v[144:145], v[56:57] neg_lo:[0,1] neg_hi:[0,1]
	scratch_store_b64 off, v[56:57], off offset:32
	s_wait_xcnt 0x0
	v_cmpx_lt_u32_e32 3, v0
	s_cbranch_execz .LBB26_169
; %bb.168:
	scratch_load_b64 v[56:57], off, off offset:24
	v_mov_b64_e32 v[58:59], 0
	scratch_store_b64 off, v[58:59], off offset:24
	s_wait_loadcnt 0x0
	ds_store_b64 v1, v[56:57]
.LBB26_169:
	s_wait_xcnt 0x0
	s_or_b32 exec_lo, exec_lo, s0
	s_wait_storecnt_dscnt 0x0
	s_barrier_signal -1
	s_barrier_wait -1
	s_clause 0xc
	scratch_load_b128 v[56:59], off, off offset:32
	scratch_load_b128 v[60:63], off, off offset:48
	;; [unrolled: 1-line block ×11, first 2 shown]
	scratch_load_b64 v[144:145], off, off offset:208
	scratch_load_b64 v[146:147], off, off offset:24
	v_mov_b32_e32 v3, 0
	ds_load_b128 v[100:103], v3 offset:368
	ds_load_b128 v[104:107], v3 offset:384
	;; [unrolled: 1-line block ×11, first 2 shown]
	ds_load_b64 v[148:149], v3 offset:432
	s_mov_b32 s0, exec_lo
	s_wait_dscnt 0xb
	v_dual_mov_b32 v150, v103 :: v_dual_mov_b32 v151, v102
	s_wait_dscnt 0x8
	v_dual_mov_b32 v152, v107 :: v_dual_mov_b32 v157, v114
	v_dual_mov_b32 v153, v106 :: v_dual_mov_b32 v154, v111
	;; [unrolled: 1-line block ×3, first 2 shown]
	s_wait_loadcnt_dscnt 0xc07
	v_dual_mul_f32 v7, v116, v57 :: v_dual_mul_f32 v35, v117, v57
	v_dual_mul_f32 v37, v119, v59 :: v_dual_mul_f32 v11, v118, v59
	s_wait_loadcnt_dscnt 0xb06
	v_mul_f32_e32 v13, v120, v61
	s_wait_loadcnt_dscnt 0x904
	v_dual_mul_f32 v47, v129, v69 :: v_dual_fma_f32 v35, v116, v56, -v35
	v_dual_fmac_f32 v7, v117, v56 :: v_dual_mul_f32 v49, v131, v71
	v_dual_mul_f32 v39, v121, v61 :: v_dual_mul_f32 v41, v123, v63
	v_dual_fmac_f32 v11, v119, v58 :: v_dual_fma_f32 v37, v118, v58, -v37
	s_wait_loadcnt_dscnt 0x803
	s_delay_alu instid0(VALU_DEP_3) | instskip(SKIP_1) | instid1(VALU_DEP_2)
	v_dual_add_f32 v7, 0, v7 :: v_dual_mul_f32 v51, v133, v73
	v_dual_add_f32 v35, 0, v35 :: v_dual_fmac_f32 v13, v121, v60
	v_dual_fma_f32 v39, v120, v60, -v39 :: v_dual_add_f32 v7, v7, v11
	v_dual_mul_f32 v15, v122, v63 :: v_dual_mul_f32 v17, v124, v65
	s_delay_alu instid0(VALU_DEP_3) | instskip(SKIP_2) | instid1(VALU_DEP_3)
	v_dual_add_f32 v11, v35, v37 :: v_dual_fma_f32 v37, v122, v62, -v41
	v_dual_mul_f32 v43, v125, v65 :: v_dual_mul_f32 v45, v127, v67
	v_dual_mul_f32 v19, v126, v67 :: v_dual_mul_f32 v21, v128, v69
	v_add_f32_e32 v11, v11, v39
	v_dual_fmac_f32 v15, v123, v62 :: v_dual_fmac_f32 v17, v125, v64
	s_delay_alu instid0(VALU_DEP_4) | instskip(NEXT) | instid1(VALU_DEP_3)
	v_dual_add_f32 v7, v7, v13 :: v_dual_fma_f32 v39, v124, v64, -v43
	v_dual_add_f32 v11, v11, v37 :: v_dual_fmac_f32 v21, v129, v68
	v_dual_mul_f32 v23, v130, v71 :: v_dual_mul_f32 v25, v132, v73
	s_delay_alu instid0(VALU_DEP_3) | instskip(NEXT) | instid1(VALU_DEP_3)
	v_dual_add_f32 v7, v7, v15 :: v_dual_fma_f32 v37, v126, v66, -v45
	v_add_f32_e32 v11, v11, v39
	s_wait_loadcnt_dscnt 0x701
	v_dual_mul_f32 v35, v135, v75 :: v_dual_mul_f32 v13, v141, v77
	v_dual_mul_f32 v15, v143, v79 :: v_dual_fma_f32 v39, v128, v68, -v47
	v_fmac_f32_e32 v19, v127, v66
	v_dual_add_f32 v7, v7, v17 :: v_dual_fmac_f32 v25, v133, v72
	v_dual_add_f32 v11, v11, v37 :: v_dual_mul_f32 v27, v134, v75
	v_dual_mul_f32 v29, v140, v77 :: v_dual_mul_f32 v31, v142, v79
	s_wait_loadcnt 0x6
	v_dual_mul_f32 v33, v136, v81 :: v_dual_fma_f32 v37, v130, v70, -v49
	v_add_f32_e32 v7, v7, v19
	v_add_f32_e32 v11, v11, v39
	s_wait_loadcnt 0x4
	v_dual_mov_b32 v56, v87 :: v_dual_mov_b32 v60, v91
	v_dual_mul_f32 v19, v139, v83 :: v_dual_fmac_f32 v29, v141, v76
	v_dual_fmac_f32 v23, v131, v70 :: v_dual_fma_f32 v13, v140, v76, -v13
	v_dual_fma_f32 v39, v132, v72, -v51 :: v_dual_add_f32 v7, v7, v21
	v_dual_fma_f32 v15, v142, v78, -v15 :: v_dual_fmac_f32 v33, v137, v80
	s_delay_alu instid0(VALU_DEP_4) | instskip(SKIP_1) | instid1(VALU_DEP_4)
	v_dual_add_f32 v11, v11, v37 :: v_dual_fma_f32 v158, v138, v82, -v19
	v_pk_mul_f32 v[56:57], v[150:151], v[56:57] op_sel_hi:[1,0]
	v_dual_mul_f32 v17, v137, v81 :: v_dual_add_f32 v7, v7, v23
	v_fma_f32 v23, v134, v74, -v35
	v_dual_mul_f32 v159, v138, v83 :: v_dual_mul_f32 v161, v100, v85
	s_delay_alu instid0(VALU_DEP_4) | instskip(SKIP_4) | instid1(VALU_DEP_4)
	v_pk_fma_f32 v[68:69], v[102:103], v[86:87], v[56:57] op_sel_hi:[1,0,1]
	v_add_f32_e32 v11, v11, v39
	v_pk_fma_f32 v[56:57], v[102:103], v[86:87], v[56:57] neg_lo:[0,0,1] neg_hi:[0,0,1]
	v_dual_mul_f32 v21, v101, v85 :: v_dual_fmac_f32 v27, v135, v74
	v_fmac_f32_e32 v161, v101, v84
	v_dual_mov_b32 v57, v69 :: v_dual_add_f32 v11, v11, v23
	s_delay_alu instid0(VALU_DEP_3) | instskip(SKIP_2) | instid1(VALU_DEP_4)
	v_dual_fma_f32 v160, v100, v84, -v21 :: v_dual_fmac_f32 v31, v143, v78
	v_fmac_f32_e32 v159, v139, v82
	v_pk_mul_f32 v[58:59], v[104:105], v[88:89] op_sel:[1,1] op_sel_hi:[0,1]
	v_dual_add_f32 v11, v11, v13 :: v_dual_fma_f32 v13, v136, v80, -v17
	v_add_f32_e32 v7, v7, v25
	v_pk_mul_f32 v[60:61], v[152:153], v[60:61] op_sel_hi:[1,0]
	s_delay_alu instid0(VALU_DEP_4) | instskip(NEXT) | instid1(VALU_DEP_4)
	v_pk_fma_f32 v[70:71], v[104:105], v[88:89], v[58:59] op_sel_hi:[1,0,1]
	v_add_f32_e32 v11, v11, v15
	v_pk_fma_f32 v[58:59], v[104:105], v[88:89], v[58:59] neg_lo:[0,0,1] neg_hi:[0,0,1]
	v_add_f32_e32 v7, v7, v27
	s_wait_loadcnt 0x3
	v_pk_mul_f32 v[62:63], v[108:109], v[92:93] op_sel:[1,1] op_sel_hi:[0,1]
	v_dual_mov_b32 v66, v95 :: v_dual_mov_b32 v59, v71
	v_add_f32_e32 v64, v11, v13
	v_add_f32_e32 v7, v7, v29
	v_pk_fma_f32 v[70:71], v[106:107], v[90:91], v[60:61] op_sel_hi:[1,0,1]
	v_pk_fma_f32 v[60:61], v[106:107], v[90:91], v[60:61] neg_lo:[0,0,1] neg_hi:[0,0,1]
	v_pk_mul_f32 v[66:67], v[154:155], v[66:67] op_sel_hi:[1,0]
	s_wait_loadcnt 0x2
	v_pk_mul_f32 v[68:69], v[112:113], v[96:97] op_sel:[1,1] op_sel_hi:[0,1]
	v_add_f32_e32 v7, v7, v31
	v_mov_b32_e32 v61, v71
	s_delay_alu instid0(VALU_DEP_2) | instskip(NEXT) | instid1(VALU_DEP_1)
	v_add_f32_e32 v65, v7, v33
	v_pk_add_f32 v[64:65], v[64:65], v[158:159]
	s_delay_alu instid0(VALU_DEP_1) | instskip(NEXT) | instid1(VALU_DEP_1)
	v_pk_add_f32 v[64:65], v[64:65], v[160:161]
	v_pk_add_f32 v[56:57], v[64:65], v[56:57]
	v_pk_fma_f32 v[64:65], v[108:109], v[92:93], v[62:63] op_sel_hi:[1,0,1]
	v_pk_fma_f32 v[62:63], v[108:109], v[92:93], v[62:63] neg_lo:[0,0,1] neg_hi:[0,0,1]
	s_delay_alu instid0(VALU_DEP_3) | instskip(NEXT) | instid1(VALU_DEP_3)
	v_pk_add_f32 v[56:57], v[56:57], v[58:59]
	v_dual_mov_b32 v58, v99 :: v_dual_mov_b32 v63, v65
	v_pk_fma_f32 v[64:65], v[110:111], v[94:95], v[66:67] op_sel_hi:[1,0,1]
	v_pk_fma_f32 v[66:67], v[110:111], v[94:95], v[66:67] neg_lo:[0,0,1] neg_hi:[0,0,1]
	s_delay_alu instid0(VALU_DEP_4)
	v_pk_add_f32 v[56:57], v[56:57], v[60:61]
	v_pk_fma_f32 v[60:61], v[112:113], v[96:97], v[68:69] op_sel_hi:[1,0,1]
	v_pk_mul_f32 v[58:59], v[156:157], v[58:59] op_sel_hi:[1,0]
	v_mov_b32_e32 v67, v65
	s_wait_loadcnt_dscnt 0x100
	v_pk_mul_f32 v[64:65], v[148:149], v[144:145] op_sel:[1,1] op_sel_hi:[0,1]
	v_pk_add_f32 v[56:57], v[56:57], v[62:63]
	v_pk_fma_f32 v[62:63], v[112:113], v[96:97], v[68:69] neg_lo:[0,0,1] neg_hi:[0,0,1]
	v_mov_b32_e32 v63, v61
	v_pk_fma_f32 v[60:61], v[114:115], v[98:99], v[58:59] op_sel_hi:[1,0,1]
	v_pk_fma_f32 v[58:59], v[114:115], v[98:99], v[58:59] neg_lo:[0,0,1] neg_hi:[0,0,1]
	v_pk_add_f32 v[56:57], v[56:57], v[66:67]
	s_delay_alu instid0(VALU_DEP_3) | instskip(SKIP_1) | instid1(VALU_DEP_3)
	v_mov_b32_e32 v59, v61
	v_pk_fma_f32 v[60:61], v[148:149], v[144:145], v[64:65] op_sel_hi:[1,0,1]
	v_pk_add_f32 v[56:57], v[56:57], v[62:63]
	v_pk_fma_f32 v[62:63], v[148:149], v[144:145], v[64:65] neg_lo:[0,0,1] neg_hi:[0,0,1]
	s_delay_alu instid0(VALU_DEP_3) | instskip(NEXT) | instid1(VALU_DEP_3)
	v_mov_b32_e32 v63, v61
	v_pk_add_f32 v[56:57], v[56:57], v[58:59]
	s_delay_alu instid0(VALU_DEP_1) | instskip(SKIP_1) | instid1(VALU_DEP_1)
	v_pk_add_f32 v[56:57], v[56:57], v[62:63]
	s_wait_loadcnt 0x0
	v_pk_add_f32 v[56:57], v[146:147], v[56:57] neg_lo:[0,1] neg_hi:[0,1]
	scratch_store_b64 off, v[56:57], off offset:24
	s_wait_xcnt 0x0
	v_cmpx_lt_u32_e32 2, v0
	s_cbranch_execz .LBB26_171
; %bb.170:
	scratch_load_b64 v[56:57], off, off offset:16
	v_mov_b64_e32 v[58:59], 0
	scratch_store_b64 off, v[58:59], off offset:16
	s_wait_loadcnt 0x0
	ds_store_b64 v1, v[56:57]
.LBB26_171:
	s_wait_xcnt 0x0
	s_or_b32 exec_lo, exec_lo, s0
	s_wait_storecnt_dscnt 0x0
	s_barrier_signal -1
	s_barrier_wait -1
	s_clause 0xc
	scratch_load_b128 v[56:59], off, off offset:24
	scratch_load_b128 v[60:63], off, off offset:40
	;; [unrolled: 1-line block ×12, first 2 shown]
	scratch_load_b64 v[152:153], off, off offset:16
	ds_load_2addr_b64 v[104:107], v3 offset0:47 offset1:48
	ds_load_2addr_b64 v[108:111], v3 offset0:49 offset1:50
	;; [unrolled: 1-line block ×12, first 2 shown]
	s_mov_b32 s0, exec_lo
	s_wait_dscnt 0xb
	v_dual_mov_b32 v154, v107 :: v_dual_mov_b32 v155, v106
	s_wait_dscnt 0xa
	v_dual_mov_b32 v156, v111 :: v_dual_mov_b32 v157, v110
	;; [unrolled: 2-line block ×4, first 2 shown]
	s_wait_loadcnt_dscnt 0xc07
	v_dual_mul_f32 v3, v120, v57 :: v_dual_mul_f32 v7, v122, v59
	v_dual_mul_f32 v35, v121, v57 :: v_dual_mul_f32 v37, v123, v59
	s_wait_loadcnt_dscnt 0xb06
	v_dual_mul_f32 v11, v124, v61 :: v_dual_mul_f32 v13, v126, v63
	s_delay_alu instid0(VALU_DEP_3)
	v_fmac_f32_e32 v3, v121, v56
	s_wait_loadcnt_dscnt 0x904
	v_dual_fma_f32 v35, v120, v56, -v35 :: v_dual_mul_f32 v47, v133, v69
	v_dual_mul_f32 v39, v125, v61 :: v_dual_mul_f32 v41, v127, v63
	v_dual_fma_f32 v37, v122, v58, -v37 :: v_dual_fmac_f32 v7, v123, v58
	v_add_f32_e32 v3, 0, v3
	s_delay_alu instid0(VALU_DEP_4) | instskip(NEXT) | instid1(VALU_DEP_4)
	v_dual_add_f32 v35, 0, v35 :: v_dual_fmac_f32 v11, v125, v60
	v_dual_mul_f32 v49, v135, v71 :: v_dual_fma_f32 v39, v124, v60, -v39
	s_delay_alu instid0(VALU_DEP_3) | instskip(NEXT) | instid1(VALU_DEP_3)
	v_add_f32_e32 v3, v3, v7
	v_dual_add_f32 v7, v35, v37 :: v_dual_fma_f32 v37, v126, v62, -v41
	v_dual_mul_f32 v15, v128, v65 :: v_dual_mul_f32 v17, v130, v67
	v_dual_mul_f32 v43, v129, v65 :: v_dual_mul_f32 v45, v131, v67
	s_wait_loadcnt_dscnt 0x803
	v_dual_mul_f32 v35, v137, v73 :: v_dual_fmac_f32 v13, v127, v62
	s_delay_alu instid0(VALU_DEP_3) | instskip(SKIP_2) | instid1(VALU_DEP_3)
	v_dual_fmac_f32 v15, v129, v64 :: v_dual_add_f32 v3, v3, v11
	v_dual_add_f32 v7, v7, v39 :: v_dual_mul_f32 v19, v132, v69
	v_dual_mul_f32 v21, v134, v71 :: v_dual_fma_f32 v39, v128, v64, -v43
	v_add_f32_e32 v3, v3, v13
	s_wait_loadcnt_dscnt 0x702
	v_mul_f32_e32 v13, v141, v77
	v_add_f32_e32 v7, v7, v37
	v_dual_mul_f32 v11, v139, v75 :: v_dual_fma_f32 v37, v130, v66, -v45
	v_dual_mul_f32 v23, v136, v73 :: v_dual_mul_f32 v25, v138, v75
	s_delay_alu instid0(VALU_DEP_3) | instskip(SKIP_1) | instid1(VALU_DEP_3)
	v_dual_add_f32 v7, v7, v39 :: v_dual_mul_f32 v27, v140, v77
	v_dual_mul_f32 v29, v142, v79 :: v_dual_fmac_f32 v17, v131, v66
	v_fmac_f32_e32 v23, v137, v72
	v_dual_fmac_f32 v19, v133, v68 :: v_dual_add_f32 v3, v3, v15
	s_delay_alu instid0(VALU_DEP_4) | instskip(SKIP_1) | instid1(VALU_DEP_3)
	v_dual_fma_f32 v39, v132, v68, -v47 :: v_dual_add_f32 v7, v7, v37
	v_dual_fmac_f32 v27, v141, v76 :: v_dual_fma_f32 v37, v134, v70, -v49
	v_dual_add_f32 v3, v3, v17 :: v_dual_fma_f32 v11, v138, v74, -v11
	s_delay_alu instid0(VALU_DEP_3) | instskip(SKIP_1) | instid1(VALU_DEP_3)
	v_dual_add_f32 v7, v7, v39 :: v_dual_fma_f32 v13, v140, v76, -v13
	v_dual_mul_f32 v15, v143, v79 :: v_dual_fma_f32 v35, v136, v72, -v35
	v_add_f32_e32 v3, v3, v19
	s_wait_loadcnt_dscnt 0x601
	v_mul_f32_e32 v19, v147, v83
	v_add_f32_e32 v7, v7, v37
	v_dual_mul_f32 v31, v144, v81 :: v_dual_mul_f32 v33, v146, v83
	v_dual_fmac_f32 v21, v135, v70 :: v_dual_mul_f32 v17, v145, v81
	s_delay_alu instid0(VALU_DEP_2) | instskip(SKIP_2) | instid1(VALU_DEP_3)
	v_dual_add_f32 v7, v7, v35 :: v_dual_fmac_f32 v31, v145, v80
	s_wait_loadcnt_dscnt 0x500
	v_dual_mul_f32 v163, v148, v85 :: v_dual_mul_f32 v165, v150, v87
	v_add_f32_e32 v3, v3, v21
	s_delay_alu instid0(VALU_DEP_3) | instskip(NEXT) | instid1(VALU_DEP_3)
	v_dual_add_f32 v7, v7, v11 :: v_dual_mul_f32 v21, v149, v85
	v_dual_fmac_f32 v25, v139, v74 :: v_dual_fmac_f32 v163, v149, v84
	v_fmac_f32_e32 v29, v143, v78
	s_delay_alu instid0(VALU_DEP_3) | instskip(NEXT) | instid1(VALU_DEP_4)
	v_dual_add_f32 v7, v7, v13 :: v_dual_fma_f32 v13, v144, v80, -v17
	v_dual_add_f32 v3, v3, v23 :: v_dual_fma_f32 v162, v148, v84, -v21
	v_fma_f32 v11, v142, v78, -v15
	v_fmac_f32_e32 v33, v147, v82
	v_dual_mul_f32 v23, v151, v87 :: v_dual_fmac_f32 v165, v151, v86
	s_delay_alu instid0(VALU_DEP_4) | instskip(NEXT) | instid1(VALU_DEP_4)
	v_add_f32_e32 v3, v3, v25
	v_dual_add_f32 v7, v7, v11 :: v_dual_fma_f32 v11, v146, v82, -v19
	s_wait_loadcnt 0x4
	v_pk_mul_f32 v[56:57], v[104:105], v[88:89] op_sel:[1,1] op_sel_hi:[0,1]
	s_wait_loadcnt 0x3
	v_dual_mov_b32 v58, v91 :: v_dual_mov_b32 v62, v95
	v_add_f32_e32 v3, v3, v27
	v_dual_add_f32 v7, v7, v13 :: v_dual_fma_f32 v164, v150, v86, -v23
	v_pk_fma_f32 v[66:67], v[104:105], v[88:89], v[56:57] op_sel_hi:[1,0,1]
	s_delay_alu instid0(VALU_DEP_4) | instskip(NEXT) | instid1(VALU_DEP_4)
	v_pk_mul_f32 v[58:59], v[154:155], v[58:59] op_sel_hi:[1,0]
	v_add_f32_e32 v3, v3, v29
	s_delay_alu instid0(VALU_DEP_4)
	v_add_f32_e32 v64, v7, v11
	v_pk_fma_f32 v[56:57], v[104:105], v[88:89], v[56:57] neg_lo:[0,0,1] neg_hi:[0,0,1]
	v_pk_mul_f32 v[60:61], v[108:109], v[92:93] op_sel:[1,1] op_sel_hi:[0,1]
	v_mov_b32_e32 v57, v67
	v_add_f32_e32 v3, v3, v31
	v_pk_fma_f32 v[66:67], v[106:107], v[90:91], v[58:59] op_sel_hi:[1,0,1]
	v_pk_fma_f32 v[58:59], v[106:107], v[90:91], v[58:59] neg_lo:[0,0,1] neg_hi:[0,0,1]
	v_pk_fma_f32 v[70:71], v[108:109], v[92:93], v[60:61] op_sel_hi:[1,0,1]
	v_pk_mul_f32 v[62:63], v[156:157], v[62:63] op_sel_hi:[1,0]
	v_add_f32_e32 v65, v3, v33
	v_mov_b32_e32 v59, v67
	s_wait_loadcnt 0x2
	v_pk_mul_f32 v[68:69], v[112:113], v[96:97] op_sel:[1,1] op_sel_hi:[0,1]
	v_pk_fma_f32 v[60:61], v[108:109], v[92:93], v[60:61] neg_lo:[0,0,1] neg_hi:[0,0,1]
	v_mov_b32_e32 v61, v71
	v_pk_add_f32 v[64:65], v[64:65], v[162:163]
	v_pk_fma_f32 v[66:67], v[110:111], v[94:95], v[62:63] op_sel_hi:[1,0,1]
	v_pk_fma_f32 v[62:63], v[110:111], v[94:95], v[62:63] neg_lo:[0,0,1] neg_hi:[0,0,1]
	s_delay_alu instid0(VALU_DEP_3) | instskip(NEXT) | instid1(VALU_DEP_1)
	v_pk_add_f32 v[64:65], v[64:65], v[164:165]
	v_pk_add_f32 v[56:57], v[64:65], v[56:57]
	v_mov_b32_e32 v64, v99
	s_delay_alu instid0(VALU_DEP_2) | instskip(SKIP_1) | instid1(VALU_DEP_3)
	v_pk_add_f32 v[56:57], v[56:57], v[58:59]
	v_pk_fma_f32 v[58:59], v[112:113], v[96:97], v[68:69] op_sel_hi:[1,0,1]
	v_pk_mul_f32 v[64:65], v[158:159], v[64:65] op_sel_hi:[1,0]
	v_mov_b32_e32 v63, v67
	v_pk_fma_f32 v[66:67], v[112:113], v[96:97], v[68:69] neg_lo:[0,0,1] neg_hi:[0,0,1]
	v_pk_add_f32 v[56:57], v[56:57], v[60:61]
	v_mov_b32_e32 v67, v59
	v_pk_fma_f32 v[58:59], v[114:115], v[98:99], v[64:65] op_sel_hi:[1,0,1]
	s_wait_loadcnt 0x1
	v_pk_mul_f32 v[60:61], v[116:117], v[100:101] op_sel:[1,1] op_sel_hi:[0,1]
	v_mov_b32_e32 v58, v103
	v_pk_add_f32 v[56:57], v[56:57], v[62:63]
	v_pk_fma_f32 v[64:65], v[114:115], v[98:99], v[64:65] neg_lo:[0,0,1] neg_hi:[0,0,1]
	v_mov_b32_e32 v65, v59
	v_pk_fma_f32 v[62:63], v[116:117], v[100:101], v[60:61] op_sel_hi:[1,0,1]
	v_pk_mul_f32 v[58:59], v[160:161], v[58:59] op_sel_hi:[1,0]
	v_pk_add_f32 v[56:57], v[56:57], v[66:67]
	v_pk_fma_f32 v[60:61], v[116:117], v[100:101], v[60:61] neg_lo:[0,0,1] neg_hi:[0,0,1]
	s_delay_alu instid0(VALU_DEP_4) | instskip(NEXT) | instid1(VALU_DEP_4)
	v_mov_b32_e32 v61, v63
	v_pk_fma_f32 v[62:63], v[118:119], v[102:103], v[58:59] op_sel_hi:[1,0,1]
	s_delay_alu instid0(VALU_DEP_4) | instskip(SKIP_1) | instid1(VALU_DEP_3)
	v_pk_add_f32 v[56:57], v[56:57], v[64:65]
	v_pk_fma_f32 v[58:59], v[118:119], v[102:103], v[58:59] neg_lo:[0,0,1] neg_hi:[0,0,1]
	v_mov_b32_e32 v59, v63
	s_delay_alu instid0(VALU_DEP_3) | instskip(NEXT) | instid1(VALU_DEP_1)
	v_pk_add_f32 v[56:57], v[56:57], v[60:61]
	v_pk_add_f32 v[56:57], v[56:57], v[58:59]
	s_wait_loadcnt 0x0
	s_delay_alu instid0(VALU_DEP_1)
	v_pk_add_f32 v[56:57], v[152:153], v[56:57] neg_lo:[0,1] neg_hi:[0,1]
	scratch_store_b64 off, v[56:57], off offset:16
	s_wait_xcnt 0x0
	v_cmpx_lt_u32_e32 1, v0
	s_cbranch_execz .LBB26_173
; %bb.172:
	scratch_load_b64 v[56:57], off, off offset:8
	v_mov_b64_e32 v[58:59], 0
	scratch_store_b64 off, v[58:59], off offset:8
	s_wait_loadcnt 0x0
	ds_store_b64 v1, v[56:57]
.LBB26_173:
	s_wait_xcnt 0x0
	s_or_b32 exec_lo, exec_lo, s0
	s_wait_storecnt_dscnt 0x0
	s_barrier_signal -1
	s_barrier_wait -1
	s_clause 0xd
	scratch_load_b128 v[58:61], off, off offset:16
	scratch_load_b128 v[62:65], off, off offset:32
	;; [unrolled: 1-line block ×12, first 2 shown]
	scratch_load_b64 v[154:155], off, off offset:208
	scratch_load_b64 v[156:157], off, off offset:8
	v_dual_mov_b32 v56, 0 :: v_dual_ashrrev_i32 v3, 31, v2
	v_dual_ashrrev_i32 v7, 31, v6 :: v_dual_ashrrev_i32 v13, 31, v12
	v_dual_ashrrev_i32 v11, 31, v10 :: v_dual_ashrrev_i32 v17, 31, v16
	ds_load_b128 v[106:109], v56 offset:368
	ds_load_b128 v[122:125], v56 offset:240
	;; [unrolled: 1-line block ×12, first 2 shown]
	ds_load_b64 v[158:159], v56 offset:432
	v_ashrrev_i32_e32 v27, 31, v26
	v_ashrrev_i32_e32 v31, 31, v30
	v_dual_ashrrev_i32 v15, 31, v14 :: v_dual_ashrrev_i32 v21, 31, v20
	v_dual_ashrrev_i32 v19, 31, v18 :: v_dual_ashrrev_i32 v25, 31, v24
	;; [unrolled: 1-line block ×3, first 2 shown]
	s_mov_b32 s0, exec_lo
	s_wait_dscnt 0xc
	v_dual_mov_b32 v160, v109 :: v_dual_mov_b32 v161, v108
	s_wait_dscnt 0xa
	v_dual_mov_b32 v162, v113 :: v_dual_mov_b32 v163, v112
	;; [unrolled: 2-line block ×4, first 2 shown]
	s_wait_loadcnt 0xd
	v_dual_mul_f32 v33, v122, v59 :: v_dual_mul_f32 v35, v124, v61
	v_dual_mul_f32 v37, v123, v59 :: v_dual_mul_f32 v39, v125, v61
	s_wait_loadcnt_dscnt 0xc07
	v_dual_mul_f32 v41, v126, v63 :: v_dual_mul_f32 v43, v128, v65
	s_delay_alu instid0(VALU_DEP_3) | instskip(NEXT) | instid1(VALU_DEP_3)
	v_dual_fmac_f32 v33, v123, v58 :: v_dual_fmac_f32 v35, v125, v60
	v_dual_fma_f32 v37, v122, v58, -v37 :: v_dual_fma_f32 v39, v124, v60, -v39
	v_dual_mul_f32 v45, v127, v63 :: v_dual_mul_f32 v47, v129, v65
	s_wait_loadcnt 0x5
	s_delay_alu instid0(VALU_DEP_3) | instskip(SKIP_3) | instid1(VALU_DEP_3)
	v_dual_mul_f32 v61, v106, v91 :: v_dual_add_f32 v33, 0, v33
	s_wait_dscnt 0x4
	v_dual_add_f32 v37, 0, v37 :: v_dual_mul_f32 v58, v139, v75
	v_fmac_f32_e32 v41, v127, v62
	v_dual_fma_f32 v45, v126, v62, -v45 :: v_dual_add_f32 v33, v33, v35
	s_delay_alu instid0(VALU_DEP_3) | instskip(SKIP_3) | instid1(VALU_DEP_4)
	v_add_f32_e32 v35, v37, v39
	v_dual_mul_f32 v49, v130, v67 :: v_dual_mul_f32 v51, v132, v69
	v_dual_mul_f32 v53, v131, v67 :: v_dual_mul_f32 v55, v133, v69
	v_dual_mul_f32 v37, v141, v77 :: v_dual_fma_f32 v39, v128, v64, -v47
	v_dual_fmac_f32 v43, v129, v64 :: v_dual_add_f32 v35, v35, v45
	s_wait_dscnt 0x3
	v_dual_add_f32 v33, v33, v41 :: v_dual_mul_f32 v41, v143, v79
	v_fmac_f32_e32 v49, v131, v66
	s_delay_alu instid0(VALU_DEP_3) | instskip(NEXT) | instid1(VALU_DEP_3)
	v_dual_fma_f32 v45, v130, v66, -v53 :: v_dual_add_f32 v35, v35, v39
	v_add_f32_e32 v33, v33, v43
	v_dual_mul_f32 v57, v134, v71 :: v_dual_mul_f32 v63, v136, v73
	s_wait_dscnt 0x1
	v_dual_mul_f32 v71, v135, v71 :: v_dual_mul_f32 v59, v152, v89
	v_dual_mul_f32 v39, v145, v81 :: v_dual_fma_f32 v43, v132, v68, -v55
	v_dual_fmac_f32 v51, v133, v68 :: v_dual_add_f32 v35, v35, v45
	v_dual_add_f32 v33, v33, v49 :: v_dual_mul_f32 v45, v147, v83
	v_dual_mul_f32 v171, v150, v87 :: v_dual_mul_f32 v73, v137, v73
	v_dual_fmac_f32 v57, v135, v70 :: v_dual_fma_f32 v47, v134, v70, -v71
	s_delay_alu instid0(VALU_DEP_3) | instskip(SKIP_2) | instid1(VALU_DEP_2)
	v_add_f32_e32 v33, v33, v51
	v_dual_add_f32 v35, v35, v43 :: v_dual_mul_f32 v43, v149, v85
	v_dual_mul_f32 v65, v138, v75 :: v_dual_mul_f32 v67, v140, v77
	v_dual_fmac_f32 v63, v137, v72 :: v_dual_add_f32 v35, v35, v47
	s_delay_alu instid0(VALU_DEP_4) | instskip(SKIP_1) | instid1(VALU_DEP_4)
	v_dual_fma_f32 v49, v136, v72, -v73 :: v_dual_add_f32 v33, v33, v57
	v_mul_f32_e32 v47, v151, v87
	v_dual_fmac_f32 v65, v139, v74 :: v_dual_fma_f32 v51, v138, v74, -v58
	s_delay_alu instid0(VALU_DEP_3) | instskip(SKIP_2) | instid1(VALU_DEP_3)
	v_dual_add_f32 v35, v35, v49 :: v_dual_add_f32 v33, v33, v63
	v_dual_mul_f32 v69, v142, v79 :: v_dual_mul_f32 v168, v144, v81
	v_dual_mul_f32 v49, v153, v89 :: v_dual_fma_f32 v37, v140, v76, -v37
	v_dual_fmac_f32 v67, v141, v76 :: v_dual_add_f32 v35, v35, v51
	s_delay_alu instid0(VALU_DEP_4) | instskip(NEXT) | instid1(VALU_DEP_4)
	v_dual_add_f32 v33, v33, v65 :: v_dual_mul_f32 v51, v107, v91
	v_fmac_f32_e32 v69, v143, v78
	s_delay_alu instid0(VALU_DEP_3) | instskip(NEXT) | instid1(VALU_DEP_3)
	v_dual_fma_f32 v41, v142, v78, -v41 :: v_dual_add_f32 v35, v35, v37
	v_add_f32_e32 v33, v33, v67
	v_dual_mul_f32 v169, v146, v83 :: v_dual_mul_f32 v170, v148, v85
	v_dual_mov_b32 v60, v93 :: v_dual_fma_f32 v37, v144, v80, -v39
	s_delay_alu instid0(VALU_DEP_4) | instskip(NEXT) | instid1(VALU_DEP_3)
	v_dual_fmac_f32 v168, v145, v80 :: v_dual_add_f32 v35, v35, v41
	v_dual_add_f32 v33, v33, v69 :: v_dual_fmac_f32 v169, v147, v82
	s_wait_loadcnt 0x4
	v_dual_fma_f32 v39, v146, v82, -v45 :: v_dual_mov_b32 v64, v97
	s_delay_alu instid0(VALU_DEP_2) | instskip(SKIP_2) | instid1(VALU_DEP_3)
	v_dual_add_f32 v35, v35, v37 :: v_dual_add_f32 v33, v33, v168
	v_dual_fmac_f32 v170, v149, v84 :: v_dual_fma_f32 v37, v148, v84, -v43
	v_dual_fmac_f32 v171, v151, v86 :: v_dual_fma_f32 v58, v152, v88, -v49
	v_dual_add_f32 v33, v33, v169 :: v_dual_add_f32 v35, v35, v39
	v_fma_f32 v39, v150, v86, -v47
	v_fmac_f32_e32 v59, v153, v88
	v_pk_mul_f32 v[68:69], v[160:161], v[60:61] op_sel_hi:[1,0]
	v_pk_mul_f32 v[62:63], v[110:111], v[94:95] op_sel:[1,1] op_sel_hi:[0,1]
	v_dual_add_f32 v35, v35, v37 :: v_dual_add_f32 v33, v33, v170
	v_dual_fmac_f32 v61, v107, v90 :: v_dual_fma_f32 v60, v106, v90, -v51
	s_delay_alu instid0(VALU_DEP_4) | instskip(NEXT) | instid1(VALU_DEP_3)
	v_pk_fma_f32 v[74:75], v[108:109], v[92:93], v[68:69] op_sel_hi:[1,0,1]
	v_add_f32_e32 v70, v35, v39
	s_delay_alu instid0(VALU_DEP_4)
	v_add_f32_e32 v71, v33, v171
	v_pk_fma_f32 v[68:69], v[108:109], v[92:93], v[68:69] neg_lo:[0,0,1] neg_hi:[0,0,1]
	s_wait_loadcnt 0x3
	v_dual_mov_b32 v72, v101 :: v_dual_mov_b32 v69, v75
	v_pk_mul_f32 v[64:65], v[162:163], v[64:65] op_sel_hi:[1,0]
	v_pk_add_f32 v[58:59], v[70:71], v[58:59]
	v_pk_fma_f32 v[70:71], v[110:111], v[94:95], v[62:63] op_sel_hi:[1,0,1]
	v_pk_fma_f32 v[62:63], v[110:111], v[94:95], v[62:63] neg_lo:[0,0,1] neg_hi:[0,0,1]
	v_pk_mul_f32 v[66:67], v[114:115], v[98:99] op_sel:[1,1] op_sel_hi:[0,1]
	v_pk_mul_f32 v[72:73], v[164:165], v[72:73] op_sel_hi:[1,0]
	v_pk_add_f32 v[58:59], v[58:59], v[60:61]
	v_mov_b32_e32 v63, v71
	v_pk_fma_f32 v[70:71], v[112:113], v[96:97], v[64:65] op_sel_hi:[1,0,1]
	v_pk_fma_f32 v[64:65], v[112:113], v[96:97], v[64:65] neg_lo:[0,0,1] neg_hi:[0,0,1]
	s_wait_loadcnt 0x2
	v_pk_mul_f32 v[60:61], v[118:119], v[102:103] op_sel:[1,1] op_sel_hi:[0,1]
	v_pk_add_f32 v[58:59], v[58:59], v[68:69]
	v_pk_fma_f32 v[68:69], v[114:115], v[98:99], v[66:67] op_sel_hi:[1,0,1]
	v_mov_b32_e32 v65, v71
	v_pk_fma_f32 v[66:67], v[114:115], v[98:99], v[66:67] neg_lo:[0,0,1] neg_hi:[0,0,1]
	v_pk_fma_f32 v[70:71], v[116:117], v[100:101], v[72:73] neg_lo:[0,0,1] neg_hi:[0,0,1]
	v_pk_add_f32 v[58:59], v[58:59], v[62:63]
	v_dual_mov_b32 v62, v105 :: v_dual_mov_b32 v67, v69
	v_pk_fma_f32 v[68:69], v[116:117], v[100:101], v[72:73] op_sel_hi:[1,0,1]
	v_ashrrev_i32_e32 v33, 31, v32
	s_delay_alu instid0(VALU_DEP_4)
	v_pk_add_f32 v[58:59], v[58:59], v[64:65]
	v_pk_fma_f32 v[64:65], v[118:119], v[102:103], v[60:61] op_sel_hi:[1,0,1]
	v_pk_mul_f32 v[62:63], v[166:167], v[62:63] op_sel_hi:[1,0]
	v_mov_b32_e32 v71, v69
	v_pk_fma_f32 v[60:61], v[118:119], v[102:103], v[60:61] neg_lo:[0,0,1] neg_hi:[0,0,1]
	v_pk_add_f32 v[58:59], v[58:59], v[66:67]
	v_dual_mov_b32 v61, v65 :: v_dual_ashrrev_i32 v35, 31, v34
	v_pk_fma_f32 v[64:65], v[120:121], v[104:105], v[62:63] op_sel_hi:[1,0,1]
	s_wait_loadcnt_dscnt 0x100
	v_pk_mul_f32 v[66:67], v[158:159], v[154:155] op_sel:[1,1] op_sel_hi:[0,1]
	v_pk_add_f32 v[58:59], v[58:59], v[70:71]
	v_pk_fma_f32 v[62:63], v[120:121], v[104:105], v[62:63] neg_lo:[0,0,1] neg_hi:[0,0,1]
	v_dual_ashrrev_i32 v37, 31, v36 :: v_dual_mov_b32 v63, v65
	s_delay_alu instid0(VALU_DEP_4) | instskip(NEXT) | instid1(VALU_DEP_4)
	v_pk_fma_f32 v[64:65], v[158:159], v[154:155], v[66:67] neg_lo:[0,0,1] neg_hi:[0,0,1]
	v_pk_add_f32 v[58:59], v[58:59], v[60:61]
	v_pk_fma_f32 v[60:61], v[158:159], v[154:155], v[66:67] op_sel_hi:[1,0,1]
	v_dual_ashrrev_i32 v39, 31, v38 :: v_dual_ashrrev_i32 v41, 31, v40
	v_ashrrev_i32_e32 v43, 31, v42
	s_delay_alu instid0(VALU_DEP_4) | instskip(NEXT) | instid1(VALU_DEP_4)
	v_pk_add_f32 v[58:59], v[58:59], v[62:63]
	v_dual_mov_b32 v65, v61 :: v_dual_ashrrev_i32 v45, 31, v44
	v_dual_ashrrev_i32 v47, 31, v46 :: v_dual_ashrrev_i32 v49, 31, v48
	v_ashrrev_i32_e32 v51, 31, v50
	s_delay_alu instid0(VALU_DEP_3) | instskip(SKIP_2) | instid1(VALU_DEP_2)
	v_pk_add_f32 v[58:59], v[58:59], v[64:65]
	v_dual_ashrrev_i32 v53, 31, v52 :: v_dual_ashrrev_i32 v55, 31, v54
	s_wait_loadcnt 0x0
	v_pk_add_f32 v[58:59], v[156:157], v[58:59] neg_lo:[0,1] neg_hi:[0,1]
	scratch_store_b64 off, v[58:59], off offset:8
	s_wait_xcnt 0x0
	v_cmpx_ne_u32_e32 0, v0
	s_cbranch_execz .LBB26_175
; %bb.174:
	scratch_load_b64 v[58:59], off, off
	v_mov_b64_e32 v[60:61], 0
	scratch_store_b64 off, v[60:61], off
	s_wait_loadcnt 0x0
	ds_store_b64 v1, v[58:59]
.LBB26_175:
	s_wait_xcnt 0x0
	s_or_b32 exec_lo, exec_lo, s0
	s_wait_storecnt_dscnt 0x0
	s_barrier_signal -1
	s_barrier_wait -1
	s_clause 0xd
	scratch_load_b128 v[58:61], off, off offset:8
	scratch_load_b128 v[62:65], off, off offset:24
	;; [unrolled: 1-line block ×13, first 2 shown]
	scratch_load_b64 v[0:1], off, off
	ds_load_2addr_b64 v[110:113], v56 offset0:47 offset1:48
	ds_load_2addr_b64 v[114:117], v56 offset0:49 offset1:50
	;; [unrolled: 1-line block ×13, first 2 shown]
	s_and_b32 vcc_lo, exec_lo, s18
	s_wait_dscnt 0xc
	v_dual_mov_b32 v56, v113 :: v_dual_mov_b32 v57, v112
	s_wait_dscnt 0xb
	v_dual_mov_b32 v162, v117 :: v_dual_mov_b32 v163, v116
	;; [unrolled: 2-line block ×4, first 2 shown]
	s_wait_loadcnt_dscnt 0xd08
	v_dual_mul_f32 v168, v126, v59 :: v_dual_mul_f32 v170, v128, v61
	v_dual_mul_f32 v59, v127, v59 :: v_dual_mul_f32 v61, v129, v61
	s_wait_loadcnt_dscnt 0xa05
	v_dual_mul_f32 v176, v138, v71 :: v_dual_mul_f32 v177, v140, v73
	v_mul_f32_e32 v71, v139, v71
	s_delay_alu instid0(VALU_DEP_3)
	v_dual_fmac_f32 v168, v127, v58 :: v_dual_fma_f32 v58, v126, v58, -v59
	v_dual_mul_f32 v172, v130, v63 :: v_dual_mul_f32 v173, v132, v65
	v_dual_mul_f32 v63, v131, v63 :: v_dual_mul_f32 v65, v133, v65
	v_mul_f32_e32 v59, v141, v73
	v_dual_fmac_f32 v170, v129, v60 :: v_dual_fma_f32 v60, v128, v60, -v61
	v_dual_add_f32 v61, 0, v168 :: v_dual_add_f32 v58, 0, v58
	s_wait_loadcnt_dscnt 0x903
	v_mul_f32_e32 v73, v147, v75
	v_dual_fmac_f32 v172, v131, v62 :: v_dual_fma_f32 v62, v130, v62, -v63
	s_delay_alu instid0(VALU_DEP_3) | instskip(SKIP_3) | instid1(VALU_DEP_3)
	v_dual_add_f32 v61, v61, v170 :: v_dual_fma_f32 v63, v132, v64, -v65
	v_add_f32_e32 v58, v58, v60
	v_dual_mul_f32 v174, v134, v67 :: v_dual_mul_f32 v175, v136, v69
	v_dual_mul_f32 v67, v135, v67 :: v_dual_mul_f32 v69, v137, v69
	v_dual_mul_f32 v60, v149, v77 :: v_dual_add_f32 v58, v58, v62
	s_wait_loadcnt_dscnt 0x802
	v_dual_fmac_f32 v173, v133, v64 :: v_dual_mul_f32 v62, v151, v79
	v_dual_add_f32 v61, v61, v172 :: v_dual_fmac_f32 v174, v135, v66
	v_fma_f32 v64, v134, v66, -v67
	v_dual_add_f32 v58, v58, v63 :: v_dual_mul_f32 v63, v153, v81
	s_delay_alu instid0(VALU_DEP_3) | instskip(SKIP_2) | instid1(VALU_DEP_3)
	v_add_f32_e32 v61, v61, v173
	v_dual_fmac_f32 v175, v137, v68 :: v_dual_fma_f32 v65, v136, v68, -v69
	s_wait_loadcnt_dscnt 0x701
	v_dual_add_f32 v58, v58, v64 :: v_dual_mul_f32 v64, v155, v83
	v_fma_f32 v66, v138, v70, -v71
	v_add_f32_e32 v61, v61, v174
	s_delay_alu instid0(VALU_DEP_3) | instskip(SKIP_1) | instid1(VALU_DEP_3)
	v_dual_fmac_f32 v176, v139, v70 :: v_dual_add_f32 v58, v58, v65
	v_dual_fmac_f32 v177, v141, v72 :: v_dual_mul_f32 v178, v146, v75
	v_dual_mul_f32 v179, v148, v77 :: v_dual_add_f32 v61, v61, v175
	v_dual_mul_f32 v65, v157, v85 :: v_dual_fma_f32 v59, v140, v72, -v59
	s_wait_loadcnt_dscnt 0x600
	v_dual_add_f32 v58, v58, v66 :: v_dual_mul_f32 v66, v159, v87
	s_delay_alu instid0(VALU_DEP_3) | instskip(NEXT) | instid1(VALU_DEP_2)
	v_dual_fma_f32 v67, v146, v74, -v73 :: v_dual_add_f32 v61, v61, v176
	v_dual_fmac_f32 v178, v147, v74 :: v_dual_add_f32 v58, v58, v59
	v_dual_mul_f32 v68, v161, v89 :: v_dual_mul_f32 v180, v150, v79
	v_mul_f32_e32 v181, v152, v81
	s_delay_alu instid0(VALU_DEP_4)
	v_add_f32_e32 v61, v61, v177
	v_dual_fmac_f32 v179, v149, v76 :: v_dual_fma_f32 v59, v148, v76, -v60
	v_add_f32_e32 v58, v58, v67
	v_fma_f32 v62, v150, v78, -v62
	s_wait_loadcnt 0x5
	v_dual_add_f32 v60, v61, v178 :: v_dual_mul_f32 v61, v143, v91
	s_delay_alu instid0(VALU_DEP_3) | instskip(NEXT) | instid1(VALU_DEP_2)
	v_dual_fmac_f32 v180, v151, v78 :: v_dual_add_f32 v58, v58, v59
	v_dual_mul_f32 v70, v145, v93 :: v_dual_add_f32 v60, v60, v179
	v_dual_mul_f32 v182, v154, v83 :: v_dual_mul_f32 v183, v156, v85
	v_dual_fmac_f32 v181, v153, v80 :: v_dual_fma_f32 v63, v152, v80, -v63
	s_delay_alu instid0(VALU_DEP_3) | instskip(NEXT) | instid1(VALU_DEP_3)
	v_dual_add_f32 v60, v60, v180 :: v_dual_add_f32 v62, v58, v62
	v_dual_fmac_f32 v182, v155, v82 :: v_dual_fma_f32 v64, v154, v82, -v64
	v_dual_mul_f32 v184, v158, v87 :: v_dual_mul_f32 v185, v160, v89
	s_delay_alu instid0(VALU_DEP_3) | instskip(SKIP_2) | instid1(VALU_DEP_2)
	v_dual_add_f32 v67, v60, v181 :: v_dual_add_f32 v62, v62, v63
	s_wait_loadcnt 0x4
	v_dual_mov_b32 v60, v97 :: v_dual_fma_f32 v65, v156, v84, -v65
	v_dual_fmac_f32 v183, v157, v84 :: v_dual_add_f32 v67, v67, v182
	s_delay_alu instid0(VALU_DEP_3) | instskip(SKIP_2) | instid1(VALU_DEP_3)
	v_dual_add_f32 v64, v62, v64 :: v_dual_fmac_f32 v184, v159, v86
	v_fma_f32 v66, v158, v86, -v66
	v_dual_mul_f32 v169, v142, v91 :: v_dual_mul_f32 v171, v144, v93
	v_dual_add_f32 v67, v67, v183 :: v_dual_add_f32 v65, v64, v65
	s_wait_loadcnt 0x3
	v_mov_b32_e32 v64, v101
	v_dual_fmac_f32 v185, v161, v88 :: v_dual_fma_f32 v68, v160, v88, -v68
	s_delay_alu instid0(VALU_DEP_3) | instskip(SKIP_2) | instid1(VALU_DEP_3)
	v_dual_add_f32 v69, v67, v184 :: v_dual_add_f32 v65, v65, v66
	v_pk_mul_f32 v[58:59], v[110:111], v[94:95] op_sel:[1,1] op_sel_hi:[0,1]
	v_fmac_f32_e32 v169, v143, v90
	v_dual_fma_f32 v168, v142, v90, -v61 :: v_dual_add_f32 v69, v69, v185
	s_delay_alu instid0(VALU_DEP_4) | instskip(SKIP_3) | instid1(VALU_DEP_4)
	v_add_f32_e32 v68, v65, v68
	v_dual_fmac_f32 v171, v145, v92 :: v_dual_fma_f32 v170, v144, v92, -v70
	v_pk_fma_f32 v[70:71], v[110:111], v[94:95], v[58:59] op_sel_hi:[1,0,1]
	v_pk_mul_f32 v[56:57], v[56:57], v[60:61] op_sel_hi:[1,0]
	v_pk_add_f32 v[60:61], v[68:69], v[168:169]
	v_pk_fma_f32 v[58:59], v[110:111], v[94:95], v[58:59] neg_lo:[0,0,1] neg_hi:[0,0,1]
	v_pk_mul_f32 v[62:63], v[114:115], v[98:99] op_sel:[1,1] op_sel_hi:[0,1]
	s_wait_loadcnt 0x2
	v_dual_mov_b32 v68, v105 :: v_dual_mov_b32 v59, v71
	v_pk_fma_f32 v[70:71], v[112:113], v[96:97], v[56:57] op_sel_hi:[1,0,1]
	v_pk_add_f32 v[60:61], v[60:61], v[170:171]
	v_pk_fma_f32 v[56:57], v[112:113], v[96:97], v[56:57] neg_lo:[0,0,1] neg_hi:[0,0,1]
	v_pk_fma_f32 v[72:73], v[114:115], v[98:99], v[62:63] op_sel_hi:[1,0,1]
	v_pk_mul_f32 v[64:65], v[162:163], v[64:65] op_sel_hi:[1,0]
	v_mov_b32_e32 v57, v71
	v_pk_add_f32 v[58:59], v[60:61], v[58:59]
	v_pk_fma_f32 v[62:63], v[114:115], v[98:99], v[62:63] neg_lo:[0,0,1] neg_hi:[0,0,1]
	v_pk_mul_f32 v[66:67], v[118:119], v[102:103] op_sel:[1,1] op_sel_hi:[0,1]
	v_mov_b32_e32 v63, v73
	v_pk_fma_f32 v[70:71], v[116:117], v[100:101], v[64:65] op_sel_hi:[1,0,1]
	v_pk_add_f32 v[56:57], v[58:59], v[56:57]
	v_pk_fma_f32 v[64:65], v[116:117], v[100:101], v[64:65] neg_lo:[0,0,1] neg_hi:[0,0,1]
	v_pk_fma_f32 v[58:59], v[118:119], v[102:103], v[66:67] op_sel_hi:[1,0,1]
	v_pk_mul_f32 v[68:69], v[164:165], v[68:69] op_sel_hi:[1,0]
	s_wait_loadcnt 0x1
	v_dual_mov_b32 v65, v71 :: v_dual_mov_b32 v58, v109
	v_pk_add_f32 v[56:57], v[56:57], v[62:63]
	v_pk_fma_f32 v[62:63], v[118:119], v[102:103], v[66:67] neg_lo:[0,0,1] neg_hi:[0,0,1]
	v_pk_mul_f32 v[60:61], v[122:123], v[106:107] op_sel:[1,1] op_sel_hi:[0,1]
	v_pk_fma_f32 v[66:67], v[120:121], v[104:105], v[68:69] op_sel_hi:[1,0,1]
	v_mov_b32_e32 v63, v59
	v_pk_add_f32 v[56:57], v[56:57], v[64:65]
	v_pk_fma_f32 v[68:69], v[120:121], v[104:105], v[68:69] neg_lo:[0,0,1] neg_hi:[0,0,1]
	v_pk_fma_f32 v[64:65], v[122:123], v[106:107], v[60:61] op_sel_hi:[1,0,1]
	v_pk_mul_f32 v[58:59], v[166:167], v[58:59] op_sel_hi:[1,0]
	v_mov_b32_e32 v69, v67
	v_pk_add_f32 v[56:57], v[56:57], v[62:63]
	v_pk_fma_f32 v[60:61], v[122:123], v[106:107], v[60:61] neg_lo:[0,0,1] neg_hi:[0,0,1]
	s_delay_alu instid0(VALU_DEP_4) | instskip(SKIP_1) | instid1(VALU_DEP_4)
	v_pk_fma_f32 v[62:63], v[124:125], v[108:109], v[58:59] op_sel_hi:[1,0,1]
	v_mov_b32_e32 v61, v65
	v_pk_add_f32 v[56:57], v[56:57], v[68:69]
	v_pk_fma_f32 v[58:59], v[124:125], v[108:109], v[58:59] neg_lo:[0,0,1] neg_hi:[0,0,1]
	s_delay_alu instid0(VALU_DEP_4) | instskip(NEXT) | instid1(VALU_DEP_3)
	v_mov_b32_e32 v59, v63
	v_pk_add_f32 v[56:57], v[56:57], v[60:61]
	s_delay_alu instid0(VALU_DEP_1) | instskip(SKIP_1) | instid1(VALU_DEP_1)
	v_pk_add_f32 v[56:57], v[56:57], v[58:59]
	s_wait_loadcnt 0x0
	v_pk_add_f32 v[0:1], v[0:1], v[56:57] neg_lo:[0,1] neg_hi:[0,1]
	scratch_store_b64 off, v[0:1], off
	s_cbranch_vccz .LBB26_228
; %bb.176:
	s_wait_xcnt 0x0
	v_mov_b32_e32 v0, 0
	global_load_b32 v1, v0, s[2:3] offset:100
	s_wait_loadcnt 0x0
	v_cmp_ne_u32_e32 vcc_lo, 26, v1
	s_cbranch_vccz .LBB26_178
; %bb.177:
	v_lshlrev_b32_e32 v1, 3, v1
	scratch_load_b64 v[56:57], v1, off offset:-8
	scratch_load_b64 v[58:59], off, off offset:200
	s_wait_loadcnt 0x1
	scratch_store_b64 off, v[56:57], off offset:200
	s_wait_loadcnt 0x0
	scratch_store_b64 v1, v[58:59], off offset:-8
.LBB26_178:
	global_load_b32 v0, v0, s[2:3] offset:96
	s_wait_loadcnt 0x0
	v_cmp_eq_u32_e32 vcc_lo, 25, v0
	s_cbranch_vccnz .LBB26_180
; %bb.179:
	s_wait_xcnt 0x0
	v_lshlrev_b32_e32 v0, 3, v0
	s_delay_alu instid0(VALU_DEP_1)
	v_mov_b32_e32 v58, v0
	scratch_load_b64 v[0:1], v58, off offset:-8
	scratch_load_b64 v[56:57], off, off offset:192
	s_wait_loadcnt 0x1
	scratch_store_b64 off, v[0:1], off offset:192
	s_wait_loadcnt 0x0
	scratch_store_b64 v58, v[56:57], off offset:-8
.LBB26_180:
	s_wait_xcnt 0x0
	v_mov_b32_e32 v0, 0
	global_load_b32 v1, v0, s[2:3] offset:92
	s_wait_loadcnt 0x0
	v_cmp_eq_u32_e32 vcc_lo, 24, v1
	s_cbranch_vccnz .LBB26_182
; %bb.181:
	v_lshlrev_b32_e32 v1, 3, v1
	scratch_load_b64 v[56:57], v1, off offset:-8
	scratch_load_b64 v[58:59], off, off offset:184
	s_wait_loadcnt 0x1
	scratch_store_b64 off, v[56:57], off offset:184
	s_wait_loadcnt 0x0
	scratch_store_b64 v1, v[58:59], off offset:-8
.LBB26_182:
	global_load_b32 v0, v0, s[2:3] offset:88
	s_wait_loadcnt 0x0
	v_cmp_eq_u32_e32 vcc_lo, 23, v0
	s_cbranch_vccnz .LBB26_184
; %bb.183:
	s_wait_xcnt 0x0
	v_lshlrev_b32_e32 v0, 3, v0
	s_delay_alu instid0(VALU_DEP_1)
	v_mov_b32_e32 v58, v0
	scratch_load_b64 v[0:1], v58, off offset:-8
	scratch_load_b64 v[56:57], off, off offset:176
	s_wait_loadcnt 0x1
	scratch_store_b64 off, v[0:1], off offset:176
	s_wait_loadcnt 0x0
	scratch_store_b64 v58, v[56:57], off offset:-8
.LBB26_184:
	s_wait_xcnt 0x0
	v_mov_b32_e32 v0, 0
	global_load_b32 v1, v0, s[2:3] offset:84
	s_wait_loadcnt 0x0
	v_cmp_eq_u32_e32 vcc_lo, 22, v1
	s_cbranch_vccnz .LBB26_186
; %bb.185:
	v_lshlrev_b32_e32 v1, 3, v1
	scratch_load_b64 v[56:57], v1, off offset:-8
	scratch_load_b64 v[58:59], off, off offset:168
	s_wait_loadcnt 0x1
	scratch_store_b64 off, v[56:57], off offset:168
	s_wait_loadcnt 0x0
	scratch_store_b64 v1, v[58:59], off offset:-8
.LBB26_186:
	global_load_b32 v0, v0, s[2:3] offset:80
	s_wait_loadcnt 0x0
	v_cmp_eq_u32_e32 vcc_lo, 21, v0
	s_cbranch_vccnz .LBB26_188
; %bb.187:
	s_wait_xcnt 0x0
	v_lshlrev_b32_e32 v0, 3, v0
	s_delay_alu instid0(VALU_DEP_1)
	v_mov_b32_e32 v58, v0
	scratch_load_b64 v[0:1], v58, off offset:-8
	scratch_load_b64 v[56:57], off, off offset:160
	s_wait_loadcnt 0x1
	scratch_store_b64 off, v[0:1], off offset:160
	s_wait_loadcnt 0x0
	scratch_store_b64 v58, v[56:57], off offset:-8
.LBB26_188:
	s_wait_xcnt 0x0
	v_mov_b32_e32 v0, 0
	global_load_b32 v1, v0, s[2:3] offset:76
	s_wait_loadcnt 0x0
	v_cmp_eq_u32_e32 vcc_lo, 20, v1
	s_cbranch_vccnz .LBB26_190
; %bb.189:
	v_lshlrev_b32_e32 v1, 3, v1
	scratch_load_b64 v[56:57], v1, off offset:-8
	scratch_load_b64 v[58:59], off, off offset:152
	s_wait_loadcnt 0x1
	scratch_store_b64 off, v[56:57], off offset:152
	s_wait_loadcnt 0x0
	scratch_store_b64 v1, v[58:59], off offset:-8
.LBB26_190:
	global_load_b32 v0, v0, s[2:3] offset:72
	s_wait_loadcnt 0x0
	v_cmp_eq_u32_e32 vcc_lo, 19, v0
	s_cbranch_vccnz .LBB26_192
; %bb.191:
	s_wait_xcnt 0x0
	v_lshlrev_b32_e32 v0, 3, v0
	s_delay_alu instid0(VALU_DEP_1)
	v_mov_b32_e32 v58, v0
	scratch_load_b64 v[0:1], v58, off offset:-8
	scratch_load_b64 v[56:57], off, off offset:144
	s_wait_loadcnt 0x1
	scratch_store_b64 off, v[0:1], off offset:144
	s_wait_loadcnt 0x0
	scratch_store_b64 v58, v[56:57], off offset:-8
.LBB26_192:
	s_wait_xcnt 0x0
	v_mov_b32_e32 v0, 0
	global_load_b32 v1, v0, s[2:3] offset:68
	s_wait_loadcnt 0x0
	v_cmp_eq_u32_e32 vcc_lo, 18, v1
	s_cbranch_vccnz .LBB26_194
; %bb.193:
	v_lshlrev_b32_e32 v1, 3, v1
	scratch_load_b64 v[56:57], v1, off offset:-8
	scratch_load_b64 v[58:59], off, off offset:136
	s_wait_loadcnt 0x1
	scratch_store_b64 off, v[56:57], off offset:136
	s_wait_loadcnt 0x0
	scratch_store_b64 v1, v[58:59], off offset:-8
.LBB26_194:
	global_load_b32 v0, v0, s[2:3] offset:64
	s_wait_loadcnt 0x0
	v_cmp_eq_u32_e32 vcc_lo, 17, v0
	s_cbranch_vccnz .LBB26_196
; %bb.195:
	s_wait_xcnt 0x0
	v_lshlrev_b32_e32 v0, 3, v0
	s_delay_alu instid0(VALU_DEP_1)
	v_mov_b32_e32 v58, v0
	scratch_load_b64 v[0:1], v58, off offset:-8
	scratch_load_b64 v[56:57], off, off offset:128
	s_wait_loadcnt 0x1
	scratch_store_b64 off, v[0:1], off offset:128
	s_wait_loadcnt 0x0
	scratch_store_b64 v58, v[56:57], off offset:-8
.LBB26_196:
	s_wait_xcnt 0x0
	v_mov_b32_e32 v0, 0
	global_load_b32 v1, v0, s[2:3] offset:60
	s_wait_loadcnt 0x0
	v_cmp_eq_u32_e32 vcc_lo, 16, v1
	s_cbranch_vccnz .LBB26_198
; %bb.197:
	v_lshlrev_b32_e32 v1, 3, v1
	scratch_load_b64 v[56:57], v1, off offset:-8
	scratch_load_b64 v[58:59], off, off offset:120
	s_wait_loadcnt 0x1
	scratch_store_b64 off, v[56:57], off offset:120
	s_wait_loadcnt 0x0
	scratch_store_b64 v1, v[58:59], off offset:-8
.LBB26_198:
	global_load_b32 v0, v0, s[2:3] offset:56
	s_wait_loadcnt 0x0
	v_cmp_eq_u32_e32 vcc_lo, 15, v0
	s_cbranch_vccnz .LBB26_200
; %bb.199:
	s_wait_xcnt 0x0
	v_lshlrev_b32_e32 v0, 3, v0
	s_delay_alu instid0(VALU_DEP_1)
	v_mov_b32_e32 v58, v0
	scratch_load_b64 v[0:1], v58, off offset:-8
	scratch_load_b64 v[56:57], off, off offset:112
	s_wait_loadcnt 0x1
	scratch_store_b64 off, v[0:1], off offset:112
	s_wait_loadcnt 0x0
	scratch_store_b64 v58, v[56:57], off offset:-8
.LBB26_200:
	s_wait_xcnt 0x0
	v_mov_b32_e32 v0, 0
	global_load_b32 v1, v0, s[2:3] offset:52
	s_wait_loadcnt 0x0
	v_cmp_eq_u32_e32 vcc_lo, 14, v1
	s_cbranch_vccnz .LBB26_202
; %bb.201:
	v_lshlrev_b32_e32 v1, 3, v1
	scratch_load_b64 v[56:57], v1, off offset:-8
	scratch_load_b64 v[58:59], off, off offset:104
	s_wait_loadcnt 0x1
	scratch_store_b64 off, v[56:57], off offset:104
	s_wait_loadcnt 0x0
	scratch_store_b64 v1, v[58:59], off offset:-8
.LBB26_202:
	global_load_b32 v0, v0, s[2:3] offset:48
	s_wait_loadcnt 0x0
	v_cmp_eq_u32_e32 vcc_lo, 13, v0
	s_cbranch_vccnz .LBB26_204
; %bb.203:
	s_wait_xcnt 0x0
	v_lshlrev_b32_e32 v0, 3, v0
	s_delay_alu instid0(VALU_DEP_1)
	v_mov_b32_e32 v58, v0
	scratch_load_b64 v[0:1], v58, off offset:-8
	scratch_load_b64 v[56:57], off, off offset:96
	s_wait_loadcnt 0x1
	scratch_store_b64 off, v[0:1], off offset:96
	s_wait_loadcnt 0x0
	scratch_store_b64 v58, v[56:57], off offset:-8
.LBB26_204:
	s_wait_xcnt 0x0
	v_mov_b32_e32 v0, 0
	global_load_b32 v1, v0, s[2:3] offset:44
	s_wait_loadcnt 0x0
	v_cmp_eq_u32_e32 vcc_lo, 12, v1
	s_cbranch_vccnz .LBB26_206
; %bb.205:
	v_lshlrev_b32_e32 v1, 3, v1
	scratch_load_b64 v[56:57], v1, off offset:-8
	scratch_load_b64 v[58:59], off, off offset:88
	s_wait_loadcnt 0x1
	scratch_store_b64 off, v[56:57], off offset:88
	s_wait_loadcnt 0x0
	scratch_store_b64 v1, v[58:59], off offset:-8
.LBB26_206:
	global_load_b32 v0, v0, s[2:3] offset:40
	s_wait_loadcnt 0x0
	v_cmp_eq_u32_e32 vcc_lo, 11, v0
	s_cbranch_vccnz .LBB26_208
; %bb.207:
	s_wait_xcnt 0x0
	v_lshlrev_b32_e32 v0, 3, v0
	s_delay_alu instid0(VALU_DEP_1)
	v_mov_b32_e32 v58, v0
	scratch_load_b64 v[0:1], v58, off offset:-8
	scratch_load_b64 v[56:57], off, off offset:80
	s_wait_loadcnt 0x1
	scratch_store_b64 off, v[0:1], off offset:80
	s_wait_loadcnt 0x0
	scratch_store_b64 v58, v[56:57], off offset:-8
.LBB26_208:
	s_wait_xcnt 0x0
	v_mov_b32_e32 v0, 0
	global_load_b32 v1, v0, s[2:3] offset:36
	s_wait_loadcnt 0x0
	v_cmp_eq_u32_e32 vcc_lo, 10, v1
	s_cbranch_vccnz .LBB26_210
; %bb.209:
	v_lshlrev_b32_e32 v1, 3, v1
	scratch_load_b64 v[56:57], v1, off offset:-8
	scratch_load_b64 v[58:59], off, off offset:72
	s_wait_loadcnt 0x1
	scratch_store_b64 off, v[56:57], off offset:72
	s_wait_loadcnt 0x0
	scratch_store_b64 v1, v[58:59], off offset:-8
.LBB26_210:
	global_load_b32 v0, v0, s[2:3] offset:32
	s_wait_loadcnt 0x0
	v_cmp_eq_u32_e32 vcc_lo, 9, v0
	s_cbranch_vccnz .LBB26_212
; %bb.211:
	s_wait_xcnt 0x0
	v_lshlrev_b32_e32 v0, 3, v0
	s_delay_alu instid0(VALU_DEP_1)
	v_mov_b32_e32 v58, v0
	scratch_load_b64 v[0:1], v58, off offset:-8
	scratch_load_b64 v[56:57], off, off offset:64
	s_wait_loadcnt 0x1
	scratch_store_b64 off, v[0:1], off offset:64
	s_wait_loadcnt 0x0
	scratch_store_b64 v58, v[56:57], off offset:-8
.LBB26_212:
	s_wait_xcnt 0x0
	v_mov_b32_e32 v0, 0
	global_load_b32 v1, v0, s[2:3] offset:28
	s_wait_loadcnt 0x0
	v_cmp_eq_u32_e32 vcc_lo, 8, v1
	s_cbranch_vccnz .LBB26_214
; %bb.213:
	v_lshlrev_b32_e32 v1, 3, v1
	scratch_load_b64 v[56:57], v1, off offset:-8
	scratch_load_b64 v[58:59], off, off offset:56
	s_wait_loadcnt 0x1
	scratch_store_b64 off, v[56:57], off offset:56
	s_wait_loadcnt 0x0
	scratch_store_b64 v1, v[58:59], off offset:-8
.LBB26_214:
	global_load_b32 v0, v0, s[2:3] offset:24
	s_wait_loadcnt 0x0
	v_cmp_eq_u32_e32 vcc_lo, 7, v0
	s_cbranch_vccnz .LBB26_216
; %bb.215:
	s_wait_xcnt 0x0
	v_lshlrev_b32_e32 v0, 3, v0
	s_delay_alu instid0(VALU_DEP_1)
	v_mov_b32_e32 v58, v0
	scratch_load_b64 v[0:1], v58, off offset:-8
	scratch_load_b64 v[56:57], off, off offset:48
	s_wait_loadcnt 0x1
	scratch_store_b64 off, v[0:1], off offset:48
	s_wait_loadcnt 0x0
	scratch_store_b64 v58, v[56:57], off offset:-8
.LBB26_216:
	s_wait_xcnt 0x0
	v_mov_b32_e32 v0, 0
	global_load_b32 v1, v0, s[2:3] offset:20
	s_wait_loadcnt 0x0
	v_cmp_eq_u32_e32 vcc_lo, 6, v1
	s_cbranch_vccnz .LBB26_218
; %bb.217:
	v_lshlrev_b32_e32 v1, 3, v1
	scratch_load_b64 v[56:57], v1, off offset:-8
	scratch_load_b64 v[58:59], off, off offset:40
	s_wait_loadcnt 0x1
	scratch_store_b64 off, v[56:57], off offset:40
	s_wait_loadcnt 0x0
	scratch_store_b64 v1, v[58:59], off offset:-8
.LBB26_218:
	global_load_b32 v0, v0, s[2:3] offset:16
	s_wait_loadcnt 0x0
	v_cmp_eq_u32_e32 vcc_lo, 5, v0
	s_cbranch_vccnz .LBB26_220
; %bb.219:
	s_wait_xcnt 0x0
	v_lshlrev_b32_e32 v0, 3, v0
	s_delay_alu instid0(VALU_DEP_1)
	v_mov_b32_e32 v58, v0
	scratch_load_b64 v[0:1], v58, off offset:-8
	scratch_load_b64 v[56:57], off, off offset:32
	s_wait_loadcnt 0x1
	scratch_store_b64 off, v[0:1], off offset:32
	s_wait_loadcnt 0x0
	scratch_store_b64 v58, v[56:57], off offset:-8
.LBB26_220:
	s_wait_xcnt 0x0
	v_mov_b32_e32 v0, 0
	global_load_b32 v1, v0, s[2:3] offset:12
	s_wait_loadcnt 0x0
	v_cmp_eq_u32_e32 vcc_lo, 4, v1
	s_cbranch_vccnz .LBB26_222
; %bb.221:
	v_lshlrev_b32_e32 v1, 3, v1
	scratch_load_b64 v[56:57], v1, off offset:-8
	scratch_load_b64 v[58:59], off, off offset:24
	s_wait_loadcnt 0x1
	scratch_store_b64 off, v[56:57], off offset:24
	s_wait_loadcnt 0x0
	scratch_store_b64 v1, v[58:59], off offset:-8
.LBB26_222:
	global_load_b32 v0, v0, s[2:3] offset:8
	s_wait_loadcnt 0x0
	v_cmp_eq_u32_e32 vcc_lo, 3, v0
	s_cbranch_vccnz .LBB26_224
; %bb.223:
	s_wait_xcnt 0x0
	v_lshlrev_b32_e32 v0, 3, v0
	s_delay_alu instid0(VALU_DEP_1)
	v_mov_b32_e32 v58, v0
	scratch_load_b64 v[0:1], v58, off offset:-8
	scratch_load_b64 v[56:57], off, off offset:16
	s_wait_loadcnt 0x1
	scratch_store_b64 off, v[0:1], off offset:16
	s_wait_loadcnt 0x0
	scratch_store_b64 v58, v[56:57], off offset:-8
.LBB26_224:
	s_wait_xcnt 0x0
	v_mov_b32_e32 v0, 0
	global_load_b32 v1, v0, s[2:3] offset:4
	s_wait_loadcnt 0x0
	v_cmp_eq_u32_e32 vcc_lo, 2, v1
	s_cbranch_vccnz .LBB26_226
; %bb.225:
	v_lshlrev_b32_e32 v1, 3, v1
	scratch_load_b64 v[56:57], v1, off offset:-8
	scratch_load_b64 v[58:59], off, off offset:8
	s_wait_loadcnt 0x1
	scratch_store_b64 off, v[56:57], off offset:8
	s_wait_loadcnt 0x0
	scratch_store_b64 v1, v[58:59], off offset:-8
.LBB26_226:
	global_load_b32 v56, v0, s[2:3]
	scratch_load_b64 v[0:1], off, off
	s_wait_loadcnt 0x1
	v_cmp_eq_u32_e32 vcc_lo, 1, v56
	s_cbranch_vccnz .LBB26_228
; %bb.227:
	v_lshlrev_b32_e32 v56, 3, v56
	s_delay_alu instid0(VALU_DEP_1)
	v_mov_b32_e32 v58, v56
	scratch_load_b64 v[56:57], v58, off offset:-8
	s_wait_loadcnt 0x0
	scratch_store_b64 off, v[56:57], off
	scratch_store_b64 v58, v[0:1], off offset:-8
	scratch_load_b64 v[0:1], off, off
.LBB26_228:
	v_lshl_add_u64 v[56:57], v[2:3], 3, s[4:5]
	v_lshl_add_u64 v[58:59], v[6:7], 3, s[4:5]
	;; [unrolled: 1-line block ×4, first 2 shown]
	s_clause 0xc
	scratch_load_b128 v[52:55], off, off offset:8
	scratch_load_b128 v[60:63], off, off offset:24
	;; [unrolled: 1-line block ×13, first 2 shown]
	v_lshl_add_u64 v[10:11], v[10:11], 3, s[4:5]
	v_lshl_add_u64 v[12:13], v[12:13], 3, s[4:5]
	;; [unrolled: 1-line block ×21, first 2 shown]
	s_wait_loadcnt 0xd
	global_store_b64 v[4:5], v[0:1], off
	s_wait_loadcnt 0xc
	s_clause 0x1
	global_store_b64 v[8:9], v[52:53], off
	global_store_b64 v[56:57], v[54:55], off
	s_wait_loadcnt 0xb
	s_clause 0x1
	global_store_b64 v[58:59], v[60:61], off
	;; [unrolled: 4-line block ×13, first 2 shown]
	global_store_b64 v[6:7], v[106:107], off
	s_sendmsg sendmsg(MSG_DEALLOC_VGPRS)
	s_endpgm
	.section	.rodata,"a",@progbits
	.p2align	6, 0x0
	.amdhsa_kernel _ZN9rocsolver6v33100L18getri_kernel_smallILi27E19rocblas_complex_numIfEPS3_EEvT1_iilPiilS6_bb
		.amdhsa_group_segment_fixed_size 440
		.amdhsa_private_segment_fixed_size 224
		.amdhsa_kernarg_size 60
		.amdhsa_user_sgpr_count 2
		.amdhsa_user_sgpr_dispatch_ptr 0
		.amdhsa_user_sgpr_queue_ptr 0
		.amdhsa_user_sgpr_kernarg_segment_ptr 1
		.amdhsa_user_sgpr_dispatch_id 0
		.amdhsa_user_sgpr_kernarg_preload_length 0
		.amdhsa_user_sgpr_kernarg_preload_offset 0
		.amdhsa_user_sgpr_private_segment_size 0
		.amdhsa_wavefront_size32 1
		.amdhsa_uses_dynamic_stack 0
		.amdhsa_enable_private_segment 1
		.amdhsa_system_sgpr_workgroup_id_x 1
		.amdhsa_system_sgpr_workgroup_id_y 0
		.amdhsa_system_sgpr_workgroup_id_z 0
		.amdhsa_system_sgpr_workgroup_info 0
		.amdhsa_system_vgpr_workitem_id 0
		.amdhsa_next_free_vgpr 186
		.amdhsa_next_free_sgpr 19
		.amdhsa_named_barrier_count 0
		.amdhsa_reserve_vcc 1
		.amdhsa_float_round_mode_32 0
		.amdhsa_float_round_mode_16_64 0
		.amdhsa_float_denorm_mode_32 3
		.amdhsa_float_denorm_mode_16_64 3
		.amdhsa_fp16_overflow 0
		.amdhsa_memory_ordered 1
		.amdhsa_forward_progress 1
		.amdhsa_inst_pref_size 255
		.amdhsa_round_robin_scheduling 0
		.amdhsa_exception_fp_ieee_invalid_op 0
		.amdhsa_exception_fp_denorm_src 0
		.amdhsa_exception_fp_ieee_div_zero 0
		.amdhsa_exception_fp_ieee_overflow 0
		.amdhsa_exception_fp_ieee_underflow 0
		.amdhsa_exception_fp_ieee_inexact 0
		.amdhsa_exception_int_div_zero 0
	.end_amdhsa_kernel
	.section	.text._ZN9rocsolver6v33100L18getri_kernel_smallILi27E19rocblas_complex_numIfEPS3_EEvT1_iilPiilS6_bb,"axG",@progbits,_ZN9rocsolver6v33100L18getri_kernel_smallILi27E19rocblas_complex_numIfEPS3_EEvT1_iilPiilS6_bb,comdat
.Lfunc_end26:
	.size	_ZN9rocsolver6v33100L18getri_kernel_smallILi27E19rocblas_complex_numIfEPS3_EEvT1_iilPiilS6_bb, .Lfunc_end26-_ZN9rocsolver6v33100L18getri_kernel_smallILi27E19rocblas_complex_numIfEPS3_EEvT1_iilPiilS6_bb
                                        ; -- End function
	.set _ZN9rocsolver6v33100L18getri_kernel_smallILi27E19rocblas_complex_numIfEPS3_EEvT1_iilPiilS6_bb.num_vgpr, 186
	.set _ZN9rocsolver6v33100L18getri_kernel_smallILi27E19rocblas_complex_numIfEPS3_EEvT1_iilPiilS6_bb.num_agpr, 0
	.set _ZN9rocsolver6v33100L18getri_kernel_smallILi27E19rocblas_complex_numIfEPS3_EEvT1_iilPiilS6_bb.numbered_sgpr, 19
	.set _ZN9rocsolver6v33100L18getri_kernel_smallILi27E19rocblas_complex_numIfEPS3_EEvT1_iilPiilS6_bb.num_named_barrier, 0
	.set _ZN9rocsolver6v33100L18getri_kernel_smallILi27E19rocblas_complex_numIfEPS3_EEvT1_iilPiilS6_bb.private_seg_size, 224
	.set _ZN9rocsolver6v33100L18getri_kernel_smallILi27E19rocblas_complex_numIfEPS3_EEvT1_iilPiilS6_bb.uses_vcc, 1
	.set _ZN9rocsolver6v33100L18getri_kernel_smallILi27E19rocblas_complex_numIfEPS3_EEvT1_iilPiilS6_bb.uses_flat_scratch, 1
	.set _ZN9rocsolver6v33100L18getri_kernel_smallILi27E19rocblas_complex_numIfEPS3_EEvT1_iilPiilS6_bb.has_dyn_sized_stack, 0
	.set _ZN9rocsolver6v33100L18getri_kernel_smallILi27E19rocblas_complex_numIfEPS3_EEvT1_iilPiilS6_bb.has_recursion, 0
	.set _ZN9rocsolver6v33100L18getri_kernel_smallILi27E19rocblas_complex_numIfEPS3_EEvT1_iilPiilS6_bb.has_indirect_call, 0
	.section	.AMDGPU.csdata,"",@progbits
; Kernel info:
; codeLenInByte = 34152
; TotalNumSgprs: 21
; NumVgprs: 186
; ScratchSize: 224
; MemoryBound: 0
; FloatMode: 240
; IeeeMode: 1
; LDSByteSize: 440 bytes/workgroup (compile time only)
; SGPRBlocks: 0
; VGPRBlocks: 11
; NumSGPRsForWavesPerEU: 21
; NumVGPRsForWavesPerEU: 186
; NamedBarCnt: 0
; Occupancy: 5
; WaveLimiterHint : 1
; COMPUTE_PGM_RSRC2:SCRATCH_EN: 1
; COMPUTE_PGM_RSRC2:USER_SGPR: 2
; COMPUTE_PGM_RSRC2:TRAP_HANDLER: 0
; COMPUTE_PGM_RSRC2:TGID_X_EN: 1
; COMPUTE_PGM_RSRC2:TGID_Y_EN: 0
; COMPUTE_PGM_RSRC2:TGID_Z_EN: 0
; COMPUTE_PGM_RSRC2:TIDIG_COMP_CNT: 0
	.section	.text._ZN9rocsolver6v33100L18getri_kernel_smallILi28E19rocblas_complex_numIfEPS3_EEvT1_iilPiilS6_bb,"axG",@progbits,_ZN9rocsolver6v33100L18getri_kernel_smallILi28E19rocblas_complex_numIfEPS3_EEvT1_iilPiilS6_bb,comdat
	.globl	_ZN9rocsolver6v33100L18getri_kernel_smallILi28E19rocblas_complex_numIfEPS3_EEvT1_iilPiilS6_bb ; -- Begin function _ZN9rocsolver6v33100L18getri_kernel_smallILi28E19rocblas_complex_numIfEPS3_EEvT1_iilPiilS6_bb
	.p2align	8
	.type	_ZN9rocsolver6v33100L18getri_kernel_smallILi28E19rocblas_complex_numIfEPS3_EEvT1_iilPiilS6_bb,@function
_ZN9rocsolver6v33100L18getri_kernel_smallILi28E19rocblas_complex_numIfEPS3_EEvT1_iilPiilS6_bb: ; @_ZN9rocsolver6v33100L18getri_kernel_smallILi28E19rocblas_complex_numIfEPS3_EEvT1_iilPiilS6_bb
; %bb.0:
	s_mov_b32 s2, exec_lo
	v_cmpx_gt_u32_e32 28, v0
	s_cbranch_execz .LBB27_126
; %bb.1:
	s_clause 0x2
	s_load_b32 s2, s[0:1], 0x38
	s_load_b128 s[12:15], s[0:1], 0x10
	s_load_b128 s[4:7], s[0:1], 0x28
	s_getreg_b32 s9, hwreg(HW_REG_IB_STS2, 6, 4)
	s_wait_kmcnt 0x0
	s_bitcmp1_b32 s2, 8
	s_cselect_b32 s18, -1, 0
	s_bfe_u32 s3, ttmp6, 0x4000c
	s_and_b32 s8, ttmp6, 15
	s_add_co_i32 s3, s3, 1
	s_delay_alu instid0(SALU_CYCLE_1) | instskip(NEXT) | instid1(SALU_CYCLE_1)
	s_mul_i32 s3, ttmp9, s3
	s_add_co_i32 s8, s8, s3
	s_cmp_eq_u32 s9, 0
	s_cselect_b32 s16, ttmp9, s8
	s_bfe_u32 s2, s2, 0x10008
	s_ashr_i32 s17, s16, 31
	s_cmp_eq_u32 s2, 0
                                        ; implicit-def: $sgpr2_sgpr3
	s_cbranch_scc1 .LBB27_3
; %bb.2:
	s_load_b32 s2, s[0:1], 0x20
	s_mul_u64 s[4:5], s[4:5], s[16:17]
	s_delay_alu instid0(SALU_CYCLE_1) | instskip(NEXT) | instid1(SALU_CYCLE_1)
	s_lshl_b64 s[4:5], s[4:5], 2
	s_add_nc_u64 s[4:5], s[14:15], s[4:5]
	s_wait_kmcnt 0x0
	s_ashr_i32 s3, s2, 31
	s_delay_alu instid0(SALU_CYCLE_1) | instskip(NEXT) | instid1(SALU_CYCLE_1)
	s_lshl_b64 s[2:3], s[2:3], 2
	s_add_nc_u64 s[2:3], s[4:5], s[2:3]
.LBB27_3:
	s_clause 0x1
	s_load_b128 s[8:11], s[0:1], 0x0
	s_load_b32 s14, s[0:1], 0x38
	s_wait_xcnt 0x0
	s_mul_u64 s[0:1], s[12:13], s[16:17]
	v_lshlrev_b32_e32 v58, 3, v0
	s_lshl_b64 s[0:1], s[0:1], 3
	s_wait_kmcnt 0x0
	v_add3_u32 v4, s11, s11, v0
	s_ashr_i32 s5, s10, 31
	s_mov_b32 s4, s10
	s_add_nc_u64 s[0:1], s[8:9], s[0:1]
	s_lshl_b64 s[4:5], s[4:5], 3
	v_add_nc_u32_e32 v6, s11, v4
	s_add_nc_u64 s[4:5], s[0:1], s[4:5]
	s_ashr_i32 s1, s11, 31
	s_mov_b32 s0, s11
	s_bitcmp0_b32 s14, 0
	v_add_nc_u32_e32 v10, s11, v6
	s_delay_alu instid0(VALU_DEP_1) | instskip(NEXT) | instid1(VALU_DEP_1)
	v_add_nc_u32_e32 v12, s11, v10
	v_add_nc_u32_e32 v14, s11, v12
	s_delay_alu instid0(VALU_DEP_1) | instskip(NEXT) | instid1(VALU_DEP_1)
	v_add_nc_u32_e32 v16, s11, v14
	;; [unrolled: 3-line block ×6, first 2 shown]
	v_add_nc_u32_e32 v34, s11, v32
	s_delay_alu instid0(VALU_DEP_1) | instskip(NEXT) | instid1(VALU_DEP_1)
	v_dual_mov_b32 v59, 0 :: v_dual_add_nc_u32 v36, s11, v34
	v_add_nc_u32_e32 v38, s11, v36
	s_delay_alu instid0(VALU_DEP_2) | instskip(NEXT) | instid1(VALU_DEP_2)
	v_add_nc_u64_e32 v[2:3], s[4:5], v[58:59]
	v_add_nc_u32_e32 v40, s11, v38
	s_delay_alu instid0(VALU_DEP_2) | instskip(SKIP_1) | instid1(VALU_DEP_2)
	v_lshl_add_u64 v[8:9], s[0:1], 3, v[2:3]
	s_mov_b32 s1, -1
	v_add_nc_u32_e32 v42, s11, v40
	s_clause 0x9
	global_load_b64 v[60:61], v0, s[4:5] scale_offset
	global_load_b64 v[62:63], v[8:9], off
	global_load_b64 v[64:65], v4, s[4:5] scale_offset
	global_load_b64 v[66:67], v6, s[4:5] scale_offset
	;; [unrolled: 1-line block ×8, first 2 shown]
	v_add_nc_u32_e32 v44, s11, v42
	s_clause 0x7
	global_load_b64 v[80:81], v22, s[4:5] scale_offset
	global_load_b64 v[82:83], v24, s[4:5] scale_offset
	;; [unrolled: 1-line block ×8, first 2 shown]
	v_add_nc_u32_e32 v46, s11, v44
	s_delay_alu instid0(VALU_DEP_1) | instskip(NEXT) | instid1(VALU_DEP_1)
	v_add_nc_u32_e32 v48, s11, v46
	v_add_nc_u32_e32 v50, s11, v48
	s_clause 0x3
	global_load_b64 v[96:97], v38, s[4:5] scale_offset
	global_load_b64 v[98:99], v40, s[4:5] scale_offset
	;; [unrolled: 1-line block ×4, first 2 shown]
	v_add_nc_u32_e32 v52, s11, v50
	s_delay_alu instid0(VALU_DEP_1) | instskip(NEXT) | instid1(VALU_DEP_1)
	v_add_nc_u32_e32 v54, s11, v52
	v_add_nc_u32_e32 v56, s11, v54
	s_clause 0x5
	global_load_b64 v[104:105], v46, s[4:5] scale_offset
	global_load_b64 v[106:107], v48, s[4:5] scale_offset
	;; [unrolled: 1-line block ×6, first 2 shown]
	s_wait_loadcnt 0x1a
	scratch_store_b128 off, v[60:63], off
	s_wait_loadcnt 0x18
	scratch_store_b128 off, v[64:67], off offset:16
	s_wait_loadcnt 0x16
	scratch_store_b128 off, v[68:71], off offset:32
	;; [unrolled: 2-line block ×13, first 2 shown]
	s_cbranch_scc1 .LBB27_124
; %bb.4:
	v_cmp_eq_u32_e64 s0, 0, v0
	s_wait_xcnt 0x0
	s_and_saveexec_b32 s1, s0
; %bb.5:
	v_mov_b32_e32 v1, 0
	ds_store_b32 v1, v1 offset:448
; %bb.6:
	s_or_b32 exec_lo, exec_lo, s1
	s_wait_storecnt_dscnt 0x0
	s_barrier_signal -1
	s_barrier_wait -1
	scratch_load_b64 v[60:61], v0, off scale_offset
	s_wait_loadcnt 0x0
	v_cmp_eq_f32_e32 vcc_lo, 0, v60
	v_cmp_eq_f32_e64 s1, 0, v61
	s_and_b32 s1, vcc_lo, s1
	s_delay_alu instid0(SALU_CYCLE_1)
	s_and_saveexec_b32 s8, s1
	s_cbranch_execz .LBB27_10
; %bb.7:
	v_mov_b32_e32 v1, 0
	s_mov_b32 s9, 0
	ds_load_b32 v5, v1 offset:448
	s_wait_dscnt 0x0
	v_readfirstlane_b32 s1, v5
	v_add_nc_u32_e32 v5, 1, v0
	s_cmp_eq_u32 s1, 0
	s_delay_alu instid0(VALU_DEP_1) | instskip(SKIP_1) | instid1(SALU_CYCLE_1)
	v_cmp_gt_i32_e32 vcc_lo, s1, v5
	s_cselect_b32 s10, -1, 0
	s_or_b32 s10, s10, vcc_lo
	s_delay_alu instid0(SALU_CYCLE_1)
	s_and_b32 exec_lo, exec_lo, s10
	s_cbranch_execz .LBB27_10
; %bb.8:
	v_mov_b32_e32 v7, s1
.LBB27_9:                               ; =>This Inner Loop Header: Depth=1
	ds_cmpstore_rtn_b32 v7, v1, v5, v7 offset:448
	s_wait_dscnt 0x0
	v_cmp_ne_u32_e32 vcc_lo, 0, v7
	v_cmp_le_i32_e64 s1, v7, v5
	s_and_b32 s1, vcc_lo, s1
	s_delay_alu instid0(SALU_CYCLE_1) | instskip(NEXT) | instid1(SALU_CYCLE_1)
	s_and_b32 s1, exec_lo, s1
	s_or_b32 s9, s1, s9
	s_delay_alu instid0(SALU_CYCLE_1)
	s_and_not1_b32 exec_lo, exec_lo, s9
	s_cbranch_execnz .LBB27_9
.LBB27_10:
	s_or_b32 exec_lo, exec_lo, s8
	v_mov_b32_e32 v1, 0
	s_barrier_signal -1
	s_barrier_wait -1
	ds_load_b32 v5, v1 offset:448
	s_and_saveexec_b32 s1, s0
	s_cbranch_execz .LBB27_12
; %bb.11:
	s_lshl_b64 s[8:9], s[16:17], 2
	s_delay_alu instid0(SALU_CYCLE_1)
	s_add_nc_u64 s[8:9], s[6:7], s[8:9]
	s_wait_dscnt 0x0
	global_store_b32 v1, v5, s[8:9]
.LBB27_12:
	s_wait_xcnt 0x0
	s_or_b32 exec_lo, exec_lo, s1
	s_wait_dscnt 0x0
	v_cmp_ne_u32_e32 vcc_lo, 0, v5
	s_mov_b32 s1, 0
	s_cbranch_vccnz .LBB27_124
; %bb.13:
	v_lshl_add_u32 v5, v0, 3, 0
                                        ; implicit-def: $vgpr63
                                        ; implicit-def: $vgpr64
	scratch_load_b64 v[60:61], v5, off
	s_wait_loadcnt 0x0
	v_cmp_ngt_f32_e64 s1, |v60|, |v61|
	s_wait_xcnt 0x0
	s_and_saveexec_b32 s8, s1
	s_delay_alu instid0(SALU_CYCLE_1)
	s_xor_b32 s1, exec_lo, s8
	s_cbranch_execz .LBB27_15
; %bb.14:
	v_div_scale_f32 v1, null, v61, v61, v60
	v_div_scale_f32 v13, vcc_lo, v60, v61, v60
	s_delay_alu instid0(VALU_DEP_2) | instskip(SKIP_1) | instid1(TRANS32_DEP_1)
	v_rcp_f32_e32 v7, v1
	v_nop
	v_fma_f32 v11, -v1, v7, 1.0
	s_delay_alu instid0(VALU_DEP_1) | instskip(NEXT) | instid1(VALU_DEP_1)
	v_fmac_f32_e32 v7, v11, v7
	v_mul_f32_e32 v11, v13, v7
	s_delay_alu instid0(VALU_DEP_1) | instskip(NEXT) | instid1(VALU_DEP_1)
	v_fma_f32 v15, -v1, v11, v13
	v_fmac_f32_e32 v11, v15, v7
	s_delay_alu instid0(VALU_DEP_1) | instskip(NEXT) | instid1(VALU_DEP_1)
	v_fma_f32 v1, -v1, v11, v13
	v_div_fmas_f32 v1, v1, v7, v11
	s_delay_alu instid0(VALU_DEP_1) | instskip(NEXT) | instid1(VALU_DEP_1)
	v_div_fixup_f32 v1, v1, v61, v60
	v_fmac_f32_e32 v61, v60, v1
	s_delay_alu instid0(VALU_DEP_1) | instskip(NEXT) | instid1(VALU_DEP_1)
	v_div_scale_f32 v7, null, v61, v61, -1.0
	v_rcp_f32_e32 v11, v7
	v_nop
	s_delay_alu instid0(TRANS32_DEP_1) | instskip(NEXT) | instid1(VALU_DEP_1)
	v_fma_f32 v13, -v7, v11, 1.0
	v_fmac_f32_e32 v11, v13, v11
	v_div_scale_f32 v13, vcc_lo, -1.0, v61, -1.0
	s_delay_alu instid0(VALU_DEP_1) | instskip(NEXT) | instid1(VALU_DEP_1)
	v_mul_f32_e32 v15, v13, v11
	v_fma_f32 v17, -v7, v15, v13
	s_delay_alu instid0(VALU_DEP_1) | instskip(NEXT) | instid1(VALU_DEP_1)
	v_fmac_f32_e32 v15, v17, v11
	v_fma_f32 v7, -v7, v15, v13
	s_delay_alu instid0(VALU_DEP_1) | instskip(NEXT) | instid1(VALU_DEP_1)
	v_div_fmas_f32 v7, v7, v11, v15
	v_div_fixup_f32 v63, v7, v61, -1.0
                                        ; implicit-def: $vgpr60_vgpr61
	s_delay_alu instid0(VALU_DEP_1) | instskip(NEXT) | instid1(VALU_DEP_1)
	v_mul_f32_e32 v64, v1, v63
	v_xor_b32_e32 v62, 0x80000000, v64
.LBB27_15:
	s_and_not1_saveexec_b32 s1, s1
	s_cbranch_execz .LBB27_17
; %bb.16:
	v_div_scale_f32 v1, null, v60, v60, v61
	v_div_scale_f32 v13, vcc_lo, v61, v60, v61
	s_delay_alu instid0(VALU_DEP_2) | instskip(SKIP_1) | instid1(TRANS32_DEP_1)
	v_rcp_f32_e32 v7, v1
	v_nop
	v_fma_f32 v11, -v1, v7, 1.0
	s_delay_alu instid0(VALU_DEP_1) | instskip(NEXT) | instid1(VALU_DEP_1)
	v_fmac_f32_e32 v7, v11, v7
	v_mul_f32_e32 v11, v13, v7
	s_delay_alu instid0(VALU_DEP_1) | instskip(NEXT) | instid1(VALU_DEP_1)
	v_fma_f32 v15, -v1, v11, v13
	v_fmac_f32_e32 v11, v15, v7
	s_delay_alu instid0(VALU_DEP_1) | instskip(NEXT) | instid1(VALU_DEP_1)
	v_fma_f32 v1, -v1, v11, v13
	v_div_fmas_f32 v1, v1, v7, v11
	s_delay_alu instid0(VALU_DEP_1) | instskip(NEXT) | instid1(VALU_DEP_1)
	v_div_fixup_f32 v1, v1, v60, v61
	v_fmac_f32_e32 v60, v61, v1
	s_delay_alu instid0(VALU_DEP_1) | instskip(SKIP_1) | instid1(VALU_DEP_2)
	v_div_scale_f32 v7, null, v60, v60, 1.0
	v_div_scale_f32 v15, vcc_lo, 1.0, v60, 1.0
	v_rcp_f32_e32 v11, v7
	v_nop
	s_delay_alu instid0(TRANS32_DEP_1) | instskip(NEXT) | instid1(VALU_DEP_1)
	v_fma_f32 v13, -v7, v11, 1.0
	v_fmac_f32_e32 v11, v13, v11
	s_delay_alu instid0(VALU_DEP_1) | instskip(NEXT) | instid1(VALU_DEP_1)
	v_mul_f32_e32 v13, v15, v11
	v_fma_f32 v17, -v7, v13, v15
	s_delay_alu instid0(VALU_DEP_1) | instskip(NEXT) | instid1(VALU_DEP_1)
	v_fmac_f32_e32 v13, v17, v11
	v_fma_f32 v7, -v7, v13, v15
	s_delay_alu instid0(VALU_DEP_1) | instskip(NEXT) | instid1(VALU_DEP_1)
	v_div_fmas_f32 v7, v7, v11, v13
	v_div_fixup_f32 v62, v7, v60, 1.0
	s_delay_alu instid0(VALU_DEP_1)
	v_xor_b32_e32 v64, 0x80000000, v62
	v_mul_f32_e64 v63, v1, -v62
.LBB27_17:
	s_or_b32 exec_lo, exec_lo, s1
	scratch_store_b64 v5, v[62:63], off
	scratch_load_b64 v[60:61], off, off offset:8
	v_xor_b32_e32 v65, 0x80000000, v63
	v_add_nc_u32_e32 v1, 0xe0, v58
	s_wait_loadcnt 0x0
	ds_store_2addr_b64 v58, v[64:65], v[60:61] offset1:28
	s_wait_storecnt_dscnt 0x0
	s_barrier_signal -1
	s_barrier_wait -1
	s_wait_xcnt 0x0
	s_and_saveexec_b32 s1, s0
	s_cbranch_execz .LBB27_19
; %bb.18:
	scratch_load_b64 v[60:61], v5, off
	ds_load_b64 v[62:63], v1
	s_wait_loadcnt_dscnt 0x0
	v_pk_mul_f32 v[66:67], v[62:63], v[60:61] op_sel:[1,1] op_sel_hi:[0,1]
	s_delay_alu instid0(VALU_DEP_1) | instskip(SKIP_2) | instid1(VALU_DEP_3)
	v_pk_fma_f32 v[68:69], v[62:63], v[60:61], v[66:67] op_sel_hi:[1,0,1]
	v_mov_b32_e32 v7, 0
	v_pk_fma_f32 v[60:61], v[62:63], v[60:61], v[66:67] neg_lo:[0,0,1] neg_hi:[0,0,1]
	v_mov_b32_e32 v61, v69
	ds_load_b64 v[64:65], v7 offset:8
	v_pk_add_f32 v[60:61], v[60:61], 0 op_sel_hi:[1,0]
	s_wait_dscnt 0x0
	s_delay_alu instid0(VALU_DEP_1) | instskip(NEXT) | instid1(VALU_DEP_1)
	v_pk_mul_f32 v[62:63], v[60:61], v[64:65] op_sel:[1,1] op_sel_hi:[0,1]
	v_pk_fma_f32 v[66:67], v[60:61], v[64:65], v[62:63] op_sel_hi:[1,0,1]
	v_pk_fma_f32 v[60:61], v[60:61], v[64:65], v[62:63] neg_lo:[0,0,1] neg_hi:[0,0,1]
	s_delay_alu instid0(VALU_DEP_2)
	v_mov_b32_e32 v61, v67
	scratch_store_b64 off, v[60:61], off offset:8
.LBB27_19:
	s_wait_xcnt 0x0
	s_or_b32 exec_lo, exec_lo, s1
	s_wait_storecnt 0x0
	s_barrier_signal -1
	s_barrier_wait -1
	scratch_load_b64 v[60:61], off, off offset:16
	s_mov_b32 s1, exec_lo
	s_wait_loadcnt 0x0
	ds_store_b64 v1, v[60:61]
	s_wait_dscnt 0x0
	s_barrier_signal -1
	s_barrier_wait -1
	v_cmpx_gt_u32_e32 2, v0
	s_cbranch_execz .LBB27_23
; %bb.20:
	scratch_load_b64 v[60:61], v5, off
	ds_load_b64 v[62:63], v1
	s_wait_loadcnt_dscnt 0x0
	v_pk_mul_f32 v[64:65], v[62:63], v[60:61] op_sel:[1,1] op_sel_hi:[0,1]
	s_delay_alu instid0(VALU_DEP_1) | instskip(SKIP_1) | instid1(VALU_DEP_2)
	v_pk_fma_f32 v[66:67], v[62:63], v[60:61], v[64:65] op_sel_hi:[1,0,1]
	v_pk_fma_f32 v[60:61], v[62:63], v[60:61], v[64:65] neg_lo:[0,0,1] neg_hi:[0,0,1]
	v_mov_b32_e32 v61, v67
	s_delay_alu instid0(VALU_DEP_1)
	v_pk_add_f32 v[60:61], v[60:61], 0 op_sel_hi:[1,0]
	s_and_saveexec_b32 s8, s0
	s_cbranch_execz .LBB27_22
; %bb.21:
	scratch_load_b64 v[62:63], off, off offset:8
	v_mov_b32_e32 v5, 0
	ds_load_b64 v[64:65], v5 offset:232
	s_wait_loadcnt_dscnt 0x0
	v_pk_mul_f32 v[66:67], v[64:65], v[62:63] op_sel:[1,1] op_sel_hi:[0,1]
	s_delay_alu instid0(VALU_DEP_1) | instskip(SKIP_1) | instid1(VALU_DEP_2)
	v_pk_fma_f32 v[68:69], v[64:65], v[62:63], v[66:67] op_sel_hi:[1,0,1]
	v_pk_fma_f32 v[62:63], v[64:65], v[62:63], v[66:67] neg_lo:[0,0,1] neg_hi:[0,0,1]
	v_mov_b32_e32 v63, v69
	s_delay_alu instid0(VALU_DEP_1)
	v_pk_add_f32 v[60:61], v[60:61], v[62:63]
.LBB27_22:
	s_or_b32 exec_lo, exec_lo, s8
	v_mov_b32_e32 v5, 0
	ds_load_b64 v[62:63], v5 offset:16
	s_wait_dscnt 0x0
	v_pk_mul_f32 v[64:65], v[60:61], v[62:63] op_sel:[1,1] op_sel_hi:[0,1]
	s_delay_alu instid0(VALU_DEP_1) | instskip(SKIP_1) | instid1(VALU_DEP_2)
	v_pk_fma_f32 v[66:67], v[60:61], v[62:63], v[64:65] op_sel_hi:[1,0,1]
	v_pk_fma_f32 v[60:61], v[60:61], v[62:63], v[64:65] neg_lo:[0,0,1] neg_hi:[0,0,1]
	v_mov_b32_e32 v61, v67
	scratch_store_b64 off, v[60:61], off offset:16
.LBB27_23:
	s_wait_xcnt 0x0
	s_or_b32 exec_lo, exec_lo, s1
	s_wait_storecnt 0x0
	s_barrier_signal -1
	s_barrier_wait -1
	scratch_load_b64 v[60:61], off, off offset:24
	v_add_nc_u32_e32 v5, -1, v0
	s_mov_b32 s0, exec_lo
	s_wait_loadcnt 0x0
	ds_store_b64 v1, v[60:61]
	s_wait_dscnt 0x0
	s_barrier_signal -1
	s_barrier_wait -1
	v_cmpx_gt_u32_e32 3, v0
	s_cbranch_execz .LBB27_27
; %bb.24:
	v_dual_mov_b32 v60, 0 :: v_dual_add_nc_u32 v7, -1, v0
	v_add_nc_u32_e32 v11, 0xe0, v58
	v_mov_b32_e32 v13, v58
	s_mov_b32 s1, 0
	s_delay_alu instid0(VALU_DEP_3)
	v_mov_b32_e32 v61, v60
.LBB27_25:                              ; =>This Inner Loop Header: Depth=1
	scratch_load_b64 v[62:63], v13, off
	ds_load_b64 v[64:65], v11
	s_wait_xcnt 0x0
	v_dual_add_nc_u32 v11, 8, v11 :: v_dual_add_nc_u32 v13, 8, v13
	s_wait_loadcnt_dscnt 0x0
	v_pk_mul_f32 v[66:67], v[64:65], v[62:63] op_sel:[1,1] op_sel_hi:[0,1]
	s_delay_alu instid0(VALU_DEP_1) | instskip(SKIP_2) | instid1(VALU_DEP_3)
	v_pk_fma_f32 v[68:69], v[64:65], v[62:63], v[66:67] op_sel_hi:[1,0,1]
	v_add_nc_u32_e32 v7, 1, v7
	v_pk_fma_f32 v[62:63], v[64:65], v[62:63], v[66:67] neg_lo:[0,0,1] neg_hi:[0,0,1]
	v_mov_b32_e32 v63, v69
	s_delay_alu instid0(VALU_DEP_3) | instskip(NEXT) | instid1(VALU_DEP_2)
	v_cmp_lt_u32_e32 vcc_lo, 1, v7
	v_pk_add_f32 v[60:61], v[60:61], v[62:63]
	s_or_b32 s1, vcc_lo, s1
	s_delay_alu instid0(SALU_CYCLE_1)
	s_and_not1_b32 exec_lo, exec_lo, s1
	s_cbranch_execnz .LBB27_25
; %bb.26:
	s_or_b32 exec_lo, exec_lo, s1
	v_mov_b32_e32 v7, 0
	ds_load_b64 v[62:63], v7 offset:24
	s_wait_dscnt 0x0
	v_pk_mul_f32 v[64:65], v[60:61], v[62:63] op_sel:[1,1] op_sel_hi:[0,1]
	s_delay_alu instid0(VALU_DEP_1) | instskip(SKIP_1) | instid1(VALU_DEP_2)
	v_pk_fma_f32 v[66:67], v[60:61], v[62:63], v[64:65] op_sel_hi:[1,0,1]
	v_pk_fma_f32 v[60:61], v[60:61], v[62:63], v[64:65] neg_lo:[0,0,1] neg_hi:[0,0,1]
	v_mov_b32_e32 v61, v67
	scratch_store_b64 off, v[60:61], off offset:24
.LBB27_27:
	s_wait_xcnt 0x0
	s_or_b32 exec_lo, exec_lo, s0
	s_wait_storecnt 0x0
	s_barrier_signal -1
	s_barrier_wait -1
	scratch_load_b64 v[60:61], off, off offset:32
	s_mov_b32 s0, exec_lo
	s_wait_loadcnt 0x0
	ds_store_b64 v1, v[60:61]
	s_wait_dscnt 0x0
	s_barrier_signal -1
	s_barrier_wait -1
	v_cmpx_gt_u32_e32 4, v0
	s_cbranch_execz .LBB27_31
; %bb.28:
	v_dual_mov_b32 v60, 0 :: v_dual_add_nc_u32 v7, -1, v0
	v_add_nc_u32_e32 v11, 0xe0, v58
	v_mov_b32_e32 v13, v58
	s_mov_b32 s1, 0
	s_delay_alu instid0(VALU_DEP_3)
	v_mov_b32_e32 v61, v60
.LBB27_29:                              ; =>This Inner Loop Header: Depth=1
	scratch_load_b64 v[62:63], v13, off
	ds_load_b64 v[64:65], v11
	s_wait_xcnt 0x0
	v_dual_add_nc_u32 v11, 8, v11 :: v_dual_add_nc_u32 v13, 8, v13
	s_wait_loadcnt_dscnt 0x0
	v_pk_mul_f32 v[66:67], v[64:65], v[62:63] op_sel:[1,1] op_sel_hi:[0,1]
	s_delay_alu instid0(VALU_DEP_1) | instskip(SKIP_2) | instid1(VALU_DEP_3)
	v_pk_fma_f32 v[68:69], v[64:65], v[62:63], v[66:67] op_sel_hi:[1,0,1]
	v_add_nc_u32_e32 v7, 1, v7
	v_pk_fma_f32 v[62:63], v[64:65], v[62:63], v[66:67] neg_lo:[0,0,1] neg_hi:[0,0,1]
	v_mov_b32_e32 v63, v69
	s_delay_alu instid0(VALU_DEP_3) | instskip(NEXT) | instid1(VALU_DEP_2)
	v_cmp_lt_u32_e32 vcc_lo, 2, v7
	v_pk_add_f32 v[60:61], v[60:61], v[62:63]
	s_or_b32 s1, vcc_lo, s1
	s_delay_alu instid0(SALU_CYCLE_1)
	s_and_not1_b32 exec_lo, exec_lo, s1
	s_cbranch_execnz .LBB27_29
; %bb.30:
	s_or_b32 exec_lo, exec_lo, s1
	v_mov_b32_e32 v7, 0
	ds_load_b64 v[62:63], v7 offset:32
	s_wait_dscnt 0x0
	v_pk_mul_f32 v[64:65], v[60:61], v[62:63] op_sel:[1,1] op_sel_hi:[0,1]
	s_delay_alu instid0(VALU_DEP_1) | instskip(SKIP_1) | instid1(VALU_DEP_2)
	v_pk_fma_f32 v[66:67], v[60:61], v[62:63], v[64:65] op_sel_hi:[1,0,1]
	v_pk_fma_f32 v[60:61], v[60:61], v[62:63], v[64:65] neg_lo:[0,0,1] neg_hi:[0,0,1]
	v_mov_b32_e32 v61, v67
	scratch_store_b64 off, v[60:61], off offset:32
.LBB27_31:
	s_wait_xcnt 0x0
	s_or_b32 exec_lo, exec_lo, s0
	s_wait_storecnt 0x0
	s_barrier_signal -1
	s_barrier_wait -1
	scratch_load_b64 v[60:61], off, off offset:40
	;; [unrolled: 52-line block ×19, first 2 shown]
	s_mov_b32 s0, exec_lo
	s_wait_loadcnt 0x0
	ds_store_b64 v1, v[60:61]
	s_wait_dscnt 0x0
	s_barrier_signal -1
	s_barrier_wait -1
	v_cmpx_gt_u32_e32 22, v0
	s_cbranch_execz .LBB27_103
; %bb.100:
	v_dual_mov_b32 v60, 0 :: v_dual_add_nc_u32 v7, -1, v0
	v_add_nc_u32_e32 v11, 0xe0, v58
	v_mov_b32_e32 v13, v58
	s_mov_b32 s1, 0
	s_delay_alu instid0(VALU_DEP_3)
	v_mov_b32_e32 v61, v60
.LBB27_101:                             ; =>This Inner Loop Header: Depth=1
	scratch_load_b64 v[62:63], v13, off
	ds_load_b64 v[64:65], v11
	s_wait_xcnt 0x0
	v_dual_add_nc_u32 v11, 8, v11 :: v_dual_add_nc_u32 v13, 8, v13
	s_wait_loadcnt_dscnt 0x0
	v_pk_mul_f32 v[66:67], v[64:65], v[62:63] op_sel:[1,1] op_sel_hi:[0,1]
	s_delay_alu instid0(VALU_DEP_1) | instskip(SKIP_2) | instid1(VALU_DEP_3)
	v_pk_fma_f32 v[68:69], v[64:65], v[62:63], v[66:67] op_sel_hi:[1,0,1]
	v_add_nc_u32_e32 v7, 1, v7
	v_pk_fma_f32 v[62:63], v[64:65], v[62:63], v[66:67] neg_lo:[0,0,1] neg_hi:[0,0,1]
	v_mov_b32_e32 v63, v69
	s_delay_alu instid0(VALU_DEP_3) | instskip(NEXT) | instid1(VALU_DEP_2)
	v_cmp_lt_u32_e32 vcc_lo, 20, v7
	v_pk_add_f32 v[60:61], v[60:61], v[62:63]
	s_or_b32 s1, vcc_lo, s1
	s_delay_alu instid0(SALU_CYCLE_1)
	s_and_not1_b32 exec_lo, exec_lo, s1
	s_cbranch_execnz .LBB27_101
; %bb.102:
	s_or_b32 exec_lo, exec_lo, s1
	v_mov_b32_e32 v7, 0
	ds_load_b64 v[62:63], v7 offset:176
	s_wait_dscnt 0x0
	v_pk_mul_f32 v[64:65], v[60:61], v[62:63] op_sel:[1,1] op_sel_hi:[0,1]
	s_delay_alu instid0(VALU_DEP_1) | instskip(SKIP_1) | instid1(VALU_DEP_2)
	v_pk_fma_f32 v[66:67], v[60:61], v[62:63], v[64:65] op_sel_hi:[1,0,1]
	v_pk_fma_f32 v[60:61], v[60:61], v[62:63], v[64:65] neg_lo:[0,0,1] neg_hi:[0,0,1]
	v_mov_b32_e32 v61, v67
	scratch_store_b64 off, v[60:61], off offset:176
.LBB27_103:
	s_wait_xcnt 0x0
	s_or_b32 exec_lo, exec_lo, s0
	s_wait_storecnt 0x0
	s_barrier_signal -1
	s_barrier_wait -1
	scratch_load_b64 v[60:61], off, off offset:184
	s_mov_b32 s0, exec_lo
	s_wait_loadcnt 0x0
	ds_store_b64 v1, v[60:61]
	s_wait_dscnt 0x0
	s_barrier_signal -1
	s_barrier_wait -1
	v_cmpx_gt_u32_e32 23, v0
	s_cbranch_execz .LBB27_107
; %bb.104:
	v_dual_mov_b32 v60, 0 :: v_dual_add_nc_u32 v7, -1, v0
	v_add_nc_u32_e32 v11, 0xe0, v58
	v_mov_b32_e32 v13, v58
	s_mov_b32 s1, 0
	s_delay_alu instid0(VALU_DEP_3)
	v_mov_b32_e32 v61, v60
.LBB27_105:                             ; =>This Inner Loop Header: Depth=1
	scratch_load_b64 v[62:63], v13, off
	ds_load_b64 v[64:65], v11
	s_wait_xcnt 0x0
	v_dual_add_nc_u32 v11, 8, v11 :: v_dual_add_nc_u32 v13, 8, v13
	s_wait_loadcnt_dscnt 0x0
	v_pk_mul_f32 v[66:67], v[64:65], v[62:63] op_sel:[1,1] op_sel_hi:[0,1]
	s_delay_alu instid0(VALU_DEP_1) | instskip(SKIP_2) | instid1(VALU_DEP_3)
	v_pk_fma_f32 v[68:69], v[64:65], v[62:63], v[66:67] op_sel_hi:[1,0,1]
	v_add_nc_u32_e32 v7, 1, v7
	v_pk_fma_f32 v[62:63], v[64:65], v[62:63], v[66:67] neg_lo:[0,0,1] neg_hi:[0,0,1]
	v_mov_b32_e32 v63, v69
	s_delay_alu instid0(VALU_DEP_3) | instskip(NEXT) | instid1(VALU_DEP_2)
	v_cmp_lt_u32_e32 vcc_lo, 21, v7
	v_pk_add_f32 v[60:61], v[60:61], v[62:63]
	s_or_b32 s1, vcc_lo, s1
	s_delay_alu instid0(SALU_CYCLE_1)
	s_and_not1_b32 exec_lo, exec_lo, s1
	s_cbranch_execnz .LBB27_105
; %bb.106:
	s_or_b32 exec_lo, exec_lo, s1
	v_mov_b32_e32 v7, 0
	ds_load_b64 v[62:63], v7 offset:184
	s_wait_dscnt 0x0
	v_pk_mul_f32 v[64:65], v[60:61], v[62:63] op_sel:[1,1] op_sel_hi:[0,1]
	s_delay_alu instid0(VALU_DEP_1) | instskip(SKIP_1) | instid1(VALU_DEP_2)
	v_pk_fma_f32 v[66:67], v[60:61], v[62:63], v[64:65] op_sel_hi:[1,0,1]
	v_pk_fma_f32 v[60:61], v[60:61], v[62:63], v[64:65] neg_lo:[0,0,1] neg_hi:[0,0,1]
	v_mov_b32_e32 v61, v67
	scratch_store_b64 off, v[60:61], off offset:184
.LBB27_107:
	s_wait_xcnt 0x0
	s_or_b32 exec_lo, exec_lo, s0
	s_wait_storecnt 0x0
	s_barrier_signal -1
	s_barrier_wait -1
	scratch_load_b64 v[60:61], off, off offset:192
	;; [unrolled: 52-line block ×5, first 2 shown]
	s_mov_b32 s0, exec_lo
	s_wait_loadcnt 0x0
	ds_store_b64 v1, v[60:61]
	s_wait_dscnt 0x0
	s_barrier_signal -1
	s_barrier_wait -1
	v_cmpx_ne_u32_e32 27, v0
	s_cbranch_execz .LBB27_123
; %bb.120:
	v_dual_mov_b32 v60, 0 :: v_dual_mov_b32 v7, v58
	s_mov_b32 s1, 0
	s_delay_alu instid0(VALU_DEP_1)
	v_mov_b32_e32 v61, v60
.LBB27_121:                             ; =>This Inner Loop Header: Depth=1
	scratch_load_b64 v[58:59], v7, off
	ds_load_b64 v[62:63], v1
	s_wait_xcnt 0x0
	v_dual_add_nc_u32 v1, 8, v1 :: v_dual_add_nc_u32 v7, 8, v7
	s_wait_loadcnt_dscnt 0x0
	v_pk_mul_f32 v[64:65], v[62:63], v[58:59] op_sel:[1,1] op_sel_hi:[0,1]
	s_delay_alu instid0(VALU_DEP_1) | instskip(SKIP_2) | instid1(VALU_DEP_3)
	v_pk_fma_f32 v[66:67], v[62:63], v[58:59], v[64:65] op_sel_hi:[1,0,1]
	v_add_nc_u32_e32 v5, 1, v5
	v_pk_fma_f32 v[58:59], v[62:63], v[58:59], v[64:65] neg_lo:[0,0,1] neg_hi:[0,0,1]
	v_mov_b32_e32 v59, v67
	s_delay_alu instid0(VALU_DEP_3) | instskip(NEXT) | instid1(VALU_DEP_2)
	v_cmp_lt_u32_e32 vcc_lo, 25, v5
	v_pk_add_f32 v[60:61], v[60:61], v[58:59]
	s_or_b32 s1, vcc_lo, s1
	s_delay_alu instid0(SALU_CYCLE_1)
	s_and_not1_b32 exec_lo, exec_lo, s1
	s_cbranch_execnz .LBB27_121
; %bb.122:
	s_or_b32 exec_lo, exec_lo, s1
	v_mov_b32_e32 v1, 0
	ds_load_b64 v[58:59], v1 offset:216
	s_wait_dscnt 0x0
	v_pk_mul_f32 v[62:63], v[60:61], v[58:59] op_sel:[1,1] op_sel_hi:[0,1]
	s_delay_alu instid0(VALU_DEP_1) | instskip(SKIP_1) | instid1(VALU_DEP_2)
	v_pk_fma_f32 v[64:65], v[60:61], v[58:59], v[62:63] op_sel_hi:[1,0,1]
	v_pk_fma_f32 v[58:59], v[60:61], v[58:59], v[62:63] neg_lo:[0,0,1] neg_hi:[0,0,1]
	v_mov_b32_e32 v59, v65
	scratch_store_b64 off, v[58:59], off offset:216
.LBB27_123:
	s_wait_xcnt 0x0
	s_or_b32 exec_lo, exec_lo, s0
	s_mov_b32 s1, -1
	s_wait_storecnt 0x0
	s_barrier_signal -1
	s_barrier_wait -1
.LBB27_124:
	s_and_b32 vcc_lo, exec_lo, s1
	s_cbranch_vccz .LBB27_126
; %bb.125:
	v_mov_b32_e32 v1, 0
	s_lshl_b64 s[0:1], s[16:17], 2
	s_delay_alu instid0(SALU_CYCLE_1)
	s_add_nc_u64 s[0:1], s[6:7], s[0:1]
	global_load_b32 v1, v1, s[0:1]
	s_wait_loadcnt 0x0
	v_cmp_ne_u32_e32 vcc_lo, 0, v1
	s_cbranch_vccz .LBB27_127
.LBB27_126:
	s_sendmsg sendmsg(MSG_DEALLOC_VGPRS)
	s_endpgm
.LBB27_127:
	s_wait_xcnt 0x0
	v_lshl_add_u32 v1, v0, 3, 0xe0
	s_mov_b32 s0, exec_lo
	v_cmpx_eq_u32_e32 27, v0
	s_cbranch_execz .LBB27_129
; %bb.128:
	scratch_load_b64 v[58:59], off, off offset:208
	v_mov_b64_e32 v[60:61], 0
	scratch_store_b64 off, v[60:61], off offset:208
	s_wait_loadcnt 0x0
	ds_store_b64 v1, v[58:59]
.LBB27_129:
	s_wait_xcnt 0x0
	s_or_b32 exec_lo, exec_lo, s0
	s_wait_storecnt_dscnt 0x0
	s_barrier_signal -1
	s_barrier_wait -1
	s_clause 0x1
	scratch_load_b64 v[58:59], off, off offset:216
	scratch_load_b64 v[60:61], off, off offset:208
	v_mov_b32_e32 v5, 0
	s_mov_b32 s0, exec_lo
	ds_load_b64 v[62:63], v5 offset:440
	s_wait_loadcnt_dscnt 0x100
	v_pk_mul_f32 v[64:65], v[62:63], v[58:59] op_sel:[1,1] op_sel_hi:[0,1]
	s_delay_alu instid0(VALU_DEP_1) | instskip(SKIP_1) | instid1(VALU_DEP_2)
	v_pk_fma_f32 v[66:67], v[62:63], v[58:59], v[64:65] op_sel_hi:[1,0,1]
	v_pk_fma_f32 v[58:59], v[62:63], v[58:59], v[64:65] neg_lo:[0,0,1] neg_hi:[0,0,1]
	v_mov_b32_e32 v59, v67
	s_delay_alu instid0(VALU_DEP_1) | instskip(SKIP_1) | instid1(VALU_DEP_1)
	v_pk_add_f32 v[58:59], v[58:59], 0 op_sel_hi:[1,0]
	s_wait_loadcnt 0x0
	v_pk_add_f32 v[58:59], v[60:61], v[58:59] neg_lo:[0,1] neg_hi:[0,1]
	scratch_store_b64 off, v[58:59], off offset:208
	s_wait_xcnt 0x0
	v_cmpx_lt_u32_e32 25, v0
	s_cbranch_execz .LBB27_131
; %bb.130:
	scratch_load_b64 v[58:59], off, off offset:200
	v_mov_b64_e32 v[60:61], 0
	scratch_store_b64 off, v[60:61], off offset:200
	s_wait_loadcnt 0x0
	ds_store_b64 v1, v[58:59]
.LBB27_131:
	s_wait_xcnt 0x0
	s_or_b32 exec_lo, exec_lo, s0
	s_wait_storecnt_dscnt 0x0
	s_barrier_signal -1
	s_barrier_wait -1
	s_clause 0x1
	scratch_load_b128 v[58:61], off, off offset:208
	scratch_load_b64 v[66:67], off, off offset:200
	ds_load_b128 v[62:65], v5 offset:432
	s_mov_b32 s0, exec_lo
	s_wait_dscnt 0x0
	v_dual_mov_b32 v68, v65 :: v_dual_mov_b32 v69, v64
	s_wait_loadcnt 0x1
	v_pk_mul_f32 v[70:71], v[62:63], v[58:59] op_sel:[1,1] op_sel_hi:[0,1]
	s_delay_alu instid0(VALU_DEP_1) | instskip(SKIP_2) | instid1(VALU_DEP_3)
	v_pk_fma_f32 v[74:75], v[62:63], v[58:59], v[70:71] op_sel_hi:[1,0,1]
	v_mov_b32_e32 v72, v61
	v_pk_fma_f32 v[58:59], v[62:63], v[58:59], v[70:71] neg_lo:[0,0,1] neg_hi:[0,0,1]
	v_mov_b32_e32 v59, v75
	s_delay_alu instid0(VALU_DEP_3) | instskip(NEXT) | instid1(VALU_DEP_2)
	v_pk_mul_f32 v[68:69], v[68:69], v[72:73] op_sel_hi:[1,0]
	v_pk_add_f32 v[58:59], v[58:59], 0 op_sel_hi:[1,0]
	s_delay_alu instid0(VALU_DEP_2) | instskip(SKIP_1) | instid1(VALU_DEP_2)
	v_pk_fma_f32 v[62:63], v[64:65], v[60:61], v[68:69] op_sel_hi:[1,0,1]
	v_pk_fma_f32 v[60:61], v[64:65], v[60:61], v[68:69] neg_lo:[0,0,1] neg_hi:[0,0,1]
	v_mov_b32_e32 v61, v63
	s_delay_alu instid0(VALU_DEP_1) | instskip(SKIP_1) | instid1(VALU_DEP_1)
	v_pk_add_f32 v[58:59], v[58:59], v[60:61]
	s_wait_loadcnt 0x0
	v_pk_add_f32 v[58:59], v[66:67], v[58:59] neg_lo:[0,1] neg_hi:[0,1]
	scratch_store_b64 off, v[58:59], off offset:200
	s_wait_xcnt 0x0
	v_cmpx_lt_u32_e32 24, v0
	s_cbranch_execz .LBB27_133
; %bb.132:
	scratch_load_b64 v[58:59], off, off offset:192
	v_mov_b64_e32 v[60:61], 0
	scratch_store_b64 off, v[60:61], off offset:192
	s_wait_loadcnt 0x0
	ds_store_b64 v1, v[58:59]
.LBB27_133:
	s_wait_xcnt 0x0
	s_or_b32 exec_lo, exec_lo, s0
	s_wait_storecnt_dscnt 0x0
	s_barrier_signal -1
	s_barrier_wait -1
	s_clause 0x2
	scratch_load_b128 v[58:61], off, off offset:200
	scratch_load_b64 v[66:67], off, off offset:216
	scratch_load_b64 v[68:69], off, off offset:192
	v_mov_b32_e32 v5, 0
	ds_load_2addr_b64 v[62:65], v5 offset0:53 offset1:54
	ds_load_b64 v[70:71], v5 offset:440
	s_mov_b32 s0, exec_lo
	s_wait_dscnt 0x1
	v_dual_mov_b32 v72, v65 :: v_dual_mov_b32 v73, v64
	s_wait_loadcnt 0x2
	v_mov_b32_e32 v76, v61
	v_pk_mul_f32 v[74:75], v[62:63], v[58:59] op_sel:[1,1] op_sel_hi:[0,1]
	s_delay_alu instid0(VALU_DEP_2) | instskip(NEXT) | instid1(VALU_DEP_2)
	v_pk_mul_f32 v[72:73], v[72:73], v[76:77] op_sel_hi:[1,0]
	v_pk_fma_f32 v[78:79], v[62:63], v[58:59], v[74:75] op_sel_hi:[1,0,1]
	v_pk_fma_f32 v[58:59], v[62:63], v[58:59], v[74:75] neg_lo:[0,0,1] neg_hi:[0,0,1]
	s_wait_loadcnt_dscnt 0x100
	v_pk_mul_f32 v[74:75], v[70:71], v[66:67] op_sel:[1,1] op_sel_hi:[0,1]
	v_pk_fma_f32 v[62:63], v[64:65], v[60:61], v[72:73] op_sel_hi:[1,0,1]
	v_mov_b32_e32 v59, v79
	v_pk_fma_f32 v[60:61], v[64:65], v[60:61], v[72:73] neg_lo:[0,0,1] neg_hi:[0,0,1]
	s_delay_alu instid0(VALU_DEP_4) | instskip(NEXT) | instid1(VALU_DEP_4)
	v_pk_fma_f32 v[64:65], v[70:71], v[66:67], v[74:75] neg_lo:[0,0,1] neg_hi:[0,0,1]
	v_mov_b32_e32 v61, v63
	s_delay_alu instid0(VALU_DEP_4) | instskip(SKIP_1) | instid1(VALU_DEP_2)
	v_pk_add_f32 v[58:59], v[58:59], 0 op_sel_hi:[1,0]
	v_pk_fma_f32 v[62:63], v[70:71], v[66:67], v[74:75] op_sel_hi:[1,0,1]
	v_pk_add_f32 v[58:59], v[58:59], v[60:61]
	s_delay_alu instid0(VALU_DEP_2) | instskip(NEXT) | instid1(VALU_DEP_1)
	v_mov_b32_e32 v65, v63
	v_pk_add_f32 v[58:59], v[58:59], v[64:65]
	s_wait_loadcnt 0x0
	s_delay_alu instid0(VALU_DEP_1)
	v_pk_add_f32 v[58:59], v[68:69], v[58:59] neg_lo:[0,1] neg_hi:[0,1]
	scratch_store_b64 off, v[58:59], off offset:192
	s_wait_xcnt 0x0
	v_cmpx_lt_u32_e32 23, v0
	s_cbranch_execz .LBB27_135
; %bb.134:
	scratch_load_b64 v[58:59], off, off offset:184
	v_mov_b64_e32 v[60:61], 0
	scratch_store_b64 off, v[60:61], off offset:184
	s_wait_loadcnt 0x0
	ds_store_b64 v1, v[58:59]
.LBB27_135:
	s_wait_xcnt 0x0
	s_or_b32 exec_lo, exec_lo, s0
	s_wait_storecnt_dscnt 0x0
	s_barrier_signal -1
	s_barrier_wait -1
	s_clause 0x2
	scratch_load_b128 v[58:61], off, off offset:192
	scratch_load_b128 v[62:65], off, off offset:208
	scratch_load_b64 v[74:75], off, off offset:184
	ds_load_b128 v[66:69], v5 offset:416
	ds_load_b128 v[70:73], v5 offset:432
	s_mov_b32 s0, exec_lo
	s_wait_dscnt 0x1
	v_dual_mov_b32 v76, v69 :: v_dual_mov_b32 v77, v68
	s_wait_loadcnt_dscnt 0x200
	v_dual_mov_b32 v82, v73 :: v_dual_mov_b32 v80, v61
	v_pk_mul_f32 v[78:79], v[66:67], v[58:59] op_sel:[1,1] op_sel_hi:[0,1]
	s_delay_alu instid0(VALU_DEP_2) | instskip(NEXT) | instid1(VALU_DEP_2)
	v_pk_mul_f32 v[76:77], v[76:77], v[80:81] op_sel_hi:[1,0]
	v_pk_fma_f32 v[84:85], v[66:67], v[58:59], v[78:79] op_sel_hi:[1,0,1]
	v_pk_fma_f32 v[58:59], v[66:67], v[58:59], v[78:79] neg_lo:[0,0,1] neg_hi:[0,0,1]
	v_mov_b32_e32 v83, v72
	s_wait_loadcnt 0x1
	v_pk_mul_f32 v[80:81], v[70:71], v[62:63] op_sel:[1,1] op_sel_hi:[0,1]
	v_pk_fma_f32 v[66:67], v[68:69], v[60:61], v[76:77] op_sel_hi:[1,0,1]
	v_dual_mov_b32 v59, v85 :: v_dual_mov_b32 v66, v65
	v_pk_fma_f32 v[60:61], v[68:69], v[60:61], v[76:77] neg_lo:[0,0,1] neg_hi:[0,0,1]
	s_delay_alu instid0(VALU_DEP_4) | instskip(NEXT) | instid1(VALU_DEP_4)
	v_pk_fma_f32 v[78:79], v[70:71], v[62:63], v[80:81] op_sel_hi:[1,0,1]
	v_mov_b32_e32 v61, v67
	s_delay_alu instid0(VALU_DEP_4) | instskip(SKIP_2) | instid1(VALU_DEP_3)
	v_pk_add_f32 v[58:59], v[58:59], 0 op_sel_hi:[1,0]
	v_pk_mul_f32 v[66:67], v[82:83], v[66:67] op_sel_hi:[1,0]
	v_pk_fma_f32 v[62:63], v[70:71], v[62:63], v[80:81] neg_lo:[0,0,1] neg_hi:[0,0,1]
	v_pk_add_f32 v[58:59], v[58:59], v[60:61]
	s_delay_alu instid0(VALU_DEP_3) | instskip(SKIP_2) | instid1(VALU_DEP_3)
	v_pk_fma_f32 v[60:61], v[72:73], v[64:65], v[66:67] op_sel_hi:[1,0,1]
	v_mov_b32_e32 v63, v79
	v_pk_fma_f32 v[64:65], v[72:73], v[64:65], v[66:67] neg_lo:[0,0,1] neg_hi:[0,0,1]
	v_mov_b32_e32 v65, v61
	s_delay_alu instid0(VALU_DEP_3) | instskip(NEXT) | instid1(VALU_DEP_1)
	v_pk_add_f32 v[58:59], v[58:59], v[62:63]
	v_pk_add_f32 v[58:59], v[58:59], v[64:65]
	s_wait_loadcnt 0x0
	s_delay_alu instid0(VALU_DEP_1)
	v_pk_add_f32 v[58:59], v[74:75], v[58:59] neg_lo:[0,1] neg_hi:[0,1]
	scratch_store_b64 off, v[58:59], off offset:184
	s_wait_xcnt 0x0
	v_cmpx_lt_u32_e32 22, v0
	s_cbranch_execz .LBB27_137
; %bb.136:
	scratch_load_b64 v[58:59], off, off offset:176
	v_mov_b64_e32 v[60:61], 0
	scratch_store_b64 off, v[60:61], off offset:176
	s_wait_loadcnt 0x0
	ds_store_b64 v1, v[58:59]
.LBB27_137:
	s_wait_xcnt 0x0
	s_or_b32 exec_lo, exec_lo, s0
	s_wait_storecnt_dscnt 0x0
	s_barrier_signal -1
	s_barrier_wait -1
	s_clause 0x3
	scratch_load_b128 v[58:61], off, off offset:184
	scratch_load_b128 v[62:65], off, off offset:200
	scratch_load_b64 v[74:75], off, off offset:216
	scratch_load_b64 v[76:77], off, off offset:176
	v_mov_b32_e32 v5, 0
	ds_load_2addr_b64 v[66:69], v5 offset0:51 offset1:52
	ds_load_2addr_b64 v[70:73], v5 offset0:53 offset1:54
	s_mov_b32 s0, exec_lo
	s_wait_dscnt 0x1
	v_dual_mov_b32 v78, v69 :: v_dual_mov_b32 v79, v68
	ds_load_b64 v[84:85], v5 offset:440
	s_wait_dscnt 0x1
	v_dual_mov_b32 v86, v73 :: v_dual_mov_b32 v87, v72
	s_wait_loadcnt 0x3
	v_pk_mul_f32 v[80:81], v[66:67], v[58:59] op_sel:[1,1] op_sel_hi:[0,1]
	v_mov_b32_e32 v82, v61
	s_delay_alu instid0(VALU_DEP_2) | instskip(NEXT) | instid1(VALU_DEP_2)
	v_pk_fma_f32 v[88:89], v[66:67], v[58:59], v[80:81] op_sel_hi:[1,0,1]
	v_pk_mul_f32 v[78:79], v[78:79], v[82:83] op_sel_hi:[1,0]
	v_pk_fma_f32 v[58:59], v[66:67], v[58:59], v[80:81] neg_lo:[0,0,1] neg_hi:[0,0,1]
	s_wait_loadcnt 0x2
	v_pk_mul_f32 v[82:83], v[70:71], v[62:63] op_sel:[1,1] op_sel_hi:[0,1]
	v_dual_mov_b32 v88, v65 :: v_dual_mov_b32 v59, v89
	v_pk_fma_f32 v[66:67], v[68:69], v[60:61], v[78:79] op_sel_hi:[1,0,1]
	v_pk_fma_f32 v[60:61], v[68:69], v[60:61], v[78:79] neg_lo:[0,0,1] neg_hi:[0,0,1]
	s_delay_alu instid0(VALU_DEP_4) | instskip(NEXT) | instid1(VALU_DEP_4)
	v_pk_fma_f32 v[80:81], v[70:71], v[62:63], v[82:83] op_sel_hi:[1,0,1]
	v_pk_mul_f32 v[86:87], v[86:87], v[88:89] op_sel_hi:[1,0]
	v_pk_add_f32 v[58:59], v[58:59], 0 op_sel_hi:[1,0]
	v_mov_b32_e32 v61, v67
	v_pk_fma_f32 v[62:63], v[70:71], v[62:63], v[82:83] neg_lo:[0,0,1] neg_hi:[0,0,1]
	v_mov_b32_e32 v63, v81
	v_pk_fma_f32 v[66:67], v[72:73], v[64:65], v[86:87] op_sel_hi:[1,0,1]
	v_pk_fma_f32 v[64:65], v[72:73], v[64:65], v[86:87] neg_lo:[0,0,1] neg_hi:[0,0,1]
	v_pk_add_f32 v[58:59], v[58:59], v[60:61]
	s_wait_loadcnt_dscnt 0x100
	v_pk_mul_f32 v[60:61], v[84:85], v[74:75] op_sel:[1,1] op_sel_hi:[0,1]
	s_delay_alu instid0(VALU_DEP_2) | instskip(NEXT) | instid1(VALU_DEP_2)
	v_pk_add_f32 v[58:59], v[58:59], v[62:63]
	v_pk_fma_f32 v[62:63], v[84:85], v[74:75], v[60:61] op_sel_hi:[1,0,1]
	v_mov_b32_e32 v65, v67
	v_pk_fma_f32 v[60:61], v[84:85], v[74:75], v[60:61] neg_lo:[0,0,1] neg_hi:[0,0,1]
	s_delay_alu instid0(VALU_DEP_3) | instskip(NEXT) | instid1(VALU_DEP_3)
	v_mov_b32_e32 v61, v63
	v_pk_add_f32 v[58:59], v[58:59], v[64:65]
	s_delay_alu instid0(VALU_DEP_1) | instskip(SKIP_1) | instid1(VALU_DEP_1)
	v_pk_add_f32 v[58:59], v[58:59], v[60:61]
	s_wait_loadcnt 0x0
	v_pk_add_f32 v[58:59], v[76:77], v[58:59] neg_lo:[0,1] neg_hi:[0,1]
	scratch_store_b64 off, v[58:59], off offset:176
	s_wait_xcnt 0x0
	v_cmpx_lt_u32_e32 21, v0
	s_cbranch_execz .LBB27_139
; %bb.138:
	scratch_load_b64 v[58:59], off, off offset:168
	v_mov_b64_e32 v[60:61], 0
	scratch_store_b64 off, v[60:61], off offset:168
	s_wait_loadcnt 0x0
	ds_store_b64 v1, v[58:59]
.LBB27_139:
	s_wait_xcnt 0x0
	s_or_b32 exec_lo, exec_lo, s0
	s_wait_storecnt_dscnt 0x0
	s_barrier_signal -1
	s_barrier_wait -1
	s_clause 0x3
	scratch_load_b128 v[58:61], off, off offset:176
	scratch_load_b128 v[62:65], off, off offset:192
	;; [unrolled: 1-line block ×3, first 2 shown]
	scratch_load_b64 v[82:83], off, off offset:168
	ds_load_b128 v[70:73], v5 offset:400
	ds_load_b128 v[74:77], v5 offset:416
	;; [unrolled: 1-line block ×3, first 2 shown]
	s_mov_b32 s0, exec_lo
	s_wait_dscnt 0x2
	v_dual_mov_b32 v84, v73 :: v_dual_mov_b32 v85, v72
	s_wait_dscnt 0x1
	v_dual_mov_b32 v86, v77 :: v_dual_mov_b32 v87, v76
	;; [unrolled: 2-line block ×3, first 2 shown]
	s_wait_loadcnt 0x3
	v_pk_mul_f32 v[88:89], v[70:71], v[58:59] op_sel:[1,1] op_sel_hi:[0,1]
	v_mov_b32_e32 v90, v61
	s_delay_alu instid0(VALU_DEP_2) | instskip(NEXT) | instid1(VALU_DEP_2)
	v_pk_fma_f32 v[94:95], v[70:71], v[58:59], v[88:89] op_sel_hi:[1,0,1]
	v_pk_mul_f32 v[84:85], v[84:85], v[90:91] op_sel_hi:[1,0]
	v_pk_fma_f32 v[58:59], v[70:71], v[58:59], v[88:89] neg_lo:[0,0,1] neg_hi:[0,0,1]
	s_wait_loadcnt 0x2
	v_pk_mul_f32 v[90:91], v[74:75], v[62:63] op_sel:[1,1] op_sel_hi:[0,1]
	v_mov_b32_e32 v94, v65
	v_pk_fma_f32 v[70:71], v[72:73], v[60:61], v[84:85] op_sel_hi:[1,0,1]
	v_mov_b32_e32 v59, v95
	v_pk_fma_f32 v[60:61], v[72:73], v[60:61], v[84:85] neg_lo:[0,0,1] neg_hi:[0,0,1]
	v_pk_fma_f32 v[88:89], v[74:75], v[62:63], v[90:91] op_sel_hi:[1,0,1]
	v_pk_mul_f32 v[86:87], v[86:87], v[94:95] op_sel_hi:[1,0]
	v_mov_b32_e32 v61, v71
	v_pk_add_f32 v[58:59], v[58:59], 0 op_sel_hi:[1,0]
	v_pk_fma_f32 v[62:63], v[74:75], v[62:63], v[90:91] neg_lo:[0,0,1] neg_hi:[0,0,1]
	s_wait_loadcnt 0x1
	v_pk_mul_f32 v[70:71], v[78:79], v[66:67] op_sel:[1,1] op_sel_hi:[0,1]
	v_mov_b32_e32 v63, v89
	v_pk_fma_f32 v[72:73], v[76:77], v[64:65], v[86:87] op_sel_hi:[1,0,1]
	v_pk_add_f32 v[58:59], v[58:59], v[60:61]
	v_mov_b32_e32 v60, v69
	v_pk_fma_f32 v[64:65], v[76:77], v[64:65], v[86:87] neg_lo:[0,0,1] neg_hi:[0,0,1]
	v_pk_fma_f32 v[74:75], v[78:79], v[66:67], v[70:71] op_sel_hi:[1,0,1]
	v_mov_b32_e32 v65, v73
	v_pk_add_f32 v[58:59], v[58:59], v[62:63]
	v_pk_mul_f32 v[60:61], v[92:93], v[60:61] op_sel_hi:[1,0]
	v_pk_fma_f32 v[62:63], v[78:79], v[66:67], v[70:71] neg_lo:[0,0,1] neg_hi:[0,0,1]
	v_mov_b32_e32 v63, v75
	s_delay_alu instid0(VALU_DEP_4) | instskip(NEXT) | instid1(VALU_DEP_4)
	v_pk_add_f32 v[58:59], v[58:59], v[64:65]
	v_pk_fma_f32 v[64:65], v[80:81], v[68:69], v[60:61] op_sel_hi:[1,0,1]
	v_pk_fma_f32 v[60:61], v[80:81], v[68:69], v[60:61] neg_lo:[0,0,1] neg_hi:[0,0,1]
	s_delay_alu instid0(VALU_DEP_3) | instskip(NEXT) | instid1(VALU_DEP_3)
	v_pk_add_f32 v[58:59], v[58:59], v[62:63]
	v_mov_b32_e32 v61, v65
	s_delay_alu instid0(VALU_DEP_1) | instskip(SKIP_1) | instid1(VALU_DEP_1)
	v_pk_add_f32 v[58:59], v[58:59], v[60:61]
	s_wait_loadcnt 0x0
	v_pk_add_f32 v[58:59], v[82:83], v[58:59] neg_lo:[0,1] neg_hi:[0,1]
	scratch_store_b64 off, v[58:59], off offset:168
	s_wait_xcnt 0x0
	v_cmpx_lt_u32_e32 20, v0
	s_cbranch_execz .LBB27_141
; %bb.140:
	scratch_load_b64 v[58:59], off, off offset:160
	v_mov_b64_e32 v[60:61], 0
	scratch_store_b64 off, v[60:61], off offset:160
	s_wait_loadcnt 0x0
	ds_store_b64 v1, v[58:59]
.LBB27_141:
	s_wait_xcnt 0x0
	s_or_b32 exec_lo, exec_lo, s0
	s_wait_storecnt_dscnt 0x0
	s_barrier_signal -1
	s_barrier_wait -1
	s_clause 0x4
	scratch_load_b128 v[58:61], off, off offset:168
	scratch_load_b128 v[62:65], off, off offset:184
	;; [unrolled: 1-line block ×3, first 2 shown]
	scratch_load_b64 v[82:83], off, off offset:216
	scratch_load_b64 v[84:85], off, off offset:160
	v_mov_b32_e32 v5, 0
	ds_load_2addr_b64 v[70:73], v5 offset0:49 offset1:50
	ds_load_2addr_b64 v[74:77], v5 offset0:51 offset1:52
	;; [unrolled: 1-line block ×3, first 2 shown]
	ds_load_b64 v[86:87], v5 offset:440
	s_mov_b32 s0, exec_lo
	s_wait_dscnt 0x3
	v_dual_mov_b32 v88, v73 :: v_dual_mov_b32 v89, v72
	s_wait_dscnt 0x2
	v_dual_mov_b32 v90, v77 :: v_dual_mov_b32 v91, v76
	;; [unrolled: 2-line block ×3, first 2 shown]
	s_wait_loadcnt 0x4
	v_pk_mul_f32 v[92:93], v[70:71], v[58:59] op_sel:[1,1] op_sel_hi:[0,1]
	v_mov_b32_e32 v94, v61
	s_wait_loadcnt 0x3
	v_pk_mul_f32 v[98:99], v[74:75], v[62:63] op_sel:[1,1] op_sel_hi:[0,1]
	s_wait_loadcnt 0x2
	v_pk_mul_f32 v[102:103], v[78:79], v[66:67] op_sel:[1,1] op_sel_hi:[0,1]
	v_pk_fma_f32 v[100:101], v[70:71], v[58:59], v[92:93] op_sel_hi:[1,0,1]
	v_pk_mul_f32 v[88:89], v[88:89], v[94:95] op_sel_hi:[1,0]
	v_pk_fma_f32 v[58:59], v[70:71], v[58:59], v[92:93] neg_lo:[0,0,1] neg_hi:[0,0,1]
	v_mov_b32_e32 v94, v65
	v_pk_fma_f32 v[92:93], v[74:75], v[62:63], v[98:99] op_sel_hi:[1,0,1]
	v_mov_b32_e32 v59, v101
	v_pk_fma_f32 v[70:71], v[72:73], v[60:61], v[88:89] op_sel_hi:[1,0,1]
	v_pk_fma_f32 v[60:61], v[72:73], v[60:61], v[88:89] neg_lo:[0,0,1] neg_hi:[0,0,1]
	v_pk_mul_f32 v[90:91], v[90:91], v[94:95] op_sel_hi:[1,0]
	v_pk_fma_f32 v[62:63], v[74:75], v[62:63], v[98:99] neg_lo:[0,0,1] neg_hi:[0,0,1]
	v_pk_add_f32 v[58:59], v[58:59], 0 op_sel_hi:[1,0]
	v_dual_mov_b32 v61, v71 :: v_dual_mov_b32 v70, v69
	s_delay_alu instid0(VALU_DEP_4) | instskip(SKIP_2) | instid1(VALU_DEP_4)
	v_pk_fma_f32 v[72:73], v[76:77], v[64:65], v[90:91] op_sel_hi:[1,0,1]
	v_mov_b32_e32 v63, v93
	v_pk_fma_f32 v[64:65], v[76:77], v[64:65], v[90:91] neg_lo:[0,0,1] neg_hi:[0,0,1]
	v_pk_add_f32 v[58:59], v[58:59], v[60:61]
	v_pk_fma_f32 v[60:61], v[78:79], v[66:67], v[102:103] op_sel_hi:[1,0,1]
	v_pk_mul_f32 v[70:71], v[96:97], v[70:71] op_sel_hi:[1,0]
	v_mov_b32_e32 v65, v73
	s_delay_alu instid0(VALU_DEP_4)
	v_pk_add_f32 v[58:59], v[58:59], v[62:63]
	v_pk_fma_f32 v[62:63], v[78:79], v[66:67], v[102:103] neg_lo:[0,0,1] neg_hi:[0,0,1]
	v_mov_b32_e32 v63, v61
	v_pk_fma_f32 v[60:61], v[80:81], v[68:69], v[70:71] op_sel_hi:[1,0,1]
	v_pk_fma_f32 v[66:67], v[80:81], v[68:69], v[70:71] neg_lo:[0,0,1] neg_hi:[0,0,1]
	v_pk_add_f32 v[58:59], v[58:59], v[64:65]
	s_wait_loadcnt_dscnt 0x100
	v_pk_mul_f32 v[64:65], v[86:87], v[82:83] op_sel:[1,1] op_sel_hi:[0,1]
	v_mov_b32_e32 v67, v61
	s_delay_alu instid0(VALU_DEP_3) | instskip(NEXT) | instid1(VALU_DEP_3)
	v_pk_add_f32 v[58:59], v[58:59], v[62:63]
	v_pk_fma_f32 v[60:61], v[86:87], v[82:83], v[64:65] op_sel_hi:[1,0,1]
	v_pk_fma_f32 v[62:63], v[86:87], v[82:83], v[64:65] neg_lo:[0,0,1] neg_hi:[0,0,1]
	s_delay_alu instid0(VALU_DEP_3) | instskip(NEXT) | instid1(VALU_DEP_3)
	v_pk_add_f32 v[58:59], v[58:59], v[66:67]
	v_mov_b32_e32 v63, v61
	s_delay_alu instid0(VALU_DEP_1) | instskip(SKIP_1) | instid1(VALU_DEP_1)
	v_pk_add_f32 v[58:59], v[58:59], v[62:63]
	s_wait_loadcnt 0x0
	v_pk_add_f32 v[58:59], v[84:85], v[58:59] neg_lo:[0,1] neg_hi:[0,1]
	scratch_store_b64 off, v[58:59], off offset:160
	s_wait_xcnt 0x0
	v_cmpx_lt_u32_e32 19, v0
	s_cbranch_execz .LBB27_143
; %bb.142:
	scratch_load_b64 v[58:59], off, off offset:152
	v_mov_b64_e32 v[60:61], 0
	scratch_store_b64 off, v[60:61], off offset:152
	s_wait_loadcnt 0x0
	ds_store_b64 v1, v[58:59]
.LBB27_143:
	s_wait_xcnt 0x0
	s_or_b32 exec_lo, exec_lo, s0
	s_wait_storecnt_dscnt 0x0
	s_barrier_signal -1
	s_barrier_wait -1
	s_clause 0x4
	scratch_load_b128 v[58:61], off, off offset:160
	scratch_load_b128 v[62:65], off, off offset:176
	;; [unrolled: 1-line block ×4, first 2 shown]
	scratch_load_b64 v[90:91], off, off offset:152
	ds_load_b128 v[74:77], v5 offset:384
	ds_load_b128 v[78:81], v5 offset:400
	;; [unrolled: 1-line block ×4, first 2 shown]
	s_mov_b32 s0, exec_lo
	s_wait_dscnt 0x3
	v_dual_mov_b32 v92, v77 :: v_dual_mov_b32 v93, v76
	s_wait_dscnt 0x2
	v_dual_mov_b32 v94, v81 :: v_dual_mov_b32 v95, v80
	;; [unrolled: 2-line block ×3, first 2 shown]
	v_dual_mov_b32 v97, v84 :: v_dual_mov_b32 v102, v89
	s_wait_loadcnt 0x4
	v_mov_b32_e32 v100, v61
	v_pk_mul_f32 v[98:99], v[74:75], v[58:59] op_sel:[1,1] op_sel_hi:[0,1]
	s_wait_loadcnt 0x3
	v_pk_mul_f32 v[104:105], v[78:79], v[62:63] op_sel:[1,1] op_sel_hi:[0,1]
	s_wait_loadcnt 0x2
	v_pk_mul_f32 v[108:109], v[82:83], v[66:67] op_sel:[1,1] op_sel_hi:[0,1]
	v_pk_mul_f32 v[92:93], v[92:93], v[100:101] op_sel_hi:[1,0]
	v_pk_fma_f32 v[106:107], v[74:75], v[58:59], v[98:99] op_sel_hi:[1,0,1]
	v_pk_fma_f32 v[58:59], v[74:75], v[58:59], v[98:99] neg_lo:[0,0,1] neg_hi:[0,0,1]
	v_mov_b32_e32 v100, v65
	v_pk_fma_f32 v[98:99], v[78:79], v[62:63], v[104:105] op_sel_hi:[1,0,1]
	v_pk_fma_f32 v[74:75], v[76:77], v[60:61], v[92:93] op_sel_hi:[1,0,1]
	v_mov_b32_e32 v59, v107
	v_pk_fma_f32 v[60:61], v[76:77], v[60:61], v[92:93] neg_lo:[0,0,1] neg_hi:[0,0,1]
	v_pk_mul_f32 v[94:95], v[94:95], v[100:101] op_sel_hi:[1,0]
	s_delay_alu instid0(VALU_DEP_4) | instskip(NEXT) | instid1(VALU_DEP_4)
	v_dual_mov_b32 v74, v69 :: v_dual_mov_b32 v61, v75
	v_pk_add_f32 v[58:59], v[58:59], 0 op_sel_hi:[1,0]
	v_pk_fma_f32 v[62:63], v[78:79], v[62:63], v[104:105] neg_lo:[0,0,1] neg_hi:[0,0,1]
	v_mov_b32_e32 v63, v99
	v_pk_fma_f32 v[76:77], v[80:81], v[64:65], v[94:95] op_sel_hi:[1,0,1]
	v_pk_mul_f32 v[74:75], v[96:97], v[74:75] op_sel_hi:[1,0]
	v_pk_add_f32 v[58:59], v[58:59], v[60:61]
	v_pk_fma_f32 v[60:61], v[82:83], v[66:67], v[108:109] op_sel_hi:[1,0,1]
	v_pk_fma_f32 v[64:65], v[80:81], v[64:65], v[94:95] neg_lo:[0,0,1] neg_hi:[0,0,1]
	v_mov_b32_e32 v65, v77
	v_pk_fma_f32 v[66:67], v[82:83], v[66:67], v[108:109] neg_lo:[0,0,1] neg_hi:[0,0,1]
	v_pk_add_f32 v[58:59], v[58:59], v[62:63]
	v_mov_b32_e32 v67, v61
	v_pk_fma_f32 v[60:61], v[84:85], v[68:69], v[74:75] op_sel_hi:[1,0,1]
	s_wait_loadcnt 0x1
	v_pk_mul_f32 v[62:63], v[86:87], v[70:71] op_sel:[1,1] op_sel_hi:[0,1]
	v_mov_b32_e32 v60, v73
	v_pk_add_f32 v[58:59], v[58:59], v[64:65]
	v_pk_fma_f32 v[68:69], v[84:85], v[68:69], v[74:75] neg_lo:[0,0,1] neg_hi:[0,0,1]
	v_mov_b32_e32 v69, v61
	v_pk_fma_f32 v[64:65], v[86:87], v[70:71], v[62:63] op_sel_hi:[1,0,1]
	v_pk_mul_f32 v[60:61], v[102:103], v[60:61] op_sel_hi:[1,0]
	v_pk_add_f32 v[58:59], v[58:59], v[66:67]
	v_pk_fma_f32 v[62:63], v[86:87], v[70:71], v[62:63] neg_lo:[0,0,1] neg_hi:[0,0,1]
	s_delay_alu instid0(VALU_DEP_4) | instskip(NEXT) | instid1(VALU_DEP_4)
	v_mov_b32_e32 v63, v65
	v_pk_fma_f32 v[64:65], v[88:89], v[72:73], v[60:61] op_sel_hi:[1,0,1]
	s_delay_alu instid0(VALU_DEP_4) | instskip(SKIP_1) | instid1(VALU_DEP_3)
	v_pk_add_f32 v[58:59], v[58:59], v[68:69]
	v_pk_fma_f32 v[60:61], v[88:89], v[72:73], v[60:61] neg_lo:[0,0,1] neg_hi:[0,0,1]
	v_mov_b32_e32 v61, v65
	s_delay_alu instid0(VALU_DEP_3) | instskip(NEXT) | instid1(VALU_DEP_1)
	v_pk_add_f32 v[58:59], v[58:59], v[62:63]
	v_pk_add_f32 v[58:59], v[58:59], v[60:61]
	s_wait_loadcnt 0x0
	s_delay_alu instid0(VALU_DEP_1)
	v_pk_add_f32 v[58:59], v[90:91], v[58:59] neg_lo:[0,1] neg_hi:[0,1]
	scratch_store_b64 off, v[58:59], off offset:152
	s_wait_xcnt 0x0
	v_cmpx_lt_u32_e32 18, v0
	s_cbranch_execz .LBB27_145
; %bb.144:
	scratch_load_b64 v[58:59], off, off offset:144
	v_mov_b64_e32 v[60:61], 0
	scratch_store_b64 off, v[60:61], off offset:144
	s_wait_loadcnt 0x0
	ds_store_b64 v1, v[58:59]
.LBB27_145:
	s_wait_xcnt 0x0
	s_or_b32 exec_lo, exec_lo, s0
	s_wait_storecnt_dscnt 0x0
	s_barrier_signal -1
	s_barrier_wait -1
	s_clause 0x5
	scratch_load_b128 v[58:61], off, off offset:152
	scratch_load_b128 v[62:65], off, off offset:168
	scratch_load_b128 v[66:69], off, off offset:184
	scratch_load_b128 v[70:73], off, off offset:200
	scratch_load_b64 v[90:91], off, off offset:216
	scratch_load_b64 v[92:93], off, off offset:144
	v_mov_b32_e32 v5, 0
	ds_load_2addr_b64 v[74:77], v5 offset0:47 offset1:48
	ds_load_2addr_b64 v[78:81], v5 offset0:49 offset1:50
	;; [unrolled: 1-line block ×4, first 2 shown]
	ds_load_b64 v[94:95], v5 offset:440
	s_mov_b32 s0, exec_lo
	s_wait_dscnt 0x4
	v_dual_mov_b32 v96, v77 :: v_dual_mov_b32 v97, v76
	s_wait_dscnt 0x1
	v_dual_mov_b32 v98, v81 :: v_dual_mov_b32 v103, v88
	v_dual_mov_b32 v99, v80 :: v_dual_mov_b32 v100, v85
	;; [unrolled: 1-line block ×3, first 2 shown]
	s_wait_loadcnt 0x5
	v_dual_mov_b32 v104, v61 :: v_dual_mul_f32 v105, v74, v59
	v_mul_f32_e32 v7, v75, v59
	s_wait_loadcnt 0x4
	v_pk_mul_f32 v[106:107], v[78:79], v[62:63] op_sel:[1,1] op_sel_hi:[0,1]
	v_mov_b32_e32 v108, v65
	s_wait_loadcnt 0x3
	v_pk_mul_f32 v[110:111], v[82:83], v[66:67] op_sel:[1,1] op_sel_hi:[0,1]
	v_pk_mul_f32 v[96:97], v[96:97], v[104:105] op_sel_hi:[1,0]
	v_dual_fmac_f32 v105, v75, v58 :: v_dual_fma_f32 v104, v74, v58, -v7
	v_mov_b32_e32 v58, v69
	v_pk_fma_f32 v[112:113], v[78:79], v[62:63], v[106:107] op_sel_hi:[1,0,1]
	s_delay_alu instid0(VALU_DEP_4)
	v_pk_fma_f32 v[74:75], v[76:77], v[60:61], v[96:97] op_sel_hi:[1,0,1]
	v_pk_fma_f32 v[60:61], v[76:77], v[60:61], v[96:97] neg_lo:[0,0,1] neg_hi:[0,0,1]
	v_pk_mul_f32 v[98:99], v[98:99], v[108:109] op_sel_hi:[1,0]
	v_pk_add_f32 v[104:105], v[104:105], 0 op_sel_hi:[1,0]
	v_pk_fma_f32 v[62:63], v[78:79], v[62:63], v[106:107] neg_lo:[0,0,1] neg_hi:[0,0,1]
	v_dual_mov_b32 v61, v75 :: v_dual_mov_b32 v63, v113
	s_delay_alu instid0(VALU_DEP_4) | instskip(SKIP_2) | instid1(VALU_DEP_4)
	v_pk_fma_f32 v[76:77], v[80:81], v[64:65], v[98:99] op_sel_hi:[1,0,1]
	v_pk_fma_f32 v[64:65], v[80:81], v[64:65], v[98:99] neg_lo:[0,0,1] neg_hi:[0,0,1]
	v_pk_fma_f32 v[78:79], v[82:83], v[66:67], v[110:111] op_sel_hi:[1,0,1]
	v_pk_add_f32 v[60:61], v[104:105], v[60:61]
	v_pk_mul_f32 v[58:59], v[100:101], v[58:59] op_sel_hi:[1,0]
	v_mov_b32_e32 v65, v77
	v_pk_fma_f32 v[66:67], v[82:83], v[66:67], v[110:111] neg_lo:[0,0,1] neg_hi:[0,0,1]
	s_wait_loadcnt 0x2
	v_pk_mul_f32 v[74:75], v[86:87], v[70:71] op_sel:[1,1] op_sel_hi:[0,1]
	v_pk_add_f32 v[60:61], v[60:61], v[62:63]
	v_mov_b32_e32 v62, v73
	v_pk_fma_f32 v[76:77], v[84:85], v[68:69], v[58:59] op_sel_hi:[1,0,1]
	v_mov_b32_e32 v67, v79
	v_pk_fma_f32 v[58:59], v[84:85], v[68:69], v[58:59] neg_lo:[0,0,1] neg_hi:[0,0,1]
	v_pk_add_f32 v[60:61], v[60:61], v[64:65]
	v_pk_fma_f32 v[64:65], v[86:87], v[70:71], v[74:75] op_sel_hi:[1,0,1]
	v_pk_mul_f32 v[62:63], v[102:103], v[62:63] op_sel_hi:[1,0]
	v_mov_b32_e32 v59, v77
	s_delay_alu instid0(VALU_DEP_4)
	v_pk_add_f32 v[60:61], v[60:61], v[66:67]
	v_pk_fma_f32 v[66:67], v[86:87], v[70:71], v[74:75] neg_lo:[0,0,1] neg_hi:[0,0,1]
	v_mov_b32_e32 v67, v65
	v_pk_fma_f32 v[64:65], v[88:89], v[72:73], v[62:63] op_sel_hi:[1,0,1]
	v_pk_fma_f32 v[62:63], v[88:89], v[72:73], v[62:63] neg_lo:[0,0,1] neg_hi:[0,0,1]
	v_pk_add_f32 v[58:59], v[60:61], v[58:59]
	s_wait_loadcnt_dscnt 0x100
	v_pk_mul_f32 v[60:61], v[94:95], v[90:91] op_sel:[1,1] op_sel_hi:[0,1]
	v_mov_b32_e32 v63, v65
	s_delay_alu instid0(VALU_DEP_3) | instskip(NEXT) | instid1(VALU_DEP_3)
	v_pk_add_f32 v[58:59], v[58:59], v[66:67]
	v_pk_fma_f32 v[64:65], v[94:95], v[90:91], v[60:61] op_sel_hi:[1,0,1]
	v_pk_fma_f32 v[60:61], v[94:95], v[90:91], v[60:61] neg_lo:[0,0,1] neg_hi:[0,0,1]
	s_delay_alu instid0(VALU_DEP_3) | instskip(NEXT) | instid1(VALU_DEP_3)
	v_pk_add_f32 v[58:59], v[58:59], v[62:63]
	v_mov_b32_e32 v61, v65
	s_delay_alu instid0(VALU_DEP_1) | instskip(SKIP_1) | instid1(VALU_DEP_1)
	v_pk_add_f32 v[58:59], v[58:59], v[60:61]
	s_wait_loadcnt 0x0
	v_pk_add_f32 v[58:59], v[92:93], v[58:59] neg_lo:[0,1] neg_hi:[0,1]
	scratch_store_b64 off, v[58:59], off offset:144
	s_wait_xcnt 0x0
	v_cmpx_lt_u32_e32 17, v0
	s_cbranch_execz .LBB27_147
; %bb.146:
	scratch_load_b64 v[58:59], off, off offset:136
	v_mov_b64_e32 v[60:61], 0
	scratch_store_b64 off, v[60:61], off offset:136
	s_wait_loadcnt 0x0
	ds_store_b64 v1, v[58:59]
.LBB27_147:
	s_wait_xcnt 0x0
	s_or_b32 exec_lo, exec_lo, s0
	s_wait_storecnt_dscnt 0x0
	s_barrier_signal -1
	s_barrier_wait -1
	s_clause 0x5
	scratch_load_b128 v[58:61], off, off offset:144
	scratch_load_b128 v[62:65], off, off offset:160
	;; [unrolled: 1-line block ×5, first 2 shown]
	scratch_load_b64 v[98:99], off, off offset:136
	ds_load_b128 v[78:81], v5 offset:384
	ds_load_b128 v[82:85], v5 offset:400
	;; [unrolled: 1-line block ×5, first 2 shown]
	s_mov_b32 s0, exec_lo
	s_wait_dscnt 0x4
	v_dual_mov_b32 v100, v81 :: v_dual_mov_b32 v101, v80
	s_wait_dscnt 0x3
	v_dual_mov_b32 v102, v85 :: v_dual_mov_b32 v103, v84
	;; [unrolled: 2-line block ×4, first 2 shown]
	s_wait_loadcnt_dscnt 0x500
	v_dual_mul_f32 v109, v94, v59 :: v_dual_mul_f32 v111, v96, v61
	v_dual_mul_f32 v5, v95, v59 :: v_dual_mul_f32 v7, v97, v61
	s_wait_loadcnt 0x4
	v_pk_mul_f32 v[112:113], v[78:79], v[62:63] op_sel:[1,1] op_sel_hi:[0,1]
	s_wait_loadcnt 0x3
	v_dual_mov_b32 v114, v65 :: v_dual_mov_b32 v118, v69
	v_dual_fmac_f32 v109, v95, v58 :: v_dual_fmac_f32 v111, v97, v60
	v_dual_fma_f32 v108, v94, v58, -v5 :: v_dual_fma_f32 v110, v96, v60, -v7
	v_pk_fma_f32 v[58:59], v[78:79], v[62:63], v[112:113] op_sel_hi:[1,0,1]
	s_delay_alu instid0(VALU_DEP_4) | instskip(SKIP_1) | instid1(VALU_DEP_4)
	v_pk_mul_f32 v[60:61], v[100:101], v[114:115] op_sel_hi:[1,0]
	v_pk_fma_f32 v[62:63], v[78:79], v[62:63], v[112:113] neg_lo:[0,0,1] neg_hi:[0,0,1]
	v_pk_add_f32 v[94:95], v[108:109], 0 op_sel_hi:[1,0]
	v_pk_mul_f32 v[116:117], v[82:83], v[66:67] op_sel:[1,1] op_sel_hi:[0,1]
	v_mov_b32_e32 v63, v59
	v_pk_fma_f32 v[58:59], v[80:81], v[64:65], v[60:61] op_sel_hi:[1,0,1]
	v_pk_fma_f32 v[60:61], v[80:81], v[64:65], v[60:61] neg_lo:[0,0,1] neg_hi:[0,0,1]
	v_pk_add_f32 v[78:79], v[94:95], v[110:111]
	v_pk_fma_f32 v[94:95], v[82:83], v[66:67], v[116:117] op_sel_hi:[1,0,1]
	v_pk_mul_f32 v[100:101], v[102:103], v[118:119] op_sel_hi:[1,0]
	v_mov_b32_e32 v61, v59
	s_wait_loadcnt 0x2
	v_pk_mul_f32 v[96:97], v[86:87], v[70:71] op_sel:[1,1] op_sel_hi:[0,1]
	v_pk_add_f32 v[58:59], v[78:79], v[62:63]
	v_mov_b32_e32 v62, v73
	v_pk_fma_f32 v[64:65], v[82:83], v[66:67], v[116:117] neg_lo:[0,0,1] neg_hi:[0,0,1]
	v_mov_b32_e32 v65, v95
	v_pk_fma_f32 v[66:67], v[84:85], v[68:69], v[100:101] op_sel_hi:[1,0,1]
	v_pk_add_f32 v[58:59], v[58:59], v[60:61]
	v_pk_fma_f32 v[60:61], v[86:87], v[70:71], v[96:97] op_sel_hi:[1,0,1]
	v_pk_mul_f32 v[62:63], v[104:105], v[62:63] op_sel_hi:[1,0]
	v_pk_fma_f32 v[68:69], v[84:85], v[68:69], v[100:101] neg_lo:[0,0,1] neg_hi:[0,0,1]
	v_mov_b32_e32 v69, v67
	v_pk_add_f32 v[58:59], v[58:59], v[64:65]
	v_pk_fma_f32 v[66:67], v[86:87], v[70:71], v[96:97] neg_lo:[0,0,1] neg_hi:[0,0,1]
	v_mov_b32_e32 v67, v61
	v_pk_fma_f32 v[60:61], v[88:89], v[72:73], v[62:63] op_sel_hi:[1,0,1]
	s_wait_loadcnt 0x1
	v_pk_mul_f32 v[64:65], v[90:91], v[74:75] op_sel:[1,1] op_sel_hi:[0,1]
	v_pk_add_f32 v[58:59], v[58:59], v[68:69]
	v_mov_b32_e32 v60, v77
	v_pk_fma_f32 v[62:63], v[88:89], v[72:73], v[62:63] neg_lo:[0,0,1] neg_hi:[0,0,1]
	v_mov_b32_e32 v63, v61
	v_pk_fma_f32 v[68:69], v[90:91], v[74:75], v[64:65] op_sel_hi:[1,0,1]
	v_pk_add_f32 v[58:59], v[58:59], v[66:67]
	v_pk_mul_f32 v[60:61], v[106:107], v[60:61] op_sel_hi:[1,0]
	v_pk_fma_f32 v[64:65], v[90:91], v[74:75], v[64:65] neg_lo:[0,0,1] neg_hi:[0,0,1]
	s_delay_alu instid0(VALU_DEP_3) | instskip(NEXT) | instid1(VALU_DEP_3)
	v_pk_add_f32 v[58:59], v[58:59], v[62:63]
	v_pk_fma_f32 v[62:63], v[92:93], v[76:77], v[60:61] op_sel_hi:[1,0,1]
	v_mov_b32_e32 v65, v69
	v_pk_fma_f32 v[60:61], v[92:93], v[76:77], v[60:61] neg_lo:[0,0,1] neg_hi:[0,0,1]
	s_delay_alu instid0(VALU_DEP_3) | instskip(NEXT) | instid1(VALU_DEP_3)
	v_mov_b32_e32 v61, v63
	v_pk_add_f32 v[58:59], v[58:59], v[64:65]
	s_delay_alu instid0(VALU_DEP_1) | instskip(SKIP_1) | instid1(VALU_DEP_1)
	v_pk_add_f32 v[58:59], v[58:59], v[60:61]
	s_wait_loadcnt 0x0
	v_pk_add_f32 v[58:59], v[98:99], v[58:59] neg_lo:[0,1] neg_hi:[0,1]
	scratch_store_b64 off, v[58:59], off offset:136
	s_wait_xcnt 0x0
	v_cmpx_lt_u32_e32 16, v0
	s_cbranch_execz .LBB27_149
; %bb.148:
	scratch_load_b64 v[58:59], off, off offset:128
	v_mov_b64_e32 v[60:61], 0
	scratch_store_b64 off, v[60:61], off offset:128
	s_wait_loadcnt 0x0
	ds_store_b64 v1, v[58:59]
.LBB27_149:
	s_wait_xcnt 0x0
	s_or_b32 exec_lo, exec_lo, s0
	s_wait_storecnt_dscnt 0x0
	s_barrier_signal -1
	s_barrier_wait -1
	s_clause 0x6
	scratch_load_b128 v[58:61], off, off offset:136
	scratch_load_b128 v[62:65], off, off offset:152
	;; [unrolled: 1-line block ×5, first 2 shown]
	scratch_load_b64 v[98:99], off, off offset:216
	scratch_load_b64 v[100:101], off, off offset:128
	v_mov_b32_e32 v5, 0
	ds_load_2addr_b64 v[78:81], v5 offset0:47 offset1:48
	ds_load_2addr_b64 v[82:85], v5 offset0:49 offset1:50
	;; [unrolled: 1-line block ×5, first 2 shown]
	ds_load_b64 v[102:103], v5 offset:440
	s_mov_b32 s0, exec_lo
	s_wait_dscnt 0x5
	v_dual_mov_b32 v104, v81 :: v_dual_mov_b32 v105, v80
	s_wait_dscnt 0x2
	v_dual_mov_b32 v106, v85 :: v_dual_mov_b32 v111, v92
	v_dual_mov_b32 v107, v84 :: v_dual_mov_b32 v108, v89
	;; [unrolled: 1-line block ×3, first 2 shown]
	s_wait_loadcnt_dscnt 0x601
	v_dual_mul_f32 v7, v94, v59 :: v_dual_mul_f32 v11, v95, v59
	v_dual_mul_f32 v13, v97, v61 :: v_dual_mul_f32 v113, v96, v61
	s_wait_loadcnt 0x5
	v_dual_mul_f32 v115, v78, v63 :: v_dual_mul_f32 v15, v79, v63
	s_wait_loadcnt 0x4
	v_dual_mov_b32 v114, v65 :: v_dual_mov_b32 v118, v69
	v_fmac_f32_e32 v7, v95, v58
	v_dual_fma_f32 v11, v94, v58, -v11 :: v_dual_fmac_f32 v113, v97, v60
	v_pk_mul_f32 v[116:117], v[82:83], v[66:67] op_sel:[1,1] op_sel_hi:[0,1]
	s_delay_alu instid0(VALU_DEP_3)
	v_dual_fma_f32 v112, v96, v60, -v13 :: v_dual_add_f32 v61, 0, v7
	v_pk_mul_f32 v[58:59], v[104:105], v[114:115] op_sel_hi:[1,0]
	s_wait_loadcnt 0x3
	v_dual_add_f32 v60, 0, v11 :: v_dual_mov_b32 v94, v73
	v_fmac_f32_e32 v115, v79, v62
	v_fma_f32 v114, v78, v62, -v15
	v_pk_fma_f32 v[62:63], v[80:81], v[64:65], v[58:59] op_sel_hi:[1,0,1]
	s_delay_alu instid0(VALU_DEP_4) | instskip(SKIP_4) | instid1(VALU_DEP_4)
	v_pk_add_f32 v[60:61], v[60:61], v[112:113]
	v_pk_fma_f32 v[78:79], v[82:83], v[66:67], v[116:117] op_sel_hi:[1,0,1]
	v_pk_fma_f32 v[58:59], v[80:81], v[64:65], v[58:59] neg_lo:[0,0,1] neg_hi:[0,0,1]
	v_pk_fma_f32 v[64:65], v[82:83], v[66:67], v[116:117] neg_lo:[0,0,1] neg_hi:[0,0,1]
	v_pk_mul_f32 v[96:97], v[106:107], v[118:119] op_sel_hi:[1,0]
	v_dual_mov_b32 v59, v63 :: v_dual_mov_b32 v65, v79
	v_pk_add_f32 v[60:61], v[60:61], v[114:115]
	v_pk_mul_f32 v[120:121], v[86:87], v[70:71] op_sel:[1,1] op_sel_hi:[0,1]
	s_delay_alu instid0(VALU_DEP_4)
	v_pk_fma_f32 v[66:67], v[84:85], v[68:69], v[96:97] op_sel_hi:[1,0,1]
	v_pk_fma_f32 v[68:69], v[84:85], v[68:69], v[96:97] neg_lo:[0,0,1] neg_hi:[0,0,1]
	v_pk_mul_f32 v[78:79], v[108:109], v[94:95] op_sel_hi:[1,0]
	v_pk_add_f32 v[58:59], v[60:61], v[58:59]
	v_pk_fma_f32 v[60:61], v[86:87], v[70:71], v[120:121] op_sel_hi:[1,0,1]
	s_wait_loadcnt 0x2
	v_dual_mov_b32 v69, v67 :: v_dual_mov_b32 v60, v77
	v_pk_mul_f32 v[62:63], v[90:91], v[74:75] op_sel:[1,1] op_sel_hi:[0,1]
	v_pk_add_f32 v[58:59], v[58:59], v[64:65]
	v_pk_fma_f32 v[64:65], v[86:87], v[70:71], v[120:121] neg_lo:[0,0,1] neg_hi:[0,0,1]
	v_pk_fma_f32 v[66:67], v[88:89], v[72:73], v[78:79] op_sel_hi:[1,0,1]
	v_mov_b32_e32 v65, v61
	v_pk_fma_f32 v[70:71], v[88:89], v[72:73], v[78:79] neg_lo:[0,0,1] neg_hi:[0,0,1]
	v_pk_add_f32 v[58:59], v[58:59], v[68:69]
	v_pk_fma_f32 v[68:69], v[90:91], v[74:75], v[62:63] op_sel_hi:[1,0,1]
	v_pk_mul_f32 v[60:61], v[110:111], v[60:61] op_sel_hi:[1,0]
	v_mov_b32_e32 v71, v67
	v_pk_fma_f32 v[62:63], v[90:91], v[74:75], v[62:63] neg_lo:[0,0,1] neg_hi:[0,0,1]
	v_pk_add_f32 v[58:59], v[58:59], v[64:65]
	s_wait_loadcnt_dscnt 0x100
	v_pk_mul_f32 v[66:67], v[102:103], v[98:99] op_sel:[1,1] op_sel_hi:[0,1]
	v_pk_fma_f32 v[64:65], v[92:93], v[76:77], v[60:61] op_sel_hi:[1,0,1]
	v_mov_b32_e32 v63, v69
	v_pk_fma_f32 v[60:61], v[92:93], v[76:77], v[60:61] neg_lo:[0,0,1] neg_hi:[0,0,1]
	v_pk_add_f32 v[58:59], v[58:59], v[70:71]
	s_delay_alu instid0(VALU_DEP_4) | instskip(SKIP_1) | instid1(VALU_DEP_3)
	v_mov_b32_e32 v61, v65
	v_pk_fma_f32 v[64:65], v[102:103], v[98:99], v[66:67] neg_lo:[0,0,1] neg_hi:[0,0,1]
	v_pk_add_f32 v[58:59], v[58:59], v[62:63]
	v_pk_fma_f32 v[62:63], v[102:103], v[98:99], v[66:67] op_sel_hi:[1,0,1]
	s_delay_alu instid0(VALU_DEP_2) | instskip(NEXT) | instid1(VALU_DEP_2)
	v_pk_add_f32 v[58:59], v[58:59], v[60:61]
	v_mov_b32_e32 v65, v63
	s_delay_alu instid0(VALU_DEP_1) | instskip(SKIP_1) | instid1(VALU_DEP_1)
	v_pk_add_f32 v[58:59], v[58:59], v[64:65]
	s_wait_loadcnt 0x0
	v_pk_add_f32 v[58:59], v[100:101], v[58:59] neg_lo:[0,1] neg_hi:[0,1]
	scratch_store_b64 off, v[58:59], off offset:128
	s_wait_xcnt 0x0
	v_cmpx_lt_u32_e32 15, v0
	s_cbranch_execz .LBB27_151
; %bb.150:
	scratch_load_b64 v[58:59], off, off offset:120
	v_mov_b64_e32 v[60:61], 0
	scratch_store_b64 off, v[60:61], off offset:120
	s_wait_loadcnt 0x0
	ds_store_b64 v1, v[58:59]
.LBB27_151:
	s_wait_xcnt 0x0
	s_or_b32 exec_lo, exec_lo, s0
	s_wait_storecnt_dscnt 0x0
	s_barrier_signal -1
	s_barrier_wait -1
	s_clause 0x6
	scratch_load_b128 v[58:61], off, off offset:128
	scratch_load_b128 v[62:65], off, off offset:144
	;; [unrolled: 1-line block ×6, first 2 shown]
	scratch_load_b64 v[106:107], off, off offset:120
	ds_load_b128 v[82:85], v5 offset:384
	ds_load_b128 v[86:89], v5 offset:400
	;; [unrolled: 1-line block ×6, first 2 shown]
	s_mov_b32 s0, exec_lo
	s_wait_dscnt 0x5
	v_dual_mov_b32 v108, v85 :: v_dual_mov_b32 v109, v84
	s_wait_dscnt 0x4
	v_dual_mov_b32 v110, v89 :: v_dual_mov_b32 v111, v88
	s_wait_dscnt 0x3
	v_dual_mov_b32 v112, v93 :: v_dual_mov_b32 v113, v92
	s_wait_dscnt 0x2
	v_dual_mov_b32 v114, v97 :: v_dual_mov_b32 v115, v96
	s_wait_loadcnt_dscnt 0x601
	v_dual_mul_f32 v5, v98, v59 :: v_dual_mul_f32 v7, v100, v61
	v_dual_mul_f32 v11, v99, v59 :: v_dual_mul_f32 v13, v101, v61
	s_wait_loadcnt 0x4
	s_delay_alu instid0(VALU_DEP_2)
	v_dual_mov_b32 v122, v69 :: v_dual_fmac_f32 v5, v99, v58
	s_wait_dscnt 0x0
	v_dual_mul_f32 v117, v102, v63 :: v_dual_mul_f32 v119, v104, v65
	v_dual_fma_f32 v11, v98, v58, -v11 :: v_dual_fma_f32 v13, v100, v60, -v13
	v_dual_mul_f32 v15, v103, v63 :: v_dual_mul_f32 v17, v105, v65
	v_dual_fmac_f32 v7, v101, v60 :: v_dual_add_f32 v5, 0, v5
	s_wait_loadcnt 0x3
	s_delay_alu instid0(VALU_DEP_3) | instskip(SKIP_2) | instid1(VALU_DEP_3)
	v_dual_add_f32 v11, 0, v11 :: v_dual_mov_b32 v60, v73
	v_pk_mul_f32 v[120:121], v[82:83], v[66:67] op_sel:[1,1] op_sel_hi:[0,1]
	v_dual_fmac_f32 v117, v103, v62 :: v_dual_fma_f32 v116, v102, v62, -v15
	v_dual_add_f32 v63, v5, v7 :: v_dual_add_f32 v62, v11, v13
	v_dual_fmac_f32 v119, v105, v64 :: v_dual_fma_f32 v118, v104, v64, -v17
	s_delay_alu instid0(VALU_DEP_4) | instskip(SKIP_1) | instid1(VALU_DEP_4)
	v_pk_fma_f32 v[64:65], v[82:83], v[66:67], v[120:121] op_sel_hi:[1,0,1]
	v_pk_mul_f32 v[98:99], v[108:109], v[122:123] op_sel_hi:[1,0]
	v_pk_add_f32 v[62:63], v[62:63], v[116:117]
	v_pk_fma_f32 v[66:67], v[82:83], v[66:67], v[120:121] neg_lo:[0,0,1] neg_hi:[0,0,1]
	v_pk_mul_f32 v[58:59], v[86:87], v[70:71] op_sel:[1,1] op_sel_hi:[0,1]
	v_mov_b32_e32 v67, v65
	v_pk_fma_f32 v[64:65], v[84:85], v[68:69], v[98:99] op_sel_hi:[1,0,1]
	v_pk_add_f32 v[62:63], v[62:63], v[118:119]
	v_pk_fma_f32 v[68:69], v[84:85], v[68:69], v[98:99] neg_lo:[0,0,1] neg_hi:[0,0,1]
	v_pk_fma_f32 v[82:83], v[86:87], v[70:71], v[58:59] op_sel_hi:[1,0,1]
	v_pk_mul_f32 v[60:61], v[110:111], v[60:61] op_sel_hi:[1,0]
	v_mov_b32_e32 v69, v65
	v_pk_add_f32 v[62:63], v[62:63], v[66:67]
	v_pk_fma_f32 v[58:59], v[86:87], v[70:71], v[58:59] neg_lo:[0,0,1] neg_hi:[0,0,1]
	s_wait_loadcnt 0x2
	v_pk_mul_f32 v[100:101], v[90:91], v[74:75] op_sel:[1,1] op_sel_hi:[0,1]
	v_dual_mov_b32 v64, v77 :: v_dual_mov_b32 v59, v83
	v_pk_fma_f32 v[66:67], v[88:89], v[72:73], v[60:61] op_sel_hi:[1,0,1]
	v_pk_add_f32 v[62:63], v[62:63], v[68:69]
	v_pk_fma_f32 v[60:61], v[88:89], v[72:73], v[60:61] neg_lo:[0,0,1] neg_hi:[0,0,1]
	v_pk_fma_f32 v[68:69], v[90:91], v[74:75], v[100:101] op_sel_hi:[1,0,1]
	v_pk_mul_f32 v[64:65], v[112:113], v[64:65] op_sel_hi:[1,0]
	v_mov_b32_e32 v61, v67
	v_pk_add_f32 v[58:59], v[62:63], v[58:59]
	v_pk_fma_f32 v[66:67], v[90:91], v[74:75], v[100:101] neg_lo:[0,0,1] neg_hi:[0,0,1]
	s_wait_loadcnt 0x1
	v_pk_mul_f32 v[62:63], v[94:95], v[78:79] op_sel:[1,1] op_sel_hi:[0,1]
	v_mov_b32_e32 v67, v69
	v_pk_fma_f32 v[68:69], v[92:93], v[76:77], v[64:65] op_sel_hi:[1,0,1]
	v_pk_add_f32 v[58:59], v[58:59], v[60:61]
	v_mov_b32_e32 v60, v81
	v_pk_fma_f32 v[64:65], v[92:93], v[76:77], v[64:65] neg_lo:[0,0,1] neg_hi:[0,0,1]
	v_pk_fma_f32 v[70:71], v[94:95], v[78:79], v[62:63] op_sel_hi:[1,0,1]
	v_mov_b32_e32 v65, v69
	v_pk_add_f32 v[58:59], v[58:59], v[66:67]
	v_pk_mul_f32 v[60:61], v[114:115], v[60:61] op_sel_hi:[1,0]
	v_pk_fma_f32 v[62:63], v[94:95], v[78:79], v[62:63] neg_lo:[0,0,1] neg_hi:[0,0,1]
	s_delay_alu instid0(VALU_DEP_3) | instskip(NEXT) | instid1(VALU_DEP_3)
	v_pk_add_f32 v[58:59], v[58:59], v[64:65]
	v_pk_fma_f32 v[64:65], v[96:97], v[80:81], v[60:61] op_sel_hi:[1,0,1]
	v_mov_b32_e32 v63, v71
	v_pk_fma_f32 v[60:61], v[96:97], v[80:81], v[60:61] neg_lo:[0,0,1] neg_hi:[0,0,1]
	s_delay_alu instid0(VALU_DEP_3) | instskip(NEXT) | instid1(VALU_DEP_3)
	v_mov_b32_e32 v61, v65
	v_pk_add_f32 v[58:59], v[58:59], v[62:63]
	s_delay_alu instid0(VALU_DEP_1) | instskip(SKIP_1) | instid1(VALU_DEP_1)
	v_pk_add_f32 v[58:59], v[58:59], v[60:61]
	s_wait_loadcnt 0x0
	v_pk_add_f32 v[58:59], v[106:107], v[58:59] neg_lo:[0,1] neg_hi:[0,1]
	scratch_store_b64 off, v[58:59], off offset:120
	s_wait_xcnt 0x0
	v_cmpx_lt_u32_e32 14, v0
	s_cbranch_execz .LBB27_153
; %bb.152:
	scratch_load_b64 v[58:59], off, off offset:112
	v_mov_b64_e32 v[60:61], 0
	scratch_store_b64 off, v[60:61], off offset:112
	s_wait_loadcnt 0x0
	ds_store_b64 v1, v[58:59]
.LBB27_153:
	s_wait_xcnt 0x0
	s_or_b32 exec_lo, exec_lo, s0
	s_wait_storecnt_dscnt 0x0
	s_barrier_signal -1
	s_barrier_wait -1
	s_clause 0x7
	scratch_load_b128 v[58:61], off, off offset:120
	scratch_load_b128 v[62:65], off, off offset:136
	;; [unrolled: 1-line block ×6, first 2 shown]
	scratch_load_b64 v[106:107], off, off offset:216
	scratch_load_b64 v[108:109], off, off offset:112
	v_mov_b32_e32 v5, 0
	ds_load_2addr_b64 v[82:85], v5 offset0:47 offset1:48
	ds_load_2addr_b64 v[86:89], v5 offset0:49 offset1:50
	;; [unrolled: 1-line block ×6, first 2 shown]
	ds_load_b64 v[110:111], v5 offset:440
	s_mov_b32 s0, exec_lo
	s_wait_dscnt 0x6
	v_dual_mov_b32 v112, v85 :: v_dual_mov_b32 v113, v84
	s_wait_dscnt 0x3
	v_dual_mov_b32 v114, v89 :: v_dual_mov_b32 v119, v96
	v_dual_mov_b32 v115, v88 :: v_dual_mov_b32 v116, v93
	;; [unrolled: 1-line block ×3, first 2 shown]
	s_wait_loadcnt_dscnt 0x702
	v_dual_mul_f32 v7, v98, v59 :: v_dual_mul_f32 v15, v99, v59
	v_dual_mul_f32 v17, v101, v61 :: v_dual_mul_f32 v11, v100, v61
	s_wait_loadcnt_dscnt 0x601
	s_delay_alu instid0(VALU_DEP_2) | instskip(NEXT) | instid1(VALU_DEP_2)
	v_dual_mul_f32 v13, v102, v63 :: v_dual_fmac_f32 v7, v99, v58
	v_dual_fma_f32 v15, v98, v58, -v15 :: v_dual_fma_f32 v17, v100, v60, -v17
	v_dual_mul_f32 v19, v103, v63 :: v_dual_mul_f32 v21, v105, v65
	s_wait_loadcnt 0x4
	v_mov_b32_e32 v58, v73
	v_dual_fmac_f32 v11, v101, v60 :: v_dual_add_f32 v7, 0, v7
	v_dual_add_f32 v15, 0, v15 :: v_dual_fmac_f32 v13, v103, v62
	v_dual_mul_f32 v121, v104, v65 :: v_dual_mul_f32 v123, v82, v67
	v_dual_mul_f32 v23, v83, v67 :: v_dual_mov_b32 v122, v69
	s_delay_alu instid0(VALU_DEP_4) | instskip(NEXT) | instid1(VALU_DEP_3)
	v_dual_fma_f32 v19, v102, v62, -v19 :: v_dual_add_f32 v7, v7, v11
	v_dual_add_f32 v11, v15, v17 :: v_dual_fmac_f32 v121, v105, v64
	v_pk_mul_f32 v[124:125], v[86:87], v[70:71] op_sel:[1,1] op_sel_hi:[0,1]
	s_delay_alu instid0(VALU_DEP_3)
	v_dual_fma_f32 v120, v104, v64, -v21 :: v_dual_add_f32 v65, v7, v13
	v_pk_mul_f32 v[62:63], v[112:113], v[122:123] op_sel_hi:[1,0]
	s_wait_loadcnt 0x3
	v_dual_add_f32 v64, v11, v19 :: v_dual_mov_b32 v98, v77
	v_fmac_f32_e32 v123, v83, v66
	v_fma_f32 v122, v82, v66, -v23
	v_pk_fma_f32 v[66:67], v[84:85], v[68:69], v[62:63] op_sel_hi:[1,0,1]
	s_delay_alu instid0(VALU_DEP_4) | instskip(SKIP_4) | instid1(VALU_DEP_4)
	v_pk_add_f32 v[64:65], v[64:65], v[120:121]
	v_pk_fma_f32 v[82:83], v[86:87], v[70:71], v[124:125] op_sel_hi:[1,0,1]
	v_pk_fma_f32 v[62:63], v[84:85], v[68:69], v[62:63] neg_lo:[0,0,1] neg_hi:[0,0,1]
	v_pk_fma_f32 v[68:69], v[86:87], v[70:71], v[124:125] neg_lo:[0,0,1] neg_hi:[0,0,1]
	v_pk_mul_f32 v[58:59], v[114:115], v[58:59] op_sel_hi:[1,0]
	v_dual_mov_b32 v63, v67 :: v_dual_mov_b32 v69, v83
	v_pk_add_f32 v[64:65], v[64:65], v[122:123]
	v_pk_mul_f32 v[60:61], v[90:91], v[74:75] op_sel:[1,1] op_sel_hi:[0,1]
	s_delay_alu instid0(VALU_DEP_4)
	v_pk_fma_f32 v[70:71], v[88:89], v[72:73], v[58:59] op_sel_hi:[1,0,1]
	v_pk_fma_f32 v[58:59], v[88:89], v[72:73], v[58:59] neg_lo:[0,0,1] neg_hi:[0,0,1]
	v_pk_mul_f32 v[82:83], v[116:117], v[98:99] op_sel_hi:[1,0]
	v_pk_add_f32 v[62:63], v[64:65], v[62:63]
	v_pk_fma_f32 v[64:65], v[90:91], v[74:75], v[60:61] op_sel_hi:[1,0,1]
	s_wait_loadcnt 0x2
	v_dual_mov_b32 v59, v71 :: v_dual_mov_b32 v64, v81
	v_pk_fma_f32 v[60:61], v[90:91], v[74:75], v[60:61] neg_lo:[0,0,1] neg_hi:[0,0,1]
	v_pk_add_f32 v[62:63], v[62:63], v[68:69]
	v_pk_mul_f32 v[66:67], v[94:95], v[78:79] op_sel:[1,1] op_sel_hi:[0,1]
	v_pk_fma_f32 v[68:69], v[92:93], v[76:77], v[82:83] op_sel_hi:[1,0,1]
	v_mov_b32_e32 v61, v65
	v_pk_fma_f32 v[70:71], v[92:93], v[76:77], v[82:83] neg_lo:[0,0,1] neg_hi:[0,0,1]
	v_pk_add_f32 v[58:59], v[62:63], v[58:59]
	v_pk_fma_f32 v[62:63], v[94:95], v[78:79], v[66:67] op_sel_hi:[1,0,1]
	v_pk_mul_f32 v[64:65], v[118:119], v[64:65] op_sel_hi:[1,0]
	v_mov_b32_e32 v71, v69
	s_delay_alu instid0(VALU_DEP_4)
	v_pk_add_f32 v[58:59], v[58:59], v[60:61]
	v_pk_fma_f32 v[60:61], v[94:95], v[78:79], v[66:67] neg_lo:[0,0,1] neg_hi:[0,0,1]
	v_mov_b32_e32 v61, v63
	v_pk_fma_f32 v[62:63], v[96:97], v[80:81], v[64:65] op_sel_hi:[1,0,1]
	s_wait_loadcnt_dscnt 0x100
	v_pk_mul_f32 v[66:67], v[110:111], v[106:107] op_sel:[1,1] op_sel_hi:[0,1]
	v_pk_add_f32 v[58:59], v[58:59], v[70:71]
	v_pk_fma_f32 v[64:65], v[96:97], v[80:81], v[64:65] neg_lo:[0,0,1] neg_hi:[0,0,1]
	v_mov_b32_e32 v65, v63
	s_delay_alu instid0(VALU_DEP_4) | instskip(NEXT) | instid1(VALU_DEP_4)
	v_pk_fma_f32 v[62:63], v[110:111], v[106:107], v[66:67] neg_lo:[0,0,1] neg_hi:[0,0,1]
	v_pk_add_f32 v[58:59], v[58:59], v[60:61]
	v_pk_fma_f32 v[60:61], v[110:111], v[106:107], v[66:67] op_sel_hi:[1,0,1]
	s_delay_alu instid0(VALU_DEP_2) | instskip(NEXT) | instid1(VALU_DEP_2)
	v_pk_add_f32 v[58:59], v[58:59], v[64:65]
	v_mov_b32_e32 v63, v61
	s_delay_alu instid0(VALU_DEP_1) | instskip(SKIP_1) | instid1(VALU_DEP_1)
	v_pk_add_f32 v[58:59], v[58:59], v[62:63]
	s_wait_loadcnt 0x0
	v_pk_add_f32 v[58:59], v[108:109], v[58:59] neg_lo:[0,1] neg_hi:[0,1]
	scratch_store_b64 off, v[58:59], off offset:112
	s_wait_xcnt 0x0
	v_cmpx_lt_u32_e32 13, v0
	s_cbranch_execz .LBB27_155
; %bb.154:
	scratch_load_b64 v[58:59], off, off offset:104
	v_mov_b64_e32 v[60:61], 0
	scratch_store_b64 off, v[60:61], off offset:104
	s_wait_loadcnt 0x0
	ds_store_b64 v1, v[58:59]
.LBB27_155:
	s_wait_xcnt 0x0
	s_or_b32 exec_lo, exec_lo, s0
	s_wait_storecnt_dscnt 0x0
	s_barrier_signal -1
	s_barrier_wait -1
	s_clause 0x7
	scratch_load_b128 v[58:61], off, off offset:112
	scratch_load_b128 v[62:65], off, off offset:128
	;; [unrolled: 1-line block ×7, first 2 shown]
	scratch_load_b64 v[114:115], off, off offset:104
	ds_load_b128 v[86:89], v5 offset:384
	ds_load_b128 v[90:93], v5 offset:400
	;; [unrolled: 1-line block ×7, first 2 shown]
	s_mov_b32 s0, exec_lo
	s_wait_dscnt 0x6
	v_dual_mov_b32 v116, v89 :: v_dual_mov_b32 v117, v88
	s_wait_dscnt 0x5
	v_dual_mov_b32 v118, v93 :: v_dual_mov_b32 v119, v92
	;; [unrolled: 2-line block ×4, first 2 shown]
	s_wait_loadcnt_dscnt 0x702
	v_dual_mul_f32 v5, v102, v59 :: v_dual_mul_f32 v7, v104, v61
	v_dual_mul_f32 v15, v103, v59 :: v_dual_mul_f32 v17, v105, v61
	s_wait_loadcnt_dscnt 0x601
	v_dual_mul_f32 v11, v106, v63 :: v_dual_mul_f32 v13, v108, v65
	s_delay_alu instid0(VALU_DEP_2) | instskip(SKIP_2) | instid1(VALU_DEP_3)
	v_dual_fmac_f32 v5, v103, v58 :: v_dual_fma_f32 v15, v102, v58, -v15
	v_dual_mul_f32 v19, v107, v63 :: v_dual_mul_f32 v21, v109, v65
	v_dual_fmac_f32 v7, v105, v60 :: v_dual_fma_f32 v17, v104, v60, -v17
	v_dual_add_f32 v5, 0, v5 :: v_dual_add_f32 v15, 0, v15
	s_wait_loadcnt 0x4
	v_dual_mov_b32 v60, v73 :: v_dual_fmac_f32 v11, v107, v62
	s_delay_alu instid0(VALU_DEP_2) | instskip(NEXT) | instid1(VALU_DEP_3)
	v_dual_fma_f32 v19, v106, v62, -v19 :: v_dual_add_f32 v5, v5, v7
	v_dual_add_f32 v7, v15, v17 :: v_dual_fmac_f32 v13, v109, v64
	s_wait_dscnt 0x0
	v_dual_mul_f32 v125, v110, v67 :: v_dual_mul_f32 v127, v112, v69
	v_dual_mul_f32 v23, v111, v67 :: v_dual_mul_f32 v25, v113, v69
	v_dual_fma_f32 v15, v108, v64, -v21 :: v_dual_add_f32 v5, v5, v11
	s_wait_loadcnt 0x3
	v_dual_add_f32 v7, v7, v19 :: v_dual_mov_b32 v64, v77
	v_pk_mul_f32 v[58:59], v[86:87], v[70:71] op_sel:[1,1] op_sel_hi:[0,1]
	v_dual_fmac_f32 v125, v111, v66 :: v_dual_fma_f32 v124, v110, v66, -v23
	s_delay_alu instid0(VALU_DEP_3) | instskip(SKIP_1) | instid1(VALU_DEP_4)
	v_dual_add_f32 v67, v5, v13 :: v_dual_add_f32 v66, v7, v15
	v_dual_fmac_f32 v127, v113, v68 :: v_dual_fma_f32 v126, v112, v68, -v25
	v_pk_fma_f32 v[68:69], v[86:87], v[70:71], v[58:59] op_sel_hi:[1,0,1]
	v_pk_mul_f32 v[60:61], v[116:117], v[60:61] op_sel_hi:[1,0]
	s_delay_alu instid0(VALU_DEP_4)
	v_pk_add_f32 v[66:67], v[66:67], v[124:125]
	v_pk_fma_f32 v[58:59], v[86:87], v[70:71], v[58:59] neg_lo:[0,0,1] neg_hi:[0,0,1]
	v_pk_mul_f32 v[62:63], v[90:91], v[74:75] op_sel:[1,1] op_sel_hi:[0,1]
	v_mov_b32_e32 v59, v69
	v_pk_fma_f32 v[68:69], v[88:89], v[72:73], v[60:61] op_sel_hi:[1,0,1]
	v_pk_add_f32 v[66:67], v[66:67], v[126:127]
	v_pk_fma_f32 v[60:61], v[88:89], v[72:73], v[60:61] neg_lo:[0,0,1] neg_hi:[0,0,1]
	v_pk_fma_f32 v[70:71], v[90:91], v[74:75], v[62:63] op_sel_hi:[1,0,1]
	v_pk_mul_f32 v[64:65], v[118:119], v[64:65] op_sel_hi:[1,0]
	v_mov_b32_e32 v61, v69
	v_pk_add_f32 v[58:59], v[66:67], v[58:59]
	s_wait_loadcnt 0x2
	v_pk_mul_f32 v[102:103], v[94:95], v[78:79] op_sel:[1,1] op_sel_hi:[0,1]
	v_mov_b32_e32 v66, v81
	v_pk_fma_f32 v[62:63], v[90:91], v[74:75], v[62:63] neg_lo:[0,0,1] neg_hi:[0,0,1]
	v_mov_b32_e32 v63, v71
	v_pk_fma_f32 v[68:69], v[92:93], v[76:77], v[64:65] op_sel_hi:[1,0,1]
	v_pk_add_f32 v[58:59], v[58:59], v[60:61]
	v_pk_fma_f32 v[60:61], v[94:95], v[78:79], v[102:103] op_sel_hi:[1,0,1]
	v_pk_mul_f32 v[66:67], v[120:121], v[66:67] op_sel_hi:[1,0]
	v_pk_fma_f32 v[64:65], v[92:93], v[76:77], v[64:65] neg_lo:[0,0,1] neg_hi:[0,0,1]
	v_mov_b32_e32 v65, v69
	v_pk_add_f32 v[58:59], v[58:59], v[62:63]
	v_pk_fma_f32 v[68:69], v[94:95], v[78:79], v[102:103] neg_lo:[0,0,1] neg_hi:[0,0,1]
	v_mov_b32_e32 v69, v61
	v_pk_fma_f32 v[60:61], v[96:97], v[80:81], v[66:67] op_sel_hi:[1,0,1]
	s_wait_loadcnt 0x1
	v_pk_mul_f32 v[62:63], v[98:99], v[82:83] op_sel:[1,1] op_sel_hi:[0,1]
	v_pk_add_f32 v[58:59], v[58:59], v[64:65]
	v_mov_b32_e32 v60, v85
	v_pk_fma_f32 v[66:67], v[96:97], v[80:81], v[66:67] neg_lo:[0,0,1] neg_hi:[0,0,1]
	v_mov_b32_e32 v67, v61
	v_pk_fma_f32 v[64:65], v[98:99], v[82:83], v[62:63] op_sel_hi:[1,0,1]
	v_pk_add_f32 v[58:59], v[58:59], v[68:69]
	v_pk_mul_f32 v[60:61], v[122:123], v[60:61] op_sel_hi:[1,0]
	v_pk_fma_f32 v[62:63], v[98:99], v[82:83], v[62:63] neg_lo:[0,0,1] neg_hi:[0,0,1]
	s_delay_alu instid0(VALU_DEP_4) | instskip(NEXT) | instid1(VALU_DEP_4)
	v_mov_b32_e32 v63, v65
	v_pk_add_f32 v[58:59], v[58:59], v[66:67]
	s_delay_alu instid0(VALU_DEP_4) | instskip(SKIP_1) | instid1(VALU_DEP_2)
	v_pk_fma_f32 v[64:65], v[100:101], v[84:85], v[60:61] op_sel_hi:[1,0,1]
	v_pk_fma_f32 v[60:61], v[100:101], v[84:85], v[60:61] neg_lo:[0,0,1] neg_hi:[0,0,1]
	v_mov_b32_e32 v61, v65
	s_delay_alu instid0(VALU_DEP_4) | instskip(NEXT) | instid1(VALU_DEP_1)
	v_pk_add_f32 v[58:59], v[58:59], v[62:63]
	v_pk_add_f32 v[58:59], v[58:59], v[60:61]
	s_wait_loadcnt 0x0
	s_delay_alu instid0(VALU_DEP_1)
	v_pk_add_f32 v[58:59], v[114:115], v[58:59] neg_lo:[0,1] neg_hi:[0,1]
	scratch_store_b64 off, v[58:59], off offset:104
	s_wait_xcnt 0x0
	v_cmpx_lt_u32_e32 12, v0
	s_cbranch_execz .LBB27_157
; %bb.156:
	scratch_load_b64 v[58:59], off, off offset:96
	v_mov_b64_e32 v[60:61], 0
	scratch_store_b64 off, v[60:61], off offset:96
	s_wait_loadcnt 0x0
	ds_store_b64 v1, v[58:59]
.LBB27_157:
	s_wait_xcnt 0x0
	s_or_b32 exec_lo, exec_lo, s0
	s_wait_storecnt_dscnt 0x0
	s_barrier_signal -1
	s_barrier_wait -1
	s_clause 0x8
	scratch_load_b128 v[58:61], off, off offset:104
	scratch_load_b128 v[62:65], off, off offset:120
	;; [unrolled: 1-line block ×7, first 2 shown]
	scratch_load_b64 v[114:115], off, off offset:216
	scratch_load_b64 v[116:117], off, off offset:96
	v_mov_b32_e32 v5, 0
	ds_load_2addr_b64 v[86:89], v5 offset0:47 offset1:48
	ds_load_2addr_b64 v[90:93], v5 offset0:49 offset1:50
	;; [unrolled: 1-line block ×7, first 2 shown]
	ds_load_b64 v[118:119], v5 offset:440
	s_mov_b32 s0, exec_lo
	s_wait_dscnt 0x7
	v_dual_mov_b32 v120, v89 :: v_dual_mov_b32 v121, v88
	s_wait_dscnt 0x4
	v_dual_mov_b32 v122, v93 :: v_dual_mov_b32 v127, v100
	v_dual_mov_b32 v123, v92 :: v_dual_mov_b32 v124, v97
	;; [unrolled: 1-line block ×3, first 2 shown]
	s_wait_loadcnt_dscnt 0x803
	v_dual_mul_f32 v7, v102, v59 :: v_dual_mul_f32 v19, v103, v59
	v_dual_mul_f32 v21, v105, v61 :: v_dual_mul_f32 v11, v104, v61
	s_wait_loadcnt_dscnt 0x702
	v_mul_f32_e32 v13, v106, v63
	s_wait_loadcnt 0x5
	v_dual_mul_f32 v31, v87, v71 :: v_dual_fma_f32 v19, v102, v58, -v19
	v_dual_fmac_f32 v7, v103, v58 :: v_dual_mov_b32 v58, v73
	v_dual_mul_f32 v23, v107, v63 :: v_dual_mul_f32 v25, v109, v65
	v_dual_fmac_f32 v11, v105, v60 :: v_dual_fma_f32 v21, v104, v60, -v21
	s_delay_alu instid0(VALU_DEP_3) | instskip(NEXT) | instid1(VALU_DEP_3)
	v_dual_add_f32 v7, 0, v7 :: v_dual_fmac_f32 v13, v107, v62
	v_dual_add_f32 v19, 0, v19 :: v_dual_fma_f32 v23, v106, v62, -v23
	s_wait_dscnt 0x1
	v_dual_mul_f32 v15, v108, v65 :: v_dual_mul_f32 v17, v110, v67
	s_wait_loadcnt 0x4
	v_dual_add_f32 v7, v7, v11 :: v_dual_mov_b32 v62, v77
	s_delay_alu instid0(VALU_DEP_2) | instskip(SKIP_1) | instid1(VALU_DEP_3)
	v_dual_add_f32 v11, v19, v21 :: v_dual_fmac_f32 v15, v109, v64
	v_dual_mul_f32 v27, v111, v67 :: v_dual_mul_f32 v29, v113, v69
	v_dual_fma_f32 v19, v108, v64, -v25 :: v_dual_add_f32 v7, v7, v13
	s_delay_alu instid0(VALU_DEP_2) | instskip(SKIP_2) | instid1(VALU_DEP_4)
	v_dual_add_f32 v11, v11, v23 :: v_dual_fma_f32 v13, v110, v66, -v27
	v_dual_mul_f32 v129, v112, v69 :: v_dual_mul_f32 v131, v86, v71
	v_fmac_f32_e32 v17, v111, v66
	v_add_f32_e32 v7, v7, v15
	s_delay_alu instid0(VALU_DEP_4)
	v_dual_add_f32 v11, v11, v19 :: v_dual_fma_f32 v128, v112, v68, -v29
	v_pk_mul_f32 v[58:59], v[120:121], v[58:59] op_sel_hi:[1,0]
	v_pk_mul_f32 v[62:63], v[122:123], v[62:63] op_sel_hi:[1,0]
	v_pk_mul_f32 v[60:61], v[90:91], v[74:75] op_sel:[1,1] op_sel_hi:[0,1]
	v_fmac_f32_e32 v129, v113, v68
	s_wait_loadcnt 0x3
	v_dual_mov_b32 v68, v81 :: v_dual_add_f32 v67, v7, v17
	v_fma_f32 v130, v86, v70, -v31
	v_fmac_f32_e32 v131, v87, v70
	v_pk_fma_f32 v[70:71], v[88:89], v[72:73], v[58:59] op_sel_hi:[1,0,1]
	v_pk_fma_f32 v[58:59], v[88:89], v[72:73], v[58:59] neg_lo:[0,0,1] neg_hi:[0,0,1]
	v_pk_fma_f32 v[72:73], v[92:93], v[76:77], v[62:63] op_sel_hi:[1,0,1]
	v_add_f32_e32 v66, v11, v13
	v_pk_fma_f32 v[62:63], v[92:93], v[76:77], v[62:63] neg_lo:[0,0,1] neg_hi:[0,0,1]
	v_pk_fma_f32 v[86:87], v[90:91], v[74:75], v[60:61] op_sel_hi:[1,0,1]
	v_pk_fma_f32 v[60:61], v[90:91], v[74:75], v[60:61] neg_lo:[0,0,1] neg_hi:[0,0,1]
	v_mov_b32_e32 v63, v73
	v_pk_add_f32 v[66:67], v[66:67], v[128:129]
	s_delay_alu instid0(VALU_DEP_4) | instskip(SKIP_2) | instid1(VALU_DEP_4)
	v_dual_mov_b32 v59, v71 :: v_dual_mov_b32 v61, v87
	v_pk_mul_f32 v[64:65], v[94:95], v[78:79] op_sel:[1,1] op_sel_hi:[0,1]
	v_pk_mul_f32 v[68:69], v[124:125], v[68:69] op_sel_hi:[1,0]
	v_pk_add_f32 v[66:67], v[66:67], v[130:131]
	s_wait_loadcnt 0x2
	v_pk_mul_f32 v[70:71], v[98:99], v[82:83] op_sel:[1,1] op_sel_hi:[0,1]
	s_delay_alu instid0(VALU_DEP_2) | instskip(SKIP_2) | instid1(VALU_DEP_3)
	v_pk_add_f32 v[58:59], v[66:67], v[58:59]
	v_pk_fma_f32 v[66:67], v[94:95], v[78:79], v[64:65] op_sel_hi:[1,0,1]
	v_pk_fma_f32 v[64:65], v[94:95], v[78:79], v[64:65] neg_lo:[0,0,1] neg_hi:[0,0,1]
	v_pk_add_f32 v[58:59], v[58:59], v[60:61]
	s_delay_alu instid0(VALU_DEP_3) | instskip(SKIP_2) | instid1(VALU_DEP_4)
	v_dual_mov_b32 v60, v85 :: v_dual_mov_b32 v65, v67
	v_pk_fma_f32 v[66:67], v[96:97], v[80:81], v[68:69] op_sel_hi:[1,0,1]
	v_pk_fma_f32 v[68:69], v[96:97], v[80:81], v[68:69] neg_lo:[0,0,1] neg_hi:[0,0,1]
	v_pk_add_f32 v[58:59], v[58:59], v[62:63]
	v_pk_fma_f32 v[62:63], v[98:99], v[82:83], v[70:71] op_sel_hi:[1,0,1]
	v_pk_mul_f32 v[60:61], v[126:127], v[60:61] op_sel_hi:[1,0]
	v_mov_b32_e32 v69, v67
	s_wait_loadcnt_dscnt 0x100
	v_pk_mul_f32 v[66:67], v[118:119], v[114:115] op_sel:[1,1] op_sel_hi:[0,1]
	v_pk_add_f32 v[58:59], v[58:59], v[64:65]
	v_pk_fma_f32 v[64:65], v[98:99], v[82:83], v[70:71] neg_lo:[0,0,1] neg_hi:[0,0,1]
	v_mov_b32_e32 v65, v63
	v_pk_fma_f32 v[62:63], v[100:101], v[84:85], v[60:61] op_sel_hi:[1,0,1]
	v_pk_fma_f32 v[60:61], v[100:101], v[84:85], v[60:61] neg_lo:[0,0,1] neg_hi:[0,0,1]
	v_pk_add_f32 v[58:59], v[58:59], v[68:69]
	s_delay_alu instid0(VALU_DEP_3) | instskip(SKIP_1) | instid1(VALU_DEP_3)
	v_mov_b32_e32 v61, v63
	v_pk_fma_f32 v[62:63], v[118:119], v[114:115], v[66:67] op_sel_hi:[1,0,1]
	v_pk_add_f32 v[58:59], v[58:59], v[64:65]
	v_pk_fma_f32 v[64:65], v[118:119], v[114:115], v[66:67] neg_lo:[0,0,1] neg_hi:[0,0,1]
	s_delay_alu instid0(VALU_DEP_3) | instskip(NEXT) | instid1(VALU_DEP_3)
	v_mov_b32_e32 v65, v63
	v_pk_add_f32 v[58:59], v[58:59], v[60:61]
	s_delay_alu instid0(VALU_DEP_1) | instskip(SKIP_1) | instid1(VALU_DEP_1)
	v_pk_add_f32 v[58:59], v[58:59], v[64:65]
	s_wait_loadcnt 0x0
	v_pk_add_f32 v[58:59], v[116:117], v[58:59] neg_lo:[0,1] neg_hi:[0,1]
	scratch_store_b64 off, v[58:59], off offset:96
	s_wait_xcnt 0x0
	v_cmpx_lt_u32_e32 11, v0
	s_cbranch_execz .LBB27_159
; %bb.158:
	scratch_load_b64 v[58:59], off, off offset:88
	v_mov_b64_e32 v[60:61], 0
	scratch_store_b64 off, v[60:61], off offset:88
	s_wait_loadcnt 0x0
	ds_store_b64 v1, v[58:59]
.LBB27_159:
	s_wait_xcnt 0x0
	s_or_b32 exec_lo, exec_lo, s0
	s_wait_storecnt_dscnt 0x0
	s_barrier_signal -1
	s_barrier_wait -1
	s_clause 0x8
	scratch_load_b128 v[58:61], off, off offset:96
	scratch_load_b128 v[62:65], off, off offset:112
	;; [unrolled: 1-line block ×8, first 2 shown]
	scratch_load_b64 v[122:123], off, off offset:88
	ds_load_b128 v[90:93], v5 offset:384
	ds_load_b128 v[94:97], v5 offset:400
	;; [unrolled: 1-line block ×8, first 2 shown]
	s_mov_b32 s0, exec_lo
	s_wait_dscnt 0x7
	v_dual_mov_b32 v124, v93 :: v_dual_mov_b32 v125, v92
	s_wait_dscnt 0x6
	v_dual_mov_b32 v126, v97 :: v_dual_mov_b32 v127, v96
	;; [unrolled: 2-line block ×4, first 2 shown]
	s_wait_loadcnt_dscnt 0x803
	v_dual_mul_f32 v5, v106, v59 :: v_dual_mul_f32 v7, v108, v61
	v_dual_mul_f32 v19, v107, v59 :: v_dual_mul_f32 v21, v109, v61
	s_wait_loadcnt_dscnt 0x702
	v_dual_mul_f32 v11, v110, v63 :: v_dual_mul_f32 v13, v112, v65
	s_delay_alu instid0(VALU_DEP_2) | instskip(SKIP_3) | instid1(VALU_DEP_3)
	v_dual_fmac_f32 v5, v107, v58 :: v_dual_fma_f32 v19, v106, v58, -v19
	v_dual_mul_f32 v23, v111, v63 :: v_dual_mul_f32 v25, v113, v65
	s_wait_loadcnt_dscnt 0x500
	v_dual_mul_f32 v31, v119, v71 :: v_dual_fmac_f32 v7, v109, v60
	v_dual_fma_f32 v21, v108, v60, -v21 :: v_dual_add_f32 v5, 0, v5
	v_dual_add_f32 v19, 0, v19 :: v_dual_mul_f32 v33, v121, v73
	v_fmac_f32_e32 v11, v111, v62
	s_delay_alu instid0(VALU_DEP_3) | instskip(NEXT) | instid1(VALU_DEP_3)
	v_dual_fma_f32 v23, v110, v62, -v23 :: v_dual_add_f32 v5, v5, v7
	v_dual_add_f32 v7, v19, v21 :: v_dual_mul_f32 v15, v114, v67
	v_dual_mul_f32 v17, v116, v69 :: v_dual_mul_f32 v27, v115, v67
	v_mul_f32_e32 v29, v117, v69
	s_delay_alu instid0(VALU_DEP_3) | instskip(SKIP_3) | instid1(VALU_DEP_2)
	v_dual_fmac_f32 v13, v113, v64 :: v_dual_add_f32 v7, v7, v23
	v_dual_fma_f32 v19, v112, v64, -v25 :: v_dual_add_f32 v5, v5, v11
	s_wait_loadcnt 0x4
	v_dual_mov_b32 v60, v77 :: v_dual_fmac_f32 v15, v115, v66
	v_dual_fma_f32 v11, v114, v66, -v27 :: v_dual_add_f32 v7, v7, v19
	v_fmac_f32_e32 v17, v117, v68
	v_dual_add_f32 v5, v5, v13 :: v_dual_mul_f32 v133, v118, v71
	v_mul_f32_e32 v135, v120, v73
	s_delay_alu instid0(VALU_DEP_4)
	v_dual_fma_f32 v13, v116, v68, -v29 :: v_dual_add_f32 v7, v7, v11
	s_wait_loadcnt 0x3
	v_mov_b32_e32 v64, v81
	v_add_f32_e32 v5, v5, v15
	v_pk_mul_f32 v[58:59], v[90:91], v[74:75] op_sel:[1,1] op_sel_hi:[0,1]
	v_dual_fmac_f32 v133, v119, v70 :: v_dual_fma_f32 v132, v118, v70, -v31
	v_dual_add_f32 v66, v7, v13 :: v_dual_fmac_f32 v135, v121, v72
	s_delay_alu instid0(VALU_DEP_4) | instskip(NEXT) | instid1(VALU_DEP_4)
	v_dual_add_f32 v67, v5, v17 :: v_dual_fma_f32 v134, v120, v72, -v33
	v_pk_fma_f32 v[68:69], v[90:91], v[74:75], v[58:59] op_sel_hi:[1,0,1]
	v_pk_mul_f32 v[60:61], v[124:125], v[60:61] op_sel_hi:[1,0]
	v_pk_fma_f32 v[58:59], v[90:91], v[74:75], v[58:59] neg_lo:[0,0,1] neg_hi:[0,0,1]
	s_delay_alu instid0(VALU_DEP_4)
	v_pk_add_f32 v[66:67], v[66:67], v[132:133]
	v_pk_mul_f32 v[62:63], v[94:95], v[78:79] op_sel:[1,1] op_sel_hi:[0,1]
	v_mov_b32_e32 v59, v69
	v_pk_fma_f32 v[68:69], v[92:93], v[76:77], v[60:61] op_sel_hi:[1,0,1]
	v_pk_fma_f32 v[60:61], v[92:93], v[76:77], v[60:61] neg_lo:[0,0,1] neg_hi:[0,0,1]
	v_pk_add_f32 v[66:67], v[66:67], v[134:135]
	v_pk_fma_f32 v[72:73], v[94:95], v[78:79], v[62:63] op_sel_hi:[1,0,1]
	v_pk_mul_f32 v[64:65], v[126:127], v[64:65] op_sel_hi:[1,0]
	v_mov_b32_e32 v61, v69
	s_wait_loadcnt 0x2
	v_pk_mul_f32 v[70:71], v[98:99], v[82:83] op_sel:[1,1] op_sel_hi:[0,1]
	v_pk_add_f32 v[58:59], v[66:67], v[58:59]
	v_mov_b32_e32 v66, v85
	v_pk_fma_f32 v[62:63], v[94:95], v[78:79], v[62:63] neg_lo:[0,0,1] neg_hi:[0,0,1]
	v_mov_b32_e32 v63, v73
	v_pk_fma_f32 v[68:69], v[96:97], v[80:81], v[64:65] op_sel_hi:[1,0,1]
	v_pk_add_f32 v[58:59], v[58:59], v[60:61]
	v_pk_fma_f32 v[60:61], v[98:99], v[82:83], v[70:71] op_sel_hi:[1,0,1]
	v_pk_mul_f32 v[66:67], v[128:129], v[66:67] op_sel_hi:[1,0]
	v_pk_fma_f32 v[64:65], v[96:97], v[80:81], v[64:65] neg_lo:[0,0,1] neg_hi:[0,0,1]
	v_mov_b32_e32 v65, v69
	v_pk_add_f32 v[58:59], v[58:59], v[62:63]
	v_pk_fma_f32 v[68:69], v[98:99], v[82:83], v[70:71] neg_lo:[0,0,1] neg_hi:[0,0,1]
	v_mov_b32_e32 v69, v61
	v_pk_fma_f32 v[60:61], v[100:101], v[84:85], v[66:67] op_sel_hi:[1,0,1]
	s_wait_loadcnt 0x1
	v_pk_mul_f32 v[62:63], v[102:103], v[86:87] op_sel:[1,1] op_sel_hi:[0,1]
	v_pk_add_f32 v[58:59], v[58:59], v[64:65]
	v_mov_b32_e32 v60, v89
	v_pk_fma_f32 v[66:67], v[100:101], v[84:85], v[66:67] neg_lo:[0,0,1] neg_hi:[0,0,1]
	v_mov_b32_e32 v67, v61
	v_pk_fma_f32 v[64:65], v[102:103], v[86:87], v[62:63] op_sel_hi:[1,0,1]
	v_pk_add_f32 v[58:59], v[58:59], v[68:69]
	v_pk_mul_f32 v[60:61], v[130:131], v[60:61] op_sel_hi:[1,0]
	v_pk_fma_f32 v[62:63], v[102:103], v[86:87], v[62:63] neg_lo:[0,0,1] neg_hi:[0,0,1]
	s_delay_alu instid0(VALU_DEP_4) | instskip(NEXT) | instid1(VALU_DEP_4)
	v_mov_b32_e32 v63, v65
	v_pk_add_f32 v[58:59], v[58:59], v[66:67]
	s_delay_alu instid0(VALU_DEP_4) | instskip(SKIP_1) | instid1(VALU_DEP_2)
	v_pk_fma_f32 v[64:65], v[104:105], v[88:89], v[60:61] op_sel_hi:[1,0,1]
	v_pk_fma_f32 v[60:61], v[104:105], v[88:89], v[60:61] neg_lo:[0,0,1] neg_hi:[0,0,1]
	v_mov_b32_e32 v61, v65
	s_delay_alu instid0(VALU_DEP_4) | instskip(NEXT) | instid1(VALU_DEP_1)
	v_pk_add_f32 v[58:59], v[58:59], v[62:63]
	v_pk_add_f32 v[58:59], v[58:59], v[60:61]
	s_wait_loadcnt 0x0
	s_delay_alu instid0(VALU_DEP_1)
	v_pk_add_f32 v[58:59], v[122:123], v[58:59] neg_lo:[0,1] neg_hi:[0,1]
	scratch_store_b64 off, v[58:59], off offset:88
	s_wait_xcnt 0x0
	v_cmpx_lt_u32_e32 10, v0
	s_cbranch_execz .LBB27_161
; %bb.160:
	scratch_load_b64 v[58:59], off, off offset:80
	v_mov_b64_e32 v[60:61], 0
	scratch_store_b64 off, v[60:61], off offset:80
	s_wait_loadcnt 0x0
	ds_store_b64 v1, v[58:59]
.LBB27_161:
	s_wait_xcnt 0x0
	s_or_b32 exec_lo, exec_lo, s0
	s_wait_storecnt_dscnt 0x0
	s_barrier_signal -1
	s_barrier_wait -1
	s_clause 0x9
	scratch_load_b128 v[58:61], off, off offset:88
	scratch_load_b128 v[62:65], off, off offset:104
	;; [unrolled: 1-line block ×8, first 2 shown]
	scratch_load_b64 v[122:123], off, off offset:216
	scratch_load_b64 v[124:125], off, off offset:80
	v_mov_b32_e32 v5, 0
	ds_load_2addr_b64 v[90:93], v5 offset0:47 offset1:48
	ds_load_2addr_b64 v[94:97], v5 offset0:49 offset1:50
	;; [unrolled: 1-line block ×8, first 2 shown]
	ds_load_b64 v[126:127], v5 offset:440
	s_mov_b32 s0, exec_lo
	s_wait_dscnt 0x7
	v_dual_mov_b32 v129, v92 :: v_dual_mov_b32 v130, v97
	s_wait_dscnt 0x6
	v_dual_mov_b32 v131, v96 :: v_dual_mov_b32 v132, v101
	;; [unrolled: 2-line block ×3, first 2 shown]
	v_dual_mov_b32 v133, v100 :: v_dual_mov_b32 v134, v105
	s_wait_loadcnt_dscnt 0x904
	v_dual_mul_f32 v7, v106, v59 :: v_dual_mul_f32 v23, v107, v59
	v_dual_mul_f32 v25, v109, v61 :: v_dual_mul_f32 v11, v108, v61
	s_wait_loadcnt_dscnt 0x803
	v_mul_f32_e32 v13, v110, v63
	s_wait_loadcnt_dscnt 0x601
	v_dual_mul_f32 v35, v119, v71 :: v_dual_fma_f32 v23, v106, v58, -v23
	v_dual_fmac_f32 v7, v107, v58 :: v_dual_mul_f32 v37, v121, v73
	v_dual_mul_f32 v27, v111, v63 :: v_dual_mul_f32 v29, v113, v65
	v_dual_fmac_f32 v11, v109, v60 :: v_dual_fma_f32 v25, v108, v60, -v25
	s_delay_alu instid0(VALU_DEP_3) | instskip(NEXT) | instid1(VALU_DEP_3)
	v_dual_add_f32 v7, 0, v7 :: v_dual_fmac_f32 v13, v111, v62
	v_dual_add_f32 v23, 0, v23 :: v_dual_fma_f32 v27, v110, v62, -v27
	v_dual_mul_f32 v15, v112, v65 :: v_dual_mul_f32 v17, v114, v67
	s_delay_alu instid0(VALU_DEP_3) | instskip(NEXT) | instid1(VALU_DEP_3)
	v_add_f32_e32 v7, v7, v11
	v_dual_add_f32 v11, v23, v25 :: v_dual_fma_f32 v23, v112, v64, -v29
	v_dual_mul_f32 v31, v115, v67 :: v_dual_mul_f32 v33, v117, v69
	s_delay_alu instid0(VALU_DEP_3) | instskip(SKIP_1) | instid1(VALU_DEP_3)
	v_dual_fmac_f32 v15, v113, v64 :: v_dual_add_f32 v7, v7, v13
	s_wait_loadcnt 0x4
	v_dual_add_f32 v11, v11, v27 :: v_dual_mov_b32 v62, v81
	v_dual_mul_f32 v19, v116, v69 :: v_dual_mul_f32 v21, v118, v71
	v_dual_fmac_f32 v17, v115, v66 :: v_dual_fma_f32 v13, v114, v66, -v31
	v_dual_add_f32 v7, v7, v15 :: v_dual_fma_f32 v15, v116, v68, -v33
	s_delay_alu instid0(VALU_DEP_4) | instskip(SKIP_2) | instid1(VALU_DEP_4)
	v_dual_add_f32 v11, v11, v23 :: v_dual_mul_f32 v137, v120, v73
	v_mul_f32_e32 v139, v90, v75
	v_pk_mul_f32 v[60:61], v[94:95], v[78:79] op_sel:[1,1] op_sel_hi:[0,1]
	v_dual_fmac_f32 v19, v117, v68 :: v_dual_add_f32 v7, v7, v17
	s_delay_alu instid0(VALU_DEP_4) | instskip(SKIP_4) | instid1(VALU_DEP_3)
	v_dual_fmac_f32 v137, v121, v72 :: v_dual_add_f32 v11, v11, v13
	v_dual_fma_f32 v136, v120, v72, -v37 :: v_dual_mul_f32 v39, v91, v75
	v_dual_mov_b32 v58, v77 :: v_dual_fmac_f32 v21, v119, v70
	s_wait_loadcnt 0x3
	v_dual_mov_b32 v68, v85 :: v_dual_fma_f32 v13, v118, v70, -v35
	v_dual_add_f32 v7, v7, v19 :: v_dual_fma_f32 v138, v90, v74, -v39
	v_pk_fma_f32 v[72:73], v[94:95], v[78:79], v[60:61] op_sel_hi:[1,0,1]
	v_add_f32_e32 v11, v11, v15
	v_pk_mul_f32 v[62:63], v[130:131], v[62:63] op_sel_hi:[1,0]
	v_pk_fma_f32 v[60:61], v[94:95], v[78:79], v[60:61] neg_lo:[0,0,1] neg_hi:[0,0,1]
	v_pk_mul_f32 v[58:59], v[128:129], v[58:59] op_sel_hi:[1,0]
	s_delay_alu instid0(VALU_DEP_4) | instskip(NEXT) | instid1(VALU_DEP_4)
	v_dual_mov_b32 v61, v73 :: v_dual_add_f32 v66, v11, v13
	v_pk_fma_f32 v[72:73], v[96:97], v[80:81], v[62:63] op_sel_hi:[1,0,1]
	v_add_f32_e32 v67, v7, v21
	v_pk_fma_f32 v[62:63], v[96:97], v[80:81], v[62:63] neg_lo:[0,0,1] neg_hi:[0,0,1]
	v_fmac_f32_e32 v139, v91, v74
	v_pk_fma_f32 v[70:71], v[92:93], v[76:77], v[58:59] op_sel_hi:[1,0,1]
	v_mov_b32_e32 v63, v73
	v_pk_add_f32 v[66:67], v[66:67], v[136:137]
	v_pk_fma_f32 v[58:59], v[92:93], v[76:77], v[58:59] neg_lo:[0,0,1] neg_hi:[0,0,1]
	v_pk_mul_f32 v[64:65], v[98:99], v[82:83] op_sel:[1,1] op_sel_hi:[0,1]
	v_mov_b32_e32 v59, v71
	v_pk_mul_f32 v[68:69], v[132:133], v[68:69] op_sel_hi:[1,0]
	v_pk_add_f32 v[66:67], v[66:67], v[138:139]
	s_wait_loadcnt 0x2
	v_pk_mul_f32 v[70:71], v[102:103], v[86:87] op_sel:[1,1] op_sel_hi:[0,1]
	s_delay_alu instid0(VALU_DEP_2) | instskip(SKIP_2) | instid1(VALU_DEP_3)
	v_pk_add_f32 v[58:59], v[66:67], v[58:59]
	v_pk_fma_f32 v[66:67], v[98:99], v[82:83], v[64:65] op_sel_hi:[1,0,1]
	v_pk_fma_f32 v[64:65], v[98:99], v[82:83], v[64:65] neg_lo:[0,0,1] neg_hi:[0,0,1]
	v_pk_add_f32 v[58:59], v[58:59], v[60:61]
	s_delay_alu instid0(VALU_DEP_3) | instskip(SKIP_2) | instid1(VALU_DEP_4)
	v_dual_mov_b32 v60, v89 :: v_dual_mov_b32 v65, v67
	v_pk_fma_f32 v[66:67], v[100:101], v[84:85], v[68:69] op_sel_hi:[1,0,1]
	v_pk_fma_f32 v[68:69], v[100:101], v[84:85], v[68:69] neg_lo:[0,0,1] neg_hi:[0,0,1]
	v_pk_add_f32 v[58:59], v[58:59], v[62:63]
	v_pk_fma_f32 v[62:63], v[102:103], v[86:87], v[70:71] op_sel_hi:[1,0,1]
	v_pk_mul_f32 v[60:61], v[134:135], v[60:61] op_sel_hi:[1,0]
	v_mov_b32_e32 v69, v67
	s_wait_loadcnt_dscnt 0x100
	v_pk_mul_f32 v[66:67], v[126:127], v[122:123] op_sel:[1,1] op_sel_hi:[0,1]
	v_pk_add_f32 v[58:59], v[58:59], v[64:65]
	v_pk_fma_f32 v[64:65], v[102:103], v[86:87], v[70:71] neg_lo:[0,0,1] neg_hi:[0,0,1]
	v_mov_b32_e32 v65, v63
	v_pk_fma_f32 v[62:63], v[104:105], v[88:89], v[60:61] op_sel_hi:[1,0,1]
	v_pk_fma_f32 v[60:61], v[104:105], v[88:89], v[60:61] neg_lo:[0,0,1] neg_hi:[0,0,1]
	v_pk_add_f32 v[58:59], v[58:59], v[68:69]
	s_delay_alu instid0(VALU_DEP_3) | instskip(SKIP_1) | instid1(VALU_DEP_3)
	v_mov_b32_e32 v61, v63
	v_pk_fma_f32 v[62:63], v[126:127], v[122:123], v[66:67] op_sel_hi:[1,0,1]
	v_pk_add_f32 v[58:59], v[58:59], v[64:65]
	v_pk_fma_f32 v[64:65], v[126:127], v[122:123], v[66:67] neg_lo:[0,0,1] neg_hi:[0,0,1]
	s_delay_alu instid0(VALU_DEP_3) | instskip(NEXT) | instid1(VALU_DEP_3)
	v_mov_b32_e32 v65, v63
	v_pk_add_f32 v[58:59], v[58:59], v[60:61]
	s_delay_alu instid0(VALU_DEP_1) | instskip(SKIP_1) | instid1(VALU_DEP_1)
	v_pk_add_f32 v[58:59], v[58:59], v[64:65]
	s_wait_loadcnt 0x0
	v_pk_add_f32 v[58:59], v[124:125], v[58:59] neg_lo:[0,1] neg_hi:[0,1]
	scratch_store_b64 off, v[58:59], off offset:80
	s_wait_xcnt 0x0
	v_cmpx_lt_u32_e32 9, v0
	s_cbranch_execz .LBB27_163
; %bb.162:
	scratch_load_b64 v[58:59], off, off offset:72
	v_mov_b64_e32 v[60:61], 0
	scratch_store_b64 off, v[60:61], off offset:72
	s_wait_loadcnt 0x0
	ds_store_b64 v1, v[58:59]
.LBB27_163:
	s_wait_xcnt 0x0
	s_or_b32 exec_lo, exec_lo, s0
	s_wait_storecnt_dscnt 0x0
	s_barrier_signal -1
	s_barrier_wait -1
	s_clause 0x9
	scratch_load_b128 v[58:61], off, off offset:80
	scratch_load_b128 v[62:65], off, off offset:96
	;; [unrolled: 1-line block ×9, first 2 shown]
	scratch_load_b64 v[130:131], off, off offset:72
	ds_load_b128 v[94:97], v5 offset:384
	ds_load_b128 v[98:101], v5 offset:400
	;; [unrolled: 1-line block ×9, first 2 shown]
	s_mov_b32 s0, exec_lo
	s_wait_dscnt 0x8
	v_dual_mov_b32 v132, v97 :: v_dual_mov_b32 v133, v96
	s_wait_dscnt 0x7
	v_dual_mov_b32 v134, v101 :: v_dual_mov_b32 v135, v100
	;; [unrolled: 2-line block ×4, first 2 shown]
	s_wait_loadcnt_dscnt 0x904
	v_dual_mul_f32 v5, v110, v59 :: v_dual_mul_f32 v7, v112, v61
	v_dual_mul_f32 v23, v111, v59 :: v_dual_mul_f32 v25, v113, v61
	s_wait_loadcnt_dscnt 0x803
	v_dual_mul_f32 v11, v114, v63 :: v_dual_mul_f32 v13, v116, v65
	s_delay_alu instid0(VALU_DEP_2) | instskip(SKIP_3) | instid1(VALU_DEP_3)
	v_dual_fmac_f32 v5, v111, v58 :: v_dual_fma_f32 v23, v110, v58, -v23
	v_dual_mul_f32 v27, v115, v63 :: v_dual_mul_f32 v29, v117, v65
	s_wait_loadcnt_dscnt 0x601
	v_dual_mul_f32 v35, v123, v71 :: v_dual_fmac_f32 v7, v113, v60
	v_dual_fma_f32 v25, v112, v60, -v25 :: v_dual_add_f32 v5, 0, v5
	v_dual_add_f32 v23, 0, v23 :: v_dual_mul_f32 v37, v125, v73
	v_fmac_f32_e32 v11, v115, v62
	s_delay_alu instid0(VALU_DEP_3) | instskip(NEXT) | instid1(VALU_DEP_3)
	v_dual_fma_f32 v27, v114, v62, -v27 :: v_dual_add_f32 v5, v5, v7
	v_dual_add_f32 v7, v23, v25 :: v_dual_mul_f32 v15, v118, v67
	v_dual_mul_f32 v17, v120, v69 :: v_dual_mul_f32 v31, v119, v67
	s_wait_loadcnt_dscnt 0x500
	v_dual_mul_f32 v33, v121, v69 :: v_dual_mul_f32 v23, v127, v75
	v_fmac_f32_e32 v13, v117, v64
	v_dual_fma_f32 v25, v116, v64, -v29 :: v_dual_add_f32 v5, v5, v11
	v_dual_add_f32 v7, v7, v27 :: v_dual_mul_f32 v11, v129, v77
	v_fmac_f32_e32 v15, v119, v66
	s_delay_alu instid0(VALU_DEP_3) | instskip(NEXT) | instid1(VALU_DEP_3)
	v_dual_fma_f32 v27, v118, v66, -v31 :: v_dual_add_f32 v5, v5, v13
	v_dual_add_f32 v7, v7, v25 :: v_dual_mul_f32 v19, v122, v71
	v_dual_mul_f32 v21, v124, v73 :: v_dual_fmac_f32 v17, v121, v68
	s_delay_alu instid0(VALU_DEP_3) | instskip(SKIP_1) | instid1(VALU_DEP_3)
	v_dual_fma_f32 v13, v120, v68, -v33 :: v_dual_add_f32 v5, v5, v15
	s_wait_loadcnt 0x4
	v_dual_add_f32 v7, v7, v27 :: v_dual_mov_b32 v60, v81
	v_fmac_f32_e32 v19, v123, v70
	s_delay_alu instid0(VALU_DEP_3) | instskip(NEXT) | instid1(VALU_DEP_3)
	v_dual_fma_f32 v15, v122, v70, -v35 :: v_dual_add_f32 v5, v5, v17
	v_dual_add_f32 v7, v7, v13 :: v_dual_fmac_f32 v21, v125, v72
	v_dual_mul_f32 v141, v126, v75 :: v_dual_mul_f32 v143, v128, v77
	s_delay_alu instid0(VALU_DEP_3) | instskip(SKIP_1) | instid1(VALU_DEP_3)
	v_dual_fma_f32 v13, v124, v72, -v37 :: v_dual_add_f32 v5, v5, v19
	s_wait_loadcnt 0x3
	v_dual_add_f32 v7, v7, v15 :: v_dual_mov_b32 v64, v85
	v_pk_mul_f32 v[58:59], v[94:95], v[78:79] op_sel:[1,1] op_sel_hi:[0,1]
	v_dual_fmac_f32 v141, v127, v74 :: v_dual_fma_f32 v140, v126, v74, -v23
	v_dual_add_f32 v67, v5, v21 :: v_dual_fma_f32 v142, v128, v76, -v11
	s_delay_alu instid0(VALU_DEP_4) | instskip(NEXT) | instid1(VALU_DEP_4)
	v_dual_add_f32 v66, v7, v13 :: v_dual_fmac_f32 v143, v129, v76
	v_pk_fma_f32 v[68:69], v[94:95], v[78:79], v[58:59] op_sel_hi:[1,0,1]
	v_pk_mul_f32 v[60:61], v[132:133], v[60:61] op_sel_hi:[1,0]
	v_pk_fma_f32 v[58:59], v[94:95], v[78:79], v[58:59] neg_lo:[0,0,1] neg_hi:[0,0,1]
	s_delay_alu instid0(VALU_DEP_4)
	v_pk_add_f32 v[66:67], v[66:67], v[140:141]
	v_pk_mul_f32 v[62:63], v[98:99], v[82:83] op_sel:[1,1] op_sel_hi:[0,1]
	v_mov_b32_e32 v59, v69
	v_pk_fma_f32 v[68:69], v[96:97], v[80:81], v[60:61] op_sel_hi:[1,0,1]
	v_pk_fma_f32 v[60:61], v[96:97], v[80:81], v[60:61] neg_lo:[0,0,1] neg_hi:[0,0,1]
	v_pk_add_f32 v[66:67], v[66:67], v[142:143]
	v_pk_fma_f32 v[72:73], v[98:99], v[82:83], v[62:63] op_sel_hi:[1,0,1]
	v_pk_mul_f32 v[64:65], v[134:135], v[64:65] op_sel_hi:[1,0]
	v_mov_b32_e32 v61, v69
	s_wait_loadcnt 0x2
	v_pk_mul_f32 v[70:71], v[102:103], v[86:87] op_sel:[1,1] op_sel_hi:[0,1]
	v_pk_add_f32 v[58:59], v[66:67], v[58:59]
	v_mov_b32_e32 v66, v89
	v_pk_fma_f32 v[62:63], v[98:99], v[82:83], v[62:63] neg_lo:[0,0,1] neg_hi:[0,0,1]
	v_mov_b32_e32 v63, v73
	v_pk_fma_f32 v[68:69], v[100:101], v[84:85], v[64:65] op_sel_hi:[1,0,1]
	v_pk_add_f32 v[58:59], v[58:59], v[60:61]
	v_pk_fma_f32 v[60:61], v[102:103], v[86:87], v[70:71] op_sel_hi:[1,0,1]
	v_pk_mul_f32 v[66:67], v[136:137], v[66:67] op_sel_hi:[1,0]
	v_pk_fma_f32 v[64:65], v[100:101], v[84:85], v[64:65] neg_lo:[0,0,1] neg_hi:[0,0,1]
	v_mov_b32_e32 v65, v69
	v_pk_add_f32 v[58:59], v[58:59], v[62:63]
	v_pk_fma_f32 v[68:69], v[102:103], v[86:87], v[70:71] neg_lo:[0,0,1] neg_hi:[0,0,1]
	v_mov_b32_e32 v69, v61
	v_pk_fma_f32 v[60:61], v[104:105], v[88:89], v[66:67] op_sel_hi:[1,0,1]
	s_wait_loadcnt 0x1
	v_pk_mul_f32 v[62:63], v[106:107], v[90:91] op_sel:[1,1] op_sel_hi:[0,1]
	v_pk_add_f32 v[58:59], v[58:59], v[64:65]
	v_mov_b32_e32 v60, v93
	v_pk_fma_f32 v[66:67], v[104:105], v[88:89], v[66:67] neg_lo:[0,0,1] neg_hi:[0,0,1]
	v_mov_b32_e32 v67, v61
	v_pk_fma_f32 v[64:65], v[106:107], v[90:91], v[62:63] op_sel_hi:[1,0,1]
	v_pk_add_f32 v[58:59], v[58:59], v[68:69]
	v_pk_mul_f32 v[60:61], v[138:139], v[60:61] op_sel_hi:[1,0]
	v_pk_fma_f32 v[62:63], v[106:107], v[90:91], v[62:63] neg_lo:[0,0,1] neg_hi:[0,0,1]
	s_delay_alu instid0(VALU_DEP_4) | instskip(NEXT) | instid1(VALU_DEP_4)
	v_mov_b32_e32 v63, v65
	v_pk_add_f32 v[58:59], v[58:59], v[66:67]
	s_delay_alu instid0(VALU_DEP_4) | instskip(SKIP_1) | instid1(VALU_DEP_2)
	v_pk_fma_f32 v[64:65], v[108:109], v[92:93], v[60:61] op_sel_hi:[1,0,1]
	v_pk_fma_f32 v[60:61], v[108:109], v[92:93], v[60:61] neg_lo:[0,0,1] neg_hi:[0,0,1]
	v_mov_b32_e32 v61, v65
	s_delay_alu instid0(VALU_DEP_4) | instskip(NEXT) | instid1(VALU_DEP_1)
	v_pk_add_f32 v[58:59], v[58:59], v[62:63]
	v_pk_add_f32 v[58:59], v[58:59], v[60:61]
	s_wait_loadcnt 0x0
	s_delay_alu instid0(VALU_DEP_1)
	v_pk_add_f32 v[58:59], v[130:131], v[58:59] neg_lo:[0,1] neg_hi:[0,1]
	scratch_store_b64 off, v[58:59], off offset:72
	s_wait_xcnt 0x0
	v_cmpx_lt_u32_e32 8, v0
	s_cbranch_execz .LBB27_165
; %bb.164:
	scratch_load_b64 v[58:59], off, off offset:64
	v_mov_b64_e32 v[60:61], 0
	scratch_store_b64 off, v[60:61], off offset:64
	s_wait_loadcnt 0x0
	ds_store_b64 v1, v[58:59]
.LBB27_165:
	s_wait_xcnt 0x0
	s_or_b32 exec_lo, exec_lo, s0
	s_wait_storecnt_dscnt 0x0
	s_barrier_signal -1
	s_barrier_wait -1
	s_clause 0xa
	scratch_load_b128 v[58:61], off, off offset:72
	scratch_load_b128 v[62:65], off, off offset:88
	;; [unrolled: 1-line block ×9, first 2 shown]
	scratch_load_b64 v[130:131], off, off offset:216
	scratch_load_b64 v[132:133], off, off offset:64
	v_mov_b32_e32 v5, 0
	ds_load_2addr_b64 v[94:97], v5 offset0:47 offset1:48
	ds_load_2addr_b64 v[98:101], v5 offset0:49 offset1:50
	;; [unrolled: 1-line block ×9, first 2 shown]
	ds_load_b64 v[134:135], v5 offset:440
	s_mov_b32 s0, exec_lo
	s_wait_dscnt 0x8
	v_dual_mov_b32 v137, v96 :: v_dual_mov_b32 v138, v101
	s_wait_dscnt 0x7
	v_dual_mov_b32 v139, v100 :: v_dual_mov_b32 v140, v105
	;; [unrolled: 2-line block ×3, first 2 shown]
	v_dual_mov_b32 v141, v104 :: v_dual_mov_b32 v142, v109
	s_wait_loadcnt_dscnt 0xa05
	v_dual_mul_f32 v7, v110, v59 :: v_dual_mul_f32 v27, v111, v59
	v_dual_mul_f32 v29, v113, v61 :: v_dual_mul_f32 v11, v112, v61
	s_wait_loadcnt_dscnt 0x904
	v_mul_f32_e32 v13, v114, v63
	s_wait_loadcnt_dscnt 0x702
	v_dual_mul_f32 v39, v123, v71 :: v_dual_fma_f32 v27, v110, v58, -v27
	v_dual_fmac_f32 v7, v111, v58 :: v_dual_mul_f32 v41, v125, v73
	v_dual_mul_f32 v31, v115, v63 :: v_dual_mul_f32 v33, v117, v65
	v_dual_fmac_f32 v11, v113, v60 :: v_dual_fma_f32 v29, v112, v60, -v29
	s_delay_alu instid0(VALU_DEP_3) | instskip(NEXT) | instid1(VALU_DEP_3)
	v_dual_add_f32 v7, 0, v7 :: v_dual_fmac_f32 v13, v115, v62
	v_dual_add_f32 v27, 0, v27 :: v_dual_fma_f32 v31, v114, v62, -v31
	v_dual_mul_f32 v15, v116, v65 :: v_dual_mul_f32 v17, v118, v67
	s_delay_alu instid0(VALU_DEP_3) | instskip(NEXT) | instid1(VALU_DEP_3)
	v_add_f32_e32 v7, v7, v11
	v_dual_add_f32 v11, v27, v29 :: v_dual_fma_f32 v29, v116, v64, -v33
	v_dual_mul_f32 v35, v119, v67 :: v_dual_mul_f32 v37, v121, v69
	s_delay_alu instid0(VALU_DEP_3) | instskip(SKIP_1) | instid1(VALU_DEP_3)
	v_dual_fmac_f32 v15, v117, v64 :: v_dual_add_f32 v7, v7, v13
	s_wait_loadcnt 0x5
	v_dual_add_f32 v11, v11, v31 :: v_dual_mov_b32 v58, v81
	v_dual_mul_f32 v19, v120, v69 :: v_dual_mul_f32 v21, v122, v71
	s_wait_loadcnt 0x4
	v_dual_fmac_f32 v17, v119, v66 :: v_dual_mov_b32 v62, v85
	v_dual_fma_f32 v31, v118, v66, -v35 :: v_dual_add_f32 v7, v7, v15
	v_dual_fma_f32 v15, v120, v68, -v37 :: v_dual_add_f32 v11, v11, v29
	s_wait_dscnt 0x1
	v_dual_mul_f32 v23, v124, v73 :: v_dual_mul_f32 v25, v126, v75
	v_dual_mul_f32 v13, v95, v79 :: v_dual_fmac_f32 v19, v121, v68
	s_delay_alu instid0(VALU_DEP_2)
	v_dual_add_f32 v7, v7, v17 :: v_dual_fmac_f32 v23, v125, v72
	v_dual_fma_f32 v17, v122, v70, -v39 :: v_dual_add_f32 v11, v11, v31
	v_dual_mul_f32 v145, v128, v77 :: v_dual_mul_f32 v147, v94, v79
	v_dual_mul_f32 v43, v127, v75 :: v_dual_mul_f32 v27, v129, v77
	v_pk_mul_f32 v[60:61], v[98:99], v[82:83] op_sel:[1,1] op_sel_hi:[0,1]
	v_fmac_f32_e32 v21, v123, v70
	v_add_f32_e32 v7, v7, v19
	v_dual_add_f32 v11, v11, v15 :: v_dual_fmac_f32 v145, v129, v76
	v_fma_f32 v15, v124, v72, -v41
	v_fma_f32 v144, v128, v76, -v27
	v_pk_fma_f32 v[72:73], v[98:99], v[82:83], v[60:61] op_sel_hi:[1,0,1]
	s_delay_alu instid0(VALU_DEP_4)
	v_dual_add_f32 v11, v11, v17 :: v_dual_fma_f32 v146, v94, v78, -v13
	v_dual_fma_f32 v17, v126, v74, -v43 :: v_dual_add_f32 v7, v7, v21
	s_wait_loadcnt 0x3
	v_mov_b32_e32 v68, v89
	v_pk_mul_f32 v[62:63], v[138:139], v[62:63] op_sel_hi:[1,0]
	v_pk_fma_f32 v[60:61], v[98:99], v[82:83], v[60:61] neg_lo:[0,0,1] neg_hi:[0,0,1]
	v_dual_fmac_f32 v25, v127, v74 :: v_dual_mov_b32 v61, v73
	v_add_f32_e32 v11, v11, v15
	s_delay_alu instid0(VALU_DEP_4) | instskip(SKIP_3) | instid1(VALU_DEP_4)
	v_pk_fma_f32 v[72:73], v[100:101], v[84:85], v[62:63] op_sel_hi:[1,0,1]
	v_add_f32_e32 v7, v7, v23
	v_pk_fma_f32 v[62:63], v[100:101], v[84:85], v[62:63] neg_lo:[0,0,1] neg_hi:[0,0,1]
	v_pk_mul_f32 v[58:59], v[136:137], v[58:59] op_sel_hi:[1,0]
	v_dual_add_f32 v66, v11, v17 :: v_dual_mov_b32 v63, v73
	s_delay_alu instid0(VALU_DEP_4) | instskip(SKIP_1) | instid1(VALU_DEP_4)
	v_add_f32_e32 v67, v7, v25
	v_fmac_f32_e32 v147, v95, v78
	v_pk_fma_f32 v[70:71], v[96:97], v[80:81], v[58:59] op_sel_hi:[1,0,1]
	v_pk_fma_f32 v[58:59], v[96:97], v[80:81], v[58:59] neg_lo:[0,0,1] neg_hi:[0,0,1]
	v_pk_mul_f32 v[64:65], v[102:103], v[86:87] op_sel:[1,1] op_sel_hi:[0,1]
	v_pk_add_f32 v[66:67], v[66:67], v[144:145]
	v_pk_mul_f32 v[68:69], v[140:141], v[68:69] op_sel_hi:[1,0]
	v_mov_b32_e32 v59, v71
	s_wait_loadcnt 0x2
	v_pk_mul_f32 v[70:71], v[106:107], v[90:91] op_sel:[1,1] op_sel_hi:[0,1]
	v_pk_add_f32 v[66:67], v[66:67], v[146:147]
	s_delay_alu instid0(VALU_DEP_1) | instskip(SKIP_2) | instid1(VALU_DEP_3)
	v_pk_add_f32 v[58:59], v[66:67], v[58:59]
	v_pk_fma_f32 v[66:67], v[102:103], v[86:87], v[64:65] op_sel_hi:[1,0,1]
	v_pk_fma_f32 v[64:65], v[102:103], v[86:87], v[64:65] neg_lo:[0,0,1] neg_hi:[0,0,1]
	v_pk_add_f32 v[58:59], v[58:59], v[60:61]
	s_delay_alu instid0(VALU_DEP_3) | instskip(SKIP_2) | instid1(VALU_DEP_4)
	v_dual_mov_b32 v60, v93 :: v_dual_mov_b32 v65, v67
	v_pk_fma_f32 v[66:67], v[104:105], v[88:89], v[68:69] op_sel_hi:[1,0,1]
	v_pk_fma_f32 v[68:69], v[104:105], v[88:89], v[68:69] neg_lo:[0,0,1] neg_hi:[0,0,1]
	v_pk_add_f32 v[58:59], v[58:59], v[62:63]
	v_pk_fma_f32 v[62:63], v[106:107], v[90:91], v[70:71] op_sel_hi:[1,0,1]
	v_pk_mul_f32 v[60:61], v[142:143], v[60:61] op_sel_hi:[1,0]
	v_mov_b32_e32 v69, v67
	s_wait_loadcnt_dscnt 0x100
	v_pk_mul_f32 v[66:67], v[134:135], v[130:131] op_sel:[1,1] op_sel_hi:[0,1]
	v_pk_add_f32 v[58:59], v[58:59], v[64:65]
	v_pk_fma_f32 v[64:65], v[106:107], v[90:91], v[70:71] neg_lo:[0,0,1] neg_hi:[0,0,1]
	v_mov_b32_e32 v65, v63
	v_pk_fma_f32 v[62:63], v[108:109], v[92:93], v[60:61] op_sel_hi:[1,0,1]
	v_pk_fma_f32 v[60:61], v[108:109], v[92:93], v[60:61] neg_lo:[0,0,1] neg_hi:[0,0,1]
	v_pk_add_f32 v[58:59], v[58:59], v[68:69]
	s_delay_alu instid0(VALU_DEP_3) | instskip(SKIP_1) | instid1(VALU_DEP_3)
	v_mov_b32_e32 v61, v63
	v_pk_fma_f32 v[62:63], v[134:135], v[130:131], v[66:67] op_sel_hi:[1,0,1]
	v_pk_add_f32 v[58:59], v[58:59], v[64:65]
	v_pk_fma_f32 v[64:65], v[134:135], v[130:131], v[66:67] neg_lo:[0,0,1] neg_hi:[0,0,1]
	s_delay_alu instid0(VALU_DEP_3) | instskip(NEXT) | instid1(VALU_DEP_3)
	v_mov_b32_e32 v65, v63
	v_pk_add_f32 v[58:59], v[58:59], v[60:61]
	s_delay_alu instid0(VALU_DEP_1) | instskip(SKIP_1) | instid1(VALU_DEP_1)
	v_pk_add_f32 v[58:59], v[58:59], v[64:65]
	s_wait_loadcnt 0x0
	v_pk_add_f32 v[58:59], v[132:133], v[58:59] neg_lo:[0,1] neg_hi:[0,1]
	scratch_store_b64 off, v[58:59], off offset:64
	s_wait_xcnt 0x0
	v_cmpx_lt_u32_e32 7, v0
	s_cbranch_execz .LBB27_167
; %bb.166:
	scratch_load_b64 v[58:59], off, off offset:56
	v_mov_b64_e32 v[60:61], 0
	scratch_store_b64 off, v[60:61], off offset:56
	s_wait_loadcnt 0x0
	ds_store_b64 v1, v[58:59]
.LBB27_167:
	s_wait_xcnt 0x0
	s_or_b32 exec_lo, exec_lo, s0
	s_wait_storecnt_dscnt 0x0
	s_barrier_signal -1
	s_barrier_wait -1
	s_clause 0xa
	scratch_load_b128 v[58:61], off, off offset:64
	scratch_load_b128 v[62:65], off, off offset:80
	;; [unrolled: 1-line block ×10, first 2 shown]
	scratch_load_b64 v[138:139], off, off offset:56
	ds_load_b128 v[98:101], v5 offset:384
	ds_load_b128 v[102:105], v5 offset:400
	;; [unrolled: 1-line block ×10, first 2 shown]
	s_mov_b32 s0, exec_lo
	s_wait_dscnt 0x9
	v_dual_mov_b32 v140, v101 :: v_dual_mov_b32 v141, v100
	s_wait_dscnt 0x8
	v_dual_mov_b32 v142, v105 :: v_dual_mov_b32 v143, v104
	;; [unrolled: 2-line block ×4, first 2 shown]
	s_wait_loadcnt_dscnt 0xa05
	v_dual_mul_f32 v5, v114, v59 :: v_dual_mul_f32 v7, v116, v61
	v_dual_mul_f32 v27, v115, v59 :: v_dual_mul_f32 v29, v117, v61
	s_wait_loadcnt_dscnt 0x904
	v_dual_mul_f32 v11, v118, v63 :: v_dual_mul_f32 v13, v120, v65
	s_delay_alu instid0(VALU_DEP_2) | instskip(SKIP_3) | instid1(VALU_DEP_3)
	v_dual_fmac_f32 v5, v115, v58 :: v_dual_fma_f32 v27, v114, v58, -v27
	v_dual_mul_f32 v31, v119, v63 :: v_dual_mul_f32 v33, v121, v65
	s_wait_loadcnt_dscnt 0x702
	v_dual_mul_f32 v39, v127, v71 :: v_dual_fmac_f32 v7, v117, v60
	v_dual_fma_f32 v29, v116, v60, -v29 :: v_dual_add_f32 v5, 0, v5
	v_dual_add_f32 v27, 0, v27 :: v_dual_mul_f32 v41, v129, v73
	v_fmac_f32_e32 v11, v119, v62
	s_delay_alu instid0(VALU_DEP_3) | instskip(NEXT) | instid1(VALU_DEP_3)
	v_dual_fma_f32 v31, v118, v62, -v31 :: v_dual_add_f32 v5, v5, v7
	v_dual_add_f32 v7, v27, v29 :: v_dual_mul_f32 v15, v122, v67
	v_dual_mul_f32 v17, v124, v69 :: v_dual_mul_f32 v35, v123, v67
	s_wait_loadcnt_dscnt 0x601
	v_dual_mul_f32 v37, v125, v69 :: v_dual_mul_f32 v27, v131, v75
	v_fmac_f32_e32 v13, v121, v64
	v_dual_fma_f32 v29, v120, v64, -v33 :: v_dual_add_f32 v5, v5, v11
	v_dual_add_f32 v7, v7, v31 :: v_dual_mul_f32 v11, v133, v77
	v_fmac_f32_e32 v15, v123, v66
	s_delay_alu instid0(VALU_DEP_3) | instskip(NEXT) | instid1(VALU_DEP_3)
	v_dual_fma_f32 v31, v122, v66, -v35 :: v_dual_add_f32 v5, v5, v13
	v_dual_add_f32 v7, v7, v29 :: v_dual_mul_f32 v19, v126, v71
	s_wait_loadcnt_dscnt 0x500
	v_dual_mul_f32 v21, v128, v73 :: v_dual_mul_f32 v13, v135, v79
	v_fmac_f32_e32 v17, v125, v68
	v_dual_fma_f32 v29, v124, v68, -v37 :: v_dual_add_f32 v5, v5, v15
	v_dual_add_f32 v7, v7, v31 :: v_dual_mul_f32 v15, v137, v81
	v_fmac_f32_e32 v19, v127, v70
	s_delay_alu instid0(VALU_DEP_3) | instskip(NEXT) | instid1(VALU_DEP_3)
	v_dual_fma_f32 v31, v126, v70, -v39 :: v_dual_add_f32 v5, v5, v17
	v_dual_add_f32 v7, v7, v29 :: v_dual_mul_f32 v23, v130, v75
	v_dual_mul_f32 v25, v132, v77 :: v_dual_fmac_f32 v21, v129, v72
	s_delay_alu instid0(VALU_DEP_3) | instskip(SKIP_1) | instid1(VALU_DEP_3)
	v_dual_fma_f32 v17, v128, v72, -v41 :: v_dual_add_f32 v5, v5, v19
	s_wait_loadcnt 0x4
	v_dual_add_f32 v7, v7, v31 :: v_dual_mov_b32 v60, v85
	v_fmac_f32_e32 v23, v131, v74
	s_delay_alu instid0(VALU_DEP_3) | instskip(NEXT) | instid1(VALU_DEP_3)
	v_dual_fma_f32 v19, v130, v74, -v27 :: v_dual_add_f32 v5, v5, v21
	v_dual_add_f32 v7, v7, v17 :: v_dual_fmac_f32 v25, v133, v76
	v_dual_mul_f32 v149, v134, v79 :: v_dual_mul_f32 v151, v136, v81
	s_delay_alu instid0(VALU_DEP_3) | instskip(SKIP_1) | instid1(VALU_DEP_3)
	v_dual_fma_f32 v11, v132, v76, -v11 :: v_dual_add_f32 v5, v5, v23
	s_wait_loadcnt 0x3
	v_dual_add_f32 v7, v7, v19 :: v_dual_mov_b32 v64, v89
	v_pk_mul_f32 v[58:59], v[98:99], v[82:83] op_sel:[1,1] op_sel_hi:[0,1]
	s_delay_alu instid0(VALU_DEP_3) | instskip(NEXT) | instid1(VALU_DEP_3)
	v_dual_fmac_f32 v149, v135, v78 :: v_dual_add_f32 v67, v5, v25
	v_dual_fma_f32 v148, v134, v78, -v13 :: v_dual_add_f32 v66, v7, v11
	v_fmac_f32_e32 v151, v137, v80
	s_delay_alu instid0(VALU_DEP_4)
	v_pk_fma_f32 v[68:69], v[98:99], v[82:83], v[58:59] op_sel_hi:[1,0,1]
	v_fma_f32 v150, v136, v80, -v15
	v_pk_mul_f32 v[60:61], v[140:141], v[60:61] op_sel_hi:[1,0]
	v_pk_add_f32 v[66:67], v[66:67], v[148:149]
	v_pk_fma_f32 v[58:59], v[98:99], v[82:83], v[58:59] neg_lo:[0,0,1] neg_hi:[0,0,1]
	v_pk_mul_f32 v[62:63], v[102:103], v[86:87] op_sel:[1,1] op_sel_hi:[0,1]
	v_mov_b32_e32 v59, v69
	v_pk_fma_f32 v[68:69], v[100:101], v[84:85], v[60:61] op_sel_hi:[1,0,1]
	v_pk_add_f32 v[66:67], v[66:67], v[150:151]
	v_pk_fma_f32 v[60:61], v[100:101], v[84:85], v[60:61] neg_lo:[0,0,1] neg_hi:[0,0,1]
	v_pk_fma_f32 v[72:73], v[102:103], v[86:87], v[62:63] op_sel_hi:[1,0,1]
	v_pk_mul_f32 v[64:65], v[142:143], v[64:65] op_sel_hi:[1,0]
	v_mov_b32_e32 v61, v69
	v_pk_add_f32 v[58:59], v[66:67], v[58:59]
	s_wait_loadcnt 0x2
	v_pk_mul_f32 v[70:71], v[106:107], v[90:91] op_sel:[1,1] op_sel_hi:[0,1]
	v_mov_b32_e32 v66, v93
	v_pk_fma_f32 v[62:63], v[102:103], v[86:87], v[62:63] neg_lo:[0,0,1] neg_hi:[0,0,1]
	v_pk_fma_f32 v[68:69], v[104:105], v[88:89], v[64:65] op_sel_hi:[1,0,1]
	v_mov_b32_e32 v63, v73
	v_pk_add_f32 v[58:59], v[58:59], v[60:61]
	v_pk_fma_f32 v[60:61], v[106:107], v[90:91], v[70:71] op_sel_hi:[1,0,1]
	v_pk_mul_f32 v[66:67], v[144:145], v[66:67] op_sel_hi:[1,0]
	v_pk_fma_f32 v[64:65], v[104:105], v[88:89], v[64:65] neg_lo:[0,0,1] neg_hi:[0,0,1]
	v_mov_b32_e32 v65, v69
	v_pk_add_f32 v[58:59], v[58:59], v[62:63]
	v_pk_fma_f32 v[68:69], v[106:107], v[90:91], v[70:71] neg_lo:[0,0,1] neg_hi:[0,0,1]
	v_mov_b32_e32 v69, v61
	v_pk_fma_f32 v[60:61], v[108:109], v[92:93], v[66:67] op_sel_hi:[1,0,1]
	s_wait_loadcnt 0x1
	v_pk_mul_f32 v[62:63], v[110:111], v[94:95] op_sel:[1,1] op_sel_hi:[0,1]
	v_pk_add_f32 v[58:59], v[58:59], v[64:65]
	v_mov_b32_e32 v60, v97
	v_pk_fma_f32 v[66:67], v[108:109], v[92:93], v[66:67] neg_lo:[0,0,1] neg_hi:[0,0,1]
	s_delay_alu instid0(VALU_DEP_4)
	v_pk_fma_f32 v[64:65], v[110:111], v[94:95], v[62:63] op_sel_hi:[1,0,1]
	v_mov_b32_e32 v67, v61
	v_pk_add_f32 v[58:59], v[58:59], v[68:69]
	v_pk_mul_f32 v[60:61], v[146:147], v[60:61] op_sel_hi:[1,0]
	v_pk_fma_f32 v[62:63], v[110:111], v[94:95], v[62:63] neg_lo:[0,0,1] neg_hi:[0,0,1]
	v_mov_b32_e32 v63, v65
	s_delay_alu instid0(VALU_DEP_4) | instskip(NEXT) | instid1(VALU_DEP_4)
	v_pk_add_f32 v[58:59], v[58:59], v[66:67]
	v_pk_fma_f32 v[64:65], v[112:113], v[96:97], v[60:61] op_sel_hi:[1,0,1]
	v_pk_fma_f32 v[60:61], v[112:113], v[96:97], v[60:61] neg_lo:[0,0,1] neg_hi:[0,0,1]
	s_delay_alu instid0(VALU_DEP_3) | instskip(NEXT) | instid1(VALU_DEP_3)
	v_pk_add_f32 v[58:59], v[58:59], v[62:63]
	v_mov_b32_e32 v61, v65
	s_delay_alu instid0(VALU_DEP_1) | instskip(SKIP_1) | instid1(VALU_DEP_1)
	v_pk_add_f32 v[58:59], v[58:59], v[60:61]
	s_wait_loadcnt 0x0
	v_pk_add_f32 v[58:59], v[138:139], v[58:59] neg_lo:[0,1] neg_hi:[0,1]
	scratch_store_b64 off, v[58:59], off offset:56
	s_wait_xcnt 0x0
	v_cmpx_lt_u32_e32 6, v0
	s_cbranch_execz .LBB27_169
; %bb.168:
	scratch_load_b64 v[58:59], off, off offset:48
	v_mov_b64_e32 v[60:61], 0
	scratch_store_b64 off, v[60:61], off offset:48
	s_wait_loadcnt 0x0
	ds_store_b64 v1, v[58:59]
.LBB27_169:
	s_wait_xcnt 0x0
	s_or_b32 exec_lo, exec_lo, s0
	s_wait_storecnt_dscnt 0x0
	s_barrier_signal -1
	s_barrier_wait -1
	s_clause 0xb
	scratch_load_b128 v[58:61], off, off offset:56
	scratch_load_b128 v[62:65], off, off offset:72
	;; [unrolled: 1-line block ×10, first 2 shown]
	scratch_load_b64 v[138:139], off, off offset:216
	scratch_load_b64 v[140:141], off, off offset:48
	v_mov_b32_e32 v5, 0
	ds_load_2addr_b64 v[98:101], v5 offset0:47 offset1:48
	ds_load_2addr_b64 v[102:105], v5 offset0:49 offset1:50
	;; [unrolled: 1-line block ×10, first 2 shown]
	ds_load_b64 v[142:143], v5 offset:440
	s_mov_b32 s0, exec_lo
	s_wait_dscnt 0x9
	v_dual_mov_b32 v145, v100 :: v_dual_mov_b32 v146, v105
	s_wait_dscnt 0x8
	v_dual_mov_b32 v147, v104 :: v_dual_mov_b32 v148, v109
	;; [unrolled: 2-line block ×3, first 2 shown]
	v_dual_mov_b32 v149, v108 :: v_dual_mov_b32 v150, v113
	s_wait_loadcnt_dscnt 0xb06
	v_dual_mul_f32 v7, v114, v59 :: v_dual_mul_f32 v31, v115, v59
	v_dual_mul_f32 v33, v117, v61 :: v_dual_mul_f32 v11, v116, v61
	s_wait_loadcnt_dscnt 0xa05
	v_mul_f32_e32 v13, v118, v63
	s_wait_loadcnt_dscnt 0x803
	v_dual_mul_f32 v43, v127, v71 :: v_dual_fma_f32 v31, v114, v58, -v31
	v_dual_fmac_f32 v7, v115, v58 :: v_dual_mul_f32 v45, v129, v73
	v_dual_mul_f32 v35, v119, v63 :: v_dual_mul_f32 v37, v121, v65
	v_dual_fmac_f32 v11, v117, v60 :: v_dual_fma_f32 v33, v116, v60, -v33
	s_delay_alu instid0(VALU_DEP_3) | instskip(NEXT) | instid1(VALU_DEP_3)
	v_dual_add_f32 v7, 0, v7 :: v_dual_fmac_f32 v13, v119, v62
	v_dual_add_f32 v31, 0, v31 :: v_dual_fma_f32 v35, v118, v62, -v35
	v_dual_mul_f32 v15, v120, v65 :: v_dual_mul_f32 v17, v122, v67
	s_delay_alu instid0(VALU_DEP_3) | instskip(NEXT) | instid1(VALU_DEP_3)
	v_add_f32_e32 v7, v7, v11
	v_dual_add_f32 v11, v31, v33 :: v_dual_fma_f32 v33, v120, v64, -v37
	v_dual_mul_f32 v39, v123, v67 :: v_dual_mul_f32 v41, v125, v69
	s_delay_alu instid0(VALU_DEP_3) | instskip(NEXT) | instid1(VALU_DEP_3)
	v_dual_fmac_f32 v15, v121, v64 :: v_dual_add_f32 v7, v7, v13
	v_dual_add_f32 v11, v11, v35 :: v_dual_mul_f32 v19, v124, v69
	v_dual_mul_f32 v21, v126, v71 :: v_dual_fmac_f32 v17, v123, v66
	s_wait_loadcnt 0x5
	v_dual_mov_b32 v58, v85 :: v_dual_fma_f32 v35, v122, v66, -v39
	s_wait_dscnt 0x1
	v_dual_add_f32 v7, v7, v15 :: v_dual_mul_f32 v15, v137, v81
	v_add_f32_e32 v11, v11, v33
	v_dual_mul_f32 v23, v128, v73 :: v_dual_mul_f32 v25, v130, v75
	v_dual_mul_f32 v13, v135, v79 :: v_dual_fmac_f32 v19, v125, v68
	s_delay_alu instid0(VALU_DEP_4) | instskip(NEXT) | instid1(VALU_DEP_3)
	v_dual_fma_f32 v33, v124, v68, -v41 :: v_dual_add_f32 v7, v7, v17
	v_dual_fmac_f32 v23, v129, v72 :: v_dual_add_f32 v11, v11, v35
	v_dual_mul_f32 v27, v132, v77 :: v_dual_mul_f32 v29, v134, v79
	v_dual_mul_f32 v47, v131, v75 :: v_dual_mul_f32 v31, v133, v77
	s_wait_loadcnt 0x4
	v_dual_fmac_f32 v21, v127, v70 :: v_dual_mov_b32 v62, v89
	v_dual_fma_f32 v35, v126, v70, -v43 :: v_dual_add_f32 v7, v7, v19
	v_fmac_f32_e32 v27, v133, v76
	v_dual_fma_f32 v19, v128, v72, -v45 :: v_dual_add_f32 v11, v11, v33
	v_dual_mul_f32 v153, v136, v81 :: v_dual_mul_f32 v155, v98, v83
	s_delay_alu instid0(VALU_DEP_4) | instskip(NEXT) | instid1(VALU_DEP_2)
	v_dual_add_f32 v7, v7, v21 :: v_dual_fma_f32 v13, v134, v78, -v13
	v_dual_add_f32 v11, v11, v35 :: v_dual_fmac_f32 v153, v137, v80
	v_pk_mul_f32 v[60:61], v[102:103], v[86:87] op_sel:[1,1] op_sel_hi:[0,1]
	v_dual_mul_f32 v17, v99, v83 :: v_dual_fma_f32 v21, v130, v74, -v47
	v_dual_fmac_f32 v25, v131, v74 :: v_dual_fma_f32 v152, v136, v80, -v15
	s_wait_loadcnt 0x3
	v_dual_add_f32 v7, v7, v23 :: v_dual_mov_b32 v68, v93
	s_delay_alu instid0(VALU_DEP_3) | instskip(SKIP_4) | instid1(VALU_DEP_4)
	v_dual_add_f32 v11, v11, v19 :: v_dual_fma_f32 v154, v98, v82, -v17
	v_pk_fma_f32 v[72:73], v[102:103], v[86:87], v[60:61] op_sel_hi:[1,0,1]
	v_pk_mul_f32 v[62:63], v[146:147], v[62:63] op_sel_hi:[1,0]
	v_pk_fma_f32 v[60:61], v[102:103], v[86:87], v[60:61] neg_lo:[0,0,1] neg_hi:[0,0,1]
	v_dual_fma_f32 v19, v132, v76, -v31 :: v_dual_add_f32 v7, v7, v25
	v_mov_b32_e32 v61, v73
	s_delay_alu instid0(VALU_DEP_4) | instskip(SKIP_3) | instid1(VALU_DEP_4)
	v_pk_fma_f32 v[72:73], v[104:105], v[88:89], v[62:63] op_sel_hi:[1,0,1]
	v_add_f32_e32 v11, v11, v21
	v_pk_fma_f32 v[62:63], v[104:105], v[88:89], v[62:63] neg_lo:[0,0,1] neg_hi:[0,0,1]
	v_fmac_f32_e32 v29, v135, v78
	v_dual_add_f32 v7, v7, v27 :: v_dual_mov_b32 v63, v73
	s_delay_alu instid0(VALU_DEP_4) | instskip(SKIP_2) | instid1(VALU_DEP_4)
	v_add_f32_e32 v11, v11, v19
	v_pk_mul_f32 v[58:59], v[144:145], v[58:59] op_sel_hi:[1,0]
	v_fmac_f32_e32 v155, v99, v82
	v_add_f32_e32 v67, v7, v29
	v_pk_mul_f32 v[64:65], v[106:107], v[90:91] op_sel:[1,1] op_sel_hi:[0,1]
	v_add_f32_e32 v66, v11, v13
	v_pk_fma_f32 v[70:71], v[100:101], v[84:85], v[58:59] op_sel_hi:[1,0,1]
	v_pk_fma_f32 v[58:59], v[100:101], v[84:85], v[58:59] neg_lo:[0,0,1] neg_hi:[0,0,1]
	v_pk_mul_f32 v[68:69], v[148:149], v[68:69] op_sel_hi:[1,0]
	s_delay_alu instid0(VALU_DEP_4) | instskip(NEXT) | instid1(VALU_DEP_4)
	v_pk_add_f32 v[66:67], v[66:67], v[152:153]
	v_mov_b32_e32 v59, v71
	s_wait_loadcnt 0x2
	v_pk_mul_f32 v[70:71], v[110:111], v[94:95] op_sel:[1,1] op_sel_hi:[0,1]
	s_delay_alu instid0(VALU_DEP_3) | instskip(NEXT) | instid1(VALU_DEP_1)
	v_pk_add_f32 v[66:67], v[66:67], v[154:155]
	v_pk_add_f32 v[58:59], v[66:67], v[58:59]
	v_pk_fma_f32 v[66:67], v[106:107], v[90:91], v[64:65] op_sel_hi:[1,0,1]
	v_pk_fma_f32 v[64:65], v[106:107], v[90:91], v[64:65] neg_lo:[0,0,1] neg_hi:[0,0,1]
	s_delay_alu instid0(VALU_DEP_3) | instskip(NEXT) | instid1(VALU_DEP_3)
	v_pk_add_f32 v[58:59], v[58:59], v[60:61]
	v_dual_mov_b32 v60, v97 :: v_dual_mov_b32 v65, v67
	v_pk_fma_f32 v[66:67], v[108:109], v[92:93], v[68:69] op_sel_hi:[1,0,1]
	v_pk_fma_f32 v[68:69], v[108:109], v[92:93], v[68:69] neg_lo:[0,0,1] neg_hi:[0,0,1]
	s_delay_alu instid0(VALU_DEP_4)
	v_pk_add_f32 v[58:59], v[58:59], v[62:63]
	v_pk_fma_f32 v[62:63], v[110:111], v[94:95], v[70:71] op_sel_hi:[1,0,1]
	v_pk_mul_f32 v[60:61], v[150:151], v[60:61] op_sel_hi:[1,0]
	v_mov_b32_e32 v69, v67
	s_wait_loadcnt_dscnt 0x100
	v_pk_mul_f32 v[66:67], v[142:143], v[138:139] op_sel:[1,1] op_sel_hi:[0,1]
	v_pk_add_f32 v[58:59], v[58:59], v[64:65]
	v_pk_fma_f32 v[64:65], v[110:111], v[94:95], v[70:71] neg_lo:[0,0,1] neg_hi:[0,0,1]
	v_mov_b32_e32 v65, v63
	v_pk_fma_f32 v[62:63], v[112:113], v[96:97], v[60:61] op_sel_hi:[1,0,1]
	v_pk_fma_f32 v[60:61], v[112:113], v[96:97], v[60:61] neg_lo:[0,0,1] neg_hi:[0,0,1]
	v_pk_add_f32 v[58:59], v[58:59], v[68:69]
	s_delay_alu instid0(VALU_DEP_3) | instskip(SKIP_1) | instid1(VALU_DEP_3)
	v_mov_b32_e32 v61, v63
	v_pk_fma_f32 v[62:63], v[142:143], v[138:139], v[66:67] op_sel_hi:[1,0,1]
	v_pk_add_f32 v[58:59], v[58:59], v[64:65]
	v_pk_fma_f32 v[64:65], v[142:143], v[138:139], v[66:67] neg_lo:[0,0,1] neg_hi:[0,0,1]
	s_delay_alu instid0(VALU_DEP_3) | instskip(NEXT) | instid1(VALU_DEP_3)
	v_mov_b32_e32 v65, v63
	v_pk_add_f32 v[58:59], v[58:59], v[60:61]
	s_delay_alu instid0(VALU_DEP_1) | instskip(SKIP_1) | instid1(VALU_DEP_1)
	v_pk_add_f32 v[58:59], v[58:59], v[64:65]
	s_wait_loadcnt 0x0
	v_pk_add_f32 v[58:59], v[140:141], v[58:59] neg_lo:[0,1] neg_hi:[0,1]
	scratch_store_b64 off, v[58:59], off offset:48
	s_wait_xcnt 0x0
	v_cmpx_lt_u32_e32 5, v0
	s_cbranch_execz .LBB27_171
; %bb.170:
	scratch_load_b64 v[58:59], off, off offset:40
	v_mov_b64_e32 v[60:61], 0
	scratch_store_b64 off, v[60:61], off offset:40
	s_wait_loadcnt 0x0
	ds_store_b64 v1, v[58:59]
.LBB27_171:
	s_wait_xcnt 0x0
	s_or_b32 exec_lo, exec_lo, s0
	s_wait_storecnt_dscnt 0x0
	s_barrier_signal -1
	s_barrier_wait -1
	s_clause 0xb
	scratch_load_b128 v[58:61], off, off offset:48
	scratch_load_b128 v[62:65], off, off offset:64
	;; [unrolled: 1-line block ×11, first 2 shown]
	scratch_load_b64 v[146:147], off, off offset:40
	ds_load_b128 v[102:105], v5 offset:384
	ds_load_b128 v[106:109], v5 offset:400
	;; [unrolled: 1-line block ×11, first 2 shown]
	s_mov_b32 s0, exec_lo
	s_wait_dscnt 0xa
	v_dual_mov_b32 v148, v105 :: v_dual_mov_b32 v149, v104
	s_wait_dscnt 0x9
	v_dual_mov_b32 v150, v109 :: v_dual_mov_b32 v151, v108
	;; [unrolled: 2-line block ×4, first 2 shown]
	s_wait_loadcnt_dscnt 0xb06
	v_dual_mul_f32 v5, v118, v59 :: v_dual_mul_f32 v7, v120, v61
	v_dual_mul_f32 v31, v119, v59 :: v_dual_mul_f32 v33, v121, v61
	s_wait_loadcnt_dscnt 0xa05
	v_dual_mul_f32 v11, v122, v63 :: v_dual_mul_f32 v13, v124, v65
	s_delay_alu instid0(VALU_DEP_2) | instskip(SKIP_3) | instid1(VALU_DEP_3)
	v_dual_fmac_f32 v5, v119, v58 :: v_dual_fma_f32 v31, v118, v58, -v31
	v_dual_mul_f32 v35, v123, v63 :: v_dual_mul_f32 v37, v125, v65
	s_wait_loadcnt_dscnt 0x803
	v_dual_mul_f32 v43, v131, v71 :: v_dual_fmac_f32 v7, v121, v60
	v_dual_fma_f32 v33, v120, v60, -v33 :: v_dual_add_f32 v5, 0, v5
	v_dual_add_f32 v31, 0, v31 :: v_dual_mul_f32 v45, v133, v73
	v_fmac_f32_e32 v11, v123, v62
	s_delay_alu instid0(VALU_DEP_3) | instskip(NEXT) | instid1(VALU_DEP_3)
	v_dual_fma_f32 v35, v122, v62, -v35 :: v_dual_add_f32 v5, v5, v7
	v_dual_add_f32 v7, v31, v33 :: v_dual_mul_f32 v15, v126, v67
	v_dual_mul_f32 v17, v128, v69 :: v_dual_mul_f32 v39, v127, v67
	s_wait_loadcnt_dscnt 0x702
	v_dual_mul_f32 v41, v129, v69 :: v_dual_mul_f32 v31, v135, v75
	v_fmac_f32_e32 v13, v125, v64
	v_dual_fma_f32 v33, v124, v64, -v37 :: v_dual_add_f32 v5, v5, v11
	v_dual_add_f32 v7, v7, v35 :: v_dual_mul_f32 v11, v137, v77
	v_fmac_f32_e32 v15, v127, v66
	s_delay_alu instid0(VALU_DEP_3) | instskip(NEXT) | instid1(VALU_DEP_3)
	v_dual_fma_f32 v35, v126, v66, -v39 :: v_dual_add_f32 v5, v5, v13
	v_dual_add_f32 v7, v7, v33 :: v_dual_mul_f32 v19, v130, v71
	s_wait_loadcnt_dscnt 0x601
	v_dual_mul_f32 v21, v132, v73 :: v_dual_mul_f32 v13, v139, v79
	v_fmac_f32_e32 v17, v129, v68
	v_dual_fma_f32 v33, v128, v68, -v41 :: v_dual_add_f32 v5, v5, v15
	v_dual_add_f32 v7, v7, v35 :: v_dual_mul_f32 v15, v141, v81
	v_fmac_f32_e32 v19, v131, v70
	s_delay_alu instid0(VALU_DEP_3) | instskip(NEXT) | instid1(VALU_DEP_3)
	v_dual_fma_f32 v35, v130, v70, -v43 :: v_dual_add_f32 v5, v5, v17
	v_dual_add_f32 v7, v7, v33 :: v_dual_mul_f32 v23, v134, v75
	;; [unrolled: 9-line block ×3, first 2 shown]
	v_dual_mul_f32 v29, v140, v81 :: v_dual_fmac_f32 v25, v137, v76
	s_delay_alu instid0(VALU_DEP_3) | instskip(NEXT) | instid1(VALU_DEP_3)
	v_dual_fma_f32 v11, v136, v76, -v11 :: v_dual_add_f32 v5, v5, v23
	v_fmac_f32_e32 v27, v139, v78
	s_wait_loadcnt 0x4
	v_dual_add_f32 v7, v7, v31 :: v_dual_mov_b32 v60, v89
	s_delay_alu instid0(VALU_DEP_3) | instskip(SKIP_1) | instid1(VALU_DEP_3)
	v_dual_fma_f32 v13, v138, v78, -v13 :: v_dual_add_f32 v5, v5, v25
	v_dual_mul_f32 v157, v142, v83 :: v_dual_mul_f32 v159, v144, v85
	v_dual_add_f32 v7, v7, v11 :: v_dual_fmac_f32 v29, v141, v80
	s_delay_alu instid0(VALU_DEP_3) | instskip(SKIP_2) | instid1(VALU_DEP_3)
	v_dual_fma_f32 v11, v140, v80, -v15 :: v_dual_add_f32 v5, v5, v27
	v_pk_mul_f32 v[58:59], v[102:103], v[86:87] op_sel:[1,1] op_sel_hi:[0,1]
	s_wait_loadcnt 0x3
	v_dual_add_f32 v7, v7, v13 :: v_dual_mov_b32 v64, v93
	s_delay_alu instid0(VALU_DEP_3) | instskip(NEXT) | instid1(VALU_DEP_2)
	v_dual_fmac_f32 v157, v143, v82 :: v_dual_add_f32 v67, v5, v29
	v_dual_fma_f32 v156, v142, v82, -v17 :: v_dual_add_f32 v66, v7, v11
	v_fmac_f32_e32 v159, v145, v84
	v_pk_fma_f32 v[68:69], v[102:103], v[86:87], v[58:59] op_sel_hi:[1,0,1]
	v_fma_f32 v158, v144, v84, -v19
	v_pk_mul_f32 v[60:61], v[148:149], v[60:61] op_sel_hi:[1,0]
	v_pk_add_f32 v[66:67], v[66:67], v[156:157]
	v_pk_fma_f32 v[58:59], v[102:103], v[86:87], v[58:59] neg_lo:[0,0,1] neg_hi:[0,0,1]
	v_pk_mul_f32 v[62:63], v[106:107], v[90:91] op_sel:[1,1] op_sel_hi:[0,1]
	v_mov_b32_e32 v59, v69
	v_pk_fma_f32 v[68:69], v[104:105], v[88:89], v[60:61] op_sel_hi:[1,0,1]
	v_pk_add_f32 v[66:67], v[66:67], v[158:159]
	v_pk_fma_f32 v[60:61], v[104:105], v[88:89], v[60:61] neg_lo:[0,0,1] neg_hi:[0,0,1]
	v_pk_fma_f32 v[72:73], v[106:107], v[90:91], v[62:63] op_sel_hi:[1,0,1]
	v_pk_mul_f32 v[64:65], v[150:151], v[64:65] op_sel_hi:[1,0]
	v_mov_b32_e32 v61, v69
	v_pk_add_f32 v[58:59], v[66:67], v[58:59]
	s_wait_loadcnt 0x2
	v_pk_mul_f32 v[70:71], v[110:111], v[94:95] op_sel:[1,1] op_sel_hi:[0,1]
	v_mov_b32_e32 v66, v97
	v_pk_fma_f32 v[62:63], v[106:107], v[90:91], v[62:63] neg_lo:[0,0,1] neg_hi:[0,0,1]
	v_pk_fma_f32 v[68:69], v[108:109], v[92:93], v[64:65] op_sel_hi:[1,0,1]
	v_mov_b32_e32 v63, v73
	v_pk_add_f32 v[58:59], v[58:59], v[60:61]
	v_pk_fma_f32 v[60:61], v[110:111], v[94:95], v[70:71] op_sel_hi:[1,0,1]
	v_pk_mul_f32 v[66:67], v[152:153], v[66:67] op_sel_hi:[1,0]
	v_pk_fma_f32 v[64:65], v[108:109], v[92:93], v[64:65] neg_lo:[0,0,1] neg_hi:[0,0,1]
	v_mov_b32_e32 v65, v69
	v_pk_add_f32 v[58:59], v[58:59], v[62:63]
	v_pk_fma_f32 v[68:69], v[110:111], v[94:95], v[70:71] neg_lo:[0,0,1] neg_hi:[0,0,1]
	v_mov_b32_e32 v69, v61
	v_pk_fma_f32 v[60:61], v[112:113], v[96:97], v[66:67] op_sel_hi:[1,0,1]
	s_wait_loadcnt 0x1
	v_pk_mul_f32 v[62:63], v[114:115], v[98:99] op_sel:[1,1] op_sel_hi:[0,1]
	v_pk_add_f32 v[58:59], v[58:59], v[64:65]
	v_mov_b32_e32 v60, v101
	v_pk_fma_f32 v[66:67], v[112:113], v[96:97], v[66:67] neg_lo:[0,0,1] neg_hi:[0,0,1]
	s_delay_alu instid0(VALU_DEP_4)
	v_pk_fma_f32 v[64:65], v[114:115], v[98:99], v[62:63] op_sel_hi:[1,0,1]
	v_mov_b32_e32 v67, v61
	v_pk_add_f32 v[58:59], v[58:59], v[68:69]
	v_pk_mul_f32 v[60:61], v[154:155], v[60:61] op_sel_hi:[1,0]
	v_pk_fma_f32 v[62:63], v[114:115], v[98:99], v[62:63] neg_lo:[0,0,1] neg_hi:[0,0,1]
	v_mov_b32_e32 v63, v65
	s_delay_alu instid0(VALU_DEP_4) | instskip(NEXT) | instid1(VALU_DEP_4)
	v_pk_add_f32 v[58:59], v[58:59], v[66:67]
	v_pk_fma_f32 v[64:65], v[116:117], v[100:101], v[60:61] op_sel_hi:[1,0,1]
	v_pk_fma_f32 v[60:61], v[116:117], v[100:101], v[60:61] neg_lo:[0,0,1] neg_hi:[0,0,1]
	s_delay_alu instid0(VALU_DEP_3) | instskip(NEXT) | instid1(VALU_DEP_3)
	v_pk_add_f32 v[58:59], v[58:59], v[62:63]
	v_mov_b32_e32 v61, v65
	s_delay_alu instid0(VALU_DEP_1) | instskip(SKIP_1) | instid1(VALU_DEP_1)
	v_pk_add_f32 v[58:59], v[58:59], v[60:61]
	s_wait_loadcnt 0x0
	v_pk_add_f32 v[58:59], v[146:147], v[58:59] neg_lo:[0,1] neg_hi:[0,1]
	scratch_store_b64 off, v[58:59], off offset:40
	s_wait_xcnt 0x0
	v_cmpx_lt_u32_e32 4, v0
	s_cbranch_execz .LBB27_173
; %bb.172:
	scratch_load_b64 v[58:59], off, off offset:32
	v_mov_b64_e32 v[60:61], 0
	scratch_store_b64 off, v[60:61], off offset:32
	s_wait_loadcnt 0x0
	ds_store_b64 v1, v[58:59]
.LBB27_173:
	s_wait_xcnt 0x0
	s_or_b32 exec_lo, exec_lo, s0
	s_wait_storecnt_dscnt 0x0
	s_barrier_signal -1
	s_barrier_wait -1
	s_clause 0xc
	scratch_load_b128 v[58:61], off, off offset:40
	scratch_load_b128 v[62:65], off, off offset:56
	;; [unrolled: 1-line block ×11, first 2 shown]
	scratch_load_b64 v[146:147], off, off offset:216
	scratch_load_b64 v[148:149], off, off offset:32
	v_mov_b32_e32 v5, 0
	ds_load_2addr_b64 v[102:105], v5 offset0:47 offset1:48
	ds_load_2addr_b64 v[106:109], v5 offset0:49 offset1:50
	;; [unrolled: 1-line block ×11, first 2 shown]
	ds_load_b64 v[150:151], v5 offset:440
	s_mov_b32 s0, exec_lo
	s_wait_dscnt 0xa
	v_dual_mov_b32 v153, v104 :: v_dual_mov_b32 v154, v109
	s_wait_dscnt 0x9
	v_dual_mov_b32 v155, v108 :: v_dual_mov_b32 v156, v113
	s_wait_dscnt 0x8
	v_dual_mov_b32 v159, v116 :: v_dual_mov_b32 v152, v105
	v_dual_mov_b32 v157, v112 :: v_dual_mov_b32 v158, v117
	s_wait_loadcnt_dscnt 0xc07
	v_dual_mul_f32 v7, v118, v59 :: v_dual_mul_f32 v11, v120, v61
	s_wait_loadcnt_dscnt 0xb06
	v_mul_f32_e32 v13, v122, v63
	v_dual_mul_f32 v35, v119, v59 :: v_dual_mul_f32 v37, v121, v61
	s_wait_loadcnt_dscnt 0x904
	v_dual_fmac_f32 v7, v119, v58 :: v_dual_mul_f32 v49, v133, v73
	s_delay_alu instid0(VALU_DEP_2) | instskip(NEXT) | instid1(VALU_DEP_3)
	v_dual_mul_f32 v47, v131, v71 :: v_dual_fma_f32 v35, v118, v58, -v35
	v_dual_fmac_f32 v11, v121, v60 :: v_dual_fma_f32 v37, v120, v60, -v37
	s_delay_alu instid0(VALU_DEP_3) | instskip(SKIP_3) | instid1(VALU_DEP_3)
	v_dual_add_f32 v7, 0, v7 :: v_dual_fmac_f32 v13, v123, v62
	v_dual_mul_f32 v15, v124, v65 :: v_dual_mul_f32 v17, v126, v67
	v_dual_mul_f32 v39, v123, v63 :: v_dual_mul_f32 v41, v125, v65
	v_add_f32_e32 v35, 0, v35
	v_dual_add_f32 v7, v7, v11 :: v_dual_fmac_f32 v15, v125, v64
	v_dual_mul_f32 v43, v127, v67 :: v_dual_mul_f32 v45, v129, v69
	s_delay_alu instid0(VALU_DEP_3) | instskip(NEXT) | instid1(VALU_DEP_3)
	v_dual_fma_f32 v39, v122, v62, -v39 :: v_dual_add_f32 v11, v35, v37
	v_dual_fma_f32 v37, v124, v64, -v41 :: v_dual_add_f32 v7, v7, v13
	v_dual_mul_f32 v19, v128, v69 :: v_dual_mul_f32 v21, v130, v71
	s_delay_alu instid0(VALU_DEP_3) | instskip(SKIP_1) | instid1(VALU_DEP_4)
	v_add_f32_e32 v11, v11, v39
	v_dual_fmac_f32 v17, v127, v66 :: v_dual_fma_f32 v39, v126, v66, -v43
	v_dual_add_f32 v7, v7, v15 :: v_dual_mul_f32 v23, v132, v73
	s_wait_loadcnt_dscnt 0x803
	v_mul_f32_e32 v25, v134, v75
	s_wait_loadcnt_dscnt 0x701
	v_dual_mul_f32 v13, v143, v79 :: v_dual_fmac_f32 v19, v129, v68
	v_mul_f32_e32 v15, v145, v81
	v_dual_add_f32 v11, v11, v37 :: v_dual_fma_f32 v37, v128, v68, -v45
	v_dual_add_f32 v7, v7, v17 :: v_dual_fmac_f32 v23, v133, v72
	v_dual_mul_f32 v27, v136, v77 :: v_dual_mul_f32 v29, v142, v79
	s_delay_alu instid0(VALU_DEP_3) | instskip(SKIP_2) | instid1(VALU_DEP_3)
	v_add_f32_e32 v11, v11, v39
	s_wait_loadcnt 0x5
	v_dual_fmac_f32 v21, v131, v70 :: v_dual_mov_b32 v58, v89
	v_dual_add_f32 v7, v7, v19 :: v_dual_fmac_f32 v27, v137, v76
	v_dual_mul_f32 v51, v135, v75 :: v_dual_mul_f32 v35, v137, v77
	v_dual_fma_f32 v39, v130, v70, -v47 :: v_dual_add_f32 v11, v11, v37
	s_delay_alu instid0(VALU_DEP_3) | instskip(SKIP_2) | instid1(VALU_DEP_3)
	v_dual_add_f32 v7, v7, v21 :: v_dual_fma_f32 v13, v142, v78, -v13
	v_dual_mul_f32 v17, v139, v83 :: v_dual_fma_f32 v37, v132, v72, -v49
	v_dual_mul_f32 v161, v140, v85 :: v_dual_mul_f32 v163, v102, v87
	v_dual_add_f32 v7, v7, v23 :: v_dual_fma_f32 v23, v136, v76, -v35
	s_wait_loadcnt 0x4
	v_dual_add_f32 v11, v11, v39 :: v_dual_mov_b32 v62, v93
	v_fma_f32 v39, v134, v74, -v51
	v_pk_mul_f32 v[60:61], v[106:107], v[90:91] op_sel:[1,1] op_sel_hi:[0,1]
	s_delay_alu instid0(VALU_DEP_3) | instskip(NEXT) | instid1(VALU_DEP_4)
	v_dual_fmac_f32 v161, v141, v84 :: v_dual_add_f32 v11, v11, v37
	v_pk_mul_f32 v[62:63], v[154:155], v[62:63] op_sel_hi:[1,0]
	v_dual_fmac_f32 v25, v135, v74 :: v_dual_fma_f32 v15, v144, v80, -v15
	s_delay_alu instid0(VALU_DEP_4) | instskip(SKIP_3) | instid1(VALU_DEP_3)
	v_pk_fma_f32 v[72:73], v[106:107], v[90:91], v[60:61] op_sel_hi:[1,0,1]
	s_wait_loadcnt 0x3
	v_dual_add_f32 v11, v11, v39 :: v_dual_mov_b32 v68, v97
	v_pk_fma_f32 v[60:61], v[106:107], v[90:91], v[60:61] neg_lo:[0,0,1] neg_hi:[0,0,1]
	v_dual_fmac_f32 v29, v143, v78 :: v_dual_mov_b32 v61, v73
	v_pk_fma_f32 v[72:73], v[108:109], v[92:93], v[62:63] op_sel_hi:[1,0,1]
	s_delay_alu instid0(VALU_DEP_4) | instskip(SKIP_3) | instid1(VALU_DEP_4)
	v_add_f32_e32 v11, v11, v23
	v_pk_fma_f32 v[62:63], v[108:109], v[92:93], v[62:63] neg_lo:[0,0,1] neg_hi:[0,0,1]
	v_dual_mul_f32 v31, v144, v81 :: v_dual_mul_f32 v33, v138, v83
	v_mul_f32_e32 v19, v141, v85
	v_dual_mov_b32 v63, v73 :: v_dual_add_f32 v11, v11, v13
	v_dual_fma_f32 v13, v138, v82, -v17 :: v_dual_add_f32 v7, v7, v25
	s_delay_alu instid0(VALU_DEP_3) | instskip(SKIP_1) | instid1(VALU_DEP_3)
	v_dual_fma_f32 v160, v140, v84, -v19 :: v_dual_mul_f32 v21, v103, v87
	v_dual_fmac_f32 v31, v145, v80 :: v_dual_fmac_f32 v33, v139, v82
	v_add_f32_e32 v7, v7, v27
	s_delay_alu instid0(VALU_DEP_3) | instskip(SKIP_2) | instid1(VALU_DEP_4)
	v_dual_add_f32 v11, v11, v15 :: v_dual_fma_f32 v162, v102, v86, -v21
	v_pk_mul_f32 v[58:59], v[152:153], v[58:59] op_sel_hi:[1,0]
	v_fmac_f32_e32 v163, v103, v86
	v_add_f32_e32 v7, v7, v29
	s_delay_alu instid0(VALU_DEP_4)
	v_add_f32_e32 v66, v11, v13
	v_pk_mul_f32 v[64:65], v[110:111], v[94:95] op_sel:[1,1] op_sel_hi:[0,1]
	v_pk_fma_f32 v[70:71], v[104:105], v[88:89], v[58:59] op_sel_hi:[1,0,1]
	v_pk_fma_f32 v[58:59], v[104:105], v[88:89], v[58:59] neg_lo:[0,0,1] neg_hi:[0,0,1]
	v_add_f32_e32 v7, v7, v31
	v_pk_mul_f32 v[68:69], v[156:157], v[68:69] op_sel_hi:[1,0]
	s_delay_alu instid0(VALU_DEP_4) | instskip(SKIP_3) | instid1(VALU_DEP_1)
	v_mov_b32_e32 v59, v71
	s_wait_loadcnt 0x2
	v_pk_mul_f32 v[70:71], v[114:115], v[98:99] op_sel:[1,1] op_sel_hi:[0,1]
	v_add_f32_e32 v67, v7, v33
	v_pk_add_f32 v[66:67], v[66:67], v[160:161]
	s_delay_alu instid0(VALU_DEP_1) | instskip(NEXT) | instid1(VALU_DEP_1)
	v_pk_add_f32 v[66:67], v[66:67], v[162:163]
	v_pk_add_f32 v[58:59], v[66:67], v[58:59]
	v_pk_fma_f32 v[66:67], v[110:111], v[94:95], v[64:65] op_sel_hi:[1,0,1]
	v_pk_fma_f32 v[64:65], v[110:111], v[94:95], v[64:65] neg_lo:[0,0,1] neg_hi:[0,0,1]
	s_delay_alu instid0(VALU_DEP_3) | instskip(NEXT) | instid1(VALU_DEP_3)
	v_pk_add_f32 v[58:59], v[58:59], v[60:61]
	v_dual_mov_b32 v60, v101 :: v_dual_mov_b32 v65, v67
	v_pk_fma_f32 v[66:67], v[112:113], v[96:97], v[68:69] op_sel_hi:[1,0,1]
	v_pk_fma_f32 v[68:69], v[112:113], v[96:97], v[68:69] neg_lo:[0,0,1] neg_hi:[0,0,1]
	s_delay_alu instid0(VALU_DEP_4)
	v_pk_add_f32 v[58:59], v[58:59], v[62:63]
	v_pk_fma_f32 v[62:63], v[114:115], v[98:99], v[70:71] op_sel_hi:[1,0,1]
	v_pk_mul_f32 v[60:61], v[158:159], v[60:61] op_sel_hi:[1,0]
	v_mov_b32_e32 v69, v67
	s_wait_loadcnt_dscnt 0x100
	v_pk_mul_f32 v[66:67], v[150:151], v[146:147] op_sel:[1,1] op_sel_hi:[0,1]
	v_pk_add_f32 v[58:59], v[58:59], v[64:65]
	v_pk_fma_f32 v[64:65], v[114:115], v[98:99], v[70:71] neg_lo:[0,0,1] neg_hi:[0,0,1]
	v_mov_b32_e32 v65, v63
	v_pk_fma_f32 v[62:63], v[116:117], v[100:101], v[60:61] op_sel_hi:[1,0,1]
	v_pk_fma_f32 v[60:61], v[116:117], v[100:101], v[60:61] neg_lo:[0,0,1] neg_hi:[0,0,1]
	v_pk_add_f32 v[58:59], v[58:59], v[68:69]
	s_delay_alu instid0(VALU_DEP_3) | instskip(SKIP_1) | instid1(VALU_DEP_3)
	v_mov_b32_e32 v61, v63
	v_pk_fma_f32 v[62:63], v[150:151], v[146:147], v[66:67] op_sel_hi:[1,0,1]
	v_pk_add_f32 v[58:59], v[58:59], v[64:65]
	v_pk_fma_f32 v[64:65], v[150:151], v[146:147], v[66:67] neg_lo:[0,0,1] neg_hi:[0,0,1]
	s_delay_alu instid0(VALU_DEP_3) | instskip(NEXT) | instid1(VALU_DEP_3)
	v_mov_b32_e32 v65, v63
	v_pk_add_f32 v[58:59], v[58:59], v[60:61]
	s_delay_alu instid0(VALU_DEP_1) | instskip(SKIP_1) | instid1(VALU_DEP_1)
	v_pk_add_f32 v[58:59], v[58:59], v[64:65]
	s_wait_loadcnt 0x0
	v_pk_add_f32 v[58:59], v[148:149], v[58:59] neg_lo:[0,1] neg_hi:[0,1]
	scratch_store_b64 off, v[58:59], off offset:32
	s_wait_xcnt 0x0
	v_cmpx_lt_u32_e32 3, v0
	s_cbranch_execz .LBB27_175
; %bb.174:
	scratch_load_b64 v[58:59], off, off offset:24
	v_mov_b64_e32 v[60:61], 0
	scratch_store_b64 off, v[60:61], off offset:24
	s_wait_loadcnt 0x0
	ds_store_b64 v1, v[58:59]
.LBB27_175:
	s_wait_xcnt 0x0
	s_or_b32 exec_lo, exec_lo, s0
	s_wait_storecnt_dscnt 0x0
	s_barrier_signal -1
	s_barrier_wait -1
	s_clause 0xc
	scratch_load_b128 v[58:61], off, off offset:32
	scratch_load_b128 v[62:65], off, off offset:48
	;; [unrolled: 1-line block ×12, first 2 shown]
	scratch_load_b64 v[154:155], off, off offset:24
	ds_load_b128 v[106:109], v5 offset:384
	ds_load_b128 v[110:113], v5 offset:400
	;; [unrolled: 1-line block ×12, first 2 shown]
	s_mov_b32 s0, exec_lo
	s_wait_dscnt 0xb
	v_dual_mov_b32 v156, v109 :: v_dual_mov_b32 v157, v108
	s_wait_dscnt 0xa
	v_dual_mov_b32 v158, v113 :: v_dual_mov_b32 v159, v112
	;; [unrolled: 2-line block ×4, first 2 shown]
	s_wait_loadcnt_dscnt 0xc07
	v_dual_mul_f32 v5, v122, v59 :: v_dual_mul_f32 v7, v124, v61
	v_dual_mul_f32 v35, v123, v59 :: v_dual_mul_f32 v37, v125, v61
	s_wait_loadcnt_dscnt 0xb06
	v_dual_mul_f32 v11, v126, v63 :: v_dual_mul_f32 v13, v128, v65
	s_delay_alu instid0(VALU_DEP_2) | instskip(SKIP_3) | instid1(VALU_DEP_3)
	v_dual_fmac_f32 v5, v123, v58 :: v_dual_fma_f32 v35, v122, v58, -v35
	v_dual_mul_f32 v39, v127, v63 :: v_dual_mul_f32 v41, v129, v65
	s_wait_loadcnt_dscnt 0x904
	v_dual_mul_f32 v47, v135, v71 :: v_dual_fmac_f32 v7, v125, v60
	v_dual_fma_f32 v37, v124, v60, -v37 :: v_dual_add_f32 v5, 0, v5
	v_dual_add_f32 v35, 0, v35 :: v_dual_mul_f32 v49, v137, v73
	v_fmac_f32_e32 v11, v127, v62
	s_delay_alu instid0(VALU_DEP_3) | instskip(NEXT) | instid1(VALU_DEP_3)
	v_dual_fma_f32 v39, v126, v62, -v39 :: v_dual_add_f32 v5, v5, v7
	v_dual_add_f32 v7, v35, v37 :: v_dual_mul_f32 v15, v130, v67
	v_dual_mul_f32 v17, v132, v69 :: v_dual_mul_f32 v43, v131, v67
	s_wait_loadcnt_dscnt 0x803
	v_dual_mul_f32 v45, v133, v69 :: v_dual_mul_f32 v35, v139, v75
	v_fmac_f32_e32 v13, v129, v64
	v_dual_fma_f32 v37, v128, v64, -v41 :: v_dual_add_f32 v5, v5, v11
	v_dual_add_f32 v7, v7, v39 :: v_dual_mul_f32 v11, v141, v77
	v_fmac_f32_e32 v15, v131, v66
	s_delay_alu instid0(VALU_DEP_3) | instskip(NEXT) | instid1(VALU_DEP_3)
	v_dual_fma_f32 v39, v130, v66, -v43 :: v_dual_add_f32 v5, v5, v13
	v_dual_add_f32 v7, v7, v37 :: v_dual_mul_f32 v19, v134, v71
	s_wait_loadcnt_dscnt 0x702
	v_dual_mul_f32 v21, v136, v73 :: v_dual_mul_f32 v13, v143, v79
	v_fmac_f32_e32 v17, v133, v68
	v_dual_fma_f32 v37, v132, v68, -v45 :: v_dual_add_f32 v5, v5, v15
	v_dual_add_f32 v7, v7, v39 :: v_dual_mul_f32 v15, v145, v81
	v_fmac_f32_e32 v19, v135, v70
	s_delay_alu instid0(VALU_DEP_3) | instskip(NEXT) | instid1(VALU_DEP_3)
	v_dual_fma_f32 v39, v134, v70, -v47 :: v_dual_add_f32 v5, v5, v17
	v_dual_add_f32 v7, v7, v37 :: v_dual_mul_f32 v23, v138, v75
	;; [unrolled: 9-line block ×3, first 2 shown]
	s_wait_loadcnt_dscnt 0x500
	v_dual_mul_f32 v29, v144, v81 :: v_dual_mul_f32 v21, v151, v87
	v_dual_fmac_f32 v25, v141, v76 :: v_dual_fma_f32 v11, v140, v76, -v11
	v_add_f32_e32 v5, v5, v23
	v_dual_add_f32 v7, v7, v35 :: v_dual_mul_f32 v23, v153, v89
	v_dual_fmac_f32 v27, v143, v78 :: v_dual_fma_f32 v13, v142, v78, -v13
	s_delay_alu instid0(VALU_DEP_2) | instskip(SKIP_2) | instid1(VALU_DEP_3)
	v_dual_add_f32 v5, v5, v25 :: v_dual_add_f32 v7, v7, v11
	v_dual_mul_f32 v31, v146, v83 :: v_dual_mul_f32 v33, v148, v85
	v_dual_fmac_f32 v29, v145, v80 :: v_dual_fma_f32 v11, v144, v80, -v15
	v_dual_add_f32 v5, v5, v27 :: v_dual_add_f32 v7, v7, v13
	s_wait_loadcnt 0x4
	s_delay_alu instid0(VALU_DEP_3) | instskip(NEXT) | instid1(VALU_DEP_2)
	v_dual_mov_b32 v60, v93 :: v_dual_fmac_f32 v31, v147, v82
	v_dual_fma_f32 v13, v146, v82, -v17 :: v_dual_add_f32 v5, v5, v29
	s_delay_alu instid0(VALU_DEP_3) | instskip(SKIP_1) | instid1(VALU_DEP_3)
	v_dual_add_f32 v7, v7, v11 :: v_dual_fmac_f32 v33, v149, v84
	v_dual_mul_f32 v165, v150, v87 :: v_dual_mul_f32 v167, v152, v89
	v_dual_fma_f32 v11, v148, v84, -v19 :: v_dual_add_f32 v5, v5, v31
	s_wait_loadcnt 0x3
	s_delay_alu instid0(VALU_DEP_3) | instskip(SKIP_1) | instid1(VALU_DEP_3)
	v_dual_add_f32 v7, v7, v13 :: v_dual_mov_b32 v64, v97
	v_pk_mul_f32 v[58:59], v[106:107], v[90:91] op_sel:[1,1] op_sel_hi:[0,1]
	v_dual_fmac_f32 v165, v151, v86 :: v_dual_add_f32 v67, v5, v33
	s_delay_alu instid0(VALU_DEP_3) | instskip(SKIP_1) | instid1(VALU_DEP_4)
	v_dual_fma_f32 v164, v150, v86, -v21 :: v_dual_add_f32 v66, v7, v11
	v_fmac_f32_e32 v167, v153, v88
	v_pk_fma_f32 v[68:69], v[106:107], v[90:91], v[58:59] op_sel_hi:[1,0,1]
	v_fma_f32 v166, v152, v88, -v23
	v_pk_mul_f32 v[60:61], v[156:157], v[60:61] op_sel_hi:[1,0]
	v_pk_add_f32 v[66:67], v[66:67], v[164:165]
	v_pk_fma_f32 v[58:59], v[106:107], v[90:91], v[58:59] neg_lo:[0,0,1] neg_hi:[0,0,1]
	v_pk_mul_f32 v[62:63], v[110:111], v[94:95] op_sel:[1,1] op_sel_hi:[0,1]
	v_mov_b32_e32 v59, v69
	v_pk_fma_f32 v[68:69], v[108:109], v[92:93], v[60:61] op_sel_hi:[1,0,1]
	v_pk_add_f32 v[66:67], v[66:67], v[166:167]
	v_pk_fma_f32 v[60:61], v[108:109], v[92:93], v[60:61] neg_lo:[0,0,1] neg_hi:[0,0,1]
	v_pk_fma_f32 v[72:73], v[110:111], v[94:95], v[62:63] op_sel_hi:[1,0,1]
	v_pk_mul_f32 v[64:65], v[158:159], v[64:65] op_sel_hi:[1,0]
	v_mov_b32_e32 v61, v69
	v_pk_add_f32 v[58:59], v[66:67], v[58:59]
	s_wait_loadcnt 0x2
	v_pk_mul_f32 v[70:71], v[114:115], v[98:99] op_sel:[1,1] op_sel_hi:[0,1]
	v_mov_b32_e32 v66, v101
	v_pk_fma_f32 v[62:63], v[110:111], v[94:95], v[62:63] neg_lo:[0,0,1] neg_hi:[0,0,1]
	v_pk_fma_f32 v[68:69], v[112:113], v[96:97], v[64:65] op_sel_hi:[1,0,1]
	v_mov_b32_e32 v63, v73
	v_pk_add_f32 v[58:59], v[58:59], v[60:61]
	v_pk_fma_f32 v[60:61], v[114:115], v[98:99], v[70:71] op_sel_hi:[1,0,1]
	v_pk_mul_f32 v[66:67], v[160:161], v[66:67] op_sel_hi:[1,0]
	v_pk_fma_f32 v[64:65], v[112:113], v[96:97], v[64:65] neg_lo:[0,0,1] neg_hi:[0,0,1]
	v_mov_b32_e32 v65, v69
	v_pk_add_f32 v[58:59], v[58:59], v[62:63]
	v_pk_fma_f32 v[68:69], v[114:115], v[98:99], v[70:71] neg_lo:[0,0,1] neg_hi:[0,0,1]
	v_mov_b32_e32 v69, v61
	v_pk_fma_f32 v[60:61], v[116:117], v[100:101], v[66:67] op_sel_hi:[1,0,1]
	s_wait_loadcnt 0x1
	v_pk_mul_f32 v[62:63], v[118:119], v[102:103] op_sel:[1,1] op_sel_hi:[0,1]
	v_pk_add_f32 v[58:59], v[58:59], v[64:65]
	v_mov_b32_e32 v60, v105
	v_pk_fma_f32 v[66:67], v[116:117], v[100:101], v[66:67] neg_lo:[0,0,1] neg_hi:[0,0,1]
	s_delay_alu instid0(VALU_DEP_4)
	v_pk_fma_f32 v[64:65], v[118:119], v[102:103], v[62:63] op_sel_hi:[1,0,1]
	v_mov_b32_e32 v67, v61
	v_pk_add_f32 v[58:59], v[58:59], v[68:69]
	v_pk_mul_f32 v[60:61], v[162:163], v[60:61] op_sel_hi:[1,0]
	v_pk_fma_f32 v[62:63], v[118:119], v[102:103], v[62:63] neg_lo:[0,0,1] neg_hi:[0,0,1]
	v_mov_b32_e32 v63, v65
	s_delay_alu instid0(VALU_DEP_4) | instskip(NEXT) | instid1(VALU_DEP_4)
	v_pk_add_f32 v[58:59], v[58:59], v[66:67]
	v_pk_fma_f32 v[64:65], v[120:121], v[104:105], v[60:61] op_sel_hi:[1,0,1]
	v_pk_fma_f32 v[60:61], v[120:121], v[104:105], v[60:61] neg_lo:[0,0,1] neg_hi:[0,0,1]
	s_delay_alu instid0(VALU_DEP_3) | instskip(NEXT) | instid1(VALU_DEP_3)
	v_pk_add_f32 v[58:59], v[58:59], v[62:63]
	v_mov_b32_e32 v61, v65
	s_delay_alu instid0(VALU_DEP_1) | instskip(SKIP_1) | instid1(VALU_DEP_1)
	v_pk_add_f32 v[58:59], v[58:59], v[60:61]
	s_wait_loadcnt 0x0
	v_pk_add_f32 v[58:59], v[154:155], v[58:59] neg_lo:[0,1] neg_hi:[0,1]
	scratch_store_b64 off, v[58:59], off offset:24
	s_wait_xcnt 0x0
	v_cmpx_lt_u32_e32 2, v0
	s_cbranch_execz .LBB27_177
; %bb.176:
	scratch_load_b64 v[58:59], off, off offset:16
	v_mov_b64_e32 v[60:61], 0
	scratch_store_b64 off, v[60:61], off offset:16
	s_wait_loadcnt 0x0
	ds_store_b64 v1, v[58:59]
.LBB27_177:
	s_wait_xcnt 0x0
	s_or_b32 exec_lo, exec_lo, s0
	s_wait_storecnt_dscnt 0x0
	s_barrier_signal -1
	s_barrier_wait -1
	s_clause 0xd
	scratch_load_b128 v[58:61], off, off offset:24
	scratch_load_b128 v[62:65], off, off offset:40
	;; [unrolled: 1-line block ×12, first 2 shown]
	scratch_load_b64 v[154:155], off, off offset:216
	scratch_load_b64 v[156:157], off, off offset:16
	v_mov_b32_e32 v37, 0
	ds_load_2addr_b64 v[106:109], v37 offset0:47 offset1:48
	ds_load_2addr_b64 v[110:113], v37 offset0:49 offset1:50
	;; [unrolled: 1-line block ×12, first 2 shown]
	ds_load_b64 v[158:159], v37 offset:440
	s_mov_b32 s0, exec_lo
	s_wait_dscnt 0xc
	v_dual_mov_b32 v160, v109 :: v_dual_mov_b32 v161, v108
	s_wait_dscnt 0x9
	v_dual_mov_b32 v162, v113 :: v_dual_mov_b32 v167, v120
	v_dual_mov_b32 v163, v112 :: v_dual_mov_b32 v164, v117
	v_dual_mov_b32 v165, v116 :: v_dual_mov_b32 v166, v121
	s_wait_loadcnt_dscnt 0xd08
	v_dual_mul_f32 v5, v122, v59 :: v_dual_mul_f32 v39, v123, v59
	v_dual_mul_f32 v41, v125, v61 :: v_dual_mul_f32 v7, v124, v61
	s_wait_loadcnt_dscnt 0xc07
	v_mul_f32_e32 v11, v126, v63
	s_wait_loadcnt_dscnt 0xa05
	v_dual_mul_f32 v51, v135, v71 :: v_dual_fma_f32 v39, v122, v58, -v39
	v_dual_fmac_f32 v5, v123, v58 :: v_dual_mul_f32 v53, v137, v73
	v_dual_mul_f32 v43, v127, v63 :: v_dual_mul_f32 v45, v129, v65
	v_dual_fmac_f32 v7, v125, v60 :: v_dual_fma_f32 v41, v124, v60, -v41
	s_delay_alu instid0(VALU_DEP_3) | instskip(SKIP_3) | instid1(VALU_DEP_3)
	v_dual_add_f32 v5, 0, v5 :: v_dual_add_f32 v39, 0, v39
	v_dual_mul_f32 v13, v128, v65 :: v_dual_mul_f32 v15, v130, v67
	s_wait_loadcnt_dscnt 0x904
	v_dual_mul_f32 v55, v139, v75 :: v_dual_fma_f32 v43, v126, v62, -v43
	v_dual_fmac_f32 v11, v127, v62 :: v_dual_add_f32 v5, v5, v7
	s_delay_alu instid0(VALU_DEP_3) | instskip(SKIP_2) | instid1(VALU_DEP_4)
	v_dual_add_f32 v7, v39, v41 :: v_dual_fmac_f32 v13, v129, v64
	v_dual_mul_f32 v47, v131, v67 :: v_dual_mul_f32 v49, v133, v69
	v_dual_mul_f32 v39, v141, v77 :: v_dual_fma_f32 v41, v128, v64, -v45
	v_dual_add_f32 v5, v5, v11 :: v_dual_fmac_f32 v15, v131, v66
	s_delay_alu instid0(VALU_DEP_3) | instskip(SKIP_2) | instid1(VALU_DEP_3)
	v_dual_add_f32 v7, v7, v43 :: v_dual_fma_f32 v43, v130, v66, -v47
	v_dual_mul_f32 v17, v132, v69 :: v_dual_mul_f32 v19, v134, v71
	s_wait_loadcnt_dscnt 0x803
	v_dual_mul_f32 v11, v143, v79 :: v_dual_add_f32 v5, v5, v13
	s_delay_alu instid0(VALU_DEP_2) | instskip(SKIP_1) | instid1(VALU_DEP_3)
	v_dual_add_f32 v7, v7, v41 :: v_dual_fmac_f32 v17, v133, v68
	v_dual_mul_f32 v13, v145, v81 :: v_dual_fma_f32 v41, v132, v68, -v49
	v_dual_add_f32 v5, v5, v15 :: v_dual_fmac_f32 v19, v135, v70
	s_delay_alu instid0(VALU_DEP_3) | instskip(SKIP_2) | instid1(VALU_DEP_3)
	v_dual_add_f32 v7, v7, v43 :: v_dual_fma_f32 v43, v134, v70, -v51
	v_dual_mul_f32 v21, v136, v73 :: v_dual_mul_f32 v23, v138, v75
	s_wait_loadcnt_dscnt 0x702
	v_dual_mul_f32 v15, v147, v83 :: v_dual_add_f32 v5, v5, v17
	s_delay_alu instid0(VALU_DEP_2) | instskip(SKIP_1) | instid1(VALU_DEP_3)
	v_dual_add_f32 v7, v7, v41 :: v_dual_fmac_f32 v21, v137, v72
	;; [unrolled: 9-line block ×3, first 2 shown]
	v_dual_mul_f32 v21, v153, v89 :: v_dual_fma_f32 v39, v140, v76, -v39
	v_dual_add_f32 v5, v5, v23 :: v_dual_fmac_f32 v27, v143, v78
	s_delay_alu instid0(VALU_DEP_3) | instskip(SKIP_2) | instid1(VALU_DEP_3)
	v_dual_add_f32 v7, v7, v43 :: v_dual_fma_f32 v11, v142, v78, -v11
	v_dual_mul_f32 v29, v144, v81 :: v_dual_mul_f32 v31, v146, v83
	s_wait_loadcnt 0x5
	v_dual_mul_f32 v23, v107, v91 :: v_dual_add_f32 v5, v5, v25
	s_delay_alu instid0(VALU_DEP_3) | instskip(NEXT) | instid1(VALU_DEP_3)
	v_dual_add_f32 v7, v7, v39 :: v_dual_mov_b32 v58, v93
	v_fmac_f32_e32 v29, v145, v80
	s_delay_alu instid0(VALU_DEP_3) | instskip(NEXT) | instid1(VALU_DEP_3)
	v_dual_fma_f32 v13, v144, v80, -v13 :: v_dual_add_f32 v5, v5, v27
	v_dual_add_f32 v7, v7, v11 :: v_dual_mul_f32 v33, v148, v85
	v_dual_mul_f32 v35, v150, v87 :: v_dual_fmac_f32 v31, v147, v82
	s_delay_alu instid0(VALU_DEP_3) | instskip(SKIP_1) | instid1(VALU_DEP_3)
	v_dual_add_f32 v5, v5, v29 :: v_dual_fma_f32 v11, v146, v82, -v15
	s_wait_loadcnt 0x4
	v_dual_add_f32 v7, v7, v13 :: v_dual_mov_b32 v62, v97
	v_fma_f32 v13, v148, v84, -v17
	v_fmac_f32_e32 v33, v149, v84
	v_dual_add_f32 v5, v5, v31 :: v_dual_fmac_f32 v35, v151, v86
	s_delay_alu instid0(VALU_DEP_4) | instskip(SKIP_1) | instid1(VALU_DEP_3)
	v_dual_add_f32 v7, v7, v11 :: v_dual_mul_f32 v169, v152, v89
	v_mul_f32_e32 v171, v106, v91
	v_dual_fma_f32 v11, v150, v86, -v19 :: v_dual_add_f32 v5, v5, v33
	s_delay_alu instid0(VALU_DEP_3) | instskip(SKIP_1) | instid1(VALU_DEP_3)
	v_dual_add_f32 v7, v7, v13 :: v_dual_fmac_f32 v169, v153, v88
	v_pk_mul_f32 v[60:61], v[110:111], v[94:95] op_sel:[1,1] op_sel_hi:[0,1]
	v_dual_fma_f32 v168, v152, v88, -v21 :: v_dual_add_f32 v67, v5, v35
	v_pk_mul_f32 v[58:59], v[160:161], v[58:59] op_sel_hi:[1,0]
	s_wait_loadcnt 0x3
	v_dual_add_f32 v66, v7, v11 :: v_dual_mov_b32 v68, v101
	v_pk_fma_f32 v[72:73], v[110:111], v[94:95], v[60:61] op_sel_hi:[1,0,1]
	v_fmac_f32_e32 v171, v107, v90
	v_pk_fma_f32 v[70:71], v[108:109], v[92:93], v[58:59] op_sel_hi:[1,0,1]
	v_fma_f32 v170, v106, v90, -v23
	v_pk_add_f32 v[66:67], v[66:67], v[168:169]
	v_pk_fma_f32 v[58:59], v[108:109], v[92:93], v[58:59] neg_lo:[0,0,1] neg_hi:[0,0,1]
	v_pk_fma_f32 v[60:61], v[110:111], v[94:95], v[60:61] neg_lo:[0,0,1] neg_hi:[0,0,1]
	v_pk_mul_f32 v[62:63], v[162:163], v[62:63] op_sel_hi:[1,0]
	v_dual_mov_b32 v59, v71 :: v_dual_mov_b32 v61, v73
	v_pk_add_f32 v[66:67], v[66:67], v[170:171]
	v_pk_mul_f32 v[64:65], v[114:115], v[98:99] op_sel:[1,1] op_sel_hi:[0,1]
	s_delay_alu instid0(VALU_DEP_4)
	v_pk_fma_f32 v[72:73], v[112:113], v[96:97], v[62:63] op_sel_hi:[1,0,1]
	v_pk_fma_f32 v[62:63], v[112:113], v[96:97], v[62:63] neg_lo:[0,0,1] neg_hi:[0,0,1]
	v_pk_mul_f32 v[68:69], v[164:165], v[68:69] op_sel_hi:[1,0]
	v_pk_add_f32 v[58:59], v[66:67], v[58:59]
	v_pk_fma_f32 v[66:67], v[114:115], v[98:99], v[64:65] op_sel_hi:[1,0,1]
	v_mov_b32_e32 v63, v73
	v_pk_fma_f32 v[64:65], v[114:115], v[98:99], v[64:65] neg_lo:[0,0,1] neg_hi:[0,0,1]
	s_wait_loadcnt 0x2
	v_pk_mul_f32 v[70:71], v[118:119], v[102:103] op_sel:[1,1] op_sel_hi:[0,1]
	v_pk_add_f32 v[58:59], v[58:59], v[60:61]
	v_dual_mov_b32 v60, v105 :: v_dual_mov_b32 v65, v67
	v_pk_fma_f32 v[66:67], v[116:117], v[100:101], v[68:69] op_sel_hi:[1,0,1]
	v_pk_fma_f32 v[68:69], v[116:117], v[100:101], v[68:69] neg_lo:[0,0,1] neg_hi:[0,0,1]
	s_delay_alu instid0(VALU_DEP_4)
	v_pk_add_f32 v[58:59], v[58:59], v[62:63]
	v_pk_fma_f32 v[62:63], v[118:119], v[102:103], v[70:71] op_sel_hi:[1,0,1]
	v_pk_mul_f32 v[60:61], v[166:167], v[60:61] op_sel_hi:[1,0]
	v_mov_b32_e32 v69, v67
	s_wait_loadcnt_dscnt 0x100
	v_pk_mul_f32 v[66:67], v[158:159], v[154:155] op_sel:[1,1] op_sel_hi:[0,1]
	v_pk_add_f32 v[58:59], v[58:59], v[64:65]
	v_pk_fma_f32 v[64:65], v[118:119], v[102:103], v[70:71] neg_lo:[0,0,1] neg_hi:[0,0,1]
	v_mov_b32_e32 v65, v63
	v_pk_fma_f32 v[62:63], v[120:121], v[104:105], v[60:61] op_sel_hi:[1,0,1]
	v_pk_fma_f32 v[60:61], v[120:121], v[104:105], v[60:61] neg_lo:[0,0,1] neg_hi:[0,0,1]
	v_pk_add_f32 v[58:59], v[58:59], v[68:69]
	s_delay_alu instid0(VALU_DEP_3) | instskip(SKIP_1) | instid1(VALU_DEP_3)
	v_mov_b32_e32 v61, v63
	v_pk_fma_f32 v[62:63], v[158:159], v[154:155], v[66:67] op_sel_hi:[1,0,1]
	v_pk_add_f32 v[58:59], v[58:59], v[64:65]
	v_pk_fma_f32 v[64:65], v[158:159], v[154:155], v[66:67] neg_lo:[0,0,1] neg_hi:[0,0,1]
	s_delay_alu instid0(VALU_DEP_3) | instskip(NEXT) | instid1(VALU_DEP_3)
	v_mov_b32_e32 v65, v63
	v_pk_add_f32 v[58:59], v[58:59], v[60:61]
	s_delay_alu instid0(VALU_DEP_1) | instskip(SKIP_1) | instid1(VALU_DEP_1)
	v_pk_add_f32 v[58:59], v[58:59], v[64:65]
	s_wait_loadcnt 0x0
	v_pk_add_f32 v[58:59], v[156:157], v[58:59] neg_lo:[0,1] neg_hi:[0,1]
	scratch_store_b64 off, v[58:59], off offset:16
	s_wait_xcnt 0x0
	v_cmpx_lt_u32_e32 1, v0
	s_cbranch_execz .LBB27_179
; %bb.178:
	scratch_load_b64 v[58:59], off, off offset:8
	v_mov_b64_e32 v[60:61], 0
	scratch_store_b64 off, v[60:61], off offset:8
	s_wait_loadcnt 0x0
	ds_store_b64 v1, v[58:59]
.LBB27_179:
	s_wait_xcnt 0x0
	s_or_b32 exec_lo, exec_lo, s0
	s_wait_storecnt_dscnt 0x0
	s_barrier_signal -1
	s_barrier_wait -1
	s_clause 0xd
	scratch_load_b128 v[58:61], off, off offset:16
	scratch_load_b128 v[62:65], off, off offset:32
	;; [unrolled: 1-line block ×13, first 2 shown]
	scratch_load_b64 v[162:163], off, off offset:8
	ds_load_b128 v[110:113], v37 offset:368
	ds_load_b128 v[114:117], v37 offset:384
	;; [unrolled: 1-line block ×13, first 2 shown]
	v_dual_ashrrev_i32 v35, 31, v34 :: v_dual_ashrrev_i32 v5, 31, v4
	v_ashrrev_i32_e32 v7, 31, v6
	v_dual_ashrrev_i32 v11, 31, v10 :: v_dual_ashrrev_i32 v13, 31, v12
	v_dual_ashrrev_i32 v15, 31, v14 :: v_dual_ashrrev_i32 v17, 31, v16
	;; [unrolled: 1-line block ×4, first 2 shown]
	s_wait_dscnt 0xb
	v_dual_mov_b32 v164, v117 :: v_dual_mov_b32 v165, v116
	s_wait_dscnt 0x8
	v_dual_mov_b32 v166, v121 :: v_dual_mov_b32 v171, v128
	v_dual_mov_b32 v167, v120 :: v_dual_mov_b32 v168, v125
	;; [unrolled: 1-line block ×3, first 2 shown]
	v_dual_ashrrev_i32 v27, 31, v26 :: v_dual_ashrrev_i32 v29, 31, v28
	v_dual_ashrrev_i32 v31, 31, v30 :: v_dual_ashrrev_i32 v33, 31, v32
	s_mov_b32 s0, exec_lo
	s_wait_loadcnt_dscnt 0xd07
	v_dual_mul_f32 v37, v130, v59 :: v_dual_mul_f32 v39, v132, v61
	s_wait_loadcnt_dscnt 0xc06
	v_mul_f32_e32 v41, v134, v63
	s_wait_loadcnt_dscnt 0xb05
	v_dual_mul_f32 v177, v131, v59 :: v_dual_mul_f32 v47, v140, v69
	s_wait_loadcnt_dscnt 0xa04
	v_dual_mul_f32 v49, v142, v71 :: v_dual_mul_f32 v178, v133, v61
	s_wait_loadcnt_dscnt 0x600
	v_mul_f32_e32 v176, v160, v89
	v_dual_mul_f32 v69, v141, v69 :: v_dual_fmac_f32 v37, v131, v58
	v_dual_fma_f32 v58, v130, v58, -v177 :: v_dual_mul_f32 v71, v143, v71
	s_wait_loadcnt 0x5
	v_dual_mul_f32 v59, v110, v91 :: v_dual_mul_f32 v61, v112, v93
	v_dual_mul_f32 v63, v135, v63 :: v_dual_fmac_f32 v39, v133, v60
	v_dual_fma_f32 v60, v132, v60, -v178 :: v_dual_add_f32 v37, 0, v37
	v_dual_add_f32 v58, 0, v58 :: v_dual_mul_f32 v43, v136, v65
	v_dual_mul_f32 v45, v138, v67 :: v_dual_mul_f32 v51, v144, v73
	v_dual_mul_f32 v53, v146, v75 :: v_dual_mul_f32 v65, v137, v65
	;; [unrolled: 1-line block ×3, first 2 shown]
	v_dual_fmac_f32 v41, v135, v62 :: v_dual_fma_f32 v62, v134, v62, -v63
	v_dual_add_f32 v37, v37, v39 :: v_dual_add_f32 v39, v58, v60
	v_dual_mul_f32 v58, v147, v75 :: v_dual_fmac_f32 v43, v137, v64
	s_delay_alu instid0(VALU_DEP_2) | instskip(NEXT) | instid1(VALU_DEP_3)
	v_dual_fma_f32 v60, v136, v64, -v65 :: v_dual_add_f32 v37, v37, v41
	v_dual_add_f32 v39, v39, v62 :: v_dual_mul_f32 v41, v149, v77
	v_dual_fmac_f32 v45, v139, v66 :: v_dual_fma_f32 v62, v138, v66, -v67
	s_delay_alu instid0(VALU_DEP_2) | instskip(SKIP_1) | instid1(VALU_DEP_2)
	v_dual_add_f32 v37, v37, v43 :: v_dual_add_f32 v39, v39, v60
	v_dual_mul_f32 v43, v151, v79 :: v_dual_fmac_f32 v47, v141, v68
	v_dual_fmac_f32 v49, v143, v70 :: v_dual_add_f32 v37, v37, v45
	s_delay_alu instid0(VALU_DEP_3) | instskip(SKIP_1) | instid1(VALU_DEP_3)
	v_dual_fma_f32 v60, v140, v68, -v69 :: v_dual_add_f32 v39, v39, v62
	v_dual_mul_f32 v45, v153, v81 :: v_dual_fma_f32 v62, v142, v70, -v71
	v_add_f32_e32 v37, v37, v47
	v_dual_mul_f32 v47, v155, v83 :: v_dual_fmac_f32 v51, v145, v72
	s_delay_alu instid0(VALU_DEP_4) | instskip(NEXT) | instid1(VALU_DEP_3)
	v_dual_add_f32 v39, v39, v60 :: v_dual_mul_f32 v55, v148, v77
	v_dual_mul_f32 v57, v150, v79 :: v_dual_add_f32 v37, v37, v49
	s_delay_alu instid0(VALU_DEP_2) | instskip(SKIP_1) | instid1(VALU_DEP_3)
	v_dual_fma_f32 v60, v144, v72, -v73 :: v_dual_add_f32 v39, v39, v62
	v_dual_mul_f32 v49, v157, v85 :: v_dual_fmac_f32 v53, v147, v74
	v_dual_fma_f32 v58, v146, v74, -v58 :: v_dual_add_f32 v37, v37, v51
	s_delay_alu instid0(VALU_DEP_3) | instskip(SKIP_2) | instid1(VALU_DEP_4)
	v_add_f32_e32 v39, v39, v60
	v_dual_mul_f32 v51, v159, v87 :: v_dual_fmac_f32 v55, v149, v76
	v_dual_mul_f32 v172, v152, v81 :: v_dual_mul_f32 v173, v154, v83
	v_dual_add_f32 v37, v37, v53 :: v_dual_fma_f32 v41, v148, v76, -v41
	s_delay_alu instid0(VALU_DEP_4) | instskip(SKIP_1) | instid1(VALU_DEP_2)
	v_dual_add_f32 v39, v39, v58 :: v_dual_mul_f32 v53, v161, v89
	v_dual_fmac_f32 v57, v151, v78 :: v_dual_fma_f32 v43, v150, v78, -v43
	v_dual_add_f32 v37, v37, v55 :: v_dual_add_f32 v39, v39, v41
	v_dual_fmac_f32 v172, v153, v80 :: v_dual_mul_f32 v41, v111, v91
	s_delay_alu instid0(VALU_DEP_2) | instskip(NEXT) | instid1(VALU_DEP_3)
	v_dual_fma_f32 v45, v152, v80, -v45 :: v_dual_add_f32 v37, v37, v57
	v_dual_add_f32 v39, v39, v43 :: v_dual_mul_f32 v174, v156, v85
	v_dual_mul_f32 v175, v158, v87 :: v_dual_mul_f32 v43, v113, v93
	v_dual_fmac_f32 v173, v155, v82 :: v_dual_fma_f32 v47, v154, v82, -v47
	s_delay_alu instid0(VALU_DEP_3) | instskip(NEXT) | instid1(VALU_DEP_4)
	v_dual_add_f32 v37, v37, v172 :: v_dual_add_f32 v39, v39, v45
	v_dual_fmac_f32 v174, v157, v84 :: v_dual_fma_f32 v45, v156, v84, -v49
	s_wait_loadcnt 0x4
	v_mov_b32_e32 v64, v97
	s_delay_alu instid0(VALU_DEP_3) | instskip(SKIP_2) | instid1(VALU_DEP_3)
	v_dual_add_f32 v37, v37, v173 :: v_dual_add_f32 v39, v39, v47
	v_dual_fmac_f32 v175, v159, v86 :: v_dual_fmac_f32 v176, v161, v88
	v_fma_f32 v47, v158, v86, -v51
	v_dual_add_f32 v37, v37, v174 :: v_dual_add_f32 v39, v39, v45
	v_fma_f32 v45, v160, v88, -v53
	v_pk_mul_f32 v[62:63], v[114:115], v[94:95] op_sel:[1,1] op_sel_hi:[0,1]
	s_wait_loadcnt 0x3
	v_mov_b32_e32 v68, v101
	v_dual_add_f32 v37, v37, v175 :: v_dual_fmac_f32 v59, v111, v90
	v_dual_add_f32 v39, v39, v47 :: v_dual_fma_f32 v58, v110, v90, -v41
	v_fmac_f32_e32 v61, v113, v92
	s_delay_alu instid0(VALU_DEP_3) | instskip(SKIP_1) | instid1(VALU_DEP_4)
	v_add_f32_e32 v71, v37, v176
	v_pk_fma_f32 v[72:73], v[114:115], v[94:95], v[62:63] op_sel_hi:[1,0,1]
	v_dual_add_f32 v70, v39, v45 :: v_dual_fma_f32 v60, v112, v92, -v43
	v_pk_mul_f32 v[64:65], v[164:165], v[64:65] op_sel_hi:[1,0]
	v_pk_fma_f32 v[62:63], v[114:115], v[94:95], v[62:63] neg_lo:[0,0,1] neg_hi:[0,0,1]
	v_pk_mul_f32 v[66:67], v[118:119], v[98:99] op_sel:[1,1] op_sel_hi:[0,1]
	s_delay_alu instid0(VALU_DEP_4)
	v_pk_add_f32 v[58:59], v[70:71], v[58:59]
	v_mov_b32_e32 v63, v73
	v_pk_fma_f32 v[72:73], v[116:117], v[96:97], v[64:65] op_sel_hi:[1,0,1]
	v_pk_fma_f32 v[64:65], v[116:117], v[96:97], v[64:65] neg_lo:[0,0,1] neg_hi:[0,0,1]
	v_pk_mul_f32 v[68:69], v[166:167], v[68:69] op_sel_hi:[1,0]
	v_pk_add_f32 v[58:59], v[58:59], v[60:61]
	v_pk_fma_f32 v[60:61], v[118:119], v[98:99], v[66:67] op_sel_hi:[1,0,1]
	s_wait_loadcnt 0x2
	v_dual_mov_b32 v65, v73 :: v_dual_mov_b32 v60, v105
	v_pk_mul_f32 v[70:71], v[122:123], v[102:103] op_sel:[1,1] op_sel_hi:[0,1]
	v_pk_add_f32 v[58:59], v[58:59], v[62:63]
	v_pk_fma_f32 v[62:63], v[118:119], v[98:99], v[66:67] neg_lo:[0,0,1] neg_hi:[0,0,1]
	v_pk_fma_f32 v[66:67], v[120:121], v[100:101], v[68:69] op_sel_hi:[1,0,1]
	v_mov_b32_e32 v63, v61
	v_pk_mul_f32 v[60:61], v[168:169], v[60:61] op_sel_hi:[1,0]
	v_pk_add_f32 v[58:59], v[58:59], v[64:65]
	v_pk_fma_f32 v[64:65], v[122:123], v[102:103], v[70:71] op_sel_hi:[1,0,1]
	v_pk_fma_f32 v[68:69], v[120:121], v[100:101], v[68:69] neg_lo:[0,0,1] neg_hi:[0,0,1]
	v_mov_b32_e32 v69, v67
	v_pk_fma_f32 v[66:67], v[122:123], v[102:103], v[70:71] neg_lo:[0,0,1] neg_hi:[0,0,1]
	v_pk_add_f32 v[58:59], v[58:59], v[62:63]
	v_mov_b32_e32 v67, v65
	v_pk_fma_f32 v[64:65], v[124:125], v[104:105], v[60:61] op_sel_hi:[1,0,1]
	s_wait_loadcnt 0x1
	v_pk_mul_f32 v[62:63], v[126:127], v[106:107] op_sel:[1,1] op_sel_hi:[0,1]
	v_mov_b32_e32 v64, v109
	v_pk_add_f32 v[58:59], v[58:59], v[68:69]
	v_pk_fma_f32 v[60:61], v[124:125], v[104:105], v[60:61] neg_lo:[0,0,1] neg_hi:[0,0,1]
	v_dual_mov_b32 v61, v65 :: v_dual_ashrrev_i32 v37, 31, v36
	v_pk_fma_f32 v[68:69], v[126:127], v[106:107], v[62:63] op_sel_hi:[1,0,1]
	s_delay_alu instid0(VALU_DEP_4) | instskip(SKIP_2) | instid1(VALU_DEP_4)
	v_pk_add_f32 v[58:59], v[58:59], v[66:67]
	v_pk_mul_f32 v[64:65], v[170:171], v[64:65] op_sel_hi:[1,0]
	v_pk_fma_f32 v[62:63], v[126:127], v[106:107], v[62:63] neg_lo:[0,0,1] neg_hi:[0,0,1]
	v_dual_ashrrev_i32 v39, 31, v38 :: v_dual_mov_b32 v63, v69
	s_delay_alu instid0(VALU_DEP_4) | instskip(NEXT) | instid1(VALU_DEP_4)
	v_pk_add_f32 v[58:59], v[58:59], v[60:61]
	v_pk_fma_f32 v[60:61], v[128:129], v[108:109], v[64:65] op_sel_hi:[1,0,1]
	v_pk_fma_f32 v[64:65], v[128:129], v[108:109], v[64:65] neg_lo:[0,0,1] neg_hi:[0,0,1]
	v_dual_ashrrev_i32 v41, 31, v40 :: v_dual_ashrrev_i32 v43, 31, v42
	v_ashrrev_i32_e32 v45, 31, v44
	v_pk_add_f32 v[58:59], v[58:59], v[62:63]
	v_dual_mov_b32 v65, v61 :: v_dual_ashrrev_i32 v47, 31, v46
	v_dual_ashrrev_i32 v49, 31, v48 :: v_dual_ashrrev_i32 v51, 31, v50
	v_ashrrev_i32_e32 v53, 31, v52
	s_delay_alu instid0(VALU_DEP_3) | instskip(SKIP_2) | instid1(VALU_DEP_2)
	v_pk_add_f32 v[58:59], v[58:59], v[64:65]
	v_dual_ashrrev_i32 v55, 31, v54 :: v_dual_ashrrev_i32 v57, 31, v56
	s_wait_loadcnt 0x0
	v_pk_add_f32 v[58:59], v[162:163], v[58:59] neg_lo:[0,1] neg_hi:[0,1]
	scratch_store_b64 off, v[58:59], off offset:8
	s_wait_xcnt 0x0
	v_cmpx_ne_u32_e32 0, v0
	s_cbranch_execz .LBB27_181
; %bb.180:
	scratch_load_b64 v[58:59], off, off
	v_mov_b64_e32 v[60:61], 0
	scratch_store_b64 off, v[60:61], off
	s_wait_loadcnt 0x0
	ds_store_b64 v1, v[58:59]
.LBB27_181:
	s_wait_xcnt 0x0
	s_or_b32 exec_lo, exec_lo, s0
	s_wait_storecnt_dscnt 0x0
	s_barrier_signal -1
	s_barrier_wait -1
	s_clause 0xe
	scratch_load_b128 v[60:63], off, off offset:8
	scratch_load_b128 v[64:67], off, off offset:24
	;; [unrolled: 1-line block ×13, first 2 shown]
	scratch_load_b64 v[0:1], off, off offset:216
	scratch_load_b64 v[164:165], off, off
	v_mov_b32_e32 v58, 0
	ds_load_2addr_b64 v[112:115], v58 offset0:47 offset1:48
	ds_load_2addr_b64 v[116:119], v58 offset0:49 offset1:50
	;; [unrolled: 1-line block ×13, first 2 shown]
	ds_load_b64 v[166:167], v58 offset:440
	s_and_b32 vcc_lo, exec_lo, s18
	s_wait_dscnt 0xd
	v_dual_mov_b32 v168, v115 :: v_dual_mov_b32 v169, v114
	s_wait_dscnt 0xa
	v_dual_mov_b32 v170, v119 :: v_dual_mov_b32 v175, v126
	v_dual_mov_b32 v171, v118 :: v_dual_mov_b32 v172, v123
	;; [unrolled: 1-line block ×3, first 2 shown]
	s_wait_loadcnt_dscnt 0xe09
	v_dual_mul_f32 v59, v128, v61 :: v_dual_mul_f32 v61, v129, v61
	s_wait_loadcnt_dscnt 0xd08
	v_dual_mul_f32 v176, v130, v63 :: v_dual_mul_f32 v178, v132, v65
	;; [unrolled: 2-line block ×3, first 2 shown]
	v_dual_mul_f32 v63, v131, v63 :: v_dual_mul_f32 v73, v145, v73
	v_dual_fmac_f32 v59, v129, v60 :: v_dual_fma_f32 v60, v128, v60, -v61
	v_dual_mul_f32 v65, v133, v65 :: v_dual_mul_f32 v61, v147, v75
	s_delay_alu instid0(VALU_DEP_3) | instskip(NEXT) | instid1(VALU_DEP_3)
	v_dual_fmac_f32 v176, v131, v62 :: v_dual_fma_f32 v62, v130, v62, -v63
	v_dual_add_f32 v59, 0, v59 :: v_dual_add_f32 v60, 0, v60
	v_dual_mul_f32 v180, v134, v67 :: v_dual_mul_f32 v181, v136, v69
	s_wait_loadcnt_dscnt 0xa04
	v_dual_mul_f32 v67, v135, v67 :: v_dual_mul_f32 v63, v149, v77
	s_delay_alu instid0(VALU_DEP_3) | instskip(SKIP_1) | instid1(VALU_DEP_3)
	v_dual_fmac_f32 v178, v133, v64 :: v_dual_add_f32 v60, v60, v62
	v_fma_f32 v64, v132, v64, -v65
	v_dual_add_f32 v59, v59, v176 :: v_dual_fma_f32 v65, v134, v66, -v67
	v_dual_mul_f32 v69, v137, v69 :: v_dual_mul_f32 v71, v139, v71
	s_delay_alu instid0(VALU_DEP_3)
	v_dual_mul_f32 v62, v151, v79 :: v_dual_add_f32 v60, v60, v64
	s_wait_loadcnt_dscnt 0x903
	v_dual_fmac_f32 v180, v135, v66 :: v_dual_mul_f32 v64, v153, v81
	v_dual_add_f32 v59, v59, v178 :: v_dual_fmac_f32 v181, v137, v68
	v_fma_f32 v66, v136, v68, -v69
	v_dual_add_f32 v60, v60, v65 :: v_dual_mul_f32 v65, v155, v83
	s_delay_alu instid0(VALU_DEP_3) | instskip(SKIP_1) | instid1(VALU_DEP_3)
	v_add_f32_e32 v59, v59, v180
	v_dual_fmac_f32 v182, v139, v70 :: v_dual_fma_f32 v67, v138, v70, -v71
	v_dual_add_f32 v60, v60, v66 :: v_dual_mul_f32 v184, v146, v75
	v_mul_f32_e32 v185, v148, v77
	s_delay_alu instid0(VALU_DEP_4)
	v_add_f32_e32 v59, v59, v181
	s_wait_loadcnt_dscnt 0x802
	v_dual_mul_f32 v66, v157, v85 :: v_dual_fma_f32 v68, v144, v72, -v73
	v_dual_fmac_f32 v183, v145, v72 :: v_dual_add_f32 v60, v60, v67
	v_fmac_f32_e32 v184, v147, v74
	v_add_f32_e32 v59, v59, v182
	v_dual_mul_f32 v67, v159, v87 :: v_dual_fma_f32 v61, v146, v74, -v61
	s_delay_alu instid0(VALU_DEP_4) | instskip(NEXT) | instid1(VALU_DEP_3)
	v_dual_add_f32 v60, v60, v68 :: v_dual_mul_f32 v186, v150, v79
	v_dual_mul_f32 v187, v152, v81 :: v_dual_add_f32 v59, v59, v183
	s_wait_loadcnt_dscnt 0x701
	v_dual_mul_f32 v68, v161, v89 :: v_dual_fma_f32 v63, v148, v76, -v63
	s_delay_alu instid0(VALU_DEP_3) | instskip(NEXT) | instid1(VALU_DEP_3)
	v_dual_fmac_f32 v185, v149, v76 :: v_dual_add_f32 v60, v60, v61
	v_dual_add_f32 v59, v59, v184 :: v_dual_fma_f32 v62, v150, v78, -v62
	v_dual_fmac_f32 v186, v151, v78 :: v_dual_mul_f32 v188, v154, v83
	v_mul_f32_e32 v189, v156, v85
	s_delay_alu instid0(VALU_DEP_3) | instskip(SKIP_3) | instid1(VALU_DEP_3)
	v_dual_add_f32 v59, v59, v185 :: v_dual_fmac_f32 v187, v153, v80
	v_add_f32_e32 v60, v60, v63
	s_wait_loadcnt 0x6
	v_dual_fma_f32 v63, v152, v80, -v64 :: v_dual_mul_f32 v70, v143, v95
	v_add_f32_e32 v59, v59, v186
	v_fmac_f32_e32 v188, v155, v82
	v_add_f32_e32 v60, v60, v62
	v_fma_f32 v62, v154, v82, -v65
	v_dual_mul_f32 v190, v158, v87 :: v_dual_mul_f32 v191, v160, v89
	s_wait_loadcnt 0x5
	v_dual_add_f32 v59, v59, v187 :: v_dual_mul_f32 v65, v113, v97
	v_dual_add_f32 v60, v60, v63 :: v_dual_fmac_f32 v189, v157, v84
	v_fma_f32 v63, v156, v84, -v66
	s_delay_alu instid0(VALU_DEP_3) | instskip(SKIP_1) | instid1(VALU_DEP_4)
	v_add_f32_e32 v59, v59, v188
	v_dual_fmac_f32 v190, v159, v86 :: v_dual_fma_f32 v64, v158, v86, -v67
	v_dual_add_f32 v62, v60, v62 :: v_dual_mov_b32 v60, v99
	s_delay_alu instid0(VALU_DEP_3) | instskip(NEXT) | instid1(VALU_DEP_2)
	v_dual_add_f32 v59, v59, v189 :: v_dual_mul_f32 v192, v162, v91
	v_dual_mul_f32 v193, v140, v93 :: v_dual_add_f32 v66, v62, v63
	v_dual_mul_f32 v61, v163, v91 :: v_dual_mul_f32 v69, v141, v93
	v_dual_fmac_f32 v191, v161, v88 :: v_dual_fma_f32 v67, v160, v88, -v68
	s_delay_alu instid0(VALU_DEP_3) | instskip(SKIP_1) | instid1(VALU_DEP_3)
	v_dual_add_f32 v59, v59, v190 :: v_dual_add_f32 v66, v66, v64
	s_wait_loadcnt 0x4
	v_dual_mov_b32 v64, v103 :: v_dual_fma_f32 v61, v162, v90, -v61
	v_fmac_f32_e32 v192, v163, v90
	s_delay_alu instid0(VALU_DEP_3) | instskip(SKIP_3) | instid1(VALU_DEP_3)
	v_dual_add_f32 v59, v59, v191 :: v_dual_fmac_f32 v193, v141, v92
	v_add_f32_e32 v68, v66, v67
	v_dual_mul_f32 v177, v142, v95 :: v_dual_mul_f32 v179, v112, v97
	v_dual_fma_f32 v71, v140, v92, -v69 :: v_dual_fma_f32 v176, v142, v94, -v70
	v_dual_add_f32 v59, v59, v192 :: v_dual_add_f32 v68, v68, v61
	s_delay_alu instid0(VALU_DEP_3) | instskip(SKIP_2) | instid1(VALU_DEP_4)
	v_fmac_f32_e32 v177, v143, v94
	v_pk_mul_f32 v[60:61], v[168:169], v[60:61] op_sel_hi:[1,0]
	v_pk_mul_f32 v[62:63], v[116:117], v[100:101] op_sel:[1,1] op_sel_hi:[0,1]
	v_dual_add_f32 v69, v59, v193 :: v_dual_fmac_f32 v179, v113, v96
	s_wait_loadcnt 0x3
	v_dual_add_f32 v68, v68, v71 :: v_dual_mov_b32 v70, v107
	v_fma_f32 v178, v112, v96, -v65
	v_pk_fma_f32 v[72:73], v[114:115], v[98:99], v[60:61] op_sel_hi:[1,0,1]
	v_pk_fma_f32 v[60:61], v[114:115], v[98:99], v[60:61] neg_lo:[0,0,1] neg_hi:[0,0,1]
	s_delay_alu instid0(VALU_DEP_4)
	v_pk_add_f32 v[68:69], v[68:69], v[176:177]
	v_pk_fma_f32 v[74:75], v[116:117], v[100:101], v[62:63] op_sel_hi:[1,0,1]
	v_pk_mul_f32 v[64:65], v[170:171], v[64:65] op_sel_hi:[1,0]
	v_mov_b32_e32 v61, v73
	v_pk_fma_f32 v[62:63], v[116:117], v[100:101], v[62:63] neg_lo:[0,0,1] neg_hi:[0,0,1]
	v_pk_add_f32 v[68:69], v[68:69], v[178:179]
	v_pk_mul_f32 v[66:67], v[120:121], v[104:105] op_sel:[1,1] op_sel_hi:[0,1]
	v_mov_b32_e32 v63, v75
	v_pk_fma_f32 v[74:75], v[118:119], v[102:103], v[64:65] op_sel_hi:[1,0,1]
	v_pk_fma_f32 v[64:65], v[118:119], v[102:103], v[64:65] neg_lo:[0,0,1] neg_hi:[0,0,1]
	v_pk_add_f32 v[60:61], v[68:69], v[60:61]
	v_pk_fma_f32 v[68:69], v[120:121], v[104:105], v[66:67] op_sel_hi:[1,0,1]
	v_pk_mul_f32 v[70:71], v[172:173], v[70:71] op_sel_hi:[1,0]
	v_mov_b32_e32 v65, v75
	v_pk_fma_f32 v[66:67], v[120:121], v[104:105], v[66:67] neg_lo:[0,0,1] neg_hi:[0,0,1]
	v_pk_add_f32 v[60:61], v[60:61], v[62:63]
	s_wait_loadcnt 0x2
	v_pk_mul_f32 v[72:73], v[124:125], v[108:109] op_sel:[1,1] op_sel_hi:[0,1]
	v_dual_mov_b32 v62, v111 :: v_dual_mov_b32 v67, v69
	v_pk_fma_f32 v[68:69], v[122:123], v[106:107], v[70:71] op_sel_hi:[1,0,1]
	v_pk_add_f32 v[60:61], v[60:61], v[64:65]
	v_pk_fma_f32 v[70:71], v[122:123], v[106:107], v[70:71] neg_lo:[0,0,1] neg_hi:[0,0,1]
	v_pk_fma_f32 v[64:65], v[124:125], v[108:109], v[72:73] op_sel_hi:[1,0,1]
	v_pk_mul_f32 v[62:63], v[174:175], v[62:63] op_sel_hi:[1,0]
	v_mov_b32_e32 v71, v69
	v_pk_add_f32 v[60:61], v[60:61], v[66:67]
	v_pk_fma_f32 v[68:69], v[124:125], v[108:109], v[72:73] neg_lo:[0,0,1] neg_hi:[0,0,1]
	s_wait_loadcnt_dscnt 0x100
	v_pk_mul_f32 v[66:67], v[166:167], v[0:1] op_sel:[1,1] op_sel_hi:[0,1]
	v_mov_b32_e32 v69, v65
	v_pk_fma_f32 v[64:65], v[126:127], v[110:111], v[62:63] op_sel_hi:[1,0,1]
	v_pk_add_f32 v[60:61], v[60:61], v[70:71]
	v_pk_fma_f32 v[62:63], v[126:127], v[110:111], v[62:63] neg_lo:[0,0,1] neg_hi:[0,0,1]
	v_pk_fma_f32 v[70:71], v[166:167], v[0:1], v[66:67] op_sel_hi:[1,0,1]
	v_pk_fma_f32 v[0:1], v[166:167], v[0:1], v[66:67] neg_lo:[0,0,1] neg_hi:[0,0,1]
	v_mov_b32_e32 v63, v65
	v_pk_add_f32 v[60:61], v[60:61], v[68:69]
	s_delay_alu instid0(VALU_DEP_4) | instskip(NEXT) | instid1(VALU_DEP_2)
	v_mov_b32_e32 v1, v71
	v_pk_add_f32 v[60:61], v[60:61], v[62:63]
	s_delay_alu instid0(VALU_DEP_1) | instskip(SKIP_1) | instid1(VALU_DEP_1)
	v_pk_add_f32 v[0:1], v[60:61], v[0:1]
	s_wait_loadcnt 0x0
	v_pk_add_f32 v[0:1], v[164:165], v[0:1] neg_lo:[0,1] neg_hi:[0,1]
	scratch_store_b64 off, v[0:1], off
	s_cbranch_vccz .LBB27_236
; %bb.182:
	global_load_b32 v0, v58, s[2:3] offset:104
	s_wait_loadcnt 0x0
	v_cmp_ne_u32_e32 vcc_lo, 27, v0
	s_cbranch_vccz .LBB27_184
; %bb.183:
	v_lshlrev_b32_e32 v0, 3, v0
	s_delay_alu instid0(VALU_DEP_1)
	v_mov_b32_e32 v60, v0
	scratch_load_b64 v[0:1], v60, off offset:-8
	scratch_load_b64 v[58:59], off, off offset:208
	s_wait_loadcnt 0x1
	scratch_store_b64 off, v[0:1], off offset:208
	s_wait_loadcnt 0x0
	scratch_store_b64 v60, v[58:59], off offset:-8
.LBB27_184:
	s_wait_xcnt 0x1
	v_mov_b32_e32 v0, 0
	global_load_b32 v1, v0, s[2:3] offset:100
	s_wait_loadcnt 0x0
	v_cmp_eq_u32_e32 vcc_lo, 26, v1
	s_cbranch_vccnz .LBB27_186
; %bb.185:
	v_lshlrev_b32_e32 v1, 3, v1
	scratch_load_b64 v[58:59], v1, off offset:-8
	scratch_load_b64 v[60:61], off, off offset:200
	s_wait_loadcnt 0x1
	scratch_store_b64 off, v[58:59], off offset:200
	s_wait_loadcnt 0x0
	scratch_store_b64 v1, v[60:61], off offset:-8
.LBB27_186:
	global_load_b32 v0, v0, s[2:3] offset:96
	s_wait_loadcnt 0x0
	v_cmp_eq_u32_e32 vcc_lo, 25, v0
	s_cbranch_vccnz .LBB27_188
; %bb.187:
	s_wait_xcnt 0x0
	v_lshlrev_b32_e32 v0, 3, v0
	s_delay_alu instid0(VALU_DEP_1)
	v_mov_b32_e32 v60, v0
	scratch_load_b64 v[0:1], v60, off offset:-8
	scratch_load_b64 v[58:59], off, off offset:192
	s_wait_loadcnt 0x1
	scratch_store_b64 off, v[0:1], off offset:192
	s_wait_loadcnt 0x0
	scratch_store_b64 v60, v[58:59], off offset:-8
.LBB27_188:
	s_wait_xcnt 0x0
	v_mov_b32_e32 v0, 0
	global_load_b32 v1, v0, s[2:3] offset:92
	s_wait_loadcnt 0x0
	v_cmp_eq_u32_e32 vcc_lo, 24, v1
	s_cbranch_vccnz .LBB27_190
; %bb.189:
	v_lshlrev_b32_e32 v1, 3, v1
	scratch_load_b64 v[58:59], v1, off offset:-8
	scratch_load_b64 v[60:61], off, off offset:184
	s_wait_loadcnt 0x1
	scratch_store_b64 off, v[58:59], off offset:184
	s_wait_loadcnt 0x0
	scratch_store_b64 v1, v[60:61], off offset:-8
.LBB27_190:
	global_load_b32 v0, v0, s[2:3] offset:88
	s_wait_loadcnt 0x0
	v_cmp_eq_u32_e32 vcc_lo, 23, v0
	s_cbranch_vccnz .LBB27_192
; %bb.191:
	s_wait_xcnt 0x0
	v_lshlrev_b32_e32 v0, 3, v0
	s_delay_alu instid0(VALU_DEP_1)
	v_mov_b32_e32 v60, v0
	scratch_load_b64 v[0:1], v60, off offset:-8
	scratch_load_b64 v[58:59], off, off offset:176
	s_wait_loadcnt 0x1
	scratch_store_b64 off, v[0:1], off offset:176
	s_wait_loadcnt 0x0
	scratch_store_b64 v60, v[58:59], off offset:-8
.LBB27_192:
	s_wait_xcnt 0x0
	v_mov_b32_e32 v0, 0
	global_load_b32 v1, v0, s[2:3] offset:84
	s_wait_loadcnt 0x0
	v_cmp_eq_u32_e32 vcc_lo, 22, v1
	s_cbranch_vccnz .LBB27_194
; %bb.193:
	v_lshlrev_b32_e32 v1, 3, v1
	scratch_load_b64 v[58:59], v1, off offset:-8
	scratch_load_b64 v[60:61], off, off offset:168
	s_wait_loadcnt 0x1
	scratch_store_b64 off, v[58:59], off offset:168
	s_wait_loadcnt 0x0
	scratch_store_b64 v1, v[60:61], off offset:-8
.LBB27_194:
	global_load_b32 v0, v0, s[2:3] offset:80
	s_wait_loadcnt 0x0
	v_cmp_eq_u32_e32 vcc_lo, 21, v0
	s_cbranch_vccnz .LBB27_196
; %bb.195:
	s_wait_xcnt 0x0
	v_lshlrev_b32_e32 v0, 3, v0
	s_delay_alu instid0(VALU_DEP_1)
	v_mov_b32_e32 v60, v0
	scratch_load_b64 v[0:1], v60, off offset:-8
	scratch_load_b64 v[58:59], off, off offset:160
	s_wait_loadcnt 0x1
	scratch_store_b64 off, v[0:1], off offset:160
	s_wait_loadcnt 0x0
	scratch_store_b64 v60, v[58:59], off offset:-8
.LBB27_196:
	s_wait_xcnt 0x0
	v_mov_b32_e32 v0, 0
	global_load_b32 v1, v0, s[2:3] offset:76
	s_wait_loadcnt 0x0
	v_cmp_eq_u32_e32 vcc_lo, 20, v1
	s_cbranch_vccnz .LBB27_198
; %bb.197:
	v_lshlrev_b32_e32 v1, 3, v1
	scratch_load_b64 v[58:59], v1, off offset:-8
	scratch_load_b64 v[60:61], off, off offset:152
	s_wait_loadcnt 0x1
	scratch_store_b64 off, v[58:59], off offset:152
	s_wait_loadcnt 0x0
	scratch_store_b64 v1, v[60:61], off offset:-8
.LBB27_198:
	global_load_b32 v0, v0, s[2:3] offset:72
	s_wait_loadcnt 0x0
	v_cmp_eq_u32_e32 vcc_lo, 19, v0
	s_cbranch_vccnz .LBB27_200
; %bb.199:
	s_wait_xcnt 0x0
	v_lshlrev_b32_e32 v0, 3, v0
	s_delay_alu instid0(VALU_DEP_1)
	v_mov_b32_e32 v60, v0
	scratch_load_b64 v[0:1], v60, off offset:-8
	scratch_load_b64 v[58:59], off, off offset:144
	s_wait_loadcnt 0x1
	scratch_store_b64 off, v[0:1], off offset:144
	s_wait_loadcnt 0x0
	scratch_store_b64 v60, v[58:59], off offset:-8
.LBB27_200:
	s_wait_xcnt 0x0
	v_mov_b32_e32 v0, 0
	global_load_b32 v1, v0, s[2:3] offset:68
	s_wait_loadcnt 0x0
	v_cmp_eq_u32_e32 vcc_lo, 18, v1
	s_cbranch_vccnz .LBB27_202
; %bb.201:
	v_lshlrev_b32_e32 v1, 3, v1
	scratch_load_b64 v[58:59], v1, off offset:-8
	scratch_load_b64 v[60:61], off, off offset:136
	s_wait_loadcnt 0x1
	scratch_store_b64 off, v[58:59], off offset:136
	s_wait_loadcnt 0x0
	scratch_store_b64 v1, v[60:61], off offset:-8
.LBB27_202:
	global_load_b32 v0, v0, s[2:3] offset:64
	s_wait_loadcnt 0x0
	v_cmp_eq_u32_e32 vcc_lo, 17, v0
	s_cbranch_vccnz .LBB27_204
; %bb.203:
	s_wait_xcnt 0x0
	v_lshlrev_b32_e32 v0, 3, v0
	s_delay_alu instid0(VALU_DEP_1)
	v_mov_b32_e32 v60, v0
	scratch_load_b64 v[0:1], v60, off offset:-8
	scratch_load_b64 v[58:59], off, off offset:128
	s_wait_loadcnt 0x1
	scratch_store_b64 off, v[0:1], off offset:128
	s_wait_loadcnt 0x0
	scratch_store_b64 v60, v[58:59], off offset:-8
.LBB27_204:
	s_wait_xcnt 0x0
	v_mov_b32_e32 v0, 0
	global_load_b32 v1, v0, s[2:3] offset:60
	s_wait_loadcnt 0x0
	v_cmp_eq_u32_e32 vcc_lo, 16, v1
	s_cbranch_vccnz .LBB27_206
; %bb.205:
	v_lshlrev_b32_e32 v1, 3, v1
	scratch_load_b64 v[58:59], v1, off offset:-8
	scratch_load_b64 v[60:61], off, off offset:120
	s_wait_loadcnt 0x1
	scratch_store_b64 off, v[58:59], off offset:120
	s_wait_loadcnt 0x0
	scratch_store_b64 v1, v[60:61], off offset:-8
.LBB27_206:
	global_load_b32 v0, v0, s[2:3] offset:56
	s_wait_loadcnt 0x0
	v_cmp_eq_u32_e32 vcc_lo, 15, v0
	s_cbranch_vccnz .LBB27_208
; %bb.207:
	s_wait_xcnt 0x0
	v_lshlrev_b32_e32 v0, 3, v0
	s_delay_alu instid0(VALU_DEP_1)
	v_mov_b32_e32 v60, v0
	scratch_load_b64 v[0:1], v60, off offset:-8
	scratch_load_b64 v[58:59], off, off offset:112
	s_wait_loadcnt 0x1
	scratch_store_b64 off, v[0:1], off offset:112
	s_wait_loadcnt 0x0
	scratch_store_b64 v60, v[58:59], off offset:-8
.LBB27_208:
	s_wait_xcnt 0x0
	v_mov_b32_e32 v0, 0
	global_load_b32 v1, v0, s[2:3] offset:52
	s_wait_loadcnt 0x0
	v_cmp_eq_u32_e32 vcc_lo, 14, v1
	s_cbranch_vccnz .LBB27_210
; %bb.209:
	v_lshlrev_b32_e32 v1, 3, v1
	scratch_load_b64 v[58:59], v1, off offset:-8
	scratch_load_b64 v[60:61], off, off offset:104
	s_wait_loadcnt 0x1
	scratch_store_b64 off, v[58:59], off offset:104
	s_wait_loadcnt 0x0
	scratch_store_b64 v1, v[60:61], off offset:-8
.LBB27_210:
	global_load_b32 v0, v0, s[2:3] offset:48
	s_wait_loadcnt 0x0
	v_cmp_eq_u32_e32 vcc_lo, 13, v0
	s_cbranch_vccnz .LBB27_212
; %bb.211:
	s_wait_xcnt 0x0
	v_lshlrev_b32_e32 v0, 3, v0
	s_delay_alu instid0(VALU_DEP_1)
	v_mov_b32_e32 v60, v0
	scratch_load_b64 v[0:1], v60, off offset:-8
	scratch_load_b64 v[58:59], off, off offset:96
	s_wait_loadcnt 0x1
	scratch_store_b64 off, v[0:1], off offset:96
	s_wait_loadcnt 0x0
	scratch_store_b64 v60, v[58:59], off offset:-8
.LBB27_212:
	s_wait_xcnt 0x0
	v_mov_b32_e32 v0, 0
	global_load_b32 v1, v0, s[2:3] offset:44
	s_wait_loadcnt 0x0
	v_cmp_eq_u32_e32 vcc_lo, 12, v1
	s_cbranch_vccnz .LBB27_214
; %bb.213:
	v_lshlrev_b32_e32 v1, 3, v1
	scratch_load_b64 v[58:59], v1, off offset:-8
	scratch_load_b64 v[60:61], off, off offset:88
	s_wait_loadcnt 0x1
	scratch_store_b64 off, v[58:59], off offset:88
	s_wait_loadcnt 0x0
	scratch_store_b64 v1, v[60:61], off offset:-8
.LBB27_214:
	global_load_b32 v0, v0, s[2:3] offset:40
	s_wait_loadcnt 0x0
	v_cmp_eq_u32_e32 vcc_lo, 11, v0
	s_cbranch_vccnz .LBB27_216
; %bb.215:
	s_wait_xcnt 0x0
	v_lshlrev_b32_e32 v0, 3, v0
	s_delay_alu instid0(VALU_DEP_1)
	v_mov_b32_e32 v60, v0
	scratch_load_b64 v[0:1], v60, off offset:-8
	scratch_load_b64 v[58:59], off, off offset:80
	s_wait_loadcnt 0x1
	scratch_store_b64 off, v[0:1], off offset:80
	s_wait_loadcnt 0x0
	scratch_store_b64 v60, v[58:59], off offset:-8
.LBB27_216:
	s_wait_xcnt 0x0
	v_mov_b32_e32 v0, 0
	global_load_b32 v1, v0, s[2:3] offset:36
	s_wait_loadcnt 0x0
	v_cmp_eq_u32_e32 vcc_lo, 10, v1
	s_cbranch_vccnz .LBB27_218
; %bb.217:
	v_lshlrev_b32_e32 v1, 3, v1
	scratch_load_b64 v[58:59], v1, off offset:-8
	scratch_load_b64 v[60:61], off, off offset:72
	s_wait_loadcnt 0x1
	scratch_store_b64 off, v[58:59], off offset:72
	s_wait_loadcnt 0x0
	scratch_store_b64 v1, v[60:61], off offset:-8
.LBB27_218:
	global_load_b32 v0, v0, s[2:3] offset:32
	s_wait_loadcnt 0x0
	v_cmp_eq_u32_e32 vcc_lo, 9, v0
	s_cbranch_vccnz .LBB27_220
; %bb.219:
	s_wait_xcnt 0x0
	v_lshlrev_b32_e32 v0, 3, v0
	s_delay_alu instid0(VALU_DEP_1)
	v_mov_b32_e32 v60, v0
	scratch_load_b64 v[0:1], v60, off offset:-8
	scratch_load_b64 v[58:59], off, off offset:64
	s_wait_loadcnt 0x1
	scratch_store_b64 off, v[0:1], off offset:64
	s_wait_loadcnt 0x0
	scratch_store_b64 v60, v[58:59], off offset:-8
.LBB27_220:
	s_wait_xcnt 0x0
	v_mov_b32_e32 v0, 0
	global_load_b32 v1, v0, s[2:3] offset:28
	s_wait_loadcnt 0x0
	v_cmp_eq_u32_e32 vcc_lo, 8, v1
	s_cbranch_vccnz .LBB27_222
; %bb.221:
	v_lshlrev_b32_e32 v1, 3, v1
	scratch_load_b64 v[58:59], v1, off offset:-8
	scratch_load_b64 v[60:61], off, off offset:56
	s_wait_loadcnt 0x1
	scratch_store_b64 off, v[58:59], off offset:56
	s_wait_loadcnt 0x0
	scratch_store_b64 v1, v[60:61], off offset:-8
.LBB27_222:
	global_load_b32 v0, v0, s[2:3] offset:24
	s_wait_loadcnt 0x0
	v_cmp_eq_u32_e32 vcc_lo, 7, v0
	s_cbranch_vccnz .LBB27_224
; %bb.223:
	s_wait_xcnt 0x0
	v_lshlrev_b32_e32 v0, 3, v0
	s_delay_alu instid0(VALU_DEP_1)
	v_mov_b32_e32 v60, v0
	scratch_load_b64 v[0:1], v60, off offset:-8
	scratch_load_b64 v[58:59], off, off offset:48
	s_wait_loadcnt 0x1
	scratch_store_b64 off, v[0:1], off offset:48
	s_wait_loadcnt 0x0
	scratch_store_b64 v60, v[58:59], off offset:-8
.LBB27_224:
	s_wait_xcnt 0x0
	v_mov_b32_e32 v0, 0
	global_load_b32 v1, v0, s[2:3] offset:20
	s_wait_loadcnt 0x0
	v_cmp_eq_u32_e32 vcc_lo, 6, v1
	s_cbranch_vccnz .LBB27_226
; %bb.225:
	v_lshlrev_b32_e32 v1, 3, v1
	scratch_load_b64 v[58:59], v1, off offset:-8
	scratch_load_b64 v[60:61], off, off offset:40
	s_wait_loadcnt 0x1
	scratch_store_b64 off, v[58:59], off offset:40
	s_wait_loadcnt 0x0
	scratch_store_b64 v1, v[60:61], off offset:-8
.LBB27_226:
	global_load_b32 v0, v0, s[2:3] offset:16
	s_wait_loadcnt 0x0
	v_cmp_eq_u32_e32 vcc_lo, 5, v0
	s_cbranch_vccnz .LBB27_228
; %bb.227:
	s_wait_xcnt 0x0
	v_lshlrev_b32_e32 v0, 3, v0
	s_delay_alu instid0(VALU_DEP_1)
	v_mov_b32_e32 v60, v0
	scratch_load_b64 v[0:1], v60, off offset:-8
	scratch_load_b64 v[58:59], off, off offset:32
	s_wait_loadcnt 0x1
	scratch_store_b64 off, v[0:1], off offset:32
	s_wait_loadcnt 0x0
	scratch_store_b64 v60, v[58:59], off offset:-8
.LBB27_228:
	s_wait_xcnt 0x0
	v_mov_b32_e32 v0, 0
	global_load_b32 v1, v0, s[2:3] offset:12
	s_wait_loadcnt 0x0
	v_cmp_eq_u32_e32 vcc_lo, 4, v1
	s_cbranch_vccnz .LBB27_230
; %bb.229:
	v_lshlrev_b32_e32 v1, 3, v1
	scratch_load_b64 v[58:59], v1, off offset:-8
	scratch_load_b64 v[60:61], off, off offset:24
	s_wait_loadcnt 0x1
	scratch_store_b64 off, v[58:59], off offset:24
	s_wait_loadcnt 0x0
	scratch_store_b64 v1, v[60:61], off offset:-8
.LBB27_230:
	global_load_b32 v0, v0, s[2:3] offset:8
	s_wait_loadcnt 0x0
	v_cmp_eq_u32_e32 vcc_lo, 3, v0
	s_cbranch_vccnz .LBB27_232
; %bb.231:
	s_wait_xcnt 0x0
	v_lshlrev_b32_e32 v0, 3, v0
	s_delay_alu instid0(VALU_DEP_1)
	v_mov_b32_e32 v60, v0
	scratch_load_b64 v[0:1], v60, off offset:-8
	scratch_load_b64 v[58:59], off, off offset:16
	s_wait_loadcnt 0x1
	scratch_store_b64 off, v[0:1], off offset:16
	s_wait_loadcnt 0x0
	scratch_store_b64 v60, v[58:59], off offset:-8
.LBB27_232:
	s_wait_xcnt 0x0
	v_mov_b32_e32 v0, 0
	global_load_b32 v1, v0, s[2:3] offset:4
	s_wait_loadcnt 0x0
	v_cmp_eq_u32_e32 vcc_lo, 2, v1
	s_cbranch_vccnz .LBB27_234
; %bb.233:
	v_lshlrev_b32_e32 v1, 3, v1
	scratch_load_b64 v[58:59], v1, off offset:-8
	scratch_load_b64 v[60:61], off, off offset:8
	s_wait_loadcnt 0x1
	scratch_store_b64 off, v[58:59], off offset:8
	s_wait_loadcnt 0x0
	scratch_store_b64 v1, v[60:61], off offset:-8
.LBB27_234:
	global_load_b32 v58, v0, s[2:3]
	scratch_load_b64 v[0:1], off, off
	s_wait_loadcnt 0x1
	v_cmp_eq_u32_e32 vcc_lo, 1, v58
	s_cbranch_vccnz .LBB27_236
; %bb.235:
	v_lshlrev_b32_e32 v58, 3, v58
	s_delay_alu instid0(VALU_DEP_1)
	v_mov_b32_e32 v60, v58
	scratch_load_b64 v[58:59], v60, off offset:-8
	s_wait_loadcnt 0x0
	scratch_store_b64 off, v[58:59], off
	scratch_store_b64 v60, v[0:1], off offset:-8
	scratch_load_b64 v[0:1], off, off
.LBB27_236:
	s_clause 0xd
	scratch_load_b128 v[58:61], off, off offset:8
	scratch_load_b128 v[62:65], off, off offset:24
	;; [unrolled: 1-line block ×13, first 2 shown]
	scratch_load_b64 v[110:111], off, off offset:216
	v_lshl_add_u64 v[4:5], v[4:5], 3, s[4:5]
	v_lshl_add_u64 v[6:7], v[6:7], 3, s[4:5]
	;; [unrolled: 1-line block ×26, first 2 shown]
	s_wait_loadcnt 0xe
	global_store_b64 v[2:3], v[0:1], off
	s_wait_loadcnt 0xd
	s_clause 0x1
	global_store_b64 v[8:9], v[58:59], off
	global_store_b64 v[4:5], v[60:61], off
	s_wait_loadcnt 0xc
	s_clause 0x1
	global_store_b64 v[6:7], v[62:63], off
	;; [unrolled: 4-line block ×13, first 2 shown]
	global_store_b64 v[54:55], v[108:109], off
	s_wait_loadcnt 0x0
	global_store_b64 v[56:57], v[110:111], off
	s_sendmsg sendmsg(MSG_DEALLOC_VGPRS)
	s_endpgm
	.section	.rodata,"a",@progbits
	.p2align	6, 0x0
	.amdhsa_kernel _ZN9rocsolver6v33100L18getri_kernel_smallILi28E19rocblas_complex_numIfEPS3_EEvT1_iilPiilS6_bb
		.amdhsa_group_segment_fixed_size 452
		.amdhsa_private_segment_fixed_size 240
		.amdhsa_kernarg_size 60
		.amdhsa_user_sgpr_count 2
		.amdhsa_user_sgpr_dispatch_ptr 0
		.amdhsa_user_sgpr_queue_ptr 0
		.amdhsa_user_sgpr_kernarg_segment_ptr 1
		.amdhsa_user_sgpr_dispatch_id 0
		.amdhsa_user_sgpr_kernarg_preload_length 0
		.amdhsa_user_sgpr_kernarg_preload_offset 0
		.amdhsa_user_sgpr_private_segment_size 0
		.amdhsa_wavefront_size32 1
		.amdhsa_uses_dynamic_stack 0
		.amdhsa_enable_private_segment 1
		.amdhsa_system_sgpr_workgroup_id_x 1
		.amdhsa_system_sgpr_workgroup_id_y 0
		.amdhsa_system_sgpr_workgroup_id_z 0
		.amdhsa_system_sgpr_workgroup_info 0
		.amdhsa_system_vgpr_workitem_id 0
		.amdhsa_next_free_vgpr 194
		.amdhsa_next_free_sgpr 19
		.amdhsa_named_barrier_count 0
		.amdhsa_reserve_vcc 1
		.amdhsa_float_round_mode_32 0
		.amdhsa_float_round_mode_16_64 0
		.amdhsa_float_denorm_mode_32 3
		.amdhsa_float_denorm_mode_16_64 3
		.amdhsa_fp16_overflow 0
		.amdhsa_memory_ordered 1
		.amdhsa_forward_progress 1
		.amdhsa_inst_pref_size 255
		.amdhsa_round_robin_scheduling 0
		.amdhsa_exception_fp_ieee_invalid_op 0
		.amdhsa_exception_fp_denorm_src 0
		.amdhsa_exception_fp_ieee_div_zero 0
		.amdhsa_exception_fp_ieee_overflow 0
		.amdhsa_exception_fp_ieee_underflow 0
		.amdhsa_exception_fp_ieee_inexact 0
		.amdhsa_exception_int_div_zero 0
	.end_amdhsa_kernel
	.section	.text._ZN9rocsolver6v33100L18getri_kernel_smallILi28E19rocblas_complex_numIfEPS3_EEvT1_iilPiilS6_bb,"axG",@progbits,_ZN9rocsolver6v33100L18getri_kernel_smallILi28E19rocblas_complex_numIfEPS3_EEvT1_iilPiilS6_bb,comdat
.Lfunc_end27:
	.size	_ZN9rocsolver6v33100L18getri_kernel_smallILi28E19rocblas_complex_numIfEPS3_EEvT1_iilPiilS6_bb, .Lfunc_end27-_ZN9rocsolver6v33100L18getri_kernel_smallILi28E19rocblas_complex_numIfEPS3_EEvT1_iilPiilS6_bb
                                        ; -- End function
	.set _ZN9rocsolver6v33100L18getri_kernel_smallILi28E19rocblas_complex_numIfEPS3_EEvT1_iilPiilS6_bb.num_vgpr, 194
	.set _ZN9rocsolver6v33100L18getri_kernel_smallILi28E19rocblas_complex_numIfEPS3_EEvT1_iilPiilS6_bb.num_agpr, 0
	.set _ZN9rocsolver6v33100L18getri_kernel_smallILi28E19rocblas_complex_numIfEPS3_EEvT1_iilPiilS6_bb.numbered_sgpr, 19
	.set _ZN9rocsolver6v33100L18getri_kernel_smallILi28E19rocblas_complex_numIfEPS3_EEvT1_iilPiilS6_bb.num_named_barrier, 0
	.set _ZN9rocsolver6v33100L18getri_kernel_smallILi28E19rocblas_complex_numIfEPS3_EEvT1_iilPiilS6_bb.private_seg_size, 240
	.set _ZN9rocsolver6v33100L18getri_kernel_smallILi28E19rocblas_complex_numIfEPS3_EEvT1_iilPiilS6_bb.uses_vcc, 1
	.set _ZN9rocsolver6v33100L18getri_kernel_smallILi28E19rocblas_complex_numIfEPS3_EEvT1_iilPiilS6_bb.uses_flat_scratch, 1
	.set _ZN9rocsolver6v33100L18getri_kernel_smallILi28E19rocblas_complex_numIfEPS3_EEvT1_iilPiilS6_bb.has_dyn_sized_stack, 0
	.set _ZN9rocsolver6v33100L18getri_kernel_smallILi28E19rocblas_complex_numIfEPS3_EEvT1_iilPiilS6_bb.has_recursion, 0
	.set _ZN9rocsolver6v33100L18getri_kernel_smallILi28E19rocblas_complex_numIfEPS3_EEvT1_iilPiilS6_bb.has_indirect_call, 0
	.section	.AMDGPU.csdata,"",@progbits
; Kernel info:
; codeLenInByte = 36080
; TotalNumSgprs: 21
; NumVgprs: 194
; ScratchSize: 240
; MemoryBound: 0
; FloatMode: 240
; IeeeMode: 1
; LDSByteSize: 452 bytes/workgroup (compile time only)
; SGPRBlocks: 0
; VGPRBlocks: 12
; NumSGPRsForWavesPerEU: 21
; NumVGPRsForWavesPerEU: 194
; NamedBarCnt: 0
; Occupancy: 4
; WaveLimiterHint : 1
; COMPUTE_PGM_RSRC2:SCRATCH_EN: 1
; COMPUTE_PGM_RSRC2:USER_SGPR: 2
; COMPUTE_PGM_RSRC2:TRAP_HANDLER: 0
; COMPUTE_PGM_RSRC2:TGID_X_EN: 1
; COMPUTE_PGM_RSRC2:TGID_Y_EN: 0
; COMPUTE_PGM_RSRC2:TGID_Z_EN: 0
; COMPUTE_PGM_RSRC2:TIDIG_COMP_CNT: 0
	.section	.text._ZN9rocsolver6v33100L18getri_kernel_smallILi29E19rocblas_complex_numIfEPS3_EEvT1_iilPiilS6_bb,"axG",@progbits,_ZN9rocsolver6v33100L18getri_kernel_smallILi29E19rocblas_complex_numIfEPS3_EEvT1_iilPiilS6_bb,comdat
	.globl	_ZN9rocsolver6v33100L18getri_kernel_smallILi29E19rocblas_complex_numIfEPS3_EEvT1_iilPiilS6_bb ; -- Begin function _ZN9rocsolver6v33100L18getri_kernel_smallILi29E19rocblas_complex_numIfEPS3_EEvT1_iilPiilS6_bb
	.p2align	8
	.type	_ZN9rocsolver6v33100L18getri_kernel_smallILi29E19rocblas_complex_numIfEPS3_EEvT1_iilPiilS6_bb,@function
_ZN9rocsolver6v33100L18getri_kernel_smallILi29E19rocblas_complex_numIfEPS3_EEvT1_iilPiilS6_bb: ; @_ZN9rocsolver6v33100L18getri_kernel_smallILi29E19rocblas_complex_numIfEPS3_EEvT1_iilPiilS6_bb
; %bb.0:
	s_mov_b32 s2, exec_lo
	v_cmpx_gt_u32_e32 29, v0
	s_cbranch_execz .LBB28_130
; %bb.1:
	s_clause 0x2
	s_load_b32 s2, s[0:1], 0x38
	s_load_b128 s[12:15], s[0:1], 0x10
	s_load_b128 s[4:7], s[0:1], 0x28
	s_getreg_b32 s9, hwreg(HW_REG_IB_STS2, 6, 4)
	s_wait_kmcnt 0x0
	s_bitcmp1_b32 s2, 8
	s_cselect_b32 s18, -1, 0
	s_bfe_u32 s3, ttmp6, 0x4000c
	s_and_b32 s8, ttmp6, 15
	s_add_co_i32 s3, s3, 1
	s_delay_alu instid0(SALU_CYCLE_1) | instskip(NEXT) | instid1(SALU_CYCLE_1)
	s_mul_i32 s3, ttmp9, s3
	s_add_co_i32 s8, s8, s3
	s_cmp_eq_u32 s9, 0
	s_cselect_b32 s16, ttmp9, s8
	s_bfe_u32 s2, s2, 0x10008
	s_ashr_i32 s17, s16, 31
	s_cmp_eq_u32 s2, 0
                                        ; implicit-def: $sgpr2_sgpr3
	s_cbranch_scc1 .LBB28_3
; %bb.2:
	s_load_b32 s2, s[0:1], 0x20
	s_mul_u64 s[4:5], s[4:5], s[16:17]
	s_delay_alu instid0(SALU_CYCLE_1) | instskip(NEXT) | instid1(SALU_CYCLE_1)
	s_lshl_b64 s[4:5], s[4:5], 2
	s_add_nc_u64 s[4:5], s[14:15], s[4:5]
	s_wait_kmcnt 0x0
	s_ashr_i32 s3, s2, 31
	s_delay_alu instid0(SALU_CYCLE_1) | instskip(NEXT) | instid1(SALU_CYCLE_1)
	s_lshl_b64 s[2:3], s[2:3], 2
	s_add_nc_u64 s[2:3], s[4:5], s[2:3]
.LBB28_3:
	s_clause 0x1
	s_load_b128 s[8:11], s[0:1], 0x0
	s_load_b32 s14, s[0:1], 0x38
	s_wait_xcnt 0x0
	s_mul_u64 s[0:1], s[12:13], s[16:17]
	v_lshlrev_b32_e32 v60, 3, v0
	s_lshl_b64 s[0:1], s[0:1], 3
	s_wait_kmcnt 0x0
	v_add3_u32 v4, s11, s11, v0
	s_ashr_i32 s5, s10, 31
	s_mov_b32 s4, s10
	s_add_nc_u64 s[0:1], s[8:9], s[0:1]
	s_lshl_b64 s[4:5], s[4:5], 3
	v_add_nc_u32_e32 v6, s11, v4
	s_add_nc_u64 s[4:5], s[0:1], s[4:5]
	s_ashr_i32 s1, s11, 31
	s_mov_b32 s0, s11
	s_bitcmp0_b32 s14, 0
	v_add_nc_u32_e32 v10, s11, v6
	s_delay_alu instid0(VALU_DEP_1) | instskip(NEXT) | instid1(VALU_DEP_1)
	v_add_nc_u32_e32 v12, s11, v10
	v_add_nc_u32_e32 v14, s11, v12
	s_delay_alu instid0(VALU_DEP_1) | instskip(NEXT) | instid1(VALU_DEP_1)
	v_add_nc_u32_e32 v16, s11, v14
	;; [unrolled: 3-line block ×6, first 2 shown]
	v_add_nc_u32_e32 v34, s11, v32
	s_delay_alu instid0(VALU_DEP_1) | instskip(NEXT) | instid1(VALU_DEP_1)
	v_dual_mov_b32 v61, 0 :: v_dual_add_nc_u32 v36, s11, v34
	v_add_nc_u32_e32 v38, s11, v36
	s_delay_alu instid0(VALU_DEP_2) | instskip(NEXT) | instid1(VALU_DEP_2)
	v_add_nc_u64_e32 v[2:3], s[4:5], v[60:61]
	v_add_nc_u32_e32 v40, s11, v38
	s_delay_alu instid0(VALU_DEP_2) | instskip(SKIP_1) | instid1(VALU_DEP_2)
	v_lshl_add_u64 v[8:9], s[0:1], 3, v[2:3]
	s_mov_b32 s1, -1
	v_add_nc_u32_e32 v42, s11, v40
	s_clause 0x9
	global_load_b64 v[62:63], v0, s[4:5] scale_offset
	global_load_b64 v[64:65], v[8:9], off
	global_load_b64 v[66:67], v4, s[4:5] scale_offset
	global_load_b64 v[68:69], v6, s[4:5] scale_offset
	;; [unrolled: 1-line block ×8, first 2 shown]
	v_add_nc_u32_e32 v44, s11, v42
	s_clause 0x7
	global_load_b64 v[82:83], v22, s[4:5] scale_offset
	global_load_b64 v[84:85], v24, s[4:5] scale_offset
	;; [unrolled: 1-line block ×8, first 2 shown]
	v_add_nc_u32_e32 v46, s11, v44
	s_delay_alu instid0(VALU_DEP_1) | instskip(NEXT) | instid1(VALU_DEP_1)
	v_add_nc_u32_e32 v48, s11, v46
	v_add_nc_u32_e32 v50, s11, v48
	s_clause 0x3
	global_load_b64 v[98:99], v38, s[4:5] scale_offset
	global_load_b64 v[100:101], v40, s[4:5] scale_offset
	;; [unrolled: 1-line block ×4, first 2 shown]
	v_add_nc_u32_e32 v52, s11, v50
	s_delay_alu instid0(VALU_DEP_1) | instskip(NEXT) | instid1(VALU_DEP_1)
	v_add_nc_u32_e32 v54, s11, v52
	v_add_nc_u32_e32 v56, s11, v54
	s_delay_alu instid0(VALU_DEP_1)
	v_add_nc_u32_e32 v58, s11, v56
	s_clause 0x6
	global_load_b64 v[106:107], v46, s[4:5] scale_offset
	global_load_b64 v[108:109], v48, s[4:5] scale_offset
	;; [unrolled: 1-line block ×7, first 2 shown]
	s_wait_loadcnt 0x1b
	scratch_store_b128 off, v[62:65], off
	s_wait_loadcnt 0x19
	scratch_store_b128 off, v[66:69], off offset:16
	s_wait_loadcnt 0x17
	scratch_store_b128 off, v[70:73], off offset:32
	;; [unrolled: 2-line block ×13, first 2 shown]
	s_wait_loadcnt 0x0
	scratch_store_b64 off, v[118:119], off offset:224
	s_cbranch_scc1 .LBB28_128
; %bb.4:
	v_cmp_eq_u32_e64 s0, 0, v0
	s_wait_xcnt 0x0
	s_and_saveexec_b32 s1, s0
; %bb.5:
	v_mov_b32_e32 v1, 0
	ds_store_b32 v1, v1 offset:232
; %bb.6:
	s_or_b32 exec_lo, exec_lo, s1
	s_wait_storecnt_dscnt 0x0
	s_barrier_signal -1
	s_barrier_wait -1
	scratch_load_b64 v[62:63], v0, off scale_offset
	s_wait_loadcnt 0x0
	v_cmp_eq_f32_e32 vcc_lo, 0, v62
	v_cmp_eq_f32_e64 s1, 0, v63
	s_and_b32 s1, vcc_lo, s1
	s_delay_alu instid0(SALU_CYCLE_1)
	s_and_saveexec_b32 s8, s1
	s_cbranch_execz .LBB28_10
; %bb.7:
	v_mov_b32_e32 v1, 0
	s_mov_b32 s9, 0
	ds_load_b32 v5, v1 offset:232
	s_wait_dscnt 0x0
	v_readfirstlane_b32 s1, v5
	v_add_nc_u32_e32 v5, 1, v0
	s_cmp_eq_u32 s1, 0
	s_delay_alu instid0(VALU_DEP_1) | instskip(SKIP_1) | instid1(SALU_CYCLE_1)
	v_cmp_gt_i32_e32 vcc_lo, s1, v5
	s_cselect_b32 s10, -1, 0
	s_or_b32 s10, s10, vcc_lo
	s_delay_alu instid0(SALU_CYCLE_1)
	s_and_b32 exec_lo, exec_lo, s10
	s_cbranch_execz .LBB28_10
; %bb.8:
	v_mov_b32_e32 v7, s1
.LBB28_9:                               ; =>This Inner Loop Header: Depth=1
	ds_cmpstore_rtn_b32 v7, v1, v5, v7 offset:232
	s_wait_dscnt 0x0
	v_cmp_ne_u32_e32 vcc_lo, 0, v7
	v_cmp_le_i32_e64 s1, v7, v5
	s_and_b32 s1, vcc_lo, s1
	s_delay_alu instid0(SALU_CYCLE_1) | instskip(NEXT) | instid1(SALU_CYCLE_1)
	s_and_b32 s1, exec_lo, s1
	s_or_b32 s9, s1, s9
	s_delay_alu instid0(SALU_CYCLE_1)
	s_and_not1_b32 exec_lo, exec_lo, s9
	s_cbranch_execnz .LBB28_9
.LBB28_10:
	s_or_b32 exec_lo, exec_lo, s8
	v_mov_b32_e32 v1, 0
	s_barrier_signal -1
	s_barrier_wait -1
	ds_load_b32 v5, v1 offset:232
	s_and_saveexec_b32 s1, s0
	s_cbranch_execz .LBB28_12
; %bb.11:
	s_lshl_b64 s[8:9], s[16:17], 2
	s_delay_alu instid0(SALU_CYCLE_1)
	s_add_nc_u64 s[8:9], s[6:7], s[8:9]
	s_wait_dscnt 0x0
	global_store_b32 v1, v5, s[8:9]
.LBB28_12:
	s_wait_xcnt 0x0
	s_or_b32 exec_lo, exec_lo, s1
	s_wait_dscnt 0x0
	v_cmp_ne_u32_e32 vcc_lo, 0, v5
	s_mov_b32 s1, 0
	s_cbranch_vccnz .LBB28_128
; %bb.13:
	v_lshl_add_u32 v5, v0, 3, 0
                                        ; implicit-def: $vgpr65
                                        ; implicit-def: $vgpr66
	scratch_load_b64 v[62:63], v5, off
	s_wait_loadcnt 0x0
	v_cmp_ngt_f32_e64 s1, |v62|, |v63|
	s_wait_xcnt 0x0
	s_and_saveexec_b32 s8, s1
	s_delay_alu instid0(SALU_CYCLE_1)
	s_xor_b32 s1, exec_lo, s8
	s_cbranch_execz .LBB28_15
; %bb.14:
	v_div_scale_f32 v1, null, v63, v63, v62
	v_div_scale_f32 v13, vcc_lo, v62, v63, v62
	s_delay_alu instid0(VALU_DEP_2) | instskip(SKIP_1) | instid1(TRANS32_DEP_1)
	v_rcp_f32_e32 v7, v1
	v_nop
	v_fma_f32 v11, -v1, v7, 1.0
	s_delay_alu instid0(VALU_DEP_1) | instskip(NEXT) | instid1(VALU_DEP_1)
	v_fmac_f32_e32 v7, v11, v7
	v_mul_f32_e32 v11, v13, v7
	s_delay_alu instid0(VALU_DEP_1) | instskip(NEXT) | instid1(VALU_DEP_1)
	v_fma_f32 v15, -v1, v11, v13
	v_fmac_f32_e32 v11, v15, v7
	s_delay_alu instid0(VALU_DEP_1) | instskip(NEXT) | instid1(VALU_DEP_1)
	v_fma_f32 v1, -v1, v11, v13
	v_div_fmas_f32 v1, v1, v7, v11
	s_delay_alu instid0(VALU_DEP_1) | instskip(NEXT) | instid1(VALU_DEP_1)
	v_div_fixup_f32 v1, v1, v63, v62
	v_fmac_f32_e32 v63, v62, v1
	s_delay_alu instid0(VALU_DEP_1) | instskip(NEXT) | instid1(VALU_DEP_1)
	v_div_scale_f32 v7, null, v63, v63, -1.0
	v_rcp_f32_e32 v11, v7
	v_nop
	s_delay_alu instid0(TRANS32_DEP_1) | instskip(NEXT) | instid1(VALU_DEP_1)
	v_fma_f32 v13, -v7, v11, 1.0
	v_fmac_f32_e32 v11, v13, v11
	v_div_scale_f32 v13, vcc_lo, -1.0, v63, -1.0
	s_delay_alu instid0(VALU_DEP_1) | instskip(NEXT) | instid1(VALU_DEP_1)
	v_mul_f32_e32 v15, v13, v11
	v_fma_f32 v17, -v7, v15, v13
	s_delay_alu instid0(VALU_DEP_1) | instskip(NEXT) | instid1(VALU_DEP_1)
	v_fmac_f32_e32 v15, v17, v11
	v_fma_f32 v7, -v7, v15, v13
	s_delay_alu instid0(VALU_DEP_1) | instskip(NEXT) | instid1(VALU_DEP_1)
	v_div_fmas_f32 v7, v7, v11, v15
	v_div_fixup_f32 v65, v7, v63, -1.0
                                        ; implicit-def: $vgpr62_vgpr63
	s_delay_alu instid0(VALU_DEP_1) | instskip(NEXT) | instid1(VALU_DEP_1)
	v_mul_f32_e32 v66, v1, v65
	v_xor_b32_e32 v64, 0x80000000, v66
.LBB28_15:
	s_and_not1_saveexec_b32 s1, s1
	s_cbranch_execz .LBB28_17
; %bb.16:
	v_div_scale_f32 v1, null, v62, v62, v63
	v_div_scale_f32 v13, vcc_lo, v63, v62, v63
	s_delay_alu instid0(VALU_DEP_2) | instskip(SKIP_1) | instid1(TRANS32_DEP_1)
	v_rcp_f32_e32 v7, v1
	v_nop
	v_fma_f32 v11, -v1, v7, 1.0
	s_delay_alu instid0(VALU_DEP_1) | instskip(NEXT) | instid1(VALU_DEP_1)
	v_fmac_f32_e32 v7, v11, v7
	v_mul_f32_e32 v11, v13, v7
	s_delay_alu instid0(VALU_DEP_1) | instskip(NEXT) | instid1(VALU_DEP_1)
	v_fma_f32 v15, -v1, v11, v13
	v_fmac_f32_e32 v11, v15, v7
	s_delay_alu instid0(VALU_DEP_1) | instskip(NEXT) | instid1(VALU_DEP_1)
	v_fma_f32 v1, -v1, v11, v13
	v_div_fmas_f32 v1, v1, v7, v11
	s_delay_alu instid0(VALU_DEP_1) | instskip(NEXT) | instid1(VALU_DEP_1)
	v_div_fixup_f32 v1, v1, v62, v63
	v_fmac_f32_e32 v62, v63, v1
	s_delay_alu instid0(VALU_DEP_1) | instskip(SKIP_1) | instid1(VALU_DEP_2)
	v_div_scale_f32 v7, null, v62, v62, 1.0
	v_div_scale_f32 v15, vcc_lo, 1.0, v62, 1.0
	v_rcp_f32_e32 v11, v7
	v_nop
	s_delay_alu instid0(TRANS32_DEP_1) | instskip(NEXT) | instid1(VALU_DEP_1)
	v_fma_f32 v13, -v7, v11, 1.0
	v_fmac_f32_e32 v11, v13, v11
	s_delay_alu instid0(VALU_DEP_1) | instskip(NEXT) | instid1(VALU_DEP_1)
	v_mul_f32_e32 v13, v15, v11
	v_fma_f32 v17, -v7, v13, v15
	s_delay_alu instid0(VALU_DEP_1) | instskip(NEXT) | instid1(VALU_DEP_1)
	v_fmac_f32_e32 v13, v17, v11
	v_fma_f32 v7, -v7, v13, v15
	s_delay_alu instid0(VALU_DEP_1) | instskip(NEXT) | instid1(VALU_DEP_1)
	v_div_fmas_f32 v7, v7, v11, v13
	v_div_fixup_f32 v64, v7, v62, 1.0
	s_delay_alu instid0(VALU_DEP_1)
	v_xor_b32_e32 v66, 0x80000000, v64
	v_mul_f32_e64 v65, v1, -v64
.LBB28_17:
	s_or_b32 exec_lo, exec_lo, s1
	scratch_store_b64 v5, v[64:65], off
	scratch_load_b64 v[62:63], off, off offset:8
	v_xor_b32_e32 v67, 0x80000000, v65
	v_add_nc_u32_e32 v1, 0xf0, v60
	s_wait_loadcnt 0x0
	ds_store_2addr_b64 v60, v[66:67], v[62:63] offset1:30
	s_wait_storecnt_dscnt 0x0
	s_barrier_signal -1
	s_barrier_wait -1
	s_wait_xcnt 0x0
	s_and_saveexec_b32 s1, s0
	s_cbranch_execz .LBB28_19
; %bb.18:
	scratch_load_b64 v[62:63], v5, off
	ds_load_b64 v[64:65], v1
	s_wait_loadcnt_dscnt 0x0
	v_pk_mul_f32 v[68:69], v[64:65], v[62:63] op_sel:[1,1] op_sel_hi:[0,1]
	s_delay_alu instid0(VALU_DEP_1) | instskip(SKIP_2) | instid1(VALU_DEP_3)
	v_pk_fma_f32 v[70:71], v[64:65], v[62:63], v[68:69] op_sel_hi:[1,0,1]
	v_mov_b32_e32 v7, 0
	v_pk_fma_f32 v[62:63], v[64:65], v[62:63], v[68:69] neg_lo:[0,0,1] neg_hi:[0,0,1]
	v_mov_b32_e32 v63, v71
	ds_load_b64 v[66:67], v7 offset:8
	v_pk_add_f32 v[62:63], v[62:63], 0 op_sel_hi:[1,0]
	s_wait_dscnt 0x0
	s_delay_alu instid0(VALU_DEP_1) | instskip(NEXT) | instid1(VALU_DEP_1)
	v_pk_mul_f32 v[64:65], v[62:63], v[66:67] op_sel:[1,1] op_sel_hi:[0,1]
	v_pk_fma_f32 v[68:69], v[62:63], v[66:67], v[64:65] op_sel_hi:[1,0,1]
	v_pk_fma_f32 v[62:63], v[62:63], v[66:67], v[64:65] neg_lo:[0,0,1] neg_hi:[0,0,1]
	s_delay_alu instid0(VALU_DEP_2)
	v_mov_b32_e32 v63, v69
	scratch_store_b64 off, v[62:63], off offset:8
.LBB28_19:
	s_wait_xcnt 0x0
	s_or_b32 exec_lo, exec_lo, s1
	s_wait_storecnt 0x0
	s_barrier_signal -1
	s_barrier_wait -1
	scratch_load_b64 v[62:63], off, off offset:16
	s_mov_b32 s1, exec_lo
	s_wait_loadcnt 0x0
	ds_store_b64 v1, v[62:63]
	s_wait_dscnt 0x0
	s_barrier_signal -1
	s_barrier_wait -1
	v_cmpx_gt_u32_e32 2, v0
	s_cbranch_execz .LBB28_23
; %bb.20:
	scratch_load_b64 v[62:63], v5, off
	ds_load_b64 v[64:65], v1
	s_wait_loadcnt_dscnt 0x0
	v_pk_mul_f32 v[66:67], v[64:65], v[62:63] op_sel:[1,1] op_sel_hi:[0,1]
	s_delay_alu instid0(VALU_DEP_1) | instskip(SKIP_1) | instid1(VALU_DEP_2)
	v_pk_fma_f32 v[68:69], v[64:65], v[62:63], v[66:67] op_sel_hi:[1,0,1]
	v_pk_fma_f32 v[62:63], v[64:65], v[62:63], v[66:67] neg_lo:[0,0,1] neg_hi:[0,0,1]
	v_mov_b32_e32 v63, v69
	s_delay_alu instid0(VALU_DEP_1)
	v_pk_add_f32 v[62:63], v[62:63], 0 op_sel_hi:[1,0]
	s_and_saveexec_b32 s8, s0
	s_cbranch_execz .LBB28_22
; %bb.21:
	scratch_load_b64 v[64:65], off, off offset:8
	v_mov_b32_e32 v5, 0
	ds_load_b64 v[66:67], v5 offset:248
	s_wait_loadcnt_dscnt 0x0
	v_pk_mul_f32 v[68:69], v[66:67], v[64:65] op_sel:[1,1] op_sel_hi:[0,1]
	s_delay_alu instid0(VALU_DEP_1) | instskip(SKIP_1) | instid1(VALU_DEP_2)
	v_pk_fma_f32 v[70:71], v[66:67], v[64:65], v[68:69] op_sel_hi:[1,0,1]
	v_pk_fma_f32 v[64:65], v[66:67], v[64:65], v[68:69] neg_lo:[0,0,1] neg_hi:[0,0,1]
	v_mov_b32_e32 v65, v71
	s_delay_alu instid0(VALU_DEP_1)
	v_pk_add_f32 v[62:63], v[62:63], v[64:65]
.LBB28_22:
	s_or_b32 exec_lo, exec_lo, s8
	v_mov_b32_e32 v5, 0
	ds_load_b64 v[64:65], v5 offset:16
	s_wait_dscnt 0x0
	v_pk_mul_f32 v[66:67], v[62:63], v[64:65] op_sel:[1,1] op_sel_hi:[0,1]
	s_delay_alu instid0(VALU_DEP_1) | instskip(SKIP_1) | instid1(VALU_DEP_2)
	v_pk_fma_f32 v[68:69], v[62:63], v[64:65], v[66:67] op_sel_hi:[1,0,1]
	v_pk_fma_f32 v[62:63], v[62:63], v[64:65], v[66:67] neg_lo:[0,0,1] neg_hi:[0,0,1]
	v_mov_b32_e32 v63, v69
	scratch_store_b64 off, v[62:63], off offset:16
.LBB28_23:
	s_wait_xcnt 0x0
	s_or_b32 exec_lo, exec_lo, s1
	s_wait_storecnt 0x0
	s_barrier_signal -1
	s_barrier_wait -1
	scratch_load_b64 v[62:63], off, off offset:24
	v_add_nc_u32_e32 v5, -1, v0
	s_mov_b32 s0, exec_lo
	s_wait_loadcnt 0x0
	ds_store_b64 v1, v[62:63]
	s_wait_dscnt 0x0
	s_barrier_signal -1
	s_barrier_wait -1
	v_cmpx_gt_u32_e32 3, v0
	s_cbranch_execz .LBB28_27
; %bb.24:
	v_dual_mov_b32 v62, 0 :: v_dual_add_nc_u32 v7, -1, v0
	v_add_nc_u32_e32 v11, 0xf0, v60
	v_mov_b32_e32 v13, v60
	s_mov_b32 s1, 0
	s_delay_alu instid0(VALU_DEP_3)
	v_mov_b32_e32 v63, v62
.LBB28_25:                              ; =>This Inner Loop Header: Depth=1
	scratch_load_b64 v[64:65], v13, off
	ds_load_b64 v[66:67], v11
	s_wait_xcnt 0x0
	v_dual_add_nc_u32 v11, 8, v11 :: v_dual_add_nc_u32 v13, 8, v13
	s_wait_loadcnt_dscnt 0x0
	v_pk_mul_f32 v[68:69], v[66:67], v[64:65] op_sel:[1,1] op_sel_hi:[0,1]
	s_delay_alu instid0(VALU_DEP_1) | instskip(SKIP_2) | instid1(VALU_DEP_3)
	v_pk_fma_f32 v[70:71], v[66:67], v[64:65], v[68:69] op_sel_hi:[1,0,1]
	v_add_nc_u32_e32 v7, 1, v7
	v_pk_fma_f32 v[64:65], v[66:67], v[64:65], v[68:69] neg_lo:[0,0,1] neg_hi:[0,0,1]
	v_mov_b32_e32 v65, v71
	s_delay_alu instid0(VALU_DEP_3) | instskip(NEXT) | instid1(VALU_DEP_2)
	v_cmp_lt_u32_e32 vcc_lo, 1, v7
	v_pk_add_f32 v[62:63], v[62:63], v[64:65]
	s_or_b32 s1, vcc_lo, s1
	s_delay_alu instid0(SALU_CYCLE_1)
	s_and_not1_b32 exec_lo, exec_lo, s1
	s_cbranch_execnz .LBB28_25
; %bb.26:
	s_or_b32 exec_lo, exec_lo, s1
	v_mov_b32_e32 v7, 0
	ds_load_b64 v[64:65], v7 offset:24
	s_wait_dscnt 0x0
	v_pk_mul_f32 v[66:67], v[62:63], v[64:65] op_sel:[1,1] op_sel_hi:[0,1]
	s_delay_alu instid0(VALU_DEP_1) | instskip(SKIP_1) | instid1(VALU_DEP_2)
	v_pk_fma_f32 v[68:69], v[62:63], v[64:65], v[66:67] op_sel_hi:[1,0,1]
	v_pk_fma_f32 v[62:63], v[62:63], v[64:65], v[66:67] neg_lo:[0,0,1] neg_hi:[0,0,1]
	v_mov_b32_e32 v63, v69
	scratch_store_b64 off, v[62:63], off offset:24
.LBB28_27:
	s_wait_xcnt 0x0
	s_or_b32 exec_lo, exec_lo, s0
	s_wait_storecnt 0x0
	s_barrier_signal -1
	s_barrier_wait -1
	scratch_load_b64 v[62:63], off, off offset:32
	s_mov_b32 s0, exec_lo
	s_wait_loadcnt 0x0
	ds_store_b64 v1, v[62:63]
	s_wait_dscnt 0x0
	s_barrier_signal -1
	s_barrier_wait -1
	v_cmpx_gt_u32_e32 4, v0
	s_cbranch_execz .LBB28_31
; %bb.28:
	v_dual_mov_b32 v62, 0 :: v_dual_add_nc_u32 v7, -1, v0
	v_add_nc_u32_e32 v11, 0xf0, v60
	v_mov_b32_e32 v13, v60
	s_mov_b32 s1, 0
	s_delay_alu instid0(VALU_DEP_3)
	v_mov_b32_e32 v63, v62
.LBB28_29:                              ; =>This Inner Loop Header: Depth=1
	scratch_load_b64 v[64:65], v13, off
	ds_load_b64 v[66:67], v11
	s_wait_xcnt 0x0
	v_dual_add_nc_u32 v11, 8, v11 :: v_dual_add_nc_u32 v13, 8, v13
	s_wait_loadcnt_dscnt 0x0
	v_pk_mul_f32 v[68:69], v[66:67], v[64:65] op_sel:[1,1] op_sel_hi:[0,1]
	s_delay_alu instid0(VALU_DEP_1) | instskip(SKIP_2) | instid1(VALU_DEP_3)
	v_pk_fma_f32 v[70:71], v[66:67], v[64:65], v[68:69] op_sel_hi:[1,0,1]
	v_add_nc_u32_e32 v7, 1, v7
	v_pk_fma_f32 v[64:65], v[66:67], v[64:65], v[68:69] neg_lo:[0,0,1] neg_hi:[0,0,1]
	v_mov_b32_e32 v65, v71
	s_delay_alu instid0(VALU_DEP_3) | instskip(NEXT) | instid1(VALU_DEP_2)
	v_cmp_lt_u32_e32 vcc_lo, 2, v7
	v_pk_add_f32 v[62:63], v[62:63], v[64:65]
	s_or_b32 s1, vcc_lo, s1
	s_delay_alu instid0(SALU_CYCLE_1)
	s_and_not1_b32 exec_lo, exec_lo, s1
	s_cbranch_execnz .LBB28_29
; %bb.30:
	s_or_b32 exec_lo, exec_lo, s1
	v_mov_b32_e32 v7, 0
	ds_load_b64 v[64:65], v7 offset:32
	s_wait_dscnt 0x0
	v_pk_mul_f32 v[66:67], v[62:63], v[64:65] op_sel:[1,1] op_sel_hi:[0,1]
	s_delay_alu instid0(VALU_DEP_1) | instskip(SKIP_1) | instid1(VALU_DEP_2)
	v_pk_fma_f32 v[68:69], v[62:63], v[64:65], v[66:67] op_sel_hi:[1,0,1]
	v_pk_fma_f32 v[62:63], v[62:63], v[64:65], v[66:67] neg_lo:[0,0,1] neg_hi:[0,0,1]
	v_mov_b32_e32 v63, v69
	scratch_store_b64 off, v[62:63], off offset:32
.LBB28_31:
	s_wait_xcnt 0x0
	s_or_b32 exec_lo, exec_lo, s0
	s_wait_storecnt 0x0
	s_barrier_signal -1
	s_barrier_wait -1
	scratch_load_b64 v[62:63], off, off offset:40
	;; [unrolled: 52-line block ×19, first 2 shown]
	s_mov_b32 s0, exec_lo
	s_wait_loadcnt 0x0
	ds_store_b64 v1, v[62:63]
	s_wait_dscnt 0x0
	s_barrier_signal -1
	s_barrier_wait -1
	v_cmpx_gt_u32_e32 22, v0
	s_cbranch_execz .LBB28_103
; %bb.100:
	v_dual_mov_b32 v62, 0 :: v_dual_add_nc_u32 v7, -1, v0
	v_add_nc_u32_e32 v11, 0xf0, v60
	v_mov_b32_e32 v13, v60
	s_mov_b32 s1, 0
	s_delay_alu instid0(VALU_DEP_3)
	v_mov_b32_e32 v63, v62
.LBB28_101:                             ; =>This Inner Loop Header: Depth=1
	scratch_load_b64 v[64:65], v13, off
	ds_load_b64 v[66:67], v11
	s_wait_xcnt 0x0
	v_dual_add_nc_u32 v11, 8, v11 :: v_dual_add_nc_u32 v13, 8, v13
	s_wait_loadcnt_dscnt 0x0
	v_pk_mul_f32 v[68:69], v[66:67], v[64:65] op_sel:[1,1] op_sel_hi:[0,1]
	s_delay_alu instid0(VALU_DEP_1) | instskip(SKIP_2) | instid1(VALU_DEP_3)
	v_pk_fma_f32 v[70:71], v[66:67], v[64:65], v[68:69] op_sel_hi:[1,0,1]
	v_add_nc_u32_e32 v7, 1, v7
	v_pk_fma_f32 v[64:65], v[66:67], v[64:65], v[68:69] neg_lo:[0,0,1] neg_hi:[0,0,1]
	v_mov_b32_e32 v65, v71
	s_delay_alu instid0(VALU_DEP_3) | instskip(NEXT) | instid1(VALU_DEP_2)
	v_cmp_lt_u32_e32 vcc_lo, 20, v7
	v_pk_add_f32 v[62:63], v[62:63], v[64:65]
	s_or_b32 s1, vcc_lo, s1
	s_delay_alu instid0(SALU_CYCLE_1)
	s_and_not1_b32 exec_lo, exec_lo, s1
	s_cbranch_execnz .LBB28_101
; %bb.102:
	s_or_b32 exec_lo, exec_lo, s1
	v_mov_b32_e32 v7, 0
	ds_load_b64 v[64:65], v7 offset:176
	s_wait_dscnt 0x0
	v_pk_mul_f32 v[66:67], v[62:63], v[64:65] op_sel:[1,1] op_sel_hi:[0,1]
	s_delay_alu instid0(VALU_DEP_1) | instskip(SKIP_1) | instid1(VALU_DEP_2)
	v_pk_fma_f32 v[68:69], v[62:63], v[64:65], v[66:67] op_sel_hi:[1,0,1]
	v_pk_fma_f32 v[62:63], v[62:63], v[64:65], v[66:67] neg_lo:[0,0,1] neg_hi:[0,0,1]
	v_mov_b32_e32 v63, v69
	scratch_store_b64 off, v[62:63], off offset:176
.LBB28_103:
	s_wait_xcnt 0x0
	s_or_b32 exec_lo, exec_lo, s0
	s_wait_storecnt 0x0
	s_barrier_signal -1
	s_barrier_wait -1
	scratch_load_b64 v[62:63], off, off offset:184
	s_mov_b32 s0, exec_lo
	s_wait_loadcnt 0x0
	ds_store_b64 v1, v[62:63]
	s_wait_dscnt 0x0
	s_barrier_signal -1
	s_barrier_wait -1
	v_cmpx_gt_u32_e32 23, v0
	s_cbranch_execz .LBB28_107
; %bb.104:
	v_dual_mov_b32 v62, 0 :: v_dual_add_nc_u32 v7, -1, v0
	v_add_nc_u32_e32 v11, 0xf0, v60
	v_mov_b32_e32 v13, v60
	s_mov_b32 s1, 0
	s_delay_alu instid0(VALU_DEP_3)
	v_mov_b32_e32 v63, v62
.LBB28_105:                             ; =>This Inner Loop Header: Depth=1
	scratch_load_b64 v[64:65], v13, off
	ds_load_b64 v[66:67], v11
	s_wait_xcnt 0x0
	v_dual_add_nc_u32 v11, 8, v11 :: v_dual_add_nc_u32 v13, 8, v13
	s_wait_loadcnt_dscnt 0x0
	v_pk_mul_f32 v[68:69], v[66:67], v[64:65] op_sel:[1,1] op_sel_hi:[0,1]
	s_delay_alu instid0(VALU_DEP_1) | instskip(SKIP_2) | instid1(VALU_DEP_3)
	v_pk_fma_f32 v[70:71], v[66:67], v[64:65], v[68:69] op_sel_hi:[1,0,1]
	v_add_nc_u32_e32 v7, 1, v7
	v_pk_fma_f32 v[64:65], v[66:67], v[64:65], v[68:69] neg_lo:[0,0,1] neg_hi:[0,0,1]
	v_mov_b32_e32 v65, v71
	s_delay_alu instid0(VALU_DEP_3) | instskip(NEXT) | instid1(VALU_DEP_2)
	v_cmp_lt_u32_e32 vcc_lo, 21, v7
	v_pk_add_f32 v[62:63], v[62:63], v[64:65]
	s_or_b32 s1, vcc_lo, s1
	s_delay_alu instid0(SALU_CYCLE_1)
	s_and_not1_b32 exec_lo, exec_lo, s1
	s_cbranch_execnz .LBB28_105
; %bb.106:
	s_or_b32 exec_lo, exec_lo, s1
	v_mov_b32_e32 v7, 0
	ds_load_b64 v[64:65], v7 offset:184
	s_wait_dscnt 0x0
	v_pk_mul_f32 v[66:67], v[62:63], v[64:65] op_sel:[1,1] op_sel_hi:[0,1]
	s_delay_alu instid0(VALU_DEP_1) | instskip(SKIP_1) | instid1(VALU_DEP_2)
	v_pk_fma_f32 v[68:69], v[62:63], v[64:65], v[66:67] op_sel_hi:[1,0,1]
	v_pk_fma_f32 v[62:63], v[62:63], v[64:65], v[66:67] neg_lo:[0,0,1] neg_hi:[0,0,1]
	v_mov_b32_e32 v63, v69
	scratch_store_b64 off, v[62:63], off offset:184
.LBB28_107:
	s_wait_xcnt 0x0
	s_or_b32 exec_lo, exec_lo, s0
	s_wait_storecnt 0x0
	s_barrier_signal -1
	s_barrier_wait -1
	scratch_load_b64 v[62:63], off, off offset:192
	;; [unrolled: 52-line block ×6, first 2 shown]
	s_mov_b32 s0, exec_lo
	s_wait_loadcnt 0x0
	ds_store_b64 v1, v[62:63]
	s_wait_dscnt 0x0
	s_barrier_signal -1
	s_barrier_wait -1
	v_cmpx_ne_u32_e32 28, v0
	s_cbranch_execz .LBB28_127
; %bb.124:
	v_dual_mov_b32 v62, 0 :: v_dual_mov_b32 v7, v60
	s_mov_b32 s1, 0
	s_delay_alu instid0(VALU_DEP_1)
	v_mov_b32_e32 v63, v62
.LBB28_125:                             ; =>This Inner Loop Header: Depth=1
	scratch_load_b64 v[60:61], v7, off
	ds_load_b64 v[64:65], v1
	s_wait_xcnt 0x0
	v_dual_add_nc_u32 v1, 8, v1 :: v_dual_add_nc_u32 v7, 8, v7
	s_wait_loadcnt_dscnt 0x0
	v_pk_mul_f32 v[66:67], v[64:65], v[60:61] op_sel:[1,1] op_sel_hi:[0,1]
	s_delay_alu instid0(VALU_DEP_1) | instskip(SKIP_2) | instid1(VALU_DEP_3)
	v_pk_fma_f32 v[68:69], v[64:65], v[60:61], v[66:67] op_sel_hi:[1,0,1]
	v_add_nc_u32_e32 v5, 1, v5
	v_pk_fma_f32 v[60:61], v[64:65], v[60:61], v[66:67] neg_lo:[0,0,1] neg_hi:[0,0,1]
	v_mov_b32_e32 v61, v69
	s_delay_alu instid0(VALU_DEP_3) | instskip(NEXT) | instid1(VALU_DEP_2)
	v_cmp_lt_u32_e32 vcc_lo, 26, v5
	v_pk_add_f32 v[62:63], v[62:63], v[60:61]
	s_or_b32 s1, vcc_lo, s1
	s_delay_alu instid0(SALU_CYCLE_1)
	s_and_not1_b32 exec_lo, exec_lo, s1
	s_cbranch_execnz .LBB28_125
; %bb.126:
	s_or_b32 exec_lo, exec_lo, s1
	v_mov_b32_e32 v1, 0
	ds_load_b64 v[60:61], v1 offset:224
	s_wait_dscnt 0x0
	v_pk_mul_f32 v[64:65], v[62:63], v[60:61] op_sel:[1,1] op_sel_hi:[0,1]
	s_delay_alu instid0(VALU_DEP_1) | instskip(SKIP_1) | instid1(VALU_DEP_2)
	v_pk_fma_f32 v[66:67], v[62:63], v[60:61], v[64:65] op_sel_hi:[1,0,1]
	v_pk_fma_f32 v[60:61], v[62:63], v[60:61], v[64:65] neg_lo:[0,0,1] neg_hi:[0,0,1]
	v_mov_b32_e32 v61, v67
	scratch_store_b64 off, v[60:61], off offset:224
.LBB28_127:
	s_wait_xcnt 0x0
	s_or_b32 exec_lo, exec_lo, s0
	s_mov_b32 s1, -1
	s_wait_storecnt 0x0
	s_barrier_signal -1
	s_barrier_wait -1
.LBB28_128:
	s_and_b32 vcc_lo, exec_lo, s1
	s_cbranch_vccz .LBB28_130
; %bb.129:
	v_mov_b32_e32 v1, 0
	s_lshl_b64 s[0:1], s[16:17], 2
	s_delay_alu instid0(SALU_CYCLE_1)
	s_add_nc_u64 s[0:1], s[6:7], s[0:1]
	global_load_b32 v1, v1, s[0:1]
	s_wait_loadcnt 0x0
	v_cmp_ne_u32_e32 vcc_lo, 0, v1
	s_cbranch_vccz .LBB28_131
.LBB28_130:
	s_sendmsg sendmsg(MSG_DEALLOC_VGPRS)
	s_endpgm
.LBB28_131:
	s_wait_xcnt 0x0
	v_lshl_add_u32 v1, v0, 3, 0xf0
	s_mov_b32 s0, exec_lo
	v_cmpx_eq_u32_e32 28, v0
	s_cbranch_execz .LBB28_133
; %bb.132:
	scratch_load_b64 v[60:61], off, off offset:216
	v_mov_b64_e32 v[62:63], 0
	scratch_store_b64 off, v[62:63], off offset:216
	s_wait_loadcnt 0x0
	ds_store_b64 v1, v[60:61]
.LBB28_133:
	s_wait_xcnt 0x0
	s_or_b32 exec_lo, exec_lo, s0
	s_wait_storecnt_dscnt 0x0
	s_barrier_signal -1
	s_barrier_wait -1
	s_clause 0x1
	scratch_load_b64 v[60:61], off, off offset:224
	scratch_load_b64 v[62:63], off, off offset:216
	v_mov_b32_e32 v5, 0
	s_mov_b32 s0, exec_lo
	ds_load_b64 v[64:65], v5 offset:464
	s_wait_loadcnt_dscnt 0x100
	v_pk_mul_f32 v[66:67], v[64:65], v[60:61] op_sel:[1,1] op_sel_hi:[0,1]
	s_delay_alu instid0(VALU_DEP_1) | instskip(SKIP_1) | instid1(VALU_DEP_2)
	v_pk_fma_f32 v[68:69], v[64:65], v[60:61], v[66:67] op_sel_hi:[1,0,1]
	v_pk_fma_f32 v[60:61], v[64:65], v[60:61], v[66:67] neg_lo:[0,0,1] neg_hi:[0,0,1]
	v_mov_b32_e32 v61, v69
	s_delay_alu instid0(VALU_DEP_1) | instskip(SKIP_1) | instid1(VALU_DEP_1)
	v_pk_add_f32 v[60:61], v[60:61], 0 op_sel_hi:[1,0]
	s_wait_loadcnt 0x0
	v_pk_add_f32 v[60:61], v[62:63], v[60:61] neg_lo:[0,1] neg_hi:[0,1]
	scratch_store_b64 off, v[60:61], off offset:216
	s_wait_xcnt 0x0
	v_cmpx_lt_u32_e32 26, v0
	s_cbranch_execz .LBB28_135
; %bb.134:
	scratch_load_b64 v[60:61], off, off offset:208
	v_mov_b64_e32 v[62:63], 0
	scratch_store_b64 off, v[62:63], off offset:208
	s_wait_loadcnt 0x0
	ds_store_b64 v1, v[60:61]
.LBB28_135:
	s_wait_xcnt 0x0
	s_or_b32 exec_lo, exec_lo, s0
	s_wait_storecnt_dscnt 0x0
	s_barrier_signal -1
	s_barrier_wait -1
	s_clause 0x1
	scratch_load_b128 v[60:63], off, off offset:216
	scratch_load_b64 v[68:69], off, off offset:208
	ds_load_2addr_b64 v[64:67], v5 offset0:57 offset1:58
	s_mov_b32 s0, exec_lo
	s_wait_dscnt 0x0
	v_dual_mov_b32 v70, v67 :: v_dual_mov_b32 v71, v66
	s_wait_loadcnt 0x1
	v_pk_mul_f32 v[72:73], v[64:65], v[60:61] op_sel:[1,1] op_sel_hi:[0,1]
	s_delay_alu instid0(VALU_DEP_1) | instskip(SKIP_2) | instid1(VALU_DEP_3)
	v_pk_fma_f32 v[76:77], v[64:65], v[60:61], v[72:73] op_sel_hi:[1,0,1]
	v_mov_b32_e32 v74, v63
	v_pk_fma_f32 v[60:61], v[64:65], v[60:61], v[72:73] neg_lo:[0,0,1] neg_hi:[0,0,1]
	v_mov_b32_e32 v61, v77
	s_delay_alu instid0(VALU_DEP_3) | instskip(NEXT) | instid1(VALU_DEP_2)
	v_pk_mul_f32 v[70:71], v[70:71], v[74:75] op_sel_hi:[1,0]
	v_pk_add_f32 v[60:61], v[60:61], 0 op_sel_hi:[1,0]
	s_delay_alu instid0(VALU_DEP_2) | instskip(SKIP_1) | instid1(VALU_DEP_2)
	v_pk_fma_f32 v[64:65], v[66:67], v[62:63], v[70:71] op_sel_hi:[1,0,1]
	v_pk_fma_f32 v[62:63], v[66:67], v[62:63], v[70:71] neg_lo:[0,0,1] neg_hi:[0,0,1]
	v_mov_b32_e32 v63, v65
	s_delay_alu instid0(VALU_DEP_1) | instskip(SKIP_1) | instid1(VALU_DEP_1)
	v_pk_add_f32 v[60:61], v[60:61], v[62:63]
	s_wait_loadcnt 0x0
	v_pk_add_f32 v[60:61], v[68:69], v[60:61] neg_lo:[0,1] neg_hi:[0,1]
	scratch_store_b64 off, v[60:61], off offset:208
	s_wait_xcnt 0x0
	v_cmpx_lt_u32_e32 25, v0
	s_cbranch_execz .LBB28_137
; %bb.136:
	scratch_load_b64 v[60:61], off, off offset:200
	v_mov_b64_e32 v[62:63], 0
	scratch_store_b64 off, v[62:63], off offset:200
	s_wait_loadcnt 0x0
	ds_store_b64 v1, v[60:61]
.LBB28_137:
	s_wait_xcnt 0x0
	s_or_b32 exec_lo, exec_lo, s0
	s_wait_storecnt_dscnt 0x0
	s_barrier_signal -1
	s_barrier_wait -1
	s_clause 0x2
	scratch_load_b128 v[60:63], off, off offset:208
	scratch_load_b64 v[68:69], off, off offset:224
	scratch_load_b64 v[70:71], off, off offset:200
	v_mov_b32_e32 v5, 0
	ds_load_b128 v[64:67], v5 offset:448
	ds_load_b64 v[72:73], v5 offset:464
	s_mov_b32 s0, exec_lo
	s_wait_dscnt 0x1
	v_dual_mov_b32 v74, v67 :: v_dual_mov_b32 v75, v66
	s_wait_loadcnt 0x2
	v_mov_b32_e32 v78, v63
	v_pk_mul_f32 v[76:77], v[64:65], v[60:61] op_sel:[1,1] op_sel_hi:[0,1]
	s_delay_alu instid0(VALU_DEP_2) | instskip(NEXT) | instid1(VALU_DEP_2)
	v_pk_mul_f32 v[74:75], v[74:75], v[78:79] op_sel_hi:[1,0]
	v_pk_fma_f32 v[80:81], v[64:65], v[60:61], v[76:77] op_sel_hi:[1,0,1]
	v_pk_fma_f32 v[60:61], v[64:65], v[60:61], v[76:77] neg_lo:[0,0,1] neg_hi:[0,0,1]
	s_wait_loadcnt_dscnt 0x100
	v_pk_mul_f32 v[76:77], v[72:73], v[68:69] op_sel:[1,1] op_sel_hi:[0,1]
	v_pk_fma_f32 v[64:65], v[66:67], v[62:63], v[74:75] op_sel_hi:[1,0,1]
	v_mov_b32_e32 v61, v81
	v_pk_fma_f32 v[62:63], v[66:67], v[62:63], v[74:75] neg_lo:[0,0,1] neg_hi:[0,0,1]
	s_delay_alu instid0(VALU_DEP_4) | instskip(NEXT) | instid1(VALU_DEP_4)
	v_pk_fma_f32 v[66:67], v[72:73], v[68:69], v[76:77] neg_lo:[0,0,1] neg_hi:[0,0,1]
	v_mov_b32_e32 v63, v65
	s_delay_alu instid0(VALU_DEP_4) | instskip(SKIP_1) | instid1(VALU_DEP_2)
	v_pk_add_f32 v[60:61], v[60:61], 0 op_sel_hi:[1,0]
	v_pk_fma_f32 v[64:65], v[72:73], v[68:69], v[76:77] op_sel_hi:[1,0,1]
	v_pk_add_f32 v[60:61], v[60:61], v[62:63]
	s_delay_alu instid0(VALU_DEP_2) | instskip(NEXT) | instid1(VALU_DEP_1)
	v_mov_b32_e32 v67, v65
	v_pk_add_f32 v[60:61], v[60:61], v[66:67]
	s_wait_loadcnt 0x0
	s_delay_alu instid0(VALU_DEP_1)
	v_pk_add_f32 v[60:61], v[70:71], v[60:61] neg_lo:[0,1] neg_hi:[0,1]
	scratch_store_b64 off, v[60:61], off offset:200
	s_wait_xcnt 0x0
	v_cmpx_lt_u32_e32 24, v0
	s_cbranch_execz .LBB28_139
; %bb.138:
	scratch_load_b64 v[60:61], off, off offset:192
	v_mov_b64_e32 v[62:63], 0
	scratch_store_b64 off, v[62:63], off offset:192
	s_wait_loadcnt 0x0
	ds_store_b64 v1, v[60:61]
.LBB28_139:
	s_wait_xcnt 0x0
	s_or_b32 exec_lo, exec_lo, s0
	s_wait_storecnt_dscnt 0x0
	s_barrier_signal -1
	s_barrier_wait -1
	s_clause 0x2
	scratch_load_b128 v[60:63], off, off offset:200
	scratch_load_b128 v[64:67], off, off offset:216
	scratch_load_b64 v[76:77], off, off offset:192
	ds_load_2addr_b64 v[68:71], v5 offset0:55 offset1:56
	ds_load_2addr_b64 v[72:75], v5 offset0:57 offset1:58
	s_mov_b32 s0, exec_lo
	s_wait_dscnt 0x1
	v_dual_mov_b32 v78, v71 :: v_dual_mov_b32 v79, v70
	s_wait_loadcnt_dscnt 0x200
	v_dual_mov_b32 v84, v75 :: v_dual_mov_b32 v82, v63
	v_pk_mul_f32 v[80:81], v[68:69], v[60:61] op_sel:[1,1] op_sel_hi:[0,1]
	s_delay_alu instid0(VALU_DEP_2) | instskip(NEXT) | instid1(VALU_DEP_2)
	v_pk_mul_f32 v[78:79], v[78:79], v[82:83] op_sel_hi:[1,0]
	v_pk_fma_f32 v[86:87], v[68:69], v[60:61], v[80:81] op_sel_hi:[1,0,1]
	v_pk_fma_f32 v[60:61], v[68:69], v[60:61], v[80:81] neg_lo:[0,0,1] neg_hi:[0,0,1]
	v_mov_b32_e32 v85, v74
	s_wait_loadcnt 0x1
	v_pk_mul_f32 v[82:83], v[72:73], v[64:65] op_sel:[1,1] op_sel_hi:[0,1]
	v_pk_fma_f32 v[68:69], v[70:71], v[62:63], v[78:79] op_sel_hi:[1,0,1]
	v_dual_mov_b32 v61, v87 :: v_dual_mov_b32 v68, v67
	v_pk_fma_f32 v[62:63], v[70:71], v[62:63], v[78:79] neg_lo:[0,0,1] neg_hi:[0,0,1]
	s_delay_alu instid0(VALU_DEP_4) | instskip(NEXT) | instid1(VALU_DEP_4)
	v_pk_fma_f32 v[80:81], v[72:73], v[64:65], v[82:83] op_sel_hi:[1,0,1]
	v_mov_b32_e32 v63, v69
	s_delay_alu instid0(VALU_DEP_4) | instskip(SKIP_2) | instid1(VALU_DEP_3)
	v_pk_add_f32 v[60:61], v[60:61], 0 op_sel_hi:[1,0]
	v_pk_mul_f32 v[68:69], v[84:85], v[68:69] op_sel_hi:[1,0]
	v_pk_fma_f32 v[64:65], v[72:73], v[64:65], v[82:83] neg_lo:[0,0,1] neg_hi:[0,0,1]
	v_pk_add_f32 v[60:61], v[60:61], v[62:63]
	s_delay_alu instid0(VALU_DEP_3) | instskip(SKIP_2) | instid1(VALU_DEP_3)
	v_pk_fma_f32 v[62:63], v[74:75], v[66:67], v[68:69] op_sel_hi:[1,0,1]
	v_mov_b32_e32 v65, v81
	v_pk_fma_f32 v[66:67], v[74:75], v[66:67], v[68:69] neg_lo:[0,0,1] neg_hi:[0,0,1]
	v_mov_b32_e32 v67, v63
	s_delay_alu instid0(VALU_DEP_3) | instskip(NEXT) | instid1(VALU_DEP_1)
	v_pk_add_f32 v[60:61], v[60:61], v[64:65]
	v_pk_add_f32 v[60:61], v[60:61], v[66:67]
	s_wait_loadcnt 0x0
	s_delay_alu instid0(VALU_DEP_1)
	v_pk_add_f32 v[60:61], v[76:77], v[60:61] neg_lo:[0,1] neg_hi:[0,1]
	scratch_store_b64 off, v[60:61], off offset:192
	s_wait_xcnt 0x0
	v_cmpx_lt_u32_e32 23, v0
	s_cbranch_execz .LBB28_141
; %bb.140:
	scratch_load_b64 v[60:61], off, off offset:184
	v_mov_b64_e32 v[62:63], 0
	scratch_store_b64 off, v[62:63], off offset:184
	s_wait_loadcnt 0x0
	ds_store_b64 v1, v[60:61]
.LBB28_141:
	s_wait_xcnt 0x0
	s_or_b32 exec_lo, exec_lo, s0
	s_wait_storecnt_dscnt 0x0
	s_barrier_signal -1
	s_barrier_wait -1
	s_clause 0x3
	scratch_load_b128 v[60:63], off, off offset:192
	scratch_load_b128 v[64:67], off, off offset:208
	scratch_load_b64 v[76:77], off, off offset:224
	scratch_load_b64 v[78:79], off, off offset:184
	v_mov_b32_e32 v5, 0
	ds_load_b128 v[68:71], v5 offset:432
	ds_load_b128 v[72:75], v5 offset:448
	s_mov_b32 s0, exec_lo
	s_wait_dscnt 0x1
	v_dual_mov_b32 v80, v71 :: v_dual_mov_b32 v81, v70
	ds_load_b64 v[86:87], v5 offset:464
	s_wait_dscnt 0x1
	v_dual_mov_b32 v88, v75 :: v_dual_mov_b32 v89, v74
	s_wait_loadcnt 0x3
	v_pk_mul_f32 v[82:83], v[68:69], v[60:61] op_sel:[1,1] op_sel_hi:[0,1]
	v_mov_b32_e32 v84, v63
	s_delay_alu instid0(VALU_DEP_2) | instskip(NEXT) | instid1(VALU_DEP_2)
	v_pk_fma_f32 v[90:91], v[68:69], v[60:61], v[82:83] op_sel_hi:[1,0,1]
	v_pk_mul_f32 v[80:81], v[80:81], v[84:85] op_sel_hi:[1,0]
	v_pk_fma_f32 v[60:61], v[68:69], v[60:61], v[82:83] neg_lo:[0,0,1] neg_hi:[0,0,1]
	s_wait_loadcnt 0x2
	v_pk_mul_f32 v[84:85], v[72:73], v[64:65] op_sel:[1,1] op_sel_hi:[0,1]
	v_dual_mov_b32 v90, v67 :: v_dual_mov_b32 v61, v91
	v_pk_fma_f32 v[68:69], v[70:71], v[62:63], v[80:81] op_sel_hi:[1,0,1]
	v_pk_fma_f32 v[62:63], v[70:71], v[62:63], v[80:81] neg_lo:[0,0,1] neg_hi:[0,0,1]
	s_delay_alu instid0(VALU_DEP_4) | instskip(NEXT) | instid1(VALU_DEP_4)
	v_pk_fma_f32 v[82:83], v[72:73], v[64:65], v[84:85] op_sel_hi:[1,0,1]
	v_pk_mul_f32 v[88:89], v[88:89], v[90:91] op_sel_hi:[1,0]
	v_pk_add_f32 v[60:61], v[60:61], 0 op_sel_hi:[1,0]
	v_mov_b32_e32 v63, v69
	v_pk_fma_f32 v[64:65], v[72:73], v[64:65], v[84:85] neg_lo:[0,0,1] neg_hi:[0,0,1]
	v_mov_b32_e32 v65, v83
	v_pk_fma_f32 v[68:69], v[74:75], v[66:67], v[88:89] op_sel_hi:[1,0,1]
	v_pk_fma_f32 v[66:67], v[74:75], v[66:67], v[88:89] neg_lo:[0,0,1] neg_hi:[0,0,1]
	v_pk_add_f32 v[60:61], v[60:61], v[62:63]
	s_wait_loadcnt_dscnt 0x100
	v_pk_mul_f32 v[62:63], v[86:87], v[76:77] op_sel:[1,1] op_sel_hi:[0,1]
	s_delay_alu instid0(VALU_DEP_2) | instskip(NEXT) | instid1(VALU_DEP_2)
	v_pk_add_f32 v[60:61], v[60:61], v[64:65]
	v_pk_fma_f32 v[64:65], v[86:87], v[76:77], v[62:63] op_sel_hi:[1,0,1]
	v_mov_b32_e32 v67, v69
	v_pk_fma_f32 v[62:63], v[86:87], v[76:77], v[62:63] neg_lo:[0,0,1] neg_hi:[0,0,1]
	s_delay_alu instid0(VALU_DEP_3) | instskip(NEXT) | instid1(VALU_DEP_3)
	v_mov_b32_e32 v63, v65
	v_pk_add_f32 v[60:61], v[60:61], v[66:67]
	s_delay_alu instid0(VALU_DEP_1) | instskip(SKIP_1) | instid1(VALU_DEP_1)
	v_pk_add_f32 v[60:61], v[60:61], v[62:63]
	s_wait_loadcnt 0x0
	v_pk_add_f32 v[60:61], v[78:79], v[60:61] neg_lo:[0,1] neg_hi:[0,1]
	scratch_store_b64 off, v[60:61], off offset:184
	s_wait_xcnt 0x0
	v_cmpx_lt_u32_e32 22, v0
	s_cbranch_execz .LBB28_143
; %bb.142:
	scratch_load_b64 v[60:61], off, off offset:176
	v_mov_b64_e32 v[62:63], 0
	scratch_store_b64 off, v[62:63], off offset:176
	s_wait_loadcnt 0x0
	ds_store_b64 v1, v[60:61]
.LBB28_143:
	s_wait_xcnt 0x0
	s_or_b32 exec_lo, exec_lo, s0
	s_wait_storecnt_dscnt 0x0
	s_barrier_signal -1
	s_barrier_wait -1
	s_clause 0x3
	scratch_load_b128 v[60:63], off, off offset:184
	scratch_load_b128 v[64:67], off, off offset:200
	;; [unrolled: 1-line block ×3, first 2 shown]
	scratch_load_b64 v[84:85], off, off offset:176
	ds_load_2addr_b64 v[72:75], v5 offset0:53 offset1:54
	ds_load_2addr_b64 v[76:79], v5 offset0:55 offset1:56
	;; [unrolled: 1-line block ×3, first 2 shown]
	s_mov_b32 s0, exec_lo
	s_wait_dscnt 0x2
	v_dual_mov_b32 v86, v75 :: v_dual_mov_b32 v87, v74
	s_wait_dscnt 0x1
	v_dual_mov_b32 v88, v79 :: v_dual_mov_b32 v89, v78
	;; [unrolled: 2-line block ×3, first 2 shown]
	s_wait_loadcnt 0x3
	v_pk_mul_f32 v[90:91], v[72:73], v[60:61] op_sel:[1,1] op_sel_hi:[0,1]
	v_mov_b32_e32 v92, v63
	s_delay_alu instid0(VALU_DEP_2) | instskip(NEXT) | instid1(VALU_DEP_2)
	v_pk_fma_f32 v[96:97], v[72:73], v[60:61], v[90:91] op_sel_hi:[1,0,1]
	v_pk_mul_f32 v[86:87], v[86:87], v[92:93] op_sel_hi:[1,0]
	v_pk_fma_f32 v[60:61], v[72:73], v[60:61], v[90:91] neg_lo:[0,0,1] neg_hi:[0,0,1]
	s_wait_loadcnt 0x2
	v_pk_mul_f32 v[92:93], v[76:77], v[64:65] op_sel:[1,1] op_sel_hi:[0,1]
	v_mov_b32_e32 v96, v67
	v_pk_fma_f32 v[72:73], v[74:75], v[62:63], v[86:87] op_sel_hi:[1,0,1]
	v_mov_b32_e32 v61, v97
	v_pk_fma_f32 v[62:63], v[74:75], v[62:63], v[86:87] neg_lo:[0,0,1] neg_hi:[0,0,1]
	v_pk_fma_f32 v[90:91], v[76:77], v[64:65], v[92:93] op_sel_hi:[1,0,1]
	v_pk_mul_f32 v[88:89], v[88:89], v[96:97] op_sel_hi:[1,0]
	v_mov_b32_e32 v63, v73
	v_pk_add_f32 v[60:61], v[60:61], 0 op_sel_hi:[1,0]
	v_pk_fma_f32 v[64:65], v[76:77], v[64:65], v[92:93] neg_lo:[0,0,1] neg_hi:[0,0,1]
	s_wait_loadcnt 0x1
	v_pk_mul_f32 v[72:73], v[80:81], v[68:69] op_sel:[1,1] op_sel_hi:[0,1]
	v_mov_b32_e32 v65, v91
	v_pk_fma_f32 v[74:75], v[78:79], v[66:67], v[88:89] op_sel_hi:[1,0,1]
	v_pk_add_f32 v[60:61], v[60:61], v[62:63]
	v_mov_b32_e32 v62, v71
	v_pk_fma_f32 v[66:67], v[78:79], v[66:67], v[88:89] neg_lo:[0,0,1] neg_hi:[0,0,1]
	v_pk_fma_f32 v[76:77], v[80:81], v[68:69], v[72:73] op_sel_hi:[1,0,1]
	v_mov_b32_e32 v67, v75
	v_pk_add_f32 v[60:61], v[60:61], v[64:65]
	v_pk_mul_f32 v[62:63], v[94:95], v[62:63] op_sel_hi:[1,0]
	v_pk_fma_f32 v[64:65], v[80:81], v[68:69], v[72:73] neg_lo:[0,0,1] neg_hi:[0,0,1]
	v_mov_b32_e32 v65, v77
	s_delay_alu instid0(VALU_DEP_4) | instskip(NEXT) | instid1(VALU_DEP_4)
	v_pk_add_f32 v[60:61], v[60:61], v[66:67]
	v_pk_fma_f32 v[66:67], v[82:83], v[70:71], v[62:63] op_sel_hi:[1,0,1]
	v_pk_fma_f32 v[62:63], v[82:83], v[70:71], v[62:63] neg_lo:[0,0,1] neg_hi:[0,0,1]
	s_delay_alu instid0(VALU_DEP_3) | instskip(NEXT) | instid1(VALU_DEP_3)
	v_pk_add_f32 v[60:61], v[60:61], v[64:65]
	v_mov_b32_e32 v63, v67
	s_delay_alu instid0(VALU_DEP_1) | instskip(SKIP_1) | instid1(VALU_DEP_1)
	v_pk_add_f32 v[60:61], v[60:61], v[62:63]
	s_wait_loadcnt 0x0
	v_pk_add_f32 v[60:61], v[84:85], v[60:61] neg_lo:[0,1] neg_hi:[0,1]
	scratch_store_b64 off, v[60:61], off offset:176
	s_wait_xcnt 0x0
	v_cmpx_lt_u32_e32 21, v0
	s_cbranch_execz .LBB28_145
; %bb.144:
	scratch_load_b64 v[60:61], off, off offset:168
	v_mov_b64_e32 v[62:63], 0
	scratch_store_b64 off, v[62:63], off offset:168
	s_wait_loadcnt 0x0
	ds_store_b64 v1, v[60:61]
.LBB28_145:
	s_wait_xcnt 0x0
	s_or_b32 exec_lo, exec_lo, s0
	s_wait_storecnt_dscnt 0x0
	s_barrier_signal -1
	s_barrier_wait -1
	s_clause 0x4
	scratch_load_b128 v[60:63], off, off offset:176
	scratch_load_b128 v[64:67], off, off offset:192
	;; [unrolled: 1-line block ×3, first 2 shown]
	scratch_load_b64 v[84:85], off, off offset:224
	scratch_load_b64 v[86:87], off, off offset:168
	v_mov_b32_e32 v5, 0
	ds_load_b128 v[72:75], v5 offset:416
	ds_load_b128 v[76:79], v5 offset:432
	;; [unrolled: 1-line block ×3, first 2 shown]
	ds_load_b64 v[88:89], v5 offset:464
	s_mov_b32 s0, exec_lo
	s_wait_dscnt 0x3
	v_dual_mov_b32 v90, v75 :: v_dual_mov_b32 v91, v74
	s_wait_dscnt 0x2
	v_dual_mov_b32 v92, v79 :: v_dual_mov_b32 v93, v78
	;; [unrolled: 2-line block ×3, first 2 shown]
	s_wait_loadcnt 0x4
	v_pk_mul_f32 v[94:95], v[72:73], v[60:61] op_sel:[1,1] op_sel_hi:[0,1]
	v_mov_b32_e32 v96, v63
	s_wait_loadcnt 0x3
	v_pk_mul_f32 v[100:101], v[76:77], v[64:65] op_sel:[1,1] op_sel_hi:[0,1]
	s_wait_loadcnt 0x2
	v_pk_mul_f32 v[104:105], v[80:81], v[68:69] op_sel:[1,1] op_sel_hi:[0,1]
	v_pk_fma_f32 v[102:103], v[72:73], v[60:61], v[94:95] op_sel_hi:[1,0,1]
	v_pk_mul_f32 v[90:91], v[90:91], v[96:97] op_sel_hi:[1,0]
	v_pk_fma_f32 v[60:61], v[72:73], v[60:61], v[94:95] neg_lo:[0,0,1] neg_hi:[0,0,1]
	v_mov_b32_e32 v96, v67
	v_pk_fma_f32 v[94:95], v[76:77], v[64:65], v[100:101] op_sel_hi:[1,0,1]
	v_mov_b32_e32 v61, v103
	v_pk_fma_f32 v[72:73], v[74:75], v[62:63], v[90:91] op_sel_hi:[1,0,1]
	v_pk_fma_f32 v[62:63], v[74:75], v[62:63], v[90:91] neg_lo:[0,0,1] neg_hi:[0,0,1]
	v_pk_mul_f32 v[92:93], v[92:93], v[96:97] op_sel_hi:[1,0]
	v_pk_fma_f32 v[64:65], v[76:77], v[64:65], v[100:101] neg_lo:[0,0,1] neg_hi:[0,0,1]
	v_pk_add_f32 v[60:61], v[60:61], 0 op_sel_hi:[1,0]
	v_dual_mov_b32 v63, v73 :: v_dual_mov_b32 v72, v71
	s_delay_alu instid0(VALU_DEP_4) | instskip(SKIP_2) | instid1(VALU_DEP_4)
	v_pk_fma_f32 v[74:75], v[78:79], v[66:67], v[92:93] op_sel_hi:[1,0,1]
	v_mov_b32_e32 v65, v95
	v_pk_fma_f32 v[66:67], v[78:79], v[66:67], v[92:93] neg_lo:[0,0,1] neg_hi:[0,0,1]
	v_pk_add_f32 v[60:61], v[60:61], v[62:63]
	v_pk_fma_f32 v[62:63], v[80:81], v[68:69], v[104:105] op_sel_hi:[1,0,1]
	v_pk_mul_f32 v[72:73], v[98:99], v[72:73] op_sel_hi:[1,0]
	v_mov_b32_e32 v67, v75
	s_delay_alu instid0(VALU_DEP_4)
	v_pk_add_f32 v[60:61], v[60:61], v[64:65]
	v_pk_fma_f32 v[64:65], v[80:81], v[68:69], v[104:105] neg_lo:[0,0,1] neg_hi:[0,0,1]
	v_mov_b32_e32 v65, v63
	v_pk_fma_f32 v[62:63], v[82:83], v[70:71], v[72:73] op_sel_hi:[1,0,1]
	v_pk_fma_f32 v[68:69], v[82:83], v[70:71], v[72:73] neg_lo:[0,0,1] neg_hi:[0,0,1]
	v_pk_add_f32 v[60:61], v[60:61], v[66:67]
	s_wait_loadcnt_dscnt 0x100
	v_pk_mul_f32 v[66:67], v[88:89], v[84:85] op_sel:[1,1] op_sel_hi:[0,1]
	v_mov_b32_e32 v69, v63
	s_delay_alu instid0(VALU_DEP_3) | instskip(NEXT) | instid1(VALU_DEP_3)
	v_pk_add_f32 v[60:61], v[60:61], v[64:65]
	v_pk_fma_f32 v[62:63], v[88:89], v[84:85], v[66:67] op_sel_hi:[1,0,1]
	v_pk_fma_f32 v[64:65], v[88:89], v[84:85], v[66:67] neg_lo:[0,0,1] neg_hi:[0,0,1]
	s_delay_alu instid0(VALU_DEP_3) | instskip(NEXT) | instid1(VALU_DEP_3)
	v_pk_add_f32 v[60:61], v[60:61], v[68:69]
	v_mov_b32_e32 v65, v63
	s_delay_alu instid0(VALU_DEP_1) | instskip(SKIP_1) | instid1(VALU_DEP_1)
	v_pk_add_f32 v[60:61], v[60:61], v[64:65]
	s_wait_loadcnt 0x0
	v_pk_add_f32 v[60:61], v[86:87], v[60:61] neg_lo:[0,1] neg_hi:[0,1]
	scratch_store_b64 off, v[60:61], off offset:168
	s_wait_xcnt 0x0
	v_cmpx_lt_u32_e32 20, v0
	s_cbranch_execz .LBB28_147
; %bb.146:
	scratch_load_b64 v[60:61], off, off offset:160
	v_mov_b64_e32 v[62:63], 0
	scratch_store_b64 off, v[62:63], off offset:160
	s_wait_loadcnt 0x0
	ds_store_b64 v1, v[60:61]
.LBB28_147:
	s_wait_xcnt 0x0
	s_or_b32 exec_lo, exec_lo, s0
	s_wait_storecnt_dscnt 0x0
	s_barrier_signal -1
	s_barrier_wait -1
	s_clause 0x4
	scratch_load_b128 v[60:63], off, off offset:168
	scratch_load_b128 v[64:67], off, off offset:184
	;; [unrolled: 1-line block ×4, first 2 shown]
	scratch_load_b64 v[92:93], off, off offset:160
	ds_load_2addr_b64 v[76:79], v5 offset0:51 offset1:52
	ds_load_2addr_b64 v[80:83], v5 offset0:53 offset1:54
	;; [unrolled: 1-line block ×4, first 2 shown]
	s_mov_b32 s0, exec_lo
	s_wait_dscnt 0x3
	v_dual_mov_b32 v94, v79 :: v_dual_mov_b32 v95, v78
	s_wait_dscnt 0x2
	v_dual_mov_b32 v96, v83 :: v_dual_mov_b32 v97, v82
	;; [unrolled: 2-line block ×3, first 2 shown]
	v_dual_mov_b32 v99, v86 :: v_dual_mov_b32 v104, v91
	s_wait_loadcnt 0x4
	v_mov_b32_e32 v102, v63
	v_pk_mul_f32 v[100:101], v[76:77], v[60:61] op_sel:[1,1] op_sel_hi:[0,1]
	s_wait_loadcnt 0x3
	v_pk_mul_f32 v[106:107], v[80:81], v[64:65] op_sel:[1,1] op_sel_hi:[0,1]
	s_wait_loadcnt 0x2
	v_pk_mul_f32 v[110:111], v[84:85], v[68:69] op_sel:[1,1] op_sel_hi:[0,1]
	v_pk_mul_f32 v[94:95], v[94:95], v[102:103] op_sel_hi:[1,0]
	v_pk_fma_f32 v[108:109], v[76:77], v[60:61], v[100:101] op_sel_hi:[1,0,1]
	v_pk_fma_f32 v[60:61], v[76:77], v[60:61], v[100:101] neg_lo:[0,0,1] neg_hi:[0,0,1]
	v_mov_b32_e32 v102, v67
	v_pk_fma_f32 v[100:101], v[80:81], v[64:65], v[106:107] op_sel_hi:[1,0,1]
	v_pk_fma_f32 v[76:77], v[78:79], v[62:63], v[94:95] op_sel_hi:[1,0,1]
	v_mov_b32_e32 v61, v109
	v_pk_fma_f32 v[62:63], v[78:79], v[62:63], v[94:95] neg_lo:[0,0,1] neg_hi:[0,0,1]
	v_pk_mul_f32 v[96:97], v[96:97], v[102:103] op_sel_hi:[1,0]
	s_delay_alu instid0(VALU_DEP_4) | instskip(NEXT) | instid1(VALU_DEP_4)
	v_dual_mov_b32 v76, v71 :: v_dual_mov_b32 v63, v77
	v_pk_add_f32 v[60:61], v[60:61], 0 op_sel_hi:[1,0]
	v_pk_fma_f32 v[64:65], v[80:81], v[64:65], v[106:107] neg_lo:[0,0,1] neg_hi:[0,0,1]
	v_mov_b32_e32 v65, v101
	v_pk_fma_f32 v[78:79], v[82:83], v[66:67], v[96:97] op_sel_hi:[1,0,1]
	v_pk_mul_f32 v[76:77], v[98:99], v[76:77] op_sel_hi:[1,0]
	v_pk_add_f32 v[60:61], v[60:61], v[62:63]
	v_pk_fma_f32 v[62:63], v[84:85], v[68:69], v[110:111] op_sel_hi:[1,0,1]
	v_pk_fma_f32 v[66:67], v[82:83], v[66:67], v[96:97] neg_lo:[0,0,1] neg_hi:[0,0,1]
	v_mov_b32_e32 v67, v79
	v_pk_fma_f32 v[68:69], v[84:85], v[68:69], v[110:111] neg_lo:[0,0,1] neg_hi:[0,0,1]
	v_pk_add_f32 v[60:61], v[60:61], v[64:65]
	v_mov_b32_e32 v69, v63
	v_pk_fma_f32 v[62:63], v[86:87], v[70:71], v[76:77] op_sel_hi:[1,0,1]
	s_wait_loadcnt 0x1
	v_pk_mul_f32 v[64:65], v[88:89], v[72:73] op_sel:[1,1] op_sel_hi:[0,1]
	v_mov_b32_e32 v62, v75
	v_pk_add_f32 v[60:61], v[60:61], v[66:67]
	v_pk_fma_f32 v[70:71], v[86:87], v[70:71], v[76:77] neg_lo:[0,0,1] neg_hi:[0,0,1]
	v_mov_b32_e32 v71, v63
	v_pk_fma_f32 v[66:67], v[88:89], v[72:73], v[64:65] op_sel_hi:[1,0,1]
	v_pk_mul_f32 v[62:63], v[104:105], v[62:63] op_sel_hi:[1,0]
	v_pk_add_f32 v[60:61], v[60:61], v[68:69]
	v_pk_fma_f32 v[64:65], v[88:89], v[72:73], v[64:65] neg_lo:[0,0,1] neg_hi:[0,0,1]
	s_delay_alu instid0(VALU_DEP_4) | instskip(NEXT) | instid1(VALU_DEP_4)
	v_mov_b32_e32 v65, v67
	v_pk_fma_f32 v[66:67], v[90:91], v[74:75], v[62:63] op_sel_hi:[1,0,1]
	s_delay_alu instid0(VALU_DEP_4) | instskip(SKIP_1) | instid1(VALU_DEP_3)
	v_pk_add_f32 v[60:61], v[60:61], v[70:71]
	v_pk_fma_f32 v[62:63], v[90:91], v[74:75], v[62:63] neg_lo:[0,0,1] neg_hi:[0,0,1]
	v_mov_b32_e32 v63, v67
	s_delay_alu instid0(VALU_DEP_3) | instskip(NEXT) | instid1(VALU_DEP_1)
	v_pk_add_f32 v[60:61], v[60:61], v[64:65]
	v_pk_add_f32 v[60:61], v[60:61], v[62:63]
	s_wait_loadcnt 0x0
	s_delay_alu instid0(VALU_DEP_1)
	v_pk_add_f32 v[60:61], v[92:93], v[60:61] neg_lo:[0,1] neg_hi:[0,1]
	scratch_store_b64 off, v[60:61], off offset:160
	s_wait_xcnt 0x0
	v_cmpx_lt_u32_e32 19, v0
	s_cbranch_execz .LBB28_149
; %bb.148:
	scratch_load_b64 v[60:61], off, off offset:152
	v_mov_b64_e32 v[62:63], 0
	scratch_store_b64 off, v[62:63], off offset:152
	s_wait_loadcnt 0x0
	ds_store_b64 v1, v[60:61]
.LBB28_149:
	s_wait_xcnt 0x0
	s_or_b32 exec_lo, exec_lo, s0
	s_wait_storecnt_dscnt 0x0
	s_barrier_signal -1
	s_barrier_wait -1
	s_clause 0x5
	scratch_load_b128 v[60:63], off, off offset:160
	scratch_load_b128 v[64:67], off, off offset:176
	;; [unrolled: 1-line block ×4, first 2 shown]
	scratch_load_b64 v[92:93], off, off offset:224
	scratch_load_b64 v[94:95], off, off offset:152
	v_mov_b32_e32 v5, 0
	ds_load_b128 v[76:79], v5 offset:400
	ds_load_b128 v[80:83], v5 offset:416
	;; [unrolled: 1-line block ×4, first 2 shown]
	ds_load_b64 v[96:97], v5 offset:464
	s_mov_b32 s0, exec_lo
	s_wait_dscnt 0x4
	v_dual_mov_b32 v98, v79 :: v_dual_mov_b32 v99, v78
	s_wait_dscnt 0x1
	v_dual_mov_b32 v100, v83 :: v_dual_mov_b32 v105, v90
	v_dual_mov_b32 v101, v82 :: v_dual_mov_b32 v102, v87
	;; [unrolled: 1-line block ×3, first 2 shown]
	s_wait_loadcnt 0x5
	v_dual_mov_b32 v106, v63 :: v_dual_mul_f32 v107, v76, v61
	v_mul_f32_e32 v7, v77, v61
	s_wait_loadcnt 0x4
	v_pk_mul_f32 v[108:109], v[80:81], v[64:65] op_sel:[1,1] op_sel_hi:[0,1]
	v_mov_b32_e32 v110, v67
	s_wait_loadcnt 0x3
	v_pk_mul_f32 v[112:113], v[84:85], v[68:69] op_sel:[1,1] op_sel_hi:[0,1]
	v_pk_mul_f32 v[98:99], v[98:99], v[106:107] op_sel_hi:[1,0]
	v_fmac_f32_e32 v107, v77, v60
	v_dual_fma_f32 v106, v76, v60, -v7 :: v_dual_mov_b32 v60, v71
	v_pk_fma_f32 v[114:115], v[80:81], v[64:65], v[108:109] op_sel_hi:[1,0,1]
	s_delay_alu instid0(VALU_DEP_4)
	v_pk_fma_f32 v[76:77], v[78:79], v[62:63], v[98:99] op_sel_hi:[1,0,1]
	v_pk_fma_f32 v[62:63], v[78:79], v[62:63], v[98:99] neg_lo:[0,0,1] neg_hi:[0,0,1]
	v_pk_mul_f32 v[100:101], v[100:101], v[110:111] op_sel_hi:[1,0]
	v_pk_add_f32 v[106:107], v[106:107], 0 op_sel_hi:[1,0]
	v_pk_fma_f32 v[64:65], v[80:81], v[64:65], v[108:109] neg_lo:[0,0,1] neg_hi:[0,0,1]
	v_dual_mov_b32 v63, v77 :: v_dual_mov_b32 v65, v115
	s_delay_alu instid0(VALU_DEP_4) | instskip(SKIP_2) | instid1(VALU_DEP_4)
	v_pk_fma_f32 v[78:79], v[82:83], v[66:67], v[100:101] op_sel_hi:[1,0,1]
	v_pk_fma_f32 v[66:67], v[82:83], v[66:67], v[100:101] neg_lo:[0,0,1] neg_hi:[0,0,1]
	v_pk_fma_f32 v[80:81], v[84:85], v[68:69], v[112:113] op_sel_hi:[1,0,1]
	v_pk_add_f32 v[62:63], v[106:107], v[62:63]
	v_pk_mul_f32 v[60:61], v[102:103], v[60:61] op_sel_hi:[1,0]
	v_mov_b32_e32 v67, v79
	v_pk_fma_f32 v[68:69], v[84:85], v[68:69], v[112:113] neg_lo:[0,0,1] neg_hi:[0,0,1]
	s_wait_loadcnt 0x2
	v_pk_mul_f32 v[76:77], v[88:89], v[72:73] op_sel:[1,1] op_sel_hi:[0,1]
	v_pk_add_f32 v[62:63], v[62:63], v[64:65]
	v_mov_b32_e32 v64, v75
	v_pk_fma_f32 v[78:79], v[86:87], v[70:71], v[60:61] op_sel_hi:[1,0,1]
	v_mov_b32_e32 v69, v81
	v_pk_fma_f32 v[60:61], v[86:87], v[70:71], v[60:61] neg_lo:[0,0,1] neg_hi:[0,0,1]
	v_pk_add_f32 v[62:63], v[62:63], v[66:67]
	v_pk_fma_f32 v[66:67], v[88:89], v[72:73], v[76:77] op_sel_hi:[1,0,1]
	v_pk_mul_f32 v[64:65], v[104:105], v[64:65] op_sel_hi:[1,0]
	v_mov_b32_e32 v61, v79
	s_delay_alu instid0(VALU_DEP_4)
	v_pk_add_f32 v[62:63], v[62:63], v[68:69]
	v_pk_fma_f32 v[68:69], v[88:89], v[72:73], v[76:77] neg_lo:[0,0,1] neg_hi:[0,0,1]
	v_mov_b32_e32 v69, v67
	v_pk_fma_f32 v[66:67], v[90:91], v[74:75], v[64:65] op_sel_hi:[1,0,1]
	v_pk_fma_f32 v[64:65], v[90:91], v[74:75], v[64:65] neg_lo:[0,0,1] neg_hi:[0,0,1]
	v_pk_add_f32 v[60:61], v[62:63], v[60:61]
	s_wait_loadcnt_dscnt 0x100
	v_pk_mul_f32 v[62:63], v[96:97], v[92:93] op_sel:[1,1] op_sel_hi:[0,1]
	v_mov_b32_e32 v65, v67
	s_delay_alu instid0(VALU_DEP_3) | instskip(NEXT) | instid1(VALU_DEP_3)
	v_pk_add_f32 v[60:61], v[60:61], v[68:69]
	v_pk_fma_f32 v[66:67], v[96:97], v[92:93], v[62:63] op_sel_hi:[1,0,1]
	v_pk_fma_f32 v[62:63], v[96:97], v[92:93], v[62:63] neg_lo:[0,0,1] neg_hi:[0,0,1]
	s_delay_alu instid0(VALU_DEP_3) | instskip(NEXT) | instid1(VALU_DEP_3)
	v_pk_add_f32 v[60:61], v[60:61], v[64:65]
	v_mov_b32_e32 v63, v67
	s_delay_alu instid0(VALU_DEP_1) | instskip(SKIP_1) | instid1(VALU_DEP_1)
	v_pk_add_f32 v[60:61], v[60:61], v[62:63]
	s_wait_loadcnt 0x0
	v_pk_add_f32 v[60:61], v[94:95], v[60:61] neg_lo:[0,1] neg_hi:[0,1]
	scratch_store_b64 off, v[60:61], off offset:152
	s_wait_xcnt 0x0
	v_cmpx_lt_u32_e32 18, v0
	s_cbranch_execz .LBB28_151
; %bb.150:
	scratch_load_b64 v[60:61], off, off offset:144
	v_mov_b64_e32 v[62:63], 0
	scratch_store_b64 off, v[62:63], off offset:144
	s_wait_loadcnt 0x0
	ds_store_b64 v1, v[60:61]
.LBB28_151:
	s_wait_xcnt 0x0
	s_or_b32 exec_lo, exec_lo, s0
	s_wait_storecnt_dscnt 0x0
	s_barrier_signal -1
	s_barrier_wait -1
	s_clause 0x5
	scratch_load_b128 v[60:63], off, off offset:152
	scratch_load_b128 v[64:67], off, off offset:168
	;; [unrolled: 1-line block ×5, first 2 shown]
	scratch_load_b64 v[100:101], off, off offset:144
	ds_load_2addr_b64 v[80:83], v5 offset0:51 offset1:52
	ds_load_2addr_b64 v[84:87], v5 offset0:53 offset1:54
	;; [unrolled: 1-line block ×5, first 2 shown]
	s_mov_b32 s0, exec_lo
	s_wait_dscnt 0x4
	v_dual_mov_b32 v102, v83 :: v_dual_mov_b32 v103, v82
	s_wait_dscnt 0x3
	v_dual_mov_b32 v104, v87 :: v_dual_mov_b32 v105, v86
	;; [unrolled: 2-line block ×4, first 2 shown]
	s_wait_loadcnt_dscnt 0x500
	v_dual_mul_f32 v111, v96, v61 :: v_dual_mul_f32 v113, v98, v63
	v_dual_mul_f32 v5, v97, v61 :: v_dual_mul_f32 v7, v99, v63
	s_wait_loadcnt 0x4
	v_pk_mul_f32 v[114:115], v[80:81], v[64:65] op_sel:[1,1] op_sel_hi:[0,1]
	s_wait_loadcnt 0x3
	v_dual_mov_b32 v116, v67 :: v_dual_mov_b32 v120, v71
	v_dual_fmac_f32 v111, v97, v60 :: v_dual_fma_f32 v110, v96, v60, -v5
	v_dual_fmac_f32 v113, v99, v62 :: v_dual_fma_f32 v112, v98, v62, -v7
	v_pk_fma_f32 v[60:61], v[80:81], v[64:65], v[114:115] op_sel_hi:[1,0,1]
	s_delay_alu instid0(VALU_DEP_4) | instskip(NEXT) | instid1(VALU_DEP_4)
	v_pk_mul_f32 v[62:63], v[102:103], v[116:117] op_sel_hi:[1,0]
	v_pk_add_f32 v[96:97], v[110:111], 0 op_sel_hi:[1,0]
	v_pk_fma_f32 v[64:65], v[80:81], v[64:65], v[114:115] neg_lo:[0,0,1] neg_hi:[0,0,1]
	v_pk_mul_f32 v[118:119], v[84:85], v[68:69] op_sel:[1,1] op_sel_hi:[0,1]
	v_mov_b32_e32 v65, v61
	v_pk_fma_f32 v[60:61], v[82:83], v[66:67], v[62:63] op_sel_hi:[1,0,1]
	v_pk_add_f32 v[80:81], v[96:97], v[112:113]
	v_pk_fma_f32 v[62:63], v[82:83], v[66:67], v[62:63] neg_lo:[0,0,1] neg_hi:[0,0,1]
	v_pk_fma_f32 v[96:97], v[84:85], v[68:69], v[118:119] op_sel_hi:[1,0,1]
	v_pk_mul_f32 v[102:103], v[104:105], v[120:121] op_sel_hi:[1,0]
	v_mov_b32_e32 v63, v61
	v_pk_add_f32 v[60:61], v[80:81], v[64:65]
	s_wait_loadcnt 0x2
	v_pk_mul_f32 v[98:99], v[88:89], v[72:73] op_sel:[1,1] op_sel_hi:[0,1]
	v_mov_b32_e32 v64, v75
	v_pk_fma_f32 v[66:67], v[84:85], v[68:69], v[118:119] neg_lo:[0,0,1] neg_hi:[0,0,1]
	v_mov_b32_e32 v67, v97
	v_pk_fma_f32 v[68:69], v[86:87], v[70:71], v[102:103] op_sel_hi:[1,0,1]
	v_pk_add_f32 v[60:61], v[60:61], v[62:63]
	v_pk_fma_f32 v[62:63], v[88:89], v[72:73], v[98:99] op_sel_hi:[1,0,1]
	v_pk_mul_f32 v[64:65], v[106:107], v[64:65] op_sel_hi:[1,0]
	v_pk_fma_f32 v[70:71], v[86:87], v[70:71], v[102:103] neg_lo:[0,0,1] neg_hi:[0,0,1]
	v_mov_b32_e32 v71, v69
	v_pk_add_f32 v[60:61], v[60:61], v[66:67]
	v_pk_fma_f32 v[68:69], v[88:89], v[72:73], v[98:99] neg_lo:[0,0,1] neg_hi:[0,0,1]
	v_mov_b32_e32 v69, v63
	v_pk_fma_f32 v[62:63], v[90:91], v[74:75], v[64:65] op_sel_hi:[1,0,1]
	s_wait_loadcnt 0x1
	v_pk_mul_f32 v[66:67], v[92:93], v[76:77] op_sel:[1,1] op_sel_hi:[0,1]
	v_pk_add_f32 v[60:61], v[60:61], v[70:71]
	v_mov_b32_e32 v62, v79
	v_pk_fma_f32 v[64:65], v[90:91], v[74:75], v[64:65] neg_lo:[0,0,1] neg_hi:[0,0,1]
	v_mov_b32_e32 v65, v63
	v_pk_fma_f32 v[70:71], v[92:93], v[76:77], v[66:67] op_sel_hi:[1,0,1]
	v_pk_add_f32 v[60:61], v[60:61], v[68:69]
	v_pk_mul_f32 v[62:63], v[108:109], v[62:63] op_sel_hi:[1,0]
	v_pk_fma_f32 v[66:67], v[92:93], v[76:77], v[66:67] neg_lo:[0,0,1] neg_hi:[0,0,1]
	s_delay_alu instid0(VALU_DEP_3) | instskip(NEXT) | instid1(VALU_DEP_3)
	v_pk_add_f32 v[60:61], v[60:61], v[64:65]
	v_pk_fma_f32 v[64:65], v[94:95], v[78:79], v[62:63] op_sel_hi:[1,0,1]
	v_mov_b32_e32 v67, v71
	v_pk_fma_f32 v[62:63], v[94:95], v[78:79], v[62:63] neg_lo:[0,0,1] neg_hi:[0,0,1]
	s_delay_alu instid0(VALU_DEP_3) | instskip(NEXT) | instid1(VALU_DEP_3)
	v_mov_b32_e32 v63, v65
	v_pk_add_f32 v[60:61], v[60:61], v[66:67]
	s_delay_alu instid0(VALU_DEP_1) | instskip(SKIP_1) | instid1(VALU_DEP_1)
	v_pk_add_f32 v[60:61], v[60:61], v[62:63]
	s_wait_loadcnt 0x0
	v_pk_add_f32 v[60:61], v[100:101], v[60:61] neg_lo:[0,1] neg_hi:[0,1]
	scratch_store_b64 off, v[60:61], off offset:144
	s_wait_xcnt 0x0
	v_cmpx_lt_u32_e32 17, v0
	s_cbranch_execz .LBB28_153
; %bb.152:
	scratch_load_b64 v[60:61], off, off offset:136
	v_mov_b64_e32 v[62:63], 0
	scratch_store_b64 off, v[62:63], off offset:136
	s_wait_loadcnt 0x0
	ds_store_b64 v1, v[60:61]
.LBB28_153:
	s_wait_xcnt 0x0
	s_or_b32 exec_lo, exec_lo, s0
	s_wait_storecnt_dscnt 0x0
	s_barrier_signal -1
	s_barrier_wait -1
	s_clause 0x6
	scratch_load_b128 v[60:63], off, off offset:144
	scratch_load_b128 v[64:67], off, off offset:160
	;; [unrolled: 1-line block ×5, first 2 shown]
	scratch_load_b64 v[100:101], off, off offset:224
	scratch_load_b64 v[102:103], off, off offset:136
	v_mov_b32_e32 v5, 0
	ds_load_b128 v[80:83], v5 offset:400
	ds_load_b128 v[84:87], v5 offset:416
	;; [unrolled: 1-line block ×5, first 2 shown]
	ds_load_b64 v[104:105], v5 offset:464
	s_mov_b32 s0, exec_lo
	s_wait_dscnt 0x5
	v_dual_mov_b32 v106, v83 :: v_dual_mov_b32 v107, v82
	s_wait_dscnt 0x2
	v_dual_mov_b32 v108, v87 :: v_dual_mov_b32 v113, v94
	v_dual_mov_b32 v109, v86 :: v_dual_mov_b32 v110, v91
	;; [unrolled: 1-line block ×3, first 2 shown]
	s_wait_loadcnt_dscnt 0x601
	v_dual_mul_f32 v7, v96, v61 :: v_dual_mul_f32 v11, v97, v61
	v_dual_mul_f32 v13, v99, v63 :: v_dual_mul_f32 v115, v98, v63
	s_wait_loadcnt 0x5
	v_dual_mul_f32 v117, v80, v65 :: v_dual_mul_f32 v15, v81, v65
	s_wait_loadcnt 0x4
	v_dual_mov_b32 v116, v67 :: v_dual_mov_b32 v120, v71
	v_fmac_f32_e32 v7, v97, v60
	v_dual_fma_f32 v11, v96, v60, -v11 :: v_dual_fma_f32 v114, v98, v62, -v13
	v_fmac_f32_e32 v115, v99, v62
	s_delay_alu instid0(VALU_DEP_4) | instskip(NEXT) | instid1(VALU_DEP_4)
	v_pk_mul_f32 v[60:61], v[106:107], v[116:117] op_sel_hi:[1,0]
	v_add_f32_e32 v63, 0, v7
	s_wait_loadcnt 0x3
	v_dual_add_f32 v62, 0, v11 :: v_dual_mov_b32 v96, v75
	v_pk_mul_f32 v[118:119], v[84:85], v[68:69] op_sel:[1,1] op_sel_hi:[0,1]
	v_dual_fmac_f32 v117, v81, v64 :: v_dual_fma_f32 v116, v80, v64, -v15
	v_pk_fma_f32 v[64:65], v[82:83], v[66:67], v[60:61] op_sel_hi:[1,0,1]
	s_delay_alu instid0(VALU_DEP_4)
	v_pk_add_f32 v[62:63], v[62:63], v[114:115]
	v_pk_fma_f32 v[60:61], v[82:83], v[66:67], v[60:61] neg_lo:[0,0,1] neg_hi:[0,0,1]
	v_pk_fma_f32 v[80:81], v[84:85], v[68:69], v[118:119] op_sel_hi:[1,0,1]
	v_pk_mul_f32 v[98:99], v[108:109], v[120:121] op_sel_hi:[1,0]
	v_mov_b32_e32 v61, v65
	v_pk_add_f32 v[62:63], v[62:63], v[116:117]
	v_pk_fma_f32 v[66:67], v[84:85], v[68:69], v[118:119] neg_lo:[0,0,1] neg_hi:[0,0,1]
	v_pk_mul_f32 v[122:123], v[88:89], v[72:73] op_sel:[1,1] op_sel_hi:[0,1]
	v_mov_b32_e32 v67, v81
	v_pk_fma_f32 v[68:69], v[86:87], v[70:71], v[98:99] op_sel_hi:[1,0,1]
	v_pk_add_f32 v[60:61], v[62:63], v[60:61]
	v_pk_fma_f32 v[70:71], v[86:87], v[70:71], v[98:99] neg_lo:[0,0,1] neg_hi:[0,0,1]
	v_pk_fma_f32 v[62:63], v[88:89], v[72:73], v[122:123] op_sel_hi:[1,0,1]
	v_pk_mul_f32 v[80:81], v[110:111], v[96:97] op_sel_hi:[1,0]
	s_wait_loadcnt 0x2
	v_dual_mov_b32 v71, v69 :: v_dual_mov_b32 v62, v79
	v_pk_add_f32 v[60:61], v[60:61], v[66:67]
	v_pk_fma_f32 v[66:67], v[88:89], v[72:73], v[122:123] neg_lo:[0,0,1] neg_hi:[0,0,1]
	v_pk_mul_f32 v[64:65], v[92:93], v[76:77] op_sel:[1,1] op_sel_hi:[0,1]
	v_pk_fma_f32 v[68:69], v[90:91], v[74:75], v[80:81] op_sel_hi:[1,0,1]
	v_mov_b32_e32 v67, v63
	v_pk_add_f32 v[60:61], v[60:61], v[70:71]
	v_pk_fma_f32 v[72:73], v[90:91], v[74:75], v[80:81] neg_lo:[0,0,1] neg_hi:[0,0,1]
	v_pk_fma_f32 v[70:71], v[92:93], v[76:77], v[64:65] op_sel_hi:[1,0,1]
	v_pk_mul_f32 v[62:63], v[112:113], v[62:63] op_sel_hi:[1,0]
	v_mov_b32_e32 v73, v69
	v_pk_add_f32 v[60:61], v[60:61], v[66:67]
	v_pk_fma_f32 v[64:65], v[92:93], v[76:77], v[64:65] neg_lo:[0,0,1] neg_hi:[0,0,1]
	s_wait_loadcnt_dscnt 0x100
	v_pk_mul_f32 v[68:69], v[104:105], v[100:101] op_sel:[1,1] op_sel_hi:[0,1]
	v_pk_fma_f32 v[66:67], v[94:95], v[78:79], v[62:63] op_sel_hi:[1,0,1]
	v_mov_b32_e32 v65, v71
	v_pk_add_f32 v[60:61], v[60:61], v[72:73]
	v_pk_fma_f32 v[62:63], v[94:95], v[78:79], v[62:63] neg_lo:[0,0,1] neg_hi:[0,0,1]
	s_delay_alu instid0(VALU_DEP_4) | instskip(SKIP_1) | instid1(VALU_DEP_4)
	v_mov_b32_e32 v63, v67
	v_pk_fma_f32 v[66:67], v[104:105], v[100:101], v[68:69] neg_lo:[0,0,1] neg_hi:[0,0,1]
	v_pk_add_f32 v[60:61], v[60:61], v[64:65]
	v_pk_fma_f32 v[64:65], v[104:105], v[100:101], v[68:69] op_sel_hi:[1,0,1]
	s_delay_alu instid0(VALU_DEP_2) | instskip(NEXT) | instid1(VALU_DEP_2)
	v_pk_add_f32 v[60:61], v[60:61], v[62:63]
	v_mov_b32_e32 v67, v65
	s_delay_alu instid0(VALU_DEP_1) | instskip(SKIP_1) | instid1(VALU_DEP_1)
	v_pk_add_f32 v[60:61], v[60:61], v[66:67]
	s_wait_loadcnt 0x0
	v_pk_add_f32 v[60:61], v[102:103], v[60:61] neg_lo:[0,1] neg_hi:[0,1]
	scratch_store_b64 off, v[60:61], off offset:136
	s_wait_xcnt 0x0
	v_cmpx_lt_u32_e32 16, v0
	s_cbranch_execz .LBB28_155
; %bb.154:
	scratch_load_b64 v[60:61], off, off offset:128
	v_mov_b64_e32 v[62:63], 0
	scratch_store_b64 off, v[62:63], off offset:128
	s_wait_loadcnt 0x0
	ds_store_b64 v1, v[60:61]
.LBB28_155:
	s_wait_xcnt 0x0
	s_or_b32 exec_lo, exec_lo, s0
	s_wait_storecnt_dscnt 0x0
	s_barrier_signal -1
	s_barrier_wait -1
	s_clause 0x6
	scratch_load_b128 v[60:63], off, off offset:136
	scratch_load_b128 v[64:67], off, off offset:152
	;; [unrolled: 1-line block ×6, first 2 shown]
	scratch_load_b64 v[108:109], off, off offset:128
	ds_load_2addr_b64 v[84:87], v5 offset0:51 offset1:52
	ds_load_2addr_b64 v[88:91], v5 offset0:53 offset1:54
	;; [unrolled: 1-line block ×6, first 2 shown]
	s_mov_b32 s0, exec_lo
	s_wait_dscnt 0x5
	v_dual_mov_b32 v110, v87 :: v_dual_mov_b32 v111, v86
	s_wait_dscnt 0x4
	v_dual_mov_b32 v112, v91 :: v_dual_mov_b32 v113, v90
	;; [unrolled: 2-line block ×4, first 2 shown]
	s_wait_loadcnt_dscnt 0x601
	v_dual_mul_f32 v5, v100, v61 :: v_dual_mul_f32 v7, v102, v63
	v_dual_mul_f32 v11, v101, v61 :: v_dual_mul_f32 v13, v103, v63
	s_wait_loadcnt 0x4
	s_delay_alu instid0(VALU_DEP_2)
	v_dual_mov_b32 v124, v71 :: v_dual_fmac_f32 v5, v101, v60
	s_wait_dscnt 0x0
	v_dual_mul_f32 v119, v104, v65 :: v_dual_mul_f32 v121, v106, v67
	v_dual_fma_f32 v11, v100, v60, -v11 :: v_dual_fma_f32 v13, v102, v62, -v13
	v_dual_mul_f32 v15, v105, v65 :: v_dual_mul_f32 v17, v107, v67
	v_dual_fmac_f32 v7, v103, v62 :: v_dual_add_f32 v5, 0, v5
	s_wait_loadcnt 0x3
	s_delay_alu instid0(VALU_DEP_3)
	v_dual_add_f32 v11, 0, v11 :: v_dual_mov_b32 v62, v75
	v_pk_mul_f32 v[122:123], v[84:85], v[68:69] op_sel:[1,1] op_sel_hi:[0,1]
	v_pk_mul_f32 v[60:61], v[88:89], v[72:73] op_sel:[1,1] op_sel_hi:[0,1]
	v_fmac_f32_e32 v119, v105, v64
	v_dual_fma_f32 v118, v104, v64, -v15 :: v_dual_add_f32 v65, v5, v7
	v_add_f32_e32 v64, v11, v13
	v_fmac_f32_e32 v121, v107, v66
	v_fma_f32 v120, v106, v66, -v17
	v_pk_fma_f32 v[66:67], v[84:85], v[68:69], v[122:123] op_sel_hi:[1,0,1]
	v_pk_mul_f32 v[100:101], v[110:111], v[124:125] op_sel_hi:[1,0]
	v_pk_add_f32 v[64:65], v[64:65], v[118:119]
	v_pk_fma_f32 v[68:69], v[84:85], v[68:69], v[122:123] neg_lo:[0,0,1] neg_hi:[0,0,1]
	v_pk_fma_f32 v[84:85], v[88:89], v[72:73], v[60:61] op_sel_hi:[1,0,1]
	v_pk_fma_f32 v[60:61], v[88:89], v[72:73], v[60:61] neg_lo:[0,0,1] neg_hi:[0,0,1]
	v_mov_b32_e32 v69, v67
	v_pk_fma_f32 v[66:67], v[86:87], v[70:71], v[100:101] op_sel_hi:[1,0,1]
	v_pk_fma_f32 v[70:71], v[86:87], v[70:71], v[100:101] neg_lo:[0,0,1] neg_hi:[0,0,1]
	v_mov_b32_e32 v61, v85
	v_pk_add_f32 v[64:65], v[64:65], v[120:121]
	v_pk_mul_f32 v[62:63], v[112:113], v[62:63] op_sel_hi:[1,0]
	s_wait_loadcnt 0x2
	v_dual_mov_b32 v71, v67 :: v_dual_mov_b32 v66, v79
	v_pk_mul_f32 v[102:103], v[92:93], v[76:77] op_sel:[1,1] op_sel_hi:[0,1]
	v_pk_add_f32 v[64:65], v[64:65], v[68:69]
	v_pk_fma_f32 v[68:69], v[90:91], v[74:75], v[62:63] op_sel_hi:[1,0,1]
	v_pk_fma_f32 v[62:63], v[90:91], v[74:75], v[62:63] neg_lo:[0,0,1] neg_hi:[0,0,1]
	v_pk_mul_f32 v[66:67], v[114:115], v[66:67] op_sel_hi:[1,0]
	s_delay_alu instid0(VALU_DEP_4) | instskip(SKIP_3) | instid1(VALU_DEP_4)
	v_pk_add_f32 v[64:65], v[64:65], v[70:71]
	v_pk_fma_f32 v[70:71], v[92:93], v[76:77], v[102:103] op_sel_hi:[1,0,1]
	v_mov_b32_e32 v63, v69
	v_pk_fma_f32 v[68:69], v[92:93], v[76:77], v[102:103] neg_lo:[0,0,1] neg_hi:[0,0,1]
	v_pk_add_f32 v[60:61], v[64:65], v[60:61]
	s_wait_loadcnt 0x1
	v_pk_mul_f32 v[64:65], v[96:97], v[80:81] op_sel:[1,1] op_sel_hi:[0,1]
	v_mov_b32_e32 v69, v71
	v_pk_fma_f32 v[70:71], v[94:95], v[78:79], v[66:67] op_sel_hi:[1,0,1]
	v_pk_fma_f32 v[66:67], v[94:95], v[78:79], v[66:67] neg_lo:[0,0,1] neg_hi:[0,0,1]
	v_pk_add_f32 v[60:61], v[60:61], v[62:63]
	v_mov_b32_e32 v62, v83
	v_pk_fma_f32 v[72:73], v[96:97], v[80:81], v[64:65] op_sel_hi:[1,0,1]
	v_mov_b32_e32 v67, v71
	v_pk_fma_f32 v[64:65], v[96:97], v[80:81], v[64:65] neg_lo:[0,0,1] neg_hi:[0,0,1]
	v_pk_add_f32 v[60:61], v[60:61], v[68:69]
	v_pk_mul_f32 v[62:63], v[116:117], v[62:63] op_sel_hi:[1,0]
	s_delay_alu instid0(VALU_DEP_2) | instskip(NEXT) | instid1(VALU_DEP_2)
	v_pk_add_f32 v[60:61], v[60:61], v[66:67]
	v_pk_fma_f32 v[66:67], v[98:99], v[82:83], v[62:63] op_sel_hi:[1,0,1]
	v_mov_b32_e32 v65, v73
	v_pk_fma_f32 v[62:63], v[98:99], v[82:83], v[62:63] neg_lo:[0,0,1] neg_hi:[0,0,1]
	s_delay_alu instid0(VALU_DEP_3) | instskip(NEXT) | instid1(VALU_DEP_3)
	v_mov_b32_e32 v63, v67
	v_pk_add_f32 v[60:61], v[60:61], v[64:65]
	s_delay_alu instid0(VALU_DEP_1) | instskip(SKIP_1) | instid1(VALU_DEP_1)
	v_pk_add_f32 v[60:61], v[60:61], v[62:63]
	s_wait_loadcnt 0x0
	v_pk_add_f32 v[60:61], v[108:109], v[60:61] neg_lo:[0,1] neg_hi:[0,1]
	scratch_store_b64 off, v[60:61], off offset:128
	s_wait_xcnt 0x0
	v_cmpx_lt_u32_e32 15, v0
	s_cbranch_execz .LBB28_157
; %bb.156:
	scratch_load_b64 v[60:61], off, off offset:120
	v_mov_b64_e32 v[62:63], 0
	scratch_store_b64 off, v[62:63], off offset:120
	s_wait_loadcnt 0x0
	ds_store_b64 v1, v[60:61]
.LBB28_157:
	s_wait_xcnt 0x0
	s_or_b32 exec_lo, exec_lo, s0
	s_wait_storecnt_dscnt 0x0
	s_barrier_signal -1
	s_barrier_wait -1
	s_clause 0x7
	scratch_load_b128 v[60:63], off, off offset:128
	scratch_load_b128 v[64:67], off, off offset:144
	;; [unrolled: 1-line block ×6, first 2 shown]
	scratch_load_b64 v[108:109], off, off offset:224
	scratch_load_b64 v[110:111], off, off offset:120
	v_mov_b32_e32 v5, 0
	ds_load_b128 v[84:87], v5 offset:400
	ds_load_b128 v[88:91], v5 offset:416
	;; [unrolled: 1-line block ×6, first 2 shown]
	ds_load_b64 v[112:113], v5 offset:464
	s_mov_b32 s0, exec_lo
	s_wait_dscnt 0x6
	v_dual_mov_b32 v114, v87 :: v_dual_mov_b32 v115, v86
	s_wait_dscnt 0x3
	v_dual_mov_b32 v116, v91 :: v_dual_mov_b32 v121, v98
	v_dual_mov_b32 v117, v90 :: v_dual_mov_b32 v118, v95
	;; [unrolled: 1-line block ×3, first 2 shown]
	s_wait_loadcnt_dscnt 0x702
	v_dual_mul_f32 v7, v100, v61 :: v_dual_mul_f32 v15, v101, v61
	v_dual_mul_f32 v17, v103, v63 :: v_dual_mul_f32 v11, v102, v63
	s_wait_loadcnt_dscnt 0x601
	s_delay_alu instid0(VALU_DEP_2) | instskip(NEXT) | instid1(VALU_DEP_2)
	v_dual_mul_f32 v13, v104, v65 :: v_dual_fmac_f32 v7, v101, v60
	v_dual_fma_f32 v15, v100, v60, -v15 :: v_dual_fma_f32 v17, v102, v62, -v17
	s_wait_loadcnt 0x5
	v_dual_mul_f32 v123, v106, v67 :: v_dual_mul_f32 v125, v84, v69
	v_dual_mul_f32 v19, v105, v65 :: v_dual_mul_f32 v21, v107, v67
	v_dual_mul_f32 v23, v85, v69 :: v_dual_mov_b32 v124, v71
	s_wait_loadcnt 0x4
	v_mov_b32_e32 v60, v75
	v_dual_fmac_f32 v11, v103, v62 :: v_dual_add_f32 v7, 0, v7
	v_dual_add_f32 v15, 0, v15 :: v_dual_fmac_f32 v13, v105, v64
	v_fma_f32 v19, v104, v64, -v19
	v_pk_mul_f32 v[64:65], v[114:115], v[124:125] op_sel_hi:[1,0]
	s_delay_alu instid0(VALU_DEP_4) | instskip(NEXT) | instid1(VALU_DEP_4)
	v_add_f32_e32 v7, v7, v11
	v_dual_add_f32 v11, v15, v17 :: v_dual_fma_f32 v122, v106, v66, -v21
	v_dual_fmac_f32 v123, v107, v66 :: v_dual_fmac_f32 v125, v85, v68
	s_delay_alu instid0(VALU_DEP_3) | instskip(SKIP_1) | instid1(VALU_DEP_4)
	v_dual_add_f32 v67, v7, v13 :: v_dual_fma_f32 v124, v84, v68, -v23
	v_pk_fma_f32 v[68:69], v[86:87], v[70:71], v[64:65] op_sel_hi:[1,0,1]
	v_add_f32_e32 v66, v11, v19
	v_pk_fma_f32 v[64:65], v[86:87], v[70:71], v[64:65] neg_lo:[0,0,1] neg_hi:[0,0,1]
	v_pk_mul_f32 v[126:127], v[88:89], v[72:73] op_sel:[1,1] op_sel_hi:[0,1]
	v_pk_mul_f32 v[60:61], v[116:117], v[60:61] op_sel_hi:[1,0]
	v_mov_b32_e32 v65, v69
	v_pk_add_f32 v[66:67], v[66:67], v[122:123]
	s_wait_loadcnt 0x3
	v_pk_mul_f32 v[62:63], v[92:93], v[76:77] op_sel:[1,1] op_sel_hi:[0,1]
	v_pk_fma_f32 v[84:85], v[88:89], v[72:73], v[126:127] op_sel_hi:[1,0,1]
	v_pk_fma_f32 v[70:71], v[88:89], v[72:73], v[126:127] neg_lo:[0,0,1] neg_hi:[0,0,1]
	v_mov_b32_e32 v100, v79
	v_pk_add_f32 v[66:67], v[66:67], v[124:125]
	v_pk_fma_f32 v[72:73], v[90:91], v[74:75], v[60:61] op_sel_hi:[1,0,1]
	v_mov_b32_e32 v71, v85
	v_pk_fma_f32 v[60:61], v[90:91], v[74:75], v[60:61] neg_lo:[0,0,1] neg_hi:[0,0,1]
	v_pk_mul_f32 v[84:85], v[118:119], v[100:101] op_sel_hi:[1,0]
	v_pk_add_f32 v[64:65], v[66:67], v[64:65]
	v_pk_fma_f32 v[66:67], v[92:93], v[76:77], v[62:63] op_sel_hi:[1,0,1]
	s_wait_loadcnt 0x2
	v_dual_mov_b32 v61, v73 :: v_dual_mov_b32 v66, v83
	v_pk_fma_f32 v[62:63], v[92:93], v[76:77], v[62:63] neg_lo:[0,0,1] neg_hi:[0,0,1]
	v_pk_add_f32 v[64:65], v[64:65], v[70:71]
	v_pk_mul_f32 v[68:69], v[96:97], v[80:81] op_sel:[1,1] op_sel_hi:[0,1]
	v_pk_fma_f32 v[70:71], v[94:95], v[78:79], v[84:85] op_sel_hi:[1,0,1]
	v_mov_b32_e32 v63, v67
	v_pk_fma_f32 v[72:73], v[94:95], v[78:79], v[84:85] neg_lo:[0,0,1] neg_hi:[0,0,1]
	v_pk_add_f32 v[60:61], v[64:65], v[60:61]
	v_pk_fma_f32 v[64:65], v[96:97], v[80:81], v[68:69] op_sel_hi:[1,0,1]
	v_pk_mul_f32 v[66:67], v[120:121], v[66:67] op_sel_hi:[1,0]
	v_mov_b32_e32 v73, v71
	s_delay_alu instid0(VALU_DEP_4)
	v_pk_add_f32 v[60:61], v[60:61], v[62:63]
	v_pk_fma_f32 v[62:63], v[96:97], v[80:81], v[68:69] neg_lo:[0,0,1] neg_hi:[0,0,1]
	v_mov_b32_e32 v63, v65
	v_pk_fma_f32 v[64:65], v[98:99], v[82:83], v[66:67] op_sel_hi:[1,0,1]
	s_wait_loadcnt_dscnt 0x100
	v_pk_mul_f32 v[68:69], v[112:113], v[108:109] op_sel:[1,1] op_sel_hi:[0,1]
	v_pk_add_f32 v[60:61], v[60:61], v[72:73]
	v_pk_fma_f32 v[66:67], v[98:99], v[82:83], v[66:67] neg_lo:[0,0,1] neg_hi:[0,0,1]
	v_mov_b32_e32 v67, v65
	s_delay_alu instid0(VALU_DEP_4) | instskip(NEXT) | instid1(VALU_DEP_4)
	v_pk_fma_f32 v[64:65], v[112:113], v[108:109], v[68:69] neg_lo:[0,0,1] neg_hi:[0,0,1]
	v_pk_add_f32 v[60:61], v[60:61], v[62:63]
	v_pk_fma_f32 v[62:63], v[112:113], v[108:109], v[68:69] op_sel_hi:[1,0,1]
	s_delay_alu instid0(VALU_DEP_2) | instskip(NEXT) | instid1(VALU_DEP_2)
	v_pk_add_f32 v[60:61], v[60:61], v[66:67]
	v_mov_b32_e32 v65, v63
	s_delay_alu instid0(VALU_DEP_1) | instskip(SKIP_1) | instid1(VALU_DEP_1)
	v_pk_add_f32 v[60:61], v[60:61], v[64:65]
	s_wait_loadcnt 0x0
	v_pk_add_f32 v[60:61], v[110:111], v[60:61] neg_lo:[0,1] neg_hi:[0,1]
	scratch_store_b64 off, v[60:61], off offset:120
	s_wait_xcnt 0x0
	v_cmpx_lt_u32_e32 14, v0
	s_cbranch_execz .LBB28_159
; %bb.158:
	scratch_load_b64 v[60:61], off, off offset:112
	v_mov_b64_e32 v[62:63], 0
	scratch_store_b64 off, v[62:63], off offset:112
	s_wait_loadcnt 0x0
	ds_store_b64 v1, v[60:61]
.LBB28_159:
	s_wait_xcnt 0x0
	s_or_b32 exec_lo, exec_lo, s0
	s_wait_storecnt_dscnt 0x0
	s_barrier_signal -1
	s_barrier_wait -1
	s_clause 0x7
	scratch_load_b128 v[60:63], off, off offset:120
	scratch_load_b128 v[64:67], off, off offset:136
	;; [unrolled: 1-line block ×7, first 2 shown]
	scratch_load_b64 v[116:117], off, off offset:112
	ds_load_2addr_b64 v[88:91], v5 offset0:51 offset1:52
	ds_load_2addr_b64 v[92:95], v5 offset0:53 offset1:54
	;; [unrolled: 1-line block ×7, first 2 shown]
	s_mov_b32 s0, exec_lo
	s_wait_dscnt 0x6
	v_dual_mov_b32 v118, v91 :: v_dual_mov_b32 v119, v90
	s_wait_dscnt 0x5
	v_dual_mov_b32 v120, v95 :: v_dual_mov_b32 v121, v94
	;; [unrolled: 2-line block ×4, first 2 shown]
	s_wait_loadcnt_dscnt 0x702
	v_dual_mul_f32 v5, v104, v61 :: v_dual_mul_f32 v7, v106, v63
	v_dual_mul_f32 v15, v105, v61 :: v_dual_mul_f32 v17, v107, v63
	s_wait_loadcnt_dscnt 0x601
	v_dual_mul_f32 v11, v108, v65 :: v_dual_mul_f32 v13, v110, v67
	s_delay_alu instid0(VALU_DEP_2) | instskip(SKIP_2) | instid1(VALU_DEP_3)
	v_dual_fmac_f32 v5, v105, v60 :: v_dual_fma_f32 v15, v104, v60, -v15
	v_dual_mul_f32 v19, v109, v65 :: v_dual_mul_f32 v21, v111, v67
	v_dual_fmac_f32 v7, v107, v62 :: v_dual_fma_f32 v17, v106, v62, -v17
	v_dual_add_f32 v5, 0, v5 :: v_dual_add_f32 v15, 0, v15
	s_wait_loadcnt 0x4
	v_dual_mov_b32 v62, v75 :: v_dual_fmac_f32 v11, v109, v64
	s_delay_alu instid0(VALU_DEP_2) | instskip(NEXT) | instid1(VALU_DEP_3)
	v_dual_fma_f32 v19, v108, v64, -v19 :: v_dual_add_f32 v5, v5, v7
	v_dual_add_f32 v7, v15, v17 :: v_dual_fma_f32 v15, v110, v66, -v21
	s_wait_dscnt 0x0
	v_dual_mul_f32 v127, v112, v69 :: v_dual_mul_f32 v129, v114, v71
	v_dual_mul_f32 v23, v113, v69 :: v_dual_mul_f32 v25, v115, v71
	v_dual_fmac_f32 v13, v111, v66 :: v_dual_add_f32 v5, v5, v11
	s_delay_alu instid0(VALU_DEP_3)
	v_dual_add_f32 v7, v7, v19 :: v_dual_fmac_f32 v127, v113, v68
	v_pk_mul_f32 v[60:61], v[88:89], v[72:73] op_sel:[1,1] op_sel_hi:[0,1]
	s_wait_loadcnt 0x3
	v_pk_mul_f32 v[64:65], v[92:93], v[76:77] op_sel:[1,1] op_sel_hi:[0,1]
	v_dual_mov_b32 v66, v79 :: v_dual_fma_f32 v126, v112, v68, -v23
	v_dual_add_f32 v69, v5, v13 :: v_dual_add_f32 v68, v7, v15
	v_fmac_f32_e32 v129, v115, v70
	v_fma_f32 v128, v114, v70, -v25
	v_pk_fma_f32 v[70:71], v[88:89], v[72:73], v[60:61] op_sel_hi:[1,0,1]
	v_pk_mul_f32 v[62:63], v[118:119], v[62:63] op_sel_hi:[1,0]
	v_pk_add_f32 v[68:69], v[68:69], v[126:127]
	v_pk_fma_f32 v[60:61], v[88:89], v[72:73], v[60:61] neg_lo:[0,0,1] neg_hi:[0,0,1]
	v_pk_fma_f32 v[72:73], v[92:93], v[76:77], v[64:65] op_sel_hi:[1,0,1]
	v_pk_fma_f32 v[64:65], v[92:93], v[76:77], v[64:65] neg_lo:[0,0,1] neg_hi:[0,0,1]
	v_mov_b32_e32 v61, v71
	v_pk_fma_f32 v[70:71], v[90:91], v[74:75], v[62:63] op_sel_hi:[1,0,1]
	v_pk_fma_f32 v[62:63], v[90:91], v[74:75], v[62:63] neg_lo:[0,0,1] neg_hi:[0,0,1]
	v_mov_b32_e32 v65, v73
	v_pk_add_f32 v[68:69], v[68:69], v[128:129]
	v_pk_mul_f32 v[66:67], v[120:121], v[66:67] op_sel_hi:[1,0]
	v_mov_b32_e32 v63, v71
	s_wait_loadcnt 0x2
	v_pk_mul_f32 v[104:105], v[96:97], v[80:81] op_sel:[1,1] op_sel_hi:[0,1]
	v_pk_add_f32 v[60:61], v[68:69], v[60:61]
	v_mov_b32_e32 v68, v83
	v_pk_fma_f32 v[70:71], v[94:95], v[78:79], v[66:67] op_sel_hi:[1,0,1]
	v_pk_fma_f32 v[66:67], v[94:95], v[78:79], v[66:67] neg_lo:[0,0,1] neg_hi:[0,0,1]
	s_delay_alu instid0(VALU_DEP_4)
	v_pk_add_f32 v[60:61], v[60:61], v[62:63]
	v_pk_fma_f32 v[62:63], v[96:97], v[80:81], v[104:105] op_sel_hi:[1,0,1]
	v_pk_mul_f32 v[68:69], v[122:123], v[68:69] op_sel_hi:[1,0]
	v_mov_b32_e32 v67, v71
	v_pk_fma_f32 v[70:71], v[96:97], v[80:81], v[104:105] neg_lo:[0,0,1] neg_hi:[0,0,1]
	v_pk_add_f32 v[60:61], v[60:61], v[64:65]
	v_mov_b32_e32 v71, v63
	v_pk_fma_f32 v[62:63], v[98:99], v[82:83], v[68:69] op_sel_hi:[1,0,1]
	s_wait_loadcnt 0x1
	v_pk_mul_f32 v[64:65], v[100:101], v[84:85] op_sel:[1,1] op_sel_hi:[0,1]
	v_mov_b32_e32 v62, v87
	v_pk_add_f32 v[60:61], v[60:61], v[66:67]
	v_pk_fma_f32 v[68:69], v[98:99], v[82:83], v[68:69] neg_lo:[0,0,1] neg_hi:[0,0,1]
	v_mov_b32_e32 v69, v63
	v_pk_fma_f32 v[66:67], v[100:101], v[84:85], v[64:65] op_sel_hi:[1,0,1]
	v_pk_mul_f32 v[62:63], v[124:125], v[62:63] op_sel_hi:[1,0]
	v_pk_add_f32 v[60:61], v[60:61], v[70:71]
	v_pk_fma_f32 v[64:65], v[100:101], v[84:85], v[64:65] neg_lo:[0,0,1] neg_hi:[0,0,1]
	s_delay_alu instid0(VALU_DEP_4) | instskip(NEXT) | instid1(VALU_DEP_4)
	v_mov_b32_e32 v65, v67
	v_pk_fma_f32 v[66:67], v[102:103], v[86:87], v[62:63] op_sel_hi:[1,0,1]
	s_delay_alu instid0(VALU_DEP_4) | instskip(SKIP_1) | instid1(VALU_DEP_3)
	v_pk_add_f32 v[60:61], v[60:61], v[68:69]
	v_pk_fma_f32 v[62:63], v[102:103], v[86:87], v[62:63] neg_lo:[0,0,1] neg_hi:[0,0,1]
	v_mov_b32_e32 v63, v67
	s_delay_alu instid0(VALU_DEP_3) | instskip(NEXT) | instid1(VALU_DEP_1)
	v_pk_add_f32 v[60:61], v[60:61], v[64:65]
	v_pk_add_f32 v[60:61], v[60:61], v[62:63]
	s_wait_loadcnt 0x0
	s_delay_alu instid0(VALU_DEP_1)
	v_pk_add_f32 v[60:61], v[116:117], v[60:61] neg_lo:[0,1] neg_hi:[0,1]
	scratch_store_b64 off, v[60:61], off offset:112
	s_wait_xcnt 0x0
	v_cmpx_lt_u32_e32 13, v0
	s_cbranch_execz .LBB28_161
; %bb.160:
	scratch_load_b64 v[60:61], off, off offset:104
	v_mov_b64_e32 v[62:63], 0
	scratch_store_b64 off, v[62:63], off offset:104
	s_wait_loadcnt 0x0
	ds_store_b64 v1, v[60:61]
.LBB28_161:
	s_wait_xcnt 0x0
	s_or_b32 exec_lo, exec_lo, s0
	s_wait_storecnt_dscnt 0x0
	s_barrier_signal -1
	s_barrier_wait -1
	s_clause 0x8
	scratch_load_b128 v[60:63], off, off offset:112
	scratch_load_b128 v[64:67], off, off offset:128
	;; [unrolled: 1-line block ×7, first 2 shown]
	scratch_load_b64 v[116:117], off, off offset:224
	scratch_load_b64 v[118:119], off, off offset:104
	v_mov_b32_e32 v5, 0
	ds_load_b128 v[88:91], v5 offset:400
	ds_load_b128 v[92:95], v5 offset:416
	;; [unrolled: 1-line block ×7, first 2 shown]
	ds_load_b64 v[120:121], v5 offset:464
	s_mov_b32 s0, exec_lo
	s_wait_dscnt 0x7
	v_dual_mov_b32 v122, v91 :: v_dual_mov_b32 v123, v90
	s_wait_dscnt 0x4
	v_dual_mov_b32 v124, v95 :: v_dual_mov_b32 v129, v102
	v_dual_mov_b32 v125, v94 :: v_dual_mov_b32 v126, v99
	;; [unrolled: 1-line block ×3, first 2 shown]
	s_wait_loadcnt_dscnt 0x803
	v_dual_mul_f32 v7, v104, v61 :: v_dual_mul_f32 v19, v105, v61
	v_dual_mul_f32 v21, v107, v63 :: v_dual_mul_f32 v11, v106, v63
	s_wait_loadcnt_dscnt 0x702
	v_mul_f32_e32 v13, v108, v65
	s_wait_loadcnt 0x5
	v_dual_mul_f32 v31, v89, v73 :: v_dual_fma_f32 v19, v104, v60, -v19
	v_dual_fmac_f32 v7, v105, v60 :: v_dual_mov_b32 v60, v75
	v_dual_mul_f32 v23, v109, v65 :: v_dual_mul_f32 v25, v111, v67
	v_dual_fmac_f32 v11, v107, v62 :: v_dual_fma_f32 v21, v106, v62, -v21
	s_delay_alu instid0(VALU_DEP_3) | instskip(NEXT) | instid1(VALU_DEP_3)
	v_dual_add_f32 v7, 0, v7 :: v_dual_fmac_f32 v13, v109, v64
	v_dual_add_f32 v19, 0, v19 :: v_dual_fma_f32 v23, v108, v64, -v23
	s_wait_dscnt 0x1
	v_dual_mul_f32 v15, v110, v67 :: v_dual_mul_f32 v17, v112, v69
	s_delay_alu instid0(VALU_DEP_3) | instskip(NEXT) | instid1(VALU_DEP_3)
	v_add_f32_e32 v7, v7, v11
	v_dual_add_f32 v11, v19, v21 :: v_dual_mul_f32 v131, v114, v71
	v_mul_f32_e32 v133, v88, v73
	v_dual_mul_f32 v27, v113, v69 :: v_dual_mul_f32 v29, v115, v71
	s_wait_loadcnt 0x4
	v_pk_mul_f32 v[62:63], v[92:93], v[76:77] op_sel:[1,1] op_sel_hi:[0,1]
	s_delay_alu instid0(VALU_DEP_3)
	v_dual_fmac_f32 v15, v111, v66 :: v_dual_fmac_f32 v133, v89, v72
	v_dual_fma_f32 v19, v110, v66, -v25 :: v_dual_add_f32 v7, v7, v13
	v_fma_f32 v130, v114, v70, -v29
	v_dual_fmac_f32 v17, v113, v68 :: v_dual_add_f32 v11, v11, v23
	v_fma_f32 v132, v88, v72, -v31
	v_pk_mul_f32 v[60:61], v[122:123], v[60:61] op_sel_hi:[1,0]
	v_dual_mov_b32 v64, v79 :: v_dual_fma_f32 v13, v112, v68, -v27
	v_pk_fma_f32 v[88:89], v[92:93], v[76:77], v[62:63] op_sel_hi:[1,0,1]
	v_add_f32_e32 v11, v11, v19
	s_delay_alu instid0(VALU_DEP_4) | instskip(SKIP_3) | instid1(VALU_DEP_4)
	v_pk_fma_f32 v[72:73], v[90:91], v[74:75], v[60:61] op_sel_hi:[1,0,1]
	v_add_f32_e32 v7, v7, v15
	v_pk_fma_f32 v[60:61], v[90:91], v[74:75], v[60:61] neg_lo:[0,0,1] neg_hi:[0,0,1]
	v_pk_fma_f32 v[62:63], v[92:93], v[76:77], v[62:63] neg_lo:[0,0,1] neg_hi:[0,0,1]
	v_dual_fmac_f32 v131, v115, v70 :: v_dual_mov_b32 v61, v73
	s_delay_alu instid0(VALU_DEP_4)
	v_dual_add_f32 v69, v7, v17 :: v_dual_mov_b32 v63, v89
	v_add_f32_e32 v68, v11, v13
	v_pk_mul_f32 v[64:65], v[124:125], v[64:65] op_sel_hi:[1,0]
	s_wait_loadcnt 0x3
	v_pk_mul_f32 v[66:67], v[96:97], v[80:81] op_sel:[1,1] op_sel_hi:[0,1]
	s_wait_loadcnt 0x2
	v_pk_mul_f32 v[72:73], v[100:101], v[84:85] op_sel:[1,1] op_sel_hi:[0,1]
	v_pk_add_f32 v[68:69], v[68:69], v[130:131]
	v_pk_fma_f32 v[74:75], v[94:95], v[78:79], v[64:65] op_sel_hi:[1,0,1]
	v_mov_b32_e32 v70, v83
	v_pk_fma_f32 v[64:65], v[94:95], v[78:79], v[64:65] neg_lo:[0,0,1] neg_hi:[0,0,1]
	s_delay_alu instid0(VALU_DEP_4) | instskip(NEXT) | instid1(VALU_DEP_4)
	v_pk_add_f32 v[68:69], v[68:69], v[132:133]
	v_mov_b32_e32 v65, v75
	s_delay_alu instid0(VALU_DEP_4) | instskip(NEXT) | instid1(VALU_DEP_3)
	v_pk_mul_f32 v[70:71], v[126:127], v[70:71] op_sel_hi:[1,0]
	v_pk_add_f32 v[60:61], v[68:69], v[60:61]
	v_pk_fma_f32 v[68:69], v[96:97], v[80:81], v[66:67] op_sel_hi:[1,0,1]
	v_pk_fma_f32 v[66:67], v[96:97], v[80:81], v[66:67] neg_lo:[0,0,1] neg_hi:[0,0,1]
	s_delay_alu instid0(VALU_DEP_3) | instskip(NEXT) | instid1(VALU_DEP_3)
	v_pk_add_f32 v[60:61], v[60:61], v[62:63]
	v_dual_mov_b32 v62, v87 :: v_dual_mov_b32 v67, v69
	v_pk_fma_f32 v[68:69], v[98:99], v[82:83], v[70:71] op_sel_hi:[1,0,1]
	v_pk_fma_f32 v[70:71], v[98:99], v[82:83], v[70:71] neg_lo:[0,0,1] neg_hi:[0,0,1]
	s_delay_alu instid0(VALU_DEP_4)
	v_pk_add_f32 v[60:61], v[60:61], v[64:65]
	v_pk_fma_f32 v[64:65], v[100:101], v[84:85], v[72:73] op_sel_hi:[1,0,1]
	v_pk_mul_f32 v[62:63], v[128:129], v[62:63] op_sel_hi:[1,0]
	v_mov_b32_e32 v71, v69
	s_wait_loadcnt_dscnt 0x100
	v_pk_mul_f32 v[68:69], v[120:121], v[116:117] op_sel:[1,1] op_sel_hi:[0,1]
	v_pk_add_f32 v[60:61], v[60:61], v[66:67]
	v_pk_fma_f32 v[66:67], v[100:101], v[84:85], v[72:73] neg_lo:[0,0,1] neg_hi:[0,0,1]
	v_mov_b32_e32 v67, v65
	v_pk_fma_f32 v[64:65], v[102:103], v[86:87], v[62:63] op_sel_hi:[1,0,1]
	v_pk_fma_f32 v[62:63], v[102:103], v[86:87], v[62:63] neg_lo:[0,0,1] neg_hi:[0,0,1]
	v_pk_add_f32 v[60:61], v[60:61], v[70:71]
	s_delay_alu instid0(VALU_DEP_3) | instskip(SKIP_1) | instid1(VALU_DEP_3)
	v_mov_b32_e32 v63, v65
	v_pk_fma_f32 v[64:65], v[120:121], v[116:117], v[68:69] op_sel_hi:[1,0,1]
	v_pk_add_f32 v[60:61], v[60:61], v[66:67]
	v_pk_fma_f32 v[66:67], v[120:121], v[116:117], v[68:69] neg_lo:[0,0,1] neg_hi:[0,0,1]
	s_delay_alu instid0(VALU_DEP_3) | instskip(NEXT) | instid1(VALU_DEP_3)
	v_mov_b32_e32 v67, v65
	v_pk_add_f32 v[60:61], v[60:61], v[62:63]
	s_delay_alu instid0(VALU_DEP_1) | instskip(SKIP_1) | instid1(VALU_DEP_1)
	v_pk_add_f32 v[60:61], v[60:61], v[66:67]
	s_wait_loadcnt 0x0
	v_pk_add_f32 v[60:61], v[118:119], v[60:61] neg_lo:[0,1] neg_hi:[0,1]
	scratch_store_b64 off, v[60:61], off offset:104
	s_wait_xcnt 0x0
	v_cmpx_lt_u32_e32 12, v0
	s_cbranch_execz .LBB28_163
; %bb.162:
	scratch_load_b64 v[60:61], off, off offset:96
	v_mov_b64_e32 v[62:63], 0
	scratch_store_b64 off, v[62:63], off offset:96
	s_wait_loadcnt 0x0
	ds_store_b64 v1, v[60:61]
.LBB28_163:
	s_wait_xcnt 0x0
	s_or_b32 exec_lo, exec_lo, s0
	s_wait_storecnt_dscnt 0x0
	s_barrier_signal -1
	s_barrier_wait -1
	s_clause 0x8
	scratch_load_b128 v[60:63], off, off offset:104
	scratch_load_b128 v[64:67], off, off offset:120
	;; [unrolled: 1-line block ×8, first 2 shown]
	scratch_load_b64 v[124:125], off, off offset:96
	ds_load_2addr_b64 v[92:95], v5 offset0:51 offset1:52
	ds_load_2addr_b64 v[96:99], v5 offset0:53 offset1:54
	;; [unrolled: 1-line block ×8, first 2 shown]
	s_mov_b32 s0, exec_lo
	s_wait_dscnt 0x7
	v_dual_mov_b32 v126, v95 :: v_dual_mov_b32 v127, v94
	s_wait_dscnt 0x6
	v_dual_mov_b32 v128, v99 :: v_dual_mov_b32 v129, v98
	;; [unrolled: 2-line block ×4, first 2 shown]
	s_wait_loadcnt_dscnt 0x803
	v_dual_mul_f32 v5, v108, v61 :: v_dual_mul_f32 v7, v110, v63
	v_dual_mul_f32 v19, v109, v61 :: v_dual_mul_f32 v21, v111, v63
	s_wait_loadcnt_dscnt 0x702
	v_dual_mul_f32 v11, v112, v65 :: v_dual_mul_f32 v13, v114, v67
	s_delay_alu instid0(VALU_DEP_2) | instskip(SKIP_3) | instid1(VALU_DEP_3)
	v_dual_fmac_f32 v5, v109, v60 :: v_dual_fma_f32 v19, v108, v60, -v19
	v_dual_mul_f32 v23, v113, v65 :: v_dual_mul_f32 v25, v115, v67
	s_wait_loadcnt_dscnt 0x500
	v_dual_mul_f32 v31, v121, v73 :: v_dual_fmac_f32 v7, v111, v62
	v_dual_fma_f32 v21, v110, v62, -v21 :: v_dual_add_f32 v5, 0, v5
	v_dual_add_f32 v19, 0, v19 :: v_dual_fmac_f32 v11, v113, v64
	v_dual_mul_f32 v33, v123, v75 :: v_dual_fma_f32 v23, v112, v64, -v23
	s_delay_alu instid0(VALU_DEP_2) | instskip(SKIP_2) | instid1(VALU_DEP_3)
	v_dual_add_f32 v5, v5, v7 :: v_dual_add_f32 v7, v19, v21
	v_dual_mul_f32 v15, v116, v69 :: v_dual_mul_f32 v17, v118, v71
	v_dual_mul_f32 v27, v117, v69 :: v_dual_mul_f32 v29, v119, v71
	v_dual_fmac_f32 v13, v115, v66 :: v_dual_add_f32 v5, v5, v11
	s_delay_alu instid0(VALU_DEP_4) | instskip(SKIP_2) | instid1(VALU_DEP_3)
	v_dual_fma_f32 v19, v114, v66, -v25 :: v_dual_add_f32 v7, v7, v23
	s_wait_loadcnt 0x4
	v_dual_mov_b32 v62, v79 :: v_dual_fmac_f32 v15, v117, v68
	v_dual_fma_f32 v11, v116, v68, -v27 :: v_dual_add_f32 v5, v5, v13
	s_delay_alu instid0(VALU_DEP_3) | instskip(SKIP_1) | instid1(VALU_DEP_3)
	v_dual_add_f32 v7, v7, v19 :: v_dual_fma_f32 v13, v118, v70, -v29
	v_dual_mul_f32 v135, v120, v73 :: v_dual_mul_f32 v137, v122, v75
	v_dual_fmac_f32 v17, v119, v70 :: v_dual_add_f32 v5, v5, v15
	s_delay_alu instid0(VALU_DEP_2)
	v_dual_add_f32 v7, v7, v11 :: v_dual_fmac_f32 v135, v121, v72
	v_pk_mul_f32 v[60:61], v[92:93], v[76:77] op_sel:[1,1] op_sel_hi:[0,1]
	s_wait_loadcnt 0x3
	v_dual_mov_b32 v66, v83 :: v_dual_fma_f32 v134, v120, v72, -v31
	v_dual_add_f32 v69, v5, v17 :: v_dual_fmac_f32 v137, v123, v74
	v_dual_add_f32 v68, v7, v13 :: v_dual_fma_f32 v136, v122, v74, -v33
	v_pk_fma_f32 v[70:71], v[92:93], v[76:77], v[60:61] op_sel_hi:[1,0,1]
	v_pk_mul_f32 v[62:63], v[126:127], v[62:63] op_sel_hi:[1,0]
	v_pk_fma_f32 v[60:61], v[92:93], v[76:77], v[60:61] neg_lo:[0,0,1] neg_hi:[0,0,1]
	s_delay_alu instid0(VALU_DEP_4)
	v_pk_add_f32 v[68:69], v[68:69], v[134:135]
	v_pk_mul_f32 v[64:65], v[96:97], v[80:81] op_sel:[1,1] op_sel_hi:[0,1]
	v_mov_b32_e32 v61, v71
	v_pk_fma_f32 v[70:71], v[94:95], v[78:79], v[62:63] op_sel_hi:[1,0,1]
	v_pk_fma_f32 v[62:63], v[94:95], v[78:79], v[62:63] neg_lo:[0,0,1] neg_hi:[0,0,1]
	v_pk_add_f32 v[68:69], v[68:69], v[136:137]
	v_pk_fma_f32 v[74:75], v[96:97], v[80:81], v[64:65] op_sel_hi:[1,0,1]
	v_pk_mul_f32 v[66:67], v[128:129], v[66:67] op_sel_hi:[1,0]
	v_mov_b32_e32 v63, v71
	s_wait_loadcnt 0x2
	v_pk_mul_f32 v[72:73], v[100:101], v[84:85] op_sel:[1,1] op_sel_hi:[0,1]
	v_pk_add_f32 v[60:61], v[68:69], v[60:61]
	v_mov_b32_e32 v68, v87
	v_pk_fma_f32 v[64:65], v[96:97], v[80:81], v[64:65] neg_lo:[0,0,1] neg_hi:[0,0,1]
	v_mov_b32_e32 v65, v75
	v_pk_fma_f32 v[70:71], v[98:99], v[82:83], v[66:67] op_sel_hi:[1,0,1]
	v_pk_add_f32 v[60:61], v[60:61], v[62:63]
	v_pk_fma_f32 v[62:63], v[100:101], v[84:85], v[72:73] op_sel_hi:[1,0,1]
	v_pk_mul_f32 v[68:69], v[130:131], v[68:69] op_sel_hi:[1,0]
	v_pk_fma_f32 v[66:67], v[98:99], v[82:83], v[66:67] neg_lo:[0,0,1] neg_hi:[0,0,1]
	v_mov_b32_e32 v67, v71
	v_pk_add_f32 v[60:61], v[60:61], v[64:65]
	v_pk_fma_f32 v[70:71], v[100:101], v[84:85], v[72:73] neg_lo:[0,0,1] neg_hi:[0,0,1]
	v_mov_b32_e32 v71, v63
	v_pk_fma_f32 v[62:63], v[102:103], v[86:87], v[68:69] op_sel_hi:[1,0,1]
	s_wait_loadcnt 0x1
	v_pk_mul_f32 v[64:65], v[104:105], v[88:89] op_sel:[1,1] op_sel_hi:[0,1]
	v_pk_add_f32 v[60:61], v[60:61], v[66:67]
	v_mov_b32_e32 v62, v91
	v_pk_fma_f32 v[68:69], v[102:103], v[86:87], v[68:69] neg_lo:[0,0,1] neg_hi:[0,0,1]
	v_mov_b32_e32 v69, v63
	v_pk_fma_f32 v[66:67], v[104:105], v[88:89], v[64:65] op_sel_hi:[1,0,1]
	v_pk_add_f32 v[60:61], v[60:61], v[70:71]
	v_pk_mul_f32 v[62:63], v[132:133], v[62:63] op_sel_hi:[1,0]
	v_pk_fma_f32 v[64:65], v[104:105], v[88:89], v[64:65] neg_lo:[0,0,1] neg_hi:[0,0,1]
	s_delay_alu instid0(VALU_DEP_4) | instskip(NEXT) | instid1(VALU_DEP_4)
	v_mov_b32_e32 v65, v67
	v_pk_add_f32 v[60:61], v[60:61], v[68:69]
	s_delay_alu instid0(VALU_DEP_4) | instskip(SKIP_1) | instid1(VALU_DEP_2)
	v_pk_fma_f32 v[66:67], v[106:107], v[90:91], v[62:63] op_sel_hi:[1,0,1]
	v_pk_fma_f32 v[62:63], v[106:107], v[90:91], v[62:63] neg_lo:[0,0,1] neg_hi:[0,0,1]
	v_mov_b32_e32 v63, v67
	s_delay_alu instid0(VALU_DEP_4) | instskip(NEXT) | instid1(VALU_DEP_1)
	v_pk_add_f32 v[60:61], v[60:61], v[64:65]
	v_pk_add_f32 v[60:61], v[60:61], v[62:63]
	s_wait_loadcnt 0x0
	s_delay_alu instid0(VALU_DEP_1)
	v_pk_add_f32 v[60:61], v[124:125], v[60:61] neg_lo:[0,1] neg_hi:[0,1]
	scratch_store_b64 off, v[60:61], off offset:96
	s_wait_xcnt 0x0
	v_cmpx_lt_u32_e32 11, v0
	s_cbranch_execz .LBB28_165
; %bb.164:
	scratch_load_b64 v[60:61], off, off offset:88
	v_mov_b64_e32 v[62:63], 0
	scratch_store_b64 off, v[62:63], off offset:88
	s_wait_loadcnt 0x0
	ds_store_b64 v1, v[60:61]
.LBB28_165:
	s_wait_xcnt 0x0
	s_or_b32 exec_lo, exec_lo, s0
	s_wait_storecnt_dscnt 0x0
	s_barrier_signal -1
	s_barrier_wait -1
	s_clause 0x9
	scratch_load_b128 v[60:63], off, off offset:96
	scratch_load_b128 v[64:67], off, off offset:112
	scratch_load_b128 v[68:71], off, off offset:128
	scratch_load_b128 v[72:75], off, off offset:144
	scratch_load_b128 v[76:79], off, off offset:160
	scratch_load_b128 v[80:83], off, off offset:176
	scratch_load_b128 v[84:87], off, off offset:192
	scratch_load_b128 v[88:91], off, off offset:208
	scratch_load_b64 v[124:125], off, off offset:224
	scratch_load_b64 v[126:127], off, off offset:88
	v_mov_b32_e32 v5, 0
	ds_load_b128 v[92:95], v5 offset:400
	ds_load_b128 v[96:99], v5 offset:416
	;; [unrolled: 1-line block ×8, first 2 shown]
	ds_load_b64 v[128:129], v5 offset:464
	s_mov_b32 s0, exec_lo
	s_wait_dscnt 0x8
	v_dual_mov_b32 v130, v95 :: v_dual_mov_b32 v131, v94
	s_wait_dscnt 0x5
	v_dual_mov_b32 v132, v99 :: v_dual_mov_b32 v137, v106
	v_dual_mov_b32 v133, v98 :: v_dual_mov_b32 v134, v103
	;; [unrolled: 1-line block ×3, first 2 shown]
	s_wait_loadcnt_dscnt 0x904
	v_dual_mul_f32 v7, v108, v61 :: v_dual_mul_f32 v23, v109, v61
	v_dual_mul_f32 v25, v111, v63 :: v_dual_mul_f32 v11, v110, v63
	s_wait_loadcnt_dscnt 0x803
	v_mul_f32_e32 v13, v112, v65
	s_wait_loadcnt_dscnt 0x601
	v_dual_mul_f32 v35, v121, v73 :: v_dual_fma_f32 v23, v108, v60, -v23
	v_dual_fmac_f32 v7, v109, v60 :: v_dual_mul_f32 v37, v123, v75
	v_dual_mul_f32 v27, v113, v65 :: v_dual_mul_f32 v29, v115, v67
	v_dual_fmac_f32 v11, v111, v62 :: v_dual_fma_f32 v25, v110, v62, -v25
	s_wait_loadcnt 0x5
	s_delay_alu instid0(VALU_DEP_3) | instskip(SKIP_2) | instid1(VALU_DEP_3)
	v_dual_add_f32 v7, 0, v7 :: v_dual_mul_f32 v39, v93, v77
	v_dual_add_f32 v23, 0, v23 :: v_dual_fmac_f32 v13, v113, v64
	v_dual_mul_f32 v15, v114, v67 :: v_dual_mul_f32 v17, v116, v69
	v_dual_fma_f32 v27, v112, v64, -v27 :: v_dual_add_f32 v7, v7, v11
	s_delay_alu instid0(VALU_DEP_3) | instskip(SKIP_3) | instid1(VALU_DEP_3)
	v_dual_add_f32 v11, v23, v25 :: v_dual_fma_f32 v23, v114, v66, -v29
	v_dual_mul_f32 v19, v118, v71 :: v_dual_mul_f32 v21, v120, v73
	v_dual_mul_f32 v31, v117, v69 :: v_dual_mul_f32 v33, v119, v71
	v_dual_mov_b32 v60, v79 :: v_dual_fmac_f32 v17, v117, v68
	v_dual_fmac_f32 v15, v115, v66 :: v_dual_fmac_f32 v21, v121, v72
	s_delay_alu instid0(VALU_DEP_3) | instskip(SKIP_1) | instid1(VALU_DEP_4)
	v_dual_add_f32 v7, v7, v13 :: v_dual_fma_f32 v13, v116, v68, -v31
	v_add_f32_e32 v11, v11, v27
	v_pk_mul_f32 v[60:61], v[130:131], v[60:61] op_sel_hi:[1,0]
	v_dual_mul_f32 v139, v122, v75 :: v_dual_mul_f32 v141, v92, v77
	s_delay_alu instid0(VALU_DEP_4) | instskip(NEXT) | instid1(VALU_DEP_4)
	v_dual_add_f32 v7, v7, v15 :: v_dual_fma_f32 v15, v118, v70, -v33
	v_dual_add_f32 v11, v11, v23 :: v_dual_fma_f32 v138, v122, v74, -v37
	s_delay_alu instid0(VALU_DEP_3) | instskip(NEXT) | instid1(VALU_DEP_2)
	v_dual_fmac_f32 v19, v119, v70 :: v_dual_fmac_f32 v141, v93, v76
	v_dual_fma_f32 v140, v92, v76, -v39 :: v_dual_add_f32 v11, v11, v13
	s_delay_alu instid0(VALU_DEP_4)
	v_dual_fma_f32 v13, v120, v72, -v35 :: v_dual_add_f32 v7, v7, v17
	v_pk_fma_f32 v[72:73], v[94:95], v[78:79], v[60:61] op_sel_hi:[1,0,1]
	v_pk_fma_f32 v[60:61], v[94:95], v[78:79], v[60:61] neg_lo:[0,0,1] neg_hi:[0,0,1]
	v_fmac_f32_e32 v139, v123, v74
	s_wait_loadcnt 0x4
	v_pk_mul_f32 v[62:63], v[96:97], v[80:81] op_sel:[1,1] op_sel_hi:[0,1]
	v_dual_add_f32 v7, v7, v19 :: v_dual_mov_b32 v61, v73
	v_add_f32_e32 v11, v11, v15
	s_wait_loadcnt 0x3
	v_dual_mov_b32 v64, v83 :: v_dual_mov_b32 v70, v87
	s_delay_alu instid0(VALU_DEP_3) | instskip(SKIP_2) | instid1(VALU_DEP_4)
	v_add_f32_e32 v69, v7, v21
	v_pk_fma_f32 v[74:75], v[96:97], v[80:81], v[62:63] op_sel_hi:[1,0,1]
	v_add_f32_e32 v68, v11, v13
	v_pk_mul_f32 v[64:65], v[132:133], v[64:65] op_sel_hi:[1,0]
	v_pk_fma_f32 v[62:63], v[96:97], v[80:81], v[62:63] neg_lo:[0,0,1] neg_hi:[0,0,1]
	v_pk_mul_f32 v[66:67], v[100:101], v[84:85] op_sel:[1,1] op_sel_hi:[0,1]
	v_mov_b32_e32 v63, v75
	v_pk_add_f32 v[68:69], v[68:69], v[138:139]
	v_pk_fma_f32 v[74:75], v[98:99], v[82:83], v[64:65] op_sel_hi:[1,0,1]
	v_pk_fma_f32 v[64:65], v[98:99], v[82:83], v[64:65] neg_lo:[0,0,1] neg_hi:[0,0,1]
	v_pk_mul_f32 v[70:71], v[134:135], v[70:71] op_sel_hi:[1,0]
	s_wait_loadcnt 0x2
	v_pk_mul_f32 v[72:73], v[104:105], v[88:89] op_sel:[1,1] op_sel_hi:[0,1]
	v_pk_add_f32 v[68:69], v[68:69], v[140:141]
	v_mov_b32_e32 v65, v75
	s_delay_alu instid0(VALU_DEP_2) | instskip(SKIP_2) | instid1(VALU_DEP_3)
	v_pk_add_f32 v[60:61], v[68:69], v[60:61]
	v_pk_fma_f32 v[68:69], v[100:101], v[84:85], v[66:67] op_sel_hi:[1,0,1]
	v_pk_fma_f32 v[66:67], v[100:101], v[84:85], v[66:67] neg_lo:[0,0,1] neg_hi:[0,0,1]
	v_pk_add_f32 v[60:61], v[60:61], v[62:63]
	s_delay_alu instid0(VALU_DEP_3) | instskip(SKIP_2) | instid1(VALU_DEP_4)
	v_dual_mov_b32 v62, v91 :: v_dual_mov_b32 v67, v69
	v_pk_fma_f32 v[68:69], v[102:103], v[86:87], v[70:71] op_sel_hi:[1,0,1]
	v_pk_fma_f32 v[70:71], v[102:103], v[86:87], v[70:71] neg_lo:[0,0,1] neg_hi:[0,0,1]
	v_pk_add_f32 v[60:61], v[60:61], v[64:65]
	v_pk_fma_f32 v[64:65], v[104:105], v[88:89], v[72:73] op_sel_hi:[1,0,1]
	v_pk_mul_f32 v[62:63], v[136:137], v[62:63] op_sel_hi:[1,0]
	v_mov_b32_e32 v71, v69
	s_wait_loadcnt_dscnt 0x100
	v_pk_mul_f32 v[68:69], v[128:129], v[124:125] op_sel:[1,1] op_sel_hi:[0,1]
	v_pk_add_f32 v[60:61], v[60:61], v[66:67]
	v_pk_fma_f32 v[66:67], v[104:105], v[88:89], v[72:73] neg_lo:[0,0,1] neg_hi:[0,0,1]
	v_mov_b32_e32 v67, v65
	v_pk_fma_f32 v[64:65], v[106:107], v[90:91], v[62:63] op_sel_hi:[1,0,1]
	v_pk_fma_f32 v[62:63], v[106:107], v[90:91], v[62:63] neg_lo:[0,0,1] neg_hi:[0,0,1]
	v_pk_add_f32 v[60:61], v[60:61], v[70:71]
	s_delay_alu instid0(VALU_DEP_3) | instskip(SKIP_1) | instid1(VALU_DEP_3)
	v_mov_b32_e32 v63, v65
	v_pk_fma_f32 v[64:65], v[128:129], v[124:125], v[68:69] op_sel_hi:[1,0,1]
	v_pk_add_f32 v[60:61], v[60:61], v[66:67]
	v_pk_fma_f32 v[66:67], v[128:129], v[124:125], v[68:69] neg_lo:[0,0,1] neg_hi:[0,0,1]
	s_delay_alu instid0(VALU_DEP_3) | instskip(NEXT) | instid1(VALU_DEP_3)
	v_mov_b32_e32 v67, v65
	v_pk_add_f32 v[60:61], v[60:61], v[62:63]
	s_delay_alu instid0(VALU_DEP_1) | instskip(SKIP_1) | instid1(VALU_DEP_1)
	v_pk_add_f32 v[60:61], v[60:61], v[66:67]
	s_wait_loadcnt 0x0
	v_pk_add_f32 v[60:61], v[126:127], v[60:61] neg_lo:[0,1] neg_hi:[0,1]
	scratch_store_b64 off, v[60:61], off offset:88
	s_wait_xcnt 0x0
	v_cmpx_lt_u32_e32 10, v0
	s_cbranch_execz .LBB28_167
; %bb.166:
	scratch_load_b64 v[60:61], off, off offset:80
	v_mov_b64_e32 v[62:63], 0
	scratch_store_b64 off, v[62:63], off offset:80
	s_wait_loadcnt 0x0
	ds_store_b64 v1, v[60:61]
.LBB28_167:
	s_wait_xcnt 0x0
	s_or_b32 exec_lo, exec_lo, s0
	s_wait_storecnt_dscnt 0x0
	s_barrier_signal -1
	s_barrier_wait -1
	s_clause 0x9
	scratch_load_b128 v[60:63], off, off offset:88
	scratch_load_b128 v[64:67], off, off offset:104
	;; [unrolled: 1-line block ×9, first 2 shown]
	scratch_load_b64 v[132:133], off, off offset:80
	ds_load_2addr_b64 v[96:99], v5 offset0:51 offset1:52
	ds_load_2addr_b64 v[100:103], v5 offset0:53 offset1:54
	;; [unrolled: 1-line block ×9, first 2 shown]
	s_mov_b32 s0, exec_lo
	s_wait_dscnt 0x8
	v_dual_mov_b32 v134, v99 :: v_dual_mov_b32 v135, v98
	s_wait_dscnt 0x7
	v_dual_mov_b32 v136, v103 :: v_dual_mov_b32 v137, v102
	;; [unrolled: 2-line block ×4, first 2 shown]
	s_wait_loadcnt_dscnt 0x904
	v_dual_mul_f32 v5, v112, v61 :: v_dual_mul_f32 v7, v114, v63
	v_dual_mul_f32 v23, v113, v61 :: v_dual_mul_f32 v25, v115, v63
	s_wait_loadcnt_dscnt 0x803
	v_dual_mul_f32 v11, v116, v65 :: v_dual_mul_f32 v13, v118, v67
	s_delay_alu instid0(VALU_DEP_2) | instskip(SKIP_3) | instid1(VALU_DEP_3)
	v_dual_fmac_f32 v5, v113, v60 :: v_dual_fma_f32 v23, v112, v60, -v23
	v_dual_mul_f32 v27, v117, v65 :: v_dual_mul_f32 v29, v119, v67
	s_wait_loadcnt_dscnt 0x601
	v_dual_mul_f32 v35, v125, v73 :: v_dual_fmac_f32 v7, v115, v62
	v_dual_fma_f32 v25, v114, v62, -v25 :: v_dual_add_f32 v5, 0, v5
	v_dual_add_f32 v23, 0, v23 :: v_dual_fmac_f32 v11, v117, v64
	v_dual_mul_f32 v37, v127, v75 :: v_dual_fma_f32 v27, v116, v64, -v27
	s_delay_alu instid0(VALU_DEP_2)
	v_dual_add_f32 v5, v5, v7 :: v_dual_add_f32 v7, v23, v25
	v_dual_mul_f32 v15, v120, v69 :: v_dual_mul_f32 v17, v122, v71
	v_dual_mul_f32 v31, v121, v69 :: v_dual_mul_f32 v33, v123, v71
	s_wait_loadcnt_dscnt 0x500
	v_dual_mul_f32 v23, v129, v77 :: v_dual_fmac_f32 v13, v119, v66
	v_dual_fma_f32 v25, v118, v66, -v29 :: v_dual_add_f32 v5, v5, v11
	v_dual_add_f32 v7, v7, v27 :: v_dual_fmac_f32 v15, v121, v68
	v_dual_mul_f32 v11, v131, v79 :: v_dual_fma_f32 v27, v120, v68, -v31
	s_delay_alu instid0(VALU_DEP_3) | instskip(NEXT) | instid1(VALU_DEP_3)
	v_dual_add_f32 v5, v5, v13 :: v_dual_fmac_f32 v17, v123, v70
	v_dual_add_f32 v7, v7, v25 :: v_dual_fma_f32 v13, v122, v70, -v33
	v_dual_mul_f32 v19, v124, v73 :: v_dual_mul_f32 v21, v126, v75
	s_wait_loadcnt 0x4
	s_delay_alu instid0(VALU_DEP_3) | instskip(NEXT) | instid1(VALU_DEP_2)
	v_dual_add_f32 v5, v5, v15 :: v_dual_mov_b32 v62, v83
	v_dual_add_f32 v7, v7, v27 :: v_dual_fmac_f32 v19, v125, v72
	s_delay_alu instid0(VALU_DEP_2) | instskip(SKIP_1) | instid1(VALU_DEP_3)
	v_dual_fma_f32 v15, v124, v72, -v35 :: v_dual_add_f32 v5, v5, v17
	v_dual_mul_f32 v143, v128, v77 :: v_dual_mul_f32 v145, v130, v79
	v_dual_add_f32 v7, v7, v13 :: v_dual_fma_f32 v13, v126, v74, -v37
	s_delay_alu instid0(VALU_DEP_3) | instskip(SKIP_1) | instid1(VALU_DEP_3)
	v_dual_fmac_f32 v21, v127, v74 :: v_dual_add_f32 v5, v5, v19
	v_pk_mul_f32 v[60:61], v[96:97], v[80:81] op_sel:[1,1] op_sel_hi:[0,1]
	v_dual_add_f32 v7, v7, v15 :: v_dual_fmac_f32 v143, v129, v76
	s_wait_loadcnt 0x3
	v_dual_mov_b32 v66, v87 :: v_dual_fma_f32 v142, v128, v76, -v23
	v_dual_add_f32 v69, v5, v21 :: v_dual_fmac_f32 v145, v131, v78
	s_delay_alu instid0(VALU_DEP_3) | instskip(SKIP_3) | instid1(VALU_DEP_4)
	v_dual_add_f32 v68, v7, v13 :: v_dual_fma_f32 v144, v130, v78, -v11
	v_pk_fma_f32 v[70:71], v[96:97], v[80:81], v[60:61] op_sel_hi:[1,0,1]
	v_pk_mul_f32 v[62:63], v[134:135], v[62:63] op_sel_hi:[1,0]
	v_pk_fma_f32 v[60:61], v[96:97], v[80:81], v[60:61] neg_lo:[0,0,1] neg_hi:[0,0,1]
	v_pk_add_f32 v[68:69], v[68:69], v[142:143]
	v_pk_mul_f32 v[64:65], v[100:101], v[84:85] op_sel:[1,1] op_sel_hi:[0,1]
	v_mov_b32_e32 v61, v71
	v_pk_fma_f32 v[70:71], v[98:99], v[82:83], v[62:63] op_sel_hi:[1,0,1]
	v_pk_fma_f32 v[62:63], v[98:99], v[82:83], v[62:63] neg_lo:[0,0,1] neg_hi:[0,0,1]
	v_pk_add_f32 v[68:69], v[68:69], v[144:145]
	v_pk_fma_f32 v[74:75], v[100:101], v[84:85], v[64:65] op_sel_hi:[1,0,1]
	v_pk_mul_f32 v[66:67], v[136:137], v[66:67] op_sel_hi:[1,0]
	v_mov_b32_e32 v63, v71
	s_wait_loadcnt 0x2
	v_pk_mul_f32 v[72:73], v[104:105], v[88:89] op_sel:[1,1] op_sel_hi:[0,1]
	v_pk_add_f32 v[60:61], v[68:69], v[60:61]
	v_mov_b32_e32 v68, v91
	v_pk_fma_f32 v[64:65], v[100:101], v[84:85], v[64:65] neg_lo:[0,0,1] neg_hi:[0,0,1]
	v_mov_b32_e32 v65, v75
	v_pk_fma_f32 v[70:71], v[102:103], v[86:87], v[66:67] op_sel_hi:[1,0,1]
	v_pk_add_f32 v[60:61], v[60:61], v[62:63]
	v_pk_fma_f32 v[62:63], v[104:105], v[88:89], v[72:73] op_sel_hi:[1,0,1]
	v_pk_mul_f32 v[68:69], v[138:139], v[68:69] op_sel_hi:[1,0]
	v_pk_fma_f32 v[66:67], v[102:103], v[86:87], v[66:67] neg_lo:[0,0,1] neg_hi:[0,0,1]
	v_mov_b32_e32 v67, v71
	v_pk_add_f32 v[60:61], v[60:61], v[64:65]
	v_pk_fma_f32 v[70:71], v[104:105], v[88:89], v[72:73] neg_lo:[0,0,1] neg_hi:[0,0,1]
	v_mov_b32_e32 v71, v63
	v_pk_fma_f32 v[62:63], v[106:107], v[90:91], v[68:69] op_sel_hi:[1,0,1]
	s_wait_loadcnt 0x1
	v_pk_mul_f32 v[64:65], v[108:109], v[92:93] op_sel:[1,1] op_sel_hi:[0,1]
	v_pk_add_f32 v[60:61], v[60:61], v[66:67]
	v_mov_b32_e32 v62, v95
	v_pk_fma_f32 v[68:69], v[106:107], v[90:91], v[68:69] neg_lo:[0,0,1] neg_hi:[0,0,1]
	v_mov_b32_e32 v69, v63
	v_pk_fma_f32 v[66:67], v[108:109], v[92:93], v[64:65] op_sel_hi:[1,0,1]
	v_pk_add_f32 v[60:61], v[60:61], v[70:71]
	v_pk_mul_f32 v[62:63], v[140:141], v[62:63] op_sel_hi:[1,0]
	v_pk_fma_f32 v[64:65], v[108:109], v[92:93], v[64:65] neg_lo:[0,0,1] neg_hi:[0,0,1]
	s_delay_alu instid0(VALU_DEP_4) | instskip(NEXT) | instid1(VALU_DEP_4)
	v_mov_b32_e32 v65, v67
	v_pk_add_f32 v[60:61], v[60:61], v[68:69]
	s_delay_alu instid0(VALU_DEP_4) | instskip(SKIP_1) | instid1(VALU_DEP_2)
	v_pk_fma_f32 v[66:67], v[110:111], v[94:95], v[62:63] op_sel_hi:[1,0,1]
	v_pk_fma_f32 v[62:63], v[110:111], v[94:95], v[62:63] neg_lo:[0,0,1] neg_hi:[0,0,1]
	v_mov_b32_e32 v63, v67
	s_delay_alu instid0(VALU_DEP_4) | instskip(NEXT) | instid1(VALU_DEP_1)
	v_pk_add_f32 v[60:61], v[60:61], v[64:65]
	v_pk_add_f32 v[60:61], v[60:61], v[62:63]
	s_wait_loadcnt 0x0
	s_delay_alu instid0(VALU_DEP_1)
	v_pk_add_f32 v[60:61], v[132:133], v[60:61] neg_lo:[0,1] neg_hi:[0,1]
	scratch_store_b64 off, v[60:61], off offset:80
	s_wait_xcnt 0x0
	v_cmpx_lt_u32_e32 9, v0
	s_cbranch_execz .LBB28_169
; %bb.168:
	scratch_load_b64 v[60:61], off, off offset:72
	v_mov_b64_e32 v[62:63], 0
	scratch_store_b64 off, v[62:63], off offset:72
	s_wait_loadcnt 0x0
	ds_store_b64 v1, v[60:61]
.LBB28_169:
	s_wait_xcnt 0x0
	s_or_b32 exec_lo, exec_lo, s0
	s_wait_storecnt_dscnt 0x0
	s_barrier_signal -1
	s_barrier_wait -1
	s_clause 0xa
	scratch_load_b128 v[60:63], off, off offset:80
	scratch_load_b128 v[64:67], off, off offset:96
	;; [unrolled: 1-line block ×9, first 2 shown]
	scratch_load_b64 v[132:133], off, off offset:224
	scratch_load_b64 v[134:135], off, off offset:72
	v_mov_b32_e32 v5, 0
	ds_load_b128 v[96:99], v5 offset:400
	ds_load_b128 v[100:103], v5 offset:416
	;; [unrolled: 1-line block ×9, first 2 shown]
	ds_load_b64 v[136:137], v5 offset:464
	s_mov_b32 s0, exec_lo
	s_wait_dscnt 0x9
	v_dual_mov_b32 v138, v99 :: v_dual_mov_b32 v139, v98
	s_wait_dscnt 0x6
	v_dual_mov_b32 v140, v103 :: v_dual_mov_b32 v145, v110
	v_dual_mov_b32 v141, v102 :: v_dual_mov_b32 v142, v107
	;; [unrolled: 1-line block ×3, first 2 shown]
	s_wait_loadcnt_dscnt 0xa05
	v_dual_mul_f32 v7, v112, v61 :: v_dual_mul_f32 v27, v113, v61
	v_dual_mul_f32 v29, v115, v63 :: v_dual_mul_f32 v11, v114, v63
	s_wait_loadcnt_dscnt 0x904
	v_mul_f32_e32 v13, v116, v65
	s_wait_loadcnt_dscnt 0x702
	v_dual_mul_f32 v39, v125, v73 :: v_dual_fma_f32 v27, v112, v60, -v27
	v_dual_fmac_f32 v7, v113, v60 :: v_dual_mul_f32 v41, v127, v75
	v_dual_mul_f32 v31, v117, v65 :: v_dual_mul_f32 v33, v119, v67
	v_dual_fmac_f32 v11, v115, v62 :: v_dual_fma_f32 v29, v114, v62, -v29
	s_wait_loadcnt_dscnt 0x601
	s_delay_alu instid0(VALU_DEP_3) | instskip(SKIP_2) | instid1(VALU_DEP_3)
	v_dual_add_f32 v7, 0, v7 :: v_dual_mul_f32 v43, v129, v77
	v_dual_add_f32 v27, 0, v27 :: v_dual_fmac_f32 v13, v117, v64
	v_dual_mul_f32 v15, v118, v67 :: v_dual_mul_f32 v17, v120, v69
	v_dual_fma_f32 v31, v116, v64, -v31 :: v_dual_add_f32 v7, v7, v11
	s_delay_alu instid0(VALU_DEP_3) | instskip(SKIP_1) | instid1(VALU_DEP_4)
	v_dual_add_f32 v11, v27, v29 :: v_dual_fma_f32 v29, v118, v66, -v33
	v_dual_mul_f32 v35, v121, v69 :: v_dual_mul_f32 v37, v123, v71
	v_dual_fmac_f32 v15, v119, v66 :: v_dual_fmac_f32 v17, v121, v68
	s_delay_alu instid0(VALU_DEP_4) | instskip(NEXT) | instid1(VALU_DEP_4)
	v_add_f32_e32 v7, v7, v13
	v_add_f32_e32 v11, v11, v31
	v_dual_mul_f32 v19, v122, v71 :: v_dual_mul_f32 v21, v124, v73
	s_delay_alu instid0(VALU_DEP_3) | instskip(NEXT) | instid1(VALU_DEP_3)
	v_dual_fma_f32 v31, v120, v68, -v35 :: v_dual_add_f32 v7, v7, v15
	v_dual_fma_f32 v15, v122, v70, -v37 :: v_dual_add_f32 v11, v11, v29
	v_dual_mul_f32 v23, v126, v75 :: v_dual_mul_f32 v25, v128, v77
	s_wait_loadcnt 0x4
	v_dual_mov_b32 v60, v83 :: v_dual_mov_b32 v64, v87
	v_dual_fmac_f32 v19, v123, v70 :: v_dual_fmac_f32 v21, v125, v72
	v_dual_add_f32 v7, v7, v17 :: v_dual_fma_f32 v17, v124, v72, -v39
	v_add_f32_e32 v11, v11, v31
	v_dual_mul_f32 v147, v130, v79 :: v_dual_mul_f32 v149, v96, v81
	v_dual_mul_f32 v27, v131, v79 :: v_dual_mul_f32 v13, v97, v81
	s_delay_alu instid0(VALU_DEP_3) | instskip(SKIP_1) | instid1(VALU_DEP_3)
	v_dual_add_f32 v11, v11, v15 :: v_dual_fma_f32 v15, v126, v74, -v41
	v_dual_fmac_f32 v25, v129, v76 :: v_dual_add_f32 v7, v7, v19
	v_fma_f32 v146, v130, v78, -v27
	v_pk_mul_f32 v[60:61], v[138:139], v[60:61] op_sel_hi:[1,0]
	v_dual_fmac_f32 v23, v127, v74 :: v_dual_fma_f32 v148, v96, v80, -v13
	v_dual_fmac_f32 v149, v97, v80 :: v_dual_add_f32 v11, v11, v17
	s_delay_alu instid0(VALU_DEP_3) | instskip(SKIP_2) | instid1(VALU_DEP_4)
	v_pk_fma_f32 v[72:73], v[98:99], v[82:83], v[60:61] op_sel_hi:[1,0,1]
	v_add_f32_e32 v7, v7, v21
	v_pk_fma_f32 v[60:61], v[98:99], v[82:83], v[60:61] neg_lo:[0,0,1] neg_hi:[0,0,1]
	v_dual_fma_f32 v17, v128, v76, -v43 :: v_dual_add_f32 v11, v11, v15
	s_delay_alu instid0(VALU_DEP_3) | instskip(SKIP_2) | instid1(VALU_DEP_4)
	v_dual_mov_b32 v61, v73 :: v_dual_add_f32 v7, v7, v23
	v_fmac_f32_e32 v147, v131, v78
	v_pk_mul_f32 v[62:63], v[100:101], v[84:85] op_sel:[1,1] op_sel_hi:[0,1]
	v_add_f32_e32 v68, v11, v17
	v_pk_mul_f32 v[64:65], v[140:141], v[64:65] op_sel_hi:[1,0]
	v_add_f32_e32 v69, v7, v25
	s_wait_loadcnt 0x3
	v_pk_mul_f32 v[66:67], v[104:105], v[88:89] op_sel:[1,1] op_sel_hi:[0,1]
	v_pk_fma_f32 v[74:75], v[100:101], v[84:85], v[62:63] op_sel_hi:[1,0,1]
	v_pk_fma_f32 v[62:63], v[100:101], v[84:85], v[62:63] neg_lo:[0,0,1] neg_hi:[0,0,1]
	v_mov_b32_e32 v70, v91
	v_pk_add_f32 v[68:69], v[68:69], v[146:147]
	s_wait_loadcnt 0x2
	v_pk_mul_f32 v[72:73], v[108:109], v[92:93] op_sel:[1,1] op_sel_hi:[0,1]
	v_mov_b32_e32 v63, v75
	v_pk_fma_f32 v[74:75], v[102:103], v[86:87], v[64:65] op_sel_hi:[1,0,1]
	v_pk_fma_f32 v[64:65], v[102:103], v[86:87], v[64:65] neg_lo:[0,0,1] neg_hi:[0,0,1]
	v_pk_add_f32 v[68:69], v[68:69], v[148:149]
	v_pk_mul_f32 v[70:71], v[142:143], v[70:71] op_sel_hi:[1,0]
	s_delay_alu instid0(VALU_DEP_4) | instskip(NEXT) | instid1(VALU_DEP_3)
	v_mov_b32_e32 v65, v75
	v_pk_add_f32 v[60:61], v[68:69], v[60:61]
	v_pk_fma_f32 v[68:69], v[104:105], v[88:89], v[66:67] op_sel_hi:[1,0,1]
	v_pk_fma_f32 v[66:67], v[104:105], v[88:89], v[66:67] neg_lo:[0,0,1] neg_hi:[0,0,1]
	s_delay_alu instid0(VALU_DEP_3) | instskip(NEXT) | instid1(VALU_DEP_3)
	v_pk_add_f32 v[60:61], v[60:61], v[62:63]
	v_dual_mov_b32 v62, v95 :: v_dual_mov_b32 v67, v69
	v_pk_fma_f32 v[68:69], v[106:107], v[90:91], v[70:71] op_sel_hi:[1,0,1]
	v_pk_fma_f32 v[70:71], v[106:107], v[90:91], v[70:71] neg_lo:[0,0,1] neg_hi:[0,0,1]
	s_delay_alu instid0(VALU_DEP_4)
	v_pk_add_f32 v[60:61], v[60:61], v[64:65]
	v_pk_fma_f32 v[64:65], v[108:109], v[92:93], v[72:73] op_sel_hi:[1,0,1]
	v_pk_mul_f32 v[62:63], v[144:145], v[62:63] op_sel_hi:[1,0]
	v_mov_b32_e32 v71, v69
	s_wait_loadcnt_dscnt 0x100
	v_pk_mul_f32 v[68:69], v[136:137], v[132:133] op_sel:[1,1] op_sel_hi:[0,1]
	v_pk_add_f32 v[60:61], v[60:61], v[66:67]
	v_pk_fma_f32 v[66:67], v[108:109], v[92:93], v[72:73] neg_lo:[0,0,1] neg_hi:[0,0,1]
	v_mov_b32_e32 v67, v65
	v_pk_fma_f32 v[64:65], v[110:111], v[94:95], v[62:63] op_sel_hi:[1,0,1]
	v_pk_fma_f32 v[62:63], v[110:111], v[94:95], v[62:63] neg_lo:[0,0,1] neg_hi:[0,0,1]
	v_pk_add_f32 v[60:61], v[60:61], v[70:71]
	s_delay_alu instid0(VALU_DEP_3) | instskip(SKIP_1) | instid1(VALU_DEP_3)
	v_mov_b32_e32 v63, v65
	v_pk_fma_f32 v[64:65], v[136:137], v[132:133], v[68:69] op_sel_hi:[1,0,1]
	v_pk_add_f32 v[60:61], v[60:61], v[66:67]
	v_pk_fma_f32 v[66:67], v[136:137], v[132:133], v[68:69] neg_lo:[0,0,1] neg_hi:[0,0,1]
	s_delay_alu instid0(VALU_DEP_3) | instskip(NEXT) | instid1(VALU_DEP_3)
	v_mov_b32_e32 v67, v65
	v_pk_add_f32 v[60:61], v[60:61], v[62:63]
	s_delay_alu instid0(VALU_DEP_1) | instskip(SKIP_1) | instid1(VALU_DEP_1)
	v_pk_add_f32 v[60:61], v[60:61], v[66:67]
	s_wait_loadcnt 0x0
	v_pk_add_f32 v[60:61], v[134:135], v[60:61] neg_lo:[0,1] neg_hi:[0,1]
	scratch_store_b64 off, v[60:61], off offset:72
	s_wait_xcnt 0x0
	v_cmpx_lt_u32_e32 8, v0
	s_cbranch_execz .LBB28_171
; %bb.170:
	scratch_load_b64 v[60:61], off, off offset:64
	v_mov_b64_e32 v[62:63], 0
	scratch_store_b64 off, v[62:63], off offset:64
	s_wait_loadcnt 0x0
	ds_store_b64 v1, v[60:61]
.LBB28_171:
	s_wait_xcnt 0x0
	s_or_b32 exec_lo, exec_lo, s0
	s_wait_storecnt_dscnt 0x0
	s_barrier_signal -1
	s_barrier_wait -1
	s_clause 0xa
	scratch_load_b128 v[60:63], off, off offset:72
	scratch_load_b128 v[64:67], off, off offset:88
	;; [unrolled: 1-line block ×10, first 2 shown]
	scratch_load_b64 v[140:141], off, off offset:64
	ds_load_2addr_b64 v[100:103], v5 offset0:51 offset1:52
	ds_load_2addr_b64 v[104:107], v5 offset0:53 offset1:54
	;; [unrolled: 1-line block ×10, first 2 shown]
	s_mov_b32 s0, exec_lo
	s_wait_dscnt 0x9
	v_dual_mov_b32 v142, v103 :: v_dual_mov_b32 v143, v102
	s_wait_dscnt 0x8
	v_dual_mov_b32 v144, v107 :: v_dual_mov_b32 v145, v106
	;; [unrolled: 2-line block ×4, first 2 shown]
	s_wait_loadcnt_dscnt 0xa05
	v_dual_mul_f32 v5, v116, v61 :: v_dual_mul_f32 v7, v118, v63
	v_dual_mul_f32 v27, v117, v61 :: v_dual_mul_f32 v29, v119, v63
	s_wait_loadcnt_dscnt 0x904
	v_dual_mul_f32 v11, v120, v65 :: v_dual_mul_f32 v13, v122, v67
	s_delay_alu instid0(VALU_DEP_2) | instskip(SKIP_3) | instid1(VALU_DEP_3)
	v_dual_fmac_f32 v5, v117, v60 :: v_dual_fma_f32 v27, v116, v60, -v27
	v_dual_mul_f32 v31, v121, v65 :: v_dual_mul_f32 v33, v123, v67
	s_wait_loadcnt_dscnt 0x702
	v_dual_mul_f32 v39, v129, v73 :: v_dual_fmac_f32 v7, v119, v62
	v_dual_fma_f32 v29, v118, v62, -v29 :: v_dual_add_f32 v5, 0, v5
	v_dual_add_f32 v27, 0, v27 :: v_dual_fmac_f32 v11, v121, v64
	v_dual_mul_f32 v41, v131, v75 :: v_dual_fma_f32 v31, v120, v64, -v31
	s_delay_alu instid0(VALU_DEP_2)
	v_dual_add_f32 v5, v5, v7 :: v_dual_add_f32 v7, v27, v29
	v_dual_mul_f32 v15, v124, v69 :: v_dual_mul_f32 v17, v126, v71
	v_dual_mul_f32 v35, v125, v69 :: v_dual_mul_f32 v37, v127, v71
	s_wait_loadcnt_dscnt 0x601
	v_dual_mul_f32 v27, v133, v77 :: v_dual_fmac_f32 v13, v123, v66
	v_dual_fma_f32 v29, v122, v66, -v33 :: v_dual_add_f32 v5, v5, v11
	v_dual_add_f32 v7, v7, v31 :: v_dual_fmac_f32 v15, v125, v68
	v_dual_mul_f32 v11, v135, v79 :: v_dual_fma_f32 v31, v124, v68, -v35
	s_delay_alu instid0(VALU_DEP_3) | instskip(NEXT) | instid1(VALU_DEP_3)
	v_dual_add_f32 v5, v5, v13 :: v_dual_fmac_f32 v17, v127, v70
	v_dual_add_f32 v7, v7, v29 :: v_dual_fma_f32 v29, v126, v70, -v37
	v_dual_mul_f32 v19, v128, v73 :: v_dual_mul_f32 v21, v130, v75
	s_wait_loadcnt_dscnt 0x500
	s_delay_alu instid0(VALU_DEP_2) | instskip(SKIP_1) | instid1(VALU_DEP_3)
	v_dual_mul_f32 v13, v137, v81 :: v_dual_add_f32 v7, v7, v31
	v_dual_add_f32 v5, v5, v15 :: v_dual_fma_f32 v31, v128, v72, -v39
	v_dual_mul_f32 v15, v139, v83 :: v_dual_fmac_f32 v19, v129, v72
	s_delay_alu instid0(VALU_DEP_3) | instskip(NEXT) | instid1(VALU_DEP_3)
	v_add_f32_e32 v7, v7, v29
	v_dual_add_f32 v5, v5, v17 :: v_dual_fmac_f32 v21, v131, v74
	v_dual_mul_f32 v23, v132, v77 :: v_dual_mul_f32 v25, v134, v79
	s_delay_alu instid0(VALU_DEP_2) | instskip(SKIP_2) | instid1(VALU_DEP_3)
	v_dual_fma_f32 v17, v130, v74, -v41 :: v_dual_add_f32 v5, v5, v19
	s_wait_loadcnt 0x4
	v_mov_b32_e32 v62, v87
	v_dual_add_f32 v7, v7, v31 :: v_dual_fmac_f32 v23, v133, v76
	s_delay_alu instid0(VALU_DEP_3) | instskip(SKIP_1) | instid1(VALU_DEP_3)
	v_dual_fma_f32 v19, v132, v76, -v27 :: v_dual_add_f32 v5, v5, v21
	v_dual_mul_f32 v151, v136, v81 :: v_dual_mul_f32 v153, v138, v83
	v_dual_add_f32 v7, v7, v17 :: v_dual_fma_f32 v11, v134, v78, -v11
	s_delay_alu instid0(VALU_DEP_3) | instskip(SKIP_1) | instid1(VALU_DEP_3)
	v_dual_fmac_f32 v25, v135, v78 :: v_dual_add_f32 v5, v5, v23
	v_pk_mul_f32 v[60:61], v[100:101], v[84:85] op_sel:[1,1] op_sel_hi:[0,1]
	v_dual_add_f32 v7, v7, v19 :: v_dual_fmac_f32 v151, v137, v80
	s_wait_loadcnt 0x3
	v_dual_mov_b32 v66, v91 :: v_dual_fma_f32 v150, v136, v80, -v13
	s_delay_alu instid0(VALU_DEP_2) | instskip(SKIP_3) | instid1(VALU_DEP_4)
	v_dual_add_f32 v69, v5, v25 :: v_dual_add_f32 v68, v7, v11
	v_dual_fmac_f32 v153, v139, v82 :: v_dual_fma_f32 v152, v138, v82, -v15
	v_pk_fma_f32 v[70:71], v[100:101], v[84:85], v[60:61] op_sel_hi:[1,0,1]
	v_pk_mul_f32 v[62:63], v[142:143], v[62:63] op_sel_hi:[1,0]
	v_pk_add_f32 v[68:69], v[68:69], v[150:151]
	v_pk_fma_f32 v[60:61], v[100:101], v[84:85], v[60:61] neg_lo:[0,0,1] neg_hi:[0,0,1]
	v_pk_mul_f32 v[64:65], v[104:105], v[88:89] op_sel:[1,1] op_sel_hi:[0,1]
	v_mov_b32_e32 v61, v71
	v_pk_fma_f32 v[70:71], v[102:103], v[86:87], v[62:63] op_sel_hi:[1,0,1]
	v_pk_add_f32 v[68:69], v[68:69], v[152:153]
	v_pk_fma_f32 v[62:63], v[102:103], v[86:87], v[62:63] neg_lo:[0,0,1] neg_hi:[0,0,1]
	v_pk_fma_f32 v[74:75], v[104:105], v[88:89], v[64:65] op_sel_hi:[1,0,1]
	v_pk_mul_f32 v[66:67], v[144:145], v[66:67] op_sel_hi:[1,0]
	v_mov_b32_e32 v63, v71
	v_pk_add_f32 v[60:61], v[68:69], v[60:61]
	s_wait_loadcnt 0x2
	v_pk_mul_f32 v[72:73], v[108:109], v[92:93] op_sel:[1,1] op_sel_hi:[0,1]
	v_mov_b32_e32 v68, v95
	v_pk_fma_f32 v[64:65], v[104:105], v[88:89], v[64:65] neg_lo:[0,0,1] neg_hi:[0,0,1]
	v_mov_b32_e32 v65, v75
	v_pk_fma_f32 v[70:71], v[106:107], v[90:91], v[66:67] op_sel_hi:[1,0,1]
	v_pk_add_f32 v[60:61], v[60:61], v[62:63]
	v_pk_fma_f32 v[62:63], v[108:109], v[92:93], v[72:73] op_sel_hi:[1,0,1]
	v_pk_mul_f32 v[68:69], v[146:147], v[68:69] op_sel_hi:[1,0]
	v_pk_fma_f32 v[66:67], v[106:107], v[90:91], v[66:67] neg_lo:[0,0,1] neg_hi:[0,0,1]
	v_mov_b32_e32 v67, v71
	v_pk_add_f32 v[60:61], v[60:61], v[64:65]
	v_pk_fma_f32 v[70:71], v[108:109], v[92:93], v[72:73] neg_lo:[0,0,1] neg_hi:[0,0,1]
	v_mov_b32_e32 v71, v63
	v_pk_fma_f32 v[62:63], v[110:111], v[94:95], v[68:69] op_sel_hi:[1,0,1]
	s_wait_loadcnt 0x1
	v_pk_mul_f32 v[64:65], v[112:113], v[96:97] op_sel:[1,1] op_sel_hi:[0,1]
	v_pk_add_f32 v[60:61], v[60:61], v[66:67]
	v_mov_b32_e32 v62, v99
	v_pk_fma_f32 v[68:69], v[110:111], v[94:95], v[68:69] neg_lo:[0,0,1] neg_hi:[0,0,1]
	v_mov_b32_e32 v69, v63
	v_pk_fma_f32 v[66:67], v[112:113], v[96:97], v[64:65] op_sel_hi:[1,0,1]
	v_pk_add_f32 v[60:61], v[60:61], v[70:71]
	v_pk_mul_f32 v[62:63], v[148:149], v[62:63] op_sel_hi:[1,0]
	v_pk_fma_f32 v[64:65], v[112:113], v[96:97], v[64:65] neg_lo:[0,0,1] neg_hi:[0,0,1]
	s_delay_alu instid0(VALU_DEP_4) | instskip(NEXT) | instid1(VALU_DEP_4)
	v_mov_b32_e32 v65, v67
	v_pk_add_f32 v[60:61], v[60:61], v[68:69]
	s_delay_alu instid0(VALU_DEP_4) | instskip(SKIP_1) | instid1(VALU_DEP_2)
	v_pk_fma_f32 v[66:67], v[114:115], v[98:99], v[62:63] op_sel_hi:[1,0,1]
	v_pk_fma_f32 v[62:63], v[114:115], v[98:99], v[62:63] neg_lo:[0,0,1] neg_hi:[0,0,1]
	v_mov_b32_e32 v63, v67
	s_delay_alu instid0(VALU_DEP_4) | instskip(NEXT) | instid1(VALU_DEP_1)
	v_pk_add_f32 v[60:61], v[60:61], v[64:65]
	v_pk_add_f32 v[60:61], v[60:61], v[62:63]
	s_wait_loadcnt 0x0
	s_delay_alu instid0(VALU_DEP_1)
	v_pk_add_f32 v[60:61], v[140:141], v[60:61] neg_lo:[0,1] neg_hi:[0,1]
	scratch_store_b64 off, v[60:61], off offset:64
	s_wait_xcnt 0x0
	v_cmpx_lt_u32_e32 7, v0
	s_cbranch_execz .LBB28_173
; %bb.172:
	scratch_load_b64 v[60:61], off, off offset:56
	v_mov_b64_e32 v[62:63], 0
	scratch_store_b64 off, v[62:63], off offset:56
	s_wait_loadcnt 0x0
	ds_store_b64 v1, v[60:61]
.LBB28_173:
	s_wait_xcnt 0x0
	s_or_b32 exec_lo, exec_lo, s0
	s_wait_storecnt_dscnt 0x0
	s_barrier_signal -1
	s_barrier_wait -1
	s_clause 0xb
	scratch_load_b128 v[60:63], off, off offset:64
	scratch_load_b128 v[64:67], off, off offset:80
	;; [unrolled: 1-line block ×10, first 2 shown]
	scratch_load_b64 v[140:141], off, off offset:224
	scratch_load_b64 v[142:143], off, off offset:56
	v_mov_b32_e32 v5, 0
	ds_load_b128 v[100:103], v5 offset:400
	ds_load_b128 v[104:107], v5 offset:416
	;; [unrolled: 1-line block ×10, first 2 shown]
	ds_load_b64 v[144:145], v5 offset:464
	s_mov_b32 s0, exec_lo
	s_wait_dscnt 0xa
	v_dual_mov_b32 v146, v103 :: v_dual_mov_b32 v147, v102
	s_wait_dscnt 0x7
	v_dual_mov_b32 v148, v107 :: v_dual_mov_b32 v153, v114
	v_dual_mov_b32 v149, v106 :: v_dual_mov_b32 v150, v111
	;; [unrolled: 1-line block ×3, first 2 shown]
	s_wait_loadcnt_dscnt 0xb06
	v_dual_mul_f32 v7, v116, v61 :: v_dual_mul_f32 v11, v118, v63
	s_wait_loadcnt_dscnt 0xa05
	v_mul_f32_e32 v13, v120, v65
	v_dual_mul_f32 v31, v117, v61 :: v_dual_mul_f32 v33, v119, v63
	s_wait_loadcnt_dscnt 0x803
	v_dual_fmac_f32 v7, v117, v60 :: v_dual_mul_f32 v45, v131, v75
	v_dual_mul_f32 v35, v121, v65 :: v_dual_mul_f32 v37, v123, v67
	s_delay_alu instid0(VALU_DEP_3)
	v_dual_mul_f32 v43, v129, v73 :: v_dual_fma_f32 v31, v116, v60, -v31
	v_dual_fmac_f32 v11, v119, v62 :: v_dual_fma_f32 v33, v118, v62, -v33
	s_wait_loadcnt_dscnt 0x702
	v_dual_add_f32 v7, 0, v7 :: v_dual_mul_f32 v47, v133, v77
	v_dual_mul_f32 v15, v122, v67 :: v_dual_mul_f32 v17, v124, v69
	v_dual_add_f32 v31, 0, v31 :: v_dual_fmac_f32 v13, v121, v64
	s_delay_alu instid0(VALU_DEP_3) | instskip(SKIP_1) | instid1(VALU_DEP_3)
	v_dual_fma_f32 v35, v120, v64, -v35 :: v_dual_add_f32 v7, v7, v11
	v_dual_mul_f32 v39, v125, v69 :: v_dual_mul_f32 v41, v127, v71
	v_dual_add_f32 v11, v31, v33 :: v_dual_fma_f32 v33, v122, v66, -v37
	v_dual_fmac_f32 v15, v123, v66 :: v_dual_fmac_f32 v17, v125, v68
	s_delay_alu instid0(VALU_DEP_4) | instskip(NEXT) | instid1(VALU_DEP_3)
	v_dual_add_f32 v7, v7, v13 :: v_dual_mul_f32 v19, v126, v71
	v_dual_mul_f32 v21, v128, v73 :: v_dual_add_f32 v11, v11, v35
	s_delay_alu instid0(VALU_DEP_2) | instskip(SKIP_1) | instid1(VALU_DEP_3)
	v_dual_fma_f32 v35, v124, v68, -v39 :: v_dual_add_f32 v7, v7, v15
	v_dual_mul_f32 v23, v130, v75 :: v_dual_mul_f32 v25, v132, v77
	v_dual_add_f32 v11, v11, v33 :: v_dual_fmac_f32 v21, v129, v72
	v_fmac_f32_e32 v19, v127, v70
	s_delay_alu instid0(VALU_DEP_4) | instskip(SKIP_3) | instid1(VALU_DEP_3)
	v_add_f32_e32 v7, v7, v17
	s_wait_loadcnt_dscnt 0x601
	v_dual_mul_f32 v31, v135, v79 :: v_dual_mul_f32 v13, v137, v81
	v_dual_fma_f32 v33, v126, v70, -v41 :: v_dual_add_f32 v11, v11, v35
	v_dual_fmac_f32 v25, v133, v76 :: v_dual_add_f32 v7, v7, v19
	v_dual_mul_f32 v27, v134, v79 :: v_dual_mul_f32 v29, v136, v81
	v_dual_mul_f32 v15, v139, v83 :: v_dual_fma_f32 v35, v128, v72, -v43
	s_wait_loadcnt 0x4
	v_dual_mov_b32 v60, v87 :: v_dual_mov_b32 v64, v91
	s_delay_alu instid0(VALU_DEP_2) | instskip(SKIP_4) | instid1(VALU_DEP_4)
	v_dual_add_f32 v7, v7, v21 :: v_dual_fma_f32 v154, v138, v82, -v15
	v_dual_fma_f32 v21, v132, v76, -v47 :: v_dual_add_f32 v11, v11, v33
	v_dual_fmac_f32 v29, v137, v80 :: v_dual_mul_f32 v155, v138, v83
	v_dual_mul_f32 v157, v100, v85 :: v_dual_fmac_f32 v23, v131, v74
	v_fma_f32 v13, v136, v80, -v13
	v_dual_fma_f32 v19, v130, v74, -v45 :: v_dual_add_f32 v11, v11, v35
	s_delay_alu instid0(VALU_DEP_3) | instskip(SKIP_4) | instid1(VALU_DEP_4)
	v_fmac_f32_e32 v157, v101, v84
	v_pk_mul_f32 v[60:61], v[146:147], v[60:61] op_sel_hi:[1,0]
	v_dual_mul_f32 v17, v101, v85 :: v_dual_add_f32 v7, v7, v23
	v_fmac_f32_e32 v27, v135, v78
	v_fmac_f32_e32 v155, v139, v82
	v_pk_fma_f32 v[72:73], v[102:103], v[86:87], v[60:61] op_sel_hi:[1,0,1]
	v_add_f32_e32 v11, v11, v19
	v_pk_fma_f32 v[60:61], v[102:103], v[86:87], v[60:61] neg_lo:[0,0,1] neg_hi:[0,0,1]
	v_dual_fma_f32 v19, v134, v78, -v31 :: v_dual_fma_f32 v156, v100, v84, -v17
	s_delay_alu instid0(VALU_DEP_4) | instskip(NEXT) | instid1(VALU_DEP_4)
	v_dual_add_f32 v7, v7, v25 :: v_dual_mov_b32 v61, v73
	v_add_f32_e32 v11, v11, v21
	v_pk_mul_f32 v[62:63], v[104:105], v[88:89] op_sel:[1,1] op_sel_hi:[0,1]
	v_pk_mul_f32 v[64:65], v[148:149], v[64:65] op_sel_hi:[1,0]
	s_delay_alu instid0(VALU_DEP_4)
	v_add_f32_e32 v7, v7, v27
	s_wait_loadcnt 0x3
	v_pk_mul_f32 v[66:67], v[108:109], v[92:93] op_sel:[1,1] op_sel_hi:[0,1]
	v_add_f32_e32 v11, v11, v19
	v_pk_fma_f32 v[74:75], v[104:105], v[88:89], v[62:63] op_sel_hi:[1,0,1]
	v_pk_fma_f32 v[62:63], v[104:105], v[88:89], v[62:63] neg_lo:[0,0,1] neg_hi:[0,0,1]
	v_add_f32_e32 v69, v7, v29
	v_mov_b32_e32 v70, v95
	v_add_f32_e32 v68, v11, v13
	v_mov_b32_e32 v63, v75
	v_pk_fma_f32 v[74:75], v[106:107], v[90:91], v[64:65] op_sel_hi:[1,0,1]
	v_pk_fma_f32 v[64:65], v[106:107], v[90:91], v[64:65] neg_lo:[0,0,1] neg_hi:[0,0,1]
	v_pk_mul_f32 v[70:71], v[150:151], v[70:71] op_sel_hi:[1,0]
	v_pk_add_f32 v[68:69], v[68:69], v[154:155]
	s_wait_loadcnt 0x2
	v_pk_mul_f32 v[72:73], v[112:113], v[96:97] op_sel:[1,1] op_sel_hi:[0,1]
	v_mov_b32_e32 v65, v75
	s_delay_alu instid0(VALU_DEP_3) | instskip(NEXT) | instid1(VALU_DEP_1)
	v_pk_add_f32 v[68:69], v[68:69], v[156:157]
	v_pk_add_f32 v[60:61], v[68:69], v[60:61]
	v_pk_fma_f32 v[68:69], v[108:109], v[92:93], v[66:67] op_sel_hi:[1,0,1]
	v_pk_fma_f32 v[66:67], v[108:109], v[92:93], v[66:67] neg_lo:[0,0,1] neg_hi:[0,0,1]
	s_delay_alu instid0(VALU_DEP_3) | instskip(NEXT) | instid1(VALU_DEP_3)
	v_pk_add_f32 v[60:61], v[60:61], v[62:63]
	v_dual_mov_b32 v62, v99 :: v_dual_mov_b32 v67, v69
	v_pk_fma_f32 v[68:69], v[110:111], v[94:95], v[70:71] op_sel_hi:[1,0,1]
	v_pk_fma_f32 v[70:71], v[110:111], v[94:95], v[70:71] neg_lo:[0,0,1] neg_hi:[0,0,1]
	s_delay_alu instid0(VALU_DEP_4)
	v_pk_add_f32 v[60:61], v[60:61], v[64:65]
	v_pk_fma_f32 v[64:65], v[112:113], v[96:97], v[72:73] op_sel_hi:[1,0,1]
	v_pk_mul_f32 v[62:63], v[152:153], v[62:63] op_sel_hi:[1,0]
	v_mov_b32_e32 v71, v69
	s_wait_loadcnt_dscnt 0x100
	v_pk_mul_f32 v[68:69], v[144:145], v[140:141] op_sel:[1,1] op_sel_hi:[0,1]
	v_pk_add_f32 v[60:61], v[60:61], v[66:67]
	v_pk_fma_f32 v[66:67], v[112:113], v[96:97], v[72:73] neg_lo:[0,0,1] neg_hi:[0,0,1]
	v_mov_b32_e32 v67, v65
	v_pk_fma_f32 v[64:65], v[114:115], v[98:99], v[62:63] op_sel_hi:[1,0,1]
	v_pk_fma_f32 v[62:63], v[114:115], v[98:99], v[62:63] neg_lo:[0,0,1] neg_hi:[0,0,1]
	v_pk_add_f32 v[60:61], v[60:61], v[70:71]
	s_delay_alu instid0(VALU_DEP_3) | instskip(SKIP_1) | instid1(VALU_DEP_3)
	v_mov_b32_e32 v63, v65
	v_pk_fma_f32 v[64:65], v[144:145], v[140:141], v[68:69] op_sel_hi:[1,0,1]
	v_pk_add_f32 v[60:61], v[60:61], v[66:67]
	v_pk_fma_f32 v[66:67], v[144:145], v[140:141], v[68:69] neg_lo:[0,0,1] neg_hi:[0,0,1]
	s_delay_alu instid0(VALU_DEP_3) | instskip(NEXT) | instid1(VALU_DEP_3)
	v_mov_b32_e32 v67, v65
	v_pk_add_f32 v[60:61], v[60:61], v[62:63]
	s_delay_alu instid0(VALU_DEP_1) | instskip(SKIP_1) | instid1(VALU_DEP_1)
	v_pk_add_f32 v[60:61], v[60:61], v[66:67]
	s_wait_loadcnt 0x0
	v_pk_add_f32 v[60:61], v[142:143], v[60:61] neg_lo:[0,1] neg_hi:[0,1]
	scratch_store_b64 off, v[60:61], off offset:56
	s_wait_xcnt 0x0
	v_cmpx_lt_u32_e32 6, v0
	s_cbranch_execz .LBB28_175
; %bb.174:
	scratch_load_b64 v[60:61], off, off offset:48
	v_mov_b64_e32 v[62:63], 0
	scratch_store_b64 off, v[62:63], off offset:48
	s_wait_loadcnt 0x0
	ds_store_b64 v1, v[60:61]
.LBB28_175:
	s_wait_xcnt 0x0
	s_or_b32 exec_lo, exec_lo, s0
	s_wait_storecnt_dscnt 0x0
	s_barrier_signal -1
	s_barrier_wait -1
	s_clause 0xb
	scratch_load_b128 v[60:63], off, off offset:56
	scratch_load_b128 v[64:67], off, off offset:72
	;; [unrolled: 1-line block ×11, first 2 shown]
	scratch_load_b64 v[148:149], off, off offset:48
	ds_load_2addr_b64 v[104:107], v5 offset0:51 offset1:52
	ds_load_2addr_b64 v[108:111], v5 offset0:53 offset1:54
	;; [unrolled: 1-line block ×11, first 2 shown]
	s_mov_b32 s0, exec_lo
	s_wait_dscnt 0xa
	v_dual_mov_b32 v150, v107 :: v_dual_mov_b32 v151, v106
	s_wait_dscnt 0x9
	v_dual_mov_b32 v152, v111 :: v_dual_mov_b32 v153, v110
	;; [unrolled: 2-line block ×4, first 2 shown]
	s_wait_loadcnt_dscnt 0xb06
	v_dual_mul_f32 v5, v120, v61 :: v_dual_mul_f32 v7, v122, v63
	v_dual_mul_f32 v31, v121, v61 :: v_dual_mul_f32 v33, v123, v63
	s_wait_loadcnt_dscnt 0xa05
	v_dual_mul_f32 v11, v124, v65 :: v_dual_mul_f32 v13, v126, v67
	s_delay_alu instid0(VALU_DEP_2) | instskip(SKIP_3) | instid1(VALU_DEP_3)
	v_dual_fmac_f32 v5, v121, v60 :: v_dual_fma_f32 v31, v120, v60, -v31
	v_dual_mul_f32 v35, v125, v65 :: v_dual_mul_f32 v37, v127, v67
	s_wait_loadcnt_dscnt 0x803
	v_dual_mul_f32 v43, v133, v73 :: v_dual_fmac_f32 v7, v123, v62
	v_dual_fma_f32 v33, v122, v62, -v33 :: v_dual_add_f32 v5, 0, v5
	v_dual_add_f32 v31, 0, v31 :: v_dual_fmac_f32 v11, v125, v64
	v_dual_mul_f32 v45, v135, v75 :: v_dual_fma_f32 v35, v124, v64, -v35
	s_delay_alu instid0(VALU_DEP_2)
	v_dual_add_f32 v5, v5, v7 :: v_dual_add_f32 v7, v31, v33
	v_dual_mul_f32 v15, v128, v69 :: v_dual_mul_f32 v17, v130, v71
	v_dual_mul_f32 v39, v129, v69 :: v_dual_mul_f32 v41, v131, v71
	s_wait_loadcnt_dscnt 0x702
	v_dual_mul_f32 v31, v137, v77 :: v_dual_fmac_f32 v13, v127, v66
	v_dual_fma_f32 v33, v126, v66, -v37 :: v_dual_add_f32 v5, v5, v11
	v_dual_add_f32 v7, v7, v35 :: v_dual_fmac_f32 v15, v129, v68
	v_dual_mul_f32 v11, v139, v79 :: v_dual_fma_f32 v35, v128, v68, -v39
	s_delay_alu instid0(VALU_DEP_3) | instskip(NEXT) | instid1(VALU_DEP_3)
	v_dual_add_f32 v5, v5, v13 :: v_dual_fmac_f32 v17, v131, v70
	v_dual_add_f32 v7, v7, v33 :: v_dual_fma_f32 v33, v130, v70, -v41
	v_dual_mul_f32 v19, v132, v73 :: v_dual_mul_f32 v21, v134, v75
	s_wait_loadcnt_dscnt 0x601
	s_delay_alu instid0(VALU_DEP_2) | instskip(SKIP_1) | instid1(VALU_DEP_3)
	v_dual_mul_f32 v13, v141, v81 :: v_dual_add_f32 v7, v7, v35
	v_dual_add_f32 v5, v5, v15 :: v_dual_fma_f32 v35, v132, v72, -v43
	v_dual_mul_f32 v15, v143, v83 :: v_dual_fmac_f32 v19, v133, v72
	s_delay_alu instid0(VALU_DEP_3) | instskip(NEXT) | instid1(VALU_DEP_3)
	v_dual_add_f32 v7, v7, v33 :: v_dual_fma_f32 v33, v134, v74, -v45
	v_dual_add_f32 v5, v5, v17 :: v_dual_fmac_f32 v21, v135, v74
	v_dual_mul_f32 v23, v136, v77 :: v_dual_mul_f32 v25, v138, v79
	s_wait_loadcnt_dscnt 0x500
	s_delay_alu instid0(VALU_DEP_3) | instskip(NEXT) | instid1(VALU_DEP_3)
	v_dual_mul_f32 v17, v145, v85 :: v_dual_add_f32 v7, v7, v35
	v_dual_add_f32 v5, v5, v19 :: v_dual_fma_f32 v31, v136, v76, -v31
	s_delay_alu instid0(VALU_DEP_3) | instskip(NEXT) | instid1(VALU_DEP_3)
	v_dual_mul_f32 v19, v147, v87 :: v_dual_fmac_f32 v23, v137, v76
	v_dual_add_f32 v7, v7, v33 :: v_dual_fma_f32 v11, v138, v78, -v11
	s_delay_alu instid0(VALU_DEP_3) | instskip(SKIP_1) | instid1(VALU_DEP_3)
	v_dual_add_f32 v5, v5, v21 :: v_dual_fmac_f32 v25, v139, v78
	v_dual_mul_f32 v27, v140, v81 :: v_dual_mul_f32 v29, v142, v83
	v_add_f32_e32 v7, v7, v31
	s_wait_loadcnt 0x4
	s_delay_alu instid0(VALU_DEP_3) | instskip(NEXT) | instid1(VALU_DEP_3)
	v_dual_add_f32 v5, v5, v23 :: v_dual_mov_b32 v62, v91
	v_dual_fmac_f32 v27, v141, v80 :: v_dual_fma_f32 v13, v140, v80, -v13
	s_delay_alu instid0(VALU_DEP_3) | instskip(NEXT) | instid1(VALU_DEP_3)
	v_dual_add_f32 v7, v7, v11 :: v_dual_fma_f32 v11, v142, v82, -v15
	v_add_f32_e32 v5, v5, v25
	v_dual_mul_f32 v159, v144, v85 :: v_dual_mul_f32 v161, v146, v87
	v_fmac_f32_e32 v29, v143, v82
	s_delay_alu instid0(VALU_DEP_3)
	v_dual_add_f32 v7, v7, v13 :: v_dual_add_f32 v5, v5, v27
	v_pk_mul_f32 v[60:61], v[104:105], v[88:89] op_sel:[1,1] op_sel_hi:[0,1]
	s_wait_loadcnt 0x3
	v_dual_mov_b32 v66, v95 :: v_dual_fma_f32 v158, v144, v84, -v17
	v_fmac_f32_e32 v159, v145, v84
	v_dual_add_f32 v69, v5, v29 :: v_dual_add_f32 v68, v7, v11
	v_dual_fmac_f32 v161, v147, v86 :: v_dual_fma_f32 v160, v146, v86, -v19
	v_pk_fma_f32 v[70:71], v[104:105], v[88:89], v[60:61] op_sel_hi:[1,0,1]
	v_pk_mul_f32 v[62:63], v[150:151], v[62:63] op_sel_hi:[1,0]
	s_delay_alu instid0(VALU_DEP_4)
	v_pk_add_f32 v[68:69], v[68:69], v[158:159]
	v_pk_fma_f32 v[60:61], v[104:105], v[88:89], v[60:61] neg_lo:[0,0,1] neg_hi:[0,0,1]
	v_pk_mul_f32 v[64:65], v[108:109], v[92:93] op_sel:[1,1] op_sel_hi:[0,1]
	v_mov_b32_e32 v61, v71
	v_pk_fma_f32 v[70:71], v[106:107], v[90:91], v[62:63] op_sel_hi:[1,0,1]
	v_pk_add_f32 v[68:69], v[68:69], v[160:161]
	v_pk_fma_f32 v[62:63], v[106:107], v[90:91], v[62:63] neg_lo:[0,0,1] neg_hi:[0,0,1]
	v_pk_fma_f32 v[74:75], v[108:109], v[92:93], v[64:65] op_sel_hi:[1,0,1]
	v_pk_mul_f32 v[66:67], v[152:153], v[66:67] op_sel_hi:[1,0]
	v_mov_b32_e32 v63, v71
	v_pk_add_f32 v[60:61], v[68:69], v[60:61]
	s_wait_loadcnt 0x2
	v_pk_mul_f32 v[72:73], v[112:113], v[96:97] op_sel:[1,1] op_sel_hi:[0,1]
	v_mov_b32_e32 v68, v99
	v_pk_fma_f32 v[64:65], v[108:109], v[92:93], v[64:65] neg_lo:[0,0,1] neg_hi:[0,0,1]
	v_mov_b32_e32 v65, v75
	v_pk_fma_f32 v[70:71], v[110:111], v[94:95], v[66:67] op_sel_hi:[1,0,1]
	v_pk_add_f32 v[60:61], v[60:61], v[62:63]
	v_pk_fma_f32 v[62:63], v[112:113], v[96:97], v[72:73] op_sel_hi:[1,0,1]
	v_pk_mul_f32 v[68:69], v[154:155], v[68:69] op_sel_hi:[1,0]
	v_pk_fma_f32 v[66:67], v[110:111], v[94:95], v[66:67] neg_lo:[0,0,1] neg_hi:[0,0,1]
	v_mov_b32_e32 v67, v71
	v_pk_add_f32 v[60:61], v[60:61], v[64:65]
	v_pk_fma_f32 v[70:71], v[112:113], v[96:97], v[72:73] neg_lo:[0,0,1] neg_hi:[0,0,1]
	v_mov_b32_e32 v71, v63
	v_pk_fma_f32 v[62:63], v[114:115], v[98:99], v[68:69] op_sel_hi:[1,0,1]
	s_wait_loadcnt 0x1
	v_pk_mul_f32 v[64:65], v[116:117], v[100:101] op_sel:[1,1] op_sel_hi:[0,1]
	v_pk_add_f32 v[60:61], v[60:61], v[66:67]
	v_mov_b32_e32 v62, v103
	v_pk_fma_f32 v[68:69], v[114:115], v[98:99], v[68:69] neg_lo:[0,0,1] neg_hi:[0,0,1]
	v_mov_b32_e32 v69, v63
	v_pk_fma_f32 v[66:67], v[116:117], v[100:101], v[64:65] op_sel_hi:[1,0,1]
	v_pk_add_f32 v[60:61], v[60:61], v[70:71]
	v_pk_mul_f32 v[62:63], v[156:157], v[62:63] op_sel_hi:[1,0]
	v_pk_fma_f32 v[64:65], v[116:117], v[100:101], v[64:65] neg_lo:[0,0,1] neg_hi:[0,0,1]
	s_delay_alu instid0(VALU_DEP_4) | instskip(NEXT) | instid1(VALU_DEP_4)
	v_mov_b32_e32 v65, v67
	v_pk_add_f32 v[60:61], v[60:61], v[68:69]
	s_delay_alu instid0(VALU_DEP_4) | instskip(SKIP_1) | instid1(VALU_DEP_2)
	v_pk_fma_f32 v[66:67], v[118:119], v[102:103], v[62:63] op_sel_hi:[1,0,1]
	v_pk_fma_f32 v[62:63], v[118:119], v[102:103], v[62:63] neg_lo:[0,0,1] neg_hi:[0,0,1]
	v_mov_b32_e32 v63, v67
	s_delay_alu instid0(VALU_DEP_4) | instskip(NEXT) | instid1(VALU_DEP_1)
	v_pk_add_f32 v[60:61], v[60:61], v[64:65]
	v_pk_add_f32 v[60:61], v[60:61], v[62:63]
	s_wait_loadcnt 0x0
	s_delay_alu instid0(VALU_DEP_1)
	v_pk_add_f32 v[60:61], v[148:149], v[60:61] neg_lo:[0,1] neg_hi:[0,1]
	scratch_store_b64 off, v[60:61], off offset:48
	s_wait_xcnt 0x0
	v_cmpx_lt_u32_e32 5, v0
	s_cbranch_execz .LBB28_177
; %bb.176:
	scratch_load_b64 v[60:61], off, off offset:40
	v_mov_b64_e32 v[62:63], 0
	scratch_store_b64 off, v[62:63], off offset:40
	s_wait_loadcnt 0x0
	ds_store_b64 v1, v[60:61]
.LBB28_177:
	s_wait_xcnt 0x0
	s_or_b32 exec_lo, exec_lo, s0
	s_wait_storecnt_dscnt 0x0
	s_barrier_signal -1
	s_barrier_wait -1
	s_clause 0xc
	scratch_load_b128 v[60:63], off, off offset:48
	scratch_load_b128 v[64:67], off, off offset:64
	scratch_load_b128 v[68:71], off, off offset:80
	scratch_load_b128 v[72:75], off, off offset:96
	scratch_load_b128 v[76:79], off, off offset:112
	scratch_load_b128 v[80:83], off, off offset:128
	scratch_load_b128 v[84:87], off, off offset:144
	scratch_load_b128 v[88:91], off, off offset:160
	scratch_load_b128 v[92:95], off, off offset:176
	scratch_load_b128 v[96:99], off, off offset:192
	scratch_load_b128 v[100:103], off, off offset:208
	scratch_load_b64 v[148:149], off, off offset:224
	scratch_load_b64 v[150:151], off, off offset:40
	v_mov_b32_e32 v5, 0
	ds_load_b128 v[104:107], v5 offset:400
	ds_load_b128 v[108:111], v5 offset:416
	;; [unrolled: 1-line block ×11, first 2 shown]
	ds_load_b64 v[152:153], v5 offset:464
	s_mov_b32 s0, exec_lo
	s_wait_dscnt 0xb
	v_dual_mov_b32 v154, v107 :: v_dual_mov_b32 v155, v106
	s_wait_dscnt 0x8
	v_dual_mov_b32 v156, v111 :: v_dual_mov_b32 v161, v118
	v_dual_mov_b32 v157, v110 :: v_dual_mov_b32 v158, v115
	;; [unrolled: 1-line block ×3, first 2 shown]
	s_wait_loadcnt_dscnt 0xc07
	v_dual_mul_f32 v7, v120, v61 :: v_dual_mul_f32 v35, v121, v61
	v_dual_mul_f32 v37, v123, v63 :: v_dual_mul_f32 v11, v122, v63
	s_wait_loadcnt_dscnt 0xb06
	v_mul_f32_e32 v13, v124, v65
	s_wait_loadcnt_dscnt 0x904
	v_dual_mul_f32 v47, v133, v73 :: v_dual_fma_f32 v35, v120, v60, -v35
	v_dual_fmac_f32 v7, v121, v60 :: v_dual_mul_f32 v49, v135, v75
	v_dual_mul_f32 v39, v125, v65 :: v_dual_mul_f32 v41, v127, v67
	v_dual_fmac_f32 v11, v123, v62 :: v_dual_fma_f32 v37, v122, v62, -v37
	s_wait_loadcnt_dscnt 0x803
	s_delay_alu instid0(VALU_DEP_3) | instskip(SKIP_1) | instid1(VALU_DEP_2)
	v_dual_add_f32 v7, 0, v7 :: v_dual_mul_f32 v51, v137, v77
	v_dual_add_f32 v35, 0, v35 :: v_dual_fmac_f32 v13, v125, v64
	v_dual_fma_f32 v39, v124, v64, -v39 :: v_dual_add_f32 v7, v7, v11
	v_dual_mul_f32 v15, v126, v67 :: v_dual_mul_f32 v17, v128, v69
	s_delay_alu instid0(VALU_DEP_3) | instskip(SKIP_2) | instid1(VALU_DEP_3)
	v_dual_add_f32 v11, v35, v37 :: v_dual_fma_f32 v37, v126, v66, -v41
	v_dual_mul_f32 v43, v129, v69 :: v_dual_mul_f32 v45, v131, v71
	v_dual_mul_f32 v19, v130, v71 :: v_dual_mul_f32 v21, v132, v73
	v_add_f32_e32 v11, v11, v39
	v_dual_fmac_f32 v15, v127, v66 :: v_dual_fmac_f32 v17, v129, v68
	s_delay_alu instid0(VALU_DEP_4) | instskip(NEXT) | instid1(VALU_DEP_3)
	v_dual_add_f32 v7, v7, v13 :: v_dual_fma_f32 v39, v128, v68, -v43
	v_dual_add_f32 v11, v11, v37 :: v_dual_fmac_f32 v21, v133, v72
	v_dual_mul_f32 v23, v134, v75 :: v_dual_mul_f32 v25, v136, v77
	s_delay_alu instid0(VALU_DEP_3) | instskip(NEXT) | instid1(VALU_DEP_3)
	v_dual_add_f32 v7, v7, v15 :: v_dual_fma_f32 v37, v130, v70, -v45
	v_add_f32_e32 v11, v11, v39
	s_wait_loadcnt_dscnt 0x701
	v_dual_mul_f32 v35, v139, v79 :: v_dual_mul_f32 v13, v145, v81
	v_dual_mul_f32 v15, v147, v83 :: v_dual_fma_f32 v39, v132, v72, -v47
	v_fmac_f32_e32 v19, v131, v70
	v_dual_add_f32 v7, v7, v17 :: v_dual_fmac_f32 v25, v137, v76
	v_dual_add_f32 v11, v11, v37 :: v_dual_mul_f32 v27, v138, v79
	v_dual_mul_f32 v29, v144, v81 :: v_dual_mul_f32 v31, v146, v83
	s_wait_loadcnt 0x6
	v_dual_mul_f32 v33, v140, v85 :: v_dual_fma_f32 v37, v134, v74, -v49
	v_add_f32_e32 v7, v7, v19
	v_add_f32_e32 v11, v11, v39
	s_wait_loadcnt 0x4
	v_dual_mov_b32 v60, v91 :: v_dual_mov_b32 v64, v95
	v_dual_mul_f32 v19, v143, v87 :: v_dual_fmac_f32 v29, v145, v80
	v_dual_fmac_f32 v23, v135, v74 :: v_dual_fma_f32 v13, v144, v80, -v13
	v_dual_fma_f32 v39, v136, v76, -v51 :: v_dual_add_f32 v7, v7, v21
	v_dual_fma_f32 v15, v146, v82, -v15 :: v_dual_fmac_f32 v33, v141, v84
	s_delay_alu instid0(VALU_DEP_4) | instskip(SKIP_1) | instid1(VALU_DEP_4)
	v_dual_add_f32 v11, v11, v37 :: v_dual_fma_f32 v162, v142, v86, -v19
	v_pk_mul_f32 v[60:61], v[154:155], v[60:61] op_sel_hi:[1,0]
	v_dual_mul_f32 v17, v141, v85 :: v_dual_add_f32 v7, v7, v23
	v_fma_f32 v23, v138, v78, -v35
	v_dual_mul_f32 v163, v142, v87 :: v_dual_mul_f32 v165, v104, v89
	s_delay_alu instid0(VALU_DEP_4) | instskip(SKIP_4) | instid1(VALU_DEP_4)
	v_pk_fma_f32 v[72:73], v[106:107], v[90:91], v[60:61] op_sel_hi:[1,0,1]
	v_add_f32_e32 v11, v11, v39
	v_pk_fma_f32 v[60:61], v[106:107], v[90:91], v[60:61] neg_lo:[0,0,1] neg_hi:[0,0,1]
	v_dual_mul_f32 v21, v105, v89 :: v_dual_fmac_f32 v27, v139, v78
	v_fmac_f32_e32 v165, v105, v88
	v_dual_mov_b32 v61, v73 :: v_dual_add_f32 v11, v11, v23
	s_delay_alu instid0(VALU_DEP_3) | instskip(SKIP_2) | instid1(VALU_DEP_4)
	v_dual_fma_f32 v164, v104, v88, -v21 :: v_dual_fmac_f32 v31, v147, v82
	v_fmac_f32_e32 v163, v143, v86
	v_pk_mul_f32 v[62:63], v[108:109], v[92:93] op_sel:[1,1] op_sel_hi:[0,1]
	v_dual_add_f32 v11, v11, v13 :: v_dual_fma_f32 v13, v140, v84, -v17
	v_add_f32_e32 v7, v7, v25
	v_pk_mul_f32 v[64:65], v[156:157], v[64:65] op_sel_hi:[1,0]
	s_delay_alu instid0(VALU_DEP_4) | instskip(NEXT) | instid1(VALU_DEP_4)
	v_pk_fma_f32 v[74:75], v[108:109], v[92:93], v[62:63] op_sel_hi:[1,0,1]
	v_add_f32_e32 v11, v11, v15
	v_pk_fma_f32 v[62:63], v[108:109], v[92:93], v[62:63] neg_lo:[0,0,1] neg_hi:[0,0,1]
	v_add_f32_e32 v7, v7, v27
	s_wait_loadcnt 0x3
	v_pk_mul_f32 v[66:67], v[112:113], v[96:97] op_sel:[1,1] op_sel_hi:[0,1]
	v_dual_mov_b32 v70, v99 :: v_dual_mov_b32 v63, v75
	v_add_f32_e32 v68, v11, v13
	v_add_f32_e32 v7, v7, v29
	v_pk_fma_f32 v[74:75], v[110:111], v[94:95], v[64:65] op_sel_hi:[1,0,1]
	v_pk_fma_f32 v[64:65], v[110:111], v[94:95], v[64:65] neg_lo:[0,0,1] neg_hi:[0,0,1]
	v_pk_mul_f32 v[70:71], v[158:159], v[70:71] op_sel_hi:[1,0]
	s_wait_loadcnt 0x2
	v_pk_mul_f32 v[72:73], v[116:117], v[100:101] op_sel:[1,1] op_sel_hi:[0,1]
	v_add_f32_e32 v7, v7, v31
	v_mov_b32_e32 v65, v75
	s_delay_alu instid0(VALU_DEP_2) | instskip(NEXT) | instid1(VALU_DEP_1)
	v_add_f32_e32 v69, v7, v33
	v_pk_add_f32 v[68:69], v[68:69], v[162:163]
	s_delay_alu instid0(VALU_DEP_1) | instskip(NEXT) | instid1(VALU_DEP_1)
	v_pk_add_f32 v[68:69], v[68:69], v[164:165]
	v_pk_add_f32 v[60:61], v[68:69], v[60:61]
	v_pk_fma_f32 v[68:69], v[112:113], v[96:97], v[66:67] op_sel_hi:[1,0,1]
	v_pk_fma_f32 v[66:67], v[112:113], v[96:97], v[66:67] neg_lo:[0,0,1] neg_hi:[0,0,1]
	s_delay_alu instid0(VALU_DEP_3) | instskip(NEXT) | instid1(VALU_DEP_3)
	v_pk_add_f32 v[60:61], v[60:61], v[62:63]
	v_dual_mov_b32 v62, v103 :: v_dual_mov_b32 v67, v69
	v_pk_fma_f32 v[68:69], v[114:115], v[98:99], v[70:71] op_sel_hi:[1,0,1]
	v_pk_fma_f32 v[70:71], v[114:115], v[98:99], v[70:71] neg_lo:[0,0,1] neg_hi:[0,0,1]
	s_delay_alu instid0(VALU_DEP_4)
	v_pk_add_f32 v[60:61], v[60:61], v[64:65]
	v_pk_fma_f32 v[64:65], v[116:117], v[100:101], v[72:73] op_sel_hi:[1,0,1]
	v_pk_mul_f32 v[62:63], v[160:161], v[62:63] op_sel_hi:[1,0]
	v_mov_b32_e32 v71, v69
	s_wait_loadcnt_dscnt 0x100
	v_pk_mul_f32 v[68:69], v[152:153], v[148:149] op_sel:[1,1] op_sel_hi:[0,1]
	v_pk_add_f32 v[60:61], v[60:61], v[66:67]
	v_pk_fma_f32 v[66:67], v[116:117], v[100:101], v[72:73] neg_lo:[0,0,1] neg_hi:[0,0,1]
	v_mov_b32_e32 v67, v65
	v_pk_fma_f32 v[64:65], v[118:119], v[102:103], v[62:63] op_sel_hi:[1,0,1]
	v_pk_fma_f32 v[62:63], v[118:119], v[102:103], v[62:63] neg_lo:[0,0,1] neg_hi:[0,0,1]
	v_pk_add_f32 v[60:61], v[60:61], v[70:71]
	s_delay_alu instid0(VALU_DEP_3) | instskip(SKIP_1) | instid1(VALU_DEP_3)
	v_mov_b32_e32 v63, v65
	v_pk_fma_f32 v[64:65], v[152:153], v[148:149], v[68:69] op_sel_hi:[1,0,1]
	v_pk_add_f32 v[60:61], v[60:61], v[66:67]
	v_pk_fma_f32 v[66:67], v[152:153], v[148:149], v[68:69] neg_lo:[0,0,1] neg_hi:[0,0,1]
	s_delay_alu instid0(VALU_DEP_3) | instskip(NEXT) | instid1(VALU_DEP_3)
	v_mov_b32_e32 v67, v65
	v_pk_add_f32 v[60:61], v[60:61], v[62:63]
	s_delay_alu instid0(VALU_DEP_1) | instskip(SKIP_1) | instid1(VALU_DEP_1)
	v_pk_add_f32 v[60:61], v[60:61], v[66:67]
	s_wait_loadcnt 0x0
	v_pk_add_f32 v[60:61], v[150:151], v[60:61] neg_lo:[0,1] neg_hi:[0,1]
	scratch_store_b64 off, v[60:61], off offset:40
	s_wait_xcnt 0x0
	v_cmpx_lt_u32_e32 4, v0
	s_cbranch_execz .LBB28_179
; %bb.178:
	scratch_load_b64 v[60:61], off, off offset:32
	v_mov_b64_e32 v[62:63], 0
	scratch_store_b64 off, v[62:63], off offset:32
	s_wait_loadcnt 0x0
	ds_store_b64 v1, v[60:61]
.LBB28_179:
	s_wait_xcnt 0x0
	s_or_b32 exec_lo, exec_lo, s0
	s_wait_storecnt_dscnt 0x0
	s_barrier_signal -1
	s_barrier_wait -1
	s_clause 0xc
	scratch_load_b128 v[60:63], off, off offset:40
	scratch_load_b128 v[64:67], off, off offset:56
	scratch_load_b128 v[68:71], off, off offset:72
	scratch_load_b128 v[72:75], off, off offset:88
	scratch_load_b128 v[76:79], off, off offset:104
	scratch_load_b128 v[80:83], off, off offset:120
	scratch_load_b128 v[84:87], off, off offset:136
	scratch_load_b128 v[88:91], off, off offset:152
	scratch_load_b128 v[92:95], off, off offset:168
	scratch_load_b128 v[96:99], off, off offset:184
	scratch_load_b128 v[100:103], off, off offset:200
	scratch_load_b128 v[104:107], off, off offset:216
	scratch_load_b64 v[156:157], off, off offset:32
	ds_load_2addr_b64 v[108:111], v5 offset0:51 offset1:52
	ds_load_2addr_b64 v[112:115], v5 offset0:53 offset1:54
	;; [unrolled: 1-line block ×12, first 2 shown]
	s_mov_b32 s0, exec_lo
	s_wait_dscnt 0xb
	v_dual_mov_b32 v158, v111 :: v_dual_mov_b32 v159, v110
	s_wait_dscnt 0xa
	v_dual_mov_b32 v160, v115 :: v_dual_mov_b32 v161, v114
	;; [unrolled: 2-line block ×4, first 2 shown]
	s_wait_loadcnt_dscnt 0xc07
	v_dual_mul_f32 v5, v124, v61 :: v_dual_mul_f32 v7, v126, v63
	v_dual_mul_f32 v35, v125, v61 :: v_dual_mul_f32 v37, v127, v63
	s_wait_loadcnt_dscnt 0xb06
	v_dual_mul_f32 v11, v128, v65 :: v_dual_mul_f32 v13, v130, v67
	s_delay_alu instid0(VALU_DEP_2) | instskip(SKIP_3) | instid1(VALU_DEP_3)
	v_dual_fmac_f32 v5, v125, v60 :: v_dual_fma_f32 v35, v124, v60, -v35
	v_dual_mul_f32 v39, v129, v65 :: v_dual_mul_f32 v41, v131, v67
	s_wait_loadcnt_dscnt 0x904
	v_dual_mul_f32 v47, v137, v73 :: v_dual_fmac_f32 v7, v127, v62
	v_dual_fma_f32 v37, v126, v62, -v37 :: v_dual_add_f32 v5, 0, v5
	v_dual_add_f32 v35, 0, v35 :: v_dual_fmac_f32 v11, v129, v64
	v_dual_mul_f32 v49, v139, v75 :: v_dual_fma_f32 v39, v128, v64, -v39
	s_delay_alu instid0(VALU_DEP_2)
	v_dual_add_f32 v5, v5, v7 :: v_dual_add_f32 v7, v35, v37
	v_dual_mul_f32 v15, v132, v69 :: v_dual_mul_f32 v17, v134, v71
	v_dual_mul_f32 v43, v133, v69 :: v_dual_mul_f32 v45, v135, v71
	s_wait_loadcnt_dscnt 0x803
	v_dual_mul_f32 v35, v141, v77 :: v_dual_fmac_f32 v13, v131, v66
	v_dual_fma_f32 v37, v130, v66, -v41 :: v_dual_add_f32 v5, v5, v11
	v_dual_add_f32 v7, v7, v39 :: v_dual_fmac_f32 v15, v133, v68
	v_dual_mul_f32 v11, v143, v79 :: v_dual_fma_f32 v39, v132, v68, -v43
	s_delay_alu instid0(VALU_DEP_3) | instskip(NEXT) | instid1(VALU_DEP_3)
	v_dual_add_f32 v5, v5, v13 :: v_dual_fmac_f32 v17, v135, v70
	v_dual_add_f32 v7, v7, v37 :: v_dual_fma_f32 v37, v134, v70, -v45
	v_dual_mul_f32 v19, v136, v73 :: v_dual_mul_f32 v21, v138, v75
	s_wait_loadcnt_dscnt 0x702
	s_delay_alu instid0(VALU_DEP_2) | instskip(SKIP_1) | instid1(VALU_DEP_3)
	v_dual_mul_f32 v13, v145, v81 :: v_dual_add_f32 v7, v7, v39
	v_dual_add_f32 v5, v5, v15 :: v_dual_fma_f32 v39, v136, v72, -v47
	v_dual_mul_f32 v15, v147, v83 :: v_dual_fmac_f32 v19, v137, v72
	s_delay_alu instid0(VALU_DEP_3) | instskip(NEXT) | instid1(VALU_DEP_3)
	v_dual_add_f32 v7, v7, v37 :: v_dual_fma_f32 v37, v138, v74, -v49
	v_dual_add_f32 v5, v5, v17 :: v_dual_fmac_f32 v21, v139, v74
	v_dual_mul_f32 v23, v140, v77 :: v_dual_mul_f32 v25, v142, v79
	s_wait_loadcnt_dscnt 0x601
	s_delay_alu instid0(VALU_DEP_3) | instskip(NEXT) | instid1(VALU_DEP_3)
	v_dual_mul_f32 v17, v149, v85 :: v_dual_add_f32 v7, v7, v39
	v_dual_add_f32 v5, v5, v19 :: v_dual_fma_f32 v35, v140, v76, -v35
	s_delay_alu instid0(VALU_DEP_3) | instskip(NEXT) | instid1(VALU_DEP_3)
	v_dual_mul_f32 v19, v151, v87 :: v_dual_fmac_f32 v23, v141, v76
	v_dual_add_f32 v7, v7, v37 :: v_dual_fma_f32 v11, v142, v78, -v11
	s_delay_alu instid0(VALU_DEP_3) | instskip(SKIP_2) | instid1(VALU_DEP_3)
	v_dual_add_f32 v5, v5, v21 :: v_dual_fmac_f32 v25, v143, v78
	v_dual_mul_f32 v27, v144, v81 :: v_dual_mul_f32 v29, v146, v83
	s_wait_loadcnt_dscnt 0x500
	v_dual_mul_f32 v21, v153, v89 :: v_dual_add_f32 v7, v7, v35
	s_delay_alu instid0(VALU_DEP_3) | instskip(NEXT) | instid1(VALU_DEP_3)
	v_dual_add_f32 v5, v5, v23 :: v_dual_fma_f32 v13, v144, v80, -v13
	v_dual_mul_f32 v23, v155, v91 :: v_dual_fmac_f32 v27, v145, v80
	s_delay_alu instid0(VALU_DEP_2) | instskip(SKIP_2) | instid1(VALU_DEP_3)
	v_dual_add_f32 v7, v7, v11 :: v_dual_add_f32 v5, v5, v25
	v_dual_mul_f32 v31, v148, v85 :: v_dual_mul_f32 v33, v150, v87
	v_dual_fmac_f32 v29, v147, v82 :: v_dual_fma_f32 v11, v146, v82, -v15
	v_dual_add_f32 v5, v5, v27 :: v_dual_add_f32 v7, v7, v13
	s_wait_loadcnt 0x4
	s_delay_alu instid0(VALU_DEP_3) | instskip(NEXT) | instid1(VALU_DEP_2)
	v_dual_mov_b32 v62, v95 :: v_dual_fmac_f32 v31, v149, v84
	v_dual_fma_f32 v13, v148, v84, -v17 :: v_dual_add_f32 v5, v5, v29
	s_delay_alu instid0(VALU_DEP_3) | instskip(SKIP_1) | instid1(VALU_DEP_3)
	v_dual_add_f32 v7, v7, v11 :: v_dual_fma_f32 v11, v150, v86, -v19
	v_dual_mul_f32 v167, v152, v89 :: v_dual_mul_f32 v169, v154, v91
	v_dual_fmac_f32 v33, v151, v86 :: v_dual_add_f32 v5, v5, v31
	s_delay_alu instid0(VALU_DEP_2) | instskip(SKIP_3) | instid1(VALU_DEP_3)
	v_dual_add_f32 v7, v7, v13 :: v_dual_fmac_f32 v167, v153, v88
	v_pk_mul_f32 v[60:61], v[108:109], v[92:93] op_sel:[1,1] op_sel_hi:[0,1]
	s_wait_loadcnt 0x3
	v_dual_mov_b32 v66, v99 :: v_dual_fma_f32 v166, v152, v88, -v21
	v_dual_add_f32 v69, v5, v33 :: v_dual_add_f32 v68, v7, v11
	v_dual_fmac_f32 v169, v155, v90 :: v_dual_fma_f32 v168, v154, v90, -v23
	v_pk_fma_f32 v[70:71], v[108:109], v[92:93], v[60:61] op_sel_hi:[1,0,1]
	v_pk_mul_f32 v[62:63], v[158:159], v[62:63] op_sel_hi:[1,0]
	s_delay_alu instid0(VALU_DEP_4)
	v_pk_add_f32 v[68:69], v[68:69], v[166:167]
	v_pk_fma_f32 v[60:61], v[108:109], v[92:93], v[60:61] neg_lo:[0,0,1] neg_hi:[0,0,1]
	v_pk_mul_f32 v[64:65], v[112:113], v[96:97] op_sel:[1,1] op_sel_hi:[0,1]
	v_mov_b32_e32 v61, v71
	v_pk_fma_f32 v[70:71], v[110:111], v[94:95], v[62:63] op_sel_hi:[1,0,1]
	v_pk_add_f32 v[68:69], v[68:69], v[168:169]
	v_pk_fma_f32 v[62:63], v[110:111], v[94:95], v[62:63] neg_lo:[0,0,1] neg_hi:[0,0,1]
	v_pk_fma_f32 v[74:75], v[112:113], v[96:97], v[64:65] op_sel_hi:[1,0,1]
	v_pk_mul_f32 v[66:67], v[160:161], v[66:67] op_sel_hi:[1,0]
	v_mov_b32_e32 v63, v71
	v_pk_add_f32 v[60:61], v[68:69], v[60:61]
	s_wait_loadcnt 0x2
	v_pk_mul_f32 v[72:73], v[116:117], v[100:101] op_sel:[1,1] op_sel_hi:[0,1]
	v_mov_b32_e32 v68, v103
	v_pk_fma_f32 v[64:65], v[112:113], v[96:97], v[64:65] neg_lo:[0,0,1] neg_hi:[0,0,1]
	v_mov_b32_e32 v65, v75
	v_pk_fma_f32 v[70:71], v[114:115], v[98:99], v[66:67] op_sel_hi:[1,0,1]
	v_pk_add_f32 v[60:61], v[60:61], v[62:63]
	v_pk_fma_f32 v[62:63], v[116:117], v[100:101], v[72:73] op_sel_hi:[1,0,1]
	v_pk_mul_f32 v[68:69], v[162:163], v[68:69] op_sel_hi:[1,0]
	v_pk_fma_f32 v[66:67], v[114:115], v[98:99], v[66:67] neg_lo:[0,0,1] neg_hi:[0,0,1]
	v_mov_b32_e32 v67, v71
	v_pk_add_f32 v[60:61], v[60:61], v[64:65]
	v_pk_fma_f32 v[70:71], v[116:117], v[100:101], v[72:73] neg_lo:[0,0,1] neg_hi:[0,0,1]
	v_mov_b32_e32 v71, v63
	v_pk_fma_f32 v[62:63], v[118:119], v[102:103], v[68:69] op_sel_hi:[1,0,1]
	s_wait_loadcnt 0x1
	v_pk_mul_f32 v[64:65], v[120:121], v[104:105] op_sel:[1,1] op_sel_hi:[0,1]
	v_pk_add_f32 v[60:61], v[60:61], v[66:67]
	v_mov_b32_e32 v62, v107
	v_pk_fma_f32 v[68:69], v[118:119], v[102:103], v[68:69] neg_lo:[0,0,1] neg_hi:[0,0,1]
	v_mov_b32_e32 v69, v63
	v_pk_fma_f32 v[66:67], v[120:121], v[104:105], v[64:65] op_sel_hi:[1,0,1]
	v_pk_add_f32 v[60:61], v[60:61], v[70:71]
	v_pk_mul_f32 v[62:63], v[164:165], v[62:63] op_sel_hi:[1,0]
	v_pk_fma_f32 v[64:65], v[120:121], v[104:105], v[64:65] neg_lo:[0,0,1] neg_hi:[0,0,1]
	s_delay_alu instid0(VALU_DEP_4) | instskip(NEXT) | instid1(VALU_DEP_4)
	v_mov_b32_e32 v65, v67
	v_pk_add_f32 v[60:61], v[60:61], v[68:69]
	s_delay_alu instid0(VALU_DEP_4) | instskip(SKIP_1) | instid1(VALU_DEP_2)
	v_pk_fma_f32 v[66:67], v[122:123], v[106:107], v[62:63] op_sel_hi:[1,0,1]
	v_pk_fma_f32 v[62:63], v[122:123], v[106:107], v[62:63] neg_lo:[0,0,1] neg_hi:[0,0,1]
	v_mov_b32_e32 v63, v67
	s_delay_alu instid0(VALU_DEP_4) | instskip(NEXT) | instid1(VALU_DEP_1)
	v_pk_add_f32 v[60:61], v[60:61], v[64:65]
	v_pk_add_f32 v[60:61], v[60:61], v[62:63]
	s_wait_loadcnt 0x0
	s_delay_alu instid0(VALU_DEP_1)
	v_pk_add_f32 v[60:61], v[156:157], v[60:61] neg_lo:[0,1] neg_hi:[0,1]
	scratch_store_b64 off, v[60:61], off offset:32
	s_wait_xcnt 0x0
	v_cmpx_lt_u32_e32 3, v0
	s_cbranch_execz .LBB28_181
; %bb.180:
	scratch_load_b64 v[60:61], off, off offset:24
	v_mov_b64_e32 v[62:63], 0
	scratch_store_b64 off, v[62:63], off offset:24
	s_wait_loadcnt 0x0
	ds_store_b64 v1, v[60:61]
.LBB28_181:
	s_wait_xcnt 0x0
	s_or_b32 exec_lo, exec_lo, s0
	s_wait_storecnt_dscnt 0x0
	s_barrier_signal -1
	s_barrier_wait -1
	s_clause 0xd
	scratch_load_b128 v[60:63], off, off offset:32
	scratch_load_b128 v[64:67], off, off offset:48
	;; [unrolled: 1-line block ×12, first 2 shown]
	scratch_load_b64 v[156:157], off, off offset:224
	scratch_load_b64 v[158:159], off, off offset:24
	v_mov_b32_e32 v5, 0
	ds_load_b128 v[108:111], v5 offset:400
	ds_load_b128 v[112:115], v5 offset:416
	;; [unrolled: 1-line block ×12, first 2 shown]
	ds_load_b64 v[160:161], v5 offset:464
	s_mov_b32 s0, exec_lo
	s_wait_dscnt 0xc
	v_dual_mov_b32 v162, v111 :: v_dual_mov_b32 v163, v110
	s_wait_dscnt 0x9
	v_dual_mov_b32 v164, v115 :: v_dual_mov_b32 v169, v122
	v_dual_mov_b32 v165, v114 :: v_dual_mov_b32 v166, v119
	;; [unrolled: 1-line block ×3, first 2 shown]
	s_wait_loadcnt_dscnt 0xd08
	v_dual_mul_f32 v7, v124, v61 :: v_dual_mul_f32 v39, v125, v61
	v_dual_mul_f32 v41, v127, v63 :: v_dual_mul_f32 v11, v126, v63
	s_wait_loadcnt_dscnt 0xc07
	v_mul_f32_e32 v13, v128, v65
	s_wait_loadcnt_dscnt 0xa05
	v_dual_mul_f32 v51, v137, v73 :: v_dual_fma_f32 v39, v124, v60, -v39
	v_dual_fmac_f32 v7, v125, v60 :: v_dual_mul_f32 v53, v139, v75
	v_dual_mul_f32 v43, v129, v65 :: v_dual_mul_f32 v45, v131, v67
	v_dual_fmac_f32 v11, v127, v62 :: v_dual_fma_f32 v41, v126, v62, -v41
	s_wait_loadcnt_dscnt 0x904
	s_delay_alu instid0(VALU_DEP_3) | instskip(SKIP_2) | instid1(VALU_DEP_3)
	v_dual_add_f32 v7, 0, v7 :: v_dual_mul_f32 v55, v141, v77
	v_dual_add_f32 v39, 0, v39 :: v_dual_fmac_f32 v13, v129, v64
	v_dual_mul_f32 v15, v130, v67 :: v_dual_mul_f32 v17, v132, v69
	v_dual_fma_f32 v43, v128, v64, -v43 :: v_dual_add_f32 v7, v7, v11
	s_delay_alu instid0(VALU_DEP_3) | instskip(SKIP_1) | instid1(VALU_DEP_4)
	v_dual_add_f32 v11, v39, v41 :: v_dual_fma_f32 v41, v130, v66, -v45
	v_dual_mul_f32 v47, v133, v69 :: v_dual_mul_f32 v49, v135, v71
	v_dual_fmac_f32 v15, v131, v66 :: v_dual_fmac_f32 v17, v133, v68
	s_delay_alu instid0(VALU_DEP_4) | instskip(NEXT) | instid1(VALU_DEP_4)
	v_add_f32_e32 v7, v7, v13
	v_add_f32_e32 v11, v11, v43
	v_dual_mul_f32 v19, v134, v71 :: v_dual_mul_f32 v21, v136, v73
	s_delay_alu instid0(VALU_DEP_3) | instskip(NEXT) | instid1(VALU_DEP_3)
	v_dual_fma_f32 v43, v132, v68, -v47 :: v_dual_add_f32 v7, v7, v15
	v_dual_add_f32 v11, v11, v41 :: v_dual_mul_f32 v23, v138, v75
	s_delay_alu instid0(VALU_DEP_3) | instskip(NEXT) | instid1(VALU_DEP_3)
	v_dual_mul_f32 v25, v140, v77 :: v_dual_fmac_f32 v19, v135, v70
	v_dual_fma_f32 v41, v134, v70, -v49 :: v_dual_add_f32 v7, v7, v17
	s_delay_alu instid0(VALU_DEP_3) | instskip(NEXT) | instid1(VALU_DEP_3)
	v_dual_fmac_f32 v21, v137, v72 :: v_dual_add_f32 v11, v11, v43
	v_dual_fmac_f32 v25, v141, v76 :: v_dual_mul_f32 v39, v143, v79
	s_wait_loadcnt_dscnt 0x803
	v_dual_mul_f32 v13, v145, v81 :: v_dual_mul_f32 v15, v147, v83
	s_delay_alu instid0(VALU_DEP_3) | instskip(NEXT) | instid1(VALU_DEP_3)
	v_dual_fma_f32 v43, v136, v72, -v51 :: v_dual_add_f32 v11, v11, v41
	v_fma_f32 v39, v142, v78, -v39
	v_dual_fma_f32 v41, v138, v74, -v53 :: v_dual_add_f32 v7, v7, v19
	v_dual_mul_f32 v27, v142, v79 :: v_dual_mul_f32 v29, v144, v81
	v_fmac_f32_e32 v23, v139, v74
	v_dual_add_f32 v11, v11, v43 :: v_dual_fma_f32 v15, v146, v82, -v15
	s_delay_alu instid0(VALU_DEP_4) | instskip(SKIP_4) | instid1(VALU_DEP_2)
	v_dual_fma_f32 v43, v140, v76, -v55 :: v_dual_add_f32 v7, v7, v21
	v_dual_fma_f32 v13, v144, v80, -v13 :: v_dual_mul_f32 v31, v146, v83
	s_wait_loadcnt_dscnt 0x702
	v_dual_mul_f32 v33, v148, v85 :: v_dual_mul_f32 v17, v149, v85
	v_dual_add_f32 v11, v11, v41 :: v_dual_fmac_f32 v29, v145, v80
	v_dual_add_f32 v7, v7, v23 :: v_dual_fmac_f32 v33, v149, v84
	s_wait_loadcnt_dscnt 0x601
	v_dual_mul_f32 v19, v151, v87 :: v_dual_mul_f32 v21, v153, v89
	v_dual_mul_f32 v35, v150, v87 :: v_dual_mul_f32 v37, v152, v89
	s_delay_alu instid0(VALU_DEP_3) | instskip(SKIP_4) | instid1(VALU_DEP_3)
	v_add_f32_e32 v7, v7, v25
	s_wait_loadcnt 0x5
	v_dual_mul_f32 v25, v109, v93 :: v_dual_mul_f32 v23, v155, v91
	v_add_f32_e32 v11, v11, v43
	v_dual_fmac_f32 v27, v143, v78 :: v_dual_fmac_f32 v37, v153, v88
	v_dual_fma_f32 v172, v108, v92, -v25 :: v_dual_mov_b32 v60, v95
	s_wait_loadcnt 0x4
	v_mov_b32_e32 v64, v99
	v_add_f32_e32 v11, v11, v39
	v_dual_mul_f32 v171, v154, v91 :: v_dual_mul_f32 v173, v108, v93
	v_pk_mul_f32 v[60:61], v[162:163], v[60:61] op_sel_hi:[1,0]
	v_fmac_f32_e32 v35, v151, v86
	s_delay_alu instid0(VALU_DEP_4) | instskip(NEXT) | instid1(VALU_DEP_4)
	v_dual_add_f32 v11, v11, v13 :: v_dual_fma_f32 v13, v148, v84, -v17
	v_fmac_f32_e32 v173, v109, v92
	s_delay_alu instid0(VALU_DEP_4) | instskip(SKIP_1) | instid1(VALU_DEP_4)
	v_pk_fma_f32 v[72:73], v[110:111], v[94:95], v[60:61] op_sel_hi:[1,0,1]
	v_fmac_f32_e32 v31, v147, v82
	v_add_f32_e32 v11, v11, v15
	v_pk_fma_f32 v[60:61], v[110:111], v[94:95], v[60:61] neg_lo:[0,0,1] neg_hi:[0,0,1]
	s_delay_alu instid0(VALU_DEP_4) | instskip(SKIP_1) | instid1(VALU_DEP_4)
	v_dual_fma_f32 v15, v150, v86, -v19 :: v_dual_mov_b32 v61, v73
	v_fmac_f32_e32 v171, v155, v90
	v_dual_add_f32 v11, v11, v13 :: v_dual_fma_f32 v13, v152, v88, -v21
	v_dual_add_f32 v7, v7, v27 :: v_dual_fma_f32 v170, v154, v90, -v23
	v_pk_mul_f32 v[62:63], v[112:113], v[96:97] op_sel:[1,1] op_sel_hi:[0,1]
	s_delay_alu instid0(VALU_DEP_3) | instskip(SKIP_1) | instid1(VALU_DEP_4)
	v_add_f32_e32 v11, v11, v15
	v_pk_mul_f32 v[64:65], v[164:165], v[64:65] op_sel_hi:[1,0]
	v_add_f32_e32 v7, v7, v29
	s_wait_loadcnt 0x3
	v_pk_mul_f32 v[66:67], v[116:117], v[100:101] op_sel:[1,1] op_sel_hi:[0,1]
	v_pk_fma_f32 v[74:75], v[112:113], v[96:97], v[62:63] op_sel_hi:[1,0,1]
	v_add_f32_e32 v68, v11, v13
	v_pk_fma_f32 v[62:63], v[112:113], v[96:97], v[62:63] neg_lo:[0,0,1] neg_hi:[0,0,1]
	v_add_f32_e32 v7, v7, v31
	s_delay_alu instid0(VALU_DEP_4) | instskip(SKIP_2) | instid1(VALU_DEP_4)
	v_dual_mov_b32 v70, v103 :: v_dual_mov_b32 v63, v75
	v_pk_fma_f32 v[74:75], v[114:115], v[98:99], v[64:65] op_sel_hi:[1,0,1]
	v_pk_fma_f32 v[64:65], v[114:115], v[98:99], v[64:65] neg_lo:[0,0,1] neg_hi:[0,0,1]
	v_add_f32_e32 v7, v7, v33
	s_delay_alu instid0(VALU_DEP_4) | instskip(SKIP_4) | instid1(VALU_DEP_1)
	v_pk_mul_f32 v[70:71], v[166:167], v[70:71] op_sel_hi:[1,0]
	s_wait_loadcnt 0x2
	v_pk_mul_f32 v[72:73], v[120:121], v[104:105] op_sel:[1,1] op_sel_hi:[0,1]
	v_mov_b32_e32 v65, v75
	v_add_f32_e32 v7, v7, v35
	v_add_f32_e32 v69, v7, v37
	s_delay_alu instid0(VALU_DEP_1) | instskip(NEXT) | instid1(VALU_DEP_1)
	v_pk_add_f32 v[68:69], v[68:69], v[170:171]
	v_pk_add_f32 v[68:69], v[68:69], v[172:173]
	s_delay_alu instid0(VALU_DEP_1) | instskip(SKIP_2) | instid1(VALU_DEP_3)
	v_pk_add_f32 v[60:61], v[68:69], v[60:61]
	v_pk_fma_f32 v[68:69], v[116:117], v[100:101], v[66:67] op_sel_hi:[1,0,1]
	v_pk_fma_f32 v[66:67], v[116:117], v[100:101], v[66:67] neg_lo:[0,0,1] neg_hi:[0,0,1]
	v_pk_add_f32 v[60:61], v[60:61], v[62:63]
	s_delay_alu instid0(VALU_DEP_3) | instskip(SKIP_2) | instid1(VALU_DEP_4)
	v_dual_mov_b32 v62, v107 :: v_dual_mov_b32 v67, v69
	v_pk_fma_f32 v[68:69], v[118:119], v[102:103], v[70:71] op_sel_hi:[1,0,1]
	v_pk_fma_f32 v[70:71], v[118:119], v[102:103], v[70:71] neg_lo:[0,0,1] neg_hi:[0,0,1]
	v_pk_add_f32 v[60:61], v[60:61], v[64:65]
	v_pk_fma_f32 v[64:65], v[120:121], v[104:105], v[72:73] op_sel_hi:[1,0,1]
	v_pk_mul_f32 v[62:63], v[168:169], v[62:63] op_sel_hi:[1,0]
	v_mov_b32_e32 v71, v69
	s_wait_loadcnt_dscnt 0x100
	v_pk_mul_f32 v[68:69], v[160:161], v[156:157] op_sel:[1,1] op_sel_hi:[0,1]
	v_pk_add_f32 v[60:61], v[60:61], v[66:67]
	v_pk_fma_f32 v[66:67], v[120:121], v[104:105], v[72:73] neg_lo:[0,0,1] neg_hi:[0,0,1]
	v_mov_b32_e32 v67, v65
	v_pk_fma_f32 v[64:65], v[122:123], v[106:107], v[62:63] op_sel_hi:[1,0,1]
	v_pk_fma_f32 v[62:63], v[122:123], v[106:107], v[62:63] neg_lo:[0,0,1] neg_hi:[0,0,1]
	v_pk_add_f32 v[60:61], v[60:61], v[70:71]
	s_delay_alu instid0(VALU_DEP_3) | instskip(SKIP_1) | instid1(VALU_DEP_3)
	v_mov_b32_e32 v63, v65
	v_pk_fma_f32 v[64:65], v[160:161], v[156:157], v[68:69] op_sel_hi:[1,0,1]
	v_pk_add_f32 v[60:61], v[60:61], v[66:67]
	v_pk_fma_f32 v[66:67], v[160:161], v[156:157], v[68:69] neg_lo:[0,0,1] neg_hi:[0,0,1]
	s_delay_alu instid0(VALU_DEP_3) | instskip(NEXT) | instid1(VALU_DEP_3)
	v_mov_b32_e32 v67, v65
	v_pk_add_f32 v[60:61], v[60:61], v[62:63]
	s_delay_alu instid0(VALU_DEP_1) | instskip(SKIP_1) | instid1(VALU_DEP_1)
	v_pk_add_f32 v[60:61], v[60:61], v[66:67]
	s_wait_loadcnt 0x0
	v_pk_add_f32 v[60:61], v[158:159], v[60:61] neg_lo:[0,1] neg_hi:[0,1]
	scratch_store_b64 off, v[60:61], off offset:24
	s_wait_xcnt 0x0
	v_cmpx_lt_u32_e32 2, v0
	s_cbranch_execz .LBB28_183
; %bb.182:
	scratch_load_b64 v[60:61], off, off offset:16
	v_mov_b64_e32 v[62:63], 0
	scratch_store_b64 off, v[62:63], off offset:16
	s_wait_loadcnt 0x0
	ds_store_b64 v1, v[60:61]
.LBB28_183:
	s_wait_xcnt 0x0
	s_or_b32 exec_lo, exec_lo, s0
	s_wait_storecnt_dscnt 0x0
	s_barrier_signal -1
	s_barrier_wait -1
	s_clause 0xd
	scratch_load_b128 v[60:63], off, off offset:24
	scratch_load_b128 v[64:67], off, off offset:40
	;; [unrolled: 1-line block ×13, first 2 shown]
	scratch_load_b64 v[164:165], off, off offset:16
	ds_load_2addr_b64 v[112:115], v5 offset0:51 offset1:52
	ds_load_2addr_b64 v[116:119], v5 offset0:53 offset1:54
	;; [unrolled: 1-line block ×13, first 2 shown]
	s_mov_b32 s0, exec_lo
	s_wait_dscnt 0xc
	v_dual_mov_b32 v166, v115 :: v_dual_mov_b32 v167, v114
	s_wait_dscnt 0xb
	v_dual_mov_b32 v168, v119 :: v_dual_mov_b32 v169, v118
	;; [unrolled: 2-line block ×4, first 2 shown]
	s_wait_loadcnt_dscnt 0xd08
	v_dual_mul_f32 v5, v128, v61 :: v_dual_mul_f32 v7, v130, v63
	v_dual_mul_f32 v39, v129, v61 :: v_dual_mul_f32 v41, v131, v63
	s_wait_loadcnt_dscnt 0xc07
	v_dual_mul_f32 v11, v132, v65 :: v_dual_mul_f32 v13, v134, v67
	s_delay_alu instid0(VALU_DEP_2) | instskip(SKIP_3) | instid1(VALU_DEP_3)
	v_dual_fmac_f32 v5, v129, v60 :: v_dual_fma_f32 v39, v128, v60, -v39
	v_dual_mul_f32 v43, v133, v65 :: v_dual_mul_f32 v45, v135, v67
	s_wait_loadcnt_dscnt 0xa05
	v_dual_mul_f32 v51, v141, v73 :: v_dual_fmac_f32 v7, v131, v62
	v_dual_fma_f32 v41, v130, v62, -v41 :: v_dual_add_f32 v5, 0, v5
	v_dual_add_f32 v39, 0, v39 :: v_dual_fmac_f32 v11, v133, v64
	v_dual_mul_f32 v53, v143, v75 :: v_dual_fma_f32 v43, v132, v64, -v43
	s_delay_alu instid0(VALU_DEP_2)
	v_dual_add_f32 v5, v5, v7 :: v_dual_add_f32 v7, v39, v41
	v_dual_mul_f32 v15, v136, v69 :: v_dual_mul_f32 v17, v138, v71
	v_dual_mul_f32 v47, v137, v69 :: v_dual_mul_f32 v49, v139, v71
	s_wait_loadcnt_dscnt 0x903
	v_dual_mul_f32 v39, v149, v77 :: v_dual_fmac_f32 v13, v135, v66
	v_dual_fma_f32 v41, v134, v66, -v45 :: v_dual_add_f32 v5, v5, v11
	v_dual_add_f32 v7, v7, v43 :: v_dual_fmac_f32 v15, v137, v68
	v_dual_mul_f32 v11, v151, v79 :: v_dual_fma_f32 v43, v136, v68, -v47
	s_delay_alu instid0(VALU_DEP_3) | instskip(NEXT) | instid1(VALU_DEP_3)
	v_dual_add_f32 v5, v5, v13 :: v_dual_fmac_f32 v17, v139, v70
	v_dual_add_f32 v7, v7, v41 :: v_dual_fma_f32 v41, v138, v70, -v49
	v_dual_mul_f32 v19, v140, v73 :: v_dual_mul_f32 v21, v142, v75
	s_wait_loadcnt_dscnt 0x802
	s_delay_alu instid0(VALU_DEP_2) | instskip(SKIP_1) | instid1(VALU_DEP_3)
	v_dual_mul_f32 v13, v153, v81 :: v_dual_add_f32 v7, v7, v43
	v_dual_add_f32 v5, v5, v15 :: v_dual_fma_f32 v43, v140, v72, -v51
	v_dual_mul_f32 v15, v155, v83 :: v_dual_fmac_f32 v19, v141, v72
	s_delay_alu instid0(VALU_DEP_3) | instskip(NEXT) | instid1(VALU_DEP_3)
	v_dual_add_f32 v7, v7, v41 :: v_dual_fma_f32 v41, v142, v74, -v53
	v_dual_add_f32 v5, v5, v17 :: v_dual_fmac_f32 v21, v143, v74
	v_dual_mul_f32 v23, v148, v77 :: v_dual_mul_f32 v25, v150, v79
	s_wait_loadcnt_dscnt 0x701
	s_delay_alu instid0(VALU_DEP_3) | instskip(NEXT) | instid1(VALU_DEP_3)
	v_dual_mul_f32 v17, v157, v85 :: v_dual_add_f32 v7, v7, v43
	v_dual_add_f32 v5, v5, v19 :: v_dual_fma_f32 v39, v148, v76, -v39
	s_delay_alu instid0(VALU_DEP_3) | instskip(NEXT) | instid1(VALU_DEP_3)
	v_dual_mul_f32 v19, v159, v87 :: v_dual_fmac_f32 v23, v149, v76
	v_dual_add_f32 v7, v7, v41 :: v_dual_fma_f32 v11, v150, v78, -v11
	s_delay_alu instid0(VALU_DEP_3) | instskip(SKIP_2) | instid1(VALU_DEP_3)
	v_dual_add_f32 v5, v5, v21 :: v_dual_fmac_f32 v25, v151, v78
	v_dual_mul_f32 v27, v152, v81 :: v_dual_mul_f32 v29, v154, v83
	s_wait_loadcnt_dscnt 0x600
	v_dual_mul_f32 v21, v161, v89 :: v_dual_add_f32 v7, v7, v39
	s_delay_alu instid0(VALU_DEP_3) | instskip(NEXT) | instid1(VALU_DEP_3)
	v_dual_add_f32 v5, v5, v23 :: v_dual_fma_f32 v13, v152, v80, -v13
	v_dual_mul_f32 v23, v163, v91 :: v_dual_fmac_f32 v27, v153, v80
	s_delay_alu instid0(VALU_DEP_2) | instskip(SKIP_3) | instid1(VALU_DEP_3)
	v_dual_add_f32 v7, v7, v11 :: v_dual_add_f32 v5, v5, v25
	v_dual_mul_f32 v31, v156, v85 :: v_dual_mul_f32 v33, v158, v87
	s_wait_loadcnt 0x5
	v_dual_mul_f32 v11, v145, v93 :: v_dual_fmac_f32 v29, v155, v82
	v_dual_fma_f32 v15, v154, v82, -v15 :: v_dual_add_f32 v5, v5, v27
	s_delay_alu instid0(VALU_DEP_3) | instskip(SKIP_1) | instid1(VALU_DEP_2)
	v_dual_add_f32 v7, v7, v13 :: v_dual_fmac_f32 v31, v157, v84
	v_dual_mul_f32 v13, v147, v95 :: v_dual_fma_f32 v17, v156, v84, -v17
	v_dual_add_f32 v5, v5, v29 :: v_dual_add_f32 v7, v7, v15
	v_dual_mul_f32 v35, v160, v89 :: v_dual_mul_f32 v37, v162, v91
	v_dual_fmac_f32 v33, v159, v86 :: v_dual_fma_f32 v15, v158, v86, -v19
	s_delay_alu instid0(VALU_DEP_3) | instskip(SKIP_1) | instid1(VALU_DEP_3)
	v_dual_add_f32 v5, v5, v31 :: v_dual_add_f32 v7, v7, v17
	s_wait_loadcnt 0x4
	v_dual_mov_b32 v62, v99 :: v_dual_fmac_f32 v35, v161, v88
	s_delay_alu instid0(VALU_DEP_2) | instskip(NEXT) | instid1(VALU_DEP_3)
	v_dual_fma_f32 v17, v160, v88, -v21 :: v_dual_add_f32 v5, v5, v33
	v_dual_add_f32 v7, v7, v15 :: v_dual_fma_f32 v15, v162, v90, -v23
	v_dual_mul_f32 v175, v144, v93 :: v_dual_mul_f32 v177, v146, v95
	s_delay_alu instid0(VALU_DEP_3) | instskip(NEXT) | instid1(VALU_DEP_2)
	v_dual_fmac_f32 v37, v163, v90 :: v_dual_add_f32 v5, v5, v35
	v_dual_add_f32 v7, v7, v17 :: v_dual_fmac_f32 v175, v145, v92
	v_pk_mul_f32 v[60:61], v[112:113], v[96:97] op_sel:[1,1] op_sel_hi:[0,1]
	s_wait_loadcnt 0x3
	v_dual_mov_b32 v66, v103 :: v_dual_fma_f32 v174, v144, v92, -v11
	s_delay_alu instid0(VALU_DEP_3)
	v_dual_add_f32 v69, v5, v37 :: v_dual_add_f32 v68, v7, v15
	v_fmac_f32_e32 v177, v147, v94
	v_pk_fma_f32 v[70:71], v[112:113], v[96:97], v[60:61] op_sel_hi:[1,0,1]
	v_fma_f32 v176, v146, v94, -v13
	v_pk_mul_f32 v[62:63], v[166:167], v[62:63] op_sel_hi:[1,0]
	v_pk_add_f32 v[68:69], v[68:69], v[174:175]
	v_pk_fma_f32 v[60:61], v[112:113], v[96:97], v[60:61] neg_lo:[0,0,1] neg_hi:[0,0,1]
	v_pk_mul_f32 v[64:65], v[116:117], v[100:101] op_sel:[1,1] op_sel_hi:[0,1]
	v_mov_b32_e32 v61, v71
	v_pk_fma_f32 v[70:71], v[114:115], v[98:99], v[62:63] op_sel_hi:[1,0,1]
	v_pk_add_f32 v[68:69], v[68:69], v[176:177]
	v_pk_fma_f32 v[62:63], v[114:115], v[98:99], v[62:63] neg_lo:[0,0,1] neg_hi:[0,0,1]
	v_pk_fma_f32 v[74:75], v[116:117], v[100:101], v[64:65] op_sel_hi:[1,0,1]
	v_pk_mul_f32 v[66:67], v[168:169], v[66:67] op_sel_hi:[1,0]
	v_mov_b32_e32 v63, v71
	v_pk_add_f32 v[60:61], v[68:69], v[60:61]
	s_wait_loadcnt 0x2
	v_pk_mul_f32 v[72:73], v[120:121], v[104:105] op_sel:[1,1] op_sel_hi:[0,1]
	v_mov_b32_e32 v68, v107
	v_pk_fma_f32 v[64:65], v[116:117], v[100:101], v[64:65] neg_lo:[0,0,1] neg_hi:[0,0,1]
	v_pk_fma_f32 v[70:71], v[118:119], v[102:103], v[66:67] op_sel_hi:[1,0,1]
	v_mov_b32_e32 v65, v75
	v_pk_add_f32 v[60:61], v[60:61], v[62:63]
	v_pk_fma_f32 v[62:63], v[120:121], v[104:105], v[72:73] op_sel_hi:[1,0,1]
	v_pk_mul_f32 v[68:69], v[170:171], v[68:69] op_sel_hi:[1,0]
	v_pk_fma_f32 v[66:67], v[118:119], v[102:103], v[66:67] neg_lo:[0,0,1] neg_hi:[0,0,1]
	v_mov_b32_e32 v67, v71
	v_pk_add_f32 v[60:61], v[60:61], v[64:65]
	v_pk_fma_f32 v[70:71], v[120:121], v[104:105], v[72:73] neg_lo:[0,0,1] neg_hi:[0,0,1]
	v_mov_b32_e32 v71, v63
	v_pk_fma_f32 v[62:63], v[122:123], v[106:107], v[68:69] op_sel_hi:[1,0,1]
	s_wait_loadcnt 0x1
	v_pk_mul_f32 v[64:65], v[124:125], v[108:109] op_sel:[1,1] op_sel_hi:[0,1]
	v_pk_add_f32 v[60:61], v[60:61], v[66:67]
	v_mov_b32_e32 v62, v111
	v_pk_fma_f32 v[68:69], v[122:123], v[106:107], v[68:69] neg_lo:[0,0,1] neg_hi:[0,0,1]
	s_delay_alu instid0(VALU_DEP_4)
	v_pk_fma_f32 v[66:67], v[124:125], v[108:109], v[64:65] op_sel_hi:[1,0,1]
	v_mov_b32_e32 v69, v63
	v_pk_add_f32 v[60:61], v[60:61], v[70:71]
	v_pk_mul_f32 v[62:63], v[172:173], v[62:63] op_sel_hi:[1,0]
	v_pk_fma_f32 v[64:65], v[124:125], v[108:109], v[64:65] neg_lo:[0,0,1] neg_hi:[0,0,1]
	v_mov_b32_e32 v65, v67
	s_delay_alu instid0(VALU_DEP_4) | instskip(NEXT) | instid1(VALU_DEP_4)
	v_pk_add_f32 v[60:61], v[60:61], v[68:69]
	v_pk_fma_f32 v[66:67], v[126:127], v[110:111], v[62:63] op_sel_hi:[1,0,1]
	v_pk_fma_f32 v[62:63], v[126:127], v[110:111], v[62:63] neg_lo:[0,0,1] neg_hi:[0,0,1]
	s_delay_alu instid0(VALU_DEP_3) | instskip(NEXT) | instid1(VALU_DEP_3)
	v_pk_add_f32 v[60:61], v[60:61], v[64:65]
	v_mov_b32_e32 v63, v67
	s_delay_alu instid0(VALU_DEP_1) | instskip(SKIP_1) | instid1(VALU_DEP_1)
	v_pk_add_f32 v[60:61], v[60:61], v[62:63]
	s_wait_loadcnt 0x0
	v_pk_add_f32 v[60:61], v[164:165], v[60:61] neg_lo:[0,1] neg_hi:[0,1]
	scratch_store_b64 off, v[60:61], off offset:16
	s_wait_xcnt 0x0
	v_cmpx_lt_u32_e32 1, v0
	s_cbranch_execz .LBB28_185
; %bb.184:
	scratch_load_b64 v[60:61], off, off offset:8
	v_mov_b64_e32 v[62:63], 0
	scratch_store_b64 off, v[62:63], off offset:8
	s_wait_loadcnt 0x0
	ds_store_b64 v1, v[60:61]
.LBB28_185:
	s_wait_xcnt 0x0
	s_or_b32 exec_lo, exec_lo, s0
	s_wait_storecnt_dscnt 0x0
	s_barrier_signal -1
	s_barrier_wait -1
	s_clause 0xe
	scratch_load_b128 v[62:65], off, off offset:16
	scratch_load_b128 v[66:69], off, off offset:32
	;; [unrolled: 1-line block ×13, first 2 shown]
	scratch_load_b64 v[166:167], off, off offset:224
	scratch_load_b64 v[168:169], off, off offset:8
	v_dual_mov_b32 v60, 0 :: v_dual_ashrrev_i32 v15, 31, v14
	ds_load_b128 v[114:117], v60 offset:384
	ds_load_b128 v[118:121], v60 offset:400
	;; [unrolled: 1-line block ×13, first 2 shown]
	ds_load_b64 v[170:171], v60 offset:464
	v_dual_ashrrev_i32 v5, 31, v4 :: v_dual_ashrrev_i32 v7, 31, v6
	v_dual_ashrrev_i32 v11, 31, v10 :: v_dual_ashrrev_i32 v13, 31, v12
	;; [unrolled: 1-line block ×6, first 2 shown]
	s_wait_dscnt 0xc
	v_dual_mov_b32 v172, v121 :: v_dual_mov_b32 v173, v120
	v_dual_ashrrev_i32 v33, 31, v32 :: v_dual_ashrrev_i32 v35, 31, v34
	s_wait_dscnt 0x9
	v_dual_mov_b32 v174, v125 :: v_dual_mov_b32 v175, v124
	s_wait_dscnt 0x7
	v_dual_mov_b32 v176, v129 :: v_dual_mov_b32 v177, v128
	;; [unrolled: 2-line block ×3, first 2 shown]
	s_mov_b32 s0, exec_lo
	s_wait_loadcnt 0xe
	v_dual_mul_f32 v37, v134, v63 :: v_dual_mul_f32 v39, v136, v65
	v_mul_f32_e32 v59, v135, v63
	s_wait_loadcnt 0xc
	v_dual_mul_f32 v45, v142, v71 :: v_dual_mul_f32 v47, v144, v73
	s_wait_loadcnt_dscnt 0x903
	v_dual_mul_f32 v57, v154, v83 :: v_dual_mul_f32 v61, v137, v65
	v_dual_mul_f32 v180, v156, v85 :: v_dual_mul_f32 v71, v143, v71
	v_dual_fma_f32 v59, v134, v62, -v59 :: v_dual_fmac_f32 v37, v135, v62
	v_dual_fmac_f32 v39, v137, v64 :: v_dual_mul_f32 v41, v138, v67
	v_dual_mul_f32 v43, v140, v69 :: v_dual_mul_f32 v67, v139, v67
	v_dual_mul_f32 v69, v141, v69 :: v_dual_fma_f32 v61, v136, v64, -v61
	s_delay_alu instid0(VALU_DEP_4) | instskip(NEXT) | instid1(VALU_DEP_4)
	v_dual_add_f32 v37, 0, v37 :: v_dual_add_f32 v59, 0, v59
	v_fmac_f32_e32 v41, v139, v66
	s_delay_alu instid0(VALU_DEP_4) | instskip(NEXT) | instid1(VALU_DEP_3)
	v_dual_mul_f32 v64, v151, v79 :: v_dual_fma_f32 v66, v138, v66, -v67
	v_dual_add_f32 v37, v37, v39 :: v_dual_add_f32 v39, v59, v61
	v_dual_mul_f32 v59, v153, v81 :: v_dual_fma_f32 v61, v140, v68, -v69
	v_fmac_f32_e32 v43, v141, v68
	s_delay_alu instid0(VALU_DEP_3) | instskip(SKIP_3) | instid1(VALU_DEP_3)
	v_dual_add_f32 v37, v37, v41 :: v_dual_mul_f32 v41, v155, v83
	s_wait_loadcnt 0x5
	v_dual_add_f32 v39, v39, v66 :: v_dual_mul_f32 v65, v118, v99
	v_dual_mul_f32 v73, v145, v73 :: v_dual_fmac_f32 v45, v143, v70
	v_dual_fma_f32 v66, v142, v70, -v71 :: v_dual_add_f32 v37, v37, v43
	s_delay_alu instid0(VALU_DEP_3) | instskip(SKIP_3) | instid1(VALU_DEP_4)
	v_dual_add_f32 v39, v39, v61 :: v_dual_mul_f32 v49, v146, v75
	v_dual_mul_f32 v51, v148, v77 :: v_dual_mul_f32 v75, v147, v75
	v_mul_f32_e32 v62, v149, v77
	v_dual_mul_f32 v43, v157, v85 :: v_dual_fma_f32 v61, v144, v72, -v73
	v_dual_fmac_f32 v47, v145, v72 :: v_dual_add_f32 v39, v39, v66
	s_wait_dscnt 0x2
	v_dual_add_f32 v37, v37, v45 :: v_dual_mul_f32 v45, v159, v87
	v_dual_fmac_f32 v49, v147, v74 :: v_dual_fma_f32 v66, v146, v74, -v75
	s_delay_alu instid0(VALU_DEP_2) | instskip(SKIP_2) | instid1(VALU_DEP_3)
	v_dual_add_f32 v39, v39, v61 :: v_dual_add_f32 v37, v37, v47
	v_dual_mul_f32 v53, v150, v79 :: v_dual_mul_f32 v55, v152, v81
	v_dual_mul_f32 v47, v161, v89 :: v_dual_fma_f32 v61, v148, v76, -v62
	v_dual_fmac_f32 v51, v149, v76 :: v_dual_add_f32 v39, v39, v66
	s_wait_dscnt 0x1
	v_dual_add_f32 v37, v37, v49 :: v_dual_mul_f32 v49, v163, v91
	v_dual_fmac_f32 v53, v151, v78 :: v_dual_fma_f32 v62, v150, v78, -v64
	s_delay_alu instid0(VALU_DEP_2) | instskip(SKIP_1) | instid1(VALU_DEP_2)
	v_dual_add_f32 v39, v39, v61 :: v_dual_add_f32 v37, v37, v51
	v_dual_mul_f32 v51, v165, v93 :: v_dual_fma_f32 v59, v152, v80, -v59
	v_dual_fmac_f32 v55, v153, v80 :: v_dual_add_f32 v39, v39, v62
	s_delay_alu instid0(VALU_DEP_3) | instskip(SKIP_1) | instid1(VALU_DEP_3)
	v_dual_add_f32 v37, v37, v53 :: v_dual_mul_f32 v53, v115, v95
	v_fmac_f32_e32 v57, v155, v82
	v_dual_fma_f32 v41, v154, v82, -v41 :: v_dual_add_f32 v39, v39, v59
	s_delay_alu instid0(VALU_DEP_3) | instskip(SKIP_2) | instid1(VALU_DEP_4)
	v_add_f32_e32 v37, v37, v55
	v_dual_mul_f32 v181, v158, v87 :: v_dual_mul_f32 v182, v160, v89
	v_dual_mul_f32 v55, v117, v97 :: v_dual_fma_f32 v43, v156, v84, -v43
	v_dual_fmac_f32 v180, v157, v84 :: v_dual_add_f32 v39, v39, v41
	s_delay_alu instid0(VALU_DEP_4) | instskip(NEXT) | instid1(VALU_DEP_4)
	v_dual_add_f32 v37, v37, v57 :: v_dual_mul_f32 v41, v119, v99
	v_fmac_f32_e32 v181, v159, v86
	s_delay_alu instid0(VALU_DEP_3) | instskip(NEXT) | instid1(VALU_DEP_3)
	v_dual_fma_f32 v45, v158, v86, -v45 :: v_dual_add_f32 v39, v39, v43
	v_dual_add_f32 v37, v37, v180 :: v_dual_mul_f32 v183, v162, v91
	v_dual_mul_f32 v184, v164, v93 :: v_dual_mov_b32 v64, v101
	v_dual_fma_f32 v43, v160, v88, -v47 :: v_dual_fmac_f32 v182, v161, v88
	s_delay_alu instid0(VALU_DEP_4) | instskip(NEXT) | instid1(VALU_DEP_4)
	v_add_f32_e32 v39, v39, v45
	v_dual_add_f32 v37, v37, v181 :: v_dual_fmac_f32 v183, v163, v90
	v_fma_f32 v45, v162, v90, -v49
	v_dual_mul_f32 v185, v114, v95 :: v_dual_mul_f32 v63, v116, v97
	s_delay_alu instid0(VALU_DEP_3) | instskip(SKIP_2) | instid1(VALU_DEP_3)
	v_dual_add_f32 v37, v37, v182 :: v_dual_add_f32 v39, v39, v43
	s_wait_loadcnt 0x4
	v_mov_b32_e32 v68, v105
	v_dual_fmac_f32 v184, v165, v92 :: v_dual_fmac_f32 v185, v115, v94
	s_delay_alu instid0(VALU_DEP_3) | instskip(SKIP_3) | instid1(VALU_DEP_3)
	v_dual_fma_f32 v43, v164, v92, -v51 :: v_dual_add_f32 v37, v37, v183
	v_dual_add_f32 v39, v39, v45 :: v_dual_fma_f32 v45, v114, v94, -v53
	v_pk_mul_f32 v[72:73], v[172:173], v[64:65] op_sel_hi:[1,0]
	v_pk_mul_f32 v[66:67], v[122:123], v[102:103] op_sel:[1,1] op_sel_hi:[0,1]
	v_dual_add_f32 v37, v37, v184 :: v_dual_add_f32 v39, v39, v43
	v_fmac_f32_e32 v63, v117, v96
	s_wait_loadcnt 0x3
	v_dual_fma_f32 v62, v116, v96, -v55 :: v_dual_mov_b32 v76, v109
	s_delay_alu instid0(VALU_DEP_3)
	v_dual_fmac_f32 v65, v119, v98 :: v_dual_add_f32 v75, v37, v185
	v_add_f32_e32 v74, v39, v45
	v_pk_fma_f32 v[78:79], v[120:121], v[100:101], v[72:73] op_sel_hi:[1,0,1]
	v_fma_f32 v64, v118, v98, -v41
	v_pk_fma_f32 v[72:73], v[120:121], v[100:101], v[72:73] neg_lo:[0,0,1] neg_hi:[0,0,1]
	v_pk_mul_f32 v[68:69], v[174:175], v[68:69] op_sel_hi:[1,0]
	v_pk_add_f32 v[62:63], v[74:75], v[62:63]
	v_pk_fma_f32 v[74:75], v[122:123], v[102:103], v[66:67] op_sel_hi:[1,0,1]
	v_mov_b32_e32 v73, v79
	v_pk_fma_f32 v[66:67], v[122:123], v[102:103], v[66:67] neg_lo:[0,0,1] neg_hi:[0,0,1]
	v_pk_mul_f32 v[70:71], v[126:127], v[106:107] op_sel:[1,1] op_sel_hi:[0,1]
	v_pk_add_f32 v[62:63], v[62:63], v[64:65]
	v_mov_b32_e32 v67, v75
	v_pk_fma_f32 v[74:75], v[124:125], v[104:105], v[68:69] op_sel_hi:[1,0,1]
	v_pk_fma_f32 v[68:69], v[124:125], v[104:105], v[68:69] neg_lo:[0,0,1] neg_hi:[0,0,1]
	v_pk_mul_f32 v[76:77], v[176:177], v[76:77] op_sel_hi:[1,0]
	v_pk_add_f32 v[62:63], v[62:63], v[72:73]
	v_pk_fma_f32 v[72:73], v[126:127], v[106:107], v[70:71] op_sel_hi:[1,0,1]
	v_mov_b32_e32 v69, v75
	v_pk_fma_f32 v[70:71], v[126:127], v[106:107], v[70:71] neg_lo:[0,0,1] neg_hi:[0,0,1]
	s_wait_loadcnt 0x2
	v_pk_mul_f32 v[64:65], v[130:131], v[110:111] op_sel:[1,1] op_sel_hi:[0,1]
	v_pk_add_f32 v[62:63], v[62:63], v[66:67]
	v_dual_mov_b32 v66, v113 :: v_dual_mov_b32 v71, v73
	v_pk_fma_f32 v[72:73], v[128:129], v[108:109], v[76:77] op_sel_hi:[1,0,1]
	v_pk_fma_f32 v[74:75], v[128:129], v[108:109], v[76:77] neg_lo:[0,0,1] neg_hi:[0,0,1]
	s_delay_alu instid0(VALU_DEP_4) | instskip(SKIP_3) | instid1(VALU_DEP_4)
	v_pk_add_f32 v[62:63], v[62:63], v[68:69]
	v_pk_fma_f32 v[68:69], v[130:131], v[110:111], v[64:65] op_sel_hi:[1,0,1]
	v_pk_mul_f32 v[66:67], v[178:179], v[66:67] op_sel_hi:[1,0]
	v_dual_mov_b32 v75, v73 :: v_dual_ashrrev_i32 v37, 31, v36
	v_pk_add_f32 v[62:63], v[62:63], v[70:71]
	v_pk_fma_f32 v[64:65], v[130:131], v[110:111], v[64:65] neg_lo:[0,0,1] neg_hi:[0,0,1]
	v_dual_mov_b32 v65, v69 :: v_dual_ashrrev_i32 v39, 31, v38
	v_pk_fma_f32 v[68:69], v[132:133], v[112:113], v[66:67] op_sel_hi:[1,0,1]
	s_delay_alu instid0(VALU_DEP_4)
	v_pk_add_f32 v[62:63], v[62:63], v[74:75]
	s_wait_loadcnt_dscnt 0x100
	v_pk_mul_f32 v[70:71], v[170:171], v[166:167] op_sel:[1,1] op_sel_hi:[0,1]
	v_pk_fma_f32 v[66:67], v[132:133], v[112:113], v[66:67] neg_lo:[0,0,1] neg_hi:[0,0,1]
	v_dual_ashrrev_i32 v41, 31, v40 :: v_dual_mov_b32 v67, v69
	v_pk_add_f32 v[62:63], v[62:63], v[64:65]
	s_delay_alu instid0(VALU_DEP_4)
	v_pk_fma_f32 v[64:65], v[170:171], v[166:167], v[70:71] op_sel_hi:[1,0,1]
	v_pk_fma_f32 v[68:69], v[170:171], v[166:167], v[70:71] neg_lo:[0,0,1] neg_hi:[0,0,1]
	v_dual_ashrrev_i32 v43, 31, v42 :: v_dual_ashrrev_i32 v45, 31, v44
	v_ashrrev_i32_e32 v47, 31, v46
	v_pk_add_f32 v[62:63], v[62:63], v[66:67]
	v_dual_mov_b32 v69, v65 :: v_dual_ashrrev_i32 v49, 31, v48
	v_dual_ashrrev_i32 v51, 31, v50 :: v_dual_ashrrev_i32 v53, 31, v52
	v_ashrrev_i32_e32 v55, 31, v54
	s_delay_alu instid0(VALU_DEP_3) | instskip(SKIP_2) | instid1(VALU_DEP_2)
	v_pk_add_f32 v[62:63], v[62:63], v[68:69]
	v_dual_ashrrev_i32 v57, 31, v56 :: v_dual_ashrrev_i32 v59, 31, v58
	s_wait_loadcnt 0x0
	v_pk_add_f32 v[62:63], v[168:169], v[62:63] neg_lo:[0,1] neg_hi:[0,1]
	scratch_store_b64 off, v[62:63], off offset:8
	s_wait_xcnt 0x0
	v_cmpx_ne_u32_e32 0, v0
	s_cbranch_execz .LBB28_187
; %bb.186:
	scratch_load_b64 v[62:63], off, off
	v_mov_b64_e32 v[64:65], 0
	scratch_store_b64 off, v[64:65], off
	s_wait_loadcnt 0x0
	ds_store_b64 v1, v[62:63]
.LBB28_187:
	s_wait_xcnt 0x0
	s_or_b32 exec_lo, exec_lo, s0
	s_wait_storecnt_dscnt 0x0
	s_barrier_signal -1
	s_barrier_wait -1
	s_clause 0xe
	scratch_load_b128 v[62:65], off, off offset:8
	scratch_load_b128 v[66:69], off, off offset:24
	scratch_load_b128 v[70:73], off, off offset:40
	scratch_load_b128 v[74:77], off, off offset:56
	scratch_load_b128 v[78:81], off, off offset:72
	scratch_load_b128 v[82:85], off, off offset:88
	scratch_load_b128 v[86:89], off, off offset:104
	scratch_load_b128 v[90:93], off, off offset:120
	scratch_load_b128 v[94:97], off, off offset:136
	scratch_load_b128 v[98:101], off, off offset:152
	scratch_load_b128 v[102:105], off, off offset:168
	scratch_load_b128 v[106:109], off, off offset:184
	scratch_load_b128 v[110:113], off, off offset:200
	scratch_load_b128 v[114:117], off, off offset:216
	scratch_load_b64 v[0:1], off, off
	ds_load_2addr_b64 v[118:121], v60 offset0:51 offset1:52
	ds_load_2addr_b64 v[122:125], v60 offset0:53 offset1:54
	;; [unrolled: 1-line block ×14, first 2 shown]
	s_and_b32 vcc_lo, exec_lo, s18
	s_wait_dscnt 0xd
	v_dual_mov_b32 v60, v121 :: v_dual_mov_b32 v61, v120
	s_wait_dscnt 0xc
	v_dual_mov_b32 v174, v125 :: v_dual_mov_b32 v175, v124
	;; [unrolled: 2-line block ×4, first 2 shown]
	s_wait_loadcnt_dscnt 0xe09
	v_dual_mul_f32 v180, v134, v63 :: v_dual_mul_f32 v182, v136, v65
	v_dual_mul_f32 v63, v135, v63 :: v_dual_mul_f32 v65, v137, v65
	s_wait_loadcnt_dscnt 0xb06
	v_dual_mul_f32 v188, v146, v75 :: v_dual_mul_f32 v189, v148, v77
	v_mul_f32_e32 v75, v147, v75
	s_delay_alu instid0(VALU_DEP_3)
	v_dual_fmac_f32 v180, v135, v62 :: v_dual_fma_f32 v62, v134, v62, -v63
	v_dual_mul_f32 v184, v138, v67 :: v_dual_mul_f32 v185, v140, v69
	v_dual_mul_f32 v67, v139, v67 :: v_dual_mul_f32 v69, v141, v69
	v_mul_f32_e32 v63, v149, v77
	v_dual_fmac_f32 v182, v137, v64 :: v_dual_fma_f32 v64, v136, v64, -v65
	v_dual_add_f32 v65, 0, v180 :: v_dual_add_f32 v62, 0, v62
	s_wait_loadcnt_dscnt 0xa05
	v_mul_f32_e32 v77, v151, v79
	v_dual_fmac_f32 v184, v139, v66 :: v_dual_fma_f32 v66, v138, v66, -v67
	s_delay_alu instid0(VALU_DEP_3) | instskip(SKIP_3) | instid1(VALU_DEP_3)
	v_dual_add_f32 v65, v65, v182 :: v_dual_fma_f32 v67, v140, v68, -v69
	v_add_f32_e32 v62, v62, v64
	v_dual_mul_f32 v186, v142, v71 :: v_dual_mul_f32 v187, v144, v73
	v_dual_mul_f32 v71, v143, v71 :: v_dual_mul_f32 v73, v145, v73
	v_dual_mul_f32 v64, v153, v81 :: v_dual_add_f32 v62, v62, v66
	s_wait_loadcnt_dscnt 0x904
	v_dual_fmac_f32 v185, v141, v68 :: v_dual_mul_f32 v66, v155, v83
	v_dual_add_f32 v65, v65, v184 :: v_dual_fmac_f32 v186, v143, v70
	v_fma_f32 v68, v142, v70, -v71
	v_dual_add_f32 v62, v62, v67 :: v_dual_mul_f32 v67, v157, v85
	s_delay_alu instid0(VALU_DEP_3) | instskip(SKIP_2) | instid1(VALU_DEP_3)
	v_add_f32_e32 v65, v65, v185
	v_dual_fmac_f32 v187, v145, v72 :: v_dual_fma_f32 v69, v144, v72, -v73
	s_wait_loadcnt_dscnt 0x803
	v_dual_add_f32 v62, v62, v68 :: v_dual_mul_f32 v68, v159, v87
	v_fma_f32 v70, v146, v74, -v75
	v_add_f32_e32 v65, v65, v186
	s_delay_alu instid0(VALU_DEP_3) | instskip(SKIP_1) | instid1(VALU_DEP_3)
	v_dual_fmac_f32 v188, v147, v74 :: v_dual_add_f32 v62, v62, v69
	v_dual_fmac_f32 v189, v149, v76 :: v_dual_mul_f32 v190, v150, v79
	v_dual_mul_f32 v191, v152, v81 :: v_dual_add_f32 v65, v65, v187
	v_dual_mul_f32 v69, v161, v89 :: v_dual_fma_f32 v63, v148, v76, -v63
	s_wait_loadcnt_dscnt 0x702
	v_dual_add_f32 v62, v62, v70 :: v_dual_mul_f32 v70, v163, v91
	s_delay_alu instid0(VALU_DEP_3) | instskip(NEXT) | instid1(VALU_DEP_2)
	v_dual_fma_f32 v71, v150, v78, -v77 :: v_dual_add_f32 v65, v65, v188
	v_dual_fmac_f32 v190, v151, v78 :: v_dual_add_f32 v62, v62, v63
	v_dual_mul_f32 v72, v165, v93 :: v_dual_mul_f32 v192, v154, v83
	v_mul_f32_e32 v193, v156, v85
	s_delay_alu instid0(VALU_DEP_4)
	v_add_f32_e32 v65, v65, v189
	v_dual_fmac_f32 v191, v153, v80 :: v_dual_fma_f32 v63, v152, v80, -v64
	v_add_f32_e32 v62, v62, v71
	v_fma_f32 v66, v154, v82, -v66
	s_wait_loadcnt_dscnt 0x601
	v_dual_add_f32 v64, v65, v190 :: v_dual_mul_f32 v65, v167, v95
	s_delay_alu instid0(VALU_DEP_3) | instskip(NEXT) | instid1(VALU_DEP_2)
	v_dual_fmac_f32 v192, v155, v82 :: v_dual_add_f32 v62, v62, v63
	v_dual_mul_f32 v71, v169, v97 :: v_dual_add_f32 v64, v64, v191
	v_dual_mul_f32 v194, v158, v87 :: v_dual_mul_f32 v195, v160, v89
	v_dual_fmac_f32 v193, v157, v84 :: v_dual_fma_f32 v63, v156, v84, -v67
	s_delay_alu instid0(VALU_DEP_3) | instskip(SKIP_2) | instid1(VALU_DEP_2)
	v_dual_add_f32 v64, v64, v192 :: v_dual_add_f32 v62, v62, v66
	s_wait_loadcnt_dscnt 0x500
	v_dual_mul_f32 v73, v171, v99 :: v_dual_fma_f32 v66, v158, v86, -v68
	v_dual_fmac_f32 v194, v159, v86 :: v_dual_add_f32 v64, v64, v193
	s_delay_alu instid0(VALU_DEP_3) | instskip(SKIP_2) | instid1(VALU_DEP_3)
	v_dual_add_f32 v62, v62, v63 :: v_dual_mul_f32 v74, v173, v101
	v_dual_mul_f32 v196, v162, v91 :: v_dual_mul_f32 v197, v164, v93
	v_dual_fmac_f32 v195, v161, v88 :: v_dual_fma_f32 v67, v160, v88, -v69
	v_add_f32_e32 v66, v62, v66
	v_dual_add_f32 v64, v64, v194 :: v_dual_mul_f32 v198, v166, v95
	s_delay_alu instid0(VALU_DEP_4) | instskip(SKIP_1) | instid1(VALU_DEP_4)
	v_dual_mul_f32 v199, v168, v97 :: v_dual_fmac_f32 v196, v163, v90
	v_fma_f32 v68, v162, v90, -v70
	v_add_f32_e32 v66, v66, v67
	s_wait_loadcnt 0x4
	v_dual_add_f32 v69, v64, v195 :: v_dual_mov_b32 v64, v105
	v_dual_fma_f32 v70, v164, v92, -v72 :: v_dual_fmac_f32 v197, v165, v92
	s_delay_alu instid0(VALU_DEP_2) | instskip(SKIP_3) | instid1(VALU_DEP_4)
	v_dual_fmac_f32 v198, v167, v94 :: v_dual_add_f32 v69, v69, v196
	v_fma_f32 v65, v166, v94, -v65
	v_add_f32_e32 v68, v66, v68
	v_dual_mul_f32 v181, v170, v99 :: v_dual_mul_f32 v183, v172, v101
	v_dual_add_f32 v69, v69, v197 :: v_dual_fma_f32 v72, v168, v96, -v71
	s_wait_loadcnt 0x3
	s_delay_alu instid0(VALU_DEP_3) | instskip(SKIP_1) | instid1(VALU_DEP_3)
	v_dual_add_f32 v70, v68, v70 :: v_dual_mov_b32 v68, v109
	v_fmac_f32_e32 v199, v169, v96
	v_add_f32_e32 v69, v69, v198
	v_pk_mul_f32 v[62:63], v[118:119], v[102:103] op_sel:[1,1] op_sel_hi:[0,1]
	s_delay_alu instid0(VALU_DEP_4) | instskip(NEXT) | instid1(VALU_DEP_3)
	v_dual_add_f32 v65, v70, v65 :: v_dual_fmac_f32 v181, v171, v98
	v_dual_fma_f32 v180, v170, v98, -v73 :: v_dual_add_f32 v73, v69, v199
	v_dual_fmac_f32 v183, v173, v100 :: v_dual_fma_f32 v182, v172, v100, -v74
	s_delay_alu instid0(VALU_DEP_3)
	v_add_f32_e32 v72, v65, v72
	v_pk_fma_f32 v[74:75], v[118:119], v[102:103], v[62:63] op_sel_hi:[1,0,1]
	v_pk_mul_f32 v[60:61], v[60:61], v[64:65] op_sel_hi:[1,0]
	v_pk_fma_f32 v[62:63], v[118:119], v[102:103], v[62:63] neg_lo:[0,0,1] neg_hi:[0,0,1]
	v_pk_mul_f32 v[66:67], v[122:123], v[106:107] op_sel:[1,1] op_sel_hi:[0,1]
	v_pk_add_f32 v[64:65], v[72:73], v[180:181]
	s_wait_loadcnt 0x2
	v_dual_mov_b32 v72, v113 :: v_dual_mov_b32 v63, v75
	v_pk_fma_f32 v[74:75], v[120:121], v[104:105], v[60:61] op_sel_hi:[1,0,1]
	v_pk_fma_f32 v[60:61], v[120:121], v[104:105], v[60:61] neg_lo:[0,0,1] neg_hi:[0,0,1]
	v_pk_add_f32 v[64:65], v[64:65], v[182:183]
	v_pk_fma_f32 v[76:77], v[122:123], v[106:107], v[66:67] op_sel_hi:[1,0,1]
	v_pk_mul_f32 v[68:69], v[174:175], v[68:69] op_sel_hi:[1,0]
	v_mov_b32_e32 v61, v75
	v_pk_fma_f32 v[66:67], v[122:123], v[106:107], v[66:67] neg_lo:[0,0,1] neg_hi:[0,0,1]
	v_pk_add_f32 v[62:63], v[64:65], v[62:63]
	v_pk_mul_f32 v[70:71], v[126:127], v[110:111] op_sel:[1,1] op_sel_hi:[0,1]
	v_mov_b32_e32 v67, v77
	v_pk_fma_f32 v[74:75], v[124:125], v[108:109], v[68:69] op_sel_hi:[1,0,1]
	v_pk_fma_f32 v[68:69], v[124:125], v[108:109], v[68:69] neg_lo:[0,0,1] neg_hi:[0,0,1]
	v_pk_add_f32 v[60:61], v[62:63], v[60:61]
	v_pk_fma_f32 v[62:63], v[126:127], v[110:111], v[70:71] op_sel_hi:[1,0,1]
	v_pk_mul_f32 v[72:73], v[176:177], v[72:73] op_sel_hi:[1,0]
	s_wait_loadcnt 0x1
	v_dual_mov_b32 v69, v75 :: v_dual_mov_b32 v62, v117
	v_pk_add_f32 v[60:61], v[60:61], v[66:67]
	v_pk_fma_f32 v[66:67], v[126:127], v[110:111], v[70:71] neg_lo:[0,0,1] neg_hi:[0,0,1]
	v_pk_mul_f32 v[64:65], v[130:131], v[114:115] op_sel:[1,1] op_sel_hi:[0,1]
	v_pk_fma_f32 v[70:71], v[128:129], v[112:113], v[72:73] op_sel_hi:[1,0,1]
	v_mov_b32_e32 v67, v63
	v_pk_add_f32 v[60:61], v[60:61], v[68:69]
	v_pk_fma_f32 v[72:73], v[128:129], v[112:113], v[72:73] neg_lo:[0,0,1] neg_hi:[0,0,1]
	v_pk_fma_f32 v[68:69], v[130:131], v[114:115], v[64:65] op_sel_hi:[1,0,1]
	v_pk_mul_f32 v[62:63], v[178:179], v[62:63] op_sel_hi:[1,0]
	v_mov_b32_e32 v73, v71
	v_pk_add_f32 v[60:61], v[60:61], v[66:67]
	v_pk_fma_f32 v[64:65], v[130:131], v[114:115], v[64:65] neg_lo:[0,0,1] neg_hi:[0,0,1]
	s_delay_alu instid0(VALU_DEP_4) | instskip(SKIP_1) | instid1(VALU_DEP_4)
	v_pk_fma_f32 v[66:67], v[132:133], v[116:117], v[62:63] op_sel_hi:[1,0,1]
	v_mov_b32_e32 v65, v69
	v_pk_add_f32 v[60:61], v[60:61], v[72:73]
	v_pk_fma_f32 v[62:63], v[132:133], v[116:117], v[62:63] neg_lo:[0,0,1] neg_hi:[0,0,1]
	s_delay_alu instid0(VALU_DEP_4) | instskip(NEXT) | instid1(VALU_DEP_3)
	v_mov_b32_e32 v63, v67
	v_pk_add_f32 v[60:61], v[60:61], v[64:65]
	s_delay_alu instid0(VALU_DEP_1) | instskip(SKIP_1) | instid1(VALU_DEP_1)
	v_pk_add_f32 v[60:61], v[60:61], v[62:63]
	s_wait_loadcnt 0x0
	v_pk_add_f32 v[0:1], v[0:1], v[60:61] neg_lo:[0,1] neg_hi:[0,1]
	scratch_store_b64 off, v[0:1], off
	s_cbranch_vccz .LBB28_244
; %bb.188:
	s_wait_xcnt 0x0
	v_mov_b32_e32 v0, 0
	global_load_b32 v1, v0, s[2:3] offset:108
	s_wait_loadcnt 0x0
	v_cmp_ne_u32_e32 vcc_lo, 28, v1
	s_cbranch_vccz .LBB28_190
; %bb.189:
	v_lshlrev_b32_e32 v1, 3, v1
	scratch_load_b64 v[60:61], v1, off offset:-8
	scratch_load_b64 v[62:63], off, off offset:216
	s_wait_loadcnt 0x1
	scratch_store_b64 off, v[60:61], off offset:216
	s_wait_loadcnt 0x0
	scratch_store_b64 v1, v[62:63], off offset:-8
.LBB28_190:
	global_load_b32 v0, v0, s[2:3] offset:104
	s_wait_loadcnt 0x0
	v_cmp_eq_u32_e32 vcc_lo, 27, v0
	s_cbranch_vccnz .LBB28_192
; %bb.191:
	s_wait_xcnt 0x0
	v_lshlrev_b32_e32 v0, 3, v0
	s_delay_alu instid0(VALU_DEP_1)
	v_mov_b32_e32 v62, v0
	scratch_load_b64 v[0:1], v62, off offset:-8
	scratch_load_b64 v[60:61], off, off offset:208
	s_wait_loadcnt 0x1
	scratch_store_b64 off, v[0:1], off offset:208
	s_wait_loadcnt 0x0
	scratch_store_b64 v62, v[60:61], off offset:-8
.LBB28_192:
	s_wait_xcnt 0x0
	v_mov_b32_e32 v0, 0
	global_load_b32 v1, v0, s[2:3] offset:100
	s_wait_loadcnt 0x0
	v_cmp_eq_u32_e32 vcc_lo, 26, v1
	s_cbranch_vccnz .LBB28_194
; %bb.193:
	v_lshlrev_b32_e32 v1, 3, v1
	scratch_load_b64 v[60:61], v1, off offset:-8
	scratch_load_b64 v[62:63], off, off offset:200
	s_wait_loadcnt 0x1
	scratch_store_b64 off, v[60:61], off offset:200
	s_wait_loadcnt 0x0
	scratch_store_b64 v1, v[62:63], off offset:-8
.LBB28_194:
	global_load_b32 v0, v0, s[2:3] offset:96
	s_wait_loadcnt 0x0
	v_cmp_eq_u32_e32 vcc_lo, 25, v0
	s_cbranch_vccnz .LBB28_196
; %bb.195:
	s_wait_xcnt 0x0
	v_lshlrev_b32_e32 v0, 3, v0
	s_delay_alu instid0(VALU_DEP_1)
	v_mov_b32_e32 v62, v0
	scratch_load_b64 v[0:1], v62, off offset:-8
	scratch_load_b64 v[60:61], off, off offset:192
	s_wait_loadcnt 0x1
	scratch_store_b64 off, v[0:1], off offset:192
	s_wait_loadcnt 0x0
	scratch_store_b64 v62, v[60:61], off offset:-8
.LBB28_196:
	s_wait_xcnt 0x0
	v_mov_b32_e32 v0, 0
	global_load_b32 v1, v0, s[2:3] offset:92
	s_wait_loadcnt 0x0
	v_cmp_eq_u32_e32 vcc_lo, 24, v1
	s_cbranch_vccnz .LBB28_198
; %bb.197:
	v_lshlrev_b32_e32 v1, 3, v1
	scratch_load_b64 v[60:61], v1, off offset:-8
	scratch_load_b64 v[62:63], off, off offset:184
	s_wait_loadcnt 0x1
	scratch_store_b64 off, v[60:61], off offset:184
	s_wait_loadcnt 0x0
	scratch_store_b64 v1, v[62:63], off offset:-8
.LBB28_198:
	;; [unrolled: 31-line block ×13, first 2 shown]
	global_load_b32 v60, v0, s[2:3]
	scratch_load_b64 v[0:1], off, off
	s_wait_loadcnt 0x1
	v_cmp_eq_u32_e32 vcc_lo, 1, v60
	s_cbranch_vccnz .LBB28_244
; %bb.243:
	v_lshlrev_b32_e32 v60, 3, v60
	s_delay_alu instid0(VALU_DEP_1)
	v_mov_b32_e32 v62, v60
	scratch_load_b64 v[60:61], v62, off offset:-8
	s_wait_loadcnt 0x0
	scratch_store_b64 off, v[60:61], off
	scratch_store_b64 v62, v[0:1], off offset:-8
	scratch_load_b64 v[0:1], off, off
.LBB28_244:
	v_lshl_add_u64 v[60:61], v[4:5], 3, s[4:5]
	v_lshl_add_u64 v[62:63], v[6:7], 3, s[4:5]
	;; [unrolled: 1-line block ×4, first 2 shown]
	s_clause 0xd
	scratch_load_b128 v[56:59], off, off offset:8
	scratch_load_b128 v[64:67], off, off offset:24
	;; [unrolled: 1-line block ×14, first 2 shown]
	v_lshl_add_u64 v[10:11], v[10:11], 3, s[4:5]
	v_lshl_add_u64 v[12:13], v[12:13], 3, s[4:5]
	;; [unrolled: 1-line block ×23, first 2 shown]
	s_wait_loadcnt 0xe
	global_store_b64 v[2:3], v[0:1], off
	s_wait_loadcnt 0xd
	s_clause 0x1
	global_store_b64 v[8:9], v[56:57], off
	global_store_b64 v[60:61], v[58:59], off
	s_wait_loadcnt 0xc
	s_clause 0x1
	global_store_b64 v[62:63], v[64:65], off
	;; [unrolled: 4-line block ×14, first 2 shown]
	global_store_b64 v[6:7], v[114:115], off
	s_sendmsg sendmsg(MSG_DEALLOC_VGPRS)
	s_endpgm
	.section	.rodata,"a",@progbits
	.p2align	6, 0x0
	.amdhsa_kernel _ZN9rocsolver6v33100L18getri_kernel_smallILi29E19rocblas_complex_numIfEPS3_EEvT1_iilPiilS6_bb
		.amdhsa_group_segment_fixed_size 472
		.amdhsa_private_segment_fixed_size 240
		.amdhsa_kernarg_size 60
		.amdhsa_user_sgpr_count 2
		.amdhsa_user_sgpr_dispatch_ptr 0
		.amdhsa_user_sgpr_queue_ptr 0
		.amdhsa_user_sgpr_kernarg_segment_ptr 1
		.amdhsa_user_sgpr_dispatch_id 0
		.amdhsa_user_sgpr_kernarg_preload_length 0
		.amdhsa_user_sgpr_kernarg_preload_offset 0
		.amdhsa_user_sgpr_private_segment_size 0
		.amdhsa_wavefront_size32 1
		.amdhsa_uses_dynamic_stack 0
		.amdhsa_enable_private_segment 1
		.amdhsa_system_sgpr_workgroup_id_x 1
		.amdhsa_system_sgpr_workgroup_id_y 0
		.amdhsa_system_sgpr_workgroup_id_z 0
		.amdhsa_system_sgpr_workgroup_info 0
		.amdhsa_system_vgpr_workitem_id 0
		.amdhsa_next_free_vgpr 200
		.amdhsa_next_free_sgpr 19
		.amdhsa_named_barrier_count 0
		.amdhsa_reserve_vcc 1
		.amdhsa_float_round_mode_32 0
		.amdhsa_float_round_mode_16_64 0
		.amdhsa_float_denorm_mode_32 3
		.amdhsa_float_denorm_mode_16_64 3
		.amdhsa_fp16_overflow 0
		.amdhsa_memory_ordered 1
		.amdhsa_forward_progress 1
		.amdhsa_inst_pref_size 255
		.amdhsa_round_robin_scheduling 0
		.amdhsa_exception_fp_ieee_invalid_op 0
		.amdhsa_exception_fp_denorm_src 0
		.amdhsa_exception_fp_ieee_div_zero 0
		.amdhsa_exception_fp_ieee_overflow 0
		.amdhsa_exception_fp_ieee_underflow 0
		.amdhsa_exception_fp_ieee_inexact 0
		.amdhsa_exception_int_div_zero 0
	.end_amdhsa_kernel
	.section	.text._ZN9rocsolver6v33100L18getri_kernel_smallILi29E19rocblas_complex_numIfEPS3_EEvT1_iilPiilS6_bb,"axG",@progbits,_ZN9rocsolver6v33100L18getri_kernel_smallILi29E19rocblas_complex_numIfEPS3_EEvT1_iilPiilS6_bb,comdat
.Lfunc_end28:
	.size	_ZN9rocsolver6v33100L18getri_kernel_smallILi29E19rocblas_complex_numIfEPS3_EEvT1_iilPiilS6_bb, .Lfunc_end28-_ZN9rocsolver6v33100L18getri_kernel_smallILi29E19rocblas_complex_numIfEPS3_EEvT1_iilPiilS6_bb
                                        ; -- End function
	.set _ZN9rocsolver6v33100L18getri_kernel_smallILi29E19rocblas_complex_numIfEPS3_EEvT1_iilPiilS6_bb.num_vgpr, 200
	.set _ZN9rocsolver6v33100L18getri_kernel_smallILi29E19rocblas_complex_numIfEPS3_EEvT1_iilPiilS6_bb.num_agpr, 0
	.set _ZN9rocsolver6v33100L18getri_kernel_smallILi29E19rocblas_complex_numIfEPS3_EEvT1_iilPiilS6_bb.numbered_sgpr, 19
	.set _ZN9rocsolver6v33100L18getri_kernel_smallILi29E19rocblas_complex_numIfEPS3_EEvT1_iilPiilS6_bb.num_named_barrier, 0
	.set _ZN9rocsolver6v33100L18getri_kernel_smallILi29E19rocblas_complex_numIfEPS3_EEvT1_iilPiilS6_bb.private_seg_size, 240
	.set _ZN9rocsolver6v33100L18getri_kernel_smallILi29E19rocblas_complex_numIfEPS3_EEvT1_iilPiilS6_bb.uses_vcc, 1
	.set _ZN9rocsolver6v33100L18getri_kernel_smallILi29E19rocblas_complex_numIfEPS3_EEvT1_iilPiilS6_bb.uses_flat_scratch, 1
	.set _ZN9rocsolver6v33100L18getri_kernel_smallILi29E19rocblas_complex_numIfEPS3_EEvT1_iilPiilS6_bb.has_dyn_sized_stack, 0
	.set _ZN9rocsolver6v33100L18getri_kernel_smallILi29E19rocblas_complex_numIfEPS3_EEvT1_iilPiilS6_bb.has_recursion, 0
	.set _ZN9rocsolver6v33100L18getri_kernel_smallILi29E19rocblas_complex_numIfEPS3_EEvT1_iilPiilS6_bb.has_indirect_call, 0
	.section	.AMDGPU.csdata,"",@progbits
; Kernel info:
; codeLenInByte = 38184
; TotalNumSgprs: 21
; NumVgprs: 200
; ScratchSize: 240
; MemoryBound: 0
; FloatMode: 240
; IeeeMode: 1
; LDSByteSize: 472 bytes/workgroup (compile time only)
; SGPRBlocks: 0
; VGPRBlocks: 12
; NumSGPRsForWavesPerEU: 21
; NumVGPRsForWavesPerEU: 200
; NamedBarCnt: 0
; Occupancy: 4
; WaveLimiterHint : 1
; COMPUTE_PGM_RSRC2:SCRATCH_EN: 1
; COMPUTE_PGM_RSRC2:USER_SGPR: 2
; COMPUTE_PGM_RSRC2:TRAP_HANDLER: 0
; COMPUTE_PGM_RSRC2:TGID_X_EN: 1
; COMPUTE_PGM_RSRC2:TGID_Y_EN: 0
; COMPUTE_PGM_RSRC2:TGID_Z_EN: 0
; COMPUTE_PGM_RSRC2:TIDIG_COMP_CNT: 0
	.section	.text._ZN9rocsolver6v33100L18getri_kernel_smallILi30E19rocblas_complex_numIfEPS3_EEvT1_iilPiilS6_bb,"axG",@progbits,_ZN9rocsolver6v33100L18getri_kernel_smallILi30E19rocblas_complex_numIfEPS3_EEvT1_iilPiilS6_bb,comdat
	.globl	_ZN9rocsolver6v33100L18getri_kernel_smallILi30E19rocblas_complex_numIfEPS3_EEvT1_iilPiilS6_bb ; -- Begin function _ZN9rocsolver6v33100L18getri_kernel_smallILi30E19rocblas_complex_numIfEPS3_EEvT1_iilPiilS6_bb
	.p2align	8
	.type	_ZN9rocsolver6v33100L18getri_kernel_smallILi30E19rocblas_complex_numIfEPS3_EEvT1_iilPiilS6_bb,@function
_ZN9rocsolver6v33100L18getri_kernel_smallILi30E19rocblas_complex_numIfEPS3_EEvT1_iilPiilS6_bb: ; @_ZN9rocsolver6v33100L18getri_kernel_smallILi30E19rocblas_complex_numIfEPS3_EEvT1_iilPiilS6_bb
; %bb.0:
	s_mov_b32 s2, exec_lo
	v_cmpx_gt_u32_e32 30, v0
	s_cbranch_execz .LBB29_134
; %bb.1:
	s_clause 0x2
	s_load_b32 s2, s[0:1], 0x38
	s_load_b128 s[12:15], s[0:1], 0x10
	s_load_b128 s[4:7], s[0:1], 0x28
	s_getreg_b32 s9, hwreg(HW_REG_IB_STS2, 6, 4)
	s_wait_kmcnt 0x0
	s_bitcmp1_b32 s2, 8
	s_cselect_b32 s18, -1, 0
	s_bfe_u32 s3, ttmp6, 0x4000c
	s_and_b32 s8, ttmp6, 15
	s_add_co_i32 s3, s3, 1
	s_delay_alu instid0(SALU_CYCLE_1) | instskip(NEXT) | instid1(SALU_CYCLE_1)
	s_mul_i32 s3, ttmp9, s3
	s_add_co_i32 s8, s8, s3
	s_cmp_eq_u32 s9, 0
	s_cselect_b32 s16, ttmp9, s8
	s_bfe_u32 s2, s2, 0x10008
	s_ashr_i32 s17, s16, 31
	s_cmp_eq_u32 s2, 0
                                        ; implicit-def: $sgpr2_sgpr3
	s_cbranch_scc1 .LBB29_3
; %bb.2:
	s_load_b32 s2, s[0:1], 0x20
	s_mul_u64 s[4:5], s[4:5], s[16:17]
	s_delay_alu instid0(SALU_CYCLE_1) | instskip(NEXT) | instid1(SALU_CYCLE_1)
	s_lshl_b64 s[4:5], s[4:5], 2
	s_add_nc_u64 s[4:5], s[14:15], s[4:5]
	s_wait_kmcnt 0x0
	s_ashr_i32 s3, s2, 31
	s_delay_alu instid0(SALU_CYCLE_1) | instskip(NEXT) | instid1(SALU_CYCLE_1)
	s_lshl_b64 s[2:3], s[2:3], 2
	s_add_nc_u64 s[2:3], s[4:5], s[2:3]
.LBB29_3:
	s_clause 0x1
	s_load_b128 s[8:11], s[0:1], 0x0
	s_load_b32 s14, s[0:1], 0x38
	s_wait_xcnt 0x0
	s_mul_u64 s[0:1], s[12:13], s[16:17]
	v_mov_b32_e32 v63, 0
	s_lshl_b64 s[0:1], s[0:1], 3
	s_wait_kmcnt 0x0
	v_add3_u32 v4, s11, s11, v0
	s_ashr_i32 s5, s10, 31
	s_mov_b32 s4, s10
	s_add_nc_u64 s[0:1], s[8:9], s[0:1]
	s_lshl_b64 s[4:5], s[4:5], 3
	v_add_nc_u32_e32 v8, s11, v4
	s_add_nc_u64 s[4:5], s[0:1], s[4:5]
	s_ashr_i32 s1, s11, 31
	s_mov_b32 s0, s11
	s_bitcmp0_b32 s14, 0
	v_add_nc_u32_e32 v10, s11, v8
	s_delay_alu instid0(VALU_DEP_1) | instskip(NEXT) | instid1(VALU_DEP_1)
	v_add_nc_u32_e32 v12, s11, v10
	v_add_nc_u32_e32 v14, s11, v12
	s_delay_alu instid0(VALU_DEP_1) | instskip(NEXT) | instid1(VALU_DEP_1)
	v_add_nc_u32_e32 v16, s11, v14
	;; [unrolled: 3-line block ×7, first 2 shown]
	v_add_nc_u32_e32 v38, s11, v36
	s_delay_alu instid0(VALU_DEP_1) | instskip(NEXT) | instid1(VALU_DEP_1)
	v_dual_lshlrev_b32 v62, 3, v0 :: v_dual_add_nc_u32 v40, s11, v38
	v_add_nc_u64_e32 v[2:3], s[4:5], v[62:63]
	s_delay_alu instid0(VALU_DEP_2) | instskip(NEXT) | instid1(VALU_DEP_2)
	v_add_nc_u32_e32 v42, s11, v40
	v_lshl_add_u64 v[6:7], s[0:1], 3, v[2:3]
	s_mov_b32 s1, -1
	s_delay_alu instid0(VALU_DEP_2)
	v_add_nc_u32_e32 v44, s11, v42
	s_clause 0x9
	global_load_b64 v[64:65], v0, s[4:5] scale_offset
	global_load_b64 v[66:67], v[6:7], off
	global_load_b64 v[68:69], v4, s[4:5] scale_offset
	global_load_b64 v[70:71], v8, s[4:5] scale_offset
	global_load_b64 v[72:73], v10, s[4:5] scale_offset
	global_load_b64 v[74:75], v12, s[4:5] scale_offset
	global_load_b64 v[76:77], v14, s[4:5] scale_offset
	global_load_b64 v[78:79], v16, s[4:5] scale_offset
	global_load_b64 v[80:81], v18, s[4:5] scale_offset
	global_load_b64 v[82:83], v20, s[4:5] scale_offset
	v_add_nc_u32_e32 v46, s11, v44
	s_clause 0x7
	global_load_b64 v[84:85], v22, s[4:5] scale_offset
	global_load_b64 v[86:87], v24, s[4:5] scale_offset
	;; [unrolled: 1-line block ×8, first 2 shown]
	v_add_nc_u32_e32 v48, s11, v46
	s_clause 0x3
	global_load_b64 v[100:101], v38, s[4:5] scale_offset
	global_load_b64 v[102:103], v40, s[4:5] scale_offset
	global_load_b64 v[104:105], v42, s[4:5] scale_offset
	global_load_b64 v[106:107], v44, s[4:5] scale_offset
	v_add_nc_u32_e32 v50, s11, v48
	s_delay_alu instid0(VALU_DEP_1) | instskip(NEXT) | instid1(VALU_DEP_1)
	v_add_nc_u32_e32 v52, s11, v50
	v_add_nc_u32_e32 v54, s11, v52
	s_delay_alu instid0(VALU_DEP_1)
	v_add_nc_u32_e32 v56, s11, v54
	s_clause 0x3
	global_load_b64 v[108:109], v46, s[4:5] scale_offset
	global_load_b64 v[110:111], v48, s[4:5] scale_offset
	;; [unrolled: 1-line block ×4, first 2 shown]
	v_add_nc_u32_e32 v58, s11, v56
	s_delay_alu instid0(VALU_DEP_1)
	v_add_nc_u32_e32 v60, s11, v58
	s_clause 0x3
	global_load_b64 v[116:117], v54, s[4:5] scale_offset
	global_load_b64 v[118:119], v56, s[4:5] scale_offset
	;; [unrolled: 1-line block ×4, first 2 shown]
	s_wait_loadcnt 0x1c
	scratch_store_b128 off, v[64:67], off
	s_wait_loadcnt 0x1a
	scratch_store_b128 off, v[68:71], off offset:16
	s_wait_loadcnt 0x18
	scratch_store_b128 off, v[72:75], off offset:32
	;; [unrolled: 2-line block ×14, first 2 shown]
	s_cbranch_scc1 .LBB29_132
; %bb.4:
	v_cmp_eq_u32_e64 s0, 0, v0
	s_wait_xcnt 0x0
	s_and_saveexec_b32 s1, s0
; %bb.5:
	v_mov_b32_e32 v1, 0
	ds_store_b32 v1, v1 offset:480
; %bb.6:
	s_or_b32 exec_lo, exec_lo, s1
	s_wait_storecnt_dscnt 0x0
	s_barrier_signal -1
	s_barrier_wait -1
	scratch_load_b64 v[64:65], v0, off scale_offset
	s_wait_loadcnt 0x0
	v_cmp_eq_f32_e32 vcc_lo, 0, v64
	v_cmp_eq_f32_e64 s1, 0, v65
	s_and_b32 s1, vcc_lo, s1
	s_delay_alu instid0(SALU_CYCLE_1)
	s_and_saveexec_b32 s8, s1
	s_cbranch_execz .LBB29_10
; %bb.7:
	v_mov_b32_e32 v1, 0
	s_mov_b32 s9, 0
	ds_load_b32 v5, v1 offset:480
	s_wait_dscnt 0x0
	v_readfirstlane_b32 s1, v5
	v_add_nc_u32_e32 v5, 1, v0
	s_cmp_eq_u32 s1, 0
	s_delay_alu instid0(VALU_DEP_1) | instskip(SKIP_1) | instid1(SALU_CYCLE_1)
	v_cmp_gt_i32_e32 vcc_lo, s1, v5
	s_cselect_b32 s10, -1, 0
	s_or_b32 s10, s10, vcc_lo
	s_delay_alu instid0(SALU_CYCLE_1)
	s_and_b32 exec_lo, exec_lo, s10
	s_cbranch_execz .LBB29_10
; %bb.8:
	v_mov_b32_e32 v9, s1
.LBB29_9:                               ; =>This Inner Loop Header: Depth=1
	ds_cmpstore_rtn_b32 v9, v1, v5, v9 offset:480
	s_wait_dscnt 0x0
	v_cmp_ne_u32_e32 vcc_lo, 0, v9
	v_cmp_le_i32_e64 s1, v9, v5
	s_and_b32 s1, vcc_lo, s1
	s_delay_alu instid0(SALU_CYCLE_1) | instskip(NEXT) | instid1(SALU_CYCLE_1)
	s_and_b32 s1, exec_lo, s1
	s_or_b32 s9, s1, s9
	s_delay_alu instid0(SALU_CYCLE_1)
	s_and_not1_b32 exec_lo, exec_lo, s9
	s_cbranch_execnz .LBB29_9
.LBB29_10:
	s_or_b32 exec_lo, exec_lo, s8
	v_mov_b32_e32 v1, 0
	s_barrier_signal -1
	s_barrier_wait -1
	ds_load_b32 v5, v1 offset:480
	s_and_saveexec_b32 s1, s0
	s_cbranch_execz .LBB29_12
; %bb.11:
	s_lshl_b64 s[8:9], s[16:17], 2
	s_delay_alu instid0(SALU_CYCLE_1)
	s_add_nc_u64 s[8:9], s[6:7], s[8:9]
	s_wait_dscnt 0x0
	global_store_b32 v1, v5, s[8:9]
.LBB29_12:
	s_wait_xcnt 0x0
	s_or_b32 exec_lo, exec_lo, s1
	s_wait_dscnt 0x0
	v_cmp_ne_u32_e32 vcc_lo, 0, v5
	s_mov_b32 s1, 0
	s_cbranch_vccnz .LBB29_132
; %bb.13:
	v_lshl_add_u32 v5, v0, 3, 0
                                        ; implicit-def: $vgpr67
                                        ; implicit-def: $vgpr68
	scratch_load_b64 v[64:65], v5, off
	s_wait_loadcnt 0x0
	v_cmp_ngt_f32_e64 s1, |v64|, |v65|
	s_wait_xcnt 0x0
	s_and_saveexec_b32 s8, s1
	s_delay_alu instid0(SALU_CYCLE_1)
	s_xor_b32 s1, exec_lo, s8
	s_cbranch_execz .LBB29_15
; %bb.14:
	v_div_scale_f32 v1, null, v65, v65, v64
	v_div_scale_f32 v13, vcc_lo, v64, v65, v64
	s_delay_alu instid0(VALU_DEP_2) | instskip(SKIP_1) | instid1(TRANS32_DEP_1)
	v_rcp_f32_e32 v9, v1
	v_nop
	v_fma_f32 v11, -v1, v9, 1.0
	s_delay_alu instid0(VALU_DEP_1) | instskip(NEXT) | instid1(VALU_DEP_1)
	v_fmac_f32_e32 v9, v11, v9
	v_mul_f32_e32 v11, v13, v9
	s_delay_alu instid0(VALU_DEP_1) | instskip(NEXT) | instid1(VALU_DEP_1)
	v_fma_f32 v15, -v1, v11, v13
	v_fmac_f32_e32 v11, v15, v9
	s_delay_alu instid0(VALU_DEP_1) | instskip(NEXT) | instid1(VALU_DEP_1)
	v_fma_f32 v1, -v1, v11, v13
	v_div_fmas_f32 v1, v1, v9, v11
	s_delay_alu instid0(VALU_DEP_1) | instskip(NEXT) | instid1(VALU_DEP_1)
	v_div_fixup_f32 v1, v1, v65, v64
	v_fmac_f32_e32 v65, v64, v1
	s_delay_alu instid0(VALU_DEP_1) | instskip(NEXT) | instid1(VALU_DEP_1)
	v_div_scale_f32 v9, null, v65, v65, -1.0
	v_rcp_f32_e32 v11, v9
	v_nop
	s_delay_alu instid0(TRANS32_DEP_1) | instskip(NEXT) | instid1(VALU_DEP_1)
	v_fma_f32 v13, -v9, v11, 1.0
	v_fmac_f32_e32 v11, v13, v11
	v_div_scale_f32 v13, vcc_lo, -1.0, v65, -1.0
	s_delay_alu instid0(VALU_DEP_1) | instskip(NEXT) | instid1(VALU_DEP_1)
	v_mul_f32_e32 v15, v13, v11
	v_fma_f32 v17, -v9, v15, v13
	s_delay_alu instid0(VALU_DEP_1) | instskip(NEXT) | instid1(VALU_DEP_1)
	v_fmac_f32_e32 v15, v17, v11
	v_fma_f32 v9, -v9, v15, v13
	s_delay_alu instid0(VALU_DEP_1) | instskip(NEXT) | instid1(VALU_DEP_1)
	v_div_fmas_f32 v9, v9, v11, v15
	v_div_fixup_f32 v67, v9, v65, -1.0
                                        ; implicit-def: $vgpr64_vgpr65
	s_delay_alu instid0(VALU_DEP_1) | instskip(NEXT) | instid1(VALU_DEP_1)
	v_mul_f32_e32 v68, v1, v67
	v_xor_b32_e32 v66, 0x80000000, v68
.LBB29_15:
	s_and_not1_saveexec_b32 s1, s1
	s_cbranch_execz .LBB29_17
; %bb.16:
	v_div_scale_f32 v1, null, v64, v64, v65
	v_div_scale_f32 v13, vcc_lo, v65, v64, v65
	s_delay_alu instid0(VALU_DEP_2) | instskip(SKIP_1) | instid1(TRANS32_DEP_1)
	v_rcp_f32_e32 v9, v1
	v_nop
	v_fma_f32 v11, -v1, v9, 1.0
	s_delay_alu instid0(VALU_DEP_1) | instskip(NEXT) | instid1(VALU_DEP_1)
	v_fmac_f32_e32 v9, v11, v9
	v_mul_f32_e32 v11, v13, v9
	s_delay_alu instid0(VALU_DEP_1) | instskip(NEXT) | instid1(VALU_DEP_1)
	v_fma_f32 v15, -v1, v11, v13
	v_fmac_f32_e32 v11, v15, v9
	s_delay_alu instid0(VALU_DEP_1) | instskip(NEXT) | instid1(VALU_DEP_1)
	v_fma_f32 v1, -v1, v11, v13
	v_div_fmas_f32 v1, v1, v9, v11
	s_delay_alu instid0(VALU_DEP_1) | instskip(NEXT) | instid1(VALU_DEP_1)
	v_div_fixup_f32 v1, v1, v64, v65
	v_fmac_f32_e32 v64, v65, v1
	s_delay_alu instid0(VALU_DEP_1) | instskip(SKIP_1) | instid1(VALU_DEP_2)
	v_div_scale_f32 v9, null, v64, v64, 1.0
	v_div_scale_f32 v15, vcc_lo, 1.0, v64, 1.0
	v_rcp_f32_e32 v11, v9
	v_nop
	s_delay_alu instid0(TRANS32_DEP_1) | instskip(NEXT) | instid1(VALU_DEP_1)
	v_fma_f32 v13, -v9, v11, 1.0
	v_fmac_f32_e32 v11, v13, v11
	s_delay_alu instid0(VALU_DEP_1) | instskip(NEXT) | instid1(VALU_DEP_1)
	v_mul_f32_e32 v13, v15, v11
	v_fma_f32 v17, -v9, v13, v15
	s_delay_alu instid0(VALU_DEP_1) | instskip(NEXT) | instid1(VALU_DEP_1)
	v_fmac_f32_e32 v13, v17, v11
	v_fma_f32 v9, -v9, v13, v15
	s_delay_alu instid0(VALU_DEP_1) | instskip(NEXT) | instid1(VALU_DEP_1)
	v_div_fmas_f32 v9, v9, v11, v13
	v_div_fixup_f32 v66, v9, v64, 1.0
	s_delay_alu instid0(VALU_DEP_1)
	v_xor_b32_e32 v68, 0x80000000, v66
	v_mul_f32_e64 v67, v1, -v66
.LBB29_17:
	s_or_b32 exec_lo, exec_lo, s1
	scratch_store_b64 v5, v[66:67], off
	scratch_load_b64 v[64:65], off, off offset:8
	v_xor_b32_e32 v69, 0x80000000, v67
	v_add_nc_u32_e32 v1, 0xf0, v62
	s_wait_loadcnt 0x0
	ds_store_2addr_b64 v62, v[68:69], v[64:65] offset1:30
	s_wait_storecnt_dscnt 0x0
	s_barrier_signal -1
	s_barrier_wait -1
	s_wait_xcnt 0x0
	s_and_saveexec_b32 s1, s0
	s_cbranch_execz .LBB29_19
; %bb.18:
	scratch_load_b64 v[64:65], v5, off
	ds_load_b64 v[66:67], v1
	s_wait_loadcnt_dscnt 0x0
	v_pk_mul_f32 v[70:71], v[66:67], v[64:65] op_sel:[1,1] op_sel_hi:[0,1]
	s_delay_alu instid0(VALU_DEP_1) | instskip(SKIP_2) | instid1(VALU_DEP_3)
	v_pk_fma_f32 v[72:73], v[66:67], v[64:65], v[70:71] op_sel_hi:[1,0,1]
	v_mov_b32_e32 v9, 0
	v_pk_fma_f32 v[64:65], v[66:67], v[64:65], v[70:71] neg_lo:[0,0,1] neg_hi:[0,0,1]
	v_mov_b32_e32 v65, v73
	ds_load_b64 v[68:69], v9 offset:8
	v_pk_add_f32 v[64:65], v[64:65], 0 op_sel_hi:[1,0]
	s_wait_dscnt 0x0
	s_delay_alu instid0(VALU_DEP_1) | instskip(NEXT) | instid1(VALU_DEP_1)
	v_pk_mul_f32 v[66:67], v[64:65], v[68:69] op_sel:[1,1] op_sel_hi:[0,1]
	v_pk_fma_f32 v[70:71], v[64:65], v[68:69], v[66:67] op_sel_hi:[1,0,1]
	v_pk_fma_f32 v[64:65], v[64:65], v[68:69], v[66:67] neg_lo:[0,0,1] neg_hi:[0,0,1]
	s_delay_alu instid0(VALU_DEP_2)
	v_mov_b32_e32 v65, v71
	scratch_store_b64 off, v[64:65], off offset:8
.LBB29_19:
	s_wait_xcnt 0x0
	s_or_b32 exec_lo, exec_lo, s1
	s_wait_storecnt 0x0
	s_barrier_signal -1
	s_barrier_wait -1
	scratch_load_b64 v[64:65], off, off offset:16
	s_mov_b32 s1, exec_lo
	s_wait_loadcnt 0x0
	ds_store_b64 v1, v[64:65]
	s_wait_dscnt 0x0
	s_barrier_signal -1
	s_barrier_wait -1
	v_cmpx_gt_u32_e32 2, v0
	s_cbranch_execz .LBB29_23
; %bb.20:
	scratch_load_b64 v[64:65], v5, off
	ds_load_b64 v[66:67], v1
	s_wait_loadcnt_dscnt 0x0
	v_pk_mul_f32 v[68:69], v[66:67], v[64:65] op_sel:[1,1] op_sel_hi:[0,1]
	s_delay_alu instid0(VALU_DEP_1) | instskip(SKIP_1) | instid1(VALU_DEP_2)
	v_pk_fma_f32 v[70:71], v[66:67], v[64:65], v[68:69] op_sel_hi:[1,0,1]
	v_pk_fma_f32 v[64:65], v[66:67], v[64:65], v[68:69] neg_lo:[0,0,1] neg_hi:[0,0,1]
	v_mov_b32_e32 v65, v71
	s_delay_alu instid0(VALU_DEP_1)
	v_pk_add_f32 v[64:65], v[64:65], 0 op_sel_hi:[1,0]
	s_and_saveexec_b32 s8, s0
	s_cbranch_execz .LBB29_22
; %bb.21:
	scratch_load_b64 v[66:67], off, off offset:8
	v_mov_b32_e32 v5, 0
	ds_load_b64 v[68:69], v5 offset:248
	s_wait_loadcnt_dscnt 0x0
	v_pk_mul_f32 v[70:71], v[68:69], v[66:67] op_sel:[1,1] op_sel_hi:[0,1]
	s_delay_alu instid0(VALU_DEP_1) | instskip(SKIP_1) | instid1(VALU_DEP_2)
	v_pk_fma_f32 v[72:73], v[68:69], v[66:67], v[70:71] op_sel_hi:[1,0,1]
	v_pk_fma_f32 v[66:67], v[68:69], v[66:67], v[70:71] neg_lo:[0,0,1] neg_hi:[0,0,1]
	v_mov_b32_e32 v67, v73
	s_delay_alu instid0(VALU_DEP_1)
	v_pk_add_f32 v[64:65], v[64:65], v[66:67]
.LBB29_22:
	s_or_b32 exec_lo, exec_lo, s8
	v_mov_b32_e32 v5, 0
	ds_load_b64 v[66:67], v5 offset:16
	s_wait_dscnt 0x0
	v_pk_mul_f32 v[68:69], v[64:65], v[66:67] op_sel:[1,1] op_sel_hi:[0,1]
	s_delay_alu instid0(VALU_DEP_1) | instskip(SKIP_1) | instid1(VALU_DEP_2)
	v_pk_fma_f32 v[70:71], v[64:65], v[66:67], v[68:69] op_sel_hi:[1,0,1]
	v_pk_fma_f32 v[64:65], v[64:65], v[66:67], v[68:69] neg_lo:[0,0,1] neg_hi:[0,0,1]
	v_mov_b32_e32 v65, v71
	scratch_store_b64 off, v[64:65], off offset:16
.LBB29_23:
	s_wait_xcnt 0x0
	s_or_b32 exec_lo, exec_lo, s1
	s_wait_storecnt 0x0
	s_barrier_signal -1
	s_barrier_wait -1
	scratch_load_b64 v[64:65], off, off offset:24
	v_add_nc_u32_e32 v5, -1, v0
	s_mov_b32 s0, exec_lo
	s_wait_loadcnt 0x0
	ds_store_b64 v1, v[64:65]
	s_wait_dscnt 0x0
	s_barrier_signal -1
	s_barrier_wait -1
	v_cmpx_gt_u32_e32 3, v0
	s_cbranch_execz .LBB29_27
; %bb.24:
	v_dual_mov_b32 v64, 0 :: v_dual_add_nc_u32 v9, -1, v0
	v_add_nc_u32_e32 v11, 0xf0, v62
	v_mov_b32_e32 v13, v62
	s_mov_b32 s1, 0
	s_delay_alu instid0(VALU_DEP_3)
	v_mov_b32_e32 v65, v64
.LBB29_25:                              ; =>This Inner Loop Header: Depth=1
	scratch_load_b64 v[66:67], v13, off
	ds_load_b64 v[68:69], v11
	s_wait_xcnt 0x0
	v_dual_add_nc_u32 v11, 8, v11 :: v_dual_add_nc_u32 v13, 8, v13
	s_wait_loadcnt_dscnt 0x0
	v_pk_mul_f32 v[70:71], v[68:69], v[66:67] op_sel:[1,1] op_sel_hi:[0,1]
	s_delay_alu instid0(VALU_DEP_1) | instskip(SKIP_2) | instid1(VALU_DEP_3)
	v_pk_fma_f32 v[72:73], v[68:69], v[66:67], v[70:71] op_sel_hi:[1,0,1]
	v_add_nc_u32_e32 v9, 1, v9
	v_pk_fma_f32 v[66:67], v[68:69], v[66:67], v[70:71] neg_lo:[0,0,1] neg_hi:[0,0,1]
	v_mov_b32_e32 v67, v73
	s_delay_alu instid0(VALU_DEP_3) | instskip(NEXT) | instid1(VALU_DEP_2)
	v_cmp_lt_u32_e32 vcc_lo, 1, v9
	v_pk_add_f32 v[64:65], v[64:65], v[66:67]
	s_or_b32 s1, vcc_lo, s1
	s_delay_alu instid0(SALU_CYCLE_1)
	s_and_not1_b32 exec_lo, exec_lo, s1
	s_cbranch_execnz .LBB29_25
; %bb.26:
	s_or_b32 exec_lo, exec_lo, s1
	v_mov_b32_e32 v9, 0
	ds_load_b64 v[66:67], v9 offset:24
	s_wait_dscnt 0x0
	v_pk_mul_f32 v[68:69], v[64:65], v[66:67] op_sel:[1,1] op_sel_hi:[0,1]
	s_delay_alu instid0(VALU_DEP_1) | instskip(SKIP_1) | instid1(VALU_DEP_2)
	v_pk_fma_f32 v[70:71], v[64:65], v[66:67], v[68:69] op_sel_hi:[1,0,1]
	v_pk_fma_f32 v[64:65], v[64:65], v[66:67], v[68:69] neg_lo:[0,0,1] neg_hi:[0,0,1]
	v_mov_b32_e32 v65, v71
	scratch_store_b64 off, v[64:65], off offset:24
.LBB29_27:
	s_wait_xcnt 0x0
	s_or_b32 exec_lo, exec_lo, s0
	s_wait_storecnt 0x0
	s_barrier_signal -1
	s_barrier_wait -1
	scratch_load_b64 v[64:65], off, off offset:32
	s_mov_b32 s0, exec_lo
	s_wait_loadcnt 0x0
	ds_store_b64 v1, v[64:65]
	s_wait_dscnt 0x0
	s_barrier_signal -1
	s_barrier_wait -1
	v_cmpx_gt_u32_e32 4, v0
	s_cbranch_execz .LBB29_31
; %bb.28:
	v_dual_mov_b32 v64, 0 :: v_dual_add_nc_u32 v9, -1, v0
	v_add_nc_u32_e32 v11, 0xf0, v62
	v_mov_b32_e32 v13, v62
	s_mov_b32 s1, 0
	s_delay_alu instid0(VALU_DEP_3)
	v_mov_b32_e32 v65, v64
.LBB29_29:                              ; =>This Inner Loop Header: Depth=1
	scratch_load_b64 v[66:67], v13, off
	ds_load_b64 v[68:69], v11
	s_wait_xcnt 0x0
	v_dual_add_nc_u32 v11, 8, v11 :: v_dual_add_nc_u32 v13, 8, v13
	s_wait_loadcnt_dscnt 0x0
	v_pk_mul_f32 v[70:71], v[68:69], v[66:67] op_sel:[1,1] op_sel_hi:[0,1]
	s_delay_alu instid0(VALU_DEP_1) | instskip(SKIP_2) | instid1(VALU_DEP_3)
	v_pk_fma_f32 v[72:73], v[68:69], v[66:67], v[70:71] op_sel_hi:[1,0,1]
	v_add_nc_u32_e32 v9, 1, v9
	v_pk_fma_f32 v[66:67], v[68:69], v[66:67], v[70:71] neg_lo:[0,0,1] neg_hi:[0,0,1]
	v_mov_b32_e32 v67, v73
	s_delay_alu instid0(VALU_DEP_3) | instskip(NEXT) | instid1(VALU_DEP_2)
	v_cmp_lt_u32_e32 vcc_lo, 2, v9
	v_pk_add_f32 v[64:65], v[64:65], v[66:67]
	s_or_b32 s1, vcc_lo, s1
	s_delay_alu instid0(SALU_CYCLE_1)
	s_and_not1_b32 exec_lo, exec_lo, s1
	s_cbranch_execnz .LBB29_29
; %bb.30:
	s_or_b32 exec_lo, exec_lo, s1
	v_mov_b32_e32 v9, 0
	ds_load_b64 v[66:67], v9 offset:32
	s_wait_dscnt 0x0
	v_pk_mul_f32 v[68:69], v[64:65], v[66:67] op_sel:[1,1] op_sel_hi:[0,1]
	s_delay_alu instid0(VALU_DEP_1) | instskip(SKIP_1) | instid1(VALU_DEP_2)
	v_pk_fma_f32 v[70:71], v[64:65], v[66:67], v[68:69] op_sel_hi:[1,0,1]
	v_pk_fma_f32 v[64:65], v[64:65], v[66:67], v[68:69] neg_lo:[0,0,1] neg_hi:[0,0,1]
	v_mov_b32_e32 v65, v71
	scratch_store_b64 off, v[64:65], off offset:32
.LBB29_31:
	s_wait_xcnt 0x0
	s_or_b32 exec_lo, exec_lo, s0
	s_wait_storecnt 0x0
	s_barrier_signal -1
	s_barrier_wait -1
	scratch_load_b64 v[64:65], off, off offset:40
	s_mov_b32 s0, exec_lo
	s_wait_loadcnt 0x0
	ds_store_b64 v1, v[64:65]
	s_wait_dscnt 0x0
	s_barrier_signal -1
	s_barrier_wait -1
	v_cmpx_gt_u32_e32 5, v0
	s_cbranch_execz .LBB29_35
; %bb.32:
	v_dual_mov_b32 v64, 0 :: v_dual_add_nc_u32 v9, -1, v0
	v_add_nc_u32_e32 v11, 0xf0, v62
	v_mov_b32_e32 v13, v62
	s_mov_b32 s1, 0
	s_delay_alu instid0(VALU_DEP_3)
	v_mov_b32_e32 v65, v64
.LBB29_33:                              ; =>This Inner Loop Header: Depth=1
	scratch_load_b64 v[66:67], v13, off
	ds_load_b64 v[68:69], v11
	s_wait_xcnt 0x0
	v_dual_add_nc_u32 v11, 8, v11 :: v_dual_add_nc_u32 v13, 8, v13
	s_wait_loadcnt_dscnt 0x0
	v_pk_mul_f32 v[70:71], v[68:69], v[66:67] op_sel:[1,1] op_sel_hi:[0,1]
	s_delay_alu instid0(VALU_DEP_1) | instskip(SKIP_2) | instid1(VALU_DEP_3)
	v_pk_fma_f32 v[72:73], v[68:69], v[66:67], v[70:71] op_sel_hi:[1,0,1]
	v_add_nc_u32_e32 v9, 1, v9
	v_pk_fma_f32 v[66:67], v[68:69], v[66:67], v[70:71] neg_lo:[0,0,1] neg_hi:[0,0,1]
	v_mov_b32_e32 v67, v73
	s_delay_alu instid0(VALU_DEP_3) | instskip(NEXT) | instid1(VALU_DEP_2)
	v_cmp_lt_u32_e32 vcc_lo, 3, v9
	v_pk_add_f32 v[64:65], v[64:65], v[66:67]
	s_or_b32 s1, vcc_lo, s1
	s_delay_alu instid0(SALU_CYCLE_1)
	s_and_not1_b32 exec_lo, exec_lo, s1
	s_cbranch_execnz .LBB29_33
; %bb.34:
	s_or_b32 exec_lo, exec_lo, s1
	v_mov_b32_e32 v9, 0
	ds_load_b64 v[66:67], v9 offset:40
	s_wait_dscnt 0x0
	v_pk_mul_f32 v[68:69], v[64:65], v[66:67] op_sel:[1,1] op_sel_hi:[0,1]
	s_delay_alu instid0(VALU_DEP_1) | instskip(SKIP_1) | instid1(VALU_DEP_2)
	v_pk_fma_f32 v[70:71], v[64:65], v[66:67], v[68:69] op_sel_hi:[1,0,1]
	v_pk_fma_f32 v[64:65], v[64:65], v[66:67], v[68:69] neg_lo:[0,0,1] neg_hi:[0,0,1]
	v_mov_b32_e32 v65, v71
	scratch_store_b64 off, v[64:65], off offset:40
.LBB29_35:
	s_wait_xcnt 0x0
	s_or_b32 exec_lo, exec_lo, s0
	s_wait_storecnt 0x0
	s_barrier_signal -1
	s_barrier_wait -1
	scratch_load_b64 v[64:65], off, off offset:48
	s_mov_b32 s0, exec_lo
	s_wait_loadcnt 0x0
	ds_store_b64 v1, v[64:65]
	s_wait_dscnt 0x0
	s_barrier_signal -1
	s_barrier_wait -1
	v_cmpx_gt_u32_e32 6, v0
	s_cbranch_execz .LBB29_39
; %bb.36:
	v_dual_mov_b32 v64, 0 :: v_dual_add_nc_u32 v9, -1, v0
	v_add_nc_u32_e32 v11, 0xf0, v62
	v_mov_b32_e32 v13, v62
	s_mov_b32 s1, 0
	s_delay_alu instid0(VALU_DEP_3)
	v_mov_b32_e32 v65, v64
.LBB29_37:                              ; =>This Inner Loop Header: Depth=1
	scratch_load_b64 v[66:67], v13, off
	ds_load_b64 v[68:69], v11
	s_wait_xcnt 0x0
	v_dual_add_nc_u32 v11, 8, v11 :: v_dual_add_nc_u32 v13, 8, v13
	s_wait_loadcnt_dscnt 0x0
	v_pk_mul_f32 v[70:71], v[68:69], v[66:67] op_sel:[1,1] op_sel_hi:[0,1]
	s_delay_alu instid0(VALU_DEP_1) | instskip(SKIP_2) | instid1(VALU_DEP_3)
	v_pk_fma_f32 v[72:73], v[68:69], v[66:67], v[70:71] op_sel_hi:[1,0,1]
	v_add_nc_u32_e32 v9, 1, v9
	v_pk_fma_f32 v[66:67], v[68:69], v[66:67], v[70:71] neg_lo:[0,0,1] neg_hi:[0,0,1]
	v_mov_b32_e32 v67, v73
	s_delay_alu instid0(VALU_DEP_3) | instskip(NEXT) | instid1(VALU_DEP_2)
	v_cmp_lt_u32_e32 vcc_lo, 4, v9
	v_pk_add_f32 v[64:65], v[64:65], v[66:67]
	s_or_b32 s1, vcc_lo, s1
	s_delay_alu instid0(SALU_CYCLE_1)
	s_and_not1_b32 exec_lo, exec_lo, s1
	s_cbranch_execnz .LBB29_37
; %bb.38:
	s_or_b32 exec_lo, exec_lo, s1
	v_mov_b32_e32 v9, 0
	ds_load_b64 v[66:67], v9 offset:48
	s_wait_dscnt 0x0
	v_pk_mul_f32 v[68:69], v[64:65], v[66:67] op_sel:[1,1] op_sel_hi:[0,1]
	s_delay_alu instid0(VALU_DEP_1) | instskip(SKIP_1) | instid1(VALU_DEP_2)
	v_pk_fma_f32 v[70:71], v[64:65], v[66:67], v[68:69] op_sel_hi:[1,0,1]
	v_pk_fma_f32 v[64:65], v[64:65], v[66:67], v[68:69] neg_lo:[0,0,1] neg_hi:[0,0,1]
	v_mov_b32_e32 v65, v71
	scratch_store_b64 off, v[64:65], off offset:48
.LBB29_39:
	s_wait_xcnt 0x0
	s_or_b32 exec_lo, exec_lo, s0
	s_wait_storecnt 0x0
	s_barrier_signal -1
	s_barrier_wait -1
	scratch_load_b64 v[64:65], off, off offset:56
	s_mov_b32 s0, exec_lo
	s_wait_loadcnt 0x0
	ds_store_b64 v1, v[64:65]
	s_wait_dscnt 0x0
	s_barrier_signal -1
	s_barrier_wait -1
	v_cmpx_gt_u32_e32 7, v0
	s_cbranch_execz .LBB29_43
; %bb.40:
	v_dual_mov_b32 v64, 0 :: v_dual_add_nc_u32 v9, -1, v0
	v_add_nc_u32_e32 v11, 0xf0, v62
	v_mov_b32_e32 v13, v62
	s_mov_b32 s1, 0
	s_delay_alu instid0(VALU_DEP_3)
	v_mov_b32_e32 v65, v64
.LBB29_41:                              ; =>This Inner Loop Header: Depth=1
	scratch_load_b64 v[66:67], v13, off
	ds_load_b64 v[68:69], v11
	s_wait_xcnt 0x0
	v_dual_add_nc_u32 v11, 8, v11 :: v_dual_add_nc_u32 v13, 8, v13
	s_wait_loadcnt_dscnt 0x0
	v_pk_mul_f32 v[70:71], v[68:69], v[66:67] op_sel:[1,1] op_sel_hi:[0,1]
	s_delay_alu instid0(VALU_DEP_1) | instskip(SKIP_2) | instid1(VALU_DEP_3)
	v_pk_fma_f32 v[72:73], v[68:69], v[66:67], v[70:71] op_sel_hi:[1,0,1]
	v_add_nc_u32_e32 v9, 1, v9
	v_pk_fma_f32 v[66:67], v[68:69], v[66:67], v[70:71] neg_lo:[0,0,1] neg_hi:[0,0,1]
	v_mov_b32_e32 v67, v73
	s_delay_alu instid0(VALU_DEP_3) | instskip(NEXT) | instid1(VALU_DEP_2)
	v_cmp_lt_u32_e32 vcc_lo, 5, v9
	v_pk_add_f32 v[64:65], v[64:65], v[66:67]
	s_or_b32 s1, vcc_lo, s1
	s_delay_alu instid0(SALU_CYCLE_1)
	s_and_not1_b32 exec_lo, exec_lo, s1
	s_cbranch_execnz .LBB29_41
; %bb.42:
	s_or_b32 exec_lo, exec_lo, s1
	v_mov_b32_e32 v9, 0
	ds_load_b64 v[66:67], v9 offset:56
	s_wait_dscnt 0x0
	v_pk_mul_f32 v[68:69], v[64:65], v[66:67] op_sel:[1,1] op_sel_hi:[0,1]
	s_delay_alu instid0(VALU_DEP_1) | instskip(SKIP_1) | instid1(VALU_DEP_2)
	v_pk_fma_f32 v[70:71], v[64:65], v[66:67], v[68:69] op_sel_hi:[1,0,1]
	v_pk_fma_f32 v[64:65], v[64:65], v[66:67], v[68:69] neg_lo:[0,0,1] neg_hi:[0,0,1]
	v_mov_b32_e32 v65, v71
	scratch_store_b64 off, v[64:65], off offset:56
.LBB29_43:
	s_wait_xcnt 0x0
	s_or_b32 exec_lo, exec_lo, s0
	s_wait_storecnt 0x0
	s_barrier_signal -1
	s_barrier_wait -1
	scratch_load_b64 v[64:65], off, off offset:64
	s_mov_b32 s0, exec_lo
	s_wait_loadcnt 0x0
	ds_store_b64 v1, v[64:65]
	s_wait_dscnt 0x0
	s_barrier_signal -1
	s_barrier_wait -1
	v_cmpx_gt_u32_e32 8, v0
	s_cbranch_execz .LBB29_47
; %bb.44:
	v_dual_mov_b32 v64, 0 :: v_dual_add_nc_u32 v9, -1, v0
	v_add_nc_u32_e32 v11, 0xf0, v62
	v_mov_b32_e32 v13, v62
	s_mov_b32 s1, 0
	s_delay_alu instid0(VALU_DEP_3)
	v_mov_b32_e32 v65, v64
.LBB29_45:                              ; =>This Inner Loop Header: Depth=1
	scratch_load_b64 v[66:67], v13, off
	ds_load_b64 v[68:69], v11
	s_wait_xcnt 0x0
	v_dual_add_nc_u32 v11, 8, v11 :: v_dual_add_nc_u32 v13, 8, v13
	s_wait_loadcnt_dscnt 0x0
	v_pk_mul_f32 v[70:71], v[68:69], v[66:67] op_sel:[1,1] op_sel_hi:[0,1]
	s_delay_alu instid0(VALU_DEP_1) | instskip(SKIP_2) | instid1(VALU_DEP_3)
	v_pk_fma_f32 v[72:73], v[68:69], v[66:67], v[70:71] op_sel_hi:[1,0,1]
	v_add_nc_u32_e32 v9, 1, v9
	v_pk_fma_f32 v[66:67], v[68:69], v[66:67], v[70:71] neg_lo:[0,0,1] neg_hi:[0,0,1]
	v_mov_b32_e32 v67, v73
	s_delay_alu instid0(VALU_DEP_3) | instskip(NEXT) | instid1(VALU_DEP_2)
	v_cmp_lt_u32_e32 vcc_lo, 6, v9
	v_pk_add_f32 v[64:65], v[64:65], v[66:67]
	s_or_b32 s1, vcc_lo, s1
	s_delay_alu instid0(SALU_CYCLE_1)
	s_and_not1_b32 exec_lo, exec_lo, s1
	s_cbranch_execnz .LBB29_45
; %bb.46:
	s_or_b32 exec_lo, exec_lo, s1
	v_mov_b32_e32 v9, 0
	ds_load_b64 v[66:67], v9 offset:64
	s_wait_dscnt 0x0
	v_pk_mul_f32 v[68:69], v[64:65], v[66:67] op_sel:[1,1] op_sel_hi:[0,1]
	s_delay_alu instid0(VALU_DEP_1) | instskip(SKIP_1) | instid1(VALU_DEP_2)
	v_pk_fma_f32 v[70:71], v[64:65], v[66:67], v[68:69] op_sel_hi:[1,0,1]
	v_pk_fma_f32 v[64:65], v[64:65], v[66:67], v[68:69] neg_lo:[0,0,1] neg_hi:[0,0,1]
	v_mov_b32_e32 v65, v71
	scratch_store_b64 off, v[64:65], off offset:64
.LBB29_47:
	s_wait_xcnt 0x0
	s_or_b32 exec_lo, exec_lo, s0
	s_wait_storecnt 0x0
	s_barrier_signal -1
	s_barrier_wait -1
	scratch_load_b64 v[64:65], off, off offset:72
	s_mov_b32 s0, exec_lo
	s_wait_loadcnt 0x0
	ds_store_b64 v1, v[64:65]
	s_wait_dscnt 0x0
	s_barrier_signal -1
	s_barrier_wait -1
	v_cmpx_gt_u32_e32 9, v0
	s_cbranch_execz .LBB29_51
; %bb.48:
	v_dual_mov_b32 v64, 0 :: v_dual_add_nc_u32 v9, -1, v0
	v_add_nc_u32_e32 v11, 0xf0, v62
	v_mov_b32_e32 v13, v62
	s_mov_b32 s1, 0
	s_delay_alu instid0(VALU_DEP_3)
	v_mov_b32_e32 v65, v64
.LBB29_49:                              ; =>This Inner Loop Header: Depth=1
	scratch_load_b64 v[66:67], v13, off
	ds_load_b64 v[68:69], v11
	s_wait_xcnt 0x0
	v_dual_add_nc_u32 v11, 8, v11 :: v_dual_add_nc_u32 v13, 8, v13
	s_wait_loadcnt_dscnt 0x0
	v_pk_mul_f32 v[70:71], v[68:69], v[66:67] op_sel:[1,1] op_sel_hi:[0,1]
	s_delay_alu instid0(VALU_DEP_1) | instskip(SKIP_2) | instid1(VALU_DEP_3)
	v_pk_fma_f32 v[72:73], v[68:69], v[66:67], v[70:71] op_sel_hi:[1,0,1]
	v_add_nc_u32_e32 v9, 1, v9
	v_pk_fma_f32 v[66:67], v[68:69], v[66:67], v[70:71] neg_lo:[0,0,1] neg_hi:[0,0,1]
	v_mov_b32_e32 v67, v73
	s_delay_alu instid0(VALU_DEP_3) | instskip(NEXT) | instid1(VALU_DEP_2)
	v_cmp_lt_u32_e32 vcc_lo, 7, v9
	v_pk_add_f32 v[64:65], v[64:65], v[66:67]
	s_or_b32 s1, vcc_lo, s1
	s_delay_alu instid0(SALU_CYCLE_1)
	s_and_not1_b32 exec_lo, exec_lo, s1
	s_cbranch_execnz .LBB29_49
; %bb.50:
	s_or_b32 exec_lo, exec_lo, s1
	v_mov_b32_e32 v9, 0
	ds_load_b64 v[66:67], v9 offset:72
	s_wait_dscnt 0x0
	v_pk_mul_f32 v[68:69], v[64:65], v[66:67] op_sel:[1,1] op_sel_hi:[0,1]
	s_delay_alu instid0(VALU_DEP_1) | instskip(SKIP_1) | instid1(VALU_DEP_2)
	v_pk_fma_f32 v[70:71], v[64:65], v[66:67], v[68:69] op_sel_hi:[1,0,1]
	v_pk_fma_f32 v[64:65], v[64:65], v[66:67], v[68:69] neg_lo:[0,0,1] neg_hi:[0,0,1]
	v_mov_b32_e32 v65, v71
	scratch_store_b64 off, v[64:65], off offset:72
.LBB29_51:
	s_wait_xcnt 0x0
	s_or_b32 exec_lo, exec_lo, s0
	s_wait_storecnt 0x0
	s_barrier_signal -1
	s_barrier_wait -1
	scratch_load_b64 v[64:65], off, off offset:80
	s_mov_b32 s0, exec_lo
	s_wait_loadcnt 0x0
	ds_store_b64 v1, v[64:65]
	s_wait_dscnt 0x0
	s_barrier_signal -1
	s_barrier_wait -1
	v_cmpx_gt_u32_e32 10, v0
	s_cbranch_execz .LBB29_55
; %bb.52:
	v_dual_mov_b32 v64, 0 :: v_dual_add_nc_u32 v9, -1, v0
	v_add_nc_u32_e32 v11, 0xf0, v62
	v_mov_b32_e32 v13, v62
	s_mov_b32 s1, 0
	s_delay_alu instid0(VALU_DEP_3)
	v_mov_b32_e32 v65, v64
.LBB29_53:                              ; =>This Inner Loop Header: Depth=1
	scratch_load_b64 v[66:67], v13, off
	ds_load_b64 v[68:69], v11
	s_wait_xcnt 0x0
	v_dual_add_nc_u32 v11, 8, v11 :: v_dual_add_nc_u32 v13, 8, v13
	s_wait_loadcnt_dscnt 0x0
	v_pk_mul_f32 v[70:71], v[68:69], v[66:67] op_sel:[1,1] op_sel_hi:[0,1]
	s_delay_alu instid0(VALU_DEP_1) | instskip(SKIP_2) | instid1(VALU_DEP_3)
	v_pk_fma_f32 v[72:73], v[68:69], v[66:67], v[70:71] op_sel_hi:[1,0,1]
	v_add_nc_u32_e32 v9, 1, v9
	v_pk_fma_f32 v[66:67], v[68:69], v[66:67], v[70:71] neg_lo:[0,0,1] neg_hi:[0,0,1]
	v_mov_b32_e32 v67, v73
	s_delay_alu instid0(VALU_DEP_3) | instskip(NEXT) | instid1(VALU_DEP_2)
	v_cmp_lt_u32_e32 vcc_lo, 8, v9
	v_pk_add_f32 v[64:65], v[64:65], v[66:67]
	s_or_b32 s1, vcc_lo, s1
	s_delay_alu instid0(SALU_CYCLE_1)
	s_and_not1_b32 exec_lo, exec_lo, s1
	s_cbranch_execnz .LBB29_53
; %bb.54:
	s_or_b32 exec_lo, exec_lo, s1
	v_mov_b32_e32 v9, 0
	ds_load_b64 v[66:67], v9 offset:80
	s_wait_dscnt 0x0
	v_pk_mul_f32 v[68:69], v[64:65], v[66:67] op_sel:[1,1] op_sel_hi:[0,1]
	s_delay_alu instid0(VALU_DEP_1) | instskip(SKIP_1) | instid1(VALU_DEP_2)
	v_pk_fma_f32 v[70:71], v[64:65], v[66:67], v[68:69] op_sel_hi:[1,0,1]
	v_pk_fma_f32 v[64:65], v[64:65], v[66:67], v[68:69] neg_lo:[0,0,1] neg_hi:[0,0,1]
	v_mov_b32_e32 v65, v71
	scratch_store_b64 off, v[64:65], off offset:80
.LBB29_55:
	s_wait_xcnt 0x0
	s_or_b32 exec_lo, exec_lo, s0
	s_wait_storecnt 0x0
	s_barrier_signal -1
	s_barrier_wait -1
	scratch_load_b64 v[64:65], off, off offset:88
	s_mov_b32 s0, exec_lo
	s_wait_loadcnt 0x0
	ds_store_b64 v1, v[64:65]
	s_wait_dscnt 0x0
	s_barrier_signal -1
	s_barrier_wait -1
	v_cmpx_gt_u32_e32 11, v0
	s_cbranch_execz .LBB29_59
; %bb.56:
	v_dual_mov_b32 v64, 0 :: v_dual_add_nc_u32 v9, -1, v0
	v_add_nc_u32_e32 v11, 0xf0, v62
	v_mov_b32_e32 v13, v62
	s_mov_b32 s1, 0
	s_delay_alu instid0(VALU_DEP_3)
	v_mov_b32_e32 v65, v64
.LBB29_57:                              ; =>This Inner Loop Header: Depth=1
	scratch_load_b64 v[66:67], v13, off
	ds_load_b64 v[68:69], v11
	s_wait_xcnt 0x0
	v_dual_add_nc_u32 v11, 8, v11 :: v_dual_add_nc_u32 v13, 8, v13
	s_wait_loadcnt_dscnt 0x0
	v_pk_mul_f32 v[70:71], v[68:69], v[66:67] op_sel:[1,1] op_sel_hi:[0,1]
	s_delay_alu instid0(VALU_DEP_1) | instskip(SKIP_2) | instid1(VALU_DEP_3)
	v_pk_fma_f32 v[72:73], v[68:69], v[66:67], v[70:71] op_sel_hi:[1,0,1]
	v_add_nc_u32_e32 v9, 1, v9
	v_pk_fma_f32 v[66:67], v[68:69], v[66:67], v[70:71] neg_lo:[0,0,1] neg_hi:[0,0,1]
	v_mov_b32_e32 v67, v73
	s_delay_alu instid0(VALU_DEP_3) | instskip(NEXT) | instid1(VALU_DEP_2)
	v_cmp_lt_u32_e32 vcc_lo, 9, v9
	v_pk_add_f32 v[64:65], v[64:65], v[66:67]
	s_or_b32 s1, vcc_lo, s1
	s_delay_alu instid0(SALU_CYCLE_1)
	s_and_not1_b32 exec_lo, exec_lo, s1
	s_cbranch_execnz .LBB29_57
; %bb.58:
	s_or_b32 exec_lo, exec_lo, s1
	v_mov_b32_e32 v9, 0
	ds_load_b64 v[66:67], v9 offset:88
	s_wait_dscnt 0x0
	v_pk_mul_f32 v[68:69], v[64:65], v[66:67] op_sel:[1,1] op_sel_hi:[0,1]
	s_delay_alu instid0(VALU_DEP_1) | instskip(SKIP_1) | instid1(VALU_DEP_2)
	v_pk_fma_f32 v[70:71], v[64:65], v[66:67], v[68:69] op_sel_hi:[1,0,1]
	v_pk_fma_f32 v[64:65], v[64:65], v[66:67], v[68:69] neg_lo:[0,0,1] neg_hi:[0,0,1]
	v_mov_b32_e32 v65, v71
	scratch_store_b64 off, v[64:65], off offset:88
.LBB29_59:
	s_wait_xcnt 0x0
	s_or_b32 exec_lo, exec_lo, s0
	s_wait_storecnt 0x0
	s_barrier_signal -1
	s_barrier_wait -1
	scratch_load_b64 v[64:65], off, off offset:96
	s_mov_b32 s0, exec_lo
	s_wait_loadcnt 0x0
	ds_store_b64 v1, v[64:65]
	s_wait_dscnt 0x0
	s_barrier_signal -1
	s_barrier_wait -1
	v_cmpx_gt_u32_e32 12, v0
	s_cbranch_execz .LBB29_63
; %bb.60:
	v_dual_mov_b32 v64, 0 :: v_dual_add_nc_u32 v9, -1, v0
	v_add_nc_u32_e32 v11, 0xf0, v62
	v_mov_b32_e32 v13, v62
	s_mov_b32 s1, 0
	s_delay_alu instid0(VALU_DEP_3)
	v_mov_b32_e32 v65, v64
.LBB29_61:                              ; =>This Inner Loop Header: Depth=1
	scratch_load_b64 v[66:67], v13, off
	ds_load_b64 v[68:69], v11
	s_wait_xcnt 0x0
	v_dual_add_nc_u32 v11, 8, v11 :: v_dual_add_nc_u32 v13, 8, v13
	s_wait_loadcnt_dscnt 0x0
	v_pk_mul_f32 v[70:71], v[68:69], v[66:67] op_sel:[1,1] op_sel_hi:[0,1]
	s_delay_alu instid0(VALU_DEP_1) | instskip(SKIP_2) | instid1(VALU_DEP_3)
	v_pk_fma_f32 v[72:73], v[68:69], v[66:67], v[70:71] op_sel_hi:[1,0,1]
	v_add_nc_u32_e32 v9, 1, v9
	v_pk_fma_f32 v[66:67], v[68:69], v[66:67], v[70:71] neg_lo:[0,0,1] neg_hi:[0,0,1]
	v_mov_b32_e32 v67, v73
	s_delay_alu instid0(VALU_DEP_3) | instskip(NEXT) | instid1(VALU_DEP_2)
	v_cmp_lt_u32_e32 vcc_lo, 10, v9
	v_pk_add_f32 v[64:65], v[64:65], v[66:67]
	s_or_b32 s1, vcc_lo, s1
	s_delay_alu instid0(SALU_CYCLE_1)
	s_and_not1_b32 exec_lo, exec_lo, s1
	s_cbranch_execnz .LBB29_61
; %bb.62:
	s_or_b32 exec_lo, exec_lo, s1
	v_mov_b32_e32 v9, 0
	ds_load_b64 v[66:67], v9 offset:96
	s_wait_dscnt 0x0
	v_pk_mul_f32 v[68:69], v[64:65], v[66:67] op_sel:[1,1] op_sel_hi:[0,1]
	s_delay_alu instid0(VALU_DEP_1) | instskip(SKIP_1) | instid1(VALU_DEP_2)
	v_pk_fma_f32 v[70:71], v[64:65], v[66:67], v[68:69] op_sel_hi:[1,0,1]
	v_pk_fma_f32 v[64:65], v[64:65], v[66:67], v[68:69] neg_lo:[0,0,1] neg_hi:[0,0,1]
	v_mov_b32_e32 v65, v71
	scratch_store_b64 off, v[64:65], off offset:96
.LBB29_63:
	s_wait_xcnt 0x0
	s_or_b32 exec_lo, exec_lo, s0
	s_wait_storecnt 0x0
	s_barrier_signal -1
	s_barrier_wait -1
	scratch_load_b64 v[64:65], off, off offset:104
	s_mov_b32 s0, exec_lo
	s_wait_loadcnt 0x0
	ds_store_b64 v1, v[64:65]
	s_wait_dscnt 0x0
	s_barrier_signal -1
	s_barrier_wait -1
	v_cmpx_gt_u32_e32 13, v0
	s_cbranch_execz .LBB29_67
; %bb.64:
	v_dual_mov_b32 v64, 0 :: v_dual_add_nc_u32 v9, -1, v0
	v_add_nc_u32_e32 v11, 0xf0, v62
	v_mov_b32_e32 v13, v62
	s_mov_b32 s1, 0
	s_delay_alu instid0(VALU_DEP_3)
	v_mov_b32_e32 v65, v64
.LBB29_65:                              ; =>This Inner Loop Header: Depth=1
	scratch_load_b64 v[66:67], v13, off
	ds_load_b64 v[68:69], v11
	s_wait_xcnt 0x0
	v_dual_add_nc_u32 v11, 8, v11 :: v_dual_add_nc_u32 v13, 8, v13
	s_wait_loadcnt_dscnt 0x0
	v_pk_mul_f32 v[70:71], v[68:69], v[66:67] op_sel:[1,1] op_sel_hi:[0,1]
	s_delay_alu instid0(VALU_DEP_1) | instskip(SKIP_2) | instid1(VALU_DEP_3)
	v_pk_fma_f32 v[72:73], v[68:69], v[66:67], v[70:71] op_sel_hi:[1,0,1]
	v_add_nc_u32_e32 v9, 1, v9
	v_pk_fma_f32 v[66:67], v[68:69], v[66:67], v[70:71] neg_lo:[0,0,1] neg_hi:[0,0,1]
	v_mov_b32_e32 v67, v73
	s_delay_alu instid0(VALU_DEP_3) | instskip(NEXT) | instid1(VALU_DEP_2)
	v_cmp_lt_u32_e32 vcc_lo, 11, v9
	v_pk_add_f32 v[64:65], v[64:65], v[66:67]
	s_or_b32 s1, vcc_lo, s1
	s_delay_alu instid0(SALU_CYCLE_1)
	s_and_not1_b32 exec_lo, exec_lo, s1
	s_cbranch_execnz .LBB29_65
; %bb.66:
	s_or_b32 exec_lo, exec_lo, s1
	v_mov_b32_e32 v9, 0
	ds_load_b64 v[66:67], v9 offset:104
	s_wait_dscnt 0x0
	v_pk_mul_f32 v[68:69], v[64:65], v[66:67] op_sel:[1,1] op_sel_hi:[0,1]
	s_delay_alu instid0(VALU_DEP_1) | instskip(SKIP_1) | instid1(VALU_DEP_2)
	v_pk_fma_f32 v[70:71], v[64:65], v[66:67], v[68:69] op_sel_hi:[1,0,1]
	v_pk_fma_f32 v[64:65], v[64:65], v[66:67], v[68:69] neg_lo:[0,0,1] neg_hi:[0,0,1]
	v_mov_b32_e32 v65, v71
	scratch_store_b64 off, v[64:65], off offset:104
.LBB29_67:
	s_wait_xcnt 0x0
	s_or_b32 exec_lo, exec_lo, s0
	s_wait_storecnt 0x0
	s_barrier_signal -1
	s_barrier_wait -1
	scratch_load_b64 v[64:65], off, off offset:112
	s_mov_b32 s0, exec_lo
	s_wait_loadcnt 0x0
	ds_store_b64 v1, v[64:65]
	s_wait_dscnt 0x0
	s_barrier_signal -1
	s_barrier_wait -1
	v_cmpx_gt_u32_e32 14, v0
	s_cbranch_execz .LBB29_71
; %bb.68:
	v_dual_mov_b32 v64, 0 :: v_dual_add_nc_u32 v9, -1, v0
	v_add_nc_u32_e32 v11, 0xf0, v62
	v_mov_b32_e32 v13, v62
	s_mov_b32 s1, 0
	s_delay_alu instid0(VALU_DEP_3)
	v_mov_b32_e32 v65, v64
.LBB29_69:                              ; =>This Inner Loop Header: Depth=1
	scratch_load_b64 v[66:67], v13, off
	ds_load_b64 v[68:69], v11
	s_wait_xcnt 0x0
	v_dual_add_nc_u32 v11, 8, v11 :: v_dual_add_nc_u32 v13, 8, v13
	s_wait_loadcnt_dscnt 0x0
	v_pk_mul_f32 v[70:71], v[68:69], v[66:67] op_sel:[1,1] op_sel_hi:[0,1]
	s_delay_alu instid0(VALU_DEP_1) | instskip(SKIP_2) | instid1(VALU_DEP_3)
	v_pk_fma_f32 v[72:73], v[68:69], v[66:67], v[70:71] op_sel_hi:[1,0,1]
	v_add_nc_u32_e32 v9, 1, v9
	v_pk_fma_f32 v[66:67], v[68:69], v[66:67], v[70:71] neg_lo:[0,0,1] neg_hi:[0,0,1]
	v_mov_b32_e32 v67, v73
	s_delay_alu instid0(VALU_DEP_3) | instskip(NEXT) | instid1(VALU_DEP_2)
	v_cmp_lt_u32_e32 vcc_lo, 12, v9
	v_pk_add_f32 v[64:65], v[64:65], v[66:67]
	s_or_b32 s1, vcc_lo, s1
	s_delay_alu instid0(SALU_CYCLE_1)
	s_and_not1_b32 exec_lo, exec_lo, s1
	s_cbranch_execnz .LBB29_69
; %bb.70:
	s_or_b32 exec_lo, exec_lo, s1
	v_mov_b32_e32 v9, 0
	ds_load_b64 v[66:67], v9 offset:112
	s_wait_dscnt 0x0
	v_pk_mul_f32 v[68:69], v[64:65], v[66:67] op_sel:[1,1] op_sel_hi:[0,1]
	s_delay_alu instid0(VALU_DEP_1) | instskip(SKIP_1) | instid1(VALU_DEP_2)
	v_pk_fma_f32 v[70:71], v[64:65], v[66:67], v[68:69] op_sel_hi:[1,0,1]
	v_pk_fma_f32 v[64:65], v[64:65], v[66:67], v[68:69] neg_lo:[0,0,1] neg_hi:[0,0,1]
	v_mov_b32_e32 v65, v71
	scratch_store_b64 off, v[64:65], off offset:112
.LBB29_71:
	s_wait_xcnt 0x0
	s_or_b32 exec_lo, exec_lo, s0
	s_wait_storecnt 0x0
	s_barrier_signal -1
	s_barrier_wait -1
	scratch_load_b64 v[64:65], off, off offset:120
	s_mov_b32 s0, exec_lo
	s_wait_loadcnt 0x0
	ds_store_b64 v1, v[64:65]
	s_wait_dscnt 0x0
	s_barrier_signal -1
	s_barrier_wait -1
	v_cmpx_gt_u32_e32 15, v0
	s_cbranch_execz .LBB29_75
; %bb.72:
	v_dual_mov_b32 v64, 0 :: v_dual_add_nc_u32 v9, -1, v0
	v_add_nc_u32_e32 v11, 0xf0, v62
	v_mov_b32_e32 v13, v62
	s_mov_b32 s1, 0
	s_delay_alu instid0(VALU_DEP_3)
	v_mov_b32_e32 v65, v64
.LBB29_73:                              ; =>This Inner Loop Header: Depth=1
	scratch_load_b64 v[66:67], v13, off
	ds_load_b64 v[68:69], v11
	s_wait_xcnt 0x0
	v_dual_add_nc_u32 v11, 8, v11 :: v_dual_add_nc_u32 v13, 8, v13
	s_wait_loadcnt_dscnt 0x0
	v_pk_mul_f32 v[70:71], v[68:69], v[66:67] op_sel:[1,1] op_sel_hi:[0,1]
	s_delay_alu instid0(VALU_DEP_1) | instskip(SKIP_2) | instid1(VALU_DEP_3)
	v_pk_fma_f32 v[72:73], v[68:69], v[66:67], v[70:71] op_sel_hi:[1,0,1]
	v_add_nc_u32_e32 v9, 1, v9
	v_pk_fma_f32 v[66:67], v[68:69], v[66:67], v[70:71] neg_lo:[0,0,1] neg_hi:[0,0,1]
	v_mov_b32_e32 v67, v73
	s_delay_alu instid0(VALU_DEP_3) | instskip(NEXT) | instid1(VALU_DEP_2)
	v_cmp_lt_u32_e32 vcc_lo, 13, v9
	v_pk_add_f32 v[64:65], v[64:65], v[66:67]
	s_or_b32 s1, vcc_lo, s1
	s_delay_alu instid0(SALU_CYCLE_1)
	s_and_not1_b32 exec_lo, exec_lo, s1
	s_cbranch_execnz .LBB29_73
; %bb.74:
	s_or_b32 exec_lo, exec_lo, s1
	v_mov_b32_e32 v9, 0
	ds_load_b64 v[66:67], v9 offset:120
	s_wait_dscnt 0x0
	v_pk_mul_f32 v[68:69], v[64:65], v[66:67] op_sel:[1,1] op_sel_hi:[0,1]
	s_delay_alu instid0(VALU_DEP_1) | instskip(SKIP_1) | instid1(VALU_DEP_2)
	v_pk_fma_f32 v[70:71], v[64:65], v[66:67], v[68:69] op_sel_hi:[1,0,1]
	v_pk_fma_f32 v[64:65], v[64:65], v[66:67], v[68:69] neg_lo:[0,0,1] neg_hi:[0,0,1]
	v_mov_b32_e32 v65, v71
	scratch_store_b64 off, v[64:65], off offset:120
.LBB29_75:
	s_wait_xcnt 0x0
	s_or_b32 exec_lo, exec_lo, s0
	s_wait_storecnt 0x0
	s_barrier_signal -1
	s_barrier_wait -1
	scratch_load_b64 v[64:65], off, off offset:128
	s_mov_b32 s0, exec_lo
	s_wait_loadcnt 0x0
	ds_store_b64 v1, v[64:65]
	s_wait_dscnt 0x0
	s_barrier_signal -1
	s_barrier_wait -1
	v_cmpx_gt_u32_e32 16, v0
	s_cbranch_execz .LBB29_79
; %bb.76:
	v_dual_mov_b32 v64, 0 :: v_dual_add_nc_u32 v9, -1, v0
	v_add_nc_u32_e32 v11, 0xf0, v62
	v_mov_b32_e32 v13, v62
	s_mov_b32 s1, 0
	s_delay_alu instid0(VALU_DEP_3)
	v_mov_b32_e32 v65, v64
.LBB29_77:                              ; =>This Inner Loop Header: Depth=1
	scratch_load_b64 v[66:67], v13, off
	ds_load_b64 v[68:69], v11
	s_wait_xcnt 0x0
	v_dual_add_nc_u32 v11, 8, v11 :: v_dual_add_nc_u32 v13, 8, v13
	s_wait_loadcnt_dscnt 0x0
	v_pk_mul_f32 v[70:71], v[68:69], v[66:67] op_sel:[1,1] op_sel_hi:[0,1]
	s_delay_alu instid0(VALU_DEP_1) | instskip(SKIP_2) | instid1(VALU_DEP_3)
	v_pk_fma_f32 v[72:73], v[68:69], v[66:67], v[70:71] op_sel_hi:[1,0,1]
	v_add_nc_u32_e32 v9, 1, v9
	v_pk_fma_f32 v[66:67], v[68:69], v[66:67], v[70:71] neg_lo:[0,0,1] neg_hi:[0,0,1]
	v_mov_b32_e32 v67, v73
	s_delay_alu instid0(VALU_DEP_3) | instskip(NEXT) | instid1(VALU_DEP_2)
	v_cmp_lt_u32_e32 vcc_lo, 14, v9
	v_pk_add_f32 v[64:65], v[64:65], v[66:67]
	s_or_b32 s1, vcc_lo, s1
	s_delay_alu instid0(SALU_CYCLE_1)
	s_and_not1_b32 exec_lo, exec_lo, s1
	s_cbranch_execnz .LBB29_77
; %bb.78:
	s_or_b32 exec_lo, exec_lo, s1
	v_mov_b32_e32 v9, 0
	ds_load_b64 v[66:67], v9 offset:128
	s_wait_dscnt 0x0
	v_pk_mul_f32 v[68:69], v[64:65], v[66:67] op_sel:[1,1] op_sel_hi:[0,1]
	s_delay_alu instid0(VALU_DEP_1) | instskip(SKIP_1) | instid1(VALU_DEP_2)
	v_pk_fma_f32 v[70:71], v[64:65], v[66:67], v[68:69] op_sel_hi:[1,0,1]
	v_pk_fma_f32 v[64:65], v[64:65], v[66:67], v[68:69] neg_lo:[0,0,1] neg_hi:[0,0,1]
	v_mov_b32_e32 v65, v71
	scratch_store_b64 off, v[64:65], off offset:128
.LBB29_79:
	s_wait_xcnt 0x0
	s_or_b32 exec_lo, exec_lo, s0
	s_wait_storecnt 0x0
	s_barrier_signal -1
	s_barrier_wait -1
	scratch_load_b64 v[64:65], off, off offset:136
	s_mov_b32 s0, exec_lo
	s_wait_loadcnt 0x0
	ds_store_b64 v1, v[64:65]
	s_wait_dscnt 0x0
	s_barrier_signal -1
	s_barrier_wait -1
	v_cmpx_gt_u32_e32 17, v0
	s_cbranch_execz .LBB29_83
; %bb.80:
	v_dual_mov_b32 v64, 0 :: v_dual_add_nc_u32 v9, -1, v0
	v_add_nc_u32_e32 v11, 0xf0, v62
	v_mov_b32_e32 v13, v62
	s_mov_b32 s1, 0
	s_delay_alu instid0(VALU_DEP_3)
	v_mov_b32_e32 v65, v64
.LBB29_81:                              ; =>This Inner Loop Header: Depth=1
	scratch_load_b64 v[66:67], v13, off
	ds_load_b64 v[68:69], v11
	s_wait_xcnt 0x0
	v_dual_add_nc_u32 v11, 8, v11 :: v_dual_add_nc_u32 v13, 8, v13
	s_wait_loadcnt_dscnt 0x0
	v_pk_mul_f32 v[70:71], v[68:69], v[66:67] op_sel:[1,1] op_sel_hi:[0,1]
	s_delay_alu instid0(VALU_DEP_1) | instskip(SKIP_2) | instid1(VALU_DEP_3)
	v_pk_fma_f32 v[72:73], v[68:69], v[66:67], v[70:71] op_sel_hi:[1,0,1]
	v_add_nc_u32_e32 v9, 1, v9
	v_pk_fma_f32 v[66:67], v[68:69], v[66:67], v[70:71] neg_lo:[0,0,1] neg_hi:[0,0,1]
	v_mov_b32_e32 v67, v73
	s_delay_alu instid0(VALU_DEP_3) | instskip(NEXT) | instid1(VALU_DEP_2)
	v_cmp_lt_u32_e32 vcc_lo, 15, v9
	v_pk_add_f32 v[64:65], v[64:65], v[66:67]
	s_or_b32 s1, vcc_lo, s1
	s_delay_alu instid0(SALU_CYCLE_1)
	s_and_not1_b32 exec_lo, exec_lo, s1
	s_cbranch_execnz .LBB29_81
; %bb.82:
	s_or_b32 exec_lo, exec_lo, s1
	v_mov_b32_e32 v9, 0
	ds_load_b64 v[66:67], v9 offset:136
	s_wait_dscnt 0x0
	v_pk_mul_f32 v[68:69], v[64:65], v[66:67] op_sel:[1,1] op_sel_hi:[0,1]
	s_delay_alu instid0(VALU_DEP_1) | instskip(SKIP_1) | instid1(VALU_DEP_2)
	v_pk_fma_f32 v[70:71], v[64:65], v[66:67], v[68:69] op_sel_hi:[1,0,1]
	v_pk_fma_f32 v[64:65], v[64:65], v[66:67], v[68:69] neg_lo:[0,0,1] neg_hi:[0,0,1]
	v_mov_b32_e32 v65, v71
	scratch_store_b64 off, v[64:65], off offset:136
.LBB29_83:
	s_wait_xcnt 0x0
	s_or_b32 exec_lo, exec_lo, s0
	s_wait_storecnt 0x0
	s_barrier_signal -1
	s_barrier_wait -1
	scratch_load_b64 v[64:65], off, off offset:144
	s_mov_b32 s0, exec_lo
	s_wait_loadcnt 0x0
	ds_store_b64 v1, v[64:65]
	s_wait_dscnt 0x0
	s_barrier_signal -1
	s_barrier_wait -1
	v_cmpx_gt_u32_e32 18, v0
	s_cbranch_execz .LBB29_87
; %bb.84:
	v_dual_mov_b32 v64, 0 :: v_dual_add_nc_u32 v9, -1, v0
	v_add_nc_u32_e32 v11, 0xf0, v62
	v_mov_b32_e32 v13, v62
	s_mov_b32 s1, 0
	s_delay_alu instid0(VALU_DEP_3)
	v_mov_b32_e32 v65, v64
.LBB29_85:                              ; =>This Inner Loop Header: Depth=1
	scratch_load_b64 v[66:67], v13, off
	ds_load_b64 v[68:69], v11
	s_wait_xcnt 0x0
	v_dual_add_nc_u32 v11, 8, v11 :: v_dual_add_nc_u32 v13, 8, v13
	s_wait_loadcnt_dscnt 0x0
	v_pk_mul_f32 v[70:71], v[68:69], v[66:67] op_sel:[1,1] op_sel_hi:[0,1]
	s_delay_alu instid0(VALU_DEP_1) | instskip(SKIP_2) | instid1(VALU_DEP_3)
	v_pk_fma_f32 v[72:73], v[68:69], v[66:67], v[70:71] op_sel_hi:[1,0,1]
	v_add_nc_u32_e32 v9, 1, v9
	v_pk_fma_f32 v[66:67], v[68:69], v[66:67], v[70:71] neg_lo:[0,0,1] neg_hi:[0,0,1]
	v_mov_b32_e32 v67, v73
	s_delay_alu instid0(VALU_DEP_3) | instskip(NEXT) | instid1(VALU_DEP_2)
	v_cmp_lt_u32_e32 vcc_lo, 16, v9
	v_pk_add_f32 v[64:65], v[64:65], v[66:67]
	s_or_b32 s1, vcc_lo, s1
	s_delay_alu instid0(SALU_CYCLE_1)
	s_and_not1_b32 exec_lo, exec_lo, s1
	s_cbranch_execnz .LBB29_85
; %bb.86:
	s_or_b32 exec_lo, exec_lo, s1
	v_mov_b32_e32 v9, 0
	ds_load_b64 v[66:67], v9 offset:144
	s_wait_dscnt 0x0
	v_pk_mul_f32 v[68:69], v[64:65], v[66:67] op_sel:[1,1] op_sel_hi:[0,1]
	s_delay_alu instid0(VALU_DEP_1) | instskip(SKIP_1) | instid1(VALU_DEP_2)
	v_pk_fma_f32 v[70:71], v[64:65], v[66:67], v[68:69] op_sel_hi:[1,0,1]
	v_pk_fma_f32 v[64:65], v[64:65], v[66:67], v[68:69] neg_lo:[0,0,1] neg_hi:[0,0,1]
	v_mov_b32_e32 v65, v71
	scratch_store_b64 off, v[64:65], off offset:144
.LBB29_87:
	s_wait_xcnt 0x0
	s_or_b32 exec_lo, exec_lo, s0
	s_wait_storecnt 0x0
	s_barrier_signal -1
	s_barrier_wait -1
	scratch_load_b64 v[64:65], off, off offset:152
	s_mov_b32 s0, exec_lo
	s_wait_loadcnt 0x0
	ds_store_b64 v1, v[64:65]
	s_wait_dscnt 0x0
	s_barrier_signal -1
	s_barrier_wait -1
	v_cmpx_gt_u32_e32 19, v0
	s_cbranch_execz .LBB29_91
; %bb.88:
	v_dual_mov_b32 v64, 0 :: v_dual_add_nc_u32 v9, -1, v0
	v_add_nc_u32_e32 v11, 0xf0, v62
	v_mov_b32_e32 v13, v62
	s_mov_b32 s1, 0
	s_delay_alu instid0(VALU_DEP_3)
	v_mov_b32_e32 v65, v64
.LBB29_89:                              ; =>This Inner Loop Header: Depth=1
	scratch_load_b64 v[66:67], v13, off
	ds_load_b64 v[68:69], v11
	s_wait_xcnt 0x0
	v_dual_add_nc_u32 v11, 8, v11 :: v_dual_add_nc_u32 v13, 8, v13
	s_wait_loadcnt_dscnt 0x0
	v_pk_mul_f32 v[70:71], v[68:69], v[66:67] op_sel:[1,1] op_sel_hi:[0,1]
	s_delay_alu instid0(VALU_DEP_1) | instskip(SKIP_2) | instid1(VALU_DEP_3)
	v_pk_fma_f32 v[72:73], v[68:69], v[66:67], v[70:71] op_sel_hi:[1,0,1]
	v_add_nc_u32_e32 v9, 1, v9
	v_pk_fma_f32 v[66:67], v[68:69], v[66:67], v[70:71] neg_lo:[0,0,1] neg_hi:[0,0,1]
	v_mov_b32_e32 v67, v73
	s_delay_alu instid0(VALU_DEP_3) | instskip(NEXT) | instid1(VALU_DEP_2)
	v_cmp_lt_u32_e32 vcc_lo, 17, v9
	v_pk_add_f32 v[64:65], v[64:65], v[66:67]
	s_or_b32 s1, vcc_lo, s1
	s_delay_alu instid0(SALU_CYCLE_1)
	s_and_not1_b32 exec_lo, exec_lo, s1
	s_cbranch_execnz .LBB29_89
; %bb.90:
	s_or_b32 exec_lo, exec_lo, s1
	v_mov_b32_e32 v9, 0
	ds_load_b64 v[66:67], v9 offset:152
	s_wait_dscnt 0x0
	v_pk_mul_f32 v[68:69], v[64:65], v[66:67] op_sel:[1,1] op_sel_hi:[0,1]
	s_delay_alu instid0(VALU_DEP_1) | instskip(SKIP_1) | instid1(VALU_DEP_2)
	v_pk_fma_f32 v[70:71], v[64:65], v[66:67], v[68:69] op_sel_hi:[1,0,1]
	v_pk_fma_f32 v[64:65], v[64:65], v[66:67], v[68:69] neg_lo:[0,0,1] neg_hi:[0,0,1]
	v_mov_b32_e32 v65, v71
	scratch_store_b64 off, v[64:65], off offset:152
.LBB29_91:
	s_wait_xcnt 0x0
	s_or_b32 exec_lo, exec_lo, s0
	s_wait_storecnt 0x0
	s_barrier_signal -1
	s_barrier_wait -1
	scratch_load_b64 v[64:65], off, off offset:160
	s_mov_b32 s0, exec_lo
	s_wait_loadcnt 0x0
	ds_store_b64 v1, v[64:65]
	s_wait_dscnt 0x0
	s_barrier_signal -1
	s_barrier_wait -1
	v_cmpx_gt_u32_e32 20, v0
	s_cbranch_execz .LBB29_95
; %bb.92:
	v_dual_mov_b32 v64, 0 :: v_dual_add_nc_u32 v9, -1, v0
	v_add_nc_u32_e32 v11, 0xf0, v62
	v_mov_b32_e32 v13, v62
	s_mov_b32 s1, 0
	s_delay_alu instid0(VALU_DEP_3)
	v_mov_b32_e32 v65, v64
.LBB29_93:                              ; =>This Inner Loop Header: Depth=1
	scratch_load_b64 v[66:67], v13, off
	ds_load_b64 v[68:69], v11
	s_wait_xcnt 0x0
	v_dual_add_nc_u32 v11, 8, v11 :: v_dual_add_nc_u32 v13, 8, v13
	s_wait_loadcnt_dscnt 0x0
	v_pk_mul_f32 v[70:71], v[68:69], v[66:67] op_sel:[1,1] op_sel_hi:[0,1]
	s_delay_alu instid0(VALU_DEP_1) | instskip(SKIP_2) | instid1(VALU_DEP_3)
	v_pk_fma_f32 v[72:73], v[68:69], v[66:67], v[70:71] op_sel_hi:[1,0,1]
	v_add_nc_u32_e32 v9, 1, v9
	v_pk_fma_f32 v[66:67], v[68:69], v[66:67], v[70:71] neg_lo:[0,0,1] neg_hi:[0,0,1]
	v_mov_b32_e32 v67, v73
	s_delay_alu instid0(VALU_DEP_3) | instskip(NEXT) | instid1(VALU_DEP_2)
	v_cmp_lt_u32_e32 vcc_lo, 18, v9
	v_pk_add_f32 v[64:65], v[64:65], v[66:67]
	s_or_b32 s1, vcc_lo, s1
	s_delay_alu instid0(SALU_CYCLE_1)
	s_and_not1_b32 exec_lo, exec_lo, s1
	s_cbranch_execnz .LBB29_93
; %bb.94:
	s_or_b32 exec_lo, exec_lo, s1
	v_mov_b32_e32 v9, 0
	ds_load_b64 v[66:67], v9 offset:160
	s_wait_dscnt 0x0
	v_pk_mul_f32 v[68:69], v[64:65], v[66:67] op_sel:[1,1] op_sel_hi:[0,1]
	s_delay_alu instid0(VALU_DEP_1) | instskip(SKIP_1) | instid1(VALU_DEP_2)
	v_pk_fma_f32 v[70:71], v[64:65], v[66:67], v[68:69] op_sel_hi:[1,0,1]
	v_pk_fma_f32 v[64:65], v[64:65], v[66:67], v[68:69] neg_lo:[0,0,1] neg_hi:[0,0,1]
	v_mov_b32_e32 v65, v71
	scratch_store_b64 off, v[64:65], off offset:160
.LBB29_95:
	s_wait_xcnt 0x0
	s_or_b32 exec_lo, exec_lo, s0
	s_wait_storecnt 0x0
	s_barrier_signal -1
	s_barrier_wait -1
	scratch_load_b64 v[64:65], off, off offset:168
	s_mov_b32 s0, exec_lo
	s_wait_loadcnt 0x0
	ds_store_b64 v1, v[64:65]
	s_wait_dscnt 0x0
	s_barrier_signal -1
	s_barrier_wait -1
	v_cmpx_gt_u32_e32 21, v0
	s_cbranch_execz .LBB29_99
; %bb.96:
	v_dual_mov_b32 v64, 0 :: v_dual_add_nc_u32 v9, -1, v0
	v_add_nc_u32_e32 v11, 0xf0, v62
	v_mov_b32_e32 v13, v62
	s_mov_b32 s1, 0
	s_delay_alu instid0(VALU_DEP_3)
	v_mov_b32_e32 v65, v64
.LBB29_97:                              ; =>This Inner Loop Header: Depth=1
	scratch_load_b64 v[66:67], v13, off
	ds_load_b64 v[68:69], v11
	s_wait_xcnt 0x0
	v_dual_add_nc_u32 v11, 8, v11 :: v_dual_add_nc_u32 v13, 8, v13
	s_wait_loadcnt_dscnt 0x0
	v_pk_mul_f32 v[70:71], v[68:69], v[66:67] op_sel:[1,1] op_sel_hi:[0,1]
	s_delay_alu instid0(VALU_DEP_1) | instskip(SKIP_2) | instid1(VALU_DEP_3)
	v_pk_fma_f32 v[72:73], v[68:69], v[66:67], v[70:71] op_sel_hi:[1,0,1]
	v_add_nc_u32_e32 v9, 1, v9
	v_pk_fma_f32 v[66:67], v[68:69], v[66:67], v[70:71] neg_lo:[0,0,1] neg_hi:[0,0,1]
	v_mov_b32_e32 v67, v73
	s_delay_alu instid0(VALU_DEP_3) | instskip(NEXT) | instid1(VALU_DEP_2)
	v_cmp_lt_u32_e32 vcc_lo, 19, v9
	v_pk_add_f32 v[64:65], v[64:65], v[66:67]
	s_or_b32 s1, vcc_lo, s1
	s_delay_alu instid0(SALU_CYCLE_1)
	s_and_not1_b32 exec_lo, exec_lo, s1
	s_cbranch_execnz .LBB29_97
; %bb.98:
	s_or_b32 exec_lo, exec_lo, s1
	v_mov_b32_e32 v9, 0
	ds_load_b64 v[66:67], v9 offset:168
	s_wait_dscnt 0x0
	v_pk_mul_f32 v[68:69], v[64:65], v[66:67] op_sel:[1,1] op_sel_hi:[0,1]
	s_delay_alu instid0(VALU_DEP_1) | instskip(SKIP_1) | instid1(VALU_DEP_2)
	v_pk_fma_f32 v[70:71], v[64:65], v[66:67], v[68:69] op_sel_hi:[1,0,1]
	v_pk_fma_f32 v[64:65], v[64:65], v[66:67], v[68:69] neg_lo:[0,0,1] neg_hi:[0,0,1]
	v_mov_b32_e32 v65, v71
	scratch_store_b64 off, v[64:65], off offset:168
.LBB29_99:
	s_wait_xcnt 0x0
	s_or_b32 exec_lo, exec_lo, s0
	s_wait_storecnt 0x0
	s_barrier_signal -1
	s_barrier_wait -1
	scratch_load_b64 v[64:65], off, off offset:176
	s_mov_b32 s0, exec_lo
	s_wait_loadcnt 0x0
	ds_store_b64 v1, v[64:65]
	s_wait_dscnt 0x0
	s_barrier_signal -1
	s_barrier_wait -1
	v_cmpx_gt_u32_e32 22, v0
	s_cbranch_execz .LBB29_103
; %bb.100:
	v_dual_mov_b32 v64, 0 :: v_dual_add_nc_u32 v9, -1, v0
	v_add_nc_u32_e32 v11, 0xf0, v62
	v_mov_b32_e32 v13, v62
	s_mov_b32 s1, 0
	s_delay_alu instid0(VALU_DEP_3)
	v_mov_b32_e32 v65, v64
.LBB29_101:                             ; =>This Inner Loop Header: Depth=1
	scratch_load_b64 v[66:67], v13, off
	ds_load_b64 v[68:69], v11
	s_wait_xcnt 0x0
	v_dual_add_nc_u32 v11, 8, v11 :: v_dual_add_nc_u32 v13, 8, v13
	s_wait_loadcnt_dscnt 0x0
	v_pk_mul_f32 v[70:71], v[68:69], v[66:67] op_sel:[1,1] op_sel_hi:[0,1]
	s_delay_alu instid0(VALU_DEP_1) | instskip(SKIP_2) | instid1(VALU_DEP_3)
	v_pk_fma_f32 v[72:73], v[68:69], v[66:67], v[70:71] op_sel_hi:[1,0,1]
	v_add_nc_u32_e32 v9, 1, v9
	v_pk_fma_f32 v[66:67], v[68:69], v[66:67], v[70:71] neg_lo:[0,0,1] neg_hi:[0,0,1]
	v_mov_b32_e32 v67, v73
	s_delay_alu instid0(VALU_DEP_3) | instskip(NEXT) | instid1(VALU_DEP_2)
	v_cmp_lt_u32_e32 vcc_lo, 20, v9
	v_pk_add_f32 v[64:65], v[64:65], v[66:67]
	s_or_b32 s1, vcc_lo, s1
	s_delay_alu instid0(SALU_CYCLE_1)
	s_and_not1_b32 exec_lo, exec_lo, s1
	s_cbranch_execnz .LBB29_101
; %bb.102:
	s_or_b32 exec_lo, exec_lo, s1
	v_mov_b32_e32 v9, 0
	ds_load_b64 v[66:67], v9 offset:176
	s_wait_dscnt 0x0
	v_pk_mul_f32 v[68:69], v[64:65], v[66:67] op_sel:[1,1] op_sel_hi:[0,1]
	s_delay_alu instid0(VALU_DEP_1) | instskip(SKIP_1) | instid1(VALU_DEP_2)
	v_pk_fma_f32 v[70:71], v[64:65], v[66:67], v[68:69] op_sel_hi:[1,0,1]
	v_pk_fma_f32 v[64:65], v[64:65], v[66:67], v[68:69] neg_lo:[0,0,1] neg_hi:[0,0,1]
	v_mov_b32_e32 v65, v71
	scratch_store_b64 off, v[64:65], off offset:176
.LBB29_103:
	s_wait_xcnt 0x0
	s_or_b32 exec_lo, exec_lo, s0
	s_wait_storecnt 0x0
	s_barrier_signal -1
	s_barrier_wait -1
	scratch_load_b64 v[64:65], off, off offset:184
	s_mov_b32 s0, exec_lo
	s_wait_loadcnt 0x0
	ds_store_b64 v1, v[64:65]
	s_wait_dscnt 0x0
	s_barrier_signal -1
	s_barrier_wait -1
	v_cmpx_gt_u32_e32 23, v0
	s_cbranch_execz .LBB29_107
; %bb.104:
	v_dual_mov_b32 v64, 0 :: v_dual_add_nc_u32 v9, -1, v0
	v_add_nc_u32_e32 v11, 0xf0, v62
	v_mov_b32_e32 v13, v62
	s_mov_b32 s1, 0
	s_delay_alu instid0(VALU_DEP_3)
	v_mov_b32_e32 v65, v64
.LBB29_105:                             ; =>This Inner Loop Header: Depth=1
	scratch_load_b64 v[66:67], v13, off
	ds_load_b64 v[68:69], v11
	s_wait_xcnt 0x0
	v_dual_add_nc_u32 v11, 8, v11 :: v_dual_add_nc_u32 v13, 8, v13
	s_wait_loadcnt_dscnt 0x0
	v_pk_mul_f32 v[70:71], v[68:69], v[66:67] op_sel:[1,1] op_sel_hi:[0,1]
	s_delay_alu instid0(VALU_DEP_1) | instskip(SKIP_2) | instid1(VALU_DEP_3)
	v_pk_fma_f32 v[72:73], v[68:69], v[66:67], v[70:71] op_sel_hi:[1,0,1]
	v_add_nc_u32_e32 v9, 1, v9
	v_pk_fma_f32 v[66:67], v[68:69], v[66:67], v[70:71] neg_lo:[0,0,1] neg_hi:[0,0,1]
	v_mov_b32_e32 v67, v73
	s_delay_alu instid0(VALU_DEP_3) | instskip(NEXT) | instid1(VALU_DEP_2)
	v_cmp_lt_u32_e32 vcc_lo, 21, v9
	v_pk_add_f32 v[64:65], v[64:65], v[66:67]
	s_or_b32 s1, vcc_lo, s1
	s_delay_alu instid0(SALU_CYCLE_1)
	s_and_not1_b32 exec_lo, exec_lo, s1
	s_cbranch_execnz .LBB29_105
; %bb.106:
	s_or_b32 exec_lo, exec_lo, s1
	v_mov_b32_e32 v9, 0
	ds_load_b64 v[66:67], v9 offset:184
	s_wait_dscnt 0x0
	v_pk_mul_f32 v[68:69], v[64:65], v[66:67] op_sel:[1,1] op_sel_hi:[0,1]
	s_delay_alu instid0(VALU_DEP_1) | instskip(SKIP_1) | instid1(VALU_DEP_2)
	v_pk_fma_f32 v[70:71], v[64:65], v[66:67], v[68:69] op_sel_hi:[1,0,1]
	v_pk_fma_f32 v[64:65], v[64:65], v[66:67], v[68:69] neg_lo:[0,0,1] neg_hi:[0,0,1]
	v_mov_b32_e32 v65, v71
	scratch_store_b64 off, v[64:65], off offset:184
.LBB29_107:
	s_wait_xcnt 0x0
	s_or_b32 exec_lo, exec_lo, s0
	s_wait_storecnt 0x0
	s_barrier_signal -1
	s_barrier_wait -1
	scratch_load_b64 v[64:65], off, off offset:192
	;; [unrolled: 52-line block ×7, first 2 shown]
	s_mov_b32 s0, exec_lo
	s_wait_loadcnt 0x0
	ds_store_b64 v1, v[64:65]
	s_wait_dscnt 0x0
	s_barrier_signal -1
	s_barrier_wait -1
	v_cmpx_ne_u32_e32 29, v0
	s_cbranch_execz .LBB29_131
; %bb.128:
	v_dual_mov_b32 v64, 0 :: v_dual_mov_b32 v9, v62
	s_mov_b32 s1, 0
	s_delay_alu instid0(VALU_DEP_1)
	v_mov_b32_e32 v65, v64
.LBB29_129:                             ; =>This Inner Loop Header: Depth=1
	scratch_load_b64 v[62:63], v9, off
	ds_load_b64 v[66:67], v1
	v_add_nc_u32_e32 v1, 8, v1
	s_wait_xcnt 0x0
	v_add_nc_u32_e32 v9, 8, v9
	s_wait_loadcnt_dscnt 0x0
	v_pk_mul_f32 v[68:69], v[66:67], v[62:63] op_sel:[1,1] op_sel_hi:[0,1]
	s_delay_alu instid0(VALU_DEP_1) | instskip(SKIP_2) | instid1(VALU_DEP_3)
	v_pk_fma_f32 v[70:71], v[66:67], v[62:63], v[68:69] op_sel_hi:[1,0,1]
	v_add_nc_u32_e32 v5, 1, v5
	v_pk_fma_f32 v[62:63], v[66:67], v[62:63], v[68:69] neg_lo:[0,0,1] neg_hi:[0,0,1]
	v_mov_b32_e32 v63, v71
	s_delay_alu instid0(VALU_DEP_3) | instskip(NEXT) | instid1(VALU_DEP_2)
	v_cmp_lt_u32_e32 vcc_lo, 27, v5
	v_pk_add_f32 v[64:65], v[64:65], v[62:63]
	s_or_b32 s1, vcc_lo, s1
	s_delay_alu instid0(SALU_CYCLE_1)
	s_and_not1_b32 exec_lo, exec_lo, s1
	s_cbranch_execnz .LBB29_129
; %bb.130:
	s_or_b32 exec_lo, exec_lo, s1
	v_mov_b32_e32 v1, 0
	ds_load_b64 v[62:63], v1 offset:232
	s_wait_dscnt 0x0
	v_pk_mul_f32 v[66:67], v[64:65], v[62:63] op_sel:[1,1] op_sel_hi:[0,1]
	s_delay_alu instid0(VALU_DEP_1) | instskip(SKIP_1) | instid1(VALU_DEP_2)
	v_pk_fma_f32 v[68:69], v[64:65], v[62:63], v[66:67] op_sel_hi:[1,0,1]
	v_pk_fma_f32 v[62:63], v[64:65], v[62:63], v[66:67] neg_lo:[0,0,1] neg_hi:[0,0,1]
	v_mov_b32_e32 v63, v69
	scratch_store_b64 off, v[62:63], off offset:232
.LBB29_131:
	s_wait_xcnt 0x0
	s_or_b32 exec_lo, exec_lo, s0
	s_mov_b32 s1, -1
	s_wait_storecnt 0x0
	s_barrier_signal -1
	s_barrier_wait -1
.LBB29_132:
	s_and_b32 vcc_lo, exec_lo, s1
	s_cbranch_vccz .LBB29_134
; %bb.133:
	v_mov_b32_e32 v1, 0
	s_lshl_b64 s[0:1], s[16:17], 2
	s_delay_alu instid0(SALU_CYCLE_1)
	s_add_nc_u64 s[0:1], s[6:7], s[0:1]
	global_load_b32 v1, v1, s[0:1]
	s_wait_loadcnt 0x0
	v_cmp_ne_u32_e32 vcc_lo, 0, v1
	s_cbranch_vccz .LBB29_135
.LBB29_134:
	s_sendmsg sendmsg(MSG_DEALLOC_VGPRS)
	s_endpgm
.LBB29_135:
	s_wait_xcnt 0x0
	v_lshl_add_u32 v1, v0, 3, 0xf0
	s_mov_b32 s0, exec_lo
	v_cmpx_eq_u32_e32 29, v0
	s_cbranch_execz .LBB29_137
; %bb.136:
	scratch_load_b64 v[62:63], off, off offset:224
	v_mov_b64_e32 v[64:65], 0
	scratch_store_b64 off, v[64:65], off offset:224
	s_wait_loadcnt 0x0
	ds_store_b64 v1, v[62:63]
.LBB29_137:
	s_wait_xcnt 0x0
	s_or_b32 exec_lo, exec_lo, s0
	s_wait_storecnt_dscnt 0x0
	s_barrier_signal -1
	s_barrier_wait -1
	s_clause 0x1
	scratch_load_b64 v[62:63], off, off offset:232
	scratch_load_b64 v[64:65], off, off offset:224
	v_mov_b32_e32 v5, 0
	s_mov_b32 s0, exec_lo
	ds_load_b64 v[66:67], v5 offset:472
	s_wait_loadcnt_dscnt 0x100
	v_pk_mul_f32 v[68:69], v[66:67], v[62:63] op_sel:[1,1] op_sel_hi:[0,1]
	s_delay_alu instid0(VALU_DEP_1) | instskip(SKIP_1) | instid1(VALU_DEP_2)
	v_pk_fma_f32 v[70:71], v[66:67], v[62:63], v[68:69] op_sel_hi:[1,0,1]
	v_pk_fma_f32 v[62:63], v[66:67], v[62:63], v[68:69] neg_lo:[0,0,1] neg_hi:[0,0,1]
	v_mov_b32_e32 v63, v71
	s_delay_alu instid0(VALU_DEP_1) | instskip(SKIP_1) | instid1(VALU_DEP_1)
	v_pk_add_f32 v[62:63], v[62:63], 0 op_sel_hi:[1,0]
	s_wait_loadcnt 0x0
	v_pk_add_f32 v[62:63], v[64:65], v[62:63] neg_lo:[0,1] neg_hi:[0,1]
	scratch_store_b64 off, v[62:63], off offset:224
	s_wait_xcnt 0x0
	v_cmpx_lt_u32_e32 27, v0
	s_cbranch_execz .LBB29_139
; %bb.138:
	scratch_load_b64 v[62:63], off, off offset:216
	v_mov_b64_e32 v[64:65], 0
	scratch_store_b64 off, v[64:65], off offset:216
	s_wait_loadcnt 0x0
	ds_store_b64 v1, v[62:63]
.LBB29_139:
	s_wait_xcnt 0x0
	s_or_b32 exec_lo, exec_lo, s0
	s_wait_storecnt_dscnt 0x0
	s_barrier_signal -1
	s_barrier_wait -1
	s_clause 0x1
	scratch_load_b128 v[62:65], off, off offset:224
	scratch_load_b64 v[70:71], off, off offset:216
	ds_load_b128 v[66:69], v5 offset:464
	s_mov_b32 s0, exec_lo
	s_wait_dscnt 0x0
	v_dual_mov_b32 v72, v69 :: v_dual_mov_b32 v73, v68
	s_wait_loadcnt 0x1
	v_pk_mul_f32 v[74:75], v[66:67], v[62:63] op_sel:[1,1] op_sel_hi:[0,1]
	s_delay_alu instid0(VALU_DEP_1) | instskip(SKIP_2) | instid1(VALU_DEP_3)
	v_pk_fma_f32 v[78:79], v[66:67], v[62:63], v[74:75] op_sel_hi:[1,0,1]
	v_mov_b32_e32 v76, v65
	v_pk_fma_f32 v[62:63], v[66:67], v[62:63], v[74:75] neg_lo:[0,0,1] neg_hi:[0,0,1]
	v_mov_b32_e32 v63, v79
	s_delay_alu instid0(VALU_DEP_3) | instskip(NEXT) | instid1(VALU_DEP_2)
	v_pk_mul_f32 v[72:73], v[72:73], v[76:77] op_sel_hi:[1,0]
	v_pk_add_f32 v[62:63], v[62:63], 0 op_sel_hi:[1,0]
	s_delay_alu instid0(VALU_DEP_2) | instskip(SKIP_1) | instid1(VALU_DEP_2)
	v_pk_fma_f32 v[66:67], v[68:69], v[64:65], v[72:73] op_sel_hi:[1,0,1]
	v_pk_fma_f32 v[64:65], v[68:69], v[64:65], v[72:73] neg_lo:[0,0,1] neg_hi:[0,0,1]
	v_mov_b32_e32 v65, v67
	s_delay_alu instid0(VALU_DEP_1) | instskip(SKIP_1) | instid1(VALU_DEP_1)
	v_pk_add_f32 v[62:63], v[62:63], v[64:65]
	s_wait_loadcnt 0x0
	v_pk_add_f32 v[62:63], v[70:71], v[62:63] neg_lo:[0,1] neg_hi:[0,1]
	scratch_store_b64 off, v[62:63], off offset:216
	s_wait_xcnt 0x0
	v_cmpx_lt_u32_e32 26, v0
	s_cbranch_execz .LBB29_141
; %bb.140:
	scratch_load_b64 v[62:63], off, off offset:208
	v_mov_b64_e32 v[64:65], 0
	scratch_store_b64 off, v[64:65], off offset:208
	s_wait_loadcnt 0x0
	ds_store_b64 v1, v[62:63]
.LBB29_141:
	s_wait_xcnt 0x0
	s_or_b32 exec_lo, exec_lo, s0
	s_wait_storecnt_dscnt 0x0
	s_barrier_signal -1
	s_barrier_wait -1
	s_clause 0x2
	scratch_load_b128 v[62:65], off, off offset:216
	scratch_load_b64 v[70:71], off, off offset:232
	scratch_load_b64 v[72:73], off, off offset:208
	v_mov_b32_e32 v5, 0
	ds_load_2addr_b64 v[66:69], v5 offset0:57 offset1:58
	ds_load_b64 v[74:75], v5 offset:472
	s_mov_b32 s0, exec_lo
	s_wait_dscnt 0x1
	v_dual_mov_b32 v76, v69 :: v_dual_mov_b32 v77, v68
	s_wait_loadcnt 0x2
	v_mov_b32_e32 v80, v65
	v_pk_mul_f32 v[78:79], v[66:67], v[62:63] op_sel:[1,1] op_sel_hi:[0,1]
	s_delay_alu instid0(VALU_DEP_2) | instskip(NEXT) | instid1(VALU_DEP_2)
	v_pk_mul_f32 v[76:77], v[76:77], v[80:81] op_sel_hi:[1,0]
	v_pk_fma_f32 v[82:83], v[66:67], v[62:63], v[78:79] op_sel_hi:[1,0,1]
	v_pk_fma_f32 v[62:63], v[66:67], v[62:63], v[78:79] neg_lo:[0,0,1] neg_hi:[0,0,1]
	s_wait_loadcnt_dscnt 0x100
	v_pk_mul_f32 v[78:79], v[74:75], v[70:71] op_sel:[1,1] op_sel_hi:[0,1]
	v_pk_fma_f32 v[66:67], v[68:69], v[64:65], v[76:77] op_sel_hi:[1,0,1]
	v_mov_b32_e32 v63, v83
	v_pk_fma_f32 v[64:65], v[68:69], v[64:65], v[76:77] neg_lo:[0,0,1] neg_hi:[0,0,1]
	s_delay_alu instid0(VALU_DEP_4) | instskip(NEXT) | instid1(VALU_DEP_4)
	v_pk_fma_f32 v[68:69], v[74:75], v[70:71], v[78:79] neg_lo:[0,0,1] neg_hi:[0,0,1]
	v_mov_b32_e32 v65, v67
	s_delay_alu instid0(VALU_DEP_4) | instskip(SKIP_1) | instid1(VALU_DEP_2)
	v_pk_add_f32 v[62:63], v[62:63], 0 op_sel_hi:[1,0]
	v_pk_fma_f32 v[66:67], v[74:75], v[70:71], v[78:79] op_sel_hi:[1,0,1]
	v_pk_add_f32 v[62:63], v[62:63], v[64:65]
	s_delay_alu instid0(VALU_DEP_2) | instskip(NEXT) | instid1(VALU_DEP_1)
	v_mov_b32_e32 v69, v67
	v_pk_add_f32 v[62:63], v[62:63], v[68:69]
	s_wait_loadcnt 0x0
	s_delay_alu instid0(VALU_DEP_1)
	v_pk_add_f32 v[62:63], v[72:73], v[62:63] neg_lo:[0,1] neg_hi:[0,1]
	scratch_store_b64 off, v[62:63], off offset:208
	s_wait_xcnt 0x0
	v_cmpx_lt_u32_e32 25, v0
	s_cbranch_execz .LBB29_143
; %bb.142:
	scratch_load_b64 v[62:63], off, off offset:200
	v_mov_b64_e32 v[64:65], 0
	scratch_store_b64 off, v[64:65], off offset:200
	s_wait_loadcnt 0x0
	ds_store_b64 v1, v[62:63]
.LBB29_143:
	s_wait_xcnt 0x0
	s_or_b32 exec_lo, exec_lo, s0
	s_wait_storecnt_dscnt 0x0
	s_barrier_signal -1
	s_barrier_wait -1
	s_clause 0x2
	scratch_load_b128 v[62:65], off, off offset:208
	scratch_load_b128 v[66:69], off, off offset:224
	scratch_load_b64 v[78:79], off, off offset:200
	ds_load_b128 v[70:73], v5 offset:448
	ds_load_b128 v[74:77], v5 offset:464
	s_mov_b32 s0, exec_lo
	s_wait_dscnt 0x1
	v_dual_mov_b32 v80, v73 :: v_dual_mov_b32 v81, v72
	s_wait_loadcnt_dscnt 0x200
	v_dual_mov_b32 v86, v77 :: v_dual_mov_b32 v84, v65
	v_pk_mul_f32 v[82:83], v[70:71], v[62:63] op_sel:[1,1] op_sel_hi:[0,1]
	s_delay_alu instid0(VALU_DEP_2) | instskip(NEXT) | instid1(VALU_DEP_2)
	v_pk_mul_f32 v[80:81], v[80:81], v[84:85] op_sel_hi:[1,0]
	v_pk_fma_f32 v[88:89], v[70:71], v[62:63], v[82:83] op_sel_hi:[1,0,1]
	v_pk_fma_f32 v[62:63], v[70:71], v[62:63], v[82:83] neg_lo:[0,0,1] neg_hi:[0,0,1]
	v_mov_b32_e32 v87, v76
	s_wait_loadcnt 0x1
	v_pk_mul_f32 v[84:85], v[74:75], v[66:67] op_sel:[1,1] op_sel_hi:[0,1]
	v_pk_fma_f32 v[70:71], v[72:73], v[64:65], v[80:81] op_sel_hi:[1,0,1]
	v_dual_mov_b32 v63, v89 :: v_dual_mov_b32 v70, v69
	v_pk_fma_f32 v[64:65], v[72:73], v[64:65], v[80:81] neg_lo:[0,0,1] neg_hi:[0,0,1]
	s_delay_alu instid0(VALU_DEP_4) | instskip(NEXT) | instid1(VALU_DEP_4)
	v_pk_fma_f32 v[82:83], v[74:75], v[66:67], v[84:85] op_sel_hi:[1,0,1]
	v_mov_b32_e32 v65, v71
	s_delay_alu instid0(VALU_DEP_4) | instskip(SKIP_2) | instid1(VALU_DEP_3)
	v_pk_add_f32 v[62:63], v[62:63], 0 op_sel_hi:[1,0]
	v_pk_mul_f32 v[70:71], v[86:87], v[70:71] op_sel_hi:[1,0]
	v_pk_fma_f32 v[66:67], v[74:75], v[66:67], v[84:85] neg_lo:[0,0,1] neg_hi:[0,0,1]
	v_pk_add_f32 v[62:63], v[62:63], v[64:65]
	s_delay_alu instid0(VALU_DEP_3) | instskip(SKIP_2) | instid1(VALU_DEP_3)
	v_pk_fma_f32 v[64:65], v[76:77], v[68:69], v[70:71] op_sel_hi:[1,0,1]
	v_mov_b32_e32 v67, v83
	v_pk_fma_f32 v[68:69], v[76:77], v[68:69], v[70:71] neg_lo:[0,0,1] neg_hi:[0,0,1]
	v_mov_b32_e32 v69, v65
	s_delay_alu instid0(VALU_DEP_3) | instskip(NEXT) | instid1(VALU_DEP_1)
	v_pk_add_f32 v[62:63], v[62:63], v[66:67]
	v_pk_add_f32 v[62:63], v[62:63], v[68:69]
	s_wait_loadcnt 0x0
	s_delay_alu instid0(VALU_DEP_1)
	v_pk_add_f32 v[62:63], v[78:79], v[62:63] neg_lo:[0,1] neg_hi:[0,1]
	scratch_store_b64 off, v[62:63], off offset:200
	s_wait_xcnt 0x0
	v_cmpx_lt_u32_e32 24, v0
	s_cbranch_execz .LBB29_145
; %bb.144:
	scratch_load_b64 v[62:63], off, off offset:192
	v_mov_b64_e32 v[64:65], 0
	scratch_store_b64 off, v[64:65], off offset:192
	s_wait_loadcnt 0x0
	ds_store_b64 v1, v[62:63]
.LBB29_145:
	s_wait_xcnt 0x0
	s_or_b32 exec_lo, exec_lo, s0
	s_wait_storecnt_dscnt 0x0
	s_barrier_signal -1
	s_barrier_wait -1
	s_clause 0x3
	scratch_load_b128 v[62:65], off, off offset:200
	scratch_load_b128 v[66:69], off, off offset:216
	scratch_load_b64 v[78:79], off, off offset:232
	scratch_load_b64 v[80:81], off, off offset:192
	v_mov_b32_e32 v5, 0
	ds_load_2addr_b64 v[70:73], v5 offset0:55 offset1:56
	ds_load_2addr_b64 v[74:77], v5 offset0:57 offset1:58
	s_mov_b32 s0, exec_lo
	s_wait_dscnt 0x1
	v_dual_mov_b32 v82, v73 :: v_dual_mov_b32 v83, v72
	ds_load_b64 v[88:89], v5 offset:472
	s_wait_dscnt 0x1
	v_dual_mov_b32 v90, v77 :: v_dual_mov_b32 v91, v76
	s_wait_loadcnt 0x3
	v_pk_mul_f32 v[84:85], v[70:71], v[62:63] op_sel:[1,1] op_sel_hi:[0,1]
	v_mov_b32_e32 v86, v65
	s_delay_alu instid0(VALU_DEP_2) | instskip(NEXT) | instid1(VALU_DEP_2)
	v_pk_fma_f32 v[92:93], v[70:71], v[62:63], v[84:85] op_sel_hi:[1,0,1]
	v_pk_mul_f32 v[82:83], v[82:83], v[86:87] op_sel_hi:[1,0]
	v_pk_fma_f32 v[62:63], v[70:71], v[62:63], v[84:85] neg_lo:[0,0,1] neg_hi:[0,0,1]
	s_wait_loadcnt 0x2
	v_pk_mul_f32 v[86:87], v[74:75], v[66:67] op_sel:[1,1] op_sel_hi:[0,1]
	v_dual_mov_b32 v92, v69 :: v_dual_mov_b32 v63, v93
	v_pk_fma_f32 v[70:71], v[72:73], v[64:65], v[82:83] op_sel_hi:[1,0,1]
	v_pk_fma_f32 v[64:65], v[72:73], v[64:65], v[82:83] neg_lo:[0,0,1] neg_hi:[0,0,1]
	s_delay_alu instid0(VALU_DEP_4) | instskip(NEXT) | instid1(VALU_DEP_4)
	v_pk_fma_f32 v[84:85], v[74:75], v[66:67], v[86:87] op_sel_hi:[1,0,1]
	v_pk_mul_f32 v[90:91], v[90:91], v[92:93] op_sel_hi:[1,0]
	v_pk_add_f32 v[62:63], v[62:63], 0 op_sel_hi:[1,0]
	v_mov_b32_e32 v65, v71
	v_pk_fma_f32 v[66:67], v[74:75], v[66:67], v[86:87] neg_lo:[0,0,1] neg_hi:[0,0,1]
	v_mov_b32_e32 v67, v85
	v_pk_fma_f32 v[70:71], v[76:77], v[68:69], v[90:91] op_sel_hi:[1,0,1]
	v_pk_fma_f32 v[68:69], v[76:77], v[68:69], v[90:91] neg_lo:[0,0,1] neg_hi:[0,0,1]
	v_pk_add_f32 v[62:63], v[62:63], v[64:65]
	s_wait_loadcnt_dscnt 0x100
	v_pk_mul_f32 v[64:65], v[88:89], v[78:79] op_sel:[1,1] op_sel_hi:[0,1]
	s_delay_alu instid0(VALU_DEP_2) | instskip(NEXT) | instid1(VALU_DEP_2)
	v_pk_add_f32 v[62:63], v[62:63], v[66:67]
	v_pk_fma_f32 v[66:67], v[88:89], v[78:79], v[64:65] op_sel_hi:[1,0,1]
	v_mov_b32_e32 v69, v71
	v_pk_fma_f32 v[64:65], v[88:89], v[78:79], v[64:65] neg_lo:[0,0,1] neg_hi:[0,0,1]
	s_delay_alu instid0(VALU_DEP_3) | instskip(NEXT) | instid1(VALU_DEP_3)
	v_mov_b32_e32 v65, v67
	v_pk_add_f32 v[62:63], v[62:63], v[68:69]
	s_delay_alu instid0(VALU_DEP_1) | instskip(SKIP_1) | instid1(VALU_DEP_1)
	v_pk_add_f32 v[62:63], v[62:63], v[64:65]
	s_wait_loadcnt 0x0
	v_pk_add_f32 v[62:63], v[80:81], v[62:63] neg_lo:[0,1] neg_hi:[0,1]
	scratch_store_b64 off, v[62:63], off offset:192
	s_wait_xcnt 0x0
	v_cmpx_lt_u32_e32 23, v0
	s_cbranch_execz .LBB29_147
; %bb.146:
	scratch_load_b64 v[62:63], off, off offset:184
	v_mov_b64_e32 v[64:65], 0
	scratch_store_b64 off, v[64:65], off offset:184
	s_wait_loadcnt 0x0
	ds_store_b64 v1, v[62:63]
.LBB29_147:
	s_wait_xcnt 0x0
	s_or_b32 exec_lo, exec_lo, s0
	s_wait_storecnt_dscnt 0x0
	s_barrier_signal -1
	s_barrier_wait -1
	s_clause 0x3
	scratch_load_b128 v[62:65], off, off offset:192
	scratch_load_b128 v[66:69], off, off offset:208
	;; [unrolled: 1-line block ×3, first 2 shown]
	scratch_load_b64 v[86:87], off, off offset:184
	ds_load_b128 v[74:77], v5 offset:432
	ds_load_b128 v[78:81], v5 offset:448
	;; [unrolled: 1-line block ×3, first 2 shown]
	s_mov_b32 s0, exec_lo
	s_wait_dscnt 0x2
	v_dual_mov_b32 v88, v77 :: v_dual_mov_b32 v89, v76
	s_wait_dscnt 0x1
	v_dual_mov_b32 v90, v81 :: v_dual_mov_b32 v91, v80
	;; [unrolled: 2-line block ×3, first 2 shown]
	s_wait_loadcnt 0x3
	v_pk_mul_f32 v[92:93], v[74:75], v[62:63] op_sel:[1,1] op_sel_hi:[0,1]
	v_mov_b32_e32 v94, v65
	s_delay_alu instid0(VALU_DEP_2) | instskip(NEXT) | instid1(VALU_DEP_2)
	v_pk_fma_f32 v[98:99], v[74:75], v[62:63], v[92:93] op_sel_hi:[1,0,1]
	v_pk_mul_f32 v[88:89], v[88:89], v[94:95] op_sel_hi:[1,0]
	v_pk_fma_f32 v[62:63], v[74:75], v[62:63], v[92:93] neg_lo:[0,0,1] neg_hi:[0,0,1]
	s_wait_loadcnt 0x2
	v_pk_mul_f32 v[94:95], v[78:79], v[66:67] op_sel:[1,1] op_sel_hi:[0,1]
	v_mov_b32_e32 v98, v69
	v_pk_fma_f32 v[74:75], v[76:77], v[64:65], v[88:89] op_sel_hi:[1,0,1]
	v_mov_b32_e32 v63, v99
	v_pk_fma_f32 v[64:65], v[76:77], v[64:65], v[88:89] neg_lo:[0,0,1] neg_hi:[0,0,1]
	v_pk_fma_f32 v[92:93], v[78:79], v[66:67], v[94:95] op_sel_hi:[1,0,1]
	v_pk_mul_f32 v[90:91], v[90:91], v[98:99] op_sel_hi:[1,0]
	v_mov_b32_e32 v65, v75
	v_pk_add_f32 v[62:63], v[62:63], 0 op_sel_hi:[1,0]
	v_pk_fma_f32 v[66:67], v[78:79], v[66:67], v[94:95] neg_lo:[0,0,1] neg_hi:[0,0,1]
	s_wait_loadcnt 0x1
	v_pk_mul_f32 v[74:75], v[82:83], v[70:71] op_sel:[1,1] op_sel_hi:[0,1]
	v_mov_b32_e32 v67, v93
	v_pk_fma_f32 v[76:77], v[80:81], v[68:69], v[90:91] op_sel_hi:[1,0,1]
	v_pk_add_f32 v[62:63], v[62:63], v[64:65]
	v_mov_b32_e32 v64, v73
	v_pk_fma_f32 v[68:69], v[80:81], v[68:69], v[90:91] neg_lo:[0,0,1] neg_hi:[0,0,1]
	v_pk_fma_f32 v[78:79], v[82:83], v[70:71], v[74:75] op_sel_hi:[1,0,1]
	v_mov_b32_e32 v69, v77
	v_pk_add_f32 v[62:63], v[62:63], v[66:67]
	v_pk_mul_f32 v[64:65], v[96:97], v[64:65] op_sel_hi:[1,0]
	v_pk_fma_f32 v[66:67], v[82:83], v[70:71], v[74:75] neg_lo:[0,0,1] neg_hi:[0,0,1]
	v_mov_b32_e32 v67, v79
	s_delay_alu instid0(VALU_DEP_4) | instskip(NEXT) | instid1(VALU_DEP_4)
	v_pk_add_f32 v[62:63], v[62:63], v[68:69]
	v_pk_fma_f32 v[68:69], v[84:85], v[72:73], v[64:65] op_sel_hi:[1,0,1]
	v_pk_fma_f32 v[64:65], v[84:85], v[72:73], v[64:65] neg_lo:[0,0,1] neg_hi:[0,0,1]
	s_delay_alu instid0(VALU_DEP_3) | instskip(NEXT) | instid1(VALU_DEP_3)
	v_pk_add_f32 v[62:63], v[62:63], v[66:67]
	v_mov_b32_e32 v65, v69
	s_delay_alu instid0(VALU_DEP_1) | instskip(SKIP_1) | instid1(VALU_DEP_1)
	v_pk_add_f32 v[62:63], v[62:63], v[64:65]
	s_wait_loadcnt 0x0
	v_pk_add_f32 v[62:63], v[86:87], v[62:63] neg_lo:[0,1] neg_hi:[0,1]
	scratch_store_b64 off, v[62:63], off offset:184
	s_wait_xcnt 0x0
	v_cmpx_lt_u32_e32 22, v0
	s_cbranch_execz .LBB29_149
; %bb.148:
	scratch_load_b64 v[62:63], off, off offset:176
	v_mov_b64_e32 v[64:65], 0
	scratch_store_b64 off, v[64:65], off offset:176
	s_wait_loadcnt 0x0
	ds_store_b64 v1, v[62:63]
.LBB29_149:
	s_wait_xcnt 0x0
	s_or_b32 exec_lo, exec_lo, s0
	s_wait_storecnt_dscnt 0x0
	s_barrier_signal -1
	s_barrier_wait -1
	s_clause 0x4
	scratch_load_b128 v[62:65], off, off offset:184
	scratch_load_b128 v[66:69], off, off offset:200
	;; [unrolled: 1-line block ×3, first 2 shown]
	scratch_load_b64 v[86:87], off, off offset:232
	scratch_load_b64 v[88:89], off, off offset:176
	v_mov_b32_e32 v5, 0
	ds_load_2addr_b64 v[74:77], v5 offset0:53 offset1:54
	ds_load_2addr_b64 v[78:81], v5 offset0:55 offset1:56
	;; [unrolled: 1-line block ×3, first 2 shown]
	ds_load_b64 v[90:91], v5 offset:472
	s_mov_b32 s0, exec_lo
	s_wait_dscnt 0x3
	v_dual_mov_b32 v92, v77 :: v_dual_mov_b32 v93, v76
	s_wait_dscnt 0x2
	v_dual_mov_b32 v94, v81 :: v_dual_mov_b32 v95, v80
	;; [unrolled: 2-line block ×3, first 2 shown]
	s_wait_loadcnt 0x4
	v_pk_mul_f32 v[96:97], v[74:75], v[62:63] op_sel:[1,1] op_sel_hi:[0,1]
	v_mov_b32_e32 v98, v65
	s_wait_loadcnt 0x3
	v_pk_mul_f32 v[102:103], v[78:79], v[66:67] op_sel:[1,1] op_sel_hi:[0,1]
	s_wait_loadcnt 0x2
	v_pk_mul_f32 v[106:107], v[82:83], v[70:71] op_sel:[1,1] op_sel_hi:[0,1]
	v_pk_fma_f32 v[104:105], v[74:75], v[62:63], v[96:97] op_sel_hi:[1,0,1]
	v_pk_mul_f32 v[92:93], v[92:93], v[98:99] op_sel_hi:[1,0]
	v_pk_fma_f32 v[62:63], v[74:75], v[62:63], v[96:97] neg_lo:[0,0,1] neg_hi:[0,0,1]
	v_mov_b32_e32 v98, v69
	v_pk_fma_f32 v[96:97], v[78:79], v[66:67], v[102:103] op_sel_hi:[1,0,1]
	v_mov_b32_e32 v63, v105
	v_pk_fma_f32 v[74:75], v[76:77], v[64:65], v[92:93] op_sel_hi:[1,0,1]
	v_pk_fma_f32 v[64:65], v[76:77], v[64:65], v[92:93] neg_lo:[0,0,1] neg_hi:[0,0,1]
	v_pk_mul_f32 v[94:95], v[94:95], v[98:99] op_sel_hi:[1,0]
	v_pk_fma_f32 v[66:67], v[78:79], v[66:67], v[102:103] neg_lo:[0,0,1] neg_hi:[0,0,1]
	v_pk_add_f32 v[62:63], v[62:63], 0 op_sel_hi:[1,0]
	v_dual_mov_b32 v65, v75 :: v_dual_mov_b32 v74, v73
	s_delay_alu instid0(VALU_DEP_4) | instskip(SKIP_2) | instid1(VALU_DEP_4)
	v_pk_fma_f32 v[76:77], v[80:81], v[68:69], v[94:95] op_sel_hi:[1,0,1]
	v_mov_b32_e32 v67, v97
	v_pk_fma_f32 v[68:69], v[80:81], v[68:69], v[94:95] neg_lo:[0,0,1] neg_hi:[0,0,1]
	v_pk_add_f32 v[62:63], v[62:63], v[64:65]
	v_pk_fma_f32 v[64:65], v[82:83], v[70:71], v[106:107] op_sel_hi:[1,0,1]
	v_pk_mul_f32 v[74:75], v[100:101], v[74:75] op_sel_hi:[1,0]
	v_mov_b32_e32 v69, v77
	s_delay_alu instid0(VALU_DEP_4)
	v_pk_add_f32 v[62:63], v[62:63], v[66:67]
	v_pk_fma_f32 v[66:67], v[82:83], v[70:71], v[106:107] neg_lo:[0,0,1] neg_hi:[0,0,1]
	v_mov_b32_e32 v67, v65
	v_pk_fma_f32 v[64:65], v[84:85], v[72:73], v[74:75] op_sel_hi:[1,0,1]
	v_pk_fma_f32 v[70:71], v[84:85], v[72:73], v[74:75] neg_lo:[0,0,1] neg_hi:[0,0,1]
	v_pk_add_f32 v[62:63], v[62:63], v[68:69]
	s_wait_loadcnt_dscnt 0x100
	v_pk_mul_f32 v[68:69], v[90:91], v[86:87] op_sel:[1,1] op_sel_hi:[0,1]
	v_mov_b32_e32 v71, v65
	s_delay_alu instid0(VALU_DEP_3) | instskip(NEXT) | instid1(VALU_DEP_3)
	v_pk_add_f32 v[62:63], v[62:63], v[66:67]
	v_pk_fma_f32 v[64:65], v[90:91], v[86:87], v[68:69] op_sel_hi:[1,0,1]
	v_pk_fma_f32 v[66:67], v[90:91], v[86:87], v[68:69] neg_lo:[0,0,1] neg_hi:[0,0,1]
	s_delay_alu instid0(VALU_DEP_3) | instskip(NEXT) | instid1(VALU_DEP_3)
	v_pk_add_f32 v[62:63], v[62:63], v[70:71]
	v_mov_b32_e32 v67, v65
	s_delay_alu instid0(VALU_DEP_1) | instskip(SKIP_1) | instid1(VALU_DEP_1)
	v_pk_add_f32 v[62:63], v[62:63], v[66:67]
	s_wait_loadcnt 0x0
	v_pk_add_f32 v[62:63], v[88:89], v[62:63] neg_lo:[0,1] neg_hi:[0,1]
	scratch_store_b64 off, v[62:63], off offset:176
	s_wait_xcnt 0x0
	v_cmpx_lt_u32_e32 21, v0
	s_cbranch_execz .LBB29_151
; %bb.150:
	scratch_load_b64 v[62:63], off, off offset:168
	v_mov_b64_e32 v[64:65], 0
	scratch_store_b64 off, v[64:65], off offset:168
	s_wait_loadcnt 0x0
	ds_store_b64 v1, v[62:63]
.LBB29_151:
	s_wait_xcnt 0x0
	s_or_b32 exec_lo, exec_lo, s0
	s_wait_storecnt_dscnt 0x0
	s_barrier_signal -1
	s_barrier_wait -1
	s_clause 0x4
	scratch_load_b128 v[62:65], off, off offset:176
	scratch_load_b128 v[66:69], off, off offset:192
	;; [unrolled: 1-line block ×4, first 2 shown]
	scratch_load_b64 v[94:95], off, off offset:168
	ds_load_b128 v[78:81], v5 offset:416
	ds_load_b128 v[82:85], v5 offset:432
	;; [unrolled: 1-line block ×4, first 2 shown]
	s_mov_b32 s0, exec_lo
	s_wait_dscnt 0x3
	v_dual_mov_b32 v96, v81 :: v_dual_mov_b32 v97, v80
	s_wait_dscnt 0x2
	v_dual_mov_b32 v98, v85 :: v_dual_mov_b32 v99, v84
	s_wait_dscnt 0x0
	v_dual_mov_b32 v107, v92 :: v_dual_mov_b32 v100, v89
	v_dual_mov_b32 v101, v88 :: v_dual_mov_b32 v106, v93
	s_wait_loadcnt 0x4
	v_mov_b32_e32 v104, v65
	v_pk_mul_f32 v[102:103], v[78:79], v[62:63] op_sel:[1,1] op_sel_hi:[0,1]
	s_wait_loadcnt 0x3
	v_pk_mul_f32 v[108:109], v[82:83], v[66:67] op_sel:[1,1] op_sel_hi:[0,1]
	s_wait_loadcnt 0x2
	v_pk_mul_f32 v[112:113], v[86:87], v[70:71] op_sel:[1,1] op_sel_hi:[0,1]
	v_pk_mul_f32 v[96:97], v[96:97], v[104:105] op_sel_hi:[1,0]
	v_pk_fma_f32 v[110:111], v[78:79], v[62:63], v[102:103] op_sel_hi:[1,0,1]
	v_pk_fma_f32 v[62:63], v[78:79], v[62:63], v[102:103] neg_lo:[0,0,1] neg_hi:[0,0,1]
	v_mov_b32_e32 v104, v69
	v_pk_fma_f32 v[102:103], v[82:83], v[66:67], v[108:109] op_sel_hi:[1,0,1]
	v_pk_fma_f32 v[78:79], v[80:81], v[64:65], v[96:97] op_sel_hi:[1,0,1]
	v_mov_b32_e32 v63, v111
	v_pk_fma_f32 v[64:65], v[80:81], v[64:65], v[96:97] neg_lo:[0,0,1] neg_hi:[0,0,1]
	v_pk_mul_f32 v[98:99], v[98:99], v[104:105] op_sel_hi:[1,0]
	s_delay_alu instid0(VALU_DEP_4) | instskip(NEXT) | instid1(VALU_DEP_4)
	v_dual_mov_b32 v78, v73 :: v_dual_mov_b32 v65, v79
	v_pk_add_f32 v[62:63], v[62:63], 0 op_sel_hi:[1,0]
	v_pk_fma_f32 v[66:67], v[82:83], v[66:67], v[108:109] neg_lo:[0,0,1] neg_hi:[0,0,1]
	v_mov_b32_e32 v67, v103
	v_pk_fma_f32 v[80:81], v[84:85], v[68:69], v[98:99] op_sel_hi:[1,0,1]
	v_pk_mul_f32 v[78:79], v[100:101], v[78:79] op_sel_hi:[1,0]
	v_pk_add_f32 v[62:63], v[62:63], v[64:65]
	v_pk_fma_f32 v[64:65], v[86:87], v[70:71], v[112:113] op_sel_hi:[1,0,1]
	v_pk_fma_f32 v[68:69], v[84:85], v[68:69], v[98:99] neg_lo:[0,0,1] neg_hi:[0,0,1]
	v_mov_b32_e32 v69, v81
	v_pk_fma_f32 v[70:71], v[86:87], v[70:71], v[112:113] neg_lo:[0,0,1] neg_hi:[0,0,1]
	v_pk_add_f32 v[62:63], v[62:63], v[66:67]
	v_mov_b32_e32 v71, v65
	v_pk_fma_f32 v[64:65], v[88:89], v[72:73], v[78:79] op_sel_hi:[1,0,1]
	s_wait_loadcnt 0x1
	v_pk_mul_f32 v[66:67], v[90:91], v[74:75] op_sel:[1,1] op_sel_hi:[0,1]
	v_mov_b32_e32 v64, v77
	v_pk_add_f32 v[62:63], v[62:63], v[68:69]
	v_pk_fma_f32 v[72:73], v[88:89], v[72:73], v[78:79] neg_lo:[0,0,1] neg_hi:[0,0,1]
	v_mov_b32_e32 v73, v65
	v_pk_fma_f32 v[68:69], v[90:91], v[74:75], v[66:67] op_sel_hi:[1,0,1]
	v_pk_mul_f32 v[64:65], v[106:107], v[64:65] op_sel_hi:[1,0]
	v_pk_add_f32 v[62:63], v[62:63], v[70:71]
	v_pk_fma_f32 v[66:67], v[90:91], v[74:75], v[66:67] neg_lo:[0,0,1] neg_hi:[0,0,1]
	s_delay_alu instid0(VALU_DEP_4) | instskip(NEXT) | instid1(VALU_DEP_4)
	v_mov_b32_e32 v67, v69
	v_pk_fma_f32 v[68:69], v[92:93], v[76:77], v[64:65] op_sel_hi:[1,0,1]
	s_delay_alu instid0(VALU_DEP_4) | instskip(SKIP_1) | instid1(VALU_DEP_3)
	v_pk_add_f32 v[62:63], v[62:63], v[72:73]
	v_pk_fma_f32 v[64:65], v[92:93], v[76:77], v[64:65] neg_lo:[0,0,1] neg_hi:[0,0,1]
	v_mov_b32_e32 v65, v69
	s_delay_alu instid0(VALU_DEP_3) | instskip(NEXT) | instid1(VALU_DEP_1)
	v_pk_add_f32 v[62:63], v[62:63], v[66:67]
	v_pk_add_f32 v[62:63], v[62:63], v[64:65]
	s_wait_loadcnt 0x0
	s_delay_alu instid0(VALU_DEP_1)
	v_pk_add_f32 v[62:63], v[94:95], v[62:63] neg_lo:[0,1] neg_hi:[0,1]
	scratch_store_b64 off, v[62:63], off offset:168
	s_wait_xcnt 0x0
	v_cmpx_lt_u32_e32 20, v0
	s_cbranch_execz .LBB29_153
; %bb.152:
	scratch_load_b64 v[62:63], off, off offset:160
	v_mov_b64_e32 v[64:65], 0
	scratch_store_b64 off, v[64:65], off offset:160
	s_wait_loadcnt 0x0
	ds_store_b64 v1, v[62:63]
.LBB29_153:
	s_wait_xcnt 0x0
	s_or_b32 exec_lo, exec_lo, s0
	s_wait_storecnt_dscnt 0x0
	s_barrier_signal -1
	s_barrier_wait -1
	s_clause 0x5
	scratch_load_b128 v[62:65], off, off offset:168
	scratch_load_b128 v[66:69], off, off offset:184
	;; [unrolled: 1-line block ×4, first 2 shown]
	scratch_load_b64 v[94:95], off, off offset:232
	scratch_load_b64 v[96:97], off, off offset:160
	v_mov_b32_e32 v5, 0
	ds_load_2addr_b64 v[78:81], v5 offset0:51 offset1:52
	ds_load_2addr_b64 v[82:85], v5 offset0:53 offset1:54
	;; [unrolled: 1-line block ×4, first 2 shown]
	ds_load_b64 v[98:99], v5 offset:472
	s_mov_b32 s0, exec_lo
	s_wait_dscnt 0x4
	v_dual_mov_b32 v100, v81 :: v_dual_mov_b32 v101, v80
	s_wait_dscnt 0x1
	v_dual_mov_b32 v102, v85 :: v_dual_mov_b32 v107, v92
	v_dual_mov_b32 v103, v84 :: v_dual_mov_b32 v104, v89
	;; [unrolled: 1-line block ×3, first 2 shown]
	s_wait_loadcnt 0x5
	v_dual_mov_b32 v108, v65 :: v_dual_mul_f32 v109, v78, v63
	v_mul_f32_e32 v9, v79, v63
	s_wait_loadcnt 0x4
	v_pk_mul_f32 v[110:111], v[82:83], v[66:67] op_sel:[1,1] op_sel_hi:[0,1]
	v_mov_b32_e32 v112, v69
	s_wait_loadcnt 0x3
	v_pk_mul_f32 v[114:115], v[86:87], v[70:71] op_sel:[1,1] op_sel_hi:[0,1]
	v_pk_mul_f32 v[100:101], v[100:101], v[108:109] op_sel_hi:[1,0]
	v_fmac_f32_e32 v109, v79, v62
	v_dual_fma_f32 v108, v78, v62, -v9 :: v_dual_mov_b32 v62, v73
	v_pk_fma_f32 v[116:117], v[82:83], v[66:67], v[110:111] op_sel_hi:[1,0,1]
	s_delay_alu instid0(VALU_DEP_4)
	v_pk_fma_f32 v[78:79], v[80:81], v[64:65], v[100:101] op_sel_hi:[1,0,1]
	v_pk_fma_f32 v[64:65], v[80:81], v[64:65], v[100:101] neg_lo:[0,0,1] neg_hi:[0,0,1]
	v_pk_mul_f32 v[102:103], v[102:103], v[112:113] op_sel_hi:[1,0]
	v_pk_add_f32 v[108:109], v[108:109], 0 op_sel_hi:[1,0]
	v_pk_fma_f32 v[66:67], v[82:83], v[66:67], v[110:111] neg_lo:[0,0,1] neg_hi:[0,0,1]
	v_dual_mov_b32 v65, v79 :: v_dual_mov_b32 v67, v117
	s_delay_alu instid0(VALU_DEP_4) | instskip(SKIP_2) | instid1(VALU_DEP_4)
	v_pk_fma_f32 v[80:81], v[84:85], v[68:69], v[102:103] op_sel_hi:[1,0,1]
	v_pk_fma_f32 v[68:69], v[84:85], v[68:69], v[102:103] neg_lo:[0,0,1] neg_hi:[0,0,1]
	v_pk_fma_f32 v[82:83], v[86:87], v[70:71], v[114:115] op_sel_hi:[1,0,1]
	v_pk_add_f32 v[64:65], v[108:109], v[64:65]
	v_pk_mul_f32 v[62:63], v[104:105], v[62:63] op_sel_hi:[1,0]
	v_mov_b32_e32 v69, v81
	v_pk_fma_f32 v[70:71], v[86:87], v[70:71], v[114:115] neg_lo:[0,0,1] neg_hi:[0,0,1]
	s_wait_loadcnt 0x2
	v_pk_mul_f32 v[78:79], v[90:91], v[74:75] op_sel:[1,1] op_sel_hi:[0,1]
	v_pk_add_f32 v[64:65], v[64:65], v[66:67]
	v_mov_b32_e32 v66, v77
	v_pk_fma_f32 v[80:81], v[88:89], v[72:73], v[62:63] op_sel_hi:[1,0,1]
	v_mov_b32_e32 v71, v83
	v_pk_fma_f32 v[62:63], v[88:89], v[72:73], v[62:63] neg_lo:[0,0,1] neg_hi:[0,0,1]
	v_pk_add_f32 v[64:65], v[64:65], v[68:69]
	v_pk_fma_f32 v[68:69], v[90:91], v[74:75], v[78:79] op_sel_hi:[1,0,1]
	v_pk_mul_f32 v[66:67], v[106:107], v[66:67] op_sel_hi:[1,0]
	v_mov_b32_e32 v63, v81
	s_delay_alu instid0(VALU_DEP_4)
	v_pk_add_f32 v[64:65], v[64:65], v[70:71]
	v_pk_fma_f32 v[70:71], v[90:91], v[74:75], v[78:79] neg_lo:[0,0,1] neg_hi:[0,0,1]
	v_mov_b32_e32 v71, v69
	v_pk_fma_f32 v[68:69], v[92:93], v[76:77], v[66:67] op_sel_hi:[1,0,1]
	v_pk_fma_f32 v[66:67], v[92:93], v[76:77], v[66:67] neg_lo:[0,0,1] neg_hi:[0,0,1]
	v_pk_add_f32 v[62:63], v[64:65], v[62:63]
	s_wait_loadcnt_dscnt 0x100
	v_pk_mul_f32 v[64:65], v[98:99], v[94:95] op_sel:[1,1] op_sel_hi:[0,1]
	v_mov_b32_e32 v67, v69
	s_delay_alu instid0(VALU_DEP_3) | instskip(NEXT) | instid1(VALU_DEP_3)
	v_pk_add_f32 v[62:63], v[62:63], v[70:71]
	v_pk_fma_f32 v[68:69], v[98:99], v[94:95], v[64:65] op_sel_hi:[1,0,1]
	v_pk_fma_f32 v[64:65], v[98:99], v[94:95], v[64:65] neg_lo:[0,0,1] neg_hi:[0,0,1]
	s_delay_alu instid0(VALU_DEP_3) | instskip(NEXT) | instid1(VALU_DEP_3)
	v_pk_add_f32 v[62:63], v[62:63], v[66:67]
	v_mov_b32_e32 v65, v69
	s_delay_alu instid0(VALU_DEP_1) | instskip(SKIP_1) | instid1(VALU_DEP_1)
	v_pk_add_f32 v[62:63], v[62:63], v[64:65]
	s_wait_loadcnt 0x0
	v_pk_add_f32 v[62:63], v[96:97], v[62:63] neg_lo:[0,1] neg_hi:[0,1]
	scratch_store_b64 off, v[62:63], off offset:160
	s_wait_xcnt 0x0
	v_cmpx_lt_u32_e32 19, v0
	s_cbranch_execz .LBB29_155
; %bb.154:
	scratch_load_b64 v[62:63], off, off offset:152
	v_mov_b64_e32 v[64:65], 0
	scratch_store_b64 off, v[64:65], off offset:152
	s_wait_loadcnt 0x0
	ds_store_b64 v1, v[62:63]
.LBB29_155:
	s_wait_xcnt 0x0
	s_or_b32 exec_lo, exec_lo, s0
	s_wait_storecnt_dscnt 0x0
	s_barrier_signal -1
	s_barrier_wait -1
	s_clause 0x5
	scratch_load_b128 v[62:65], off, off offset:160
	scratch_load_b128 v[66:69], off, off offset:176
	;; [unrolled: 1-line block ×5, first 2 shown]
	scratch_load_b64 v[102:103], off, off offset:152
	ds_load_b128 v[82:85], v5 offset:416
	ds_load_b128 v[86:89], v5 offset:432
	;; [unrolled: 1-line block ×5, first 2 shown]
	s_mov_b32 s0, exec_lo
	s_wait_dscnt 0x4
	v_dual_mov_b32 v104, v85 :: v_dual_mov_b32 v105, v84
	s_wait_dscnt 0x3
	v_dual_mov_b32 v106, v89 :: v_dual_mov_b32 v107, v88
	;; [unrolled: 2-line block ×4, first 2 shown]
	s_wait_loadcnt_dscnt 0x500
	v_dual_mul_f32 v113, v98, v63 :: v_dual_mul_f32 v115, v100, v65
	v_dual_mul_f32 v5, v99, v63 :: v_dual_mul_f32 v9, v101, v65
	s_wait_loadcnt 0x4
	v_pk_mul_f32 v[116:117], v[82:83], v[66:67] op_sel:[1,1] op_sel_hi:[0,1]
	s_wait_loadcnt 0x3
	v_dual_mov_b32 v118, v69 :: v_dual_mov_b32 v122, v73
	v_dual_fmac_f32 v113, v99, v62 :: v_dual_fmac_f32 v115, v101, v64
	v_fma_f32 v112, v98, v62, -v5
	v_fma_f32 v114, v100, v64, -v9
	v_pk_fma_f32 v[62:63], v[82:83], v[66:67], v[116:117] op_sel_hi:[1,0,1]
	v_pk_mul_f32 v[64:65], v[104:105], v[118:119] op_sel_hi:[1,0]
	v_pk_fma_f32 v[66:67], v[82:83], v[66:67], v[116:117] neg_lo:[0,0,1] neg_hi:[0,0,1]
	v_pk_mul_f32 v[120:121], v[86:87], v[70:71] op_sel:[1,1] op_sel_hi:[0,1]
	v_pk_mul_f32 v[104:105], v[106:107], v[122:123] op_sel_hi:[1,0]
	v_mov_b32_e32 v67, v63
	v_pk_add_f32 v[98:99], v[112:113], 0 op_sel_hi:[1,0]
	v_pk_fma_f32 v[62:63], v[84:85], v[68:69], v[64:65] op_sel_hi:[1,0,1]
	v_pk_fma_f32 v[64:65], v[84:85], v[68:69], v[64:65] neg_lo:[0,0,1] neg_hi:[0,0,1]
	s_wait_loadcnt 0x2
	v_pk_mul_f32 v[100:101], v[90:91], v[74:75] op_sel:[1,1] op_sel_hi:[0,1]
	v_pk_fma_f32 v[68:69], v[86:87], v[70:71], v[120:121] neg_lo:[0,0,1] neg_hi:[0,0,1]
	v_mov_b32_e32 v65, v63
	v_pk_add_f32 v[82:83], v[98:99], v[114:115]
	v_pk_fma_f32 v[98:99], v[86:87], v[70:71], v[120:121] op_sel_hi:[1,0,1]
	v_pk_fma_f32 v[70:71], v[88:89], v[72:73], v[104:105] op_sel_hi:[1,0,1]
	v_pk_fma_f32 v[72:73], v[88:89], v[72:73], v[104:105] neg_lo:[0,0,1] neg_hi:[0,0,1]
	s_delay_alu instid0(VALU_DEP_4) | instskip(NEXT) | instid1(VALU_DEP_4)
	v_pk_add_f32 v[62:63], v[82:83], v[66:67]
	v_dual_mov_b32 v66, v77 :: v_dual_mov_b32 v69, v99
	s_delay_alu instid0(VALU_DEP_2) | instskip(SKIP_1) | instid1(VALU_DEP_3)
	v_pk_add_f32 v[62:63], v[62:63], v[64:65]
	v_pk_fma_f32 v[64:65], v[90:91], v[74:75], v[100:101] op_sel_hi:[1,0,1]
	v_pk_mul_f32 v[66:67], v[108:109], v[66:67] op_sel_hi:[1,0]
	v_mov_b32_e32 v73, v71
	v_pk_fma_f32 v[70:71], v[90:91], v[74:75], v[100:101] neg_lo:[0,0,1] neg_hi:[0,0,1]
	v_pk_add_f32 v[62:63], v[62:63], v[68:69]
	v_mov_b32_e32 v71, v65
	v_pk_fma_f32 v[64:65], v[92:93], v[76:77], v[66:67] op_sel_hi:[1,0,1]
	s_wait_loadcnt 0x1
	v_pk_mul_f32 v[68:69], v[94:95], v[78:79] op_sel:[1,1] op_sel_hi:[0,1]
	v_mov_b32_e32 v64, v81
	v_pk_add_f32 v[62:63], v[62:63], v[72:73]
	v_pk_fma_f32 v[66:67], v[92:93], v[76:77], v[66:67] neg_lo:[0,0,1] neg_hi:[0,0,1]
	v_mov_b32_e32 v67, v65
	v_pk_fma_f32 v[72:73], v[94:95], v[78:79], v[68:69] op_sel_hi:[1,0,1]
	v_pk_mul_f32 v[64:65], v[110:111], v[64:65] op_sel_hi:[1,0]
	v_pk_add_f32 v[62:63], v[62:63], v[70:71]
	v_pk_fma_f32 v[68:69], v[94:95], v[78:79], v[68:69] neg_lo:[0,0,1] neg_hi:[0,0,1]
	s_delay_alu instid0(VALU_DEP_2) | instskip(NEXT) | instid1(VALU_DEP_4)
	v_pk_add_f32 v[62:63], v[62:63], v[66:67]
	v_pk_fma_f32 v[66:67], v[96:97], v[80:81], v[64:65] op_sel_hi:[1,0,1]
	v_mov_b32_e32 v69, v73
	v_pk_fma_f32 v[64:65], v[96:97], v[80:81], v[64:65] neg_lo:[0,0,1] neg_hi:[0,0,1]
	s_delay_alu instid0(VALU_DEP_3) | instskip(NEXT) | instid1(VALU_DEP_3)
	v_mov_b32_e32 v65, v67
	v_pk_add_f32 v[62:63], v[62:63], v[68:69]
	s_delay_alu instid0(VALU_DEP_1) | instskip(SKIP_1) | instid1(VALU_DEP_1)
	v_pk_add_f32 v[62:63], v[62:63], v[64:65]
	s_wait_loadcnt 0x0
	v_pk_add_f32 v[62:63], v[102:103], v[62:63] neg_lo:[0,1] neg_hi:[0,1]
	scratch_store_b64 off, v[62:63], off offset:152
	s_wait_xcnt 0x0
	v_cmpx_lt_u32_e32 18, v0
	s_cbranch_execz .LBB29_157
; %bb.156:
	scratch_load_b64 v[62:63], off, off offset:144
	v_mov_b64_e32 v[64:65], 0
	scratch_store_b64 off, v[64:65], off offset:144
	s_wait_loadcnt 0x0
	ds_store_b64 v1, v[62:63]
.LBB29_157:
	s_wait_xcnt 0x0
	s_or_b32 exec_lo, exec_lo, s0
	s_wait_storecnt_dscnt 0x0
	s_barrier_signal -1
	s_barrier_wait -1
	s_clause 0x6
	scratch_load_b128 v[62:65], off, off offset:152
	scratch_load_b128 v[66:69], off, off offset:168
	;; [unrolled: 1-line block ×5, first 2 shown]
	scratch_load_b64 v[102:103], off, off offset:232
	scratch_load_b64 v[104:105], off, off offset:144
	v_mov_b32_e32 v5, 0
	ds_load_2addr_b64 v[82:85], v5 offset0:51 offset1:52
	ds_load_2addr_b64 v[86:89], v5 offset0:53 offset1:54
	;; [unrolled: 1-line block ×5, first 2 shown]
	ds_load_b64 v[106:107], v5 offset:472
	s_mov_b32 s0, exec_lo
	s_wait_dscnt 0x5
	v_dual_mov_b32 v108, v85 :: v_dual_mov_b32 v109, v84
	s_wait_dscnt 0x2
	v_dual_mov_b32 v110, v89 :: v_dual_mov_b32 v115, v96
	v_dual_mov_b32 v111, v88 :: v_dual_mov_b32 v112, v93
	;; [unrolled: 1-line block ×3, first 2 shown]
	s_wait_loadcnt_dscnt 0x601
	v_dual_mul_f32 v9, v98, v63 :: v_dual_mul_f32 v11, v99, v63
	v_dual_mul_f32 v13, v101, v65 :: v_dual_mul_f32 v117, v100, v65
	s_wait_loadcnt 0x5
	v_dual_mul_f32 v119, v82, v67 :: v_dual_mul_f32 v15, v83, v67
	s_wait_loadcnt 0x4
	v_dual_mov_b32 v118, v69 :: v_dual_mov_b32 v122, v73
	v_dual_fmac_f32 v9, v99, v62 :: v_dual_fma_f32 v11, v98, v62, -v11
	v_fmac_f32_e32 v117, v101, v64
	v_pk_mul_f32 v[120:121], v[86:87], v[70:71] op_sel:[1,1] op_sel_hi:[0,1]
	s_delay_alu instid0(VALU_DEP_3)
	v_dual_fma_f32 v116, v100, v64, -v13 :: v_dual_add_f32 v65, 0, v9
	v_pk_mul_f32 v[62:63], v[108:109], v[118:119] op_sel_hi:[1,0]
	s_wait_loadcnt 0x3
	v_dual_add_f32 v64, 0, v11 :: v_dual_mov_b32 v98, v77
	v_fmac_f32_e32 v119, v83, v66
	v_fma_f32 v118, v82, v66, -v15
	v_pk_fma_f32 v[66:67], v[84:85], v[68:69], v[62:63] op_sel_hi:[1,0,1]
	s_delay_alu instid0(VALU_DEP_4) | instskip(SKIP_4) | instid1(VALU_DEP_4)
	v_pk_add_f32 v[64:65], v[64:65], v[116:117]
	v_pk_fma_f32 v[82:83], v[86:87], v[70:71], v[120:121] op_sel_hi:[1,0,1]
	v_pk_fma_f32 v[62:63], v[84:85], v[68:69], v[62:63] neg_lo:[0,0,1] neg_hi:[0,0,1]
	v_pk_fma_f32 v[68:69], v[86:87], v[70:71], v[120:121] neg_lo:[0,0,1] neg_hi:[0,0,1]
	v_pk_mul_f32 v[100:101], v[110:111], v[122:123] op_sel_hi:[1,0]
	v_dual_mov_b32 v63, v67 :: v_dual_mov_b32 v69, v83
	v_pk_add_f32 v[64:65], v[64:65], v[118:119]
	v_pk_mul_f32 v[124:125], v[90:91], v[74:75] op_sel:[1,1] op_sel_hi:[0,1]
	s_delay_alu instid0(VALU_DEP_4)
	v_pk_fma_f32 v[70:71], v[88:89], v[72:73], v[100:101] op_sel_hi:[1,0,1]
	v_pk_fma_f32 v[72:73], v[88:89], v[72:73], v[100:101] neg_lo:[0,0,1] neg_hi:[0,0,1]
	v_pk_mul_f32 v[82:83], v[112:113], v[98:99] op_sel_hi:[1,0]
	v_pk_add_f32 v[62:63], v[64:65], v[62:63]
	v_pk_fma_f32 v[64:65], v[90:91], v[74:75], v[124:125] op_sel_hi:[1,0,1]
	s_wait_loadcnt 0x2
	v_dual_mov_b32 v73, v71 :: v_dual_mov_b32 v64, v81
	v_pk_mul_f32 v[66:67], v[94:95], v[78:79] op_sel:[1,1] op_sel_hi:[0,1]
	v_pk_add_f32 v[62:63], v[62:63], v[68:69]
	v_pk_fma_f32 v[68:69], v[90:91], v[74:75], v[124:125] neg_lo:[0,0,1] neg_hi:[0,0,1]
	v_pk_fma_f32 v[70:71], v[92:93], v[76:77], v[82:83] op_sel_hi:[1,0,1]
	v_mov_b32_e32 v69, v65
	v_pk_fma_f32 v[74:75], v[92:93], v[76:77], v[82:83] neg_lo:[0,0,1] neg_hi:[0,0,1]
	v_pk_add_f32 v[62:63], v[62:63], v[72:73]
	v_pk_fma_f32 v[72:73], v[94:95], v[78:79], v[66:67] op_sel_hi:[1,0,1]
	v_pk_mul_f32 v[64:65], v[114:115], v[64:65] op_sel_hi:[1,0]
	v_mov_b32_e32 v75, v71
	v_pk_fma_f32 v[66:67], v[94:95], v[78:79], v[66:67] neg_lo:[0,0,1] neg_hi:[0,0,1]
	v_pk_add_f32 v[62:63], v[62:63], v[68:69]
	s_wait_loadcnt_dscnt 0x100
	v_pk_mul_f32 v[70:71], v[106:107], v[102:103] op_sel:[1,1] op_sel_hi:[0,1]
	v_pk_fma_f32 v[68:69], v[96:97], v[80:81], v[64:65] op_sel_hi:[1,0,1]
	v_mov_b32_e32 v67, v73
	v_pk_fma_f32 v[64:65], v[96:97], v[80:81], v[64:65] neg_lo:[0,0,1] neg_hi:[0,0,1]
	v_pk_add_f32 v[62:63], v[62:63], v[74:75]
	s_delay_alu instid0(VALU_DEP_4) | instskip(SKIP_1) | instid1(VALU_DEP_3)
	v_mov_b32_e32 v65, v69
	v_pk_fma_f32 v[68:69], v[106:107], v[102:103], v[70:71] neg_lo:[0,0,1] neg_hi:[0,0,1]
	v_pk_add_f32 v[62:63], v[62:63], v[66:67]
	v_pk_fma_f32 v[66:67], v[106:107], v[102:103], v[70:71] op_sel_hi:[1,0,1]
	s_delay_alu instid0(VALU_DEP_2) | instskip(NEXT) | instid1(VALU_DEP_2)
	v_pk_add_f32 v[62:63], v[62:63], v[64:65]
	v_mov_b32_e32 v69, v67
	s_delay_alu instid0(VALU_DEP_1) | instskip(SKIP_1) | instid1(VALU_DEP_1)
	v_pk_add_f32 v[62:63], v[62:63], v[68:69]
	s_wait_loadcnt 0x0
	v_pk_add_f32 v[62:63], v[104:105], v[62:63] neg_lo:[0,1] neg_hi:[0,1]
	scratch_store_b64 off, v[62:63], off offset:144
	s_wait_xcnt 0x0
	v_cmpx_lt_u32_e32 17, v0
	s_cbranch_execz .LBB29_159
; %bb.158:
	scratch_load_b64 v[62:63], off, off offset:136
	v_mov_b64_e32 v[64:65], 0
	scratch_store_b64 off, v[64:65], off offset:136
	s_wait_loadcnt 0x0
	ds_store_b64 v1, v[62:63]
.LBB29_159:
	s_wait_xcnt 0x0
	s_or_b32 exec_lo, exec_lo, s0
	s_wait_storecnt_dscnt 0x0
	s_barrier_signal -1
	s_barrier_wait -1
	s_clause 0x6
	scratch_load_b128 v[62:65], off, off offset:144
	scratch_load_b128 v[66:69], off, off offset:160
	;; [unrolled: 1-line block ×6, first 2 shown]
	scratch_load_b64 v[110:111], off, off offset:136
	ds_load_b128 v[86:89], v5 offset:416
	ds_load_b128 v[90:93], v5 offset:432
	;; [unrolled: 1-line block ×6, first 2 shown]
	s_mov_b32 s0, exec_lo
	s_wait_dscnt 0x5
	v_dual_mov_b32 v112, v89 :: v_dual_mov_b32 v113, v88
	s_wait_dscnt 0x4
	v_dual_mov_b32 v114, v93 :: v_dual_mov_b32 v115, v92
	;; [unrolled: 2-line block ×4, first 2 shown]
	s_wait_loadcnt_dscnt 0x601
	v_dual_mul_f32 v5, v102, v63 :: v_dual_mul_f32 v9, v104, v65
	v_dual_mul_f32 v11, v103, v63 :: v_dual_mul_f32 v13, v105, v65
	s_wait_loadcnt 0x4
	s_delay_alu instid0(VALU_DEP_2)
	v_dual_mov_b32 v126, v73 :: v_dual_fmac_f32 v5, v103, v62
	s_wait_dscnt 0x0
	v_dual_mul_f32 v121, v106, v67 :: v_dual_mul_f32 v123, v108, v69
	v_dual_fma_f32 v11, v102, v62, -v11 :: v_dual_fmac_f32 v9, v105, v64
	v_dual_mul_f32 v15, v107, v67 :: v_dual_mul_f32 v17, v109, v69
	v_dual_fma_f32 v13, v104, v64, -v13 :: v_dual_add_f32 v5, 0, v5
	s_wait_loadcnt 0x3
	s_delay_alu instid0(VALU_DEP_3) | instskip(SKIP_3) | instid1(VALU_DEP_4)
	v_dual_add_f32 v11, 0, v11 :: v_dual_mov_b32 v64, v77
	v_pk_mul_f32 v[124:125], v[86:87], v[70:71] op_sel:[1,1] op_sel_hi:[0,1]
	v_dual_fmac_f32 v121, v107, v66 :: v_dual_fma_f32 v120, v106, v66, -v15
	v_dual_add_f32 v67, v5, v9 :: v_dual_fma_f32 v122, v108, v68, -v17
	v_dual_add_f32 v66, v11, v13 :: v_dual_fmac_f32 v123, v109, v68
	s_delay_alu instid0(VALU_DEP_4) | instskip(SKIP_2) | instid1(VALU_DEP_4)
	v_pk_fma_f32 v[68:69], v[86:87], v[70:71], v[124:125] op_sel_hi:[1,0,1]
	v_pk_mul_f32 v[102:103], v[112:113], v[126:127] op_sel_hi:[1,0]
	v_pk_fma_f32 v[70:71], v[86:87], v[70:71], v[124:125] neg_lo:[0,0,1] neg_hi:[0,0,1]
	v_pk_add_f32 v[66:67], v[66:67], v[120:121]
	v_pk_mul_f32 v[62:63], v[90:91], v[74:75] op_sel:[1,1] op_sel_hi:[0,1]
	v_mov_b32_e32 v71, v69
	v_pk_fma_f32 v[68:69], v[88:89], v[72:73], v[102:103] op_sel_hi:[1,0,1]
	v_pk_fma_f32 v[72:73], v[88:89], v[72:73], v[102:103] neg_lo:[0,0,1] neg_hi:[0,0,1]
	v_pk_add_f32 v[66:67], v[66:67], v[122:123]
	v_pk_fma_f32 v[86:87], v[90:91], v[74:75], v[62:63] op_sel_hi:[1,0,1]
	v_pk_mul_f32 v[64:65], v[114:115], v[64:65] op_sel_hi:[1,0]
	v_mov_b32_e32 v73, v69
	v_pk_fma_f32 v[62:63], v[90:91], v[74:75], v[62:63] neg_lo:[0,0,1] neg_hi:[0,0,1]
	v_pk_add_f32 v[66:67], v[66:67], v[70:71]
	s_wait_loadcnt 0x2
	v_pk_mul_f32 v[104:105], v[94:95], v[78:79] op_sel:[1,1] op_sel_hi:[0,1]
	v_dual_mov_b32 v68, v81 :: v_dual_mov_b32 v63, v87
	v_pk_fma_f32 v[70:71], v[92:93], v[76:77], v[64:65] op_sel_hi:[1,0,1]
	v_pk_add_f32 v[66:67], v[66:67], v[72:73]
	v_pk_fma_f32 v[64:65], v[92:93], v[76:77], v[64:65] neg_lo:[0,0,1] neg_hi:[0,0,1]
	v_pk_fma_f32 v[72:73], v[94:95], v[78:79], v[104:105] op_sel_hi:[1,0,1]
	v_pk_mul_f32 v[68:69], v[116:117], v[68:69] op_sel_hi:[1,0]
	v_mov_b32_e32 v65, v71
	v_pk_add_f32 v[62:63], v[66:67], v[62:63]
	v_pk_fma_f32 v[70:71], v[94:95], v[78:79], v[104:105] neg_lo:[0,0,1] neg_hi:[0,0,1]
	s_wait_loadcnt 0x1
	v_pk_mul_f32 v[66:67], v[98:99], v[82:83] op_sel:[1,1] op_sel_hi:[0,1]
	v_mov_b32_e32 v71, v73
	v_pk_fma_f32 v[72:73], v[96:97], v[80:81], v[68:69] op_sel_hi:[1,0,1]
	v_pk_add_f32 v[62:63], v[62:63], v[64:65]
	v_mov_b32_e32 v64, v85
	v_pk_fma_f32 v[68:69], v[96:97], v[80:81], v[68:69] neg_lo:[0,0,1] neg_hi:[0,0,1]
	v_pk_fma_f32 v[74:75], v[98:99], v[82:83], v[66:67] op_sel_hi:[1,0,1]
	v_mov_b32_e32 v69, v73
	v_pk_add_f32 v[62:63], v[62:63], v[70:71]
	v_pk_mul_f32 v[64:65], v[118:119], v[64:65] op_sel_hi:[1,0]
	v_pk_fma_f32 v[66:67], v[98:99], v[82:83], v[66:67] neg_lo:[0,0,1] neg_hi:[0,0,1]
	s_delay_alu instid0(VALU_DEP_3) | instskip(NEXT) | instid1(VALU_DEP_3)
	v_pk_add_f32 v[62:63], v[62:63], v[68:69]
	v_pk_fma_f32 v[68:69], v[100:101], v[84:85], v[64:65] op_sel_hi:[1,0,1]
	v_mov_b32_e32 v67, v75
	v_pk_fma_f32 v[64:65], v[100:101], v[84:85], v[64:65] neg_lo:[0,0,1] neg_hi:[0,0,1]
	s_delay_alu instid0(VALU_DEP_3) | instskip(NEXT) | instid1(VALU_DEP_3)
	v_mov_b32_e32 v65, v69
	v_pk_add_f32 v[62:63], v[62:63], v[66:67]
	s_delay_alu instid0(VALU_DEP_1) | instskip(SKIP_1) | instid1(VALU_DEP_1)
	v_pk_add_f32 v[62:63], v[62:63], v[64:65]
	s_wait_loadcnt 0x0
	v_pk_add_f32 v[62:63], v[110:111], v[62:63] neg_lo:[0,1] neg_hi:[0,1]
	scratch_store_b64 off, v[62:63], off offset:136
	s_wait_xcnt 0x0
	v_cmpx_lt_u32_e32 16, v0
	s_cbranch_execz .LBB29_161
; %bb.160:
	scratch_load_b64 v[62:63], off, off offset:128
	v_mov_b64_e32 v[64:65], 0
	scratch_store_b64 off, v[64:65], off offset:128
	s_wait_loadcnt 0x0
	ds_store_b64 v1, v[62:63]
.LBB29_161:
	s_wait_xcnt 0x0
	s_or_b32 exec_lo, exec_lo, s0
	s_wait_storecnt_dscnt 0x0
	s_barrier_signal -1
	s_barrier_wait -1
	s_clause 0x7
	scratch_load_b128 v[62:65], off, off offset:136
	scratch_load_b128 v[66:69], off, off offset:152
	;; [unrolled: 1-line block ×6, first 2 shown]
	scratch_load_b64 v[110:111], off, off offset:232
	scratch_load_b64 v[112:113], off, off offset:128
	v_mov_b32_e32 v5, 0
	ds_load_2addr_b64 v[86:89], v5 offset0:51 offset1:52
	ds_load_2addr_b64 v[90:93], v5 offset0:53 offset1:54
	;; [unrolled: 1-line block ×6, first 2 shown]
	ds_load_b64 v[114:115], v5 offset:472
	s_mov_b32 s0, exec_lo
	s_wait_dscnt 0x6
	v_dual_mov_b32 v116, v89 :: v_dual_mov_b32 v117, v88
	s_wait_dscnt 0x3
	v_dual_mov_b32 v118, v93 :: v_dual_mov_b32 v123, v100
	v_dual_mov_b32 v119, v92 :: v_dual_mov_b32 v120, v97
	;; [unrolled: 1-line block ×3, first 2 shown]
	s_wait_loadcnt_dscnt 0x702
	v_dual_mul_f32 v9, v102, v63 :: v_dual_mul_f32 v15, v103, v63
	v_dual_mul_f32 v17, v105, v65 :: v_dual_mul_f32 v11, v104, v65
	s_wait_loadcnt_dscnt 0x601
	s_delay_alu instid0(VALU_DEP_2) | instskip(NEXT) | instid1(VALU_DEP_3)
	v_dual_mul_f32 v13, v106, v67 :: v_dual_fmac_f32 v9, v103, v62
	v_dual_fma_f32 v15, v102, v62, -v15 :: v_dual_mul_f32 v19, v107, v67
	v_mul_f32_e32 v21, v109, v69
	s_wait_loadcnt 0x4
	v_dual_mov_b32 v62, v77 :: v_dual_fma_f32 v17, v104, v64, -v17
	v_dual_fmac_f32 v11, v105, v64 :: v_dual_add_f32 v9, 0, v9
	v_dual_add_f32 v15, 0, v15 :: v_dual_fmac_f32 v13, v107, v66
	v_dual_mul_f32 v125, v108, v69 :: v_dual_mul_f32 v127, v86, v71
	v_dual_mul_f32 v23, v87, v71 :: v_dual_mov_b32 v126, v73
	s_delay_alu instid0(VALU_DEP_4) | instskip(NEXT) | instid1(VALU_DEP_3)
	v_dual_fma_f32 v19, v106, v66, -v19 :: v_dual_add_f32 v9, v9, v11
	v_dual_add_f32 v11, v15, v17 :: v_dual_fmac_f32 v125, v109, v68
	v_pk_mul_f32 v[128:129], v[90:91], v[74:75] op_sel:[1,1] op_sel_hi:[0,1]
	s_delay_alu instid0(VALU_DEP_3)
	v_dual_fma_f32 v124, v108, v68, -v21 :: v_dual_add_f32 v69, v9, v13
	v_pk_mul_f32 v[66:67], v[116:117], v[126:127] op_sel_hi:[1,0]
	s_wait_loadcnt 0x3
	v_dual_add_f32 v68, v11, v19 :: v_dual_mov_b32 v102, v81
	v_fmac_f32_e32 v127, v87, v70
	v_fma_f32 v126, v86, v70, -v23
	v_pk_fma_f32 v[70:71], v[88:89], v[72:73], v[66:67] op_sel_hi:[1,0,1]
	s_delay_alu instid0(VALU_DEP_4) | instskip(SKIP_4) | instid1(VALU_DEP_4)
	v_pk_add_f32 v[68:69], v[68:69], v[124:125]
	v_pk_fma_f32 v[86:87], v[90:91], v[74:75], v[128:129] op_sel_hi:[1,0,1]
	v_pk_fma_f32 v[66:67], v[88:89], v[72:73], v[66:67] neg_lo:[0,0,1] neg_hi:[0,0,1]
	v_pk_fma_f32 v[72:73], v[90:91], v[74:75], v[128:129] neg_lo:[0,0,1] neg_hi:[0,0,1]
	v_pk_mul_f32 v[62:63], v[118:119], v[62:63] op_sel_hi:[1,0]
	v_dual_mov_b32 v67, v71 :: v_dual_mov_b32 v73, v87
	v_pk_add_f32 v[68:69], v[68:69], v[126:127]
	v_pk_mul_f32 v[64:65], v[94:95], v[78:79] op_sel:[1,1] op_sel_hi:[0,1]
	s_delay_alu instid0(VALU_DEP_4)
	v_pk_fma_f32 v[74:75], v[92:93], v[76:77], v[62:63] op_sel_hi:[1,0,1]
	v_pk_fma_f32 v[62:63], v[92:93], v[76:77], v[62:63] neg_lo:[0,0,1] neg_hi:[0,0,1]
	v_pk_mul_f32 v[86:87], v[120:121], v[102:103] op_sel_hi:[1,0]
	v_pk_add_f32 v[66:67], v[68:69], v[66:67]
	v_pk_fma_f32 v[68:69], v[94:95], v[78:79], v[64:65] op_sel_hi:[1,0,1]
	s_wait_loadcnt 0x2
	v_dual_mov_b32 v63, v75 :: v_dual_mov_b32 v68, v85
	v_pk_fma_f32 v[64:65], v[94:95], v[78:79], v[64:65] neg_lo:[0,0,1] neg_hi:[0,0,1]
	v_pk_add_f32 v[66:67], v[66:67], v[72:73]
	v_pk_mul_f32 v[70:71], v[98:99], v[82:83] op_sel:[1,1] op_sel_hi:[0,1]
	v_pk_fma_f32 v[72:73], v[96:97], v[80:81], v[86:87] op_sel_hi:[1,0,1]
	v_mov_b32_e32 v65, v69
	v_pk_fma_f32 v[74:75], v[96:97], v[80:81], v[86:87] neg_lo:[0,0,1] neg_hi:[0,0,1]
	v_pk_add_f32 v[62:63], v[66:67], v[62:63]
	v_pk_fma_f32 v[66:67], v[98:99], v[82:83], v[70:71] op_sel_hi:[1,0,1]
	v_pk_mul_f32 v[68:69], v[122:123], v[68:69] op_sel_hi:[1,0]
	v_mov_b32_e32 v75, v73
	s_delay_alu instid0(VALU_DEP_4)
	v_pk_add_f32 v[62:63], v[62:63], v[64:65]
	v_pk_fma_f32 v[64:65], v[98:99], v[82:83], v[70:71] neg_lo:[0,0,1] neg_hi:[0,0,1]
	v_mov_b32_e32 v65, v67
	v_pk_fma_f32 v[66:67], v[100:101], v[84:85], v[68:69] op_sel_hi:[1,0,1]
	s_wait_loadcnt_dscnt 0x100
	v_pk_mul_f32 v[70:71], v[114:115], v[110:111] op_sel:[1,1] op_sel_hi:[0,1]
	v_pk_add_f32 v[62:63], v[62:63], v[74:75]
	v_pk_fma_f32 v[68:69], v[100:101], v[84:85], v[68:69] neg_lo:[0,0,1] neg_hi:[0,0,1]
	v_mov_b32_e32 v69, v67
	s_delay_alu instid0(VALU_DEP_4) | instskip(NEXT) | instid1(VALU_DEP_4)
	v_pk_fma_f32 v[66:67], v[114:115], v[110:111], v[70:71] neg_lo:[0,0,1] neg_hi:[0,0,1]
	v_pk_add_f32 v[62:63], v[62:63], v[64:65]
	v_pk_fma_f32 v[64:65], v[114:115], v[110:111], v[70:71] op_sel_hi:[1,0,1]
	s_delay_alu instid0(VALU_DEP_2) | instskip(NEXT) | instid1(VALU_DEP_2)
	v_pk_add_f32 v[62:63], v[62:63], v[68:69]
	v_mov_b32_e32 v67, v65
	s_delay_alu instid0(VALU_DEP_1) | instskip(SKIP_1) | instid1(VALU_DEP_1)
	v_pk_add_f32 v[62:63], v[62:63], v[66:67]
	s_wait_loadcnt 0x0
	v_pk_add_f32 v[62:63], v[112:113], v[62:63] neg_lo:[0,1] neg_hi:[0,1]
	scratch_store_b64 off, v[62:63], off offset:128
	s_wait_xcnt 0x0
	v_cmpx_lt_u32_e32 15, v0
	s_cbranch_execz .LBB29_163
; %bb.162:
	scratch_load_b64 v[62:63], off, off offset:120
	v_mov_b64_e32 v[64:65], 0
	scratch_store_b64 off, v[64:65], off offset:120
	s_wait_loadcnt 0x0
	ds_store_b64 v1, v[62:63]
.LBB29_163:
	s_wait_xcnt 0x0
	s_or_b32 exec_lo, exec_lo, s0
	s_wait_storecnt_dscnt 0x0
	s_barrier_signal -1
	s_barrier_wait -1
	s_clause 0x7
	scratch_load_b128 v[62:65], off, off offset:128
	scratch_load_b128 v[66:69], off, off offset:144
	;; [unrolled: 1-line block ×7, first 2 shown]
	scratch_load_b64 v[118:119], off, off offset:120
	ds_load_b128 v[90:93], v5 offset:416
	ds_load_b128 v[94:97], v5 offset:432
	;; [unrolled: 1-line block ×7, first 2 shown]
	s_mov_b32 s0, exec_lo
	s_wait_dscnt 0x6
	v_dual_mov_b32 v120, v93 :: v_dual_mov_b32 v121, v92
	s_wait_dscnt 0x5
	v_dual_mov_b32 v122, v97 :: v_dual_mov_b32 v123, v96
	;; [unrolled: 2-line block ×4, first 2 shown]
	s_wait_loadcnt_dscnt 0x702
	v_dual_mul_f32 v5, v106, v63 :: v_dual_mul_f32 v9, v108, v65
	v_dual_mul_f32 v15, v107, v63 :: v_dual_mul_f32 v17, v109, v65
	s_wait_loadcnt_dscnt 0x601
	v_dual_mul_f32 v11, v110, v67 :: v_dual_mul_f32 v13, v112, v69
	s_delay_alu instid0(VALU_DEP_2) | instskip(SKIP_1) | instid1(VALU_DEP_2)
	v_dual_fmac_f32 v5, v107, v62 :: v_dual_fma_f32 v15, v106, v62, -v15
	v_dual_mul_f32 v19, v111, v67 :: v_dual_mul_f32 v21, v113, v69
	v_dual_fmac_f32 v9, v109, v64 :: v_dual_add_f32 v5, 0, v5
	s_delay_alu instid0(VALU_DEP_3) | instskip(SKIP_2) | instid1(VALU_DEP_3)
	v_dual_fma_f32 v17, v108, v64, -v17 :: v_dual_add_f32 v15, 0, v15
	s_wait_loadcnt 0x4
	v_dual_mov_b32 v64, v77 :: v_dual_fmac_f32 v11, v111, v66
	v_dual_fma_f32 v19, v110, v66, -v19 :: v_dual_add_f32 v5, v5, v9
	s_delay_alu instid0(VALU_DEP_3)
	v_dual_add_f32 v9, v15, v17 :: v_dual_fmac_f32 v13, v113, v68
	s_wait_dscnt 0x0
	v_dual_mul_f32 v129, v114, v71 :: v_dual_mul_f32 v131, v116, v73
	v_dual_mul_f32 v23, v115, v71 :: v_dual_mul_f32 v25, v117, v73
	v_pk_mul_f32 v[62:63], v[90:91], v[74:75] op_sel:[1,1] op_sel_hi:[0,1]
	s_wait_loadcnt 0x3
	v_pk_mul_f32 v[66:67], v[94:95], v[78:79] op_sel:[1,1] op_sel_hi:[0,1]
	v_dual_fma_f32 v15, v112, v68, -v21 :: v_dual_add_f32 v5, v5, v11
	v_dual_add_f32 v9, v9, v19 :: v_dual_fmac_f32 v129, v115, v70
	v_dual_mov_b32 v68, v81 :: v_dual_fma_f32 v128, v114, v70, -v23
	s_delay_alu instid0(VALU_DEP_3)
	v_dual_add_f32 v71, v5, v13 :: v_dual_fma_f32 v130, v116, v72, -v25
	v_fmac_f32_e32 v131, v117, v72
	v_pk_fma_f32 v[72:73], v[90:91], v[74:75], v[62:63] op_sel_hi:[1,0,1]
	v_pk_fma_f32 v[62:63], v[90:91], v[74:75], v[62:63] neg_lo:[0,0,1] neg_hi:[0,0,1]
	v_pk_fma_f32 v[74:75], v[94:95], v[78:79], v[66:67] op_sel_hi:[1,0,1]
	v_add_f32_e32 v70, v9, v15
	v_pk_fma_f32 v[66:67], v[94:95], v[78:79], v[66:67] neg_lo:[0,0,1] neg_hi:[0,0,1]
	v_pk_mul_f32 v[64:65], v[120:121], v[64:65] op_sel_hi:[1,0]
	s_delay_alu instid0(VALU_DEP_4) | instskip(NEXT) | instid1(VALU_DEP_4)
	v_dual_mov_b32 v63, v73 :: v_dual_mov_b32 v67, v75
	v_pk_add_f32 v[70:71], v[70:71], v[128:129]
	v_pk_mul_f32 v[68:69], v[122:123], v[68:69] op_sel_hi:[1,0]
	s_delay_alu instid0(VALU_DEP_4)
	v_pk_fma_f32 v[72:73], v[92:93], v[76:77], v[64:65] op_sel_hi:[1,0,1]
	v_pk_fma_f32 v[64:65], v[92:93], v[76:77], v[64:65] neg_lo:[0,0,1] neg_hi:[0,0,1]
	s_wait_loadcnt 0x2
	v_pk_mul_f32 v[106:107], v[98:99], v[82:83] op_sel:[1,1] op_sel_hi:[0,1]
	v_pk_add_f32 v[70:71], v[70:71], v[130:131]
	v_mov_b32_e32 v65, v73
	v_pk_fma_f32 v[72:73], v[96:97], v[80:81], v[68:69] op_sel_hi:[1,0,1]
	v_pk_fma_f32 v[68:69], v[96:97], v[80:81], v[68:69] neg_lo:[0,0,1] neg_hi:[0,0,1]
	s_delay_alu instid0(VALU_DEP_4) | instskip(NEXT) | instid1(VALU_DEP_3)
	v_pk_add_f32 v[62:63], v[70:71], v[62:63]
	v_dual_mov_b32 v70, v85 :: v_dual_mov_b32 v69, v73
	v_pk_fma_f32 v[72:73], v[98:99], v[82:83], v[106:107] neg_lo:[0,0,1] neg_hi:[0,0,1]
	s_delay_alu instid0(VALU_DEP_3) | instskip(SKIP_1) | instid1(VALU_DEP_4)
	v_pk_add_f32 v[62:63], v[62:63], v[64:65]
	v_pk_fma_f32 v[64:65], v[98:99], v[82:83], v[106:107] op_sel_hi:[1,0,1]
	v_pk_mul_f32 v[70:71], v[124:125], v[70:71] op_sel_hi:[1,0]
	s_delay_alu instid0(VALU_DEP_3) | instskip(NEXT) | instid1(VALU_DEP_3)
	v_pk_add_f32 v[62:63], v[62:63], v[66:67]
	v_mov_b32_e32 v73, v65
	s_delay_alu instid0(VALU_DEP_3)
	v_pk_fma_f32 v[64:65], v[100:101], v[84:85], v[70:71] op_sel_hi:[1,0,1]
	s_wait_loadcnt 0x1
	v_pk_mul_f32 v[66:67], v[102:103], v[86:87] op_sel:[1,1] op_sel_hi:[0,1]
	v_mov_b32_e32 v64, v89
	v_pk_add_f32 v[62:63], v[62:63], v[68:69]
	v_pk_fma_f32 v[70:71], v[100:101], v[84:85], v[70:71] neg_lo:[0,0,1] neg_hi:[0,0,1]
	s_delay_alu instid0(VALU_DEP_4) | instskip(SKIP_1) | instid1(VALU_DEP_4)
	v_pk_fma_f32 v[68:69], v[102:103], v[86:87], v[66:67] op_sel_hi:[1,0,1]
	v_mov_b32_e32 v71, v65
	v_pk_add_f32 v[62:63], v[62:63], v[72:73]
	v_pk_mul_f32 v[64:65], v[126:127], v[64:65] op_sel_hi:[1,0]
	v_pk_fma_f32 v[66:67], v[102:103], v[86:87], v[66:67] neg_lo:[0,0,1] neg_hi:[0,0,1]
	v_mov_b32_e32 v67, v69
	s_delay_alu instid0(VALU_DEP_4) | instskip(NEXT) | instid1(VALU_DEP_4)
	v_pk_add_f32 v[62:63], v[62:63], v[70:71]
	v_pk_fma_f32 v[68:69], v[104:105], v[88:89], v[64:65] op_sel_hi:[1,0,1]
	v_pk_fma_f32 v[64:65], v[104:105], v[88:89], v[64:65] neg_lo:[0,0,1] neg_hi:[0,0,1]
	s_delay_alu instid0(VALU_DEP_3) | instskip(NEXT) | instid1(VALU_DEP_3)
	v_pk_add_f32 v[62:63], v[62:63], v[66:67]
	v_mov_b32_e32 v65, v69
	s_delay_alu instid0(VALU_DEP_1) | instskip(SKIP_1) | instid1(VALU_DEP_1)
	v_pk_add_f32 v[62:63], v[62:63], v[64:65]
	s_wait_loadcnt 0x0
	v_pk_add_f32 v[62:63], v[118:119], v[62:63] neg_lo:[0,1] neg_hi:[0,1]
	scratch_store_b64 off, v[62:63], off offset:120
	s_wait_xcnt 0x0
	v_cmpx_lt_u32_e32 14, v0
	s_cbranch_execz .LBB29_165
; %bb.164:
	scratch_load_b64 v[62:63], off, off offset:112
	v_mov_b64_e32 v[64:65], 0
	scratch_store_b64 off, v[64:65], off offset:112
	s_wait_loadcnt 0x0
	ds_store_b64 v1, v[62:63]
.LBB29_165:
	s_wait_xcnt 0x0
	s_or_b32 exec_lo, exec_lo, s0
	s_wait_storecnt_dscnt 0x0
	s_barrier_signal -1
	s_barrier_wait -1
	s_clause 0x8
	scratch_load_b128 v[62:65], off, off offset:120
	scratch_load_b128 v[66:69], off, off offset:136
	;; [unrolled: 1-line block ×7, first 2 shown]
	scratch_load_b64 v[118:119], off, off offset:232
	scratch_load_b64 v[120:121], off, off offset:112
	v_mov_b32_e32 v5, 0
	ds_load_2addr_b64 v[90:93], v5 offset0:51 offset1:52
	ds_load_2addr_b64 v[94:97], v5 offset0:53 offset1:54
	;; [unrolled: 1-line block ×7, first 2 shown]
	ds_load_b64 v[122:123], v5 offset:472
	s_mov_b32 s0, exec_lo
	s_wait_dscnt 0x7
	v_dual_mov_b32 v124, v93 :: v_dual_mov_b32 v125, v92
	s_wait_dscnt 0x4
	v_dual_mov_b32 v126, v97 :: v_dual_mov_b32 v131, v104
	v_dual_mov_b32 v127, v96 :: v_dual_mov_b32 v128, v101
	;; [unrolled: 1-line block ×3, first 2 shown]
	s_wait_loadcnt_dscnt 0x803
	v_dual_mul_f32 v9, v106, v63 :: v_dual_mul_f32 v19, v107, v63
	v_dual_mul_f32 v21, v109, v65 :: v_dual_mul_f32 v11, v108, v65
	s_wait_loadcnt_dscnt 0x702
	v_mul_f32_e32 v13, v110, v67
	s_wait_loadcnt 0x5
	v_dual_mul_f32 v31, v91, v75 :: v_dual_fma_f32 v19, v106, v62, -v19
	v_dual_fmac_f32 v9, v107, v62 :: v_dual_mov_b32 v62, v77
	v_dual_mul_f32 v23, v111, v67 :: v_dual_mul_f32 v25, v113, v69
	v_dual_fmac_f32 v11, v109, v64 :: v_dual_fma_f32 v21, v108, v64, -v21
	s_delay_alu instid0(VALU_DEP_3) | instskip(SKIP_3) | instid1(VALU_DEP_3)
	v_dual_add_f32 v9, 0, v9 :: v_dual_add_f32 v19, 0, v19
	s_wait_dscnt 0x1
	v_dual_mul_f32 v15, v112, v69 :: v_dual_mul_f32 v17, v114, v71
	v_dual_fmac_f32 v13, v111, v66 :: v_dual_fma_f32 v23, v110, v66, -v23
	v_dual_add_f32 v9, v9, v11 :: v_dual_add_f32 v11, v19, v21
	v_dual_mul_f32 v27, v115, v71 :: v_dual_mul_f32 v29, v117, v73
	s_wait_loadcnt 0x4
	v_dual_mov_b32 v66, v81 :: v_dual_fma_f32 v19, v112, v68, -v25
	s_delay_alu instid0(VALU_DEP_3) | instskip(SKIP_2) | instid1(VALU_DEP_2)
	v_dual_fmac_f32 v15, v113, v68 :: v_dual_add_f32 v11, v11, v23
	v_dual_add_f32 v9, v9, v13 :: v_dual_fmac_f32 v17, v115, v70
	v_dual_mul_f32 v133, v116, v73 :: v_dual_mul_f32 v135, v90, v75
	v_dual_fma_f32 v13, v114, v70, -v27 :: v_dual_add_f32 v9, v9, v15
	s_delay_alu instid0(VALU_DEP_2) | instskip(SKIP_1) | instid1(VALU_DEP_3)
	v_dual_add_f32 v11, v11, v19 :: v_dual_fmac_f32 v133, v117, v72
	v_pk_mul_f32 v[64:65], v[94:95], v[78:79] op_sel:[1,1] op_sel_hi:[0,1]
	v_dual_fma_f32 v132, v116, v72, -v29 :: v_dual_add_f32 v71, v9, v17
	v_pk_mul_f32 v[62:63], v[124:125], v[62:63] op_sel_hi:[1,0]
	s_wait_loadcnt 0x3
	v_dual_add_f32 v70, v11, v13 :: v_dual_mov_b32 v72, v85
	v_fmac_f32_e32 v135, v91, v74
	v_fma_f32 v134, v90, v74, -v31
	v_pk_fma_f32 v[74:75], v[92:93], v[76:77], v[62:63] op_sel_hi:[1,0,1]
	s_delay_alu instid0(VALU_DEP_4) | instskip(SKIP_4) | instid1(VALU_DEP_4)
	v_pk_add_f32 v[70:71], v[70:71], v[132:133]
	v_pk_fma_f32 v[90:91], v[94:95], v[78:79], v[64:65] op_sel_hi:[1,0,1]
	v_pk_fma_f32 v[62:63], v[92:93], v[76:77], v[62:63] neg_lo:[0,0,1] neg_hi:[0,0,1]
	v_pk_fma_f32 v[64:65], v[94:95], v[78:79], v[64:65] neg_lo:[0,0,1] neg_hi:[0,0,1]
	v_pk_mul_f32 v[66:67], v[126:127], v[66:67] op_sel_hi:[1,0]
	v_dual_mov_b32 v63, v75 :: v_dual_mov_b32 v65, v91
	v_pk_add_f32 v[70:71], v[70:71], v[134:135]
	v_pk_mul_f32 v[68:69], v[98:99], v[82:83] op_sel:[1,1] op_sel_hi:[0,1]
	s_delay_alu instid0(VALU_DEP_4)
	v_pk_fma_f32 v[76:77], v[96:97], v[80:81], v[66:67] op_sel_hi:[1,0,1]
	v_pk_fma_f32 v[66:67], v[96:97], v[80:81], v[66:67] neg_lo:[0,0,1] neg_hi:[0,0,1]
	v_pk_mul_f32 v[72:73], v[128:129], v[72:73] op_sel_hi:[1,0]
	v_pk_add_f32 v[62:63], v[70:71], v[62:63]
	v_pk_fma_f32 v[70:71], v[98:99], v[82:83], v[68:69] op_sel_hi:[1,0,1]
	v_mov_b32_e32 v67, v77
	v_pk_fma_f32 v[68:69], v[98:99], v[82:83], v[68:69] neg_lo:[0,0,1] neg_hi:[0,0,1]
	s_wait_loadcnt 0x2
	v_pk_mul_f32 v[74:75], v[102:103], v[86:87] op_sel:[1,1] op_sel_hi:[0,1]
	v_pk_add_f32 v[62:63], v[62:63], v[64:65]
	v_dual_mov_b32 v64, v89 :: v_dual_mov_b32 v69, v71
	v_pk_fma_f32 v[70:71], v[100:101], v[84:85], v[72:73] op_sel_hi:[1,0,1]
	v_pk_fma_f32 v[72:73], v[100:101], v[84:85], v[72:73] neg_lo:[0,0,1] neg_hi:[0,0,1]
	s_delay_alu instid0(VALU_DEP_4)
	v_pk_add_f32 v[62:63], v[62:63], v[66:67]
	v_pk_fma_f32 v[66:67], v[102:103], v[86:87], v[74:75] op_sel_hi:[1,0,1]
	v_pk_mul_f32 v[64:65], v[130:131], v[64:65] op_sel_hi:[1,0]
	v_mov_b32_e32 v73, v71
	s_wait_loadcnt_dscnt 0x100
	v_pk_mul_f32 v[70:71], v[122:123], v[118:119] op_sel:[1,1] op_sel_hi:[0,1]
	v_pk_add_f32 v[62:63], v[62:63], v[68:69]
	v_pk_fma_f32 v[68:69], v[102:103], v[86:87], v[74:75] neg_lo:[0,0,1] neg_hi:[0,0,1]
	v_mov_b32_e32 v69, v67
	v_pk_fma_f32 v[66:67], v[104:105], v[88:89], v[64:65] op_sel_hi:[1,0,1]
	v_pk_fma_f32 v[64:65], v[104:105], v[88:89], v[64:65] neg_lo:[0,0,1] neg_hi:[0,0,1]
	v_pk_add_f32 v[62:63], v[62:63], v[72:73]
	s_delay_alu instid0(VALU_DEP_3) | instskip(SKIP_1) | instid1(VALU_DEP_3)
	v_mov_b32_e32 v65, v67
	v_pk_fma_f32 v[66:67], v[122:123], v[118:119], v[70:71] op_sel_hi:[1,0,1]
	v_pk_add_f32 v[62:63], v[62:63], v[68:69]
	v_pk_fma_f32 v[68:69], v[122:123], v[118:119], v[70:71] neg_lo:[0,0,1] neg_hi:[0,0,1]
	s_delay_alu instid0(VALU_DEP_3) | instskip(NEXT) | instid1(VALU_DEP_3)
	v_mov_b32_e32 v69, v67
	v_pk_add_f32 v[62:63], v[62:63], v[64:65]
	s_delay_alu instid0(VALU_DEP_1) | instskip(SKIP_1) | instid1(VALU_DEP_1)
	v_pk_add_f32 v[62:63], v[62:63], v[68:69]
	s_wait_loadcnt 0x0
	v_pk_add_f32 v[62:63], v[120:121], v[62:63] neg_lo:[0,1] neg_hi:[0,1]
	scratch_store_b64 off, v[62:63], off offset:112
	s_wait_xcnt 0x0
	v_cmpx_lt_u32_e32 13, v0
	s_cbranch_execz .LBB29_167
; %bb.166:
	scratch_load_b64 v[62:63], off, off offset:104
	v_mov_b64_e32 v[64:65], 0
	scratch_store_b64 off, v[64:65], off offset:104
	s_wait_loadcnt 0x0
	ds_store_b64 v1, v[62:63]
.LBB29_167:
	s_wait_xcnt 0x0
	s_or_b32 exec_lo, exec_lo, s0
	s_wait_storecnt_dscnt 0x0
	s_barrier_signal -1
	s_barrier_wait -1
	s_clause 0x8
	scratch_load_b128 v[62:65], off, off offset:112
	scratch_load_b128 v[66:69], off, off offset:128
	;; [unrolled: 1-line block ×8, first 2 shown]
	scratch_load_b64 v[126:127], off, off offset:104
	ds_load_b128 v[94:97], v5 offset:416
	ds_load_b128 v[98:101], v5 offset:432
	;; [unrolled: 1-line block ×8, first 2 shown]
	s_mov_b32 s0, exec_lo
	s_wait_dscnt 0x7
	v_dual_mov_b32 v128, v97 :: v_dual_mov_b32 v129, v96
	s_wait_dscnt 0x6
	v_dual_mov_b32 v130, v101 :: v_dual_mov_b32 v131, v100
	;; [unrolled: 2-line block ×4, first 2 shown]
	s_wait_loadcnt_dscnt 0x803
	v_dual_mul_f32 v5, v110, v63 :: v_dual_mul_f32 v9, v112, v65
	v_dual_mul_f32 v19, v111, v63 :: v_dual_mul_f32 v21, v113, v65
	s_wait_loadcnt_dscnt 0x702
	v_dual_mul_f32 v11, v114, v67 :: v_dual_mul_f32 v13, v116, v69
	s_delay_alu instid0(VALU_DEP_2) | instskip(SKIP_3) | instid1(VALU_DEP_3)
	v_dual_fmac_f32 v5, v111, v62 :: v_dual_fma_f32 v19, v110, v62, -v19
	v_dual_mul_f32 v23, v115, v67 :: v_dual_mul_f32 v25, v117, v69
	s_wait_loadcnt_dscnt 0x500
	v_dual_mul_f32 v31, v123, v75 :: v_dual_fmac_f32 v9, v113, v64
	v_dual_fma_f32 v21, v112, v64, -v21 :: v_dual_add_f32 v5, 0, v5
	v_dual_add_f32 v19, 0, v19 :: v_dual_mul_f32 v33, v125, v77
	v_fmac_f32_e32 v11, v115, v66
	s_delay_alu instid0(VALU_DEP_3) | instskip(NEXT) | instid1(VALU_DEP_3)
	v_dual_fma_f32 v23, v114, v66, -v23 :: v_dual_add_f32 v5, v5, v9
	v_dual_add_f32 v9, v19, v21 :: v_dual_mul_f32 v15, v118, v71
	v_dual_mul_f32 v17, v120, v73 :: v_dual_mul_f32 v27, v119, v71
	v_mul_f32_e32 v29, v121, v73
	s_delay_alu instid0(VALU_DEP_3) | instskip(SKIP_1) | instid1(VALU_DEP_4)
	v_dual_fmac_f32 v13, v117, v68 :: v_dual_fmac_f32 v15, v119, v70
	v_dual_fma_f32 v19, v116, v68, -v25 :: v_dual_add_f32 v5, v5, v11
	v_dual_add_f32 v9, v9, v23 :: v_dual_fma_f32 v11, v118, v70, -v27
	v_dual_mul_f32 v137, v122, v75 :: v_dual_mul_f32 v139, v124, v77
	s_delay_alu instid0(VALU_DEP_3) | instskip(NEXT) | instid1(VALU_DEP_3)
	v_add_f32_e32 v5, v5, v13
	v_dual_add_f32 v9, v9, v19 :: v_dual_fma_f32 v136, v122, v74, -v31
	s_wait_loadcnt 0x4
	v_dual_mov_b32 v64, v81 :: v_dual_fma_f32 v13, v120, v72, -v29
	v_fmac_f32_e32 v17, v121, v72
	s_delay_alu instid0(VALU_DEP_3) | instskip(SKIP_2) | instid1(VALU_DEP_3)
	v_dual_add_f32 v9, v9, v11 :: v_dual_fmac_f32 v137, v123, v74
	v_dual_add_f32 v5, v5, v15 :: v_dual_fma_f32 v138, v124, v76, -v33
	v_pk_mul_f32 v[62:63], v[94:95], v[78:79] op_sel:[1,1] op_sel_hi:[0,1]
	v_add_f32_e32 v70, v9, v13
	v_fmac_f32_e32 v139, v125, v76
	s_delay_alu instid0(VALU_DEP_4)
	v_add_f32_e32 v71, v5, v17
	v_pk_mul_f32 v[64:65], v[128:129], v[64:65] op_sel_hi:[1,0]
	v_pk_fma_f32 v[72:73], v[94:95], v[78:79], v[62:63] op_sel_hi:[1,0,1]
	v_pk_fma_f32 v[62:63], v[94:95], v[78:79], v[62:63] neg_lo:[0,0,1] neg_hi:[0,0,1]
	s_wait_loadcnt 0x3
	v_pk_mul_f32 v[66:67], v[98:99], v[82:83] op_sel:[1,1] op_sel_hi:[0,1]
	v_pk_add_f32 v[70:71], v[70:71], v[136:137]
	v_dual_mov_b32 v68, v85 :: v_dual_mov_b32 v63, v73
	v_pk_fma_f32 v[72:73], v[96:97], v[80:81], v[64:65] op_sel_hi:[1,0,1]
	v_pk_fma_f32 v[64:65], v[96:97], v[80:81], v[64:65] neg_lo:[0,0,1] neg_hi:[0,0,1]
	s_delay_alu instid0(VALU_DEP_4)
	v_pk_add_f32 v[70:71], v[70:71], v[138:139]
	v_pk_fma_f32 v[76:77], v[98:99], v[82:83], v[66:67] op_sel_hi:[1,0,1]
	v_pk_mul_f32 v[68:69], v[130:131], v[68:69] op_sel_hi:[1,0]
	v_mov_b32_e32 v65, v73
	s_wait_loadcnt 0x2
	v_pk_mul_f32 v[74:75], v[102:103], v[86:87] op_sel:[1,1] op_sel_hi:[0,1]
	v_pk_add_f32 v[62:63], v[70:71], v[62:63]
	v_mov_b32_e32 v70, v89
	v_pk_fma_f32 v[66:67], v[98:99], v[82:83], v[66:67] neg_lo:[0,0,1] neg_hi:[0,0,1]
	v_pk_fma_f32 v[72:73], v[100:101], v[84:85], v[68:69] op_sel_hi:[1,0,1]
	v_mov_b32_e32 v67, v77
	v_pk_add_f32 v[62:63], v[62:63], v[64:65]
	v_pk_fma_f32 v[64:65], v[102:103], v[86:87], v[74:75] op_sel_hi:[1,0,1]
	v_pk_mul_f32 v[70:71], v[132:133], v[70:71] op_sel_hi:[1,0]
	v_pk_fma_f32 v[68:69], v[100:101], v[84:85], v[68:69] neg_lo:[0,0,1] neg_hi:[0,0,1]
	v_mov_b32_e32 v69, v73
	v_pk_add_f32 v[62:63], v[62:63], v[66:67]
	v_pk_fma_f32 v[72:73], v[102:103], v[86:87], v[74:75] neg_lo:[0,0,1] neg_hi:[0,0,1]
	v_mov_b32_e32 v73, v65
	v_pk_fma_f32 v[64:65], v[104:105], v[88:89], v[70:71] op_sel_hi:[1,0,1]
	s_wait_loadcnt 0x1
	v_pk_mul_f32 v[66:67], v[106:107], v[90:91] op_sel:[1,1] op_sel_hi:[0,1]
	v_pk_add_f32 v[62:63], v[62:63], v[68:69]
	v_mov_b32_e32 v64, v93
	v_pk_fma_f32 v[70:71], v[104:105], v[88:89], v[70:71] neg_lo:[0,0,1] neg_hi:[0,0,1]
	s_delay_alu instid0(VALU_DEP_4)
	v_pk_fma_f32 v[68:69], v[106:107], v[90:91], v[66:67] op_sel_hi:[1,0,1]
	v_mov_b32_e32 v71, v65
	v_pk_add_f32 v[62:63], v[62:63], v[72:73]
	v_pk_mul_f32 v[64:65], v[134:135], v[64:65] op_sel_hi:[1,0]
	v_pk_fma_f32 v[66:67], v[106:107], v[90:91], v[66:67] neg_lo:[0,0,1] neg_hi:[0,0,1]
	v_mov_b32_e32 v67, v69
	s_delay_alu instid0(VALU_DEP_4) | instskip(NEXT) | instid1(VALU_DEP_4)
	v_pk_add_f32 v[62:63], v[62:63], v[70:71]
	v_pk_fma_f32 v[68:69], v[108:109], v[92:93], v[64:65] op_sel_hi:[1,0,1]
	v_pk_fma_f32 v[64:65], v[108:109], v[92:93], v[64:65] neg_lo:[0,0,1] neg_hi:[0,0,1]
	s_delay_alu instid0(VALU_DEP_3) | instskip(NEXT) | instid1(VALU_DEP_3)
	v_pk_add_f32 v[62:63], v[62:63], v[66:67]
	v_mov_b32_e32 v65, v69
	s_delay_alu instid0(VALU_DEP_1) | instskip(SKIP_1) | instid1(VALU_DEP_1)
	v_pk_add_f32 v[62:63], v[62:63], v[64:65]
	s_wait_loadcnt 0x0
	v_pk_add_f32 v[62:63], v[126:127], v[62:63] neg_lo:[0,1] neg_hi:[0,1]
	scratch_store_b64 off, v[62:63], off offset:104
	s_wait_xcnt 0x0
	v_cmpx_lt_u32_e32 12, v0
	s_cbranch_execz .LBB29_169
; %bb.168:
	scratch_load_b64 v[62:63], off, off offset:96
	v_mov_b64_e32 v[64:65], 0
	scratch_store_b64 off, v[64:65], off offset:96
	s_wait_loadcnt 0x0
	ds_store_b64 v1, v[62:63]
.LBB29_169:
	s_wait_xcnt 0x0
	s_or_b32 exec_lo, exec_lo, s0
	s_wait_storecnt_dscnt 0x0
	s_barrier_signal -1
	s_barrier_wait -1
	s_clause 0x9
	scratch_load_b128 v[62:65], off, off offset:104
	scratch_load_b128 v[66:69], off, off offset:120
	;; [unrolled: 1-line block ×8, first 2 shown]
	scratch_load_b64 v[126:127], off, off offset:232
	scratch_load_b64 v[128:129], off, off offset:96
	v_mov_b32_e32 v5, 0
	ds_load_2addr_b64 v[94:97], v5 offset0:51 offset1:52
	ds_load_2addr_b64 v[98:101], v5 offset0:53 offset1:54
	;; [unrolled: 1-line block ×8, first 2 shown]
	ds_load_b64 v[130:131], v5 offset:472
	s_mov_b32 s0, exec_lo
	s_wait_dscnt 0x8
	v_dual_mov_b32 v132, v97 :: v_dual_mov_b32 v133, v96
	s_wait_dscnt 0x5
	v_dual_mov_b32 v134, v101 :: v_dual_mov_b32 v139, v108
	v_dual_mov_b32 v135, v100 :: v_dual_mov_b32 v136, v105
	;; [unrolled: 1-line block ×3, first 2 shown]
	s_wait_loadcnt_dscnt 0x904
	v_dual_mul_f32 v9, v110, v63 :: v_dual_mul_f32 v23, v111, v63
	v_dual_mul_f32 v25, v113, v65 :: v_dual_mul_f32 v11, v112, v65
	s_wait_loadcnt_dscnt 0x803
	v_mul_f32_e32 v13, v114, v67
	s_wait_loadcnt_dscnt 0x601
	v_dual_mul_f32 v35, v123, v75 :: v_dual_fma_f32 v23, v110, v62, -v23
	v_dual_fmac_f32 v9, v111, v62 :: v_dual_mul_f32 v37, v125, v77
	v_dual_mul_f32 v27, v115, v67 :: v_dual_mul_f32 v29, v117, v69
	v_dual_fmac_f32 v11, v113, v64 :: v_dual_fma_f32 v25, v112, v64, -v25
	s_delay_alu instid0(VALU_DEP_3) | instskip(SKIP_3) | instid1(VALU_DEP_3)
	v_dual_add_f32 v9, 0, v9 :: v_dual_add_f32 v23, 0, v23
	v_dual_mul_f32 v15, v116, v69 :: v_dual_mul_f32 v17, v118, v71
	s_wait_loadcnt 0x5
	v_dual_mul_f32 v39, v95, v79 :: v_dual_fma_f32 v27, v114, v66, -v27
	v_dual_fmac_f32 v13, v115, v66 :: v_dual_add_f32 v9, v9, v11
	v_dual_add_f32 v11, v23, v25 :: v_dual_mov_b32 v62, v81
	v_dual_mul_f32 v31, v119, v71 :: v_dual_mul_f32 v33, v121, v73
	v_dual_fmac_f32 v15, v117, v68 :: v_dual_fma_f32 v23, v116, v68, -v29
	s_delay_alu instid0(VALU_DEP_3) | instskip(SKIP_1) | instid1(VALU_DEP_4)
	v_dual_add_f32 v9, v9, v13 :: v_dual_add_f32 v11, v11, v27
	v_dual_mul_f32 v19, v120, v73 :: v_dual_mul_f32 v21, v122, v75
	v_dual_fmac_f32 v17, v119, v70 :: v_dual_fma_f32 v13, v118, v70, -v31
	s_delay_alu instid0(VALU_DEP_3) | instskip(SKIP_3) | instid1(VALU_DEP_3)
	v_dual_add_f32 v9, v9, v15 :: v_dual_fma_f32 v15, v120, v72, -v33
	s_wait_loadcnt 0x4
	v_dual_add_f32 v11, v11, v23 :: v_dual_mov_b32 v66, v85
	v_fmac_f32_e32 v19, v121, v72
	v_dual_add_f32 v9, v9, v17 :: v_dual_fmac_f32 v21, v123, v74
	s_delay_alu instid0(VALU_DEP_3) | instskip(SKIP_1) | instid1(VALU_DEP_3)
	v_add_f32_e32 v11, v11, v13
	v_dual_mul_f32 v141, v124, v77 :: v_dual_mul_f32 v143, v94, v79
	v_dual_fma_f32 v13, v122, v74, -v35 :: v_dual_add_f32 v9, v9, v19
	s_delay_alu instid0(VALU_DEP_2) | instskip(SKIP_1) | instid1(VALU_DEP_3)
	v_dual_add_f32 v11, v11, v15 :: v_dual_fmac_f32 v141, v125, v76
	v_pk_mul_f32 v[64:65], v[98:99], v[82:83] op_sel:[1,1] op_sel_hi:[0,1]
	v_dual_fma_f32 v140, v124, v76, -v37 :: v_dual_add_f32 v71, v9, v21
	v_pk_mul_f32 v[62:63], v[132:133], v[62:63] op_sel_hi:[1,0]
	s_wait_loadcnt 0x3
	v_dual_add_f32 v70, v11, v13 :: v_dual_mov_b32 v72, v89
	v_pk_fma_f32 v[76:77], v[98:99], v[82:83], v[64:65] op_sel_hi:[1,0,1]
	v_fmac_f32_e32 v143, v95, v78
	v_pk_fma_f32 v[74:75], v[96:97], v[80:81], v[62:63] op_sel_hi:[1,0,1]
	v_fma_f32 v142, v94, v78, -v39
	v_pk_add_f32 v[70:71], v[70:71], v[140:141]
	v_pk_fma_f32 v[62:63], v[96:97], v[80:81], v[62:63] neg_lo:[0,0,1] neg_hi:[0,0,1]
	v_pk_fma_f32 v[64:65], v[98:99], v[82:83], v[64:65] neg_lo:[0,0,1] neg_hi:[0,0,1]
	v_pk_mul_f32 v[66:67], v[134:135], v[66:67] op_sel_hi:[1,0]
	v_dual_mov_b32 v63, v75 :: v_dual_mov_b32 v65, v77
	v_pk_add_f32 v[70:71], v[70:71], v[142:143]
	v_pk_mul_f32 v[68:69], v[102:103], v[86:87] op_sel:[1,1] op_sel_hi:[0,1]
	s_delay_alu instid0(VALU_DEP_4)
	v_pk_fma_f32 v[76:77], v[100:101], v[84:85], v[66:67] op_sel_hi:[1,0,1]
	v_pk_fma_f32 v[66:67], v[100:101], v[84:85], v[66:67] neg_lo:[0,0,1] neg_hi:[0,0,1]
	v_pk_mul_f32 v[72:73], v[136:137], v[72:73] op_sel_hi:[1,0]
	v_pk_add_f32 v[62:63], v[70:71], v[62:63]
	v_pk_fma_f32 v[70:71], v[102:103], v[86:87], v[68:69] op_sel_hi:[1,0,1]
	v_mov_b32_e32 v67, v77
	v_pk_fma_f32 v[68:69], v[102:103], v[86:87], v[68:69] neg_lo:[0,0,1] neg_hi:[0,0,1]
	s_wait_loadcnt 0x2
	v_pk_mul_f32 v[74:75], v[106:107], v[90:91] op_sel:[1,1] op_sel_hi:[0,1]
	v_pk_add_f32 v[62:63], v[62:63], v[64:65]
	v_dual_mov_b32 v64, v93 :: v_dual_mov_b32 v69, v71
	v_pk_fma_f32 v[70:71], v[104:105], v[88:89], v[72:73] op_sel_hi:[1,0,1]
	v_pk_fma_f32 v[72:73], v[104:105], v[88:89], v[72:73] neg_lo:[0,0,1] neg_hi:[0,0,1]
	s_delay_alu instid0(VALU_DEP_4)
	v_pk_add_f32 v[62:63], v[62:63], v[66:67]
	v_pk_fma_f32 v[66:67], v[106:107], v[90:91], v[74:75] op_sel_hi:[1,0,1]
	v_pk_mul_f32 v[64:65], v[138:139], v[64:65] op_sel_hi:[1,0]
	v_mov_b32_e32 v73, v71
	s_wait_loadcnt_dscnt 0x100
	v_pk_mul_f32 v[70:71], v[130:131], v[126:127] op_sel:[1,1] op_sel_hi:[0,1]
	v_pk_add_f32 v[62:63], v[62:63], v[68:69]
	v_pk_fma_f32 v[68:69], v[106:107], v[90:91], v[74:75] neg_lo:[0,0,1] neg_hi:[0,0,1]
	v_mov_b32_e32 v69, v67
	v_pk_fma_f32 v[66:67], v[108:109], v[92:93], v[64:65] op_sel_hi:[1,0,1]
	v_pk_fma_f32 v[64:65], v[108:109], v[92:93], v[64:65] neg_lo:[0,0,1] neg_hi:[0,0,1]
	v_pk_add_f32 v[62:63], v[62:63], v[72:73]
	s_delay_alu instid0(VALU_DEP_3) | instskip(SKIP_1) | instid1(VALU_DEP_3)
	v_mov_b32_e32 v65, v67
	v_pk_fma_f32 v[66:67], v[130:131], v[126:127], v[70:71] op_sel_hi:[1,0,1]
	v_pk_add_f32 v[62:63], v[62:63], v[68:69]
	v_pk_fma_f32 v[68:69], v[130:131], v[126:127], v[70:71] neg_lo:[0,0,1] neg_hi:[0,0,1]
	s_delay_alu instid0(VALU_DEP_3) | instskip(NEXT) | instid1(VALU_DEP_3)
	v_mov_b32_e32 v69, v67
	v_pk_add_f32 v[62:63], v[62:63], v[64:65]
	s_delay_alu instid0(VALU_DEP_1) | instskip(SKIP_1) | instid1(VALU_DEP_1)
	v_pk_add_f32 v[62:63], v[62:63], v[68:69]
	s_wait_loadcnt 0x0
	v_pk_add_f32 v[62:63], v[128:129], v[62:63] neg_lo:[0,1] neg_hi:[0,1]
	scratch_store_b64 off, v[62:63], off offset:96
	s_wait_xcnt 0x0
	v_cmpx_lt_u32_e32 11, v0
	s_cbranch_execz .LBB29_171
; %bb.170:
	scratch_load_b64 v[62:63], off, off offset:88
	v_mov_b64_e32 v[64:65], 0
	scratch_store_b64 off, v[64:65], off offset:88
	s_wait_loadcnt 0x0
	ds_store_b64 v1, v[62:63]
.LBB29_171:
	s_wait_xcnt 0x0
	s_or_b32 exec_lo, exec_lo, s0
	s_wait_storecnt_dscnt 0x0
	s_barrier_signal -1
	s_barrier_wait -1
	s_clause 0x9
	scratch_load_b128 v[62:65], off, off offset:96
	scratch_load_b128 v[66:69], off, off offset:112
	;; [unrolled: 1-line block ×9, first 2 shown]
	scratch_load_b64 v[134:135], off, off offset:88
	ds_load_b128 v[98:101], v5 offset:416
	ds_load_b128 v[102:105], v5 offset:432
	;; [unrolled: 1-line block ×9, first 2 shown]
	s_mov_b32 s0, exec_lo
	s_wait_dscnt 0x8
	v_dual_mov_b32 v136, v101 :: v_dual_mov_b32 v137, v100
	s_wait_dscnt 0x7
	v_dual_mov_b32 v138, v105 :: v_dual_mov_b32 v139, v104
	;; [unrolled: 2-line block ×4, first 2 shown]
	s_wait_loadcnt_dscnt 0x904
	v_dual_mul_f32 v5, v114, v63 :: v_dual_mul_f32 v9, v116, v65
	v_dual_mul_f32 v23, v115, v63 :: v_dual_mul_f32 v25, v117, v65
	s_wait_loadcnt_dscnt 0x803
	v_dual_mul_f32 v11, v118, v67 :: v_dual_mul_f32 v13, v120, v69
	s_delay_alu instid0(VALU_DEP_2) | instskip(SKIP_3) | instid1(VALU_DEP_3)
	v_dual_fmac_f32 v5, v115, v62 :: v_dual_fma_f32 v23, v114, v62, -v23
	v_dual_mul_f32 v27, v119, v67 :: v_dual_mul_f32 v29, v121, v69
	s_wait_loadcnt_dscnt 0x601
	v_dual_mul_f32 v35, v127, v75 :: v_dual_fmac_f32 v9, v117, v64
	v_dual_fma_f32 v25, v116, v64, -v25 :: v_dual_add_f32 v5, 0, v5
	v_dual_add_f32 v23, 0, v23 :: v_dual_mul_f32 v37, v129, v77
	v_fmac_f32_e32 v11, v119, v66
	s_delay_alu instid0(VALU_DEP_3) | instskip(NEXT) | instid1(VALU_DEP_3)
	v_dual_fma_f32 v27, v118, v66, -v27 :: v_dual_add_f32 v5, v5, v9
	v_dual_add_f32 v9, v23, v25 :: v_dual_mul_f32 v15, v122, v71
	v_dual_mul_f32 v17, v124, v73 :: v_dual_mul_f32 v31, v123, v71
	s_wait_loadcnt_dscnt 0x500
	v_dual_mul_f32 v33, v125, v73 :: v_dual_mul_f32 v23, v131, v79
	v_fmac_f32_e32 v13, v121, v68
	v_dual_fma_f32 v25, v120, v68, -v29 :: v_dual_add_f32 v5, v5, v11
	v_dual_add_f32 v9, v9, v27 :: v_dual_fmac_f32 v15, v123, v70
	v_dual_mul_f32 v19, v126, v75 :: v_dual_mul_f32 v21, v128, v77
	v_dual_mul_f32 v11, v133, v81 :: v_dual_fma_f32 v27, v122, v70, -v31
	s_delay_alu instid0(VALU_DEP_4) | instskip(NEXT) | instid1(VALU_DEP_3)
	v_dual_add_f32 v5, v5, v13 :: v_dual_fma_f32 v13, v124, v72, -v33
	v_dual_add_f32 v9, v9, v25 :: v_dual_fmac_f32 v19, v127, v74
	v_dual_mul_f32 v145, v130, v79 :: v_dual_mul_f32 v147, v132, v81
	v_fmac_f32_e32 v17, v125, v72
	s_delay_alu instid0(VALU_DEP_4) | instskip(NEXT) | instid1(VALU_DEP_3)
	v_add_f32_e32 v5, v5, v15
	v_dual_add_f32 v9, v9, v27 :: v_dual_fmac_f32 v145, v131, v78
	v_dual_fma_f32 v15, v126, v74, -v35 :: v_dual_fmac_f32 v21, v129, v76
	s_delay_alu instid0(VALU_DEP_2)
	v_dual_fma_f32 v144, v130, v78, -v23 :: v_dual_add_f32 v9, v9, v13
	v_fma_f32 v146, v132, v80, -v11
	v_dual_fma_f32 v13, v128, v76, -v37 :: v_dual_add_f32 v5, v5, v17
	s_wait_loadcnt 0x4
	v_pk_mul_f32 v[62:63], v[98:99], v[82:83] op_sel:[1,1] op_sel_hi:[0,1]
	v_add_f32_e32 v9, v9, v15
	s_wait_loadcnt 0x3
	v_dual_mov_b32 v64, v85 :: v_dual_mov_b32 v68, v89
	v_add_f32_e32 v5, v5, v19
	v_fmac_f32_e32 v147, v133, v80
	v_add_f32_e32 v70, v9, v13
	v_pk_fma_f32 v[72:73], v[98:99], v[82:83], v[62:63] op_sel_hi:[1,0,1]
	v_pk_mul_f32 v[64:65], v[136:137], v[64:65] op_sel_hi:[1,0]
	v_add_f32_e32 v71, v5, v21
	v_pk_fma_f32 v[62:63], v[98:99], v[82:83], v[62:63] neg_lo:[0,0,1] neg_hi:[0,0,1]
	v_pk_mul_f32 v[66:67], v[102:103], v[86:87] op_sel:[1,1] op_sel_hi:[0,1]
	v_mov_b32_e32 v63, v73
	v_pk_fma_f32 v[72:73], v[100:101], v[84:85], v[64:65] op_sel_hi:[1,0,1]
	v_pk_add_f32 v[70:71], v[70:71], v[144:145]
	v_pk_fma_f32 v[64:65], v[100:101], v[84:85], v[64:65] neg_lo:[0,0,1] neg_hi:[0,0,1]
	v_pk_fma_f32 v[76:77], v[102:103], v[86:87], v[66:67] op_sel_hi:[1,0,1]
	v_pk_mul_f32 v[68:69], v[138:139], v[68:69] op_sel_hi:[1,0]
	v_mov_b32_e32 v65, v73
	v_pk_add_f32 v[70:71], v[70:71], v[146:147]
	s_wait_loadcnt 0x2
	v_pk_mul_f32 v[74:75], v[106:107], v[90:91] op_sel:[1,1] op_sel_hi:[0,1]
	v_pk_fma_f32 v[66:67], v[102:103], v[86:87], v[66:67] neg_lo:[0,0,1] neg_hi:[0,0,1]
	v_mov_b32_e32 v67, v77
	v_pk_fma_f32 v[72:73], v[104:105], v[88:89], v[68:69] op_sel_hi:[1,0,1]
	v_pk_add_f32 v[62:63], v[70:71], v[62:63]
	v_mov_b32_e32 v70, v93
	v_pk_fma_f32 v[68:69], v[104:105], v[88:89], v[68:69] neg_lo:[0,0,1] neg_hi:[0,0,1]
	s_delay_alu instid0(VALU_DEP_3) | instskip(SKIP_1) | instid1(VALU_DEP_4)
	v_pk_add_f32 v[62:63], v[62:63], v[64:65]
	v_pk_fma_f32 v[64:65], v[106:107], v[90:91], v[74:75] op_sel_hi:[1,0,1]
	v_pk_mul_f32 v[70:71], v[140:141], v[70:71] op_sel_hi:[1,0]
	v_mov_b32_e32 v69, v73
	v_pk_fma_f32 v[72:73], v[106:107], v[90:91], v[74:75] neg_lo:[0,0,1] neg_hi:[0,0,1]
	v_pk_add_f32 v[62:63], v[62:63], v[66:67]
	v_mov_b32_e32 v73, v65
	v_pk_fma_f32 v[64:65], v[108:109], v[92:93], v[70:71] op_sel_hi:[1,0,1]
	s_wait_loadcnt 0x1
	v_pk_mul_f32 v[66:67], v[110:111], v[94:95] op_sel:[1,1] op_sel_hi:[0,1]
	v_mov_b32_e32 v64, v97
	v_pk_add_f32 v[62:63], v[62:63], v[68:69]
	v_pk_fma_f32 v[70:71], v[108:109], v[92:93], v[70:71] neg_lo:[0,0,1] neg_hi:[0,0,1]
	v_mov_b32_e32 v71, v65
	v_pk_fma_f32 v[68:69], v[110:111], v[94:95], v[66:67] op_sel_hi:[1,0,1]
	v_pk_mul_f32 v[64:65], v[142:143], v[64:65] op_sel_hi:[1,0]
	v_pk_add_f32 v[62:63], v[62:63], v[72:73]
	v_pk_fma_f32 v[66:67], v[110:111], v[94:95], v[66:67] neg_lo:[0,0,1] neg_hi:[0,0,1]
	s_delay_alu instid0(VALU_DEP_4) | instskip(NEXT) | instid1(VALU_DEP_4)
	v_mov_b32_e32 v67, v69
	v_pk_fma_f32 v[68:69], v[112:113], v[96:97], v[64:65] op_sel_hi:[1,0,1]
	s_delay_alu instid0(VALU_DEP_4) | instskip(SKIP_1) | instid1(VALU_DEP_3)
	v_pk_add_f32 v[62:63], v[62:63], v[70:71]
	v_pk_fma_f32 v[64:65], v[112:113], v[96:97], v[64:65] neg_lo:[0,0,1] neg_hi:[0,0,1]
	v_mov_b32_e32 v65, v69
	s_delay_alu instid0(VALU_DEP_3) | instskip(NEXT) | instid1(VALU_DEP_1)
	v_pk_add_f32 v[62:63], v[62:63], v[66:67]
	v_pk_add_f32 v[62:63], v[62:63], v[64:65]
	s_wait_loadcnt 0x0
	s_delay_alu instid0(VALU_DEP_1)
	v_pk_add_f32 v[62:63], v[134:135], v[62:63] neg_lo:[0,1] neg_hi:[0,1]
	scratch_store_b64 off, v[62:63], off offset:88
	s_wait_xcnt 0x0
	v_cmpx_lt_u32_e32 10, v0
	s_cbranch_execz .LBB29_173
; %bb.172:
	scratch_load_b64 v[62:63], off, off offset:80
	v_mov_b64_e32 v[64:65], 0
	scratch_store_b64 off, v[64:65], off offset:80
	s_wait_loadcnt 0x0
	ds_store_b64 v1, v[62:63]
.LBB29_173:
	s_wait_xcnt 0x0
	s_or_b32 exec_lo, exec_lo, s0
	s_wait_storecnt_dscnt 0x0
	s_barrier_signal -1
	s_barrier_wait -1
	s_clause 0xa
	scratch_load_b128 v[62:65], off, off offset:88
	scratch_load_b128 v[66:69], off, off offset:104
	;; [unrolled: 1-line block ×9, first 2 shown]
	scratch_load_b64 v[134:135], off, off offset:232
	scratch_load_b64 v[136:137], off, off offset:80
	v_mov_b32_e32 v5, 0
	ds_load_2addr_b64 v[98:101], v5 offset0:51 offset1:52
	ds_load_2addr_b64 v[102:105], v5 offset0:53 offset1:54
	;; [unrolled: 1-line block ×9, first 2 shown]
	ds_load_b64 v[138:139], v5 offset:472
	s_mov_b32 s0, exec_lo
	s_wait_dscnt 0x9
	v_dual_mov_b32 v140, v101 :: v_dual_mov_b32 v141, v100
	s_wait_dscnt 0x6
	v_dual_mov_b32 v142, v105 :: v_dual_mov_b32 v147, v112
	v_dual_mov_b32 v143, v104 :: v_dual_mov_b32 v144, v109
	;; [unrolled: 1-line block ×3, first 2 shown]
	s_wait_loadcnt_dscnt 0xa05
	v_dual_mul_f32 v9, v114, v63 :: v_dual_mul_f32 v27, v115, v63
	v_dual_mul_f32 v29, v117, v65 :: v_dual_mul_f32 v11, v116, v65
	s_wait_loadcnt_dscnt 0x904
	v_mul_f32_e32 v13, v118, v67
	s_wait_loadcnt_dscnt 0x702
	v_dual_mul_f32 v39, v127, v75 :: v_dual_fma_f32 v27, v114, v62, -v27
	v_dual_fmac_f32 v9, v115, v62 :: v_dual_mul_f32 v41, v129, v77
	v_dual_mul_f32 v31, v119, v67 :: v_dual_mul_f32 v33, v121, v69
	v_dual_fmac_f32 v11, v117, v64 :: v_dual_fma_f32 v29, v116, v64, -v29
	s_delay_alu instid0(VALU_DEP_3) | instskip(SKIP_3) | instid1(VALU_DEP_3)
	v_dual_add_f32 v9, 0, v9 :: v_dual_add_f32 v27, 0, v27
	v_dual_mul_f32 v15, v120, v69 :: v_dual_mul_f32 v17, v122, v71
	s_wait_loadcnt_dscnt 0x601
	v_dual_mul_f32 v43, v131, v79 :: v_dual_fma_f32 v31, v118, v66, -v31
	v_dual_fmac_f32 v13, v119, v66 :: v_dual_add_f32 v9, v9, v11
	s_delay_alu instid0(VALU_DEP_3) | instskip(SKIP_2) | instid1(VALU_DEP_3)
	v_dual_add_f32 v11, v27, v29 :: v_dual_fmac_f32 v15, v121, v68
	v_dual_mul_f32 v35, v123, v71 :: v_dual_mul_f32 v37, v125, v73
	v_dual_mul_f32 v27, v133, v81 :: v_dual_fma_f32 v29, v120, v68, -v33
	v_dual_add_f32 v9, v9, v13 :: v_dual_add_f32 v11, v11, v31
	v_dual_mul_f32 v19, v124, v73 :: v_dual_mul_f32 v21, v126, v75
	s_wait_loadcnt 0x5
	v_dual_mul_f32 v13, v99, v83 :: v_dual_fma_f32 v31, v122, v70, -v35
	s_delay_alu instid0(VALU_DEP_3) | instskip(SKIP_2) | instid1(VALU_DEP_2)
	v_dual_fmac_f32 v17, v123, v70 :: v_dual_add_f32 v9, v9, v15
	v_dual_add_f32 v11, v11, v29 :: v_dual_mov_b32 v62, v85
	v_dual_fmac_f32 v19, v125, v72 :: v_dual_fma_f32 v15, v124, v72, -v37
	v_dual_add_f32 v9, v9, v17 :: v_dual_add_f32 v11, v11, v31
	v_dual_mul_f32 v23, v128, v77 :: v_dual_mul_f32 v25, v130, v79
	v_dual_fmac_f32 v21, v127, v74 :: v_dual_fma_f32 v17, v126, v74, -v39
	s_delay_alu instid0(VALU_DEP_3) | instskip(SKIP_3) | instid1(VALU_DEP_3)
	v_add_f32_e32 v9, v9, v19
	s_wait_loadcnt 0x4
	v_dual_add_f32 v11, v11, v15 :: v_dual_mov_b32 v66, v89
	v_dual_fmac_f32 v23, v129, v76 :: v_dual_fma_f32 v15, v128, v76, -v41
	v_dual_add_f32 v9, v9, v21 :: v_dual_fmac_f32 v25, v131, v78
	s_delay_alu instid0(VALU_DEP_3) | instskip(SKIP_1) | instid1(VALU_DEP_3)
	v_add_f32_e32 v11, v11, v17
	v_dual_mul_f32 v149, v132, v81 :: v_dual_mul_f32 v151, v98, v83
	v_dual_fma_f32 v17, v130, v78, -v43 :: v_dual_add_f32 v9, v9, v23
	s_delay_alu instid0(VALU_DEP_2) | instskip(SKIP_2) | instid1(VALU_DEP_4)
	v_dual_add_f32 v11, v11, v15 :: v_dual_fmac_f32 v149, v133, v80
	v_fma_f32 v148, v132, v80, -v27
	v_pk_mul_f32 v[62:63], v[140:141], v[62:63] op_sel_hi:[1,0]
	v_add_f32_e32 v71, v9, v25
	s_wait_loadcnt 0x3
	v_dual_add_f32 v70, v11, v17 :: v_dual_mov_b32 v72, v93
	v_pk_mul_f32 v[64:65], v[102:103], v[86:87] op_sel:[1,1] op_sel_hi:[0,1]
	v_dual_fmac_f32 v151, v99, v82 :: v_dual_fma_f32 v150, v98, v82, -v13
	v_pk_fma_f32 v[74:75], v[100:101], v[84:85], v[62:63] op_sel_hi:[1,0,1]
	s_delay_alu instid0(VALU_DEP_4)
	v_pk_add_f32 v[70:71], v[70:71], v[148:149]
	v_pk_fma_f32 v[62:63], v[100:101], v[84:85], v[62:63] neg_lo:[0,0,1] neg_hi:[0,0,1]
	v_pk_fma_f32 v[76:77], v[102:103], v[86:87], v[64:65] op_sel_hi:[1,0,1]
	v_pk_mul_f32 v[66:67], v[142:143], v[66:67] op_sel_hi:[1,0]
	v_mov_b32_e32 v63, v75
	v_pk_add_f32 v[70:71], v[70:71], v[150:151]
	v_pk_fma_f32 v[64:65], v[102:103], v[86:87], v[64:65] neg_lo:[0,0,1] neg_hi:[0,0,1]
	v_pk_mul_f32 v[68:69], v[106:107], v[90:91] op_sel:[1,1] op_sel_hi:[0,1]
	v_mov_b32_e32 v65, v77
	v_pk_fma_f32 v[76:77], v[104:105], v[88:89], v[66:67] op_sel_hi:[1,0,1]
	v_pk_add_f32 v[62:63], v[70:71], v[62:63]
	v_pk_fma_f32 v[66:67], v[104:105], v[88:89], v[66:67] neg_lo:[0,0,1] neg_hi:[0,0,1]
	v_pk_fma_f32 v[70:71], v[106:107], v[90:91], v[68:69] op_sel_hi:[1,0,1]
	v_pk_mul_f32 v[72:73], v[144:145], v[72:73] op_sel_hi:[1,0]
	v_mov_b32_e32 v67, v77
	v_pk_add_f32 v[62:63], v[62:63], v[64:65]
	v_pk_fma_f32 v[68:69], v[106:107], v[90:91], v[68:69] neg_lo:[0,0,1] neg_hi:[0,0,1]
	s_wait_loadcnt 0x2
	v_pk_mul_f32 v[74:75], v[110:111], v[94:95] op_sel:[1,1] op_sel_hi:[0,1]
	v_dual_mov_b32 v64, v97 :: v_dual_mov_b32 v69, v71
	v_pk_fma_f32 v[70:71], v[108:109], v[92:93], v[72:73] op_sel_hi:[1,0,1]
	v_pk_add_f32 v[62:63], v[62:63], v[66:67]
	v_pk_fma_f32 v[72:73], v[108:109], v[92:93], v[72:73] neg_lo:[0,0,1] neg_hi:[0,0,1]
	v_pk_fma_f32 v[66:67], v[110:111], v[94:95], v[74:75] op_sel_hi:[1,0,1]
	v_pk_mul_f32 v[64:65], v[146:147], v[64:65] op_sel_hi:[1,0]
	v_mov_b32_e32 v73, v71
	v_pk_add_f32 v[62:63], v[62:63], v[68:69]
	v_pk_fma_f32 v[68:69], v[110:111], v[94:95], v[74:75] neg_lo:[0,0,1] neg_hi:[0,0,1]
	v_mov_b32_e32 v69, v67
	v_pk_fma_f32 v[66:67], v[112:113], v[96:97], v[64:65] op_sel_hi:[1,0,1]
	s_wait_loadcnt_dscnt 0x100
	v_pk_mul_f32 v[70:71], v[138:139], v[134:135] op_sel:[1,1] op_sel_hi:[0,1]
	v_pk_add_f32 v[62:63], v[62:63], v[72:73]
	v_pk_fma_f32 v[64:65], v[112:113], v[96:97], v[64:65] neg_lo:[0,0,1] neg_hi:[0,0,1]
	v_mov_b32_e32 v65, v67
	s_delay_alu instid0(VALU_DEP_4) | instskip(NEXT) | instid1(VALU_DEP_4)
	v_pk_fma_f32 v[66:67], v[138:139], v[134:135], v[70:71] op_sel_hi:[1,0,1]
	v_pk_add_f32 v[62:63], v[62:63], v[68:69]
	v_pk_fma_f32 v[68:69], v[138:139], v[134:135], v[70:71] neg_lo:[0,0,1] neg_hi:[0,0,1]
	s_delay_alu instid0(VALU_DEP_3) | instskip(NEXT) | instid1(VALU_DEP_3)
	v_mov_b32_e32 v69, v67
	v_pk_add_f32 v[62:63], v[62:63], v[64:65]
	s_delay_alu instid0(VALU_DEP_1) | instskip(SKIP_1) | instid1(VALU_DEP_1)
	v_pk_add_f32 v[62:63], v[62:63], v[68:69]
	s_wait_loadcnt 0x0
	v_pk_add_f32 v[62:63], v[136:137], v[62:63] neg_lo:[0,1] neg_hi:[0,1]
	scratch_store_b64 off, v[62:63], off offset:80
	s_wait_xcnt 0x0
	v_cmpx_lt_u32_e32 9, v0
	s_cbranch_execz .LBB29_175
; %bb.174:
	scratch_load_b64 v[62:63], off, off offset:72
	v_mov_b64_e32 v[64:65], 0
	scratch_store_b64 off, v[64:65], off offset:72
	s_wait_loadcnt 0x0
	ds_store_b64 v1, v[62:63]
.LBB29_175:
	s_wait_xcnt 0x0
	s_or_b32 exec_lo, exec_lo, s0
	s_wait_storecnt_dscnt 0x0
	s_barrier_signal -1
	s_barrier_wait -1
	s_clause 0xa
	scratch_load_b128 v[62:65], off, off offset:80
	scratch_load_b128 v[66:69], off, off offset:96
	;; [unrolled: 1-line block ×10, first 2 shown]
	scratch_load_b64 v[142:143], off, off offset:72
	ds_load_b128 v[102:105], v5 offset:416
	ds_load_b128 v[106:109], v5 offset:432
	;; [unrolled: 1-line block ×10, first 2 shown]
	s_mov_b32 s0, exec_lo
	s_wait_dscnt 0x9
	v_dual_mov_b32 v144, v105 :: v_dual_mov_b32 v145, v104
	s_wait_dscnt 0x8
	v_dual_mov_b32 v146, v109 :: v_dual_mov_b32 v147, v108
	s_wait_dscnt 0x7
	v_dual_mov_b32 v148, v113 :: v_dual_mov_b32 v149, v112
	s_wait_dscnt 0x6
	v_dual_mov_b32 v150, v117 :: v_dual_mov_b32 v151, v116
	s_wait_loadcnt_dscnt 0xa05
	v_dual_mul_f32 v5, v118, v63 :: v_dual_mul_f32 v9, v120, v65
	v_dual_mul_f32 v27, v119, v63 :: v_dual_mul_f32 v29, v121, v65
	s_wait_loadcnt_dscnt 0x904
	v_dual_mul_f32 v11, v122, v67 :: v_dual_mul_f32 v13, v124, v69
	s_delay_alu instid0(VALU_DEP_2) | instskip(SKIP_3) | instid1(VALU_DEP_3)
	v_dual_fmac_f32 v5, v119, v62 :: v_dual_fma_f32 v27, v118, v62, -v27
	v_dual_mul_f32 v31, v123, v67 :: v_dual_mul_f32 v33, v125, v69
	s_wait_loadcnt_dscnt 0x702
	v_dual_mul_f32 v39, v131, v75 :: v_dual_fmac_f32 v9, v121, v64
	v_dual_fma_f32 v29, v120, v64, -v29 :: v_dual_add_f32 v5, 0, v5
	v_dual_add_f32 v27, 0, v27 :: v_dual_mul_f32 v41, v133, v77
	v_fmac_f32_e32 v11, v123, v66
	s_delay_alu instid0(VALU_DEP_3) | instskip(NEXT) | instid1(VALU_DEP_3)
	v_dual_fma_f32 v31, v122, v66, -v31 :: v_dual_add_f32 v5, v5, v9
	v_dual_add_f32 v9, v27, v29 :: v_dual_mul_f32 v15, v126, v71
	v_dual_mul_f32 v17, v128, v73 :: v_dual_mul_f32 v35, v127, v71
	s_wait_loadcnt_dscnt 0x601
	v_dual_mul_f32 v37, v129, v73 :: v_dual_mul_f32 v27, v135, v79
	v_fmac_f32_e32 v13, v125, v68
	v_dual_fma_f32 v29, v124, v68, -v33 :: v_dual_add_f32 v5, v5, v11
	v_dual_add_f32 v9, v9, v31 :: v_dual_fmac_f32 v15, v127, v70
	v_dual_mul_f32 v11, v137, v81 :: v_dual_fma_f32 v31, v126, v70, -v35
	s_wait_loadcnt_dscnt 0x500
	s_delay_alu instid0(VALU_DEP_3) | instskip(NEXT) | instid1(VALU_DEP_3)
	v_dual_add_f32 v5, v5, v13 :: v_dual_mul_f32 v13, v139, v83
	v_dual_add_f32 v9, v9, v29 :: v_dual_fma_f32 v29, v128, v72, -v37
	v_dual_mul_f32 v19, v130, v75 :: v_dual_mul_f32 v21, v132, v77
	v_fmac_f32_e32 v17, v129, v72
	s_delay_alu instid0(VALU_DEP_4) | instskip(NEXT) | instid1(VALU_DEP_3)
	v_add_f32_e32 v5, v5, v15
	v_dual_add_f32 v9, v9, v31 :: v_dual_fmac_f32 v19, v131, v74
	v_fma_f32 v31, v130, v74, -v39
	v_dual_mul_f32 v23, v134, v79 :: v_dual_mul_f32 v25, v136, v81
	s_delay_alu instid0(VALU_DEP_4) | instskip(NEXT) | instid1(VALU_DEP_4)
	v_dual_add_f32 v5, v5, v17 :: v_dual_fma_f32 v17, v132, v76, -v41
	v_dual_add_f32 v9, v9, v29 :: v_dual_fma_f32 v11, v136, v80, -v11
	v_dual_mul_f32 v153, v138, v83 :: v_dual_mul_f32 v155, v140, v85
	v_fmac_f32_e32 v21, v133, v76
	s_delay_alu instid0(VALU_DEP_4) | instskip(NEXT) | instid1(VALU_DEP_4)
	v_add_f32_e32 v5, v5, v19
	v_dual_add_f32 v9, v9, v31 :: v_dual_fma_f32 v152, v138, v82, -v13
	v_dual_mul_f32 v15, v141, v85 :: v_dual_fmac_f32 v23, v135, v78
	s_delay_alu instid0(VALU_DEP_2) | instskip(NEXT) | instid1(VALU_DEP_4)
	v_dual_fma_f32 v19, v134, v78, -v27 :: v_dual_add_f32 v9, v9, v17
	v_dual_fmac_f32 v153, v139, v82 :: v_dual_add_f32 v5, v5, v21
	s_delay_alu instid0(VALU_DEP_3) | instskip(SKIP_1) | instid1(VALU_DEP_4)
	v_fma_f32 v154, v140, v84, -v15
	v_fmac_f32_e32 v25, v137, v80
	v_add_f32_e32 v9, v9, v19
	s_wait_loadcnt 0x4
	v_pk_mul_f32 v[62:63], v[102:103], v[86:87] op_sel:[1,1] op_sel_hi:[0,1]
	v_add_f32_e32 v5, v5, v23
	s_wait_loadcnt 0x3
	v_dual_mov_b32 v64, v89 :: v_dual_mov_b32 v68, v93
	v_add_f32_e32 v70, v9, v11
	v_fmac_f32_e32 v155, v141, v84
	v_add_f32_e32 v71, v5, v25
	v_pk_fma_f32 v[72:73], v[102:103], v[86:87], v[62:63] op_sel_hi:[1,0,1]
	v_pk_mul_f32 v[64:65], v[144:145], v[64:65] op_sel_hi:[1,0]
	v_pk_fma_f32 v[62:63], v[102:103], v[86:87], v[62:63] neg_lo:[0,0,1] neg_hi:[0,0,1]
	v_pk_mul_f32 v[66:67], v[106:107], v[90:91] op_sel:[1,1] op_sel_hi:[0,1]
	v_pk_add_f32 v[70:71], v[70:71], v[152:153]
	v_mov_b32_e32 v63, v73
	v_pk_fma_f32 v[72:73], v[104:105], v[88:89], v[64:65] op_sel_hi:[1,0,1]
	v_pk_fma_f32 v[64:65], v[104:105], v[88:89], v[64:65] neg_lo:[0,0,1] neg_hi:[0,0,1]
	v_pk_fma_f32 v[76:77], v[106:107], v[90:91], v[66:67] op_sel_hi:[1,0,1]
	v_pk_add_f32 v[70:71], v[70:71], v[154:155]
	v_pk_mul_f32 v[68:69], v[146:147], v[68:69] op_sel_hi:[1,0]
	v_mov_b32_e32 v65, v73
	s_wait_loadcnt 0x2
	v_pk_mul_f32 v[74:75], v[110:111], v[94:95] op_sel:[1,1] op_sel_hi:[0,1]
	v_pk_fma_f32 v[66:67], v[106:107], v[90:91], v[66:67] neg_lo:[0,0,1] neg_hi:[0,0,1]
	v_pk_add_f32 v[62:63], v[70:71], v[62:63]
	v_dual_mov_b32 v70, v97 :: v_dual_mov_b32 v67, v77
	v_pk_fma_f32 v[72:73], v[108:109], v[92:93], v[68:69] op_sel_hi:[1,0,1]
	v_pk_fma_f32 v[68:69], v[108:109], v[92:93], v[68:69] neg_lo:[0,0,1] neg_hi:[0,0,1]
	s_delay_alu instid0(VALU_DEP_4)
	v_pk_add_f32 v[62:63], v[62:63], v[64:65]
	v_pk_fma_f32 v[64:65], v[110:111], v[94:95], v[74:75] op_sel_hi:[1,0,1]
	v_pk_mul_f32 v[70:71], v[148:149], v[70:71] op_sel_hi:[1,0]
	v_mov_b32_e32 v69, v73
	v_pk_fma_f32 v[72:73], v[110:111], v[94:95], v[74:75] neg_lo:[0,0,1] neg_hi:[0,0,1]
	v_pk_add_f32 v[62:63], v[62:63], v[66:67]
	v_mov_b32_e32 v73, v65
	v_pk_fma_f32 v[64:65], v[112:113], v[96:97], v[70:71] op_sel_hi:[1,0,1]
	s_wait_loadcnt 0x1
	v_pk_mul_f32 v[66:67], v[114:115], v[98:99] op_sel:[1,1] op_sel_hi:[0,1]
	v_mov_b32_e32 v64, v101
	v_pk_add_f32 v[62:63], v[62:63], v[68:69]
	v_pk_fma_f32 v[70:71], v[112:113], v[96:97], v[70:71] neg_lo:[0,0,1] neg_hi:[0,0,1]
	v_mov_b32_e32 v71, v65
	v_pk_fma_f32 v[68:69], v[114:115], v[98:99], v[66:67] op_sel_hi:[1,0,1]
	v_pk_mul_f32 v[64:65], v[150:151], v[64:65] op_sel_hi:[1,0]
	v_pk_add_f32 v[62:63], v[62:63], v[72:73]
	v_pk_fma_f32 v[66:67], v[114:115], v[98:99], v[66:67] neg_lo:[0,0,1] neg_hi:[0,0,1]
	s_delay_alu instid0(VALU_DEP_4) | instskip(NEXT) | instid1(VALU_DEP_4)
	v_mov_b32_e32 v67, v69
	v_pk_fma_f32 v[68:69], v[116:117], v[100:101], v[64:65] op_sel_hi:[1,0,1]
	s_delay_alu instid0(VALU_DEP_4) | instskip(SKIP_1) | instid1(VALU_DEP_3)
	v_pk_add_f32 v[62:63], v[62:63], v[70:71]
	v_pk_fma_f32 v[64:65], v[116:117], v[100:101], v[64:65] neg_lo:[0,0,1] neg_hi:[0,0,1]
	v_mov_b32_e32 v65, v69
	s_delay_alu instid0(VALU_DEP_3) | instskip(NEXT) | instid1(VALU_DEP_1)
	v_pk_add_f32 v[62:63], v[62:63], v[66:67]
	v_pk_add_f32 v[62:63], v[62:63], v[64:65]
	s_wait_loadcnt 0x0
	s_delay_alu instid0(VALU_DEP_1)
	v_pk_add_f32 v[62:63], v[142:143], v[62:63] neg_lo:[0,1] neg_hi:[0,1]
	scratch_store_b64 off, v[62:63], off offset:72
	s_wait_xcnt 0x0
	v_cmpx_lt_u32_e32 8, v0
	s_cbranch_execz .LBB29_177
; %bb.176:
	scratch_load_b64 v[62:63], off, off offset:64
	v_mov_b64_e32 v[64:65], 0
	scratch_store_b64 off, v[64:65], off offset:64
	s_wait_loadcnt 0x0
	ds_store_b64 v1, v[62:63]
.LBB29_177:
	s_wait_xcnt 0x0
	s_or_b32 exec_lo, exec_lo, s0
	s_wait_storecnt_dscnt 0x0
	s_barrier_signal -1
	s_barrier_wait -1
	s_clause 0xb
	scratch_load_b128 v[62:65], off, off offset:72
	scratch_load_b128 v[66:69], off, off offset:88
	;; [unrolled: 1-line block ×10, first 2 shown]
	scratch_load_b64 v[142:143], off, off offset:232
	scratch_load_b64 v[144:145], off, off offset:64
	v_mov_b32_e32 v5, 0
	ds_load_2addr_b64 v[102:105], v5 offset0:51 offset1:52
	ds_load_2addr_b64 v[106:109], v5 offset0:53 offset1:54
	;; [unrolled: 1-line block ×10, first 2 shown]
	ds_load_b64 v[146:147], v5 offset:472
	s_mov_b32 s0, exec_lo
	s_wait_dscnt 0xa
	v_dual_mov_b32 v148, v105 :: v_dual_mov_b32 v149, v104
	s_wait_dscnt 0x7
	v_dual_mov_b32 v150, v109 :: v_dual_mov_b32 v155, v116
	v_dual_mov_b32 v151, v108 :: v_dual_mov_b32 v152, v113
	;; [unrolled: 1-line block ×3, first 2 shown]
	s_wait_loadcnt_dscnt 0xb06
	v_dual_mul_f32 v9, v118, v63 :: v_dual_mul_f32 v31, v119, v63
	v_dual_mul_f32 v33, v121, v65 :: v_dual_mul_f32 v11, v120, v65
	s_wait_loadcnt_dscnt 0xa05
	v_mul_f32_e32 v13, v122, v67
	s_wait_loadcnt_dscnt 0x803
	v_dual_mul_f32 v43, v131, v75 :: v_dual_fma_f32 v31, v118, v62, -v31
	v_dual_fmac_f32 v9, v119, v62 :: v_dual_mul_f32 v45, v133, v77
	v_dual_mul_f32 v35, v123, v67 :: v_dual_mul_f32 v37, v125, v69
	v_dual_fmac_f32 v11, v121, v64 :: v_dual_fma_f32 v33, v120, v64, -v33
	s_delay_alu instid0(VALU_DEP_3) | instskip(SKIP_3) | instid1(VALU_DEP_3)
	v_dual_add_f32 v9, 0, v9 :: v_dual_add_f32 v31, 0, v31
	v_dual_mul_f32 v15, v124, v69 :: v_dual_mul_f32 v17, v126, v71
	s_wait_loadcnt_dscnt 0x702
	v_dual_mul_f32 v47, v135, v79 :: v_dual_fma_f32 v35, v122, v66, -v35
	v_dual_fmac_f32 v13, v123, v66 :: v_dual_add_f32 v9, v9, v11
	s_delay_alu instid0(VALU_DEP_3) | instskip(SKIP_2) | instid1(VALU_DEP_3)
	v_dual_add_f32 v11, v31, v33 :: v_dual_fmac_f32 v15, v125, v68
	v_dual_mul_f32 v39, v127, v71 :: v_dual_mul_f32 v41, v129, v73
	v_dual_mul_f32 v31, v137, v81 :: v_dual_fma_f32 v33, v124, v68, -v37
	v_dual_add_f32 v9, v9, v13 :: v_dual_add_f32 v11, v11, v35
	v_dual_mul_f32 v19, v128, v73 :: v_dual_mul_f32 v21, v130, v75
	s_wait_loadcnt_dscnt 0x601
	v_dual_mul_f32 v13, v139, v83 :: v_dual_fma_f32 v35, v126, v70, -v39
	s_delay_alu instid0(VALU_DEP_3) | instskip(NEXT) | instid1(VALU_DEP_3)
	v_dual_fmac_f32 v17, v127, v70 :: v_dual_add_f32 v9, v9, v15
	v_dual_add_f32 v11, v11, v33 :: v_dual_fmac_f32 v19, v129, v72
	v_dual_mul_f32 v15, v141, v85 :: v_dual_fma_f32 v33, v128, v72, -v41
	s_delay_alu instid0(VALU_DEP_2) | instskip(SKIP_3) | instid1(VALU_DEP_3)
	v_dual_add_f32 v9, v9, v17 :: v_dual_add_f32 v11, v11, v35
	v_dual_mul_f32 v23, v132, v77 :: v_dual_mul_f32 v25, v134, v79
	s_wait_loadcnt 0x5
	v_dual_mul_f32 v17, v103, v87 :: v_dual_fma_f32 v35, v130, v74, -v43
	v_dual_fmac_f32 v21, v131, v74 :: v_dual_add_f32 v9, v9, v19
	v_dual_add_f32 v11, v11, v33 :: v_dual_mov_b32 v62, v89
	v_dual_fmac_f32 v23, v133, v76 :: v_dual_fma_f32 v19, v132, v76, -v45
	s_delay_alu instid0(VALU_DEP_2) | instskip(SKIP_2) | instid1(VALU_DEP_3)
	v_dual_add_f32 v9, v9, v21 :: v_dual_add_f32 v11, v11, v35
	v_dual_mul_f32 v27, v136, v81 :: v_dual_mul_f32 v29, v138, v83
	v_dual_fmac_f32 v25, v135, v78 :: v_dual_fma_f32 v21, v134, v78, -v47
	v_add_f32_e32 v9, v9, v23
	s_wait_loadcnt 0x4
	v_dual_add_f32 v11, v11, v19 :: v_dual_mov_b32 v66, v93
	v_fmac_f32_e32 v27, v137, v80
	s_delay_alu instid0(VALU_DEP_3) | instskip(SKIP_1) | instid1(VALU_DEP_4)
	v_dual_fma_f32 v19, v136, v80, -v31 :: v_dual_add_f32 v9, v9, v25
	v_fmac_f32_e32 v29, v139, v82
	v_add_f32_e32 v11, v11, v21
	v_dual_mul_f32 v157, v140, v85 :: v_dual_mul_f32 v159, v102, v87
	s_delay_alu instid0(VALU_DEP_4) | instskip(NEXT) | instid1(VALU_DEP_2)
	v_dual_fma_f32 v13, v138, v82, -v13 :: v_dual_add_f32 v9, v9, v27
	v_dual_add_f32 v11, v11, v19 :: v_dual_fmac_f32 v157, v141, v84
	v_fma_f32 v156, v140, v84, -v15
	v_pk_mul_f32 v[62:63], v[148:149], v[62:63] op_sel_hi:[1,0]
	s_delay_alu instid0(VALU_DEP_4)
	v_add_f32_e32 v71, v9, v29
	s_wait_loadcnt 0x3
	v_dual_add_f32 v70, v11, v13 :: v_dual_mov_b32 v72, v97
	v_pk_mul_f32 v[64:65], v[106:107], v[90:91] op_sel:[1,1] op_sel_hi:[0,1]
	v_dual_fmac_f32 v159, v103, v86 :: v_dual_fma_f32 v158, v102, v86, -v17
	v_pk_fma_f32 v[74:75], v[104:105], v[88:89], v[62:63] op_sel_hi:[1,0,1]
	s_delay_alu instid0(VALU_DEP_4)
	v_pk_add_f32 v[70:71], v[70:71], v[156:157]
	v_pk_fma_f32 v[62:63], v[104:105], v[88:89], v[62:63] neg_lo:[0,0,1] neg_hi:[0,0,1]
	v_pk_fma_f32 v[76:77], v[106:107], v[90:91], v[64:65] op_sel_hi:[1,0,1]
	v_pk_mul_f32 v[66:67], v[150:151], v[66:67] op_sel_hi:[1,0]
	v_mov_b32_e32 v63, v75
	v_pk_add_f32 v[70:71], v[70:71], v[158:159]
	v_pk_fma_f32 v[64:65], v[106:107], v[90:91], v[64:65] neg_lo:[0,0,1] neg_hi:[0,0,1]
	v_pk_mul_f32 v[68:69], v[110:111], v[94:95] op_sel:[1,1] op_sel_hi:[0,1]
	v_mov_b32_e32 v65, v77
	v_pk_fma_f32 v[76:77], v[108:109], v[92:93], v[66:67] op_sel_hi:[1,0,1]
	v_pk_add_f32 v[62:63], v[70:71], v[62:63]
	v_pk_fma_f32 v[66:67], v[108:109], v[92:93], v[66:67] neg_lo:[0,0,1] neg_hi:[0,0,1]
	v_pk_fma_f32 v[70:71], v[110:111], v[94:95], v[68:69] op_sel_hi:[1,0,1]
	v_pk_mul_f32 v[72:73], v[152:153], v[72:73] op_sel_hi:[1,0]
	v_mov_b32_e32 v67, v77
	v_pk_add_f32 v[62:63], v[62:63], v[64:65]
	v_pk_fma_f32 v[68:69], v[110:111], v[94:95], v[68:69] neg_lo:[0,0,1] neg_hi:[0,0,1]
	s_wait_loadcnt 0x2
	v_pk_mul_f32 v[74:75], v[114:115], v[98:99] op_sel:[1,1] op_sel_hi:[0,1]
	v_dual_mov_b32 v64, v101 :: v_dual_mov_b32 v69, v71
	v_pk_fma_f32 v[70:71], v[112:113], v[96:97], v[72:73] op_sel_hi:[1,0,1]
	v_pk_add_f32 v[62:63], v[62:63], v[66:67]
	v_pk_fma_f32 v[72:73], v[112:113], v[96:97], v[72:73] neg_lo:[0,0,1] neg_hi:[0,0,1]
	v_pk_fma_f32 v[66:67], v[114:115], v[98:99], v[74:75] op_sel_hi:[1,0,1]
	v_pk_mul_f32 v[64:65], v[154:155], v[64:65] op_sel_hi:[1,0]
	v_mov_b32_e32 v73, v71
	v_pk_add_f32 v[62:63], v[62:63], v[68:69]
	v_pk_fma_f32 v[68:69], v[114:115], v[98:99], v[74:75] neg_lo:[0,0,1] neg_hi:[0,0,1]
	v_mov_b32_e32 v69, v67
	v_pk_fma_f32 v[66:67], v[116:117], v[100:101], v[64:65] op_sel_hi:[1,0,1]
	s_wait_loadcnt_dscnt 0x100
	v_pk_mul_f32 v[70:71], v[146:147], v[142:143] op_sel:[1,1] op_sel_hi:[0,1]
	v_pk_add_f32 v[62:63], v[62:63], v[72:73]
	v_pk_fma_f32 v[64:65], v[116:117], v[100:101], v[64:65] neg_lo:[0,0,1] neg_hi:[0,0,1]
	v_mov_b32_e32 v65, v67
	s_delay_alu instid0(VALU_DEP_4) | instskip(NEXT) | instid1(VALU_DEP_4)
	v_pk_fma_f32 v[66:67], v[146:147], v[142:143], v[70:71] op_sel_hi:[1,0,1]
	v_pk_add_f32 v[62:63], v[62:63], v[68:69]
	v_pk_fma_f32 v[68:69], v[146:147], v[142:143], v[70:71] neg_lo:[0,0,1] neg_hi:[0,0,1]
	s_delay_alu instid0(VALU_DEP_3) | instskip(NEXT) | instid1(VALU_DEP_3)
	v_mov_b32_e32 v69, v67
	v_pk_add_f32 v[62:63], v[62:63], v[64:65]
	s_delay_alu instid0(VALU_DEP_1) | instskip(SKIP_1) | instid1(VALU_DEP_1)
	v_pk_add_f32 v[62:63], v[62:63], v[68:69]
	s_wait_loadcnt 0x0
	v_pk_add_f32 v[62:63], v[144:145], v[62:63] neg_lo:[0,1] neg_hi:[0,1]
	scratch_store_b64 off, v[62:63], off offset:64
	s_wait_xcnt 0x0
	v_cmpx_lt_u32_e32 7, v0
	s_cbranch_execz .LBB29_179
; %bb.178:
	scratch_load_b64 v[62:63], off, off offset:56
	v_mov_b64_e32 v[64:65], 0
	scratch_store_b64 off, v[64:65], off offset:56
	s_wait_loadcnt 0x0
	ds_store_b64 v1, v[62:63]
.LBB29_179:
	s_wait_xcnt 0x0
	s_or_b32 exec_lo, exec_lo, s0
	s_wait_storecnt_dscnt 0x0
	s_barrier_signal -1
	s_barrier_wait -1
	s_clause 0xb
	scratch_load_b128 v[62:65], off, off offset:64
	scratch_load_b128 v[66:69], off, off offset:80
	;; [unrolled: 1-line block ×11, first 2 shown]
	scratch_load_b64 v[150:151], off, off offset:56
	ds_load_b128 v[106:109], v5 offset:416
	ds_load_b128 v[110:113], v5 offset:432
	;; [unrolled: 1-line block ×11, first 2 shown]
	s_mov_b32 s0, exec_lo
	s_wait_dscnt 0xa
	v_dual_mov_b32 v152, v109 :: v_dual_mov_b32 v153, v108
	s_wait_dscnt 0x9
	v_dual_mov_b32 v154, v113 :: v_dual_mov_b32 v155, v112
	;; [unrolled: 2-line block ×4, first 2 shown]
	s_wait_loadcnt_dscnt 0xb06
	v_dual_mul_f32 v5, v122, v63 :: v_dual_mul_f32 v9, v124, v65
	v_dual_mul_f32 v31, v123, v63 :: v_dual_mul_f32 v33, v125, v65
	s_wait_loadcnt_dscnt 0xa05
	v_dual_mul_f32 v11, v126, v67 :: v_dual_mul_f32 v13, v128, v69
	s_delay_alu instid0(VALU_DEP_2) | instskip(SKIP_3) | instid1(VALU_DEP_3)
	v_dual_fmac_f32 v5, v123, v62 :: v_dual_fma_f32 v31, v122, v62, -v31
	v_dual_mul_f32 v35, v127, v67 :: v_dual_mul_f32 v37, v129, v69
	s_wait_loadcnt_dscnt 0x803
	v_dual_mul_f32 v43, v135, v75 :: v_dual_fmac_f32 v9, v125, v64
	v_dual_fma_f32 v33, v124, v64, -v33 :: v_dual_add_f32 v5, 0, v5
	v_dual_add_f32 v31, 0, v31 :: v_dual_mul_f32 v45, v137, v77
	v_fmac_f32_e32 v11, v127, v66
	s_delay_alu instid0(VALU_DEP_3) | instskip(NEXT) | instid1(VALU_DEP_3)
	v_dual_fma_f32 v35, v126, v66, -v35 :: v_dual_add_f32 v5, v5, v9
	v_dual_add_f32 v9, v31, v33 :: v_dual_mul_f32 v15, v130, v71
	v_dual_mul_f32 v17, v132, v73 :: v_dual_mul_f32 v39, v131, v71
	v_dual_mul_f32 v41, v133, v73 :: v_dual_fma_f32 v33, v128, v68, -v37
	s_delay_alu instid0(VALU_DEP_4) | instskip(NEXT) | instid1(VALU_DEP_4)
	v_add_f32_e32 v5, v5, v11
	v_dual_add_f32 v9, v9, v35 :: v_dual_fmac_f32 v15, v131, v70
	s_wait_loadcnt_dscnt 0x702
	v_dual_mul_f32 v31, v139, v79 :: v_dual_fmac_f32 v13, v129, v68
	v_dual_mul_f32 v11, v141, v81 :: v_dual_fma_f32 v35, v130, v70, -v39
	s_delay_alu instid0(VALU_DEP_3) | instskip(SKIP_1) | instid1(VALU_DEP_3)
	v_dual_add_f32 v9, v9, v33 :: v_dual_fma_f32 v33, v132, v72, -v41
	s_wait_loadcnt_dscnt 0x601
	v_dual_add_f32 v5, v5, v13 :: v_dual_mul_f32 v13, v143, v83
	v_dual_mul_f32 v19, v134, v75 :: v_dual_mul_f32 v21, v136, v77
	s_delay_alu instid0(VALU_DEP_3) | instskip(SKIP_1) | instid1(VALU_DEP_4)
	v_add_f32_e32 v9, v9, v35
	v_fmac_f32_e32 v17, v133, v72
	v_dual_add_f32 v5, v5, v15 :: v_dual_fma_f32 v35, v134, v74, -v43
	v_dual_mul_f32 v23, v138, v79 :: v_dual_mul_f32 v25, v140, v81
	s_delay_alu instid0(VALU_DEP_4) | instskip(NEXT) | instid1(VALU_DEP_3)
	v_dual_add_f32 v9, v9, v33 :: v_dual_fma_f32 v31, v138, v78, -v31
	v_dual_fmac_f32 v19, v135, v74 :: v_dual_add_f32 v5, v5, v17
	s_delay_alu instid0(VALU_DEP_3) | instskip(NEXT) | instid1(VALU_DEP_3)
	v_dual_fmac_f32 v23, v139, v78 :: v_dual_fma_f32 v33, v136, v76, -v45
	v_dual_add_f32 v9, v9, v35 :: v_dual_fma_f32 v13, v142, v82, -v13
	v_dual_mul_f32 v27, v142, v83 :: v_dual_mul_f32 v29, v144, v85
	s_wait_loadcnt_dscnt 0x500
	v_dual_mul_f32 v15, v145, v85 :: v_dual_mul_f32 v17, v147, v87
	s_delay_alu instid0(VALU_DEP_2) | instskip(SKIP_1) | instid1(VALU_DEP_3)
	v_dual_fmac_f32 v21, v137, v76 :: v_dual_fmac_f32 v27, v143, v82
	v_dual_add_f32 v5, v5, v19 :: v_dual_fma_f32 v11, v140, v80, -v11
	v_dual_add_f32 v9, v9, v33 :: v_dual_fma_f32 v160, v146, v86, -v17
	v_dual_mul_f32 v161, v146, v87 :: v_dual_mul_f32 v163, v148, v89
	s_delay_alu instid0(VALU_DEP_3) | instskip(NEXT) | instid1(VALU_DEP_3)
	v_add_f32_e32 v5, v5, v21
	v_add_f32_e32 v9, v9, v31
	v_mul_f32_e32 v19, v149, v89
	v_fmac_f32_e32 v25, v141, v80
	v_fmac_f32_e32 v161, v147, v86
	;; [unrolled: 1-line block ×3, first 2 shown]
	v_dual_add_f32 v9, v9, v11 :: v_dual_fma_f32 v11, v144, v84, -v15
	v_dual_add_f32 v5, v5, v23 :: v_dual_fma_f32 v162, v148, v88, -v19
	s_wait_loadcnt 0x4
	v_pk_mul_f32 v[62:63], v[106:107], v[90:91] op_sel:[1,1] op_sel_hi:[0,1]
	s_delay_alu instid0(VALU_DEP_3)
	v_add_f32_e32 v9, v9, v13
	s_wait_loadcnt 0x3
	v_dual_mov_b32 v64, v93 :: v_dual_mov_b32 v68, v97
	v_add_f32_e32 v5, v5, v25
	v_fmac_f32_e32 v163, v149, v88
	v_add_f32_e32 v70, v9, v11
	v_pk_fma_f32 v[72:73], v[106:107], v[90:91], v[62:63] op_sel_hi:[1,0,1]
	v_pk_mul_f32 v[64:65], v[152:153], v[64:65] op_sel_hi:[1,0]
	v_add_f32_e32 v5, v5, v27
	v_pk_fma_f32 v[62:63], v[106:107], v[90:91], v[62:63] neg_lo:[0,0,1] neg_hi:[0,0,1]
	v_pk_mul_f32 v[66:67], v[110:111], v[94:95] op_sel:[1,1] op_sel_hi:[0,1]
	v_mov_b32_e32 v63, v73
	v_pk_fma_f32 v[72:73], v[108:109], v[92:93], v[64:65] op_sel_hi:[1,0,1]
	v_add_f32_e32 v71, v5, v29
	v_pk_fma_f32 v[64:65], v[108:109], v[92:93], v[64:65] neg_lo:[0,0,1] neg_hi:[0,0,1]
	v_pk_fma_f32 v[76:77], v[110:111], v[94:95], v[66:67] op_sel_hi:[1,0,1]
	v_pk_mul_f32 v[68:69], v[154:155], v[68:69] op_sel_hi:[1,0]
	v_mov_b32_e32 v65, v73
	v_pk_add_f32 v[70:71], v[70:71], v[160:161]
	s_wait_loadcnt 0x2
	v_pk_mul_f32 v[74:75], v[114:115], v[98:99] op_sel:[1,1] op_sel_hi:[0,1]
	v_pk_fma_f32 v[66:67], v[110:111], v[94:95], v[66:67] neg_lo:[0,0,1] neg_hi:[0,0,1]
	v_mov_b32_e32 v67, v77
	v_pk_fma_f32 v[72:73], v[112:113], v[96:97], v[68:69] op_sel_hi:[1,0,1]
	v_pk_add_f32 v[70:71], v[70:71], v[162:163]
	v_pk_fma_f32 v[68:69], v[112:113], v[96:97], v[68:69] neg_lo:[0,0,1] neg_hi:[0,0,1]
	s_delay_alu instid0(VALU_DEP_2) | instskip(SKIP_1) | instid1(VALU_DEP_2)
	v_pk_add_f32 v[62:63], v[70:71], v[62:63]
	v_mov_b32_e32 v70, v101
	v_pk_add_f32 v[62:63], v[62:63], v[64:65]
	v_pk_fma_f32 v[64:65], v[114:115], v[98:99], v[74:75] op_sel_hi:[1,0,1]
	s_delay_alu instid0(VALU_DEP_3)
	v_pk_mul_f32 v[70:71], v[156:157], v[70:71] op_sel_hi:[1,0]
	v_mov_b32_e32 v69, v73
	v_pk_fma_f32 v[72:73], v[114:115], v[98:99], v[74:75] neg_lo:[0,0,1] neg_hi:[0,0,1]
	v_pk_add_f32 v[62:63], v[62:63], v[66:67]
	v_mov_b32_e32 v73, v65
	v_pk_fma_f32 v[64:65], v[116:117], v[100:101], v[70:71] op_sel_hi:[1,0,1]
	s_wait_loadcnt 0x1
	v_pk_mul_f32 v[66:67], v[118:119], v[102:103] op_sel:[1,1] op_sel_hi:[0,1]
	v_mov_b32_e32 v64, v105
	v_pk_add_f32 v[62:63], v[62:63], v[68:69]
	v_pk_fma_f32 v[70:71], v[116:117], v[100:101], v[70:71] neg_lo:[0,0,1] neg_hi:[0,0,1]
	v_mov_b32_e32 v71, v65
	v_pk_fma_f32 v[68:69], v[118:119], v[102:103], v[66:67] op_sel_hi:[1,0,1]
	v_pk_mul_f32 v[64:65], v[158:159], v[64:65] op_sel_hi:[1,0]
	v_pk_add_f32 v[62:63], v[62:63], v[72:73]
	v_pk_fma_f32 v[66:67], v[118:119], v[102:103], v[66:67] neg_lo:[0,0,1] neg_hi:[0,0,1]
	s_delay_alu instid0(VALU_DEP_4) | instskip(NEXT) | instid1(VALU_DEP_4)
	v_mov_b32_e32 v67, v69
	v_pk_fma_f32 v[68:69], v[120:121], v[104:105], v[64:65] op_sel_hi:[1,0,1]
	s_delay_alu instid0(VALU_DEP_4) | instskip(SKIP_1) | instid1(VALU_DEP_3)
	v_pk_add_f32 v[62:63], v[62:63], v[70:71]
	v_pk_fma_f32 v[64:65], v[120:121], v[104:105], v[64:65] neg_lo:[0,0,1] neg_hi:[0,0,1]
	v_mov_b32_e32 v65, v69
	s_delay_alu instid0(VALU_DEP_3) | instskip(NEXT) | instid1(VALU_DEP_1)
	v_pk_add_f32 v[62:63], v[62:63], v[66:67]
	v_pk_add_f32 v[62:63], v[62:63], v[64:65]
	s_wait_loadcnt 0x0
	s_delay_alu instid0(VALU_DEP_1)
	v_pk_add_f32 v[62:63], v[150:151], v[62:63] neg_lo:[0,1] neg_hi:[0,1]
	scratch_store_b64 off, v[62:63], off offset:56
	s_wait_xcnt 0x0
	v_cmpx_lt_u32_e32 6, v0
	s_cbranch_execz .LBB29_181
; %bb.180:
	scratch_load_b64 v[62:63], off, off offset:48
	v_mov_b64_e32 v[64:65], 0
	scratch_store_b64 off, v[64:65], off offset:48
	s_wait_loadcnt 0x0
	ds_store_b64 v1, v[62:63]
.LBB29_181:
	s_wait_xcnt 0x0
	s_or_b32 exec_lo, exec_lo, s0
	s_wait_storecnt_dscnt 0x0
	s_barrier_signal -1
	s_barrier_wait -1
	s_clause 0xc
	scratch_load_b128 v[62:65], off, off offset:56
	scratch_load_b128 v[66:69], off, off offset:72
	;; [unrolled: 1-line block ×11, first 2 shown]
	scratch_load_b64 v[150:151], off, off offset:232
	scratch_load_b64 v[152:153], off, off offset:48
	v_mov_b32_e32 v5, 0
	ds_load_2addr_b64 v[106:109], v5 offset0:51 offset1:52
	ds_load_2addr_b64 v[110:113], v5 offset0:53 offset1:54
	;; [unrolled: 1-line block ×11, first 2 shown]
	ds_load_b64 v[154:155], v5 offset:472
	s_mov_b32 s0, exec_lo
	s_wait_dscnt 0xb
	v_dual_mov_b32 v156, v109 :: v_dual_mov_b32 v157, v108
	s_wait_dscnt 0x8
	v_dual_mov_b32 v158, v113 :: v_dual_mov_b32 v163, v120
	v_dual_mov_b32 v159, v112 :: v_dual_mov_b32 v160, v117
	;; [unrolled: 1-line block ×3, first 2 shown]
	s_wait_loadcnt_dscnt 0xc07
	v_dual_mul_f32 v9, v122, v63 :: v_dual_mul_f32 v35, v123, v63
	v_dual_mul_f32 v37, v125, v65 :: v_dual_mul_f32 v11, v124, v65
	s_wait_loadcnt_dscnt 0xb06
	v_mul_f32_e32 v13, v126, v67
	s_wait_loadcnt_dscnt 0x904
	v_dual_mul_f32 v47, v135, v75 :: v_dual_fma_f32 v35, v122, v62, -v35
	v_dual_fmac_f32 v9, v123, v62 :: v_dual_mul_f32 v49, v137, v77
	v_dual_mul_f32 v39, v127, v67 :: v_dual_mul_f32 v41, v129, v69
	v_dual_fmac_f32 v11, v125, v64 :: v_dual_fma_f32 v37, v124, v64, -v37
	s_delay_alu instid0(VALU_DEP_3) | instskip(SKIP_3) | instid1(VALU_DEP_3)
	v_dual_add_f32 v9, 0, v9 :: v_dual_add_f32 v35, 0, v35
	v_dual_mul_f32 v15, v128, v69 :: v_dual_mul_f32 v17, v130, v71
	s_wait_loadcnt_dscnt 0x803
	v_dual_mul_f32 v51, v139, v79 :: v_dual_fma_f32 v39, v126, v66, -v39
	v_dual_fmac_f32 v13, v127, v66 :: v_dual_add_f32 v9, v9, v11
	s_delay_alu instid0(VALU_DEP_3) | instskip(SKIP_2) | instid1(VALU_DEP_3)
	v_dual_add_f32 v11, v35, v37 :: v_dual_fmac_f32 v15, v129, v68
	v_dual_mul_f32 v43, v131, v71 :: v_dual_mul_f32 v45, v133, v73
	v_dual_mul_f32 v35, v141, v81 :: v_dual_fma_f32 v37, v128, v68, -v41
	v_dual_add_f32 v9, v9, v13 :: v_dual_add_f32 v11, v11, v39
	v_dual_mul_f32 v19, v132, v73 :: v_dual_mul_f32 v21, v134, v75
	s_wait_loadcnt_dscnt 0x701
	v_dual_mul_f32 v13, v147, v83 :: v_dual_fma_f32 v39, v130, v70, -v43
	s_delay_alu instid0(VALU_DEP_3) | instskip(NEXT) | instid1(VALU_DEP_3)
	v_dual_fmac_f32 v17, v131, v70 :: v_dual_add_f32 v9, v9, v15
	v_dual_add_f32 v11, v11, v37 :: v_dual_fmac_f32 v19, v133, v72
	v_dual_mul_f32 v15, v149, v85 :: v_dual_fma_f32 v37, v132, v72, -v45
	s_delay_alu instid0(VALU_DEP_2) | instskip(SKIP_3) | instid1(VALU_DEP_3)
	v_dual_add_f32 v9, v9, v17 :: v_dual_add_f32 v11, v11, v39
	v_dual_mul_f32 v23, v136, v77 :: v_dual_mul_f32 v25, v138, v79
	s_wait_loadcnt 0x6
	v_dual_mul_f32 v17, v143, v87 :: v_dual_fma_f32 v39, v134, v74, -v47
	v_dual_fmac_f32 v21, v135, v74 :: v_dual_add_f32 v9, v9, v19
	s_delay_alu instid0(VALU_DEP_3) | instskip(SKIP_1) | instid1(VALU_DEP_2)
	v_dual_add_f32 v11, v11, v37 :: v_dual_fmac_f32 v23, v137, v76
	v_dual_mul_f32 v19, v145, v89 :: v_dual_fma_f32 v37, v136, v76, -v49
	v_dual_add_f32 v9, v9, v21 :: v_dual_add_f32 v11, v11, v39
	v_dual_mul_f32 v27, v140, v81 :: v_dual_mul_f32 v29, v146, v83
	s_wait_loadcnt 0x5
	v_dual_mul_f32 v21, v107, v91 :: v_dual_fma_f32 v39, v138, v78, -v51
	s_delay_alu instid0(VALU_DEP_3) | instskip(SKIP_2) | instid1(VALU_DEP_3)
	v_dual_fmac_f32 v25, v139, v78 :: v_dual_add_f32 v9, v9, v23
	v_dual_add_f32 v11, v11, v37 :: v_dual_mov_b32 v62, v93
	v_fmac_f32_e32 v27, v141, v80
	v_dual_fma_f32 v23, v140, v80, -v35 :: v_dual_add_f32 v9, v9, v25
	s_delay_alu instid0(VALU_DEP_3) | instskip(SKIP_1) | instid1(VALU_DEP_3)
	v_dual_add_f32 v11, v11, v39 :: v_dual_mul_f32 v31, v148, v85
	v_dual_mul_f32 v33, v142, v87 :: v_dual_fmac_f32 v29, v147, v82
	v_dual_add_f32 v9, v9, v27 :: v_dual_fma_f32 v13, v146, v82, -v13
	s_wait_loadcnt 0x4
	s_delay_alu instid0(VALU_DEP_3) | instskip(SKIP_3) | instid1(VALU_DEP_4)
	v_dual_add_f32 v11, v11, v23 :: v_dual_mov_b32 v66, v97
	v_fma_f32 v15, v148, v84, -v15
	v_fmac_f32_e32 v31, v149, v84
	v_dual_add_f32 v9, v9, v29 :: v_dual_fmac_f32 v33, v143, v86
	v_add_f32_e32 v11, v11, v13
	v_dual_mul_f32 v165, v144, v89 :: v_dual_mul_f32 v167, v106, v91
	s_delay_alu instid0(VALU_DEP_3) | instskip(NEXT) | instid1(VALU_DEP_2)
	v_dual_fma_f32 v13, v142, v86, -v17 :: v_dual_add_f32 v9, v9, v31
	v_dual_add_f32 v11, v11, v15 :: v_dual_fmac_f32 v165, v145, v88
	v_fma_f32 v164, v144, v88, -v19
	v_pk_mul_f32 v[62:63], v[156:157], v[62:63] op_sel_hi:[1,0]
	s_delay_alu instid0(VALU_DEP_4)
	v_add_f32_e32 v71, v9, v33
	s_wait_loadcnt 0x3
	v_dual_add_f32 v70, v11, v13 :: v_dual_mov_b32 v72, v101
	v_pk_mul_f32 v[64:65], v[110:111], v[94:95] op_sel:[1,1] op_sel_hi:[0,1]
	v_dual_fmac_f32 v167, v107, v90 :: v_dual_fma_f32 v166, v106, v90, -v21
	v_pk_fma_f32 v[74:75], v[108:109], v[92:93], v[62:63] op_sel_hi:[1,0,1]
	s_delay_alu instid0(VALU_DEP_4)
	v_pk_add_f32 v[70:71], v[70:71], v[164:165]
	v_pk_fma_f32 v[62:63], v[108:109], v[92:93], v[62:63] neg_lo:[0,0,1] neg_hi:[0,0,1]
	v_pk_fma_f32 v[76:77], v[110:111], v[94:95], v[64:65] op_sel_hi:[1,0,1]
	v_pk_mul_f32 v[66:67], v[158:159], v[66:67] op_sel_hi:[1,0]
	v_mov_b32_e32 v63, v75
	v_pk_add_f32 v[70:71], v[70:71], v[166:167]
	v_pk_fma_f32 v[64:65], v[110:111], v[94:95], v[64:65] neg_lo:[0,0,1] neg_hi:[0,0,1]
	v_pk_mul_f32 v[68:69], v[114:115], v[98:99] op_sel:[1,1] op_sel_hi:[0,1]
	v_mov_b32_e32 v65, v77
	v_pk_fma_f32 v[76:77], v[112:113], v[96:97], v[66:67] op_sel_hi:[1,0,1]
	v_pk_add_f32 v[62:63], v[70:71], v[62:63]
	v_pk_fma_f32 v[66:67], v[112:113], v[96:97], v[66:67] neg_lo:[0,0,1] neg_hi:[0,0,1]
	v_pk_fma_f32 v[70:71], v[114:115], v[98:99], v[68:69] op_sel_hi:[1,0,1]
	v_pk_mul_f32 v[72:73], v[160:161], v[72:73] op_sel_hi:[1,0]
	v_mov_b32_e32 v67, v77
	v_pk_add_f32 v[62:63], v[62:63], v[64:65]
	v_pk_fma_f32 v[68:69], v[114:115], v[98:99], v[68:69] neg_lo:[0,0,1] neg_hi:[0,0,1]
	s_wait_loadcnt 0x2
	v_pk_mul_f32 v[74:75], v[118:119], v[102:103] op_sel:[1,1] op_sel_hi:[0,1]
	v_dual_mov_b32 v64, v105 :: v_dual_mov_b32 v69, v71
	v_pk_fma_f32 v[70:71], v[116:117], v[100:101], v[72:73] op_sel_hi:[1,0,1]
	v_pk_add_f32 v[62:63], v[62:63], v[66:67]
	v_pk_fma_f32 v[72:73], v[116:117], v[100:101], v[72:73] neg_lo:[0,0,1] neg_hi:[0,0,1]
	v_pk_fma_f32 v[66:67], v[118:119], v[102:103], v[74:75] op_sel_hi:[1,0,1]
	v_pk_mul_f32 v[64:65], v[162:163], v[64:65] op_sel_hi:[1,0]
	v_mov_b32_e32 v73, v71
	v_pk_add_f32 v[62:63], v[62:63], v[68:69]
	v_pk_fma_f32 v[68:69], v[118:119], v[102:103], v[74:75] neg_lo:[0,0,1] neg_hi:[0,0,1]
	v_mov_b32_e32 v69, v67
	v_pk_fma_f32 v[66:67], v[120:121], v[104:105], v[64:65] op_sel_hi:[1,0,1]
	s_wait_loadcnt_dscnt 0x100
	v_pk_mul_f32 v[70:71], v[154:155], v[150:151] op_sel:[1,1] op_sel_hi:[0,1]
	v_pk_add_f32 v[62:63], v[62:63], v[72:73]
	v_pk_fma_f32 v[64:65], v[120:121], v[104:105], v[64:65] neg_lo:[0,0,1] neg_hi:[0,0,1]
	v_mov_b32_e32 v65, v67
	s_delay_alu instid0(VALU_DEP_4) | instskip(NEXT) | instid1(VALU_DEP_4)
	v_pk_fma_f32 v[66:67], v[154:155], v[150:151], v[70:71] op_sel_hi:[1,0,1]
	v_pk_add_f32 v[62:63], v[62:63], v[68:69]
	v_pk_fma_f32 v[68:69], v[154:155], v[150:151], v[70:71] neg_lo:[0,0,1] neg_hi:[0,0,1]
	s_delay_alu instid0(VALU_DEP_3) | instskip(NEXT) | instid1(VALU_DEP_3)
	v_mov_b32_e32 v69, v67
	v_pk_add_f32 v[62:63], v[62:63], v[64:65]
	s_delay_alu instid0(VALU_DEP_1) | instskip(SKIP_1) | instid1(VALU_DEP_1)
	v_pk_add_f32 v[62:63], v[62:63], v[68:69]
	s_wait_loadcnt 0x0
	v_pk_add_f32 v[62:63], v[152:153], v[62:63] neg_lo:[0,1] neg_hi:[0,1]
	scratch_store_b64 off, v[62:63], off offset:48
	s_wait_xcnt 0x0
	v_cmpx_lt_u32_e32 5, v0
	s_cbranch_execz .LBB29_183
; %bb.182:
	scratch_load_b64 v[62:63], off, off offset:40
	v_mov_b64_e32 v[64:65], 0
	scratch_store_b64 off, v[64:65], off offset:40
	s_wait_loadcnt 0x0
	ds_store_b64 v1, v[62:63]
.LBB29_183:
	s_wait_xcnt 0x0
	s_or_b32 exec_lo, exec_lo, s0
	s_wait_storecnt_dscnt 0x0
	s_barrier_signal -1
	s_barrier_wait -1
	s_clause 0xc
	scratch_load_b128 v[62:65], off, off offset:48
	scratch_load_b128 v[66:69], off, off offset:64
	;; [unrolled: 1-line block ×12, first 2 shown]
	scratch_load_b64 v[158:159], off, off offset:40
	ds_load_b128 v[110:113], v5 offset:416
	ds_load_b128 v[114:117], v5 offset:432
	;; [unrolled: 1-line block ×12, first 2 shown]
	s_mov_b32 s0, exec_lo
	s_wait_dscnt 0xb
	v_dual_mov_b32 v160, v113 :: v_dual_mov_b32 v161, v112
	s_wait_dscnt 0xa
	v_dual_mov_b32 v162, v117 :: v_dual_mov_b32 v163, v116
	;; [unrolled: 2-line block ×4, first 2 shown]
	s_wait_loadcnt_dscnt 0xc07
	v_dual_mul_f32 v5, v126, v63 :: v_dual_mul_f32 v9, v128, v65
	v_dual_mul_f32 v35, v127, v63 :: v_dual_mul_f32 v37, v129, v65
	s_wait_loadcnt_dscnt 0xb06
	v_dual_mul_f32 v11, v130, v67 :: v_dual_mul_f32 v13, v132, v69
	s_delay_alu instid0(VALU_DEP_2) | instskip(SKIP_3) | instid1(VALU_DEP_3)
	v_dual_fmac_f32 v5, v127, v62 :: v_dual_fma_f32 v35, v126, v62, -v35
	v_dual_mul_f32 v39, v131, v67 :: v_dual_mul_f32 v41, v133, v69
	s_wait_loadcnt_dscnt 0x904
	v_dual_mul_f32 v47, v139, v75 :: v_dual_fmac_f32 v9, v129, v64
	v_dual_fma_f32 v37, v128, v64, -v37 :: v_dual_add_f32 v5, 0, v5
	v_dual_add_f32 v35, 0, v35 :: v_dual_mul_f32 v49, v141, v77
	v_fmac_f32_e32 v11, v131, v66
	s_delay_alu instid0(VALU_DEP_3) | instskip(NEXT) | instid1(VALU_DEP_3)
	v_dual_fma_f32 v39, v130, v66, -v39 :: v_dual_add_f32 v5, v5, v9
	v_dual_add_f32 v9, v35, v37 :: v_dual_mul_f32 v15, v134, v71
	v_dual_mul_f32 v17, v136, v73 :: v_dual_mul_f32 v43, v135, v71
	v_dual_mul_f32 v45, v137, v73 :: v_dual_fma_f32 v37, v132, v68, -v41
	s_delay_alu instid0(VALU_DEP_4) | instskip(NEXT) | instid1(VALU_DEP_4)
	v_add_f32_e32 v5, v5, v11
	v_dual_add_f32 v9, v9, v39 :: v_dual_fmac_f32 v15, v135, v70
	s_wait_loadcnt_dscnt 0x803
	v_dual_mul_f32 v35, v143, v79 :: v_dual_fmac_f32 v13, v133, v68
	v_dual_mul_f32 v11, v145, v81 :: v_dual_fma_f32 v39, v134, v70, -v43
	s_delay_alu instid0(VALU_DEP_3) | instskip(SKIP_1) | instid1(VALU_DEP_3)
	v_dual_add_f32 v9, v9, v37 :: v_dual_fma_f32 v37, v136, v72, -v45
	s_wait_loadcnt_dscnt 0x702
	v_dual_add_f32 v5, v5, v13 :: v_dual_mul_f32 v13, v147, v83
	v_dual_mul_f32 v19, v138, v75 :: v_dual_mul_f32 v21, v140, v77
	s_delay_alu instid0(VALU_DEP_3) | instskip(SKIP_1) | instid1(VALU_DEP_4)
	v_add_f32_e32 v9, v9, v39
	v_fmac_f32_e32 v17, v137, v72
	v_dual_add_f32 v5, v5, v15 :: v_dual_fma_f32 v39, v138, v74, -v47
	v_dual_mul_f32 v23, v142, v79 :: v_dual_mul_f32 v25, v144, v81
	s_delay_alu instid0(VALU_DEP_4) | instskip(NEXT) | instid1(VALU_DEP_3)
	v_dual_add_f32 v9, v9, v37 :: v_dual_fma_f32 v35, v142, v78, -v35
	v_dual_fmac_f32 v19, v139, v74 :: v_dual_add_f32 v5, v5, v17
	s_delay_alu instid0(VALU_DEP_3) | instskip(NEXT) | instid1(VALU_DEP_3)
	v_dual_fmac_f32 v23, v143, v78 :: v_dual_fma_f32 v37, v140, v76, -v49
	v_dual_add_f32 v9, v9, v39 :: v_dual_fma_f32 v13, v146, v82, -v13
	v_dual_mul_f32 v27, v146, v83 :: v_dual_mul_f32 v29, v148, v85
	s_wait_loadcnt_dscnt 0x601
	v_dual_mul_f32 v31, v150, v87 :: v_dual_mul_f32 v33, v152, v89
	s_delay_alu instid0(VALU_DEP_2) | instskip(SKIP_1) | instid1(VALU_DEP_3)
	v_dual_fmac_f32 v21, v141, v76 :: v_dual_fmac_f32 v27, v147, v82
	v_dual_add_f32 v5, v5, v19 :: v_dual_fma_f32 v11, v144, v80, -v11
	v_dual_add_f32 v9, v9, v37 :: v_dual_fmac_f32 v31, v151, v86
	v_dual_mul_f32 v15, v149, v85 :: v_dual_mul_f32 v17, v151, v87
	v_mul_f32_e32 v19, v153, v89
	s_wait_loadcnt_dscnt 0x500
	v_dual_add_f32 v5, v5, v21 :: v_dual_mul_f32 v21, v155, v91
	v_add_f32_e32 v9, v9, v35
	v_dual_mul_f32 v169, v154, v91 :: v_dual_mul_f32 v171, v156, v93
	v_fmac_f32_e32 v25, v145, v80
	v_fmac_f32_e32 v29, v149, v84
	s_delay_alu instid0(VALU_DEP_4)
	v_dual_add_f32 v9, v9, v11 :: v_dual_fma_f32 v11, v148, v84, -v15
	v_add_f32_e32 v5, v5, v23
	v_dual_mul_f32 v23, v157, v93 :: v_dual_fmac_f32 v169, v155, v90
	v_fma_f32 v168, v154, v90, -v21
	v_fmac_f32_e32 v33, v153, v88
	s_wait_loadcnt 0x4
	v_pk_mul_f32 v[62:63], v[110:111], v[94:95] op_sel:[1,1] op_sel_hi:[0,1]
	v_dual_fma_f32 v170, v156, v92, -v23 :: v_dual_add_f32 v9, v9, v13
	v_dual_fma_f32 v13, v150, v86, -v17 :: v_dual_add_f32 v5, v5, v25
	s_wait_loadcnt 0x3
	v_dual_mov_b32 v64, v97 :: v_dual_mov_b32 v68, v101
	s_delay_alu instid0(VALU_DEP_3) | instskip(NEXT) | instid1(VALU_DEP_3)
	v_dual_add_f32 v9, v9, v11 :: v_dual_fma_f32 v11, v152, v88, -v19
	v_add_f32_e32 v5, v5, v27
	v_fmac_f32_e32 v171, v157, v92
	v_pk_fma_f32 v[72:73], v[110:111], v[94:95], v[62:63] op_sel_hi:[1,0,1]
	s_delay_alu instid0(VALU_DEP_4)
	v_add_f32_e32 v9, v9, v13
	v_pk_mul_f32 v[64:65], v[160:161], v[64:65] op_sel_hi:[1,0]
	v_add_f32_e32 v5, v5, v29
	v_pk_fma_f32 v[62:63], v[110:111], v[94:95], v[62:63] neg_lo:[0,0,1] neg_hi:[0,0,1]
	v_pk_mul_f32 v[66:67], v[114:115], v[98:99] op_sel:[1,1] op_sel_hi:[0,1]
	v_add_f32_e32 v70, v9, v11
	v_mov_b32_e32 v63, v73
	v_add_f32_e32 v5, v5, v31
	v_pk_fma_f32 v[72:73], v[112:113], v[96:97], v[64:65] op_sel_hi:[1,0,1]
	v_pk_fma_f32 v[64:65], v[112:113], v[96:97], v[64:65] neg_lo:[0,0,1] neg_hi:[0,0,1]
	v_pk_fma_f32 v[76:77], v[114:115], v[98:99], v[66:67] op_sel_hi:[1,0,1]
	v_pk_mul_f32 v[68:69], v[162:163], v[68:69] op_sel_hi:[1,0]
	v_add_f32_e32 v71, v5, v33
	v_mov_b32_e32 v65, v73
	s_wait_loadcnt 0x2
	v_pk_mul_f32 v[74:75], v[118:119], v[102:103] op_sel:[1,1] op_sel_hi:[0,1]
	v_pk_fma_f32 v[66:67], v[114:115], v[98:99], v[66:67] neg_lo:[0,0,1] neg_hi:[0,0,1]
	v_mov_b32_e32 v67, v77
	v_pk_add_f32 v[70:71], v[70:71], v[168:169]
	v_pk_fma_f32 v[72:73], v[116:117], v[100:101], v[68:69] op_sel_hi:[1,0,1]
	v_pk_fma_f32 v[68:69], v[116:117], v[100:101], v[68:69] neg_lo:[0,0,1] neg_hi:[0,0,1]
	s_delay_alu instid0(VALU_DEP_3) | instskip(NEXT) | instid1(VALU_DEP_1)
	v_pk_add_f32 v[70:71], v[70:71], v[170:171]
	v_pk_add_f32 v[62:63], v[70:71], v[62:63]
	v_mov_b32_e32 v70, v105
	s_delay_alu instid0(VALU_DEP_2) | instskip(SKIP_1) | instid1(VALU_DEP_3)
	v_pk_add_f32 v[62:63], v[62:63], v[64:65]
	v_pk_fma_f32 v[64:65], v[118:119], v[102:103], v[74:75] op_sel_hi:[1,0,1]
	v_pk_mul_f32 v[70:71], v[164:165], v[70:71] op_sel_hi:[1,0]
	v_mov_b32_e32 v69, v73
	v_pk_fma_f32 v[72:73], v[118:119], v[102:103], v[74:75] neg_lo:[0,0,1] neg_hi:[0,0,1]
	v_pk_add_f32 v[62:63], v[62:63], v[66:67]
	v_mov_b32_e32 v73, v65
	v_pk_fma_f32 v[64:65], v[120:121], v[104:105], v[70:71] op_sel_hi:[1,0,1]
	s_wait_loadcnt 0x1
	v_pk_mul_f32 v[66:67], v[122:123], v[106:107] op_sel:[1,1] op_sel_hi:[0,1]
	v_mov_b32_e32 v64, v109
	v_pk_add_f32 v[62:63], v[62:63], v[68:69]
	v_pk_fma_f32 v[70:71], v[120:121], v[104:105], v[70:71] neg_lo:[0,0,1] neg_hi:[0,0,1]
	v_mov_b32_e32 v71, v65
	v_pk_fma_f32 v[68:69], v[122:123], v[106:107], v[66:67] op_sel_hi:[1,0,1]
	v_pk_mul_f32 v[64:65], v[166:167], v[64:65] op_sel_hi:[1,0]
	v_pk_add_f32 v[62:63], v[62:63], v[72:73]
	v_pk_fma_f32 v[66:67], v[122:123], v[106:107], v[66:67] neg_lo:[0,0,1] neg_hi:[0,0,1]
	s_delay_alu instid0(VALU_DEP_4) | instskip(NEXT) | instid1(VALU_DEP_4)
	v_mov_b32_e32 v67, v69
	v_pk_fma_f32 v[68:69], v[124:125], v[108:109], v[64:65] op_sel_hi:[1,0,1]
	s_delay_alu instid0(VALU_DEP_4) | instskip(SKIP_1) | instid1(VALU_DEP_3)
	v_pk_add_f32 v[62:63], v[62:63], v[70:71]
	v_pk_fma_f32 v[64:65], v[124:125], v[108:109], v[64:65] neg_lo:[0,0,1] neg_hi:[0,0,1]
	v_mov_b32_e32 v65, v69
	s_delay_alu instid0(VALU_DEP_3) | instskip(NEXT) | instid1(VALU_DEP_1)
	v_pk_add_f32 v[62:63], v[62:63], v[66:67]
	v_pk_add_f32 v[62:63], v[62:63], v[64:65]
	s_wait_loadcnt 0x0
	s_delay_alu instid0(VALU_DEP_1)
	v_pk_add_f32 v[62:63], v[158:159], v[62:63] neg_lo:[0,1] neg_hi:[0,1]
	scratch_store_b64 off, v[62:63], off offset:40
	s_wait_xcnt 0x0
	v_cmpx_lt_u32_e32 4, v0
	s_cbranch_execz .LBB29_185
; %bb.184:
	scratch_load_b64 v[62:63], off, off offset:32
	v_mov_b64_e32 v[64:65], 0
	scratch_store_b64 off, v[64:65], off offset:32
	s_wait_loadcnt 0x0
	ds_store_b64 v1, v[62:63]
.LBB29_185:
	s_wait_xcnt 0x0
	s_or_b32 exec_lo, exec_lo, s0
	s_wait_storecnt_dscnt 0x0
	s_barrier_signal -1
	s_barrier_wait -1
	s_clause 0xd
	scratch_load_b128 v[62:65], off, off offset:40
	scratch_load_b128 v[66:69], off, off offset:56
	;; [unrolled: 1-line block ×12, first 2 shown]
	scratch_load_b64 v[158:159], off, off offset:232
	scratch_load_b64 v[160:161], off, off offset:32
	v_mov_b32_e32 v5, 0
	ds_load_2addr_b64 v[110:113], v5 offset0:51 offset1:52
	ds_load_2addr_b64 v[114:117], v5 offset0:53 offset1:54
	;; [unrolled: 1-line block ×12, first 2 shown]
	ds_load_b64 v[162:163], v5 offset:472
	s_mov_b32 s0, exec_lo
	s_wait_dscnt 0xc
	v_dual_mov_b32 v164, v113 :: v_dual_mov_b32 v165, v112
	s_wait_dscnt 0x9
	v_dual_mov_b32 v166, v117 :: v_dual_mov_b32 v171, v124
	v_dual_mov_b32 v167, v116 :: v_dual_mov_b32 v168, v121
	;; [unrolled: 1-line block ×3, first 2 shown]
	s_wait_loadcnt_dscnt 0xd08
	v_dual_mul_f32 v9, v126, v63 :: v_dual_mul_f32 v39, v127, v63
	v_dual_mul_f32 v41, v129, v65 :: v_dual_mul_f32 v11, v128, v65
	s_wait_loadcnt_dscnt 0xc07
	v_mul_f32_e32 v13, v130, v67
	s_wait_loadcnt_dscnt 0xa05
	v_dual_mul_f32 v51, v139, v75 :: v_dual_fma_f32 v39, v126, v62, -v39
	v_dual_fmac_f32 v9, v127, v62 :: v_dual_mul_f32 v53, v141, v77
	v_dual_mul_f32 v43, v131, v67 :: v_dual_mul_f32 v45, v133, v69
	v_dual_fmac_f32 v11, v129, v64 :: v_dual_fma_f32 v41, v128, v64, -v41
	s_delay_alu instid0(VALU_DEP_3) | instskip(SKIP_3) | instid1(VALU_DEP_3)
	v_dual_add_f32 v9, 0, v9 :: v_dual_add_f32 v39, 0, v39
	v_dual_mul_f32 v15, v132, v69 :: v_dual_mul_f32 v17, v134, v71
	s_wait_loadcnt_dscnt 0x904
	v_dual_mul_f32 v55, v143, v79 :: v_dual_fma_f32 v43, v130, v66, -v43
	v_dual_fmac_f32 v13, v131, v66 :: v_dual_add_f32 v9, v9, v11
	s_delay_alu instid0(VALU_DEP_3) | instskip(SKIP_2) | instid1(VALU_DEP_3)
	v_dual_add_f32 v11, v39, v41 :: v_dual_fmac_f32 v15, v133, v68
	v_dual_mul_f32 v47, v135, v71 :: v_dual_mul_f32 v49, v137, v73
	v_dual_mul_f32 v39, v145, v81 :: v_dual_fma_f32 v41, v132, v68, -v45
	v_dual_add_f32 v9, v9, v13 :: v_dual_add_f32 v11, v11, v43
	v_dual_mul_f32 v19, v136, v73 :: v_dual_mul_f32 v21, v138, v75
	s_wait_loadcnt_dscnt 0x803
	v_dual_mul_f32 v13, v147, v83 :: v_dual_fma_f32 v43, v134, v70, -v47
	s_delay_alu instid0(VALU_DEP_3) | instskip(NEXT) | instid1(VALU_DEP_3)
	v_dual_fmac_f32 v17, v135, v70 :: v_dual_add_f32 v9, v9, v15
	v_dual_add_f32 v11, v11, v41 :: v_dual_fmac_f32 v19, v137, v72
	v_dual_mul_f32 v15, v149, v85 :: v_dual_fma_f32 v41, v136, v72, -v49
	s_delay_alu instid0(VALU_DEP_2) | instskip(SKIP_3) | instid1(VALU_DEP_3)
	v_dual_add_f32 v9, v9, v17 :: v_dual_add_f32 v11, v11, v43
	v_dual_mul_f32 v23, v140, v77 :: v_dual_mul_f32 v25, v142, v79
	s_wait_loadcnt_dscnt 0x702
	v_dual_mul_f32 v17, v151, v87 :: v_dual_fma_f32 v43, v138, v74, -v51
	v_dual_fmac_f32 v21, v139, v74 :: v_dual_add_f32 v9, v9, v19
	s_delay_alu instid0(VALU_DEP_3) | instskip(SKIP_1) | instid1(VALU_DEP_2)
	v_dual_add_f32 v11, v11, v41 :: v_dual_fmac_f32 v23, v141, v76
	v_dual_mul_f32 v19, v153, v89 :: v_dual_fma_f32 v41, v140, v76, -v53
	v_dual_add_f32 v9, v9, v21 :: v_dual_add_f32 v11, v11, v43
	v_dual_mul_f32 v27, v144, v81 :: v_dual_mul_f32 v29, v146, v83
	s_wait_loadcnt_dscnt 0x601
	v_dual_mul_f32 v21, v155, v91 :: v_dual_fma_f32 v43, v142, v78, -v55
	s_delay_alu instid0(VALU_DEP_3) | instskip(NEXT) | instid1(VALU_DEP_3)
	v_dual_fmac_f32 v25, v143, v78 :: v_dual_add_f32 v9, v9, v23
	v_dual_add_f32 v11, v11, v41 :: v_dual_fmac_f32 v27, v145, v80
	v_dual_mul_f32 v23, v157, v93 :: v_dual_fma_f32 v39, v144, v80, -v39
	s_delay_alu instid0(VALU_DEP_2) | instskip(SKIP_3) | instid1(VALU_DEP_3)
	v_dual_add_f32 v9, v9, v25 :: v_dual_add_f32 v11, v11, v43
	v_dual_mul_f32 v31, v148, v85 :: v_dual_mul_f32 v33, v150, v87
	s_wait_loadcnt 0x5
	v_dual_mul_f32 v25, v111, v95 :: v_dual_fma_f32 v13, v146, v82, -v13
	v_dual_fmac_f32 v29, v147, v82 :: v_dual_add_f32 v9, v9, v27
	v_dual_add_f32 v11, v11, v39 :: v_dual_mov_b32 v62, v97
	v_fmac_f32_e32 v31, v149, v84
	s_delay_alu instid0(VALU_DEP_3) | instskip(NEXT) | instid1(VALU_DEP_3)
	v_dual_fma_f32 v15, v148, v84, -v15 :: v_dual_add_f32 v9, v9, v29
	v_add_f32_e32 v11, v11, v13
	v_dual_mul_f32 v35, v152, v89 :: v_dual_mul_f32 v37, v154, v91
	s_delay_alu instid0(VALU_DEP_3) | instskip(NEXT) | instid1(VALU_DEP_3)
	v_dual_fmac_f32 v33, v151, v86 :: v_dual_add_f32 v9, v9, v31
	v_dual_fma_f32 v13, v150, v86, -v17 :: v_dual_add_f32 v11, v11, v15
	s_wait_loadcnt 0x4
	v_dual_mov_b32 v66, v101 :: v_dual_fma_f32 v15, v152, v88, -v19
	v_fmac_f32_e32 v35, v153, v88
	v_dual_add_f32 v9, v9, v33 :: v_dual_fmac_f32 v37, v155, v90
	v_add_f32_e32 v11, v11, v13
	v_dual_mul_f32 v173, v156, v93 :: v_dual_mul_f32 v175, v110, v95
	s_delay_alu instid0(VALU_DEP_3) | instskip(NEXT) | instid1(VALU_DEP_2)
	v_dual_fma_f32 v13, v154, v90, -v21 :: v_dual_add_f32 v9, v9, v35
	v_dual_add_f32 v11, v11, v15 :: v_dual_fmac_f32 v173, v157, v92
	v_fma_f32 v172, v156, v92, -v23
	v_pk_mul_f32 v[62:63], v[164:165], v[62:63] op_sel_hi:[1,0]
	s_delay_alu instid0(VALU_DEP_4)
	v_add_f32_e32 v71, v9, v37
	s_wait_loadcnt 0x3
	v_dual_add_f32 v70, v11, v13 :: v_dual_mov_b32 v72, v105
	v_pk_mul_f32 v[64:65], v[114:115], v[98:99] op_sel:[1,1] op_sel_hi:[0,1]
	v_dual_fmac_f32 v175, v111, v94 :: v_dual_fma_f32 v174, v110, v94, -v25
	v_pk_fma_f32 v[74:75], v[112:113], v[96:97], v[62:63] op_sel_hi:[1,0,1]
	s_delay_alu instid0(VALU_DEP_4)
	v_pk_add_f32 v[70:71], v[70:71], v[172:173]
	v_pk_fma_f32 v[62:63], v[112:113], v[96:97], v[62:63] neg_lo:[0,0,1] neg_hi:[0,0,1]
	v_pk_fma_f32 v[76:77], v[114:115], v[98:99], v[64:65] op_sel_hi:[1,0,1]
	v_pk_mul_f32 v[66:67], v[166:167], v[66:67] op_sel_hi:[1,0]
	v_mov_b32_e32 v63, v75
	v_pk_add_f32 v[70:71], v[70:71], v[174:175]
	v_pk_fma_f32 v[64:65], v[114:115], v[98:99], v[64:65] neg_lo:[0,0,1] neg_hi:[0,0,1]
	v_pk_mul_f32 v[68:69], v[118:119], v[102:103] op_sel:[1,1] op_sel_hi:[0,1]
	v_mov_b32_e32 v65, v77
	v_pk_fma_f32 v[76:77], v[116:117], v[100:101], v[66:67] op_sel_hi:[1,0,1]
	v_pk_add_f32 v[62:63], v[70:71], v[62:63]
	v_pk_fma_f32 v[66:67], v[116:117], v[100:101], v[66:67] neg_lo:[0,0,1] neg_hi:[0,0,1]
	v_pk_fma_f32 v[70:71], v[118:119], v[102:103], v[68:69] op_sel_hi:[1,0,1]
	v_pk_mul_f32 v[72:73], v[168:169], v[72:73] op_sel_hi:[1,0]
	v_mov_b32_e32 v67, v77
	v_pk_add_f32 v[62:63], v[62:63], v[64:65]
	v_pk_fma_f32 v[68:69], v[118:119], v[102:103], v[68:69] neg_lo:[0,0,1] neg_hi:[0,0,1]
	s_wait_loadcnt 0x2
	v_pk_mul_f32 v[74:75], v[122:123], v[106:107] op_sel:[1,1] op_sel_hi:[0,1]
	v_dual_mov_b32 v64, v109 :: v_dual_mov_b32 v69, v71
	v_pk_fma_f32 v[70:71], v[120:121], v[104:105], v[72:73] op_sel_hi:[1,0,1]
	v_pk_add_f32 v[62:63], v[62:63], v[66:67]
	v_pk_fma_f32 v[72:73], v[120:121], v[104:105], v[72:73] neg_lo:[0,0,1] neg_hi:[0,0,1]
	v_pk_fma_f32 v[66:67], v[122:123], v[106:107], v[74:75] op_sel_hi:[1,0,1]
	v_pk_mul_f32 v[64:65], v[170:171], v[64:65] op_sel_hi:[1,0]
	v_mov_b32_e32 v73, v71
	v_pk_add_f32 v[62:63], v[62:63], v[68:69]
	v_pk_fma_f32 v[68:69], v[122:123], v[106:107], v[74:75] neg_lo:[0,0,1] neg_hi:[0,0,1]
	v_mov_b32_e32 v69, v67
	v_pk_fma_f32 v[66:67], v[124:125], v[108:109], v[64:65] op_sel_hi:[1,0,1]
	s_wait_loadcnt_dscnt 0x100
	v_pk_mul_f32 v[70:71], v[162:163], v[158:159] op_sel:[1,1] op_sel_hi:[0,1]
	v_pk_add_f32 v[62:63], v[62:63], v[72:73]
	v_pk_fma_f32 v[64:65], v[124:125], v[108:109], v[64:65] neg_lo:[0,0,1] neg_hi:[0,0,1]
	v_mov_b32_e32 v65, v67
	s_delay_alu instid0(VALU_DEP_4) | instskip(NEXT) | instid1(VALU_DEP_4)
	v_pk_fma_f32 v[66:67], v[162:163], v[158:159], v[70:71] op_sel_hi:[1,0,1]
	v_pk_add_f32 v[62:63], v[62:63], v[68:69]
	v_pk_fma_f32 v[68:69], v[162:163], v[158:159], v[70:71] neg_lo:[0,0,1] neg_hi:[0,0,1]
	s_delay_alu instid0(VALU_DEP_3) | instskip(NEXT) | instid1(VALU_DEP_3)
	v_mov_b32_e32 v69, v67
	v_pk_add_f32 v[62:63], v[62:63], v[64:65]
	s_delay_alu instid0(VALU_DEP_1) | instskip(SKIP_1) | instid1(VALU_DEP_1)
	v_pk_add_f32 v[62:63], v[62:63], v[68:69]
	s_wait_loadcnt 0x0
	v_pk_add_f32 v[62:63], v[160:161], v[62:63] neg_lo:[0,1] neg_hi:[0,1]
	scratch_store_b64 off, v[62:63], off offset:32
	s_wait_xcnt 0x0
	v_cmpx_lt_u32_e32 3, v0
	s_cbranch_execz .LBB29_187
; %bb.186:
	scratch_load_b64 v[62:63], off, off offset:24
	v_mov_b64_e32 v[64:65], 0
	scratch_store_b64 off, v[64:65], off offset:24
	s_wait_loadcnt 0x0
	ds_store_b64 v1, v[62:63]
.LBB29_187:
	s_wait_xcnt 0x0
	s_or_b32 exec_lo, exec_lo, s0
	s_wait_storecnt_dscnt 0x0
	s_barrier_signal -1
	s_barrier_wait -1
	s_clause 0xd
	scratch_load_b128 v[62:65], off, off offset:32
	scratch_load_b128 v[66:69], off, off offset:48
	;; [unrolled: 1-line block ×13, first 2 shown]
	scratch_load_b64 v[166:167], off, off offset:24
	ds_load_b128 v[114:117], v5 offset:416
	ds_load_b128 v[118:121], v5 offset:432
	;; [unrolled: 1-line block ×13, first 2 shown]
	s_mov_b32 s0, exec_lo
	s_wait_dscnt 0xc
	v_dual_mov_b32 v168, v117 :: v_dual_mov_b32 v169, v116
	s_wait_dscnt 0xb
	v_dual_mov_b32 v170, v121 :: v_dual_mov_b32 v171, v120
	;; [unrolled: 2-line block ×4, first 2 shown]
	s_wait_loadcnt_dscnt 0xd08
	v_dual_mul_f32 v5, v130, v63 :: v_dual_mul_f32 v9, v132, v65
	v_dual_mul_f32 v39, v131, v63 :: v_dual_mul_f32 v41, v133, v65
	s_wait_loadcnt_dscnt 0xc07
	v_dual_mul_f32 v11, v134, v67 :: v_dual_mul_f32 v13, v136, v69
	s_delay_alu instid0(VALU_DEP_2) | instskip(SKIP_3) | instid1(VALU_DEP_3)
	v_dual_fmac_f32 v5, v131, v62 :: v_dual_fma_f32 v39, v130, v62, -v39
	v_dual_mul_f32 v43, v135, v67 :: v_dual_mul_f32 v45, v137, v69
	s_wait_loadcnt_dscnt 0xa05
	v_dual_mul_f32 v51, v143, v75 :: v_dual_fmac_f32 v9, v133, v64
	v_dual_fma_f32 v41, v132, v64, -v41 :: v_dual_add_f32 v5, 0, v5
	v_dual_add_f32 v39, 0, v39 :: v_dual_mul_f32 v53, v145, v77
	v_fmac_f32_e32 v11, v135, v66
	s_delay_alu instid0(VALU_DEP_3) | instskip(NEXT) | instid1(VALU_DEP_3)
	v_dual_fma_f32 v43, v134, v66, -v43 :: v_dual_add_f32 v5, v5, v9
	v_dual_add_f32 v9, v39, v41 :: v_dual_mul_f32 v15, v138, v71
	v_dual_mul_f32 v17, v140, v73 :: v_dual_mul_f32 v47, v139, v71
	v_dual_mul_f32 v49, v141, v73 :: v_dual_fma_f32 v41, v136, v68, -v45
	s_delay_alu instid0(VALU_DEP_4) | instskip(NEXT) | instid1(VALU_DEP_4)
	v_add_f32_e32 v5, v5, v11
	v_dual_add_f32 v9, v9, v43 :: v_dual_fmac_f32 v15, v139, v70
	s_wait_loadcnt_dscnt 0x903
	v_dual_mul_f32 v39, v151, v79 :: v_dual_fmac_f32 v13, v137, v68
	v_dual_mul_f32 v11, v153, v81 :: v_dual_fma_f32 v43, v138, v70, -v47
	s_delay_alu instid0(VALU_DEP_3) | instskip(SKIP_1) | instid1(VALU_DEP_3)
	v_dual_add_f32 v9, v9, v41 :: v_dual_fma_f32 v41, v140, v72, -v49
	s_wait_loadcnt_dscnt 0x802
	v_dual_add_f32 v5, v5, v13 :: v_dual_mul_f32 v13, v155, v83
	v_dual_mul_f32 v19, v142, v75 :: v_dual_mul_f32 v21, v144, v77
	s_delay_alu instid0(VALU_DEP_3) | instskip(SKIP_1) | instid1(VALU_DEP_4)
	v_add_f32_e32 v9, v9, v43
	v_fmac_f32_e32 v17, v141, v72
	v_dual_add_f32 v5, v5, v15 :: v_dual_fma_f32 v43, v142, v74, -v51
	v_dual_mul_f32 v23, v150, v79 :: v_dual_mul_f32 v25, v152, v81
	s_delay_alu instid0(VALU_DEP_4) | instskip(NEXT) | instid1(VALU_DEP_3)
	v_dual_add_f32 v9, v9, v41 :: v_dual_fma_f32 v39, v150, v78, -v39
	v_dual_fmac_f32 v19, v143, v74 :: v_dual_add_f32 v5, v5, v17
	s_delay_alu instid0(VALU_DEP_3) | instskip(NEXT) | instid1(VALU_DEP_3)
	v_dual_fmac_f32 v23, v151, v78 :: v_dual_fma_f32 v41, v144, v76, -v53
	v_dual_add_f32 v9, v9, v43 :: v_dual_fma_f32 v13, v154, v82, -v13
	v_dual_mul_f32 v27, v154, v83 :: v_dual_mul_f32 v29, v156, v85
	s_wait_loadcnt_dscnt 0x701
	v_dual_mul_f32 v15, v157, v85 :: v_dual_mul_f32 v17, v159, v87
	s_delay_alu instid0(VALU_DEP_2) | instskip(SKIP_1) | instid1(VALU_DEP_3)
	v_dual_fmac_f32 v21, v145, v76 :: v_dual_fmac_f32 v27, v155, v82
	v_dual_add_f32 v5, v5, v19 :: v_dual_fma_f32 v11, v152, v80, -v11
	v_dual_add_f32 v9, v9, v41 :: v_dual_fma_f32 v15, v156, v84, -v15
	v_mul_f32_e32 v19, v161, v89
	s_wait_loadcnt_dscnt 0x600
	s_delay_alu instid0(VALU_DEP_3) | instskip(NEXT) | instid1(VALU_DEP_3)
	v_dual_add_f32 v5, v5, v21 :: v_dual_mul_f32 v21, v163, v91
	v_add_f32_e32 v9, v9, v39
	v_dual_mul_f32 v31, v158, v87 :: v_dual_mul_f32 v33, v160, v89
	s_wait_loadcnt 0x5
	v_dual_mul_f32 v177, v146, v95 :: v_dual_mul_f32 v179, v148, v97
	s_delay_alu instid0(VALU_DEP_3) | instskip(NEXT) | instid1(VALU_DEP_3)
	v_add_f32_e32 v9, v9, v11
	v_dual_fmac_f32 v25, v153, v80 :: v_dual_fmac_f32 v31, v159, v86
	v_mul_f32_e32 v11, v147, v95
	v_dual_add_f32 v5, v5, v23 :: v_dual_fma_f32 v17, v158, v86, -v17
	s_delay_alu instid0(VALU_DEP_4) | instskip(SKIP_1) | instid1(VALU_DEP_3)
	v_add_f32_e32 v9, v9, v13
	v_dual_mul_f32 v13, v149, v97 :: v_dual_fmac_f32 v179, v149, v96
	v_add_f32_e32 v5, v5, v25
	v_dual_fmac_f32 v29, v157, v84 :: v_dual_fma_f32 v176, v146, v94, -v11
	s_delay_alu instid0(VALU_DEP_3) | instskip(SKIP_2) | instid1(VALU_DEP_3)
	v_dual_fma_f32 v178, v148, v96, -v13 :: v_dual_add_f32 v9, v9, v15
	v_dual_fmac_f32 v177, v147, v94 :: v_dual_mul_f32 v35, v162, v91
	v_dual_mul_f32 v37, v164, v93 :: v_dual_fmac_f32 v33, v161, v88
	v_dual_add_f32 v9, v9, v17 :: v_dual_fma_f32 v17, v162, v90, -v21
	v_dual_add_f32 v5, v5, v27 :: v_dual_fma_f32 v15, v160, v88, -v19
	s_delay_alu instid0(VALU_DEP_4) | instskip(NEXT) | instid1(VALU_DEP_4)
	v_dual_mul_f32 v23, v165, v93 :: v_dual_fmac_f32 v35, v163, v90
	v_fmac_f32_e32 v37, v165, v92
	s_delay_alu instid0(VALU_DEP_3) | instskip(NEXT) | instid1(VALU_DEP_3)
	v_add_f32_e32 v5, v5, v29
	v_dual_add_f32 v9, v9, v15 :: v_dual_fma_f32 v15, v164, v92, -v23
	s_wait_loadcnt 0x4
	v_pk_mul_f32 v[62:63], v[114:115], v[98:99] op_sel:[1,1] op_sel_hi:[0,1]
	s_wait_loadcnt 0x3
	v_dual_mov_b32 v64, v101 :: v_dual_mov_b32 v68, v105
	v_add_f32_e32 v5, v5, v31
	v_add_f32_e32 v9, v9, v17
	v_pk_fma_f32 v[72:73], v[114:115], v[98:99], v[62:63] op_sel_hi:[1,0,1]
	s_delay_alu instid0(VALU_DEP_4)
	v_pk_mul_f32 v[64:65], v[168:169], v[64:65] op_sel_hi:[1,0]
	v_pk_fma_f32 v[62:63], v[114:115], v[98:99], v[62:63] neg_lo:[0,0,1] neg_hi:[0,0,1]
	v_add_f32_e32 v5, v5, v33
	v_add_f32_e32 v70, v9, v15
	v_pk_mul_f32 v[66:67], v[118:119], v[102:103] op_sel:[1,1] op_sel_hi:[0,1]
	v_mov_b32_e32 v63, v73
	v_pk_fma_f32 v[72:73], v[116:117], v[100:101], v[64:65] op_sel_hi:[1,0,1]
	v_add_f32_e32 v5, v5, v35
	v_pk_fma_f32 v[64:65], v[116:117], v[100:101], v[64:65] neg_lo:[0,0,1] neg_hi:[0,0,1]
	v_pk_fma_f32 v[76:77], v[118:119], v[102:103], v[66:67] op_sel_hi:[1,0,1]
	v_pk_mul_f32 v[68:69], v[170:171], v[68:69] op_sel_hi:[1,0]
	v_mov_b32_e32 v65, v73
	v_add_f32_e32 v71, v5, v37
	s_wait_loadcnt 0x2
	v_pk_mul_f32 v[74:75], v[122:123], v[106:107] op_sel:[1,1] op_sel_hi:[0,1]
	v_pk_fma_f32 v[66:67], v[118:119], v[102:103], v[66:67] neg_lo:[0,0,1] neg_hi:[0,0,1]
	v_mov_b32_e32 v67, v77
	v_pk_fma_f32 v[72:73], v[120:121], v[104:105], v[68:69] op_sel_hi:[1,0,1]
	v_pk_add_f32 v[70:71], v[70:71], v[176:177]
	v_pk_fma_f32 v[68:69], v[120:121], v[104:105], v[68:69] neg_lo:[0,0,1] neg_hi:[0,0,1]
	s_delay_alu instid0(VALU_DEP_2) | instskip(NEXT) | instid1(VALU_DEP_1)
	v_pk_add_f32 v[70:71], v[70:71], v[178:179]
	v_pk_add_f32 v[62:63], v[70:71], v[62:63]
	v_mov_b32_e32 v70, v109
	s_delay_alu instid0(VALU_DEP_2) | instskip(SKIP_1) | instid1(VALU_DEP_3)
	v_pk_add_f32 v[62:63], v[62:63], v[64:65]
	v_pk_fma_f32 v[64:65], v[122:123], v[106:107], v[74:75] op_sel_hi:[1,0,1]
	v_pk_mul_f32 v[70:71], v[172:173], v[70:71] op_sel_hi:[1,0]
	v_mov_b32_e32 v69, v73
	v_pk_fma_f32 v[72:73], v[122:123], v[106:107], v[74:75] neg_lo:[0,0,1] neg_hi:[0,0,1]
	v_pk_add_f32 v[62:63], v[62:63], v[66:67]
	v_mov_b32_e32 v73, v65
	v_pk_fma_f32 v[64:65], v[124:125], v[108:109], v[70:71] op_sel_hi:[1,0,1]
	s_wait_loadcnt 0x1
	v_pk_mul_f32 v[66:67], v[126:127], v[110:111] op_sel:[1,1] op_sel_hi:[0,1]
	v_mov_b32_e32 v64, v113
	v_pk_add_f32 v[62:63], v[62:63], v[68:69]
	v_pk_fma_f32 v[70:71], v[124:125], v[108:109], v[70:71] neg_lo:[0,0,1] neg_hi:[0,0,1]
	v_mov_b32_e32 v71, v65
	v_pk_fma_f32 v[68:69], v[126:127], v[110:111], v[66:67] op_sel_hi:[1,0,1]
	v_pk_mul_f32 v[64:65], v[174:175], v[64:65] op_sel_hi:[1,0]
	v_pk_add_f32 v[62:63], v[62:63], v[72:73]
	v_pk_fma_f32 v[66:67], v[126:127], v[110:111], v[66:67] neg_lo:[0,0,1] neg_hi:[0,0,1]
	s_delay_alu instid0(VALU_DEP_4) | instskip(NEXT) | instid1(VALU_DEP_4)
	v_mov_b32_e32 v67, v69
	v_pk_fma_f32 v[68:69], v[128:129], v[112:113], v[64:65] op_sel_hi:[1,0,1]
	s_delay_alu instid0(VALU_DEP_4) | instskip(SKIP_1) | instid1(VALU_DEP_3)
	v_pk_add_f32 v[62:63], v[62:63], v[70:71]
	v_pk_fma_f32 v[64:65], v[128:129], v[112:113], v[64:65] neg_lo:[0,0,1] neg_hi:[0,0,1]
	v_mov_b32_e32 v65, v69
	s_delay_alu instid0(VALU_DEP_3) | instskip(NEXT) | instid1(VALU_DEP_1)
	v_pk_add_f32 v[62:63], v[62:63], v[66:67]
	v_pk_add_f32 v[62:63], v[62:63], v[64:65]
	s_wait_loadcnt 0x0
	s_delay_alu instid0(VALU_DEP_1)
	v_pk_add_f32 v[62:63], v[166:167], v[62:63] neg_lo:[0,1] neg_hi:[0,1]
	scratch_store_b64 off, v[62:63], off offset:24
	s_wait_xcnt 0x0
	v_cmpx_lt_u32_e32 2, v0
	s_cbranch_execz .LBB29_189
; %bb.188:
	scratch_load_b64 v[62:63], off, off offset:16
	v_mov_b64_e32 v[64:65], 0
	scratch_store_b64 off, v[64:65], off offset:16
	s_wait_loadcnt 0x0
	ds_store_b64 v1, v[62:63]
.LBB29_189:
	s_wait_xcnt 0x0
	s_or_b32 exec_lo, exec_lo, s0
	s_wait_storecnt_dscnt 0x0
	s_barrier_signal -1
	s_barrier_wait -1
	s_clause 0xe
	scratch_load_b128 v[62:65], off, off offset:24
	scratch_load_b128 v[66:69], off, off offset:40
	;; [unrolled: 1-line block ×13, first 2 shown]
	scratch_load_b64 v[166:167], off, off offset:232
	scratch_load_b64 v[168:169], off, off offset:16
	v_mov_b32_e32 v41, 0
	ds_load_2addr_b64 v[114:117], v41 offset0:51 offset1:52
	ds_load_2addr_b64 v[118:121], v41 offset0:53 offset1:54
	;; [unrolled: 1-line block ×13, first 2 shown]
	ds_load_b64 v[170:171], v41 offset:472
	s_mov_b32 s0, exec_lo
	s_wait_dscnt 0xd
	v_dual_mov_b32 v172, v117 :: v_dual_mov_b32 v173, v116
	s_wait_dscnt 0xa
	v_dual_mov_b32 v174, v121 :: v_dual_mov_b32 v179, v128
	v_dual_mov_b32 v175, v120 :: v_dual_mov_b32 v176, v125
	;; [unrolled: 1-line block ×3, first 2 shown]
	s_wait_loadcnt_dscnt 0xe09
	v_dual_mul_f32 v5, v130, v63 :: v_dual_mul_f32 v43, v131, v63
	v_dual_mul_f32 v45, v133, v65 :: v_dual_mul_f32 v9, v132, v65
	s_wait_loadcnt_dscnt 0xd08
	v_mul_f32_e32 v11, v134, v67
	s_wait_loadcnt_dscnt 0xb05
	v_dual_mul_f32 v55, v147, v75 :: v_dual_fma_f32 v43, v130, v62, -v43
	v_dual_fmac_f32 v5, v131, v62 :: v_dual_mul_f32 v57, v149, v77
	v_dual_mul_f32 v47, v135, v67 :: v_dual_mul_f32 v49, v137, v69
	s_delay_alu instid0(VALU_DEP_2) | instskip(NEXT) | instid1(VALU_DEP_4)
	v_dual_fmac_f32 v9, v133, v64 :: v_dual_add_f32 v5, 0, v5
	v_dual_fma_f32 v45, v132, v64, -v45 :: v_dual_add_f32 v43, 0, v43
	v_dual_mul_f32 v13, v136, v69 :: v_dual_mul_f32 v15, v138, v71
	s_wait_loadcnt_dscnt 0xa04
	v_dual_mul_f32 v59, v151, v79 :: v_dual_fma_f32 v47, v134, v66, -v47
	v_dual_fmac_f32 v11, v135, v66 :: v_dual_add_f32 v5, v5, v9
	s_delay_alu instid0(VALU_DEP_3) | instskip(SKIP_2) | instid1(VALU_DEP_2)
	v_dual_add_f32 v9, v43, v45 :: v_dual_fmac_f32 v13, v137, v68
	v_dual_mul_f32 v51, v139, v71 :: v_dual_mul_f32 v53, v141, v73
	v_dual_mul_f32 v43, v153, v81 :: v_dual_fma_f32 v45, v136, v68, -v49
	v_dual_add_f32 v9, v9, v47 :: v_dual_fma_f32 v47, v138, v70, -v51
	v_dual_add_f32 v5, v5, v11 :: v_dual_fmac_f32 v15, v139, v70
	s_wait_loadcnt_dscnt 0x903
	s_delay_alu instid0(VALU_DEP_2) | instskip(NEXT) | instid1(VALU_DEP_2)
	v_dual_mul_f32 v11, v155, v83 :: v_dual_add_f32 v9, v9, v45
	v_dual_fma_f32 v45, v140, v72, -v53 :: v_dual_add_f32 v5, v5, v13
	v_dual_mul_f32 v17, v140, v73 :: v_dual_mul_f32 v19, v146, v75
	s_delay_alu instid0(VALU_DEP_3) | instskip(SKIP_1) | instid1(VALU_DEP_4)
	v_dual_add_f32 v9, v9, v47 :: v_dual_mul_f32 v21, v148, v77
	v_mul_f32_e32 v23, v150, v79
	v_dual_add_f32 v5, v5, v15 :: v_dual_fma_f32 v47, v146, v74, -v55
	s_delay_alu instid0(VALU_DEP_3) | instskip(SKIP_3) | instid1(VALU_DEP_3)
	v_add_f32_e32 v9, v9, v45
	v_dual_mul_f32 v25, v152, v81 :: v_dual_mul_f32 v27, v154, v83
	v_dual_fmac_f32 v17, v141, v72 :: v_dual_fmac_f32 v19, v147, v74
	v_dual_fma_f32 v45, v148, v76, -v57 :: v_dual_fmac_f32 v23, v151, v78
	v_dual_add_f32 v9, v9, v47 :: v_dual_fmac_f32 v27, v155, v82
	s_wait_loadcnt_dscnt 0x802
	v_dual_mul_f32 v13, v157, v85 :: v_dual_mul_f32 v15, v159, v87
	v_add_f32_e32 v5, v5, v17
	v_dual_mul_f32 v17, v161, v89 :: v_dual_fma_f32 v47, v150, v78, -v59
	s_delay_alu instid0(VALU_DEP_3) | instskip(SKIP_1) | instid1(VALU_DEP_4)
	v_dual_add_f32 v9, v9, v45 :: v_dual_fma_f32 v13, v156, v84, -v13
	v_fmac_f32_e32 v21, v149, v76
	v_dual_add_f32 v5, v5, v19 :: v_dual_fma_f32 v43, v152, v80, -v43
	s_delay_alu instid0(VALU_DEP_3) | instskip(SKIP_2) | instid1(VALU_DEP_3)
	v_add_f32_e32 v9, v9, v47
	s_wait_loadcnt_dscnt 0x701
	v_dual_mul_f32 v19, v163, v91 :: v_dual_fma_f32 v11, v154, v82, -v11
	v_add_f32_e32 v5, v5, v21
	v_dual_mul_f32 v29, v156, v85 :: v_dual_mul_f32 v31, v158, v87
	v_add_f32_e32 v9, v9, v43
	v_mul_f32_e32 v21, v165, v93
	v_fmac_f32_e32 v25, v153, v80
	v_dual_add_f32 v5, v5, v23 :: v_dual_fma_f32 v15, v158, v86, -v15
	s_delay_alu instid0(VALU_DEP_4) | instskip(SKIP_3) | instid1(VALU_DEP_2)
	v_add_f32_e32 v9, v9, v11
	s_wait_loadcnt 0x5
	v_dual_mul_f32 v11, v115, v99 :: v_dual_mul_f32 v33, v160, v89
	v_dual_mul_f32 v35, v162, v91 :: v_dual_fmac_f32 v31, v159, v86
	v_dual_add_f32 v9, v9, v13 :: v_dual_fma_f32 v182, v114, v98, -v11
	s_delay_alu instid0(VALU_DEP_2) | instskip(NEXT) | instid1(VALU_DEP_2)
	v_dual_add_f32 v5, v5, v25 :: v_dual_fmac_f32 v35, v163, v90
	v_dual_fma_f32 v13, v160, v88, -v17 :: v_dual_add_f32 v9, v9, v15
	v_dual_mul_f32 v37, v164, v93 :: v_dual_mul_f32 v39, v142, v95
	v_dual_mul_f32 v23, v143, v95 :: v_dual_fmac_f32 v29, v157, v84
	s_delay_alu instid0(VALU_DEP_4)
	v_add_f32_e32 v5, v5, v27
	s_wait_loadcnt 0x4
	v_dual_mov_b32 v62, v101 :: v_dual_mov_b32 v66, v105
	v_dual_fma_f32 v15, v162, v90, -v19 :: v_dual_add_f32 v9, v9, v13
	v_dual_mul_f32 v181, v144, v97 :: v_dual_mul_f32 v183, v114, v99
	v_fmac_f32_e32 v39, v143, v94
	s_delay_alu instid0(VALU_DEP_4) | instskip(NEXT) | instid1(VALU_DEP_4)
	v_pk_mul_f32 v[62:63], v[172:173], v[62:63] op_sel_hi:[1,0]
	v_dual_add_f32 v9, v9, v15 :: v_dual_fma_f32 v15, v142, v94, -v23
	s_delay_alu instid0(VALU_DEP_4) | instskip(NEXT) | instid1(VALU_DEP_3)
	v_dual_add_f32 v5, v5, v29 :: v_dual_fmac_f32 v183, v115, v98
	v_pk_fma_f32 v[74:75], v[116:117], v[100:101], v[62:63] op_sel_hi:[1,0,1]
	v_fmac_f32_e32 v33, v161, v88
	v_pk_fma_f32 v[62:63], v[116:117], v[100:101], v[62:63] neg_lo:[0,0,1] neg_hi:[0,0,1]
	s_delay_alu instid0(VALU_DEP_4) | instskip(SKIP_2) | instid1(VALU_DEP_3)
	v_add_f32_e32 v5, v5, v31
	v_dual_mul_f32 v25, v145, v97 :: v_dual_fma_f32 v13, v164, v92, -v21
	v_dual_mov_b32 v63, v75 :: v_dual_fmac_f32 v37, v165, v92
	v_add_f32_e32 v5, v5, v33
	v_fmac_f32_e32 v181, v145, v96
	s_delay_alu instid0(VALU_DEP_4) | instskip(SKIP_1) | instid1(VALU_DEP_4)
	v_dual_add_f32 v9, v9, v13 :: v_dual_fma_f32 v180, v144, v96, -v25
	v_pk_mul_f32 v[64:65], v[118:119], v[102:103] op_sel:[1,1] op_sel_hi:[0,1]
	v_add_f32_e32 v5, v5, v35
	v_pk_mul_f32 v[66:67], v[174:175], v[66:67] op_sel_hi:[1,0]
	s_delay_alu instid0(VALU_DEP_4)
	v_add_f32_e32 v70, v9, v15
	s_wait_loadcnt 0x3
	v_pk_mul_f32 v[68:69], v[122:123], v[106:107] op_sel:[1,1] op_sel_hi:[0,1]
	v_pk_fma_f32 v[76:77], v[118:119], v[102:103], v[64:65] op_sel_hi:[1,0,1]
	v_add_f32_e32 v5, v5, v37
	v_pk_fma_f32 v[64:65], v[118:119], v[102:103], v[64:65] neg_lo:[0,0,1] neg_hi:[0,0,1]
	v_mov_b32_e32 v72, v109
	s_wait_loadcnt 0x2
	v_pk_mul_f32 v[74:75], v[126:127], v[110:111] op_sel:[1,1] op_sel_hi:[0,1]
	v_mov_b32_e32 v65, v77
	v_add_f32_e32 v71, v5, v39
	v_pk_fma_f32 v[76:77], v[120:121], v[104:105], v[66:67] op_sel_hi:[1,0,1]
	v_pk_fma_f32 v[66:67], v[120:121], v[104:105], v[66:67] neg_lo:[0,0,1] neg_hi:[0,0,1]
	v_pk_mul_f32 v[72:73], v[176:177], v[72:73] op_sel_hi:[1,0]
	s_delay_alu instid0(VALU_DEP_4) | instskip(NEXT) | instid1(VALU_DEP_4)
	v_pk_add_f32 v[70:71], v[70:71], v[180:181]
	v_mov_b32_e32 v67, v77
	s_delay_alu instid0(VALU_DEP_2) | instskip(NEXT) | instid1(VALU_DEP_1)
	v_pk_add_f32 v[70:71], v[70:71], v[182:183]
	v_pk_add_f32 v[62:63], v[70:71], v[62:63]
	v_pk_fma_f32 v[70:71], v[122:123], v[106:107], v[68:69] op_sel_hi:[1,0,1]
	v_pk_fma_f32 v[68:69], v[122:123], v[106:107], v[68:69] neg_lo:[0,0,1] neg_hi:[0,0,1]
	s_delay_alu instid0(VALU_DEP_3) | instskip(NEXT) | instid1(VALU_DEP_3)
	v_pk_add_f32 v[62:63], v[62:63], v[64:65]
	v_dual_mov_b32 v64, v113 :: v_dual_mov_b32 v69, v71
	v_pk_fma_f32 v[70:71], v[124:125], v[108:109], v[72:73] op_sel_hi:[1,0,1]
	v_pk_fma_f32 v[72:73], v[124:125], v[108:109], v[72:73] neg_lo:[0,0,1] neg_hi:[0,0,1]
	s_delay_alu instid0(VALU_DEP_4)
	v_pk_add_f32 v[62:63], v[62:63], v[66:67]
	v_pk_fma_f32 v[66:67], v[126:127], v[110:111], v[74:75] op_sel_hi:[1,0,1]
	v_pk_mul_f32 v[64:65], v[178:179], v[64:65] op_sel_hi:[1,0]
	v_mov_b32_e32 v73, v71
	s_wait_loadcnt_dscnt 0x100
	v_pk_mul_f32 v[70:71], v[170:171], v[166:167] op_sel:[1,1] op_sel_hi:[0,1]
	v_pk_add_f32 v[62:63], v[62:63], v[68:69]
	v_pk_fma_f32 v[68:69], v[126:127], v[110:111], v[74:75] neg_lo:[0,0,1] neg_hi:[0,0,1]
	v_mov_b32_e32 v69, v67
	v_pk_fma_f32 v[66:67], v[128:129], v[112:113], v[64:65] op_sel_hi:[1,0,1]
	v_pk_fma_f32 v[64:65], v[128:129], v[112:113], v[64:65] neg_lo:[0,0,1] neg_hi:[0,0,1]
	v_pk_add_f32 v[62:63], v[62:63], v[72:73]
	s_delay_alu instid0(VALU_DEP_3) | instskip(SKIP_1) | instid1(VALU_DEP_3)
	v_mov_b32_e32 v65, v67
	v_pk_fma_f32 v[66:67], v[170:171], v[166:167], v[70:71] op_sel_hi:[1,0,1]
	v_pk_add_f32 v[62:63], v[62:63], v[68:69]
	v_pk_fma_f32 v[68:69], v[170:171], v[166:167], v[70:71] neg_lo:[0,0,1] neg_hi:[0,0,1]
	s_delay_alu instid0(VALU_DEP_3) | instskip(NEXT) | instid1(VALU_DEP_3)
	v_mov_b32_e32 v69, v67
	v_pk_add_f32 v[62:63], v[62:63], v[64:65]
	s_delay_alu instid0(VALU_DEP_1) | instskip(SKIP_1) | instid1(VALU_DEP_1)
	v_pk_add_f32 v[62:63], v[62:63], v[68:69]
	s_wait_loadcnt 0x0
	v_pk_add_f32 v[62:63], v[168:169], v[62:63] neg_lo:[0,1] neg_hi:[0,1]
	scratch_store_b64 off, v[62:63], off offset:16
	s_wait_xcnt 0x0
	v_cmpx_lt_u32_e32 1, v0
	s_cbranch_execz .LBB29_191
; %bb.190:
	scratch_load_b64 v[62:63], off, off offset:8
	v_mov_b64_e32 v[64:65], 0
	scratch_store_b64 off, v[64:65], off offset:8
	s_wait_loadcnt 0x0
	ds_store_b64 v1, v[62:63]
.LBB29_191:
	s_wait_xcnt 0x0
	s_or_b32 exec_lo, exec_lo, s0
	s_wait_storecnt_dscnt 0x0
	s_barrier_signal -1
	s_barrier_wait -1
	s_clause 0xe
	scratch_load_b128 v[62:65], off, off offset:16
	scratch_load_b128 v[66:69], off, off offset:32
	;; [unrolled: 1-line block ×14, first 2 shown]
	scratch_load_b64 v[174:175], off, off offset:8
	ds_load_b128 v[126:129], v41 offset:448
	ds_load_b128 v[130:133], v41 offset:464
	;; [unrolled: 1-line block ×14, first 2 shown]
	v_ashrrev_i32_e32 v37, 31, v36
	v_dual_ashrrev_i32 v5, 31, v4 :: v_dual_ashrrev_i32 v11, 31, v10
	v_dual_ashrrev_i32 v9, 31, v8 :: v_dual_ashrrev_i32 v15, 31, v14
	;; [unrolled: 1-line block ×6, first 2 shown]
	s_wait_dscnt 0xc
	v_dual_mov_b32 v180, v129 :: v_dual_mov_b32 v183, v132
	v_dual_mov_b32 v181, v128 :: v_dual_mov_b32 v182, v133
	s_wait_dscnt 0x9
	v_dual_mov_b32 v176, v121 :: v_dual_mov_b32 v177, v120
	s_wait_dscnt 0x8
	v_dual_mov_b32 v178, v125 :: v_dual_mov_b32 v179, v124
	v_dual_ashrrev_i32 v29, 31, v28 :: v_dual_ashrrev_i32 v35, 31, v34
	v_dual_ashrrev_i32 v33, 31, v32 :: v_dual_ashrrev_i32 v39, 31, v38
	s_mov_b32 s0, exec_lo
	s_wait_loadcnt 0xe
	v_dual_mul_f32 v41, v134, v63 :: v_dual_mul_f32 v53, v135, v63
	s_wait_loadcnt_dscnt 0xc07
	v_mul_f32_e32 v51, v144, v73
	v_dual_mul_f32 v43, v136, v65 :: v_dual_mul_f32 v45, v138, v67
	s_wait_loadcnt_dscnt 0xb06
	v_dual_mul_f32 v55, v137, v65 :: v_dual_mul_f32 v57, v146, v75
	v_dual_mul_f32 v73, v145, v73 :: v_dual_fmac_f32 v41, v135, v62
	v_dual_fma_f32 v53, v134, v62, -v53 :: v_dual_mul_f32 v62, v147, v75
	s_wait_loadcnt_dscnt 0x904
	v_dual_mul_f32 v186, v156, v85 :: v_dual_mul_f32 v67, v139, v67
	s_delay_alu instid0(VALU_DEP_3) | instskip(NEXT) | instid1(VALU_DEP_3)
	v_dual_fmac_f32 v43, v137, v64 :: v_dual_add_f32 v41, 0, v41
	v_dual_fma_f32 v55, v136, v64, -v55 :: v_dual_add_f32 v53, 0, v53
	v_dual_mul_f32 v47, v140, v69 :: v_dual_mul_f32 v49, v142, v71
	s_wait_loadcnt_dscnt 0x803
	v_dual_mul_f32 v69, v141, v69 :: v_dual_mul_f32 v187, v158, v87
	v_dual_mul_f32 v64, v149, v77 :: v_dual_fmac_f32 v45, v139, v66
	v_dual_fma_f32 v66, v138, v66, -v67 :: v_dual_add_f32 v41, v41, v43
	s_delay_alu instid0(VALU_DEP_3) | instskip(SKIP_3) | instid1(VALU_DEP_3)
	v_dual_add_f32 v43, v53, v55 :: v_dual_fma_f32 v55, v140, v68, -v69
	s_wait_loadcnt_dscnt 0x500
	v_dual_mul_f32 v65, v172, v101 :: v_dual_mul_f32 v71, v143, v71
	v_dual_mul_f32 v53, v151, v79 :: v_dual_fmac_f32 v47, v141, v68
	v_dual_add_f32 v41, v41, v45 :: v_dual_add_f32 v43, v43, v66
	v_dual_mul_f32 v45, v153, v81 :: v_dual_fmac_f32 v49, v143, v70
	s_delay_alu instid0(VALU_DEP_2) | instskip(NEXT) | instid1(VALU_DEP_3)
	v_dual_fma_f32 v66, v142, v70, -v71 :: v_dual_add_f32 v41, v41, v47
	v_dual_add_f32 v43, v43, v55 :: v_dual_fmac_f32 v51, v145, v72
	v_dual_mul_f32 v47, v155, v83 :: v_dual_fma_f32 v55, v144, v72, -v73
	s_delay_alu instid0(VALU_DEP_2) | instskip(SKIP_2) | instid1(VALU_DEP_3)
	v_dual_add_f32 v41, v41, v49 :: v_dual_add_f32 v43, v43, v66
	v_dual_mul_f32 v59, v148, v77 :: v_dual_mul_f32 v61, v150, v79
	v_dual_mul_f32 v49, v157, v85 :: v_dual_fmac_f32 v57, v147, v74
	v_dual_fma_f32 v62, v146, v74, -v62 :: v_dual_add_f32 v41, v41, v51
	s_delay_alu instid0(VALU_DEP_3) | instskip(SKIP_1) | instid1(VALU_DEP_2)
	v_dual_add_f32 v43, v43, v55 :: v_dual_fmac_f32 v59, v149, v76
	v_dual_mul_f32 v51, v159, v87 :: v_dual_fma_f32 v55, v148, v76, -v64
	v_dual_add_f32 v41, v41, v57 :: v_dual_add_f32 v43, v43, v62
	v_dual_mul_f32 v184, v152, v81 :: v_dual_mul_f32 v185, v154, v83
	v_dual_mul_f32 v57, v161, v89 :: v_dual_fmac_f32 v61, v151, v78
	s_delay_alu instid0(VALU_DEP_3) | instskip(NEXT) | instid1(VALU_DEP_3)
	v_dual_fma_f32 v53, v150, v78, -v53 :: v_dual_add_f32 v41, v41, v59
	v_dual_add_f32 v43, v43, v55 :: v_dual_fmac_f32 v184, v153, v80
	v_dual_mul_f32 v55, v163, v91 :: v_dual_fma_f32 v45, v152, v80, -v45
	s_delay_alu instid0(VALU_DEP_3) | instskip(NEXT) | instid1(VALU_DEP_3)
	v_dual_add_f32 v41, v41, v61 :: v_dual_fmac_f32 v185, v155, v82
	v_dual_add_f32 v43, v43, v53 :: v_dual_fma_f32 v47, v154, v82, -v47
	v_dual_fmac_f32 v186, v157, v84 :: v_dual_fma_f32 v49, v156, v84, -v49
	s_delay_alu instid0(VALU_DEP_2) | instskip(SKIP_1) | instid1(VALU_DEP_2)
	v_dual_add_f32 v41, v41, v184 :: v_dual_add_f32 v43, v43, v45
	v_dual_mul_f32 v188, v160, v89 :: v_dual_mul_f32 v189, v162, v91
	v_dual_fmac_f32 v187, v159, v86 :: v_dual_add_f32 v41, v41, v185
	s_delay_alu instid0(VALU_DEP_3) | instskip(NEXT) | instid1(VALU_DEP_3)
	v_dual_add_f32 v43, v43, v47 :: v_dual_mul_f32 v47, v169, v97
	v_dual_fma_f32 v51, v158, v86, -v51 :: v_dual_fmac_f32 v188, v161, v88
	s_delay_alu instid0(VALU_DEP_3) | instskip(NEXT) | instid1(VALU_DEP_3)
	v_dual_fma_f32 v57, v160, v88, -v57 :: v_dual_add_f32 v41, v41, v186
	v_add_f32_e32 v43, v43, v49
	v_dual_mul_f32 v49, v171, v99 :: v_dual_mul_f32 v190, v164, v93
	v_mul_f32_e32 v191, v166, v95
	s_delay_alu instid0(VALU_DEP_4) | instskip(NEXT) | instid1(VALU_DEP_4)
	v_dual_add_f32 v41, v41, v187 :: v_dual_fmac_f32 v189, v163, v90
	v_dual_add_f32 v43, v43, v51 :: v_dual_mul_f32 v51, v173, v101
	v_dual_mul_f32 v53, v165, v93 :: v_dual_mul_f32 v45, v167, v95
	s_delay_alu instid0(VALU_DEP_3) | instskip(NEXT) | instid1(VALU_DEP_3)
	v_dual_fma_f32 v55, v162, v90, -v55 :: v_dual_add_f32 v41, v41, v188
	v_dual_add_f32 v43, v43, v57 :: v_dual_fmac_f32 v190, v165, v92
	s_delay_alu instid0(VALU_DEP_3) | instskip(SKIP_1) | instid1(VALU_DEP_3)
	v_fma_f32 v53, v164, v92, -v53
	v_dual_mul_f32 v192, v168, v97 :: v_dual_mul_f32 v63, v170, v99
	v_dual_add_f32 v41, v41, v189 :: v_dual_add_f32 v43, v43, v55
	s_wait_loadcnt 0x4
	v_dual_mov_b32 v68, v105 :: v_dual_fmac_f32 v191, v167, v94
	v_fma_f32 v45, v166, v94, -v45
	s_delay_alu instid0(VALU_DEP_3) | instskip(SKIP_2) | instid1(VALU_DEP_3)
	v_dual_add_f32 v41, v41, v190 :: v_dual_add_f32 v43, v43, v53
	v_dual_fmac_f32 v192, v169, v96 :: v_dual_fma_f32 v47, v168, v96, -v47
	v_pk_mul_f32 v[66:67], v[118:119], v[102:103] op_sel:[1,1] op_sel_hi:[0,1]
	v_dual_add_f32 v41, v41, v191 :: v_dual_add_f32 v43, v43, v45
	s_wait_loadcnt 0x3
	v_dual_mov_b32 v72, v109 :: v_dual_fmac_f32 v63, v171, v98
	s_delay_alu instid0(VALU_DEP_2) | instskip(NEXT) | instid1(VALU_DEP_3)
	v_dual_fma_f32 v62, v170, v98, -v49 :: v_dual_add_f32 v75, v41, v192
	v_dual_add_f32 v74, v43, v47 :: v_dual_fmac_f32 v65, v173, v100
	v_pk_fma_f32 v[76:77], v[118:119], v[102:103], v[66:67] op_sel_hi:[1,0,1]
	v_fma_f32 v64, v172, v100, -v51
	v_pk_mul_f32 v[68:69], v[176:177], v[68:69] op_sel_hi:[1,0]
	s_delay_alu instid0(VALU_DEP_4)
	v_pk_add_f32 v[62:63], v[74:75], v[62:63]
	v_pk_fma_f32 v[66:67], v[118:119], v[102:103], v[66:67] neg_lo:[0,0,1] neg_hi:[0,0,1]
	v_pk_mul_f32 v[70:71], v[122:123], v[106:107] op_sel:[1,1] op_sel_hi:[0,1]
	v_mov_b32_e32 v67, v77
	v_pk_fma_f32 v[76:77], v[120:121], v[104:105], v[68:69] op_sel_hi:[1,0,1]
	v_pk_add_f32 v[62:63], v[62:63], v[64:65]
	v_pk_fma_f32 v[68:69], v[120:121], v[104:105], v[68:69] neg_lo:[0,0,1] neg_hi:[0,0,1]
	v_pk_fma_f32 v[64:65], v[122:123], v[106:107], v[70:71] op_sel_hi:[1,0,1]
	v_pk_mul_f32 v[72:73], v[178:179], v[72:73] op_sel_hi:[1,0]
	s_wait_loadcnt 0x2
	v_dual_mov_b32 v69, v77 :: v_dual_mov_b32 v64, v113
	v_pk_add_f32 v[62:63], v[62:63], v[66:67]
	v_pk_mul_f32 v[74:75], v[126:127], v[110:111] op_sel:[1,1] op_sel_hi:[0,1]
	v_pk_fma_f32 v[66:67], v[122:123], v[106:107], v[70:71] neg_lo:[0,0,1] neg_hi:[0,0,1]
	v_pk_fma_f32 v[70:71], v[124:125], v[108:109], v[72:73] op_sel_hi:[1,0,1]
	v_mov_b32_e32 v67, v65
	v_pk_add_f32 v[62:63], v[62:63], v[68:69]
	v_pk_fma_f32 v[68:69], v[126:127], v[110:111], v[74:75] op_sel_hi:[1,0,1]
	v_pk_mul_f32 v[64:65], v[180:181], v[64:65] op_sel_hi:[1,0]
	v_pk_fma_f32 v[72:73], v[124:125], v[108:109], v[72:73] neg_lo:[0,0,1] neg_hi:[0,0,1]
	v_mov_b32_e32 v73, v71
	v_pk_add_f32 v[62:63], v[62:63], v[66:67]
	v_pk_fma_f32 v[70:71], v[126:127], v[110:111], v[74:75] neg_lo:[0,0,1] neg_hi:[0,0,1]
	v_mov_b32_e32 v71, v69
	v_pk_fma_f32 v[68:69], v[128:129], v[112:113], v[64:65] op_sel_hi:[1,0,1]
	s_wait_loadcnt 0x1
	v_pk_mul_f32 v[66:67], v[130:131], v[114:115] op_sel:[1,1] op_sel_hi:[0,1]
	v_pk_add_f32 v[62:63], v[62:63], v[72:73]
	v_mov_b32_e32 v68, v117
	v_pk_fma_f32 v[64:65], v[128:129], v[112:113], v[64:65] neg_lo:[0,0,1] neg_hi:[0,0,1]
	v_dual_mov_b32 v65, v69 :: v_dual_ashrrev_i32 v41, 31, v40
	v_pk_fma_f32 v[72:73], v[130:131], v[114:115], v[66:67] op_sel_hi:[1,0,1]
	v_pk_add_f32 v[62:63], v[62:63], v[70:71]
	v_pk_mul_f32 v[68:69], v[182:183], v[68:69] op_sel_hi:[1,0]
	v_pk_fma_f32 v[66:67], v[130:131], v[114:115], v[66:67] neg_lo:[0,0,1] neg_hi:[0,0,1]
	s_delay_alu instid0(VALU_DEP_4) | instskip(NEXT) | instid1(VALU_DEP_4)
	v_dual_ashrrev_i32 v43, 31, v42 :: v_dual_mov_b32 v67, v73
	v_pk_add_f32 v[62:63], v[62:63], v[64:65]
	s_delay_alu instid0(VALU_DEP_4)
	v_pk_fma_f32 v[64:65], v[132:133], v[116:117], v[68:69] op_sel_hi:[1,0,1]
	v_pk_fma_f32 v[68:69], v[132:133], v[116:117], v[68:69] neg_lo:[0,0,1] neg_hi:[0,0,1]
	v_dual_ashrrev_i32 v45, 31, v44 :: v_dual_ashrrev_i32 v47, 31, v46
	v_ashrrev_i32_e32 v49, 31, v48
	v_pk_add_f32 v[62:63], v[62:63], v[66:67]
	v_dual_mov_b32 v69, v65 :: v_dual_ashrrev_i32 v51, 31, v50
	v_dual_ashrrev_i32 v53, 31, v52 :: v_dual_ashrrev_i32 v55, 31, v54
	v_ashrrev_i32_e32 v57, 31, v56
	s_delay_alu instid0(VALU_DEP_3) | instskip(SKIP_2) | instid1(VALU_DEP_2)
	v_pk_add_f32 v[62:63], v[62:63], v[68:69]
	v_dual_ashrrev_i32 v59, 31, v58 :: v_dual_ashrrev_i32 v61, 31, v60
	s_wait_loadcnt 0x0
	v_pk_add_f32 v[62:63], v[174:175], v[62:63] neg_lo:[0,1] neg_hi:[0,1]
	scratch_store_b64 off, v[62:63], off offset:8
	s_wait_xcnt 0x0
	v_cmpx_ne_u32_e32 0, v0
	s_cbranch_execz .LBB29_193
; %bb.192:
	scratch_load_b64 v[62:63], off, off
	v_mov_b64_e32 v[64:65], 0
	scratch_store_b64 off, v[64:65], off
	s_wait_loadcnt 0x0
	ds_store_b64 v1, v[62:63]
.LBB29_193:
	s_wait_xcnt 0x0
	s_or_b32 exec_lo, exec_lo, s0
	s_wait_storecnt_dscnt 0x0
	s_barrier_signal -1
	s_barrier_wait -1
	s_clause 0xf
	scratch_load_b128 v[64:67], off, off offset:8
	scratch_load_b128 v[68:71], off, off offset:24
	;; [unrolled: 1-line block ×14, first 2 shown]
	scratch_load_b64 v[0:1], off, off offset:232
	scratch_load_b64 v[176:177], off, off
	v_mov_b32_e32 v62, 0
	ds_load_2addr_b64 v[120:123], v62 offset0:51 offset1:52
	ds_load_2addr_b64 v[124:127], v62 offset0:53 offset1:54
	;; [unrolled: 1-line block ×14, first 2 shown]
	ds_load_b64 v[178:179], v62 offset:472
	s_and_b32 vcc_lo, exec_lo, s18
	s_wait_dscnt 0xe
	v_dual_mov_b32 v180, v123 :: v_dual_mov_b32 v181, v122
	s_wait_dscnt 0xb
	v_dual_mov_b32 v182, v127 :: v_dual_mov_b32 v187, v134
	v_dual_mov_b32 v183, v126 :: v_dual_mov_b32 v184, v131
	v_dual_mov_b32 v185, v130 :: v_dual_mov_b32 v186, v135
	s_wait_loadcnt_dscnt 0xf0a
	v_dual_mul_f32 v63, v136, v65 :: v_dual_mul_f32 v65, v137, v65
	s_wait_loadcnt_dscnt 0xe09
	v_dual_mul_f32 v188, v138, v67 :: v_dual_mul_f32 v190, v140, v69
	;; [unrolled: 2-line block ×3, first 2 shown]
	v_dual_mul_f32 v67, v139, v67 :: v_dual_mul_f32 v77, v149, v77
	v_dual_fmac_f32 v63, v137, v64 :: v_dual_fma_f32 v64, v136, v64, -v65
	v_dual_mul_f32 v69, v141, v69 :: v_dual_mul_f32 v65, v151, v79
	s_delay_alu instid0(VALU_DEP_3) | instskip(NEXT) | instid1(VALU_DEP_3)
	v_dual_fmac_f32 v188, v139, v66 :: v_dual_fma_f32 v66, v138, v66, -v67
	v_dual_add_f32 v63, 0, v63 :: v_dual_add_f32 v64, 0, v64
	v_dual_mul_f32 v192, v142, v71 :: v_dual_mul_f32 v193, v144, v73
	s_wait_loadcnt_dscnt 0xb06
	v_dual_mul_f32 v71, v143, v71 :: v_dual_mul_f32 v67, v153, v81
	s_delay_alu instid0(VALU_DEP_3) | instskip(SKIP_1) | instid1(VALU_DEP_3)
	v_dual_fmac_f32 v190, v141, v68 :: v_dual_add_f32 v64, v64, v66
	v_fma_f32 v68, v140, v68, -v69
	v_dual_add_f32 v63, v63, v188 :: v_dual_fma_f32 v69, v142, v70, -v71
	v_dual_mul_f32 v73, v145, v73 :: v_dual_mul_f32 v75, v147, v75
	s_delay_alu instid0(VALU_DEP_3)
	v_dual_mul_f32 v66, v155, v83 :: v_dual_add_f32 v64, v64, v68
	s_wait_loadcnt_dscnt 0xa05
	v_dual_fmac_f32 v192, v143, v70 :: v_dual_mul_f32 v68, v157, v85
	v_dual_add_f32 v63, v63, v190 :: v_dual_fmac_f32 v193, v145, v72
	v_fma_f32 v70, v144, v72, -v73
	v_dual_add_f32 v64, v64, v69 :: v_dual_mul_f32 v69, v159, v87
	s_delay_alu instid0(VALU_DEP_3) | instskip(SKIP_1) | instid1(VALU_DEP_3)
	v_add_f32_e32 v63, v63, v192
	v_dual_fmac_f32 v194, v147, v74 :: v_dual_fma_f32 v71, v146, v74, -v75
	v_dual_add_f32 v64, v64, v70 :: v_dual_mul_f32 v196, v150, v79
	v_mul_f32_e32 v197, v152, v81
	s_delay_alu instid0(VALU_DEP_4)
	v_add_f32_e32 v63, v63, v193
	s_wait_loadcnt_dscnt 0x904
	v_dual_mul_f32 v70, v161, v89 :: v_dual_fma_f32 v72, v148, v76, -v77
	v_dual_fmac_f32 v195, v149, v76 :: v_dual_add_f32 v64, v64, v71
	v_fmac_f32_e32 v196, v151, v78
	v_add_f32_e32 v63, v63, v194
	v_dual_mul_f32 v71, v163, v91 :: v_dual_fma_f32 v65, v150, v78, -v65
	s_delay_alu instid0(VALU_DEP_4) | instskip(NEXT) | instid1(VALU_DEP_3)
	v_dual_add_f32 v64, v64, v72 :: v_dual_mul_f32 v198, v154, v83
	v_dual_mul_f32 v199, v156, v85 :: v_dual_add_f32 v63, v63, v195
	s_wait_loadcnt_dscnt 0x803
	v_dual_mul_f32 v72, v165, v93 :: v_dual_fma_f32 v67, v152, v80, -v67
	s_delay_alu instid0(VALU_DEP_3) | instskip(NEXT) | instid1(VALU_DEP_3)
	v_dual_fmac_f32 v197, v153, v80 :: v_dual_add_f32 v64, v64, v65
	v_dual_add_f32 v63, v63, v196 :: v_dual_fma_f32 v66, v154, v82, -v66
	v_dual_fmac_f32 v198, v155, v82 :: v_dual_mul_f32 v200, v158, v87
	v_mul_f32_e32 v201, v160, v89
	s_delay_alu instid0(VALU_DEP_3) | instskip(SKIP_3) | instid1(VALU_DEP_3)
	v_dual_add_f32 v63, v63, v197 :: v_dual_fmac_f32 v199, v157, v84
	v_add_f32_e32 v64, v64, v67
	s_wait_loadcnt_dscnt 0x702
	v_dual_fma_f32 v67, v156, v84, -v68 :: v_dual_mul_f32 v74, v171, v99
	v_add_f32_e32 v63, v63, v198
	v_fmac_f32_e32 v200, v159, v86
	v_add_f32_e32 v64, v64, v66
	v_fma_f32 v66, v158, v86, -v69
	v_dual_mul_f32 v202, v162, v91 :: v_dual_mul_f32 v203, v164, v93
	s_wait_loadcnt_dscnt 0x601
	v_dual_add_f32 v63, v63, v199 :: v_dual_mul_f32 v69, v173, v101
	v_dual_add_f32 v64, v64, v67 :: v_dual_fmac_f32 v201, v161, v88
	v_dual_fma_f32 v67, v160, v88, -v70 :: v_dual_mul_f32 v75, v175, v103
	s_delay_alu instid0(VALU_DEP_2) | instskip(SKIP_2) | instid1(VALU_DEP_3)
	v_dual_add_f32 v63, v63, v200 :: v_dual_add_f32 v64, v64, v66
	v_dual_fmac_f32 v202, v163, v90 :: v_dual_fma_f32 v66, v162, v90, -v71
	v_dual_mul_f32 v204, v166, v95 :: v_dual_mul_f32 v205, v168, v97
	v_dual_add_f32 v63, v63, v201 :: v_dual_add_f32 v64, v64, v67
	v_dual_mul_f32 v65, v167, v95 :: v_dual_mul_f32 v73, v169, v97
	s_wait_loadcnt 0x5
	v_dual_mul_f32 v76, v121, v105 :: v_dual_fma_f32 v67, v164, v92, -v72
	s_delay_alu instid0(VALU_DEP_3) | instskip(SKIP_2) | instid1(VALU_DEP_3)
	v_dual_fmac_f32 v203, v165, v92 :: v_dual_add_f32 v63, v63, v202
	v_dual_add_f32 v66, v64, v66 :: v_dual_mov_b32 v64, v107
	v_dual_fmac_f32 v204, v167, v94 :: v_dual_fma_f32 v65, v166, v94, -v65
	v_dual_add_f32 v63, v63, v203 :: v_dual_fmac_f32 v205, v169, v96
	s_delay_alu instid0(VALU_DEP_3) | instskip(SKIP_1) | instid1(VALU_DEP_2)
	v_dual_add_f32 v68, v66, v67 :: v_dual_fma_f32 v70, v168, v96, -v73
	v_dual_mul_f32 v206, v170, v99 :: v_dual_mul_f32 v207, v172, v101
	v_dual_add_f32 v63, v63, v204 :: v_dual_add_f32 v65, v68, v65
	s_wait_loadcnt 0x4
	v_dual_mov_b32 v68, v111 :: v_dual_fma_f32 v72, v170, v98, -v74
	s_delay_alu instid0(VALU_DEP_3) | instskip(NEXT) | instid1(VALU_DEP_3)
	v_dual_fmac_f32 v206, v171, v98 :: v_dual_fmac_f32 v207, v173, v100
	v_dual_add_f32 v63, v63, v205 :: v_dual_add_f32 v65, v65, v70
	v_dual_mul_f32 v189, v174, v103 :: v_dual_mul_f32 v191, v120, v105
	s_delay_alu instid0(VALU_DEP_2) | instskip(NEXT) | instid1(VALU_DEP_2)
	v_dual_fma_f32 v69, v172, v100, -v69 :: v_dual_add_f32 v63, v63, v206
	v_dual_add_f32 v72, v65, v72 :: v_dual_fmac_f32 v189, v175, v102
	v_fma_f32 v188, v174, v102, -v75
	v_pk_mul_f32 v[64:65], v[180:181], v[64:65] op_sel_hi:[1,0]
	s_delay_alu instid0(VALU_DEP_3)
	v_dual_add_f32 v73, v63, v207 :: v_dual_add_f32 v72, v72, v69
	s_wait_loadcnt 0x3
	v_mov_b32_e32 v74, v115
	v_pk_mul_f32 v[66:67], v[124:125], v[108:109] op_sel:[1,1] op_sel_hi:[0,1]
	v_dual_fmac_f32 v191, v121, v104 :: v_dual_fma_f32 v190, v120, v104, -v76
	v_pk_fma_f32 v[76:77], v[122:123], v[106:107], v[64:65] op_sel_hi:[1,0,1]
	v_pk_add_f32 v[72:73], v[72:73], v[188:189]
	v_pk_fma_f32 v[64:65], v[122:123], v[106:107], v[64:65] neg_lo:[0,0,1] neg_hi:[0,0,1]
	v_pk_fma_f32 v[78:79], v[124:125], v[108:109], v[66:67] op_sel_hi:[1,0,1]
	v_pk_mul_f32 v[68:69], v[182:183], v[68:69] op_sel_hi:[1,0]
	v_mov_b32_e32 v65, v77
	v_pk_add_f32 v[72:73], v[72:73], v[190:191]
	v_pk_fma_f32 v[66:67], v[124:125], v[108:109], v[66:67] neg_lo:[0,0,1] neg_hi:[0,0,1]
	v_pk_mul_f32 v[70:71], v[128:129], v[112:113] op_sel:[1,1] op_sel_hi:[0,1]
	v_mov_b32_e32 v67, v79
	v_pk_fma_f32 v[78:79], v[126:127], v[110:111], v[68:69] op_sel_hi:[1,0,1]
	v_pk_add_f32 v[64:65], v[72:73], v[64:65]
	v_pk_fma_f32 v[68:69], v[126:127], v[110:111], v[68:69] neg_lo:[0,0,1] neg_hi:[0,0,1]
	v_pk_fma_f32 v[72:73], v[128:129], v[112:113], v[70:71] op_sel_hi:[1,0,1]
	v_pk_mul_f32 v[74:75], v[184:185], v[74:75] op_sel_hi:[1,0]
	v_mov_b32_e32 v69, v79
	v_pk_add_f32 v[64:65], v[64:65], v[66:67]
	v_pk_fma_f32 v[70:71], v[128:129], v[112:113], v[70:71] neg_lo:[0,0,1] neg_hi:[0,0,1]
	s_wait_loadcnt 0x2
	v_pk_mul_f32 v[76:77], v[132:133], v[116:117] op_sel:[1,1] op_sel_hi:[0,1]
	v_dual_mov_b32 v66, v119 :: v_dual_mov_b32 v71, v73
	v_pk_fma_f32 v[72:73], v[130:131], v[114:115], v[74:75] op_sel_hi:[1,0,1]
	v_pk_add_f32 v[64:65], v[64:65], v[68:69]
	v_pk_fma_f32 v[74:75], v[130:131], v[114:115], v[74:75] neg_lo:[0,0,1] neg_hi:[0,0,1]
	v_pk_fma_f32 v[68:69], v[132:133], v[116:117], v[76:77] op_sel_hi:[1,0,1]
	v_pk_mul_f32 v[66:67], v[186:187], v[66:67] op_sel_hi:[1,0]
	v_mov_b32_e32 v75, v73
	v_pk_add_f32 v[64:65], v[64:65], v[70:71]
	v_pk_fma_f32 v[72:73], v[132:133], v[116:117], v[76:77] neg_lo:[0,0,1] neg_hi:[0,0,1]
	s_wait_loadcnt_dscnt 0x100
	v_pk_mul_f32 v[70:71], v[178:179], v[0:1] op_sel:[1,1] op_sel_hi:[0,1]
	v_mov_b32_e32 v73, v69
	v_pk_fma_f32 v[68:69], v[134:135], v[118:119], v[66:67] op_sel_hi:[1,0,1]
	v_pk_add_f32 v[64:65], v[64:65], v[74:75]
	v_pk_fma_f32 v[66:67], v[134:135], v[118:119], v[66:67] neg_lo:[0,0,1] neg_hi:[0,0,1]
	v_pk_fma_f32 v[74:75], v[178:179], v[0:1], v[70:71] op_sel_hi:[1,0,1]
	v_pk_fma_f32 v[0:1], v[178:179], v[0:1], v[70:71] neg_lo:[0,0,1] neg_hi:[0,0,1]
	v_mov_b32_e32 v67, v69
	v_pk_add_f32 v[64:65], v[64:65], v[72:73]
	s_delay_alu instid0(VALU_DEP_4) | instskip(NEXT) | instid1(VALU_DEP_2)
	v_mov_b32_e32 v1, v75
	v_pk_add_f32 v[64:65], v[64:65], v[66:67]
	s_delay_alu instid0(VALU_DEP_1) | instskip(SKIP_1) | instid1(VALU_DEP_1)
	v_pk_add_f32 v[0:1], v[64:65], v[0:1]
	s_wait_loadcnt 0x0
	v_pk_add_f32 v[0:1], v[176:177], v[0:1] neg_lo:[0,1] neg_hi:[0,1]
	scratch_store_b64 off, v[0:1], off
	s_cbranch_vccz .LBB29_252
; %bb.194:
	global_load_b32 v0, v62, s[2:3] offset:112
	s_wait_loadcnt 0x0
	v_cmp_ne_u32_e32 vcc_lo, 29, v0
	s_cbranch_vccz .LBB29_196
; %bb.195:
	v_lshlrev_b32_e32 v0, 3, v0
	s_delay_alu instid0(VALU_DEP_1)
	v_mov_b32_e32 v64, v0
	scratch_load_b64 v[0:1], v64, off offset:-8
	scratch_load_b64 v[62:63], off, off offset:224
	s_wait_loadcnt 0x1
	scratch_store_b64 off, v[0:1], off offset:224
	s_wait_loadcnt 0x0
	scratch_store_b64 v64, v[62:63], off offset:-8
.LBB29_196:
	s_wait_xcnt 0x1
	v_mov_b32_e32 v0, 0
	global_load_b32 v1, v0, s[2:3] offset:108
	s_wait_loadcnt 0x0
	v_cmp_eq_u32_e32 vcc_lo, 28, v1
	s_cbranch_vccnz .LBB29_198
; %bb.197:
	v_lshlrev_b32_e32 v1, 3, v1
	scratch_load_b64 v[62:63], v1, off offset:-8
	scratch_load_b64 v[64:65], off, off offset:216
	s_wait_loadcnt 0x1
	scratch_store_b64 off, v[62:63], off offset:216
	s_wait_loadcnt 0x0
	scratch_store_b64 v1, v[64:65], off offset:-8
.LBB29_198:
	global_load_b32 v0, v0, s[2:3] offset:104
	s_wait_loadcnt 0x0
	v_cmp_eq_u32_e32 vcc_lo, 27, v0
	s_cbranch_vccnz .LBB29_200
; %bb.199:
	s_wait_xcnt 0x0
	v_lshlrev_b32_e32 v0, 3, v0
	s_delay_alu instid0(VALU_DEP_1)
	v_mov_b32_e32 v64, v0
	scratch_load_b64 v[0:1], v64, off offset:-8
	scratch_load_b64 v[62:63], off, off offset:208
	s_wait_loadcnt 0x1
	scratch_store_b64 off, v[0:1], off offset:208
	s_wait_loadcnt 0x0
	scratch_store_b64 v64, v[62:63], off offset:-8
.LBB29_200:
	s_wait_xcnt 0x0
	v_mov_b32_e32 v0, 0
	global_load_b32 v1, v0, s[2:3] offset:100
	s_wait_loadcnt 0x0
	v_cmp_eq_u32_e32 vcc_lo, 26, v1
	s_cbranch_vccnz .LBB29_202
; %bb.201:
	v_lshlrev_b32_e32 v1, 3, v1
	scratch_load_b64 v[62:63], v1, off offset:-8
	scratch_load_b64 v[64:65], off, off offset:200
	s_wait_loadcnt 0x1
	scratch_store_b64 off, v[62:63], off offset:200
	s_wait_loadcnt 0x0
	scratch_store_b64 v1, v[64:65], off offset:-8
.LBB29_202:
	global_load_b32 v0, v0, s[2:3] offset:96
	s_wait_loadcnt 0x0
	v_cmp_eq_u32_e32 vcc_lo, 25, v0
	s_cbranch_vccnz .LBB29_204
; %bb.203:
	s_wait_xcnt 0x0
	v_lshlrev_b32_e32 v0, 3, v0
	s_delay_alu instid0(VALU_DEP_1)
	v_mov_b32_e32 v64, v0
	scratch_load_b64 v[0:1], v64, off offset:-8
	scratch_load_b64 v[62:63], off, off offset:192
	s_wait_loadcnt 0x1
	scratch_store_b64 off, v[0:1], off offset:192
	s_wait_loadcnt 0x0
	scratch_store_b64 v64, v[62:63], off offset:-8
.LBB29_204:
	;; [unrolled: 31-line block ×13, first 2 shown]
	s_wait_xcnt 0x0
	v_mov_b32_e32 v0, 0
	global_load_b32 v1, v0, s[2:3] offset:4
	s_wait_loadcnt 0x0
	v_cmp_eq_u32_e32 vcc_lo, 2, v1
	s_cbranch_vccnz .LBB29_250
; %bb.249:
	v_lshlrev_b32_e32 v1, 3, v1
	scratch_load_b64 v[62:63], v1, off offset:-8
	scratch_load_b64 v[64:65], off, off offset:8
	s_wait_loadcnt 0x1
	scratch_store_b64 off, v[62:63], off offset:8
	s_wait_loadcnt 0x0
	scratch_store_b64 v1, v[64:65], off offset:-8
.LBB29_250:
	global_load_b32 v62, v0, s[2:3]
	scratch_load_b64 v[0:1], off, off
	s_wait_loadcnt 0x1
	v_cmp_eq_u32_e32 vcc_lo, 1, v62
	s_cbranch_vccnz .LBB29_252
; %bb.251:
	v_lshlrev_b32_e32 v62, 3, v62
	s_delay_alu instid0(VALU_DEP_1)
	v_mov_b32_e32 v64, v62
	scratch_load_b64 v[62:63], v64, off offset:-8
	s_wait_loadcnt 0x0
	scratch_store_b64 off, v[62:63], off
	scratch_store_b64 v64, v[0:1], off offset:-8
	scratch_load_b64 v[0:1], off, off
.LBB29_252:
	s_clause 0xe
	scratch_load_b128 v[62:65], off, off offset:8
	scratch_load_b128 v[66:69], off, off offset:24
	;; [unrolled: 1-line block ×14, first 2 shown]
	scratch_load_b64 v[118:119], off, off offset:232
	v_lshl_add_u64 v[4:5], v[4:5], 3, s[4:5]
	v_lshl_add_u64 v[8:9], v[8:9], 3, s[4:5]
	;; [unrolled: 1-line block ×28, first 2 shown]
	s_wait_loadcnt 0xf
	global_store_b64 v[2:3], v[0:1], off
	s_wait_loadcnt 0xe
	s_clause 0x1
	global_store_b64 v[6:7], v[62:63], off
	global_store_b64 v[4:5], v[64:65], off
	s_wait_loadcnt 0xd
	s_clause 0x1
	global_store_b64 v[8:9], v[66:67], off
	;; [unrolled: 4-line block ×14, first 2 shown]
	global_store_b64 v[58:59], v[116:117], off
	s_wait_loadcnt 0x0
	global_store_b64 v[60:61], v[118:119], off
	s_sendmsg sendmsg(MSG_DEALLOC_VGPRS)
	s_endpgm
	.section	.rodata,"a",@progbits
	.p2align	6, 0x0
	.amdhsa_kernel _ZN9rocsolver6v33100L18getri_kernel_smallILi30E19rocblas_complex_numIfEPS3_EEvT1_iilPiilS6_bb
		.amdhsa_group_segment_fixed_size 484
		.amdhsa_private_segment_fixed_size 256
		.amdhsa_kernarg_size 60
		.amdhsa_user_sgpr_count 2
		.amdhsa_user_sgpr_dispatch_ptr 0
		.amdhsa_user_sgpr_queue_ptr 0
		.amdhsa_user_sgpr_kernarg_segment_ptr 1
		.amdhsa_user_sgpr_dispatch_id 0
		.amdhsa_user_sgpr_kernarg_preload_length 0
		.amdhsa_user_sgpr_kernarg_preload_offset 0
		.amdhsa_user_sgpr_private_segment_size 0
		.amdhsa_wavefront_size32 1
		.amdhsa_uses_dynamic_stack 0
		.amdhsa_enable_private_segment 1
		.amdhsa_system_sgpr_workgroup_id_x 1
		.amdhsa_system_sgpr_workgroup_id_y 0
		.amdhsa_system_sgpr_workgroup_id_z 0
		.amdhsa_system_sgpr_workgroup_info 0
		.amdhsa_system_vgpr_workitem_id 0
		.amdhsa_next_free_vgpr 208
		.amdhsa_next_free_sgpr 19
		.amdhsa_named_barrier_count 0
		.amdhsa_reserve_vcc 1
		.amdhsa_float_round_mode_32 0
		.amdhsa_float_round_mode_16_64 0
		.amdhsa_float_denorm_mode_32 3
		.amdhsa_float_denorm_mode_16_64 3
		.amdhsa_fp16_overflow 0
		.amdhsa_memory_ordered 1
		.amdhsa_forward_progress 1
		.amdhsa_inst_pref_size 255
		.amdhsa_round_robin_scheduling 0
		.amdhsa_exception_fp_ieee_invalid_op 0
		.amdhsa_exception_fp_denorm_src 0
		.amdhsa_exception_fp_ieee_div_zero 0
		.amdhsa_exception_fp_ieee_overflow 0
		.amdhsa_exception_fp_ieee_underflow 0
		.amdhsa_exception_fp_ieee_inexact 0
		.amdhsa_exception_int_div_zero 0
	.end_amdhsa_kernel
	.section	.text._ZN9rocsolver6v33100L18getri_kernel_smallILi30E19rocblas_complex_numIfEPS3_EEvT1_iilPiilS6_bb,"axG",@progbits,_ZN9rocsolver6v33100L18getri_kernel_smallILi30E19rocblas_complex_numIfEPS3_EEvT1_iilPiilS6_bb,comdat
.Lfunc_end29:
	.size	_ZN9rocsolver6v33100L18getri_kernel_smallILi30E19rocblas_complex_numIfEPS3_EEvT1_iilPiilS6_bb, .Lfunc_end29-_ZN9rocsolver6v33100L18getri_kernel_smallILi30E19rocblas_complex_numIfEPS3_EEvT1_iilPiilS6_bb
                                        ; -- End function
	.set _ZN9rocsolver6v33100L18getri_kernel_smallILi30E19rocblas_complex_numIfEPS3_EEvT1_iilPiilS6_bb.num_vgpr, 208
	.set _ZN9rocsolver6v33100L18getri_kernel_smallILi30E19rocblas_complex_numIfEPS3_EEvT1_iilPiilS6_bb.num_agpr, 0
	.set _ZN9rocsolver6v33100L18getri_kernel_smallILi30E19rocblas_complex_numIfEPS3_EEvT1_iilPiilS6_bb.numbered_sgpr, 19
	.set _ZN9rocsolver6v33100L18getri_kernel_smallILi30E19rocblas_complex_numIfEPS3_EEvT1_iilPiilS6_bb.num_named_barrier, 0
	.set _ZN9rocsolver6v33100L18getri_kernel_smallILi30E19rocblas_complex_numIfEPS3_EEvT1_iilPiilS6_bb.private_seg_size, 256
	.set _ZN9rocsolver6v33100L18getri_kernel_smallILi30E19rocblas_complex_numIfEPS3_EEvT1_iilPiilS6_bb.uses_vcc, 1
	.set _ZN9rocsolver6v33100L18getri_kernel_smallILi30E19rocblas_complex_numIfEPS3_EEvT1_iilPiilS6_bb.uses_flat_scratch, 1
	.set _ZN9rocsolver6v33100L18getri_kernel_smallILi30E19rocblas_complex_numIfEPS3_EEvT1_iilPiilS6_bb.has_dyn_sized_stack, 0
	.set _ZN9rocsolver6v33100L18getri_kernel_smallILi30E19rocblas_complex_numIfEPS3_EEvT1_iilPiilS6_bb.has_recursion, 0
	.set _ZN9rocsolver6v33100L18getri_kernel_smallILi30E19rocblas_complex_numIfEPS3_EEvT1_iilPiilS6_bb.has_indirect_call, 0
	.section	.AMDGPU.csdata,"",@progbits
; Kernel info:
; codeLenInByte = 40172
; TotalNumSgprs: 21
; NumVgprs: 208
; ScratchSize: 256
; MemoryBound: 0
; FloatMode: 240
; IeeeMode: 1
; LDSByteSize: 484 bytes/workgroup (compile time only)
; SGPRBlocks: 0
; VGPRBlocks: 12
; NumSGPRsForWavesPerEU: 21
; NumVGPRsForWavesPerEU: 208
; NamedBarCnt: 0
; Occupancy: 4
; WaveLimiterHint : 1
; COMPUTE_PGM_RSRC2:SCRATCH_EN: 1
; COMPUTE_PGM_RSRC2:USER_SGPR: 2
; COMPUTE_PGM_RSRC2:TRAP_HANDLER: 0
; COMPUTE_PGM_RSRC2:TGID_X_EN: 1
; COMPUTE_PGM_RSRC2:TGID_Y_EN: 0
; COMPUTE_PGM_RSRC2:TGID_Z_EN: 0
; COMPUTE_PGM_RSRC2:TIDIG_COMP_CNT: 0
	.section	.text._ZN9rocsolver6v33100L18getri_kernel_smallILi31E19rocblas_complex_numIfEPS3_EEvT1_iilPiilS6_bb,"axG",@progbits,_ZN9rocsolver6v33100L18getri_kernel_smallILi31E19rocblas_complex_numIfEPS3_EEvT1_iilPiilS6_bb,comdat
	.globl	_ZN9rocsolver6v33100L18getri_kernel_smallILi31E19rocblas_complex_numIfEPS3_EEvT1_iilPiilS6_bb ; -- Begin function _ZN9rocsolver6v33100L18getri_kernel_smallILi31E19rocblas_complex_numIfEPS3_EEvT1_iilPiilS6_bb
	.p2align	8
	.type	_ZN9rocsolver6v33100L18getri_kernel_smallILi31E19rocblas_complex_numIfEPS3_EEvT1_iilPiilS6_bb,@function
_ZN9rocsolver6v33100L18getri_kernel_smallILi31E19rocblas_complex_numIfEPS3_EEvT1_iilPiilS6_bb: ; @_ZN9rocsolver6v33100L18getri_kernel_smallILi31E19rocblas_complex_numIfEPS3_EEvT1_iilPiilS6_bb
; %bb.0:
	s_mov_b32 s2, exec_lo
	v_cmpx_gt_u32_e32 31, v0
	s_cbranch_execz .LBB30_138
; %bb.1:
	s_clause 0x2
	s_load_b32 s2, s[0:1], 0x38
	s_load_b128 s[12:15], s[0:1], 0x10
	s_load_b128 s[4:7], s[0:1], 0x28
	s_getreg_b32 s9, hwreg(HW_REG_IB_STS2, 6, 4)
	s_wait_kmcnt 0x0
	s_bitcmp1_b32 s2, 8
	s_cselect_b32 s18, -1, 0
	s_bfe_u32 s3, ttmp6, 0x4000c
	s_and_b32 s8, ttmp6, 15
	s_add_co_i32 s3, s3, 1
	s_delay_alu instid0(SALU_CYCLE_1) | instskip(NEXT) | instid1(SALU_CYCLE_1)
	s_mul_i32 s3, ttmp9, s3
	s_add_co_i32 s8, s8, s3
	s_cmp_eq_u32 s9, 0
	s_cselect_b32 s16, ttmp9, s8
	s_bfe_u32 s2, s2, 0x10008
	s_ashr_i32 s17, s16, 31
	s_cmp_eq_u32 s2, 0
                                        ; implicit-def: $sgpr2_sgpr3
	s_cbranch_scc1 .LBB30_3
; %bb.2:
	s_load_b32 s2, s[0:1], 0x20
	s_mul_u64 s[4:5], s[4:5], s[16:17]
	s_delay_alu instid0(SALU_CYCLE_1) | instskip(NEXT) | instid1(SALU_CYCLE_1)
	s_lshl_b64 s[4:5], s[4:5], 2
	s_add_nc_u64 s[4:5], s[14:15], s[4:5]
	s_wait_kmcnt 0x0
	s_ashr_i32 s3, s2, 31
	s_delay_alu instid0(SALU_CYCLE_1) | instskip(NEXT) | instid1(SALU_CYCLE_1)
	s_lshl_b64 s[2:3], s[2:3], 2
	s_add_nc_u64 s[2:3], s[4:5], s[2:3]
.LBB30_3:
	s_clause 0x1
	s_load_b128 s[8:11], s[0:1], 0x0
	s_load_b32 s14, s[0:1], 0x38
	s_wait_xcnt 0x0
	s_mul_u64 s[0:1], s[12:13], s[16:17]
	s_delay_alu instid0(SALU_CYCLE_1)
	s_lshl_b64 s[0:1], s[0:1], 3
	s_wait_kmcnt 0x0
	v_add3_u32 v4, s11, s11, v0
	s_ashr_i32 s5, s10, 31
	s_mov_b32 s4, s10
	s_add_nc_u64 s[0:1], s[8:9], s[0:1]
	s_lshl_b64 s[4:5], s[4:5], 3
	v_add_nc_u32_e32 v6, s11, v4
	s_add_nc_u64 s[4:5], s[0:1], s[4:5]
	s_ashr_i32 s1, s11, 31
	s_mov_b32 s0, s11
	s_bitcmp0_b32 s14, 0
	v_add_nc_u32_e32 v10, s11, v6
	s_delay_alu instid0(VALU_DEP_1) | instskip(NEXT) | instid1(VALU_DEP_1)
	v_add_nc_u32_e32 v12, s11, v10
	v_add_nc_u32_e32 v14, s11, v12
	s_delay_alu instid0(VALU_DEP_1) | instskip(NEXT) | instid1(VALU_DEP_1)
	v_add_nc_u32_e32 v16, s11, v14
	v_add_nc_u32_e32 v18, s11, v16
	s_delay_alu instid0(VALU_DEP_1) | instskip(NEXT) | instid1(VALU_DEP_1)
	v_add_nc_u32_e32 v20, s11, v18
	v_add_nc_u32_e32 v22, s11, v20
	s_delay_alu instid0(VALU_DEP_1) | instskip(NEXT) | instid1(VALU_DEP_1)
	v_add_nc_u32_e32 v24, s11, v22
	v_add_nc_u32_e32 v26, s11, v24
	s_delay_alu instid0(VALU_DEP_1) | instskip(NEXT) | instid1(VALU_DEP_1)
	v_add_nc_u32_e32 v28, s11, v26
	v_add_nc_u32_e32 v30, s11, v28
	s_delay_alu instid0(VALU_DEP_1) | instskip(NEXT) | instid1(VALU_DEP_1)
	v_add_nc_u32_e32 v32, s11, v30
	v_add_nc_u32_e32 v34, s11, v32
	s_delay_alu instid0(VALU_DEP_1) | instskip(NEXT) | instid1(VALU_DEP_1)
	v_add_nc_u32_e32 v36, s11, v34
	v_add_nc_u32_e32 v38, s11, v36
	s_delay_alu instid0(VALU_DEP_1) | instskip(NEXT) | instid1(VALU_DEP_1)
	v_dual_lshlrev_b32 v64, 3, v0 :: v_dual_add_nc_u32 v40, s11, v38
	v_dual_mov_b32 v65, 0 :: v_dual_add_nc_u32 v42, s11, v40
	s_delay_alu instid0(VALU_DEP_1) | instskip(NEXT) | instid1(VALU_DEP_2)
	v_add_nc_u64_e32 v[2:3], s[4:5], v[64:65]
	v_add_nc_u32_e32 v44, s11, v42
	s_delay_alu instid0(VALU_DEP_2) | instskip(SKIP_1) | instid1(VALU_DEP_2)
	v_lshl_add_u64 v[8:9], s[0:1], 3, v[2:3]
	s_mov_b32 s1, -1
	v_add_nc_u32_e32 v46, s11, v44
	s_clause 0x9
	global_load_b64 v[66:67], v0, s[4:5] scale_offset
	global_load_b64 v[68:69], v[8:9], off
	global_load_b64 v[70:71], v4, s[4:5] scale_offset
	global_load_b64 v[72:73], v6, s[4:5] scale_offset
	;; [unrolled: 1-line block ×8, first 2 shown]
	v_add_nc_u32_e32 v48, s11, v46
	s_clause 0x7
	global_load_b64 v[86:87], v22, s[4:5] scale_offset
	global_load_b64 v[88:89], v24, s[4:5] scale_offset
	global_load_b64 v[90:91], v26, s[4:5] scale_offset
	global_load_b64 v[92:93], v28, s[4:5] scale_offset
	global_load_b64 v[94:95], v30, s[4:5] scale_offset
	global_load_b64 v[96:97], v32, s[4:5] scale_offset
	global_load_b64 v[98:99], v34, s[4:5] scale_offset
	global_load_b64 v[100:101], v36, s[4:5] scale_offset
	v_add_nc_u32_e32 v50, s11, v48
	s_clause 0x3
	global_load_b64 v[102:103], v38, s[4:5] scale_offset
	global_load_b64 v[104:105], v40, s[4:5] scale_offset
	;; [unrolled: 1-line block ×4, first 2 shown]
	v_add_nc_u32_e32 v52, s11, v50
	s_delay_alu instid0(VALU_DEP_1)
	v_add_nc_u32_e32 v54, s11, v52
	s_clause 0x3
	global_load_b64 v[110:111], v46, s[4:5] scale_offset
	global_load_b64 v[112:113], v48, s[4:5] scale_offset
	;; [unrolled: 1-line block ×4, first 2 shown]
	v_add_nc_u32_e32 v56, s11, v54
	s_delay_alu instid0(VALU_DEP_1) | instskip(NEXT) | instid1(VALU_DEP_1)
	v_add_nc_u32_e32 v58, s11, v56
	v_add_nc_u32_e32 v60, s11, v58
	s_delay_alu instid0(VALU_DEP_1)
	v_add_nc_u32_e32 v62, s11, v60
	s_clause 0x4
	global_load_b64 v[118:119], v54, s[4:5] scale_offset
	global_load_b64 v[120:121], v56, s[4:5] scale_offset
	global_load_b64 v[122:123], v58, s[4:5] scale_offset
	global_load_b64 v[124:125], v60, s[4:5] scale_offset
	global_load_b64 v[126:127], v62, s[4:5] scale_offset
	s_wait_loadcnt 0x1d
	scratch_store_b128 off, v[66:69], off
	s_wait_loadcnt 0x1b
	scratch_store_b128 off, v[70:73], off offset:16
	s_wait_loadcnt 0x19
	scratch_store_b128 off, v[74:77], off offset:32
	;; [unrolled: 2-line block ×14, first 2 shown]
	s_wait_loadcnt 0x0
	scratch_store_b64 off, v[126:127], off offset:240
	s_cbranch_scc1 .LBB30_136
; %bb.4:
	v_cmp_eq_u32_e64 s0, 0, v0
	s_wait_xcnt 0x0
	s_and_saveexec_b32 s1, s0
; %bb.5:
	v_mov_b32_e32 v1, 0
	ds_store_b32 v1, v1 offset:248
; %bb.6:
	s_or_b32 exec_lo, exec_lo, s1
	s_wait_storecnt_dscnt 0x0
	s_barrier_signal -1
	s_barrier_wait -1
	scratch_load_b64 v[66:67], v0, off scale_offset
	s_wait_loadcnt 0x0
	v_cmp_eq_f32_e32 vcc_lo, 0, v66
	v_cmp_eq_f32_e64 s1, 0, v67
	s_and_b32 s1, vcc_lo, s1
	s_delay_alu instid0(SALU_CYCLE_1)
	s_and_saveexec_b32 s8, s1
	s_cbranch_execz .LBB30_10
; %bb.7:
	v_mov_b32_e32 v1, 0
	s_mov_b32 s9, 0
	ds_load_b32 v5, v1 offset:248
	s_wait_dscnt 0x0
	v_readfirstlane_b32 s1, v5
	v_add_nc_u32_e32 v5, 1, v0
	s_cmp_eq_u32 s1, 0
	s_delay_alu instid0(VALU_DEP_1) | instskip(SKIP_1) | instid1(SALU_CYCLE_1)
	v_cmp_gt_i32_e32 vcc_lo, s1, v5
	s_cselect_b32 s10, -1, 0
	s_or_b32 s10, s10, vcc_lo
	s_delay_alu instid0(SALU_CYCLE_1)
	s_and_b32 exec_lo, exec_lo, s10
	s_cbranch_execz .LBB30_10
; %bb.8:
	v_mov_b32_e32 v7, s1
.LBB30_9:                               ; =>This Inner Loop Header: Depth=1
	ds_cmpstore_rtn_b32 v7, v1, v5, v7 offset:248
	s_wait_dscnt 0x0
	v_cmp_ne_u32_e32 vcc_lo, 0, v7
	v_cmp_le_i32_e64 s1, v7, v5
	s_and_b32 s1, vcc_lo, s1
	s_delay_alu instid0(SALU_CYCLE_1) | instskip(NEXT) | instid1(SALU_CYCLE_1)
	s_and_b32 s1, exec_lo, s1
	s_or_b32 s9, s1, s9
	s_delay_alu instid0(SALU_CYCLE_1)
	s_and_not1_b32 exec_lo, exec_lo, s9
	s_cbranch_execnz .LBB30_9
.LBB30_10:
	s_or_b32 exec_lo, exec_lo, s8
	v_mov_b32_e32 v1, 0
	s_barrier_signal -1
	s_barrier_wait -1
	ds_load_b32 v5, v1 offset:248
	s_and_saveexec_b32 s1, s0
	s_cbranch_execz .LBB30_12
; %bb.11:
	s_lshl_b64 s[8:9], s[16:17], 2
	s_delay_alu instid0(SALU_CYCLE_1)
	s_add_nc_u64 s[8:9], s[6:7], s[8:9]
	s_wait_dscnt 0x0
	global_store_b32 v1, v5, s[8:9]
.LBB30_12:
	s_wait_xcnt 0x0
	s_or_b32 exec_lo, exec_lo, s1
	s_wait_dscnt 0x0
	v_cmp_ne_u32_e32 vcc_lo, 0, v5
	s_mov_b32 s1, 0
	s_cbranch_vccnz .LBB30_136
; %bb.13:
	v_lshl_add_u32 v5, v0, 3, 0
                                        ; implicit-def: $vgpr69
                                        ; implicit-def: $vgpr70
	scratch_load_b64 v[66:67], v5, off
	s_wait_loadcnt 0x0
	v_cmp_ngt_f32_e64 s1, |v66|, |v67|
	s_wait_xcnt 0x0
	s_and_saveexec_b32 s8, s1
	s_delay_alu instid0(SALU_CYCLE_1)
	s_xor_b32 s1, exec_lo, s8
	s_cbranch_execz .LBB30_15
; %bb.14:
	v_div_scale_f32 v1, null, v67, v67, v66
	v_div_scale_f32 v13, vcc_lo, v66, v67, v66
	s_delay_alu instid0(VALU_DEP_2) | instskip(SKIP_1) | instid1(TRANS32_DEP_1)
	v_rcp_f32_e32 v7, v1
	v_nop
	v_fma_f32 v11, -v1, v7, 1.0
	s_delay_alu instid0(VALU_DEP_1) | instskip(NEXT) | instid1(VALU_DEP_1)
	v_fmac_f32_e32 v7, v11, v7
	v_mul_f32_e32 v11, v13, v7
	s_delay_alu instid0(VALU_DEP_1) | instskip(NEXT) | instid1(VALU_DEP_1)
	v_fma_f32 v15, -v1, v11, v13
	v_fmac_f32_e32 v11, v15, v7
	s_delay_alu instid0(VALU_DEP_1) | instskip(NEXT) | instid1(VALU_DEP_1)
	v_fma_f32 v1, -v1, v11, v13
	v_div_fmas_f32 v1, v1, v7, v11
	s_delay_alu instid0(VALU_DEP_1) | instskip(NEXT) | instid1(VALU_DEP_1)
	v_div_fixup_f32 v1, v1, v67, v66
	v_fmac_f32_e32 v67, v66, v1
	s_delay_alu instid0(VALU_DEP_1) | instskip(NEXT) | instid1(VALU_DEP_1)
	v_div_scale_f32 v7, null, v67, v67, -1.0
	v_rcp_f32_e32 v11, v7
	v_nop
	s_delay_alu instid0(TRANS32_DEP_1) | instskip(NEXT) | instid1(VALU_DEP_1)
	v_fma_f32 v13, -v7, v11, 1.0
	v_fmac_f32_e32 v11, v13, v11
	v_div_scale_f32 v13, vcc_lo, -1.0, v67, -1.0
	s_delay_alu instid0(VALU_DEP_1) | instskip(NEXT) | instid1(VALU_DEP_1)
	v_mul_f32_e32 v15, v13, v11
	v_fma_f32 v17, -v7, v15, v13
	s_delay_alu instid0(VALU_DEP_1) | instskip(NEXT) | instid1(VALU_DEP_1)
	v_fmac_f32_e32 v15, v17, v11
	v_fma_f32 v7, -v7, v15, v13
	s_delay_alu instid0(VALU_DEP_1) | instskip(NEXT) | instid1(VALU_DEP_1)
	v_div_fmas_f32 v7, v7, v11, v15
	v_div_fixup_f32 v69, v7, v67, -1.0
                                        ; implicit-def: $vgpr66_vgpr67
	s_delay_alu instid0(VALU_DEP_1) | instskip(NEXT) | instid1(VALU_DEP_1)
	v_mul_f32_e32 v70, v1, v69
	v_xor_b32_e32 v68, 0x80000000, v70
.LBB30_15:
	s_and_not1_saveexec_b32 s1, s1
	s_cbranch_execz .LBB30_17
; %bb.16:
	v_div_scale_f32 v1, null, v66, v66, v67
	v_div_scale_f32 v13, vcc_lo, v67, v66, v67
	s_delay_alu instid0(VALU_DEP_2) | instskip(SKIP_1) | instid1(TRANS32_DEP_1)
	v_rcp_f32_e32 v7, v1
	v_nop
	v_fma_f32 v11, -v1, v7, 1.0
	s_delay_alu instid0(VALU_DEP_1) | instskip(NEXT) | instid1(VALU_DEP_1)
	v_fmac_f32_e32 v7, v11, v7
	v_mul_f32_e32 v11, v13, v7
	s_delay_alu instid0(VALU_DEP_1) | instskip(NEXT) | instid1(VALU_DEP_1)
	v_fma_f32 v15, -v1, v11, v13
	v_fmac_f32_e32 v11, v15, v7
	s_delay_alu instid0(VALU_DEP_1) | instskip(NEXT) | instid1(VALU_DEP_1)
	v_fma_f32 v1, -v1, v11, v13
	v_div_fmas_f32 v1, v1, v7, v11
	s_delay_alu instid0(VALU_DEP_1) | instskip(NEXT) | instid1(VALU_DEP_1)
	v_div_fixup_f32 v1, v1, v66, v67
	v_fmac_f32_e32 v66, v67, v1
	s_delay_alu instid0(VALU_DEP_1) | instskip(SKIP_1) | instid1(VALU_DEP_2)
	v_div_scale_f32 v7, null, v66, v66, 1.0
	v_div_scale_f32 v15, vcc_lo, 1.0, v66, 1.0
	v_rcp_f32_e32 v11, v7
	v_nop
	s_delay_alu instid0(TRANS32_DEP_1) | instskip(NEXT) | instid1(VALU_DEP_1)
	v_fma_f32 v13, -v7, v11, 1.0
	v_fmac_f32_e32 v11, v13, v11
	s_delay_alu instid0(VALU_DEP_1) | instskip(NEXT) | instid1(VALU_DEP_1)
	v_mul_f32_e32 v13, v15, v11
	v_fma_f32 v17, -v7, v13, v15
	s_delay_alu instid0(VALU_DEP_1) | instskip(NEXT) | instid1(VALU_DEP_1)
	v_fmac_f32_e32 v13, v17, v11
	v_fma_f32 v7, -v7, v13, v15
	s_delay_alu instid0(VALU_DEP_1) | instskip(NEXT) | instid1(VALU_DEP_1)
	v_div_fmas_f32 v7, v7, v11, v13
	v_div_fixup_f32 v68, v7, v66, 1.0
	s_delay_alu instid0(VALU_DEP_1)
	v_xor_b32_e32 v70, 0x80000000, v68
	v_mul_f32_e64 v69, v1, -v68
.LBB30_17:
	s_or_b32 exec_lo, exec_lo, s1
	scratch_store_b64 v5, v[68:69], off
	scratch_load_b64 v[66:67], off, off offset:8
	v_xor_b32_e32 v71, 0x80000000, v69
	v_add_nc_u32_e32 v1, 0x100, v64
	s_wait_loadcnt 0x0
	ds_store_2addr_b64 v64, v[70:71], v[66:67] offset1:32
	s_wait_storecnt_dscnt 0x0
	s_barrier_signal -1
	s_barrier_wait -1
	s_wait_xcnt 0x0
	s_and_saveexec_b32 s1, s0
	s_cbranch_execz .LBB30_19
; %bb.18:
	scratch_load_b64 v[66:67], v5, off
	ds_load_b64 v[68:69], v1
	s_wait_loadcnt_dscnt 0x0
	v_pk_mul_f32 v[72:73], v[68:69], v[66:67] op_sel:[1,1] op_sel_hi:[0,1]
	s_delay_alu instid0(VALU_DEP_1) | instskip(SKIP_2) | instid1(VALU_DEP_3)
	v_pk_fma_f32 v[74:75], v[68:69], v[66:67], v[72:73] op_sel_hi:[1,0,1]
	v_mov_b32_e32 v7, 0
	v_pk_fma_f32 v[66:67], v[68:69], v[66:67], v[72:73] neg_lo:[0,0,1] neg_hi:[0,0,1]
	v_mov_b32_e32 v67, v75
	ds_load_b64 v[70:71], v7 offset:8
	v_pk_add_f32 v[66:67], v[66:67], 0 op_sel_hi:[1,0]
	s_wait_dscnt 0x0
	s_delay_alu instid0(VALU_DEP_1) | instskip(NEXT) | instid1(VALU_DEP_1)
	v_pk_mul_f32 v[68:69], v[66:67], v[70:71] op_sel:[1,1] op_sel_hi:[0,1]
	v_pk_fma_f32 v[72:73], v[66:67], v[70:71], v[68:69] op_sel_hi:[1,0,1]
	v_pk_fma_f32 v[66:67], v[66:67], v[70:71], v[68:69] neg_lo:[0,0,1] neg_hi:[0,0,1]
	s_delay_alu instid0(VALU_DEP_2)
	v_mov_b32_e32 v67, v73
	scratch_store_b64 off, v[66:67], off offset:8
.LBB30_19:
	s_wait_xcnt 0x0
	s_or_b32 exec_lo, exec_lo, s1
	s_wait_storecnt 0x0
	s_barrier_signal -1
	s_barrier_wait -1
	scratch_load_b64 v[66:67], off, off offset:16
	s_mov_b32 s1, exec_lo
	s_wait_loadcnt 0x0
	ds_store_b64 v1, v[66:67]
	s_wait_dscnt 0x0
	s_barrier_signal -1
	s_barrier_wait -1
	v_cmpx_gt_u32_e32 2, v0
	s_cbranch_execz .LBB30_23
; %bb.20:
	scratch_load_b64 v[66:67], v5, off
	ds_load_b64 v[68:69], v1
	s_wait_loadcnt_dscnt 0x0
	v_pk_mul_f32 v[70:71], v[68:69], v[66:67] op_sel:[1,1] op_sel_hi:[0,1]
	s_delay_alu instid0(VALU_DEP_1) | instskip(SKIP_1) | instid1(VALU_DEP_2)
	v_pk_fma_f32 v[72:73], v[68:69], v[66:67], v[70:71] op_sel_hi:[1,0,1]
	v_pk_fma_f32 v[66:67], v[68:69], v[66:67], v[70:71] neg_lo:[0,0,1] neg_hi:[0,0,1]
	v_mov_b32_e32 v67, v73
	s_delay_alu instid0(VALU_DEP_1)
	v_pk_add_f32 v[66:67], v[66:67], 0 op_sel_hi:[1,0]
	s_and_saveexec_b32 s8, s0
	s_cbranch_execz .LBB30_22
; %bb.21:
	scratch_load_b64 v[68:69], off, off offset:8
	v_mov_b32_e32 v5, 0
	ds_load_b64 v[70:71], v5 offset:264
	s_wait_loadcnt_dscnt 0x0
	v_pk_mul_f32 v[72:73], v[70:71], v[68:69] op_sel:[1,1] op_sel_hi:[0,1]
	s_delay_alu instid0(VALU_DEP_1) | instskip(SKIP_1) | instid1(VALU_DEP_2)
	v_pk_fma_f32 v[74:75], v[70:71], v[68:69], v[72:73] op_sel_hi:[1,0,1]
	v_pk_fma_f32 v[68:69], v[70:71], v[68:69], v[72:73] neg_lo:[0,0,1] neg_hi:[0,0,1]
	v_mov_b32_e32 v69, v75
	s_delay_alu instid0(VALU_DEP_1)
	v_pk_add_f32 v[66:67], v[66:67], v[68:69]
.LBB30_22:
	s_or_b32 exec_lo, exec_lo, s8
	v_mov_b32_e32 v5, 0
	ds_load_b64 v[68:69], v5 offset:16
	s_wait_dscnt 0x0
	v_pk_mul_f32 v[70:71], v[66:67], v[68:69] op_sel:[1,1] op_sel_hi:[0,1]
	s_delay_alu instid0(VALU_DEP_1) | instskip(SKIP_1) | instid1(VALU_DEP_2)
	v_pk_fma_f32 v[72:73], v[66:67], v[68:69], v[70:71] op_sel_hi:[1,0,1]
	v_pk_fma_f32 v[66:67], v[66:67], v[68:69], v[70:71] neg_lo:[0,0,1] neg_hi:[0,0,1]
	v_mov_b32_e32 v67, v73
	scratch_store_b64 off, v[66:67], off offset:16
.LBB30_23:
	s_wait_xcnt 0x0
	s_or_b32 exec_lo, exec_lo, s1
	s_wait_storecnt 0x0
	s_barrier_signal -1
	s_barrier_wait -1
	scratch_load_b64 v[66:67], off, off offset:24
	v_add_nc_u32_e32 v5, -1, v0
	s_mov_b32 s0, exec_lo
	s_wait_loadcnt 0x0
	ds_store_b64 v1, v[66:67]
	s_wait_dscnt 0x0
	s_barrier_signal -1
	s_barrier_wait -1
	v_cmpx_gt_u32_e32 3, v0
	s_cbranch_execz .LBB30_27
; %bb.24:
	v_dual_mov_b32 v66, 0 :: v_dual_add_nc_u32 v7, -1, v0
	v_add_nc_u32_e32 v11, 0x100, v64
	v_mov_b32_e32 v13, v64
	s_mov_b32 s1, 0
	s_delay_alu instid0(VALU_DEP_3)
	v_mov_b32_e32 v67, v66
.LBB30_25:                              ; =>This Inner Loop Header: Depth=1
	scratch_load_b64 v[68:69], v13, off
	ds_load_b64 v[70:71], v11
	s_wait_xcnt 0x0
	v_dual_add_nc_u32 v11, 8, v11 :: v_dual_add_nc_u32 v13, 8, v13
	s_wait_loadcnt_dscnt 0x0
	v_pk_mul_f32 v[72:73], v[70:71], v[68:69] op_sel:[1,1] op_sel_hi:[0,1]
	s_delay_alu instid0(VALU_DEP_1) | instskip(SKIP_2) | instid1(VALU_DEP_3)
	v_pk_fma_f32 v[74:75], v[70:71], v[68:69], v[72:73] op_sel_hi:[1,0,1]
	v_add_nc_u32_e32 v7, 1, v7
	v_pk_fma_f32 v[68:69], v[70:71], v[68:69], v[72:73] neg_lo:[0,0,1] neg_hi:[0,0,1]
	v_mov_b32_e32 v69, v75
	s_delay_alu instid0(VALU_DEP_3) | instskip(NEXT) | instid1(VALU_DEP_2)
	v_cmp_lt_u32_e32 vcc_lo, 1, v7
	v_pk_add_f32 v[66:67], v[66:67], v[68:69]
	s_or_b32 s1, vcc_lo, s1
	s_delay_alu instid0(SALU_CYCLE_1)
	s_and_not1_b32 exec_lo, exec_lo, s1
	s_cbranch_execnz .LBB30_25
; %bb.26:
	s_or_b32 exec_lo, exec_lo, s1
	v_mov_b32_e32 v7, 0
	ds_load_b64 v[68:69], v7 offset:24
	s_wait_dscnt 0x0
	v_pk_mul_f32 v[70:71], v[66:67], v[68:69] op_sel:[1,1] op_sel_hi:[0,1]
	s_delay_alu instid0(VALU_DEP_1) | instskip(SKIP_1) | instid1(VALU_DEP_2)
	v_pk_fma_f32 v[72:73], v[66:67], v[68:69], v[70:71] op_sel_hi:[1,0,1]
	v_pk_fma_f32 v[66:67], v[66:67], v[68:69], v[70:71] neg_lo:[0,0,1] neg_hi:[0,0,1]
	v_mov_b32_e32 v67, v73
	scratch_store_b64 off, v[66:67], off offset:24
.LBB30_27:
	s_wait_xcnt 0x0
	s_or_b32 exec_lo, exec_lo, s0
	s_wait_storecnt 0x0
	s_barrier_signal -1
	s_barrier_wait -1
	scratch_load_b64 v[66:67], off, off offset:32
	s_mov_b32 s0, exec_lo
	s_wait_loadcnt 0x0
	ds_store_b64 v1, v[66:67]
	s_wait_dscnt 0x0
	s_barrier_signal -1
	s_barrier_wait -1
	v_cmpx_gt_u32_e32 4, v0
	s_cbranch_execz .LBB30_31
; %bb.28:
	v_dual_mov_b32 v66, 0 :: v_dual_add_nc_u32 v7, -1, v0
	v_add_nc_u32_e32 v11, 0x100, v64
	v_mov_b32_e32 v13, v64
	s_mov_b32 s1, 0
	s_delay_alu instid0(VALU_DEP_3)
	v_mov_b32_e32 v67, v66
.LBB30_29:                              ; =>This Inner Loop Header: Depth=1
	scratch_load_b64 v[68:69], v13, off
	ds_load_b64 v[70:71], v11
	s_wait_xcnt 0x0
	v_dual_add_nc_u32 v11, 8, v11 :: v_dual_add_nc_u32 v13, 8, v13
	s_wait_loadcnt_dscnt 0x0
	v_pk_mul_f32 v[72:73], v[70:71], v[68:69] op_sel:[1,1] op_sel_hi:[0,1]
	s_delay_alu instid0(VALU_DEP_1) | instskip(SKIP_2) | instid1(VALU_DEP_3)
	v_pk_fma_f32 v[74:75], v[70:71], v[68:69], v[72:73] op_sel_hi:[1,0,1]
	v_add_nc_u32_e32 v7, 1, v7
	v_pk_fma_f32 v[68:69], v[70:71], v[68:69], v[72:73] neg_lo:[0,0,1] neg_hi:[0,0,1]
	v_mov_b32_e32 v69, v75
	s_delay_alu instid0(VALU_DEP_3) | instskip(NEXT) | instid1(VALU_DEP_2)
	v_cmp_lt_u32_e32 vcc_lo, 2, v7
	v_pk_add_f32 v[66:67], v[66:67], v[68:69]
	s_or_b32 s1, vcc_lo, s1
	s_delay_alu instid0(SALU_CYCLE_1)
	s_and_not1_b32 exec_lo, exec_lo, s1
	s_cbranch_execnz .LBB30_29
; %bb.30:
	s_or_b32 exec_lo, exec_lo, s1
	v_mov_b32_e32 v7, 0
	ds_load_b64 v[68:69], v7 offset:32
	s_wait_dscnt 0x0
	v_pk_mul_f32 v[70:71], v[66:67], v[68:69] op_sel:[1,1] op_sel_hi:[0,1]
	s_delay_alu instid0(VALU_DEP_1) | instskip(SKIP_1) | instid1(VALU_DEP_2)
	v_pk_fma_f32 v[72:73], v[66:67], v[68:69], v[70:71] op_sel_hi:[1,0,1]
	v_pk_fma_f32 v[66:67], v[66:67], v[68:69], v[70:71] neg_lo:[0,0,1] neg_hi:[0,0,1]
	v_mov_b32_e32 v67, v73
	scratch_store_b64 off, v[66:67], off offset:32
.LBB30_31:
	s_wait_xcnt 0x0
	s_or_b32 exec_lo, exec_lo, s0
	s_wait_storecnt 0x0
	s_barrier_signal -1
	s_barrier_wait -1
	scratch_load_b64 v[66:67], off, off offset:40
	;; [unrolled: 52-line block ×19, first 2 shown]
	s_mov_b32 s0, exec_lo
	s_wait_loadcnt 0x0
	ds_store_b64 v1, v[66:67]
	s_wait_dscnt 0x0
	s_barrier_signal -1
	s_barrier_wait -1
	v_cmpx_gt_u32_e32 22, v0
	s_cbranch_execz .LBB30_103
; %bb.100:
	v_dual_mov_b32 v66, 0 :: v_dual_add_nc_u32 v7, -1, v0
	v_add_nc_u32_e32 v11, 0x100, v64
	v_mov_b32_e32 v13, v64
	s_mov_b32 s1, 0
	s_delay_alu instid0(VALU_DEP_3)
	v_mov_b32_e32 v67, v66
.LBB30_101:                             ; =>This Inner Loop Header: Depth=1
	scratch_load_b64 v[68:69], v13, off
	ds_load_b64 v[70:71], v11
	s_wait_xcnt 0x0
	v_dual_add_nc_u32 v11, 8, v11 :: v_dual_add_nc_u32 v13, 8, v13
	s_wait_loadcnt_dscnt 0x0
	v_pk_mul_f32 v[72:73], v[70:71], v[68:69] op_sel:[1,1] op_sel_hi:[0,1]
	s_delay_alu instid0(VALU_DEP_1) | instskip(SKIP_2) | instid1(VALU_DEP_3)
	v_pk_fma_f32 v[74:75], v[70:71], v[68:69], v[72:73] op_sel_hi:[1,0,1]
	v_add_nc_u32_e32 v7, 1, v7
	v_pk_fma_f32 v[68:69], v[70:71], v[68:69], v[72:73] neg_lo:[0,0,1] neg_hi:[0,0,1]
	v_mov_b32_e32 v69, v75
	s_delay_alu instid0(VALU_DEP_3) | instskip(NEXT) | instid1(VALU_DEP_2)
	v_cmp_lt_u32_e32 vcc_lo, 20, v7
	v_pk_add_f32 v[66:67], v[66:67], v[68:69]
	s_or_b32 s1, vcc_lo, s1
	s_delay_alu instid0(SALU_CYCLE_1)
	s_and_not1_b32 exec_lo, exec_lo, s1
	s_cbranch_execnz .LBB30_101
; %bb.102:
	s_or_b32 exec_lo, exec_lo, s1
	v_mov_b32_e32 v7, 0
	ds_load_b64 v[68:69], v7 offset:176
	s_wait_dscnt 0x0
	v_pk_mul_f32 v[70:71], v[66:67], v[68:69] op_sel:[1,1] op_sel_hi:[0,1]
	s_delay_alu instid0(VALU_DEP_1) | instskip(SKIP_1) | instid1(VALU_DEP_2)
	v_pk_fma_f32 v[72:73], v[66:67], v[68:69], v[70:71] op_sel_hi:[1,0,1]
	v_pk_fma_f32 v[66:67], v[66:67], v[68:69], v[70:71] neg_lo:[0,0,1] neg_hi:[0,0,1]
	v_mov_b32_e32 v67, v73
	scratch_store_b64 off, v[66:67], off offset:176
.LBB30_103:
	s_wait_xcnt 0x0
	s_or_b32 exec_lo, exec_lo, s0
	s_wait_storecnt 0x0
	s_barrier_signal -1
	s_barrier_wait -1
	scratch_load_b64 v[66:67], off, off offset:184
	s_mov_b32 s0, exec_lo
	s_wait_loadcnt 0x0
	ds_store_b64 v1, v[66:67]
	s_wait_dscnt 0x0
	s_barrier_signal -1
	s_barrier_wait -1
	v_cmpx_gt_u32_e32 23, v0
	s_cbranch_execz .LBB30_107
; %bb.104:
	v_dual_mov_b32 v66, 0 :: v_dual_add_nc_u32 v7, -1, v0
	v_add_nc_u32_e32 v11, 0x100, v64
	v_mov_b32_e32 v13, v64
	s_mov_b32 s1, 0
	s_delay_alu instid0(VALU_DEP_3)
	v_mov_b32_e32 v67, v66
.LBB30_105:                             ; =>This Inner Loop Header: Depth=1
	scratch_load_b64 v[68:69], v13, off
	ds_load_b64 v[70:71], v11
	s_wait_xcnt 0x0
	v_dual_add_nc_u32 v11, 8, v11 :: v_dual_add_nc_u32 v13, 8, v13
	s_wait_loadcnt_dscnt 0x0
	v_pk_mul_f32 v[72:73], v[70:71], v[68:69] op_sel:[1,1] op_sel_hi:[0,1]
	s_delay_alu instid0(VALU_DEP_1) | instskip(SKIP_2) | instid1(VALU_DEP_3)
	v_pk_fma_f32 v[74:75], v[70:71], v[68:69], v[72:73] op_sel_hi:[1,0,1]
	v_add_nc_u32_e32 v7, 1, v7
	v_pk_fma_f32 v[68:69], v[70:71], v[68:69], v[72:73] neg_lo:[0,0,1] neg_hi:[0,0,1]
	v_mov_b32_e32 v69, v75
	s_delay_alu instid0(VALU_DEP_3) | instskip(NEXT) | instid1(VALU_DEP_2)
	v_cmp_lt_u32_e32 vcc_lo, 21, v7
	v_pk_add_f32 v[66:67], v[66:67], v[68:69]
	s_or_b32 s1, vcc_lo, s1
	s_delay_alu instid0(SALU_CYCLE_1)
	s_and_not1_b32 exec_lo, exec_lo, s1
	s_cbranch_execnz .LBB30_105
; %bb.106:
	s_or_b32 exec_lo, exec_lo, s1
	v_mov_b32_e32 v7, 0
	ds_load_b64 v[68:69], v7 offset:184
	s_wait_dscnt 0x0
	v_pk_mul_f32 v[70:71], v[66:67], v[68:69] op_sel:[1,1] op_sel_hi:[0,1]
	s_delay_alu instid0(VALU_DEP_1) | instskip(SKIP_1) | instid1(VALU_DEP_2)
	v_pk_fma_f32 v[72:73], v[66:67], v[68:69], v[70:71] op_sel_hi:[1,0,1]
	v_pk_fma_f32 v[66:67], v[66:67], v[68:69], v[70:71] neg_lo:[0,0,1] neg_hi:[0,0,1]
	v_mov_b32_e32 v67, v73
	scratch_store_b64 off, v[66:67], off offset:184
.LBB30_107:
	s_wait_xcnt 0x0
	s_or_b32 exec_lo, exec_lo, s0
	s_wait_storecnt 0x0
	s_barrier_signal -1
	s_barrier_wait -1
	scratch_load_b64 v[66:67], off, off offset:192
	;; [unrolled: 52-line block ×8, first 2 shown]
	s_mov_b32 s0, exec_lo
	s_wait_loadcnt 0x0
	ds_store_b64 v1, v[66:67]
	s_wait_dscnt 0x0
	s_barrier_signal -1
	s_barrier_wait -1
	v_cmpx_ne_u32_e32 30, v0
	s_cbranch_execz .LBB30_135
; %bb.132:
	v_dual_mov_b32 v66, 0 :: v_dual_mov_b32 v7, v64
	s_mov_b32 s1, 0
	s_delay_alu instid0(VALU_DEP_1)
	v_mov_b32_e32 v67, v66
.LBB30_133:                             ; =>This Inner Loop Header: Depth=1
	scratch_load_b64 v[64:65], v7, off
	ds_load_b64 v[68:69], v1
	s_wait_xcnt 0x0
	v_dual_add_nc_u32 v1, 8, v1 :: v_dual_add_nc_u32 v7, 8, v7
	s_wait_loadcnt_dscnt 0x0
	v_pk_mul_f32 v[70:71], v[68:69], v[64:65] op_sel:[1,1] op_sel_hi:[0,1]
	s_delay_alu instid0(VALU_DEP_1) | instskip(SKIP_2) | instid1(VALU_DEP_3)
	v_pk_fma_f32 v[72:73], v[68:69], v[64:65], v[70:71] op_sel_hi:[1,0,1]
	v_add_nc_u32_e32 v5, 1, v5
	v_pk_fma_f32 v[64:65], v[68:69], v[64:65], v[70:71] neg_lo:[0,0,1] neg_hi:[0,0,1]
	v_mov_b32_e32 v65, v73
	s_delay_alu instid0(VALU_DEP_3) | instskip(NEXT) | instid1(VALU_DEP_2)
	v_cmp_lt_u32_e32 vcc_lo, 28, v5
	v_pk_add_f32 v[66:67], v[66:67], v[64:65]
	s_or_b32 s1, vcc_lo, s1
	s_delay_alu instid0(SALU_CYCLE_1)
	s_and_not1_b32 exec_lo, exec_lo, s1
	s_cbranch_execnz .LBB30_133
; %bb.134:
	s_or_b32 exec_lo, exec_lo, s1
	v_mov_b32_e32 v1, 0
	ds_load_b64 v[64:65], v1 offset:240
	s_wait_dscnt 0x0
	v_pk_mul_f32 v[68:69], v[66:67], v[64:65] op_sel:[1,1] op_sel_hi:[0,1]
	s_delay_alu instid0(VALU_DEP_1) | instskip(SKIP_1) | instid1(VALU_DEP_2)
	v_pk_fma_f32 v[70:71], v[66:67], v[64:65], v[68:69] op_sel_hi:[1,0,1]
	v_pk_fma_f32 v[64:65], v[66:67], v[64:65], v[68:69] neg_lo:[0,0,1] neg_hi:[0,0,1]
	v_mov_b32_e32 v65, v71
	scratch_store_b64 off, v[64:65], off offset:240
.LBB30_135:
	s_wait_xcnt 0x0
	s_or_b32 exec_lo, exec_lo, s0
	s_mov_b32 s1, -1
	s_wait_storecnt 0x0
	s_barrier_signal -1
	s_barrier_wait -1
.LBB30_136:
	s_and_b32 vcc_lo, exec_lo, s1
	s_cbranch_vccz .LBB30_138
; %bb.137:
	v_mov_b32_e32 v1, 0
	s_lshl_b64 s[0:1], s[16:17], 2
	s_delay_alu instid0(SALU_CYCLE_1)
	s_add_nc_u64 s[0:1], s[6:7], s[0:1]
	global_load_b32 v1, v1, s[0:1]
	s_wait_loadcnt 0x0
	v_cmp_ne_u32_e32 vcc_lo, 0, v1
	s_cbranch_vccz .LBB30_139
.LBB30_138:
	s_sendmsg sendmsg(MSG_DEALLOC_VGPRS)
	s_endpgm
.LBB30_139:
	s_wait_xcnt 0x0
	v_lshl_add_u32 v1, v0, 3, 0x100
	s_mov_b32 s0, exec_lo
	v_cmpx_eq_u32_e32 30, v0
	s_cbranch_execz .LBB30_141
; %bb.140:
	scratch_load_b64 v[64:65], off, off offset:232
	v_mov_b64_e32 v[66:67], 0
	scratch_store_b64 off, v[66:67], off offset:232
	s_wait_loadcnt 0x0
	ds_store_b64 v1, v[64:65]
.LBB30_141:
	s_wait_xcnt 0x0
	s_or_b32 exec_lo, exec_lo, s0
	s_wait_storecnt_dscnt 0x0
	s_barrier_signal -1
	s_barrier_wait -1
	s_clause 0x1
	scratch_load_b64 v[64:65], off, off offset:240
	scratch_load_b64 v[66:67], off, off offset:232
	v_mov_b32_e32 v5, 0
	s_mov_b32 s0, exec_lo
	ds_load_b64 v[68:69], v5 offset:496
	s_wait_loadcnt_dscnt 0x100
	v_pk_mul_f32 v[70:71], v[68:69], v[64:65] op_sel:[1,1] op_sel_hi:[0,1]
	s_delay_alu instid0(VALU_DEP_1) | instskip(SKIP_1) | instid1(VALU_DEP_2)
	v_pk_fma_f32 v[72:73], v[68:69], v[64:65], v[70:71] op_sel_hi:[1,0,1]
	v_pk_fma_f32 v[64:65], v[68:69], v[64:65], v[70:71] neg_lo:[0,0,1] neg_hi:[0,0,1]
	v_mov_b32_e32 v65, v73
	s_delay_alu instid0(VALU_DEP_1) | instskip(SKIP_1) | instid1(VALU_DEP_1)
	v_pk_add_f32 v[64:65], v[64:65], 0 op_sel_hi:[1,0]
	s_wait_loadcnt 0x0
	v_pk_add_f32 v[64:65], v[66:67], v[64:65] neg_lo:[0,1] neg_hi:[0,1]
	scratch_store_b64 off, v[64:65], off offset:232
	s_wait_xcnt 0x0
	v_cmpx_lt_u32_e32 28, v0
	s_cbranch_execz .LBB30_143
; %bb.142:
	scratch_load_b64 v[64:65], off, off offset:224
	v_mov_b64_e32 v[66:67], 0
	scratch_store_b64 off, v[66:67], off offset:224
	s_wait_loadcnt 0x0
	ds_store_b64 v1, v[64:65]
.LBB30_143:
	s_wait_xcnt 0x0
	s_or_b32 exec_lo, exec_lo, s0
	s_wait_storecnt_dscnt 0x0
	s_barrier_signal -1
	s_barrier_wait -1
	s_clause 0x1
	scratch_load_b128 v[64:67], off, off offset:232
	scratch_load_b64 v[72:73], off, off offset:224
	ds_load_2addr_b64 v[68:71], v5 offset0:61 offset1:62
	s_mov_b32 s0, exec_lo
	s_wait_dscnt 0x0
	v_dual_mov_b32 v74, v71 :: v_dual_mov_b32 v75, v70
	s_wait_loadcnt 0x1
	v_pk_mul_f32 v[76:77], v[68:69], v[64:65] op_sel:[1,1] op_sel_hi:[0,1]
	s_delay_alu instid0(VALU_DEP_1) | instskip(SKIP_2) | instid1(VALU_DEP_3)
	v_pk_fma_f32 v[80:81], v[68:69], v[64:65], v[76:77] op_sel_hi:[1,0,1]
	v_mov_b32_e32 v78, v67
	v_pk_fma_f32 v[64:65], v[68:69], v[64:65], v[76:77] neg_lo:[0,0,1] neg_hi:[0,0,1]
	v_mov_b32_e32 v65, v81
	s_delay_alu instid0(VALU_DEP_3) | instskip(NEXT) | instid1(VALU_DEP_2)
	v_pk_mul_f32 v[74:75], v[74:75], v[78:79] op_sel_hi:[1,0]
	v_pk_add_f32 v[64:65], v[64:65], 0 op_sel_hi:[1,0]
	s_delay_alu instid0(VALU_DEP_2) | instskip(SKIP_1) | instid1(VALU_DEP_2)
	v_pk_fma_f32 v[68:69], v[70:71], v[66:67], v[74:75] op_sel_hi:[1,0,1]
	v_pk_fma_f32 v[66:67], v[70:71], v[66:67], v[74:75] neg_lo:[0,0,1] neg_hi:[0,0,1]
	v_mov_b32_e32 v67, v69
	s_delay_alu instid0(VALU_DEP_1) | instskip(SKIP_1) | instid1(VALU_DEP_1)
	v_pk_add_f32 v[64:65], v[64:65], v[66:67]
	s_wait_loadcnt 0x0
	v_pk_add_f32 v[64:65], v[72:73], v[64:65] neg_lo:[0,1] neg_hi:[0,1]
	scratch_store_b64 off, v[64:65], off offset:224
	s_wait_xcnt 0x0
	v_cmpx_lt_u32_e32 27, v0
	s_cbranch_execz .LBB30_145
; %bb.144:
	scratch_load_b64 v[64:65], off, off offset:216
	v_mov_b64_e32 v[66:67], 0
	scratch_store_b64 off, v[66:67], off offset:216
	s_wait_loadcnt 0x0
	ds_store_b64 v1, v[64:65]
.LBB30_145:
	s_wait_xcnt 0x0
	s_or_b32 exec_lo, exec_lo, s0
	s_wait_storecnt_dscnt 0x0
	s_barrier_signal -1
	s_barrier_wait -1
	s_clause 0x2
	scratch_load_b128 v[64:67], off, off offset:224
	scratch_load_b64 v[72:73], off, off offset:240
	scratch_load_b64 v[74:75], off, off offset:216
	v_mov_b32_e32 v5, 0
	ds_load_b128 v[68:71], v5 offset:480
	ds_load_b64 v[76:77], v5 offset:496
	s_mov_b32 s0, exec_lo
	s_wait_dscnt 0x1
	v_dual_mov_b32 v78, v71 :: v_dual_mov_b32 v79, v70
	s_wait_loadcnt 0x2
	v_mov_b32_e32 v82, v67
	v_pk_mul_f32 v[80:81], v[68:69], v[64:65] op_sel:[1,1] op_sel_hi:[0,1]
	s_delay_alu instid0(VALU_DEP_2) | instskip(NEXT) | instid1(VALU_DEP_2)
	v_pk_mul_f32 v[78:79], v[78:79], v[82:83] op_sel_hi:[1,0]
	v_pk_fma_f32 v[84:85], v[68:69], v[64:65], v[80:81] op_sel_hi:[1,0,1]
	v_pk_fma_f32 v[64:65], v[68:69], v[64:65], v[80:81] neg_lo:[0,0,1] neg_hi:[0,0,1]
	s_wait_loadcnt_dscnt 0x100
	v_pk_mul_f32 v[80:81], v[76:77], v[72:73] op_sel:[1,1] op_sel_hi:[0,1]
	v_pk_fma_f32 v[68:69], v[70:71], v[66:67], v[78:79] op_sel_hi:[1,0,1]
	v_mov_b32_e32 v65, v85
	v_pk_fma_f32 v[66:67], v[70:71], v[66:67], v[78:79] neg_lo:[0,0,1] neg_hi:[0,0,1]
	s_delay_alu instid0(VALU_DEP_4) | instskip(NEXT) | instid1(VALU_DEP_4)
	v_pk_fma_f32 v[70:71], v[76:77], v[72:73], v[80:81] neg_lo:[0,0,1] neg_hi:[0,0,1]
	v_mov_b32_e32 v67, v69
	s_delay_alu instid0(VALU_DEP_4) | instskip(SKIP_1) | instid1(VALU_DEP_2)
	v_pk_add_f32 v[64:65], v[64:65], 0 op_sel_hi:[1,0]
	v_pk_fma_f32 v[68:69], v[76:77], v[72:73], v[80:81] op_sel_hi:[1,0,1]
	v_pk_add_f32 v[64:65], v[64:65], v[66:67]
	s_delay_alu instid0(VALU_DEP_2) | instskip(NEXT) | instid1(VALU_DEP_1)
	v_mov_b32_e32 v71, v69
	v_pk_add_f32 v[64:65], v[64:65], v[70:71]
	s_wait_loadcnt 0x0
	s_delay_alu instid0(VALU_DEP_1)
	v_pk_add_f32 v[64:65], v[74:75], v[64:65] neg_lo:[0,1] neg_hi:[0,1]
	scratch_store_b64 off, v[64:65], off offset:216
	s_wait_xcnt 0x0
	v_cmpx_lt_u32_e32 26, v0
	s_cbranch_execz .LBB30_147
; %bb.146:
	scratch_load_b64 v[64:65], off, off offset:208
	v_mov_b64_e32 v[66:67], 0
	scratch_store_b64 off, v[66:67], off offset:208
	s_wait_loadcnt 0x0
	ds_store_b64 v1, v[64:65]
.LBB30_147:
	s_wait_xcnt 0x0
	s_or_b32 exec_lo, exec_lo, s0
	s_wait_storecnt_dscnt 0x0
	s_barrier_signal -1
	s_barrier_wait -1
	s_clause 0x2
	scratch_load_b128 v[64:67], off, off offset:216
	scratch_load_b128 v[68:71], off, off offset:232
	scratch_load_b64 v[80:81], off, off offset:208
	ds_load_2addr_b64 v[72:75], v5 offset0:59 offset1:60
	ds_load_2addr_b64 v[76:79], v5 offset0:61 offset1:62
	s_mov_b32 s0, exec_lo
	s_wait_dscnt 0x1
	v_dual_mov_b32 v82, v75 :: v_dual_mov_b32 v83, v74
	s_wait_loadcnt_dscnt 0x200
	v_dual_mov_b32 v88, v79 :: v_dual_mov_b32 v86, v67
	v_pk_mul_f32 v[84:85], v[72:73], v[64:65] op_sel:[1,1] op_sel_hi:[0,1]
	s_delay_alu instid0(VALU_DEP_2) | instskip(NEXT) | instid1(VALU_DEP_2)
	v_pk_mul_f32 v[82:83], v[82:83], v[86:87] op_sel_hi:[1,0]
	v_pk_fma_f32 v[90:91], v[72:73], v[64:65], v[84:85] op_sel_hi:[1,0,1]
	v_pk_fma_f32 v[64:65], v[72:73], v[64:65], v[84:85] neg_lo:[0,0,1] neg_hi:[0,0,1]
	v_mov_b32_e32 v89, v78
	s_wait_loadcnt 0x1
	v_pk_mul_f32 v[86:87], v[76:77], v[68:69] op_sel:[1,1] op_sel_hi:[0,1]
	v_pk_fma_f32 v[72:73], v[74:75], v[66:67], v[82:83] op_sel_hi:[1,0,1]
	v_dual_mov_b32 v65, v91 :: v_dual_mov_b32 v72, v71
	v_pk_fma_f32 v[66:67], v[74:75], v[66:67], v[82:83] neg_lo:[0,0,1] neg_hi:[0,0,1]
	s_delay_alu instid0(VALU_DEP_4) | instskip(NEXT) | instid1(VALU_DEP_4)
	v_pk_fma_f32 v[84:85], v[76:77], v[68:69], v[86:87] op_sel_hi:[1,0,1]
	v_mov_b32_e32 v67, v73
	s_delay_alu instid0(VALU_DEP_4) | instskip(SKIP_2) | instid1(VALU_DEP_3)
	v_pk_add_f32 v[64:65], v[64:65], 0 op_sel_hi:[1,0]
	v_pk_mul_f32 v[72:73], v[88:89], v[72:73] op_sel_hi:[1,0]
	v_pk_fma_f32 v[68:69], v[76:77], v[68:69], v[86:87] neg_lo:[0,0,1] neg_hi:[0,0,1]
	v_pk_add_f32 v[64:65], v[64:65], v[66:67]
	s_delay_alu instid0(VALU_DEP_3) | instskip(SKIP_2) | instid1(VALU_DEP_3)
	v_pk_fma_f32 v[66:67], v[78:79], v[70:71], v[72:73] op_sel_hi:[1,0,1]
	v_mov_b32_e32 v69, v85
	v_pk_fma_f32 v[70:71], v[78:79], v[70:71], v[72:73] neg_lo:[0,0,1] neg_hi:[0,0,1]
	v_mov_b32_e32 v71, v67
	s_delay_alu instid0(VALU_DEP_3) | instskip(NEXT) | instid1(VALU_DEP_1)
	v_pk_add_f32 v[64:65], v[64:65], v[68:69]
	v_pk_add_f32 v[64:65], v[64:65], v[70:71]
	s_wait_loadcnt 0x0
	s_delay_alu instid0(VALU_DEP_1)
	v_pk_add_f32 v[64:65], v[80:81], v[64:65] neg_lo:[0,1] neg_hi:[0,1]
	scratch_store_b64 off, v[64:65], off offset:208
	s_wait_xcnt 0x0
	v_cmpx_lt_u32_e32 25, v0
	s_cbranch_execz .LBB30_149
; %bb.148:
	scratch_load_b64 v[64:65], off, off offset:200
	v_mov_b64_e32 v[66:67], 0
	scratch_store_b64 off, v[66:67], off offset:200
	s_wait_loadcnt 0x0
	ds_store_b64 v1, v[64:65]
.LBB30_149:
	s_wait_xcnt 0x0
	s_or_b32 exec_lo, exec_lo, s0
	s_wait_storecnt_dscnt 0x0
	s_barrier_signal -1
	s_barrier_wait -1
	s_clause 0x3
	scratch_load_b128 v[64:67], off, off offset:208
	scratch_load_b128 v[68:71], off, off offset:224
	scratch_load_b64 v[80:81], off, off offset:240
	scratch_load_b64 v[82:83], off, off offset:200
	v_mov_b32_e32 v5, 0
	ds_load_b128 v[72:75], v5 offset:464
	ds_load_b128 v[76:79], v5 offset:480
	s_mov_b32 s0, exec_lo
	s_wait_dscnt 0x1
	v_dual_mov_b32 v84, v75 :: v_dual_mov_b32 v85, v74
	ds_load_b64 v[90:91], v5 offset:496
	s_wait_dscnt 0x1
	v_dual_mov_b32 v92, v79 :: v_dual_mov_b32 v93, v78
	s_wait_loadcnt 0x3
	v_pk_mul_f32 v[86:87], v[72:73], v[64:65] op_sel:[1,1] op_sel_hi:[0,1]
	v_mov_b32_e32 v88, v67
	s_delay_alu instid0(VALU_DEP_2) | instskip(NEXT) | instid1(VALU_DEP_2)
	v_pk_fma_f32 v[94:95], v[72:73], v[64:65], v[86:87] op_sel_hi:[1,0,1]
	v_pk_mul_f32 v[84:85], v[84:85], v[88:89] op_sel_hi:[1,0]
	v_pk_fma_f32 v[64:65], v[72:73], v[64:65], v[86:87] neg_lo:[0,0,1] neg_hi:[0,0,1]
	s_wait_loadcnt 0x2
	v_pk_mul_f32 v[88:89], v[76:77], v[68:69] op_sel:[1,1] op_sel_hi:[0,1]
	v_dual_mov_b32 v94, v71 :: v_dual_mov_b32 v65, v95
	v_pk_fma_f32 v[72:73], v[74:75], v[66:67], v[84:85] op_sel_hi:[1,0,1]
	v_pk_fma_f32 v[66:67], v[74:75], v[66:67], v[84:85] neg_lo:[0,0,1] neg_hi:[0,0,1]
	s_delay_alu instid0(VALU_DEP_4) | instskip(NEXT) | instid1(VALU_DEP_4)
	v_pk_fma_f32 v[86:87], v[76:77], v[68:69], v[88:89] op_sel_hi:[1,0,1]
	v_pk_mul_f32 v[92:93], v[92:93], v[94:95] op_sel_hi:[1,0]
	v_pk_add_f32 v[64:65], v[64:65], 0 op_sel_hi:[1,0]
	v_mov_b32_e32 v67, v73
	v_pk_fma_f32 v[68:69], v[76:77], v[68:69], v[88:89] neg_lo:[0,0,1] neg_hi:[0,0,1]
	v_mov_b32_e32 v69, v87
	v_pk_fma_f32 v[72:73], v[78:79], v[70:71], v[92:93] op_sel_hi:[1,0,1]
	v_pk_fma_f32 v[70:71], v[78:79], v[70:71], v[92:93] neg_lo:[0,0,1] neg_hi:[0,0,1]
	v_pk_add_f32 v[64:65], v[64:65], v[66:67]
	s_wait_loadcnt_dscnt 0x100
	v_pk_mul_f32 v[66:67], v[90:91], v[80:81] op_sel:[1,1] op_sel_hi:[0,1]
	s_delay_alu instid0(VALU_DEP_2) | instskip(NEXT) | instid1(VALU_DEP_2)
	v_pk_add_f32 v[64:65], v[64:65], v[68:69]
	v_pk_fma_f32 v[68:69], v[90:91], v[80:81], v[66:67] op_sel_hi:[1,0,1]
	v_mov_b32_e32 v71, v73
	v_pk_fma_f32 v[66:67], v[90:91], v[80:81], v[66:67] neg_lo:[0,0,1] neg_hi:[0,0,1]
	s_delay_alu instid0(VALU_DEP_3) | instskip(NEXT) | instid1(VALU_DEP_3)
	v_mov_b32_e32 v67, v69
	v_pk_add_f32 v[64:65], v[64:65], v[70:71]
	s_delay_alu instid0(VALU_DEP_1) | instskip(SKIP_1) | instid1(VALU_DEP_1)
	v_pk_add_f32 v[64:65], v[64:65], v[66:67]
	s_wait_loadcnt 0x0
	v_pk_add_f32 v[64:65], v[82:83], v[64:65] neg_lo:[0,1] neg_hi:[0,1]
	scratch_store_b64 off, v[64:65], off offset:200
	s_wait_xcnt 0x0
	v_cmpx_lt_u32_e32 24, v0
	s_cbranch_execz .LBB30_151
; %bb.150:
	scratch_load_b64 v[64:65], off, off offset:192
	v_mov_b64_e32 v[66:67], 0
	scratch_store_b64 off, v[66:67], off offset:192
	s_wait_loadcnt 0x0
	ds_store_b64 v1, v[64:65]
.LBB30_151:
	s_wait_xcnt 0x0
	s_or_b32 exec_lo, exec_lo, s0
	s_wait_storecnt_dscnt 0x0
	s_barrier_signal -1
	s_barrier_wait -1
	s_clause 0x3
	scratch_load_b128 v[64:67], off, off offset:200
	scratch_load_b128 v[68:71], off, off offset:216
	;; [unrolled: 1-line block ×3, first 2 shown]
	scratch_load_b64 v[88:89], off, off offset:192
	ds_load_2addr_b64 v[76:79], v5 offset0:57 offset1:58
	ds_load_2addr_b64 v[80:83], v5 offset0:59 offset1:60
	;; [unrolled: 1-line block ×3, first 2 shown]
	s_mov_b32 s0, exec_lo
	s_wait_dscnt 0x2
	v_dual_mov_b32 v90, v79 :: v_dual_mov_b32 v91, v78
	s_wait_dscnt 0x1
	v_dual_mov_b32 v92, v83 :: v_dual_mov_b32 v93, v82
	;; [unrolled: 2-line block ×3, first 2 shown]
	s_wait_loadcnt 0x3
	v_pk_mul_f32 v[94:95], v[76:77], v[64:65] op_sel:[1,1] op_sel_hi:[0,1]
	v_mov_b32_e32 v96, v67
	s_delay_alu instid0(VALU_DEP_2) | instskip(NEXT) | instid1(VALU_DEP_2)
	v_pk_fma_f32 v[100:101], v[76:77], v[64:65], v[94:95] op_sel_hi:[1,0,1]
	v_pk_mul_f32 v[90:91], v[90:91], v[96:97] op_sel_hi:[1,0]
	v_pk_fma_f32 v[64:65], v[76:77], v[64:65], v[94:95] neg_lo:[0,0,1] neg_hi:[0,0,1]
	s_wait_loadcnt 0x2
	v_pk_mul_f32 v[96:97], v[80:81], v[68:69] op_sel:[1,1] op_sel_hi:[0,1]
	v_mov_b32_e32 v100, v71
	v_pk_fma_f32 v[76:77], v[78:79], v[66:67], v[90:91] op_sel_hi:[1,0,1]
	v_mov_b32_e32 v65, v101
	v_pk_fma_f32 v[66:67], v[78:79], v[66:67], v[90:91] neg_lo:[0,0,1] neg_hi:[0,0,1]
	v_pk_fma_f32 v[94:95], v[80:81], v[68:69], v[96:97] op_sel_hi:[1,0,1]
	v_pk_mul_f32 v[92:93], v[92:93], v[100:101] op_sel_hi:[1,0]
	v_mov_b32_e32 v67, v77
	v_pk_add_f32 v[64:65], v[64:65], 0 op_sel_hi:[1,0]
	v_pk_fma_f32 v[68:69], v[80:81], v[68:69], v[96:97] neg_lo:[0,0,1] neg_hi:[0,0,1]
	s_wait_loadcnt 0x1
	v_pk_mul_f32 v[76:77], v[84:85], v[72:73] op_sel:[1,1] op_sel_hi:[0,1]
	v_mov_b32_e32 v69, v95
	v_pk_fma_f32 v[78:79], v[82:83], v[70:71], v[92:93] op_sel_hi:[1,0,1]
	v_pk_add_f32 v[64:65], v[64:65], v[66:67]
	v_mov_b32_e32 v66, v75
	v_pk_fma_f32 v[70:71], v[82:83], v[70:71], v[92:93] neg_lo:[0,0,1] neg_hi:[0,0,1]
	v_pk_fma_f32 v[80:81], v[84:85], v[72:73], v[76:77] op_sel_hi:[1,0,1]
	v_mov_b32_e32 v71, v79
	v_pk_add_f32 v[64:65], v[64:65], v[68:69]
	v_pk_mul_f32 v[66:67], v[98:99], v[66:67] op_sel_hi:[1,0]
	v_pk_fma_f32 v[68:69], v[84:85], v[72:73], v[76:77] neg_lo:[0,0,1] neg_hi:[0,0,1]
	v_mov_b32_e32 v69, v81
	s_delay_alu instid0(VALU_DEP_4) | instskip(NEXT) | instid1(VALU_DEP_4)
	v_pk_add_f32 v[64:65], v[64:65], v[70:71]
	v_pk_fma_f32 v[70:71], v[86:87], v[74:75], v[66:67] op_sel_hi:[1,0,1]
	v_pk_fma_f32 v[66:67], v[86:87], v[74:75], v[66:67] neg_lo:[0,0,1] neg_hi:[0,0,1]
	s_delay_alu instid0(VALU_DEP_3) | instskip(NEXT) | instid1(VALU_DEP_3)
	v_pk_add_f32 v[64:65], v[64:65], v[68:69]
	v_mov_b32_e32 v67, v71
	s_delay_alu instid0(VALU_DEP_1) | instskip(SKIP_1) | instid1(VALU_DEP_1)
	v_pk_add_f32 v[64:65], v[64:65], v[66:67]
	s_wait_loadcnt 0x0
	v_pk_add_f32 v[64:65], v[88:89], v[64:65] neg_lo:[0,1] neg_hi:[0,1]
	scratch_store_b64 off, v[64:65], off offset:192
	s_wait_xcnt 0x0
	v_cmpx_lt_u32_e32 23, v0
	s_cbranch_execz .LBB30_153
; %bb.152:
	scratch_load_b64 v[64:65], off, off offset:184
	v_mov_b64_e32 v[66:67], 0
	scratch_store_b64 off, v[66:67], off offset:184
	s_wait_loadcnt 0x0
	ds_store_b64 v1, v[64:65]
.LBB30_153:
	s_wait_xcnt 0x0
	s_or_b32 exec_lo, exec_lo, s0
	s_wait_storecnt_dscnt 0x0
	s_barrier_signal -1
	s_barrier_wait -1
	s_clause 0x4
	scratch_load_b128 v[64:67], off, off offset:192
	scratch_load_b128 v[68:71], off, off offset:208
	;; [unrolled: 1-line block ×3, first 2 shown]
	scratch_load_b64 v[88:89], off, off offset:240
	scratch_load_b64 v[90:91], off, off offset:184
	v_mov_b32_e32 v5, 0
	ds_load_b128 v[76:79], v5 offset:448
	ds_load_b128 v[80:83], v5 offset:464
	;; [unrolled: 1-line block ×3, first 2 shown]
	ds_load_b64 v[92:93], v5 offset:496
	s_mov_b32 s0, exec_lo
	s_wait_dscnt 0x3
	v_dual_mov_b32 v94, v79 :: v_dual_mov_b32 v95, v78
	s_wait_dscnt 0x2
	v_dual_mov_b32 v96, v83 :: v_dual_mov_b32 v97, v82
	;; [unrolled: 2-line block ×3, first 2 shown]
	s_wait_loadcnt 0x4
	v_pk_mul_f32 v[98:99], v[76:77], v[64:65] op_sel:[1,1] op_sel_hi:[0,1]
	v_mov_b32_e32 v100, v67
	s_wait_loadcnt 0x3
	v_pk_mul_f32 v[104:105], v[80:81], v[68:69] op_sel:[1,1] op_sel_hi:[0,1]
	s_wait_loadcnt 0x2
	v_pk_mul_f32 v[108:109], v[84:85], v[72:73] op_sel:[1,1] op_sel_hi:[0,1]
	v_pk_fma_f32 v[106:107], v[76:77], v[64:65], v[98:99] op_sel_hi:[1,0,1]
	v_pk_mul_f32 v[94:95], v[94:95], v[100:101] op_sel_hi:[1,0]
	v_pk_fma_f32 v[64:65], v[76:77], v[64:65], v[98:99] neg_lo:[0,0,1] neg_hi:[0,0,1]
	v_mov_b32_e32 v100, v71
	v_pk_fma_f32 v[98:99], v[80:81], v[68:69], v[104:105] op_sel_hi:[1,0,1]
	v_mov_b32_e32 v65, v107
	v_pk_fma_f32 v[76:77], v[78:79], v[66:67], v[94:95] op_sel_hi:[1,0,1]
	v_pk_fma_f32 v[66:67], v[78:79], v[66:67], v[94:95] neg_lo:[0,0,1] neg_hi:[0,0,1]
	v_pk_mul_f32 v[96:97], v[96:97], v[100:101] op_sel_hi:[1,0]
	v_pk_fma_f32 v[68:69], v[80:81], v[68:69], v[104:105] neg_lo:[0,0,1] neg_hi:[0,0,1]
	v_pk_add_f32 v[64:65], v[64:65], 0 op_sel_hi:[1,0]
	v_dual_mov_b32 v67, v77 :: v_dual_mov_b32 v76, v75
	s_delay_alu instid0(VALU_DEP_4) | instskip(SKIP_2) | instid1(VALU_DEP_4)
	v_pk_fma_f32 v[78:79], v[82:83], v[70:71], v[96:97] op_sel_hi:[1,0,1]
	v_mov_b32_e32 v69, v99
	v_pk_fma_f32 v[70:71], v[82:83], v[70:71], v[96:97] neg_lo:[0,0,1] neg_hi:[0,0,1]
	v_pk_add_f32 v[64:65], v[64:65], v[66:67]
	v_pk_fma_f32 v[66:67], v[84:85], v[72:73], v[108:109] op_sel_hi:[1,0,1]
	v_pk_mul_f32 v[76:77], v[102:103], v[76:77] op_sel_hi:[1,0]
	v_mov_b32_e32 v71, v79
	s_delay_alu instid0(VALU_DEP_4)
	v_pk_add_f32 v[64:65], v[64:65], v[68:69]
	v_pk_fma_f32 v[68:69], v[84:85], v[72:73], v[108:109] neg_lo:[0,0,1] neg_hi:[0,0,1]
	v_mov_b32_e32 v69, v67
	v_pk_fma_f32 v[66:67], v[86:87], v[74:75], v[76:77] op_sel_hi:[1,0,1]
	v_pk_fma_f32 v[72:73], v[86:87], v[74:75], v[76:77] neg_lo:[0,0,1] neg_hi:[0,0,1]
	v_pk_add_f32 v[64:65], v[64:65], v[70:71]
	s_wait_loadcnt_dscnt 0x100
	v_pk_mul_f32 v[70:71], v[92:93], v[88:89] op_sel:[1,1] op_sel_hi:[0,1]
	v_mov_b32_e32 v73, v67
	s_delay_alu instid0(VALU_DEP_3) | instskip(NEXT) | instid1(VALU_DEP_3)
	v_pk_add_f32 v[64:65], v[64:65], v[68:69]
	v_pk_fma_f32 v[66:67], v[92:93], v[88:89], v[70:71] op_sel_hi:[1,0,1]
	v_pk_fma_f32 v[68:69], v[92:93], v[88:89], v[70:71] neg_lo:[0,0,1] neg_hi:[0,0,1]
	s_delay_alu instid0(VALU_DEP_3) | instskip(NEXT) | instid1(VALU_DEP_3)
	v_pk_add_f32 v[64:65], v[64:65], v[72:73]
	v_mov_b32_e32 v69, v67
	s_delay_alu instid0(VALU_DEP_1) | instskip(SKIP_1) | instid1(VALU_DEP_1)
	v_pk_add_f32 v[64:65], v[64:65], v[68:69]
	s_wait_loadcnt 0x0
	v_pk_add_f32 v[64:65], v[90:91], v[64:65] neg_lo:[0,1] neg_hi:[0,1]
	scratch_store_b64 off, v[64:65], off offset:184
	s_wait_xcnt 0x0
	v_cmpx_lt_u32_e32 22, v0
	s_cbranch_execz .LBB30_155
; %bb.154:
	scratch_load_b64 v[64:65], off, off offset:176
	v_mov_b64_e32 v[66:67], 0
	scratch_store_b64 off, v[66:67], off offset:176
	s_wait_loadcnt 0x0
	ds_store_b64 v1, v[64:65]
.LBB30_155:
	s_wait_xcnt 0x0
	s_or_b32 exec_lo, exec_lo, s0
	s_wait_storecnt_dscnt 0x0
	s_barrier_signal -1
	s_barrier_wait -1
	s_clause 0x4
	scratch_load_b128 v[64:67], off, off offset:184
	scratch_load_b128 v[68:71], off, off offset:200
	;; [unrolled: 1-line block ×4, first 2 shown]
	scratch_load_b64 v[96:97], off, off offset:176
	ds_load_2addr_b64 v[80:83], v5 offset0:55 offset1:56
	ds_load_2addr_b64 v[84:87], v5 offset0:57 offset1:58
	;; [unrolled: 1-line block ×4, first 2 shown]
	s_mov_b32 s0, exec_lo
	s_wait_dscnt 0x3
	v_dual_mov_b32 v98, v83 :: v_dual_mov_b32 v99, v82
	s_wait_dscnt 0x2
	v_dual_mov_b32 v100, v87 :: v_dual_mov_b32 v101, v86
	;; [unrolled: 2-line block ×3, first 2 shown]
	v_dual_mov_b32 v103, v90 :: v_dual_mov_b32 v108, v95
	s_wait_loadcnt 0x4
	v_mov_b32_e32 v106, v67
	v_pk_mul_f32 v[104:105], v[80:81], v[64:65] op_sel:[1,1] op_sel_hi:[0,1]
	s_wait_loadcnt 0x3
	v_pk_mul_f32 v[110:111], v[84:85], v[68:69] op_sel:[1,1] op_sel_hi:[0,1]
	s_wait_loadcnt 0x2
	v_pk_mul_f32 v[114:115], v[88:89], v[72:73] op_sel:[1,1] op_sel_hi:[0,1]
	v_pk_mul_f32 v[98:99], v[98:99], v[106:107] op_sel_hi:[1,0]
	v_pk_fma_f32 v[112:113], v[80:81], v[64:65], v[104:105] op_sel_hi:[1,0,1]
	v_pk_fma_f32 v[64:65], v[80:81], v[64:65], v[104:105] neg_lo:[0,0,1] neg_hi:[0,0,1]
	v_mov_b32_e32 v106, v71
	v_pk_fma_f32 v[104:105], v[84:85], v[68:69], v[110:111] op_sel_hi:[1,0,1]
	v_pk_fma_f32 v[80:81], v[82:83], v[66:67], v[98:99] op_sel_hi:[1,0,1]
	v_mov_b32_e32 v65, v113
	v_pk_fma_f32 v[66:67], v[82:83], v[66:67], v[98:99] neg_lo:[0,0,1] neg_hi:[0,0,1]
	v_pk_mul_f32 v[100:101], v[100:101], v[106:107] op_sel_hi:[1,0]
	s_delay_alu instid0(VALU_DEP_4) | instskip(NEXT) | instid1(VALU_DEP_4)
	v_dual_mov_b32 v80, v75 :: v_dual_mov_b32 v67, v81
	v_pk_add_f32 v[64:65], v[64:65], 0 op_sel_hi:[1,0]
	v_pk_fma_f32 v[68:69], v[84:85], v[68:69], v[110:111] neg_lo:[0,0,1] neg_hi:[0,0,1]
	v_mov_b32_e32 v69, v105
	v_pk_fma_f32 v[82:83], v[86:87], v[70:71], v[100:101] op_sel_hi:[1,0,1]
	v_pk_mul_f32 v[80:81], v[102:103], v[80:81] op_sel_hi:[1,0]
	v_pk_add_f32 v[64:65], v[64:65], v[66:67]
	v_pk_fma_f32 v[66:67], v[88:89], v[72:73], v[114:115] op_sel_hi:[1,0,1]
	v_pk_fma_f32 v[70:71], v[86:87], v[70:71], v[100:101] neg_lo:[0,0,1] neg_hi:[0,0,1]
	v_mov_b32_e32 v71, v83
	v_pk_fma_f32 v[72:73], v[88:89], v[72:73], v[114:115] neg_lo:[0,0,1] neg_hi:[0,0,1]
	v_pk_add_f32 v[64:65], v[64:65], v[68:69]
	v_mov_b32_e32 v73, v67
	v_pk_fma_f32 v[66:67], v[90:91], v[74:75], v[80:81] op_sel_hi:[1,0,1]
	s_wait_loadcnt 0x1
	v_pk_mul_f32 v[68:69], v[92:93], v[76:77] op_sel:[1,1] op_sel_hi:[0,1]
	v_mov_b32_e32 v66, v79
	v_pk_add_f32 v[64:65], v[64:65], v[70:71]
	v_pk_fma_f32 v[74:75], v[90:91], v[74:75], v[80:81] neg_lo:[0,0,1] neg_hi:[0,0,1]
	v_mov_b32_e32 v75, v67
	v_pk_fma_f32 v[70:71], v[92:93], v[76:77], v[68:69] op_sel_hi:[1,0,1]
	v_pk_mul_f32 v[66:67], v[108:109], v[66:67] op_sel_hi:[1,0]
	v_pk_add_f32 v[64:65], v[64:65], v[72:73]
	v_pk_fma_f32 v[68:69], v[92:93], v[76:77], v[68:69] neg_lo:[0,0,1] neg_hi:[0,0,1]
	s_delay_alu instid0(VALU_DEP_4) | instskip(NEXT) | instid1(VALU_DEP_4)
	v_mov_b32_e32 v69, v71
	v_pk_fma_f32 v[70:71], v[94:95], v[78:79], v[66:67] op_sel_hi:[1,0,1]
	s_delay_alu instid0(VALU_DEP_4) | instskip(SKIP_1) | instid1(VALU_DEP_3)
	v_pk_add_f32 v[64:65], v[64:65], v[74:75]
	v_pk_fma_f32 v[66:67], v[94:95], v[78:79], v[66:67] neg_lo:[0,0,1] neg_hi:[0,0,1]
	v_mov_b32_e32 v67, v71
	s_delay_alu instid0(VALU_DEP_3) | instskip(NEXT) | instid1(VALU_DEP_1)
	v_pk_add_f32 v[64:65], v[64:65], v[68:69]
	v_pk_add_f32 v[64:65], v[64:65], v[66:67]
	s_wait_loadcnt 0x0
	s_delay_alu instid0(VALU_DEP_1)
	v_pk_add_f32 v[64:65], v[96:97], v[64:65] neg_lo:[0,1] neg_hi:[0,1]
	scratch_store_b64 off, v[64:65], off offset:176
	s_wait_xcnt 0x0
	v_cmpx_lt_u32_e32 21, v0
	s_cbranch_execz .LBB30_157
; %bb.156:
	scratch_load_b64 v[64:65], off, off offset:168
	v_mov_b64_e32 v[66:67], 0
	scratch_store_b64 off, v[66:67], off offset:168
	s_wait_loadcnt 0x0
	ds_store_b64 v1, v[64:65]
.LBB30_157:
	s_wait_xcnt 0x0
	s_or_b32 exec_lo, exec_lo, s0
	s_wait_storecnt_dscnt 0x0
	s_barrier_signal -1
	s_barrier_wait -1
	s_clause 0x5
	scratch_load_b128 v[64:67], off, off offset:176
	scratch_load_b128 v[68:71], off, off offset:192
	;; [unrolled: 1-line block ×4, first 2 shown]
	scratch_load_b64 v[96:97], off, off offset:240
	scratch_load_b64 v[98:99], off, off offset:168
	v_mov_b32_e32 v5, 0
	ds_load_b128 v[80:83], v5 offset:432
	ds_load_b128 v[84:87], v5 offset:448
	;; [unrolled: 1-line block ×4, first 2 shown]
	ds_load_b64 v[100:101], v5 offset:496
	s_mov_b32 s0, exec_lo
	s_wait_dscnt 0x4
	v_dual_mov_b32 v102, v83 :: v_dual_mov_b32 v103, v82
	s_wait_dscnt 0x1
	v_dual_mov_b32 v104, v87 :: v_dual_mov_b32 v109, v94
	v_dual_mov_b32 v105, v86 :: v_dual_mov_b32 v106, v91
	;; [unrolled: 1-line block ×3, first 2 shown]
	s_wait_loadcnt 0x5
	v_dual_mov_b32 v110, v67 :: v_dual_mul_f32 v111, v80, v65
	v_mul_f32_e32 v7, v81, v65
	s_wait_loadcnt 0x4
	v_pk_mul_f32 v[112:113], v[84:85], v[68:69] op_sel:[1,1] op_sel_hi:[0,1]
	v_mov_b32_e32 v114, v71
	s_wait_loadcnt 0x3
	v_pk_mul_f32 v[116:117], v[88:89], v[72:73] op_sel:[1,1] op_sel_hi:[0,1]
	v_pk_mul_f32 v[102:103], v[102:103], v[110:111] op_sel_hi:[1,0]
	v_fmac_f32_e32 v111, v81, v64
	v_dual_fma_f32 v110, v80, v64, -v7 :: v_dual_mov_b32 v64, v75
	v_pk_fma_f32 v[118:119], v[84:85], v[68:69], v[112:113] op_sel_hi:[1,0,1]
	s_delay_alu instid0(VALU_DEP_4)
	v_pk_fma_f32 v[80:81], v[82:83], v[66:67], v[102:103] op_sel_hi:[1,0,1]
	v_pk_fma_f32 v[66:67], v[82:83], v[66:67], v[102:103] neg_lo:[0,0,1] neg_hi:[0,0,1]
	v_pk_mul_f32 v[104:105], v[104:105], v[114:115] op_sel_hi:[1,0]
	v_pk_add_f32 v[110:111], v[110:111], 0 op_sel_hi:[1,0]
	v_pk_fma_f32 v[68:69], v[84:85], v[68:69], v[112:113] neg_lo:[0,0,1] neg_hi:[0,0,1]
	v_dual_mov_b32 v67, v81 :: v_dual_mov_b32 v69, v119
	s_delay_alu instid0(VALU_DEP_4) | instskip(SKIP_2) | instid1(VALU_DEP_4)
	v_pk_fma_f32 v[82:83], v[86:87], v[70:71], v[104:105] op_sel_hi:[1,0,1]
	v_pk_fma_f32 v[70:71], v[86:87], v[70:71], v[104:105] neg_lo:[0,0,1] neg_hi:[0,0,1]
	v_pk_fma_f32 v[84:85], v[88:89], v[72:73], v[116:117] op_sel_hi:[1,0,1]
	v_pk_add_f32 v[66:67], v[110:111], v[66:67]
	v_pk_mul_f32 v[64:65], v[106:107], v[64:65] op_sel_hi:[1,0]
	v_mov_b32_e32 v71, v83
	v_pk_fma_f32 v[72:73], v[88:89], v[72:73], v[116:117] neg_lo:[0,0,1] neg_hi:[0,0,1]
	s_wait_loadcnt 0x2
	v_pk_mul_f32 v[80:81], v[92:93], v[76:77] op_sel:[1,1] op_sel_hi:[0,1]
	v_pk_add_f32 v[66:67], v[66:67], v[68:69]
	v_mov_b32_e32 v68, v79
	v_pk_fma_f32 v[82:83], v[90:91], v[74:75], v[64:65] op_sel_hi:[1,0,1]
	v_mov_b32_e32 v73, v85
	v_pk_fma_f32 v[64:65], v[90:91], v[74:75], v[64:65] neg_lo:[0,0,1] neg_hi:[0,0,1]
	v_pk_add_f32 v[66:67], v[66:67], v[70:71]
	v_pk_fma_f32 v[70:71], v[92:93], v[76:77], v[80:81] op_sel_hi:[1,0,1]
	v_pk_mul_f32 v[68:69], v[108:109], v[68:69] op_sel_hi:[1,0]
	v_mov_b32_e32 v65, v83
	s_delay_alu instid0(VALU_DEP_4)
	v_pk_add_f32 v[66:67], v[66:67], v[72:73]
	v_pk_fma_f32 v[72:73], v[92:93], v[76:77], v[80:81] neg_lo:[0,0,1] neg_hi:[0,0,1]
	v_mov_b32_e32 v73, v71
	v_pk_fma_f32 v[70:71], v[94:95], v[78:79], v[68:69] op_sel_hi:[1,0,1]
	v_pk_fma_f32 v[68:69], v[94:95], v[78:79], v[68:69] neg_lo:[0,0,1] neg_hi:[0,0,1]
	v_pk_add_f32 v[64:65], v[66:67], v[64:65]
	s_wait_loadcnt_dscnt 0x100
	v_pk_mul_f32 v[66:67], v[100:101], v[96:97] op_sel:[1,1] op_sel_hi:[0,1]
	v_mov_b32_e32 v69, v71
	s_delay_alu instid0(VALU_DEP_3) | instskip(NEXT) | instid1(VALU_DEP_3)
	v_pk_add_f32 v[64:65], v[64:65], v[72:73]
	v_pk_fma_f32 v[70:71], v[100:101], v[96:97], v[66:67] op_sel_hi:[1,0,1]
	v_pk_fma_f32 v[66:67], v[100:101], v[96:97], v[66:67] neg_lo:[0,0,1] neg_hi:[0,0,1]
	s_delay_alu instid0(VALU_DEP_3) | instskip(NEXT) | instid1(VALU_DEP_3)
	v_pk_add_f32 v[64:65], v[64:65], v[68:69]
	v_mov_b32_e32 v67, v71
	s_delay_alu instid0(VALU_DEP_1) | instskip(SKIP_1) | instid1(VALU_DEP_1)
	v_pk_add_f32 v[64:65], v[64:65], v[66:67]
	s_wait_loadcnt 0x0
	v_pk_add_f32 v[64:65], v[98:99], v[64:65] neg_lo:[0,1] neg_hi:[0,1]
	scratch_store_b64 off, v[64:65], off offset:168
	s_wait_xcnt 0x0
	v_cmpx_lt_u32_e32 20, v0
	s_cbranch_execz .LBB30_159
; %bb.158:
	scratch_load_b64 v[64:65], off, off offset:160
	v_mov_b64_e32 v[66:67], 0
	scratch_store_b64 off, v[66:67], off offset:160
	s_wait_loadcnt 0x0
	ds_store_b64 v1, v[64:65]
.LBB30_159:
	s_wait_xcnt 0x0
	s_or_b32 exec_lo, exec_lo, s0
	s_wait_storecnt_dscnt 0x0
	s_barrier_signal -1
	s_barrier_wait -1
	s_clause 0x5
	scratch_load_b128 v[64:67], off, off offset:168
	scratch_load_b128 v[68:71], off, off offset:184
	;; [unrolled: 1-line block ×5, first 2 shown]
	scratch_load_b64 v[104:105], off, off offset:160
	ds_load_2addr_b64 v[84:87], v5 offset0:55 offset1:56
	ds_load_2addr_b64 v[88:91], v5 offset0:57 offset1:58
	;; [unrolled: 1-line block ×5, first 2 shown]
	s_mov_b32 s0, exec_lo
	s_wait_dscnt 0x4
	v_dual_mov_b32 v106, v87 :: v_dual_mov_b32 v107, v86
	s_wait_dscnt 0x3
	v_dual_mov_b32 v108, v91 :: v_dual_mov_b32 v109, v90
	;; [unrolled: 2-line block ×4, first 2 shown]
	s_wait_loadcnt_dscnt 0x500
	v_dual_mul_f32 v115, v100, v65 :: v_dual_mul_f32 v117, v102, v67
	v_dual_mul_f32 v5, v101, v65 :: v_dual_mul_f32 v7, v103, v67
	s_wait_loadcnt 0x4
	v_pk_mul_f32 v[118:119], v[84:85], v[68:69] op_sel:[1,1] op_sel_hi:[0,1]
	s_wait_loadcnt 0x3
	v_dual_mov_b32 v120, v71 :: v_dual_mov_b32 v124, v75
	v_dual_fmac_f32 v115, v101, v64 :: v_dual_fma_f32 v114, v100, v64, -v5
	v_dual_fmac_f32 v117, v103, v66 :: v_dual_fma_f32 v116, v102, v66, -v7
	v_pk_fma_f32 v[64:65], v[84:85], v[68:69], v[118:119] op_sel_hi:[1,0,1]
	s_delay_alu instid0(VALU_DEP_4) | instskip(NEXT) | instid1(VALU_DEP_4)
	v_pk_mul_f32 v[66:67], v[106:107], v[120:121] op_sel_hi:[1,0]
	v_pk_add_f32 v[100:101], v[114:115], 0 op_sel_hi:[1,0]
	v_pk_fma_f32 v[68:69], v[84:85], v[68:69], v[118:119] neg_lo:[0,0,1] neg_hi:[0,0,1]
	v_pk_mul_f32 v[122:123], v[88:89], v[72:73] op_sel:[1,1] op_sel_hi:[0,1]
	v_mov_b32_e32 v69, v65
	v_pk_fma_f32 v[64:65], v[86:87], v[70:71], v[66:67] op_sel_hi:[1,0,1]
	v_pk_add_f32 v[84:85], v[100:101], v[116:117]
	v_pk_fma_f32 v[66:67], v[86:87], v[70:71], v[66:67] neg_lo:[0,0,1] neg_hi:[0,0,1]
	v_pk_fma_f32 v[100:101], v[88:89], v[72:73], v[122:123] op_sel_hi:[1,0,1]
	v_pk_mul_f32 v[106:107], v[108:109], v[124:125] op_sel_hi:[1,0]
	v_mov_b32_e32 v67, v65
	v_pk_add_f32 v[64:65], v[84:85], v[68:69]
	s_wait_loadcnt 0x2
	v_pk_mul_f32 v[102:103], v[92:93], v[76:77] op_sel:[1,1] op_sel_hi:[0,1]
	v_mov_b32_e32 v68, v79
	v_pk_fma_f32 v[70:71], v[88:89], v[72:73], v[122:123] neg_lo:[0,0,1] neg_hi:[0,0,1]
	v_mov_b32_e32 v71, v101
	v_pk_fma_f32 v[72:73], v[90:91], v[74:75], v[106:107] op_sel_hi:[1,0,1]
	v_pk_add_f32 v[64:65], v[64:65], v[66:67]
	v_pk_fma_f32 v[66:67], v[92:93], v[76:77], v[102:103] op_sel_hi:[1,0,1]
	v_pk_mul_f32 v[68:69], v[110:111], v[68:69] op_sel_hi:[1,0]
	v_pk_fma_f32 v[74:75], v[90:91], v[74:75], v[106:107] neg_lo:[0,0,1] neg_hi:[0,0,1]
	v_mov_b32_e32 v75, v73
	v_pk_add_f32 v[64:65], v[64:65], v[70:71]
	v_pk_fma_f32 v[72:73], v[92:93], v[76:77], v[102:103] neg_lo:[0,0,1] neg_hi:[0,0,1]
	v_mov_b32_e32 v73, v67
	v_pk_fma_f32 v[66:67], v[94:95], v[78:79], v[68:69] op_sel_hi:[1,0,1]
	s_wait_loadcnt 0x1
	v_pk_mul_f32 v[70:71], v[96:97], v[80:81] op_sel:[1,1] op_sel_hi:[0,1]
	v_pk_add_f32 v[64:65], v[64:65], v[74:75]
	v_mov_b32_e32 v66, v83
	v_pk_fma_f32 v[68:69], v[94:95], v[78:79], v[68:69] neg_lo:[0,0,1] neg_hi:[0,0,1]
	v_mov_b32_e32 v69, v67
	v_pk_fma_f32 v[74:75], v[96:97], v[80:81], v[70:71] op_sel_hi:[1,0,1]
	v_pk_add_f32 v[64:65], v[64:65], v[72:73]
	v_pk_mul_f32 v[66:67], v[112:113], v[66:67] op_sel_hi:[1,0]
	v_pk_fma_f32 v[70:71], v[96:97], v[80:81], v[70:71] neg_lo:[0,0,1] neg_hi:[0,0,1]
	s_delay_alu instid0(VALU_DEP_3) | instskip(NEXT) | instid1(VALU_DEP_3)
	v_pk_add_f32 v[64:65], v[64:65], v[68:69]
	v_pk_fma_f32 v[68:69], v[98:99], v[82:83], v[66:67] op_sel_hi:[1,0,1]
	v_mov_b32_e32 v71, v75
	v_pk_fma_f32 v[66:67], v[98:99], v[82:83], v[66:67] neg_lo:[0,0,1] neg_hi:[0,0,1]
	s_delay_alu instid0(VALU_DEP_3) | instskip(NEXT) | instid1(VALU_DEP_3)
	v_mov_b32_e32 v67, v69
	v_pk_add_f32 v[64:65], v[64:65], v[70:71]
	s_delay_alu instid0(VALU_DEP_1) | instskip(SKIP_1) | instid1(VALU_DEP_1)
	v_pk_add_f32 v[64:65], v[64:65], v[66:67]
	s_wait_loadcnt 0x0
	v_pk_add_f32 v[64:65], v[104:105], v[64:65] neg_lo:[0,1] neg_hi:[0,1]
	scratch_store_b64 off, v[64:65], off offset:160
	s_wait_xcnt 0x0
	v_cmpx_lt_u32_e32 19, v0
	s_cbranch_execz .LBB30_161
; %bb.160:
	scratch_load_b64 v[64:65], off, off offset:152
	v_mov_b64_e32 v[66:67], 0
	scratch_store_b64 off, v[66:67], off offset:152
	s_wait_loadcnt 0x0
	ds_store_b64 v1, v[64:65]
.LBB30_161:
	s_wait_xcnt 0x0
	s_or_b32 exec_lo, exec_lo, s0
	s_wait_storecnt_dscnt 0x0
	s_barrier_signal -1
	s_barrier_wait -1
	s_clause 0x6
	scratch_load_b128 v[64:67], off, off offset:160
	scratch_load_b128 v[68:71], off, off offset:176
	scratch_load_b128 v[72:75], off, off offset:192
	scratch_load_b128 v[76:79], off, off offset:208
	scratch_load_b128 v[80:83], off, off offset:224
	scratch_load_b64 v[104:105], off, off offset:240
	scratch_load_b64 v[106:107], off, off offset:152
	v_mov_b32_e32 v5, 0
	ds_load_b128 v[84:87], v5 offset:432
	ds_load_b128 v[88:91], v5 offset:448
	;; [unrolled: 1-line block ×5, first 2 shown]
	ds_load_b64 v[108:109], v5 offset:496
	s_mov_b32 s0, exec_lo
	s_wait_dscnt 0x5
	v_dual_mov_b32 v110, v87 :: v_dual_mov_b32 v111, v86
	s_wait_dscnt 0x2
	v_dual_mov_b32 v112, v91 :: v_dual_mov_b32 v117, v98
	v_dual_mov_b32 v113, v90 :: v_dual_mov_b32 v114, v95
	;; [unrolled: 1-line block ×3, first 2 shown]
	s_wait_loadcnt_dscnt 0x601
	v_dual_mul_f32 v7, v100, v65 :: v_dual_mul_f32 v11, v101, v65
	v_dual_mul_f32 v13, v103, v67 :: v_dual_mul_f32 v119, v102, v67
	s_wait_loadcnt 0x5
	v_dual_mul_f32 v121, v84, v69 :: v_dual_mul_f32 v15, v85, v69
	s_wait_loadcnt 0x4
	v_dual_mov_b32 v120, v71 :: v_dual_mov_b32 v124, v75
	v_fmac_f32_e32 v7, v101, v64
	v_dual_fma_f32 v11, v100, v64, -v11 :: v_dual_fma_f32 v118, v102, v66, -v13
	v_fmac_f32_e32 v119, v103, v66
	s_delay_alu instid0(VALU_DEP_4) | instskip(NEXT) | instid1(VALU_DEP_4)
	v_pk_mul_f32 v[64:65], v[110:111], v[120:121] op_sel_hi:[1,0]
	v_add_f32_e32 v67, 0, v7
	s_wait_loadcnt 0x3
	v_dual_add_f32 v66, 0, v11 :: v_dual_mov_b32 v100, v79
	v_pk_mul_f32 v[122:123], v[88:89], v[72:73] op_sel:[1,1] op_sel_hi:[0,1]
	v_dual_fmac_f32 v121, v85, v68 :: v_dual_fma_f32 v120, v84, v68, -v15
	v_pk_fma_f32 v[68:69], v[86:87], v[70:71], v[64:65] op_sel_hi:[1,0,1]
	s_delay_alu instid0(VALU_DEP_4)
	v_pk_add_f32 v[66:67], v[66:67], v[118:119]
	v_pk_fma_f32 v[64:65], v[86:87], v[70:71], v[64:65] neg_lo:[0,0,1] neg_hi:[0,0,1]
	v_pk_fma_f32 v[84:85], v[88:89], v[72:73], v[122:123] op_sel_hi:[1,0,1]
	v_pk_mul_f32 v[102:103], v[112:113], v[124:125] op_sel_hi:[1,0]
	v_mov_b32_e32 v65, v69
	v_pk_add_f32 v[66:67], v[66:67], v[120:121]
	v_pk_fma_f32 v[70:71], v[88:89], v[72:73], v[122:123] neg_lo:[0,0,1] neg_hi:[0,0,1]
	v_pk_mul_f32 v[126:127], v[92:93], v[76:77] op_sel:[1,1] op_sel_hi:[0,1]
	v_mov_b32_e32 v71, v85
	v_pk_fma_f32 v[72:73], v[90:91], v[74:75], v[102:103] op_sel_hi:[1,0,1]
	v_pk_add_f32 v[64:65], v[66:67], v[64:65]
	v_pk_fma_f32 v[74:75], v[90:91], v[74:75], v[102:103] neg_lo:[0,0,1] neg_hi:[0,0,1]
	v_pk_fma_f32 v[66:67], v[92:93], v[76:77], v[126:127] op_sel_hi:[1,0,1]
	v_pk_mul_f32 v[84:85], v[114:115], v[100:101] op_sel_hi:[1,0]
	s_wait_loadcnt 0x2
	v_dual_mov_b32 v75, v73 :: v_dual_mov_b32 v66, v83
	v_pk_add_f32 v[64:65], v[64:65], v[70:71]
	v_pk_fma_f32 v[70:71], v[92:93], v[76:77], v[126:127] neg_lo:[0,0,1] neg_hi:[0,0,1]
	v_pk_mul_f32 v[68:69], v[96:97], v[80:81] op_sel:[1,1] op_sel_hi:[0,1]
	v_pk_fma_f32 v[72:73], v[94:95], v[78:79], v[84:85] op_sel_hi:[1,0,1]
	v_mov_b32_e32 v71, v67
	v_pk_add_f32 v[64:65], v[64:65], v[74:75]
	v_pk_fma_f32 v[76:77], v[94:95], v[78:79], v[84:85] neg_lo:[0,0,1] neg_hi:[0,0,1]
	v_pk_fma_f32 v[74:75], v[96:97], v[80:81], v[68:69] op_sel_hi:[1,0,1]
	v_pk_mul_f32 v[66:67], v[116:117], v[66:67] op_sel_hi:[1,0]
	v_mov_b32_e32 v77, v73
	v_pk_add_f32 v[64:65], v[64:65], v[70:71]
	v_pk_fma_f32 v[68:69], v[96:97], v[80:81], v[68:69] neg_lo:[0,0,1] neg_hi:[0,0,1]
	s_wait_loadcnt_dscnt 0x100
	v_pk_mul_f32 v[72:73], v[108:109], v[104:105] op_sel:[1,1] op_sel_hi:[0,1]
	v_pk_fma_f32 v[70:71], v[98:99], v[82:83], v[66:67] op_sel_hi:[1,0,1]
	v_mov_b32_e32 v69, v75
	v_pk_add_f32 v[64:65], v[64:65], v[76:77]
	v_pk_fma_f32 v[66:67], v[98:99], v[82:83], v[66:67] neg_lo:[0,0,1] neg_hi:[0,0,1]
	s_delay_alu instid0(VALU_DEP_4) | instskip(SKIP_1) | instid1(VALU_DEP_4)
	v_mov_b32_e32 v67, v71
	v_pk_fma_f32 v[70:71], v[108:109], v[104:105], v[72:73] neg_lo:[0,0,1] neg_hi:[0,0,1]
	v_pk_add_f32 v[64:65], v[64:65], v[68:69]
	v_pk_fma_f32 v[68:69], v[108:109], v[104:105], v[72:73] op_sel_hi:[1,0,1]
	s_delay_alu instid0(VALU_DEP_2) | instskip(NEXT) | instid1(VALU_DEP_2)
	v_pk_add_f32 v[64:65], v[64:65], v[66:67]
	v_mov_b32_e32 v71, v69
	s_delay_alu instid0(VALU_DEP_1) | instskip(SKIP_1) | instid1(VALU_DEP_1)
	v_pk_add_f32 v[64:65], v[64:65], v[70:71]
	s_wait_loadcnt 0x0
	v_pk_add_f32 v[64:65], v[106:107], v[64:65] neg_lo:[0,1] neg_hi:[0,1]
	scratch_store_b64 off, v[64:65], off offset:152
	s_wait_xcnt 0x0
	v_cmpx_lt_u32_e32 18, v0
	s_cbranch_execz .LBB30_163
; %bb.162:
	scratch_load_b64 v[64:65], off, off offset:144
	v_mov_b64_e32 v[66:67], 0
	scratch_store_b64 off, v[66:67], off offset:144
	s_wait_loadcnt 0x0
	ds_store_b64 v1, v[64:65]
.LBB30_163:
	s_wait_xcnt 0x0
	s_or_b32 exec_lo, exec_lo, s0
	s_wait_storecnt_dscnt 0x0
	s_barrier_signal -1
	s_barrier_wait -1
	s_clause 0x6
	scratch_load_b128 v[64:67], off, off offset:152
	scratch_load_b128 v[68:71], off, off offset:168
	;; [unrolled: 1-line block ×6, first 2 shown]
	scratch_load_b64 v[112:113], off, off offset:144
	ds_load_2addr_b64 v[88:91], v5 offset0:55 offset1:56
	ds_load_2addr_b64 v[92:95], v5 offset0:57 offset1:58
	;; [unrolled: 1-line block ×6, first 2 shown]
	s_mov_b32 s0, exec_lo
	s_wait_dscnt 0x5
	v_dual_mov_b32 v114, v91 :: v_dual_mov_b32 v115, v90
	s_wait_dscnt 0x4
	v_dual_mov_b32 v116, v95 :: v_dual_mov_b32 v117, v94
	;; [unrolled: 2-line block ×4, first 2 shown]
	s_wait_loadcnt_dscnt 0x601
	v_dual_mul_f32 v5, v104, v65 :: v_dual_mul_f32 v7, v106, v67
	v_dual_mul_f32 v11, v105, v65 :: v_dual_mul_f32 v13, v107, v67
	s_wait_loadcnt 0x4
	s_delay_alu instid0(VALU_DEP_2)
	v_dual_mov_b32 v128, v75 :: v_dual_fmac_f32 v5, v105, v64
	s_wait_dscnt 0x0
	v_dual_mul_f32 v123, v108, v69 :: v_dual_mul_f32 v125, v110, v71
	v_dual_fma_f32 v11, v104, v64, -v11 :: v_dual_fma_f32 v13, v106, v66, -v13
	v_dual_mul_f32 v15, v109, v69 :: v_dual_mul_f32 v17, v111, v71
	v_dual_fmac_f32 v7, v107, v66 :: v_dual_add_f32 v5, 0, v5
	s_wait_loadcnt 0x3
	s_delay_alu instid0(VALU_DEP_3)
	v_dual_add_f32 v11, 0, v11 :: v_dual_mov_b32 v66, v79
	v_pk_mul_f32 v[126:127], v[88:89], v[72:73] op_sel:[1,1] op_sel_hi:[0,1]
	v_pk_mul_f32 v[64:65], v[92:93], v[76:77] op_sel:[1,1] op_sel_hi:[0,1]
	v_fmac_f32_e32 v123, v109, v68
	v_dual_fma_f32 v122, v108, v68, -v15 :: v_dual_add_f32 v69, v5, v7
	v_add_f32_e32 v68, v11, v13
	v_fmac_f32_e32 v125, v111, v70
	v_fma_f32 v124, v110, v70, -v17
	v_pk_fma_f32 v[70:71], v[88:89], v[72:73], v[126:127] op_sel_hi:[1,0,1]
	v_pk_mul_f32 v[104:105], v[114:115], v[128:129] op_sel_hi:[1,0]
	v_pk_add_f32 v[68:69], v[68:69], v[122:123]
	v_pk_fma_f32 v[72:73], v[88:89], v[72:73], v[126:127] neg_lo:[0,0,1] neg_hi:[0,0,1]
	v_pk_fma_f32 v[88:89], v[92:93], v[76:77], v[64:65] op_sel_hi:[1,0,1]
	v_pk_fma_f32 v[64:65], v[92:93], v[76:77], v[64:65] neg_lo:[0,0,1] neg_hi:[0,0,1]
	v_mov_b32_e32 v73, v71
	v_pk_fma_f32 v[70:71], v[90:91], v[74:75], v[104:105] op_sel_hi:[1,0,1]
	v_pk_fma_f32 v[74:75], v[90:91], v[74:75], v[104:105] neg_lo:[0,0,1] neg_hi:[0,0,1]
	v_mov_b32_e32 v65, v89
	v_pk_add_f32 v[68:69], v[68:69], v[124:125]
	v_pk_mul_f32 v[66:67], v[116:117], v[66:67] op_sel_hi:[1,0]
	s_wait_loadcnt 0x2
	v_dual_mov_b32 v75, v71 :: v_dual_mov_b32 v70, v83
	v_pk_mul_f32 v[106:107], v[96:97], v[80:81] op_sel:[1,1] op_sel_hi:[0,1]
	v_pk_add_f32 v[68:69], v[68:69], v[72:73]
	v_pk_fma_f32 v[72:73], v[94:95], v[78:79], v[66:67] op_sel_hi:[1,0,1]
	v_pk_fma_f32 v[66:67], v[94:95], v[78:79], v[66:67] neg_lo:[0,0,1] neg_hi:[0,0,1]
	v_pk_mul_f32 v[70:71], v[118:119], v[70:71] op_sel_hi:[1,0]
	s_delay_alu instid0(VALU_DEP_4) | instskip(SKIP_3) | instid1(VALU_DEP_4)
	v_pk_add_f32 v[68:69], v[68:69], v[74:75]
	v_pk_fma_f32 v[74:75], v[96:97], v[80:81], v[106:107] op_sel_hi:[1,0,1]
	v_mov_b32_e32 v67, v73
	v_pk_fma_f32 v[72:73], v[96:97], v[80:81], v[106:107] neg_lo:[0,0,1] neg_hi:[0,0,1]
	v_pk_add_f32 v[64:65], v[68:69], v[64:65]
	s_wait_loadcnt 0x1
	v_pk_mul_f32 v[68:69], v[100:101], v[84:85] op_sel:[1,1] op_sel_hi:[0,1]
	v_mov_b32_e32 v73, v75
	v_pk_fma_f32 v[74:75], v[98:99], v[82:83], v[70:71] op_sel_hi:[1,0,1]
	v_pk_fma_f32 v[70:71], v[98:99], v[82:83], v[70:71] neg_lo:[0,0,1] neg_hi:[0,0,1]
	v_pk_add_f32 v[64:65], v[64:65], v[66:67]
	v_mov_b32_e32 v66, v87
	v_pk_fma_f32 v[76:77], v[100:101], v[84:85], v[68:69] op_sel_hi:[1,0,1]
	v_mov_b32_e32 v71, v75
	v_pk_fma_f32 v[68:69], v[100:101], v[84:85], v[68:69] neg_lo:[0,0,1] neg_hi:[0,0,1]
	v_pk_add_f32 v[64:65], v[64:65], v[72:73]
	v_pk_mul_f32 v[66:67], v[120:121], v[66:67] op_sel_hi:[1,0]
	s_delay_alu instid0(VALU_DEP_2) | instskip(NEXT) | instid1(VALU_DEP_2)
	v_pk_add_f32 v[64:65], v[64:65], v[70:71]
	v_pk_fma_f32 v[70:71], v[102:103], v[86:87], v[66:67] op_sel_hi:[1,0,1]
	v_mov_b32_e32 v69, v77
	v_pk_fma_f32 v[66:67], v[102:103], v[86:87], v[66:67] neg_lo:[0,0,1] neg_hi:[0,0,1]
	s_delay_alu instid0(VALU_DEP_3) | instskip(NEXT) | instid1(VALU_DEP_3)
	v_mov_b32_e32 v67, v71
	v_pk_add_f32 v[64:65], v[64:65], v[68:69]
	s_delay_alu instid0(VALU_DEP_1) | instskip(SKIP_1) | instid1(VALU_DEP_1)
	v_pk_add_f32 v[64:65], v[64:65], v[66:67]
	s_wait_loadcnt 0x0
	v_pk_add_f32 v[64:65], v[112:113], v[64:65] neg_lo:[0,1] neg_hi:[0,1]
	scratch_store_b64 off, v[64:65], off offset:144
	s_wait_xcnt 0x0
	v_cmpx_lt_u32_e32 17, v0
	s_cbranch_execz .LBB30_165
; %bb.164:
	scratch_load_b64 v[64:65], off, off offset:136
	v_mov_b64_e32 v[66:67], 0
	scratch_store_b64 off, v[66:67], off offset:136
	s_wait_loadcnt 0x0
	ds_store_b64 v1, v[64:65]
.LBB30_165:
	s_wait_xcnt 0x0
	s_or_b32 exec_lo, exec_lo, s0
	s_wait_storecnt_dscnt 0x0
	s_barrier_signal -1
	s_barrier_wait -1
	s_clause 0x7
	scratch_load_b128 v[64:67], off, off offset:144
	scratch_load_b128 v[68:71], off, off offset:160
	scratch_load_b128 v[72:75], off, off offset:176
	scratch_load_b128 v[76:79], off, off offset:192
	scratch_load_b128 v[80:83], off, off offset:208
	scratch_load_b128 v[84:87], off, off offset:224
	scratch_load_b64 v[112:113], off, off offset:240
	scratch_load_b64 v[114:115], off, off offset:136
	v_mov_b32_e32 v5, 0
	ds_load_b128 v[88:91], v5 offset:432
	ds_load_b128 v[92:95], v5 offset:448
	;; [unrolled: 1-line block ×6, first 2 shown]
	ds_load_b64 v[116:117], v5 offset:496
	s_mov_b32 s0, exec_lo
	s_wait_dscnt 0x6
	v_dual_mov_b32 v118, v91 :: v_dual_mov_b32 v119, v90
	s_wait_dscnt 0x3
	v_dual_mov_b32 v120, v95 :: v_dual_mov_b32 v125, v102
	v_dual_mov_b32 v121, v94 :: v_dual_mov_b32 v122, v99
	;; [unrolled: 1-line block ×3, first 2 shown]
	s_wait_loadcnt_dscnt 0x702
	v_dual_mul_f32 v7, v104, v65 :: v_dual_mul_f32 v15, v105, v65
	v_dual_mul_f32 v17, v107, v67 :: v_dual_mul_f32 v11, v106, v67
	s_wait_loadcnt_dscnt 0x601
	s_delay_alu instid0(VALU_DEP_2) | instskip(NEXT) | instid1(VALU_DEP_2)
	v_dual_mul_f32 v13, v108, v69 :: v_dual_fmac_f32 v7, v105, v64
	v_dual_fma_f32 v15, v104, v64, -v15 :: v_dual_fma_f32 v17, v106, v66, -v17
	s_wait_loadcnt 0x5
	v_dual_mul_f32 v127, v110, v71 :: v_dual_mul_f32 v129, v88, v73
	v_dual_mul_f32 v19, v109, v69 :: v_dual_mul_f32 v21, v111, v71
	v_dual_mul_f32 v23, v89, v73 :: v_dual_mov_b32 v128, v75
	s_wait_loadcnt 0x4
	v_mov_b32_e32 v64, v79
	v_dual_fmac_f32 v11, v107, v66 :: v_dual_add_f32 v7, 0, v7
	v_dual_add_f32 v15, 0, v15 :: v_dual_fmac_f32 v13, v109, v68
	v_fma_f32 v19, v108, v68, -v19
	v_pk_mul_f32 v[68:69], v[118:119], v[128:129] op_sel_hi:[1,0]
	s_delay_alu instid0(VALU_DEP_4) | instskip(NEXT) | instid1(VALU_DEP_4)
	v_add_f32_e32 v7, v7, v11
	v_dual_add_f32 v11, v15, v17 :: v_dual_fma_f32 v126, v110, v70, -v21
	v_dual_fmac_f32 v127, v111, v70 :: v_dual_fmac_f32 v129, v89, v72
	s_delay_alu instid0(VALU_DEP_3) | instskip(SKIP_1) | instid1(VALU_DEP_4)
	v_dual_add_f32 v71, v7, v13 :: v_dual_fma_f32 v128, v88, v72, -v23
	v_pk_fma_f32 v[72:73], v[90:91], v[74:75], v[68:69] op_sel_hi:[1,0,1]
	v_add_f32_e32 v70, v11, v19
	v_pk_fma_f32 v[68:69], v[90:91], v[74:75], v[68:69] neg_lo:[0,0,1] neg_hi:[0,0,1]
	v_pk_mul_f32 v[130:131], v[92:93], v[76:77] op_sel:[1,1] op_sel_hi:[0,1]
	v_pk_mul_f32 v[64:65], v[120:121], v[64:65] op_sel_hi:[1,0]
	v_mov_b32_e32 v69, v73
	v_pk_add_f32 v[70:71], v[70:71], v[126:127]
	s_wait_loadcnt 0x3
	v_pk_mul_f32 v[66:67], v[96:97], v[80:81] op_sel:[1,1] op_sel_hi:[0,1]
	v_pk_fma_f32 v[88:89], v[92:93], v[76:77], v[130:131] op_sel_hi:[1,0,1]
	v_pk_fma_f32 v[74:75], v[92:93], v[76:77], v[130:131] neg_lo:[0,0,1] neg_hi:[0,0,1]
	v_mov_b32_e32 v104, v83
	v_pk_add_f32 v[70:71], v[70:71], v[128:129]
	v_pk_fma_f32 v[76:77], v[94:95], v[78:79], v[64:65] op_sel_hi:[1,0,1]
	v_mov_b32_e32 v75, v89
	v_pk_fma_f32 v[64:65], v[94:95], v[78:79], v[64:65] neg_lo:[0,0,1] neg_hi:[0,0,1]
	v_pk_mul_f32 v[88:89], v[122:123], v[104:105] op_sel_hi:[1,0]
	v_pk_add_f32 v[68:69], v[70:71], v[68:69]
	v_pk_fma_f32 v[70:71], v[96:97], v[80:81], v[66:67] op_sel_hi:[1,0,1]
	s_wait_loadcnt 0x2
	v_dual_mov_b32 v65, v77 :: v_dual_mov_b32 v70, v87
	v_pk_fma_f32 v[66:67], v[96:97], v[80:81], v[66:67] neg_lo:[0,0,1] neg_hi:[0,0,1]
	v_pk_add_f32 v[68:69], v[68:69], v[74:75]
	v_pk_mul_f32 v[72:73], v[100:101], v[84:85] op_sel:[1,1] op_sel_hi:[0,1]
	v_pk_fma_f32 v[74:75], v[98:99], v[82:83], v[88:89] op_sel_hi:[1,0,1]
	v_mov_b32_e32 v67, v71
	v_pk_fma_f32 v[76:77], v[98:99], v[82:83], v[88:89] neg_lo:[0,0,1] neg_hi:[0,0,1]
	v_pk_add_f32 v[64:65], v[68:69], v[64:65]
	v_pk_fma_f32 v[68:69], v[100:101], v[84:85], v[72:73] op_sel_hi:[1,0,1]
	v_pk_mul_f32 v[70:71], v[124:125], v[70:71] op_sel_hi:[1,0]
	v_mov_b32_e32 v77, v75
	s_delay_alu instid0(VALU_DEP_4)
	v_pk_add_f32 v[64:65], v[64:65], v[66:67]
	v_pk_fma_f32 v[66:67], v[100:101], v[84:85], v[72:73] neg_lo:[0,0,1] neg_hi:[0,0,1]
	v_mov_b32_e32 v67, v69
	v_pk_fma_f32 v[68:69], v[102:103], v[86:87], v[70:71] op_sel_hi:[1,0,1]
	s_wait_loadcnt_dscnt 0x100
	v_pk_mul_f32 v[72:73], v[116:117], v[112:113] op_sel:[1,1] op_sel_hi:[0,1]
	v_pk_add_f32 v[64:65], v[64:65], v[76:77]
	v_pk_fma_f32 v[70:71], v[102:103], v[86:87], v[70:71] neg_lo:[0,0,1] neg_hi:[0,0,1]
	v_mov_b32_e32 v71, v69
	s_delay_alu instid0(VALU_DEP_4) | instskip(NEXT) | instid1(VALU_DEP_4)
	v_pk_fma_f32 v[68:69], v[116:117], v[112:113], v[72:73] neg_lo:[0,0,1] neg_hi:[0,0,1]
	v_pk_add_f32 v[64:65], v[64:65], v[66:67]
	v_pk_fma_f32 v[66:67], v[116:117], v[112:113], v[72:73] op_sel_hi:[1,0,1]
	s_delay_alu instid0(VALU_DEP_2) | instskip(NEXT) | instid1(VALU_DEP_2)
	v_pk_add_f32 v[64:65], v[64:65], v[70:71]
	v_mov_b32_e32 v69, v67
	s_delay_alu instid0(VALU_DEP_1) | instskip(SKIP_1) | instid1(VALU_DEP_1)
	v_pk_add_f32 v[64:65], v[64:65], v[68:69]
	s_wait_loadcnt 0x0
	v_pk_add_f32 v[64:65], v[114:115], v[64:65] neg_lo:[0,1] neg_hi:[0,1]
	scratch_store_b64 off, v[64:65], off offset:136
	s_wait_xcnt 0x0
	v_cmpx_lt_u32_e32 16, v0
	s_cbranch_execz .LBB30_167
; %bb.166:
	scratch_load_b64 v[64:65], off, off offset:128
	v_mov_b64_e32 v[66:67], 0
	scratch_store_b64 off, v[66:67], off offset:128
	s_wait_loadcnt 0x0
	ds_store_b64 v1, v[64:65]
.LBB30_167:
	s_wait_xcnt 0x0
	s_or_b32 exec_lo, exec_lo, s0
	s_wait_storecnt_dscnt 0x0
	s_barrier_signal -1
	s_barrier_wait -1
	s_clause 0x7
	scratch_load_b128 v[64:67], off, off offset:136
	scratch_load_b128 v[68:71], off, off offset:152
	;; [unrolled: 1-line block ×7, first 2 shown]
	scratch_load_b64 v[120:121], off, off offset:128
	ds_load_2addr_b64 v[92:95], v5 offset0:55 offset1:56
	ds_load_2addr_b64 v[96:99], v5 offset0:57 offset1:58
	;; [unrolled: 1-line block ×7, first 2 shown]
	s_mov_b32 s0, exec_lo
	s_wait_dscnt 0x6
	v_dual_mov_b32 v122, v95 :: v_dual_mov_b32 v123, v94
	s_wait_dscnt 0x5
	v_dual_mov_b32 v124, v99 :: v_dual_mov_b32 v125, v98
	s_wait_dscnt 0x4
	v_dual_mov_b32 v126, v103 :: v_dual_mov_b32 v127, v102
	s_wait_dscnt 0x3
	v_dual_mov_b32 v128, v107 :: v_dual_mov_b32 v129, v106
	s_wait_loadcnt_dscnt 0x702
	v_dual_mul_f32 v5, v108, v65 :: v_dual_mul_f32 v7, v110, v67
	v_dual_mul_f32 v15, v109, v65 :: v_dual_mul_f32 v17, v111, v67
	s_wait_loadcnt_dscnt 0x601
	v_dual_mul_f32 v11, v112, v69 :: v_dual_mul_f32 v13, v114, v71
	s_delay_alu instid0(VALU_DEP_2) | instskip(SKIP_2) | instid1(VALU_DEP_3)
	v_dual_fmac_f32 v5, v109, v64 :: v_dual_fma_f32 v15, v108, v64, -v15
	v_dual_mul_f32 v19, v113, v69 :: v_dual_mul_f32 v21, v115, v71
	v_dual_fmac_f32 v7, v111, v66 :: v_dual_fma_f32 v17, v110, v66, -v17
	v_dual_add_f32 v5, 0, v5 :: v_dual_add_f32 v15, 0, v15
	s_wait_loadcnt 0x4
	v_dual_mov_b32 v66, v79 :: v_dual_fmac_f32 v11, v113, v68
	s_delay_alu instid0(VALU_DEP_2) | instskip(NEXT) | instid1(VALU_DEP_3)
	v_dual_fma_f32 v19, v112, v68, -v19 :: v_dual_add_f32 v5, v5, v7
	v_dual_add_f32 v7, v15, v17 :: v_dual_fma_f32 v15, v114, v70, -v21
	s_wait_dscnt 0x0
	v_dual_mul_f32 v131, v116, v73 :: v_dual_mul_f32 v133, v118, v75
	v_dual_mul_f32 v23, v117, v73 :: v_dual_mul_f32 v25, v119, v75
	v_dual_fmac_f32 v13, v115, v70 :: v_dual_add_f32 v5, v5, v11
	s_delay_alu instid0(VALU_DEP_3)
	v_dual_add_f32 v7, v7, v19 :: v_dual_fmac_f32 v131, v117, v72
	v_pk_mul_f32 v[64:65], v[92:93], v[76:77] op_sel:[1,1] op_sel_hi:[0,1]
	s_wait_loadcnt 0x3
	v_pk_mul_f32 v[68:69], v[96:97], v[80:81] op_sel:[1,1] op_sel_hi:[0,1]
	v_dual_mov_b32 v70, v83 :: v_dual_fma_f32 v130, v116, v72, -v23
	v_dual_add_f32 v73, v5, v13 :: v_dual_add_f32 v72, v7, v15
	v_fmac_f32_e32 v133, v119, v74
	v_fma_f32 v132, v118, v74, -v25
	v_pk_fma_f32 v[74:75], v[92:93], v[76:77], v[64:65] op_sel_hi:[1,0,1]
	v_pk_mul_f32 v[66:67], v[122:123], v[66:67] op_sel_hi:[1,0]
	v_pk_add_f32 v[72:73], v[72:73], v[130:131]
	v_pk_fma_f32 v[64:65], v[92:93], v[76:77], v[64:65] neg_lo:[0,0,1] neg_hi:[0,0,1]
	v_pk_fma_f32 v[76:77], v[96:97], v[80:81], v[68:69] op_sel_hi:[1,0,1]
	v_pk_fma_f32 v[68:69], v[96:97], v[80:81], v[68:69] neg_lo:[0,0,1] neg_hi:[0,0,1]
	v_mov_b32_e32 v65, v75
	v_pk_fma_f32 v[74:75], v[94:95], v[78:79], v[66:67] op_sel_hi:[1,0,1]
	v_pk_fma_f32 v[66:67], v[94:95], v[78:79], v[66:67] neg_lo:[0,0,1] neg_hi:[0,0,1]
	v_mov_b32_e32 v69, v77
	v_pk_add_f32 v[72:73], v[72:73], v[132:133]
	v_pk_mul_f32 v[70:71], v[124:125], v[70:71] op_sel_hi:[1,0]
	v_mov_b32_e32 v67, v75
	s_wait_loadcnt 0x2
	v_pk_mul_f32 v[108:109], v[100:101], v[84:85] op_sel:[1,1] op_sel_hi:[0,1]
	v_pk_add_f32 v[64:65], v[72:73], v[64:65]
	v_mov_b32_e32 v72, v87
	v_pk_fma_f32 v[74:75], v[98:99], v[82:83], v[70:71] op_sel_hi:[1,0,1]
	v_pk_fma_f32 v[70:71], v[98:99], v[82:83], v[70:71] neg_lo:[0,0,1] neg_hi:[0,0,1]
	s_delay_alu instid0(VALU_DEP_4)
	v_pk_add_f32 v[64:65], v[64:65], v[66:67]
	v_pk_fma_f32 v[66:67], v[100:101], v[84:85], v[108:109] op_sel_hi:[1,0,1]
	v_pk_mul_f32 v[72:73], v[126:127], v[72:73] op_sel_hi:[1,0]
	v_mov_b32_e32 v71, v75
	v_pk_fma_f32 v[74:75], v[100:101], v[84:85], v[108:109] neg_lo:[0,0,1] neg_hi:[0,0,1]
	v_pk_add_f32 v[64:65], v[64:65], v[68:69]
	v_mov_b32_e32 v75, v67
	v_pk_fma_f32 v[66:67], v[102:103], v[86:87], v[72:73] op_sel_hi:[1,0,1]
	s_wait_loadcnt 0x1
	v_pk_mul_f32 v[68:69], v[104:105], v[88:89] op_sel:[1,1] op_sel_hi:[0,1]
	v_mov_b32_e32 v66, v91
	v_pk_add_f32 v[64:65], v[64:65], v[70:71]
	v_pk_fma_f32 v[72:73], v[102:103], v[86:87], v[72:73] neg_lo:[0,0,1] neg_hi:[0,0,1]
	v_mov_b32_e32 v73, v67
	v_pk_fma_f32 v[70:71], v[104:105], v[88:89], v[68:69] op_sel_hi:[1,0,1]
	v_pk_mul_f32 v[66:67], v[128:129], v[66:67] op_sel_hi:[1,0]
	v_pk_add_f32 v[64:65], v[64:65], v[74:75]
	v_pk_fma_f32 v[68:69], v[104:105], v[88:89], v[68:69] neg_lo:[0,0,1] neg_hi:[0,0,1]
	s_delay_alu instid0(VALU_DEP_4) | instskip(NEXT) | instid1(VALU_DEP_4)
	v_mov_b32_e32 v69, v71
	v_pk_fma_f32 v[70:71], v[106:107], v[90:91], v[66:67] op_sel_hi:[1,0,1]
	s_delay_alu instid0(VALU_DEP_4) | instskip(SKIP_1) | instid1(VALU_DEP_3)
	v_pk_add_f32 v[64:65], v[64:65], v[72:73]
	v_pk_fma_f32 v[66:67], v[106:107], v[90:91], v[66:67] neg_lo:[0,0,1] neg_hi:[0,0,1]
	v_mov_b32_e32 v67, v71
	s_delay_alu instid0(VALU_DEP_3) | instskip(NEXT) | instid1(VALU_DEP_1)
	v_pk_add_f32 v[64:65], v[64:65], v[68:69]
	v_pk_add_f32 v[64:65], v[64:65], v[66:67]
	s_wait_loadcnt 0x0
	s_delay_alu instid0(VALU_DEP_1)
	v_pk_add_f32 v[64:65], v[120:121], v[64:65] neg_lo:[0,1] neg_hi:[0,1]
	scratch_store_b64 off, v[64:65], off offset:128
	s_wait_xcnt 0x0
	v_cmpx_lt_u32_e32 15, v0
	s_cbranch_execz .LBB30_169
; %bb.168:
	scratch_load_b64 v[64:65], off, off offset:120
	v_mov_b64_e32 v[66:67], 0
	scratch_store_b64 off, v[66:67], off offset:120
	s_wait_loadcnt 0x0
	ds_store_b64 v1, v[64:65]
.LBB30_169:
	s_wait_xcnt 0x0
	s_or_b32 exec_lo, exec_lo, s0
	s_wait_storecnt_dscnt 0x0
	s_barrier_signal -1
	s_barrier_wait -1
	s_clause 0x8
	scratch_load_b128 v[64:67], off, off offset:128
	scratch_load_b128 v[68:71], off, off offset:144
	;; [unrolled: 1-line block ×7, first 2 shown]
	scratch_load_b64 v[120:121], off, off offset:240
	scratch_load_b64 v[122:123], off, off offset:120
	v_mov_b32_e32 v5, 0
	ds_load_b128 v[92:95], v5 offset:432
	ds_load_b128 v[96:99], v5 offset:448
	;; [unrolled: 1-line block ×7, first 2 shown]
	ds_load_b64 v[124:125], v5 offset:496
	s_mov_b32 s0, exec_lo
	s_wait_dscnt 0x7
	v_dual_mov_b32 v126, v95 :: v_dual_mov_b32 v127, v94
	s_wait_dscnt 0x4
	v_dual_mov_b32 v128, v99 :: v_dual_mov_b32 v133, v106
	v_dual_mov_b32 v129, v98 :: v_dual_mov_b32 v130, v103
	;; [unrolled: 1-line block ×3, first 2 shown]
	s_wait_loadcnt_dscnt 0x803
	v_dual_mul_f32 v7, v108, v65 :: v_dual_mul_f32 v19, v109, v65
	v_dual_mul_f32 v21, v111, v67 :: v_dual_mul_f32 v11, v110, v67
	s_wait_loadcnt_dscnt 0x702
	v_mul_f32_e32 v13, v112, v69
	s_wait_loadcnt 0x5
	v_dual_mul_f32 v31, v93, v77 :: v_dual_fma_f32 v19, v108, v64, -v19
	v_dual_fmac_f32 v7, v109, v64 :: v_dual_mov_b32 v64, v79
	v_dual_mul_f32 v23, v113, v69 :: v_dual_mul_f32 v25, v115, v71
	v_dual_fmac_f32 v11, v111, v66 :: v_dual_fma_f32 v21, v110, v66, -v21
	s_delay_alu instid0(VALU_DEP_3) | instskip(NEXT) | instid1(VALU_DEP_3)
	v_dual_add_f32 v7, 0, v7 :: v_dual_fmac_f32 v13, v113, v68
	v_dual_add_f32 v19, 0, v19 :: v_dual_fma_f32 v23, v112, v68, -v23
	s_wait_dscnt 0x1
	v_dual_mul_f32 v15, v114, v71 :: v_dual_mul_f32 v17, v116, v73
	s_delay_alu instid0(VALU_DEP_3) | instskip(NEXT) | instid1(VALU_DEP_3)
	v_add_f32_e32 v7, v7, v11
	v_dual_add_f32 v11, v19, v21 :: v_dual_mul_f32 v135, v118, v75
	v_mul_f32_e32 v137, v92, v77
	v_dual_mul_f32 v27, v117, v73 :: v_dual_mul_f32 v29, v119, v75
	s_wait_loadcnt 0x4
	v_pk_mul_f32 v[66:67], v[96:97], v[80:81] op_sel:[1,1] op_sel_hi:[0,1]
	s_delay_alu instid0(VALU_DEP_3)
	v_dual_fmac_f32 v15, v115, v70 :: v_dual_fmac_f32 v137, v93, v76
	v_dual_fma_f32 v19, v114, v70, -v25 :: v_dual_add_f32 v7, v7, v13
	v_fma_f32 v134, v118, v74, -v29
	v_dual_fmac_f32 v17, v117, v72 :: v_dual_add_f32 v11, v11, v23
	v_fma_f32 v136, v92, v76, -v31
	v_pk_mul_f32 v[64:65], v[126:127], v[64:65] op_sel_hi:[1,0]
	v_dual_mov_b32 v68, v83 :: v_dual_fma_f32 v13, v116, v72, -v27
	v_pk_fma_f32 v[92:93], v[96:97], v[80:81], v[66:67] op_sel_hi:[1,0,1]
	v_add_f32_e32 v11, v11, v19
	s_delay_alu instid0(VALU_DEP_4) | instskip(SKIP_3) | instid1(VALU_DEP_4)
	v_pk_fma_f32 v[76:77], v[94:95], v[78:79], v[64:65] op_sel_hi:[1,0,1]
	v_add_f32_e32 v7, v7, v15
	v_pk_fma_f32 v[64:65], v[94:95], v[78:79], v[64:65] neg_lo:[0,0,1] neg_hi:[0,0,1]
	v_pk_fma_f32 v[66:67], v[96:97], v[80:81], v[66:67] neg_lo:[0,0,1] neg_hi:[0,0,1]
	v_dual_fmac_f32 v135, v119, v74 :: v_dual_mov_b32 v65, v77
	s_delay_alu instid0(VALU_DEP_4)
	v_dual_add_f32 v73, v7, v17 :: v_dual_mov_b32 v67, v93
	v_add_f32_e32 v72, v11, v13
	v_pk_mul_f32 v[68:69], v[128:129], v[68:69] op_sel_hi:[1,0]
	s_wait_loadcnt 0x3
	v_pk_mul_f32 v[70:71], v[100:101], v[84:85] op_sel:[1,1] op_sel_hi:[0,1]
	s_wait_loadcnt 0x2
	v_pk_mul_f32 v[76:77], v[104:105], v[88:89] op_sel:[1,1] op_sel_hi:[0,1]
	v_pk_add_f32 v[72:73], v[72:73], v[134:135]
	v_pk_fma_f32 v[78:79], v[98:99], v[82:83], v[68:69] op_sel_hi:[1,0,1]
	v_mov_b32_e32 v74, v87
	v_pk_fma_f32 v[68:69], v[98:99], v[82:83], v[68:69] neg_lo:[0,0,1] neg_hi:[0,0,1]
	s_delay_alu instid0(VALU_DEP_4) | instskip(NEXT) | instid1(VALU_DEP_4)
	v_pk_add_f32 v[72:73], v[72:73], v[136:137]
	v_mov_b32_e32 v69, v79
	s_delay_alu instid0(VALU_DEP_4) | instskip(NEXT) | instid1(VALU_DEP_3)
	v_pk_mul_f32 v[74:75], v[130:131], v[74:75] op_sel_hi:[1,0]
	v_pk_add_f32 v[64:65], v[72:73], v[64:65]
	v_pk_fma_f32 v[72:73], v[100:101], v[84:85], v[70:71] op_sel_hi:[1,0,1]
	v_pk_fma_f32 v[70:71], v[100:101], v[84:85], v[70:71] neg_lo:[0,0,1] neg_hi:[0,0,1]
	s_delay_alu instid0(VALU_DEP_3) | instskip(NEXT) | instid1(VALU_DEP_3)
	v_pk_add_f32 v[64:65], v[64:65], v[66:67]
	v_dual_mov_b32 v66, v91 :: v_dual_mov_b32 v71, v73
	v_pk_fma_f32 v[72:73], v[102:103], v[86:87], v[74:75] op_sel_hi:[1,0,1]
	v_pk_fma_f32 v[74:75], v[102:103], v[86:87], v[74:75] neg_lo:[0,0,1] neg_hi:[0,0,1]
	s_delay_alu instid0(VALU_DEP_4)
	v_pk_add_f32 v[64:65], v[64:65], v[68:69]
	v_pk_fma_f32 v[68:69], v[104:105], v[88:89], v[76:77] op_sel_hi:[1,0,1]
	v_pk_mul_f32 v[66:67], v[132:133], v[66:67] op_sel_hi:[1,0]
	v_mov_b32_e32 v75, v73
	s_wait_loadcnt_dscnt 0x100
	v_pk_mul_f32 v[72:73], v[124:125], v[120:121] op_sel:[1,1] op_sel_hi:[0,1]
	v_pk_add_f32 v[64:65], v[64:65], v[70:71]
	v_pk_fma_f32 v[70:71], v[104:105], v[88:89], v[76:77] neg_lo:[0,0,1] neg_hi:[0,0,1]
	v_mov_b32_e32 v71, v69
	v_pk_fma_f32 v[68:69], v[106:107], v[90:91], v[66:67] op_sel_hi:[1,0,1]
	v_pk_fma_f32 v[66:67], v[106:107], v[90:91], v[66:67] neg_lo:[0,0,1] neg_hi:[0,0,1]
	v_pk_add_f32 v[64:65], v[64:65], v[74:75]
	s_delay_alu instid0(VALU_DEP_3) | instskip(SKIP_1) | instid1(VALU_DEP_3)
	v_mov_b32_e32 v67, v69
	v_pk_fma_f32 v[68:69], v[124:125], v[120:121], v[72:73] op_sel_hi:[1,0,1]
	v_pk_add_f32 v[64:65], v[64:65], v[70:71]
	v_pk_fma_f32 v[70:71], v[124:125], v[120:121], v[72:73] neg_lo:[0,0,1] neg_hi:[0,0,1]
	s_delay_alu instid0(VALU_DEP_3) | instskip(NEXT) | instid1(VALU_DEP_3)
	v_mov_b32_e32 v71, v69
	v_pk_add_f32 v[64:65], v[64:65], v[66:67]
	s_delay_alu instid0(VALU_DEP_1) | instskip(SKIP_1) | instid1(VALU_DEP_1)
	v_pk_add_f32 v[64:65], v[64:65], v[70:71]
	s_wait_loadcnt 0x0
	v_pk_add_f32 v[64:65], v[122:123], v[64:65] neg_lo:[0,1] neg_hi:[0,1]
	scratch_store_b64 off, v[64:65], off offset:120
	s_wait_xcnt 0x0
	v_cmpx_lt_u32_e32 14, v0
	s_cbranch_execz .LBB30_171
; %bb.170:
	scratch_load_b64 v[64:65], off, off offset:112
	v_mov_b64_e32 v[66:67], 0
	scratch_store_b64 off, v[66:67], off offset:112
	s_wait_loadcnt 0x0
	ds_store_b64 v1, v[64:65]
.LBB30_171:
	s_wait_xcnt 0x0
	s_or_b32 exec_lo, exec_lo, s0
	s_wait_storecnt_dscnt 0x0
	s_barrier_signal -1
	s_barrier_wait -1
	s_clause 0x8
	scratch_load_b128 v[64:67], off, off offset:120
	scratch_load_b128 v[68:71], off, off offset:136
	;; [unrolled: 1-line block ×8, first 2 shown]
	scratch_load_b64 v[128:129], off, off offset:112
	ds_load_2addr_b64 v[96:99], v5 offset0:55 offset1:56
	ds_load_2addr_b64 v[100:103], v5 offset0:57 offset1:58
	;; [unrolled: 1-line block ×8, first 2 shown]
	s_mov_b32 s0, exec_lo
	s_wait_dscnt 0x7
	v_dual_mov_b32 v130, v99 :: v_dual_mov_b32 v131, v98
	s_wait_dscnt 0x6
	v_dual_mov_b32 v132, v103 :: v_dual_mov_b32 v133, v102
	;; [unrolled: 2-line block ×4, first 2 shown]
	s_wait_loadcnt_dscnt 0x803
	v_dual_mul_f32 v5, v112, v65 :: v_dual_mul_f32 v7, v114, v67
	v_dual_mul_f32 v19, v113, v65 :: v_dual_mul_f32 v21, v115, v67
	s_wait_loadcnt_dscnt 0x702
	v_dual_mul_f32 v11, v116, v69 :: v_dual_mul_f32 v13, v118, v71
	s_delay_alu instid0(VALU_DEP_2) | instskip(SKIP_3) | instid1(VALU_DEP_3)
	v_dual_fmac_f32 v5, v113, v64 :: v_dual_fma_f32 v19, v112, v64, -v19
	v_dual_mul_f32 v23, v117, v69 :: v_dual_mul_f32 v25, v119, v71
	s_wait_loadcnt_dscnt 0x500
	v_dual_mul_f32 v31, v125, v77 :: v_dual_fmac_f32 v7, v115, v66
	v_dual_fma_f32 v21, v114, v66, -v21 :: v_dual_add_f32 v5, 0, v5
	v_dual_add_f32 v19, 0, v19 :: v_dual_fmac_f32 v11, v117, v68
	v_dual_mul_f32 v33, v127, v79 :: v_dual_fma_f32 v23, v116, v68, -v23
	s_delay_alu instid0(VALU_DEP_2) | instskip(SKIP_2) | instid1(VALU_DEP_3)
	v_dual_add_f32 v5, v5, v7 :: v_dual_add_f32 v7, v19, v21
	v_dual_mul_f32 v15, v120, v73 :: v_dual_mul_f32 v17, v122, v75
	v_dual_mul_f32 v27, v121, v73 :: v_dual_mul_f32 v29, v123, v75
	v_dual_fmac_f32 v13, v119, v70 :: v_dual_add_f32 v5, v5, v11
	s_delay_alu instid0(VALU_DEP_4) | instskip(SKIP_2) | instid1(VALU_DEP_3)
	v_dual_fma_f32 v19, v118, v70, -v25 :: v_dual_add_f32 v7, v7, v23
	s_wait_loadcnt 0x4
	v_dual_mov_b32 v66, v83 :: v_dual_fmac_f32 v15, v121, v72
	v_dual_fma_f32 v11, v120, v72, -v27 :: v_dual_add_f32 v5, v5, v13
	s_delay_alu instid0(VALU_DEP_3) | instskip(SKIP_1) | instid1(VALU_DEP_3)
	v_dual_add_f32 v7, v7, v19 :: v_dual_fma_f32 v13, v122, v74, -v29
	v_dual_mul_f32 v139, v124, v77 :: v_dual_mul_f32 v141, v126, v79
	v_dual_fmac_f32 v17, v123, v74 :: v_dual_add_f32 v5, v5, v15
	s_delay_alu instid0(VALU_DEP_2)
	v_dual_add_f32 v7, v7, v11 :: v_dual_fmac_f32 v139, v125, v76
	v_pk_mul_f32 v[64:65], v[96:97], v[80:81] op_sel:[1,1] op_sel_hi:[0,1]
	s_wait_loadcnt 0x3
	v_dual_mov_b32 v70, v87 :: v_dual_fma_f32 v138, v124, v76, -v31
	v_dual_add_f32 v73, v5, v17 :: v_dual_fmac_f32 v141, v127, v78
	v_dual_add_f32 v72, v7, v13 :: v_dual_fma_f32 v140, v126, v78, -v33
	v_pk_fma_f32 v[74:75], v[96:97], v[80:81], v[64:65] op_sel_hi:[1,0,1]
	v_pk_mul_f32 v[66:67], v[130:131], v[66:67] op_sel_hi:[1,0]
	v_pk_fma_f32 v[64:65], v[96:97], v[80:81], v[64:65] neg_lo:[0,0,1] neg_hi:[0,0,1]
	s_delay_alu instid0(VALU_DEP_4)
	v_pk_add_f32 v[72:73], v[72:73], v[138:139]
	v_pk_mul_f32 v[68:69], v[100:101], v[84:85] op_sel:[1,1] op_sel_hi:[0,1]
	v_mov_b32_e32 v65, v75
	v_pk_fma_f32 v[74:75], v[98:99], v[82:83], v[66:67] op_sel_hi:[1,0,1]
	v_pk_fma_f32 v[66:67], v[98:99], v[82:83], v[66:67] neg_lo:[0,0,1] neg_hi:[0,0,1]
	v_pk_add_f32 v[72:73], v[72:73], v[140:141]
	v_pk_fma_f32 v[78:79], v[100:101], v[84:85], v[68:69] op_sel_hi:[1,0,1]
	v_pk_mul_f32 v[70:71], v[132:133], v[70:71] op_sel_hi:[1,0]
	v_mov_b32_e32 v67, v75
	s_wait_loadcnt 0x2
	v_pk_mul_f32 v[76:77], v[104:105], v[88:89] op_sel:[1,1] op_sel_hi:[0,1]
	v_pk_add_f32 v[64:65], v[72:73], v[64:65]
	v_mov_b32_e32 v72, v91
	v_pk_fma_f32 v[68:69], v[100:101], v[84:85], v[68:69] neg_lo:[0,0,1] neg_hi:[0,0,1]
	v_mov_b32_e32 v69, v79
	v_pk_fma_f32 v[74:75], v[102:103], v[86:87], v[70:71] op_sel_hi:[1,0,1]
	v_pk_add_f32 v[64:65], v[64:65], v[66:67]
	v_pk_fma_f32 v[66:67], v[104:105], v[88:89], v[76:77] op_sel_hi:[1,0,1]
	v_pk_mul_f32 v[72:73], v[134:135], v[72:73] op_sel_hi:[1,0]
	v_pk_fma_f32 v[70:71], v[102:103], v[86:87], v[70:71] neg_lo:[0,0,1] neg_hi:[0,0,1]
	v_mov_b32_e32 v71, v75
	v_pk_add_f32 v[64:65], v[64:65], v[68:69]
	v_pk_fma_f32 v[74:75], v[104:105], v[88:89], v[76:77] neg_lo:[0,0,1] neg_hi:[0,0,1]
	v_mov_b32_e32 v75, v67
	v_pk_fma_f32 v[66:67], v[106:107], v[90:91], v[72:73] op_sel_hi:[1,0,1]
	s_wait_loadcnt 0x1
	v_pk_mul_f32 v[68:69], v[108:109], v[92:93] op_sel:[1,1] op_sel_hi:[0,1]
	v_pk_add_f32 v[64:65], v[64:65], v[70:71]
	v_mov_b32_e32 v66, v95
	v_pk_fma_f32 v[72:73], v[106:107], v[90:91], v[72:73] neg_lo:[0,0,1] neg_hi:[0,0,1]
	v_mov_b32_e32 v73, v67
	v_pk_fma_f32 v[70:71], v[108:109], v[92:93], v[68:69] op_sel_hi:[1,0,1]
	v_pk_add_f32 v[64:65], v[64:65], v[74:75]
	v_pk_mul_f32 v[66:67], v[136:137], v[66:67] op_sel_hi:[1,0]
	v_pk_fma_f32 v[68:69], v[108:109], v[92:93], v[68:69] neg_lo:[0,0,1] neg_hi:[0,0,1]
	s_delay_alu instid0(VALU_DEP_4) | instskip(NEXT) | instid1(VALU_DEP_4)
	v_mov_b32_e32 v69, v71
	v_pk_add_f32 v[64:65], v[64:65], v[72:73]
	s_delay_alu instid0(VALU_DEP_4) | instskip(SKIP_1) | instid1(VALU_DEP_2)
	v_pk_fma_f32 v[70:71], v[110:111], v[94:95], v[66:67] op_sel_hi:[1,0,1]
	v_pk_fma_f32 v[66:67], v[110:111], v[94:95], v[66:67] neg_lo:[0,0,1] neg_hi:[0,0,1]
	v_mov_b32_e32 v67, v71
	s_delay_alu instid0(VALU_DEP_4) | instskip(NEXT) | instid1(VALU_DEP_1)
	v_pk_add_f32 v[64:65], v[64:65], v[68:69]
	v_pk_add_f32 v[64:65], v[64:65], v[66:67]
	s_wait_loadcnt 0x0
	s_delay_alu instid0(VALU_DEP_1)
	v_pk_add_f32 v[64:65], v[128:129], v[64:65] neg_lo:[0,1] neg_hi:[0,1]
	scratch_store_b64 off, v[64:65], off offset:112
	s_wait_xcnt 0x0
	v_cmpx_lt_u32_e32 13, v0
	s_cbranch_execz .LBB30_173
; %bb.172:
	scratch_load_b64 v[64:65], off, off offset:104
	v_mov_b64_e32 v[66:67], 0
	scratch_store_b64 off, v[66:67], off offset:104
	s_wait_loadcnt 0x0
	ds_store_b64 v1, v[64:65]
.LBB30_173:
	s_wait_xcnt 0x0
	s_or_b32 exec_lo, exec_lo, s0
	s_wait_storecnt_dscnt 0x0
	s_barrier_signal -1
	s_barrier_wait -1
	s_clause 0x9
	scratch_load_b128 v[64:67], off, off offset:112
	scratch_load_b128 v[68:71], off, off offset:128
	;; [unrolled: 1-line block ×8, first 2 shown]
	scratch_load_b64 v[128:129], off, off offset:240
	scratch_load_b64 v[130:131], off, off offset:104
	v_mov_b32_e32 v5, 0
	ds_load_b128 v[96:99], v5 offset:432
	ds_load_b128 v[100:103], v5 offset:448
	;; [unrolled: 1-line block ×8, first 2 shown]
	ds_load_b64 v[132:133], v5 offset:496
	s_mov_b32 s0, exec_lo
	s_wait_dscnt 0x8
	v_dual_mov_b32 v134, v99 :: v_dual_mov_b32 v135, v98
	s_wait_dscnt 0x5
	v_dual_mov_b32 v136, v103 :: v_dual_mov_b32 v141, v110
	v_dual_mov_b32 v137, v102 :: v_dual_mov_b32 v138, v107
	;; [unrolled: 1-line block ×3, first 2 shown]
	s_wait_loadcnt_dscnt 0x904
	v_dual_mul_f32 v7, v112, v65 :: v_dual_mul_f32 v23, v113, v65
	v_dual_mul_f32 v25, v115, v67 :: v_dual_mul_f32 v11, v114, v67
	s_wait_loadcnt_dscnt 0x803
	v_mul_f32_e32 v13, v116, v69
	s_wait_loadcnt_dscnt 0x601
	v_dual_mul_f32 v35, v125, v77 :: v_dual_fma_f32 v23, v112, v64, -v23
	v_dual_fmac_f32 v7, v113, v64 :: v_dual_mul_f32 v37, v127, v79
	v_dual_mul_f32 v27, v117, v69 :: v_dual_mul_f32 v29, v119, v71
	v_dual_fmac_f32 v11, v115, v66 :: v_dual_fma_f32 v25, v114, v66, -v25
	s_wait_loadcnt 0x5
	s_delay_alu instid0(VALU_DEP_3) | instskip(SKIP_2) | instid1(VALU_DEP_3)
	v_dual_add_f32 v7, 0, v7 :: v_dual_mul_f32 v39, v97, v81
	v_dual_add_f32 v23, 0, v23 :: v_dual_fmac_f32 v13, v117, v68
	v_dual_mul_f32 v15, v118, v71 :: v_dual_mul_f32 v17, v120, v73
	v_dual_fma_f32 v27, v116, v68, -v27 :: v_dual_add_f32 v7, v7, v11
	s_delay_alu instid0(VALU_DEP_3) | instskip(SKIP_3) | instid1(VALU_DEP_3)
	v_dual_add_f32 v11, v23, v25 :: v_dual_fma_f32 v23, v118, v70, -v29
	v_dual_mul_f32 v19, v122, v75 :: v_dual_mul_f32 v21, v124, v77
	v_dual_mul_f32 v31, v121, v73 :: v_dual_mul_f32 v33, v123, v75
	v_dual_mov_b32 v64, v83 :: v_dual_fmac_f32 v17, v121, v72
	v_dual_fmac_f32 v15, v119, v70 :: v_dual_fmac_f32 v21, v125, v76
	s_delay_alu instid0(VALU_DEP_3) | instskip(SKIP_1) | instid1(VALU_DEP_4)
	v_dual_add_f32 v7, v7, v13 :: v_dual_fma_f32 v13, v120, v72, -v31
	v_add_f32_e32 v11, v11, v27
	v_pk_mul_f32 v[64:65], v[134:135], v[64:65] op_sel_hi:[1,0]
	v_dual_mul_f32 v143, v126, v79 :: v_dual_mul_f32 v145, v96, v81
	s_delay_alu instid0(VALU_DEP_4) | instskip(NEXT) | instid1(VALU_DEP_4)
	v_dual_add_f32 v7, v7, v15 :: v_dual_fma_f32 v15, v122, v74, -v33
	v_dual_add_f32 v11, v11, v23 :: v_dual_fma_f32 v142, v126, v78, -v37
	s_delay_alu instid0(VALU_DEP_3) | instskip(NEXT) | instid1(VALU_DEP_2)
	v_dual_fmac_f32 v19, v123, v74 :: v_dual_fmac_f32 v145, v97, v80
	v_dual_fma_f32 v144, v96, v80, -v39 :: v_dual_add_f32 v11, v11, v13
	s_delay_alu instid0(VALU_DEP_4)
	v_dual_fma_f32 v13, v124, v76, -v35 :: v_dual_add_f32 v7, v7, v17
	v_pk_fma_f32 v[76:77], v[98:99], v[82:83], v[64:65] op_sel_hi:[1,0,1]
	v_pk_fma_f32 v[64:65], v[98:99], v[82:83], v[64:65] neg_lo:[0,0,1] neg_hi:[0,0,1]
	v_fmac_f32_e32 v143, v127, v78
	s_wait_loadcnt 0x4
	v_pk_mul_f32 v[66:67], v[100:101], v[84:85] op_sel:[1,1] op_sel_hi:[0,1]
	v_dual_add_f32 v7, v7, v19 :: v_dual_mov_b32 v65, v77
	v_add_f32_e32 v11, v11, v15
	s_wait_loadcnt 0x3
	v_dual_mov_b32 v68, v87 :: v_dual_mov_b32 v74, v91
	s_delay_alu instid0(VALU_DEP_3) | instskip(SKIP_2) | instid1(VALU_DEP_4)
	v_add_f32_e32 v73, v7, v21
	v_pk_fma_f32 v[78:79], v[100:101], v[84:85], v[66:67] op_sel_hi:[1,0,1]
	v_add_f32_e32 v72, v11, v13
	v_pk_mul_f32 v[68:69], v[136:137], v[68:69] op_sel_hi:[1,0]
	v_pk_fma_f32 v[66:67], v[100:101], v[84:85], v[66:67] neg_lo:[0,0,1] neg_hi:[0,0,1]
	v_pk_mul_f32 v[70:71], v[104:105], v[88:89] op_sel:[1,1] op_sel_hi:[0,1]
	v_mov_b32_e32 v67, v79
	v_pk_add_f32 v[72:73], v[72:73], v[142:143]
	v_pk_fma_f32 v[78:79], v[102:103], v[86:87], v[68:69] op_sel_hi:[1,0,1]
	v_pk_fma_f32 v[68:69], v[102:103], v[86:87], v[68:69] neg_lo:[0,0,1] neg_hi:[0,0,1]
	v_pk_mul_f32 v[74:75], v[138:139], v[74:75] op_sel_hi:[1,0]
	s_wait_loadcnt 0x2
	v_pk_mul_f32 v[76:77], v[108:109], v[92:93] op_sel:[1,1] op_sel_hi:[0,1]
	v_pk_add_f32 v[72:73], v[72:73], v[144:145]
	v_mov_b32_e32 v69, v79
	s_delay_alu instid0(VALU_DEP_2) | instskip(SKIP_2) | instid1(VALU_DEP_3)
	v_pk_add_f32 v[64:65], v[72:73], v[64:65]
	v_pk_fma_f32 v[72:73], v[104:105], v[88:89], v[70:71] op_sel_hi:[1,0,1]
	v_pk_fma_f32 v[70:71], v[104:105], v[88:89], v[70:71] neg_lo:[0,0,1] neg_hi:[0,0,1]
	v_pk_add_f32 v[64:65], v[64:65], v[66:67]
	s_delay_alu instid0(VALU_DEP_3) | instskip(SKIP_2) | instid1(VALU_DEP_4)
	v_dual_mov_b32 v66, v95 :: v_dual_mov_b32 v71, v73
	v_pk_fma_f32 v[72:73], v[106:107], v[90:91], v[74:75] op_sel_hi:[1,0,1]
	v_pk_fma_f32 v[74:75], v[106:107], v[90:91], v[74:75] neg_lo:[0,0,1] neg_hi:[0,0,1]
	v_pk_add_f32 v[64:65], v[64:65], v[68:69]
	v_pk_fma_f32 v[68:69], v[108:109], v[92:93], v[76:77] op_sel_hi:[1,0,1]
	v_pk_mul_f32 v[66:67], v[140:141], v[66:67] op_sel_hi:[1,0]
	v_mov_b32_e32 v75, v73
	s_wait_loadcnt_dscnt 0x100
	v_pk_mul_f32 v[72:73], v[132:133], v[128:129] op_sel:[1,1] op_sel_hi:[0,1]
	v_pk_add_f32 v[64:65], v[64:65], v[70:71]
	v_pk_fma_f32 v[70:71], v[108:109], v[92:93], v[76:77] neg_lo:[0,0,1] neg_hi:[0,0,1]
	v_mov_b32_e32 v71, v69
	v_pk_fma_f32 v[68:69], v[110:111], v[94:95], v[66:67] op_sel_hi:[1,0,1]
	v_pk_fma_f32 v[66:67], v[110:111], v[94:95], v[66:67] neg_lo:[0,0,1] neg_hi:[0,0,1]
	v_pk_add_f32 v[64:65], v[64:65], v[74:75]
	s_delay_alu instid0(VALU_DEP_3) | instskip(SKIP_1) | instid1(VALU_DEP_3)
	v_mov_b32_e32 v67, v69
	v_pk_fma_f32 v[68:69], v[132:133], v[128:129], v[72:73] op_sel_hi:[1,0,1]
	v_pk_add_f32 v[64:65], v[64:65], v[70:71]
	v_pk_fma_f32 v[70:71], v[132:133], v[128:129], v[72:73] neg_lo:[0,0,1] neg_hi:[0,0,1]
	s_delay_alu instid0(VALU_DEP_3) | instskip(NEXT) | instid1(VALU_DEP_3)
	v_mov_b32_e32 v71, v69
	v_pk_add_f32 v[64:65], v[64:65], v[66:67]
	s_delay_alu instid0(VALU_DEP_1) | instskip(SKIP_1) | instid1(VALU_DEP_1)
	v_pk_add_f32 v[64:65], v[64:65], v[70:71]
	s_wait_loadcnt 0x0
	v_pk_add_f32 v[64:65], v[130:131], v[64:65] neg_lo:[0,1] neg_hi:[0,1]
	scratch_store_b64 off, v[64:65], off offset:104
	s_wait_xcnt 0x0
	v_cmpx_lt_u32_e32 12, v0
	s_cbranch_execz .LBB30_175
; %bb.174:
	scratch_load_b64 v[64:65], off, off offset:96
	v_mov_b64_e32 v[66:67], 0
	scratch_store_b64 off, v[66:67], off offset:96
	s_wait_loadcnt 0x0
	ds_store_b64 v1, v[64:65]
.LBB30_175:
	s_wait_xcnt 0x0
	s_or_b32 exec_lo, exec_lo, s0
	s_wait_storecnt_dscnt 0x0
	s_barrier_signal -1
	s_barrier_wait -1
	s_clause 0x9
	scratch_load_b128 v[64:67], off, off offset:104
	scratch_load_b128 v[68:71], off, off offset:120
	;; [unrolled: 1-line block ×9, first 2 shown]
	scratch_load_b64 v[136:137], off, off offset:96
	ds_load_2addr_b64 v[100:103], v5 offset0:55 offset1:56
	ds_load_2addr_b64 v[104:107], v5 offset0:57 offset1:58
	ds_load_2addr_b64 v[108:111], v5 offset0:59 offset1:60
	ds_load_2addr_b64 v[112:115], v5 offset0:61 offset1:62
	ds_load_2addr_b64 v[116:119], v5 offset0:45 offset1:46
	ds_load_2addr_b64 v[120:123], v5 offset0:47 offset1:48
	ds_load_2addr_b64 v[124:127], v5 offset0:49 offset1:50
	ds_load_2addr_b64 v[128:131], v5 offset0:51 offset1:52
	ds_load_2addr_b64 v[132:135], v5 offset0:53 offset1:54
	s_mov_b32 s0, exec_lo
	s_wait_dscnt 0x8
	v_dual_mov_b32 v138, v103 :: v_dual_mov_b32 v139, v102
	s_wait_dscnt 0x7
	v_dual_mov_b32 v140, v107 :: v_dual_mov_b32 v141, v106
	;; [unrolled: 2-line block ×4, first 2 shown]
	s_wait_loadcnt_dscnt 0x904
	v_dual_mul_f32 v5, v116, v65 :: v_dual_mul_f32 v7, v118, v67
	v_dual_mul_f32 v23, v117, v65 :: v_dual_mul_f32 v25, v119, v67
	s_wait_loadcnt_dscnt 0x803
	v_dual_mul_f32 v11, v120, v69 :: v_dual_mul_f32 v13, v122, v71
	s_delay_alu instid0(VALU_DEP_2) | instskip(SKIP_3) | instid1(VALU_DEP_3)
	v_dual_fmac_f32 v5, v117, v64 :: v_dual_fma_f32 v23, v116, v64, -v23
	v_dual_mul_f32 v27, v121, v69 :: v_dual_mul_f32 v29, v123, v71
	s_wait_loadcnt_dscnt 0x601
	v_dual_mul_f32 v35, v129, v77 :: v_dual_fmac_f32 v7, v119, v66
	v_dual_fma_f32 v25, v118, v66, -v25 :: v_dual_add_f32 v5, 0, v5
	v_dual_add_f32 v23, 0, v23 :: v_dual_fmac_f32 v11, v121, v68
	v_dual_mul_f32 v37, v131, v79 :: v_dual_fma_f32 v27, v120, v68, -v27
	s_delay_alu instid0(VALU_DEP_2)
	v_dual_add_f32 v5, v5, v7 :: v_dual_add_f32 v7, v23, v25
	v_dual_mul_f32 v15, v124, v73 :: v_dual_mul_f32 v17, v126, v75
	v_dual_mul_f32 v31, v125, v73 :: v_dual_mul_f32 v33, v127, v75
	s_wait_loadcnt_dscnt 0x500
	v_dual_mul_f32 v23, v133, v81 :: v_dual_fmac_f32 v13, v123, v70
	v_dual_fma_f32 v25, v122, v70, -v29 :: v_dual_add_f32 v5, v5, v11
	v_dual_add_f32 v7, v7, v27 :: v_dual_fmac_f32 v15, v125, v72
	v_dual_mul_f32 v11, v135, v83 :: v_dual_fma_f32 v27, v124, v72, -v31
	s_delay_alu instid0(VALU_DEP_3) | instskip(NEXT) | instid1(VALU_DEP_3)
	v_dual_add_f32 v5, v5, v13 :: v_dual_fmac_f32 v17, v127, v74
	v_dual_add_f32 v7, v7, v25 :: v_dual_fma_f32 v13, v126, v74, -v33
	v_dual_mul_f32 v19, v128, v77 :: v_dual_mul_f32 v21, v130, v79
	s_wait_loadcnt 0x4
	s_delay_alu instid0(VALU_DEP_3) | instskip(NEXT) | instid1(VALU_DEP_2)
	v_dual_add_f32 v5, v5, v15 :: v_dual_mov_b32 v66, v87
	v_dual_add_f32 v7, v7, v27 :: v_dual_fmac_f32 v19, v129, v76
	s_delay_alu instid0(VALU_DEP_2) | instskip(SKIP_1) | instid1(VALU_DEP_3)
	v_dual_fma_f32 v15, v128, v76, -v35 :: v_dual_add_f32 v5, v5, v17
	v_dual_mul_f32 v147, v132, v81 :: v_dual_mul_f32 v149, v134, v83
	v_dual_add_f32 v7, v7, v13 :: v_dual_fma_f32 v13, v130, v78, -v37
	s_delay_alu instid0(VALU_DEP_3) | instskip(SKIP_1) | instid1(VALU_DEP_3)
	v_dual_fmac_f32 v21, v131, v78 :: v_dual_add_f32 v5, v5, v19
	v_pk_mul_f32 v[64:65], v[100:101], v[84:85] op_sel:[1,1] op_sel_hi:[0,1]
	v_dual_add_f32 v7, v7, v15 :: v_dual_fmac_f32 v147, v133, v80
	s_wait_loadcnt 0x3
	v_dual_mov_b32 v70, v91 :: v_dual_fma_f32 v146, v132, v80, -v23
	v_dual_add_f32 v73, v5, v21 :: v_dual_fmac_f32 v149, v135, v82
	s_delay_alu instid0(VALU_DEP_3) | instskip(SKIP_3) | instid1(VALU_DEP_4)
	v_dual_add_f32 v72, v7, v13 :: v_dual_fma_f32 v148, v134, v82, -v11
	v_pk_fma_f32 v[74:75], v[100:101], v[84:85], v[64:65] op_sel_hi:[1,0,1]
	v_pk_mul_f32 v[66:67], v[138:139], v[66:67] op_sel_hi:[1,0]
	v_pk_fma_f32 v[64:65], v[100:101], v[84:85], v[64:65] neg_lo:[0,0,1] neg_hi:[0,0,1]
	v_pk_add_f32 v[72:73], v[72:73], v[146:147]
	v_pk_mul_f32 v[68:69], v[104:105], v[88:89] op_sel:[1,1] op_sel_hi:[0,1]
	v_mov_b32_e32 v65, v75
	v_pk_fma_f32 v[74:75], v[102:103], v[86:87], v[66:67] op_sel_hi:[1,0,1]
	v_pk_fma_f32 v[66:67], v[102:103], v[86:87], v[66:67] neg_lo:[0,0,1] neg_hi:[0,0,1]
	v_pk_add_f32 v[72:73], v[72:73], v[148:149]
	v_pk_fma_f32 v[78:79], v[104:105], v[88:89], v[68:69] op_sel_hi:[1,0,1]
	v_pk_mul_f32 v[70:71], v[140:141], v[70:71] op_sel_hi:[1,0]
	v_mov_b32_e32 v67, v75
	s_wait_loadcnt 0x2
	v_pk_mul_f32 v[76:77], v[108:109], v[92:93] op_sel:[1,1] op_sel_hi:[0,1]
	v_pk_add_f32 v[64:65], v[72:73], v[64:65]
	v_mov_b32_e32 v72, v95
	v_pk_fma_f32 v[68:69], v[104:105], v[88:89], v[68:69] neg_lo:[0,0,1] neg_hi:[0,0,1]
	v_mov_b32_e32 v69, v79
	v_pk_fma_f32 v[74:75], v[106:107], v[90:91], v[70:71] op_sel_hi:[1,0,1]
	v_pk_add_f32 v[64:65], v[64:65], v[66:67]
	v_pk_fma_f32 v[66:67], v[108:109], v[92:93], v[76:77] op_sel_hi:[1,0,1]
	v_pk_mul_f32 v[72:73], v[142:143], v[72:73] op_sel_hi:[1,0]
	v_pk_fma_f32 v[70:71], v[106:107], v[90:91], v[70:71] neg_lo:[0,0,1] neg_hi:[0,0,1]
	v_mov_b32_e32 v71, v75
	v_pk_add_f32 v[64:65], v[64:65], v[68:69]
	v_pk_fma_f32 v[74:75], v[108:109], v[92:93], v[76:77] neg_lo:[0,0,1] neg_hi:[0,0,1]
	v_mov_b32_e32 v75, v67
	v_pk_fma_f32 v[66:67], v[110:111], v[94:95], v[72:73] op_sel_hi:[1,0,1]
	s_wait_loadcnt 0x1
	v_pk_mul_f32 v[68:69], v[112:113], v[96:97] op_sel:[1,1] op_sel_hi:[0,1]
	v_pk_add_f32 v[64:65], v[64:65], v[70:71]
	v_mov_b32_e32 v66, v99
	v_pk_fma_f32 v[72:73], v[110:111], v[94:95], v[72:73] neg_lo:[0,0,1] neg_hi:[0,0,1]
	v_mov_b32_e32 v73, v67
	v_pk_fma_f32 v[70:71], v[112:113], v[96:97], v[68:69] op_sel_hi:[1,0,1]
	v_pk_add_f32 v[64:65], v[64:65], v[74:75]
	v_pk_mul_f32 v[66:67], v[144:145], v[66:67] op_sel_hi:[1,0]
	v_pk_fma_f32 v[68:69], v[112:113], v[96:97], v[68:69] neg_lo:[0,0,1] neg_hi:[0,0,1]
	s_delay_alu instid0(VALU_DEP_4) | instskip(NEXT) | instid1(VALU_DEP_4)
	v_mov_b32_e32 v69, v71
	v_pk_add_f32 v[64:65], v[64:65], v[72:73]
	s_delay_alu instid0(VALU_DEP_4) | instskip(SKIP_1) | instid1(VALU_DEP_2)
	v_pk_fma_f32 v[70:71], v[114:115], v[98:99], v[66:67] op_sel_hi:[1,0,1]
	v_pk_fma_f32 v[66:67], v[114:115], v[98:99], v[66:67] neg_lo:[0,0,1] neg_hi:[0,0,1]
	v_mov_b32_e32 v67, v71
	s_delay_alu instid0(VALU_DEP_4) | instskip(NEXT) | instid1(VALU_DEP_1)
	v_pk_add_f32 v[64:65], v[64:65], v[68:69]
	v_pk_add_f32 v[64:65], v[64:65], v[66:67]
	s_wait_loadcnt 0x0
	s_delay_alu instid0(VALU_DEP_1)
	v_pk_add_f32 v[64:65], v[136:137], v[64:65] neg_lo:[0,1] neg_hi:[0,1]
	scratch_store_b64 off, v[64:65], off offset:96
	s_wait_xcnt 0x0
	v_cmpx_lt_u32_e32 11, v0
	s_cbranch_execz .LBB30_177
; %bb.176:
	scratch_load_b64 v[64:65], off, off offset:88
	v_mov_b64_e32 v[66:67], 0
	scratch_store_b64 off, v[66:67], off offset:88
	s_wait_loadcnt 0x0
	ds_store_b64 v1, v[64:65]
.LBB30_177:
	s_wait_xcnt 0x0
	s_or_b32 exec_lo, exec_lo, s0
	s_wait_storecnt_dscnt 0x0
	s_barrier_signal -1
	s_barrier_wait -1
	s_clause 0xa
	scratch_load_b128 v[64:67], off, off offset:96
	scratch_load_b128 v[68:71], off, off offset:112
	;; [unrolled: 1-line block ×9, first 2 shown]
	scratch_load_b64 v[136:137], off, off offset:240
	scratch_load_b64 v[138:139], off, off offset:88
	v_mov_b32_e32 v5, 0
	ds_load_b128 v[100:103], v5 offset:432
	ds_load_b128 v[104:107], v5 offset:448
	;; [unrolled: 1-line block ×9, first 2 shown]
	ds_load_b64 v[140:141], v5 offset:496
	s_mov_b32 s0, exec_lo
	s_wait_dscnt 0x9
	v_dual_mov_b32 v142, v103 :: v_dual_mov_b32 v143, v102
	s_wait_dscnt 0x6
	v_dual_mov_b32 v144, v107 :: v_dual_mov_b32 v149, v114
	v_dual_mov_b32 v145, v106 :: v_dual_mov_b32 v146, v111
	;; [unrolled: 1-line block ×3, first 2 shown]
	s_wait_loadcnt_dscnt 0xa05
	v_dual_mul_f32 v7, v116, v65 :: v_dual_mul_f32 v27, v117, v65
	v_dual_mul_f32 v29, v119, v67 :: v_dual_mul_f32 v11, v118, v67
	s_wait_loadcnt_dscnt 0x904
	v_mul_f32_e32 v13, v120, v69
	s_wait_loadcnt_dscnt 0x702
	v_dual_mul_f32 v39, v129, v77 :: v_dual_fma_f32 v27, v116, v64, -v27
	v_dual_fmac_f32 v7, v117, v64 :: v_dual_mul_f32 v41, v131, v79
	v_dual_mul_f32 v31, v121, v69 :: v_dual_mul_f32 v33, v123, v71
	v_dual_fmac_f32 v11, v119, v66 :: v_dual_fma_f32 v29, v118, v66, -v29
	s_wait_loadcnt_dscnt 0x601
	s_delay_alu instid0(VALU_DEP_3) | instskip(SKIP_2) | instid1(VALU_DEP_3)
	v_dual_add_f32 v7, 0, v7 :: v_dual_mul_f32 v43, v133, v81
	v_dual_add_f32 v27, 0, v27 :: v_dual_fmac_f32 v13, v121, v68
	v_dual_mul_f32 v15, v122, v71 :: v_dual_mul_f32 v17, v124, v73
	v_dual_fma_f32 v31, v120, v68, -v31 :: v_dual_add_f32 v7, v7, v11
	s_delay_alu instid0(VALU_DEP_3) | instskip(SKIP_1) | instid1(VALU_DEP_4)
	v_dual_add_f32 v11, v27, v29 :: v_dual_fma_f32 v29, v122, v70, -v33
	v_dual_mul_f32 v35, v125, v73 :: v_dual_mul_f32 v37, v127, v75
	v_dual_fmac_f32 v15, v123, v70 :: v_dual_fmac_f32 v17, v125, v72
	s_delay_alu instid0(VALU_DEP_4) | instskip(NEXT) | instid1(VALU_DEP_4)
	v_add_f32_e32 v7, v7, v13
	v_add_f32_e32 v11, v11, v31
	v_dual_mul_f32 v19, v126, v75 :: v_dual_mul_f32 v21, v128, v77
	s_delay_alu instid0(VALU_DEP_3) | instskip(NEXT) | instid1(VALU_DEP_3)
	v_dual_fma_f32 v31, v124, v72, -v35 :: v_dual_add_f32 v7, v7, v15
	v_dual_fma_f32 v15, v126, v74, -v37 :: v_dual_add_f32 v11, v11, v29
	v_dual_mul_f32 v23, v130, v79 :: v_dual_mul_f32 v25, v132, v81
	s_wait_loadcnt 0x4
	v_dual_mov_b32 v64, v87 :: v_dual_mov_b32 v68, v91
	v_dual_fmac_f32 v19, v127, v74 :: v_dual_fmac_f32 v21, v129, v76
	v_dual_add_f32 v7, v7, v17 :: v_dual_fma_f32 v17, v128, v76, -v39
	v_add_f32_e32 v11, v11, v31
	v_dual_mul_f32 v151, v134, v83 :: v_dual_mul_f32 v153, v100, v85
	v_dual_mul_f32 v27, v135, v83 :: v_dual_mul_f32 v13, v101, v85
	s_delay_alu instid0(VALU_DEP_3) | instskip(SKIP_1) | instid1(VALU_DEP_3)
	v_dual_add_f32 v11, v11, v15 :: v_dual_fma_f32 v15, v130, v78, -v41
	v_dual_fmac_f32 v25, v133, v80 :: v_dual_add_f32 v7, v7, v19
	v_fma_f32 v150, v134, v82, -v27
	v_pk_mul_f32 v[64:65], v[142:143], v[64:65] op_sel_hi:[1,0]
	v_dual_fmac_f32 v23, v131, v78 :: v_dual_fma_f32 v152, v100, v84, -v13
	v_dual_fmac_f32 v153, v101, v84 :: v_dual_add_f32 v11, v11, v17
	s_delay_alu instid0(VALU_DEP_3) | instskip(SKIP_2) | instid1(VALU_DEP_4)
	v_pk_fma_f32 v[76:77], v[102:103], v[86:87], v[64:65] op_sel_hi:[1,0,1]
	v_add_f32_e32 v7, v7, v21
	v_pk_fma_f32 v[64:65], v[102:103], v[86:87], v[64:65] neg_lo:[0,0,1] neg_hi:[0,0,1]
	v_dual_fma_f32 v17, v132, v80, -v43 :: v_dual_add_f32 v11, v11, v15
	s_delay_alu instid0(VALU_DEP_3) | instskip(SKIP_2) | instid1(VALU_DEP_4)
	v_dual_mov_b32 v65, v77 :: v_dual_add_f32 v7, v7, v23
	v_fmac_f32_e32 v151, v135, v82
	v_pk_mul_f32 v[66:67], v[104:105], v[88:89] op_sel:[1,1] op_sel_hi:[0,1]
	v_add_f32_e32 v72, v11, v17
	v_pk_mul_f32 v[68:69], v[144:145], v[68:69] op_sel_hi:[1,0]
	v_add_f32_e32 v73, v7, v25
	s_wait_loadcnt 0x3
	v_pk_mul_f32 v[70:71], v[108:109], v[92:93] op_sel:[1,1] op_sel_hi:[0,1]
	v_pk_fma_f32 v[78:79], v[104:105], v[88:89], v[66:67] op_sel_hi:[1,0,1]
	v_pk_fma_f32 v[66:67], v[104:105], v[88:89], v[66:67] neg_lo:[0,0,1] neg_hi:[0,0,1]
	v_mov_b32_e32 v74, v95
	v_pk_add_f32 v[72:73], v[72:73], v[150:151]
	s_wait_loadcnt 0x2
	v_pk_mul_f32 v[76:77], v[112:113], v[96:97] op_sel:[1,1] op_sel_hi:[0,1]
	v_mov_b32_e32 v67, v79
	v_pk_fma_f32 v[78:79], v[106:107], v[90:91], v[68:69] op_sel_hi:[1,0,1]
	v_pk_fma_f32 v[68:69], v[106:107], v[90:91], v[68:69] neg_lo:[0,0,1] neg_hi:[0,0,1]
	v_pk_add_f32 v[72:73], v[72:73], v[152:153]
	v_pk_mul_f32 v[74:75], v[146:147], v[74:75] op_sel_hi:[1,0]
	s_delay_alu instid0(VALU_DEP_4) | instskip(NEXT) | instid1(VALU_DEP_3)
	v_mov_b32_e32 v69, v79
	v_pk_add_f32 v[64:65], v[72:73], v[64:65]
	v_pk_fma_f32 v[72:73], v[108:109], v[92:93], v[70:71] op_sel_hi:[1,0,1]
	v_pk_fma_f32 v[70:71], v[108:109], v[92:93], v[70:71] neg_lo:[0,0,1] neg_hi:[0,0,1]
	s_delay_alu instid0(VALU_DEP_3) | instskip(NEXT) | instid1(VALU_DEP_3)
	v_pk_add_f32 v[64:65], v[64:65], v[66:67]
	v_dual_mov_b32 v66, v99 :: v_dual_mov_b32 v71, v73
	v_pk_fma_f32 v[72:73], v[110:111], v[94:95], v[74:75] op_sel_hi:[1,0,1]
	v_pk_fma_f32 v[74:75], v[110:111], v[94:95], v[74:75] neg_lo:[0,0,1] neg_hi:[0,0,1]
	s_delay_alu instid0(VALU_DEP_4)
	v_pk_add_f32 v[64:65], v[64:65], v[68:69]
	v_pk_fma_f32 v[68:69], v[112:113], v[96:97], v[76:77] op_sel_hi:[1,0,1]
	v_pk_mul_f32 v[66:67], v[148:149], v[66:67] op_sel_hi:[1,0]
	v_mov_b32_e32 v75, v73
	s_wait_loadcnt_dscnt 0x100
	v_pk_mul_f32 v[72:73], v[140:141], v[136:137] op_sel:[1,1] op_sel_hi:[0,1]
	v_pk_add_f32 v[64:65], v[64:65], v[70:71]
	v_pk_fma_f32 v[70:71], v[112:113], v[96:97], v[76:77] neg_lo:[0,0,1] neg_hi:[0,0,1]
	v_mov_b32_e32 v71, v69
	v_pk_fma_f32 v[68:69], v[114:115], v[98:99], v[66:67] op_sel_hi:[1,0,1]
	v_pk_fma_f32 v[66:67], v[114:115], v[98:99], v[66:67] neg_lo:[0,0,1] neg_hi:[0,0,1]
	v_pk_add_f32 v[64:65], v[64:65], v[74:75]
	s_delay_alu instid0(VALU_DEP_3) | instskip(SKIP_1) | instid1(VALU_DEP_3)
	v_mov_b32_e32 v67, v69
	v_pk_fma_f32 v[68:69], v[140:141], v[136:137], v[72:73] op_sel_hi:[1,0,1]
	v_pk_add_f32 v[64:65], v[64:65], v[70:71]
	v_pk_fma_f32 v[70:71], v[140:141], v[136:137], v[72:73] neg_lo:[0,0,1] neg_hi:[0,0,1]
	s_delay_alu instid0(VALU_DEP_3) | instskip(NEXT) | instid1(VALU_DEP_3)
	v_mov_b32_e32 v71, v69
	v_pk_add_f32 v[64:65], v[64:65], v[66:67]
	s_delay_alu instid0(VALU_DEP_1) | instskip(SKIP_1) | instid1(VALU_DEP_1)
	v_pk_add_f32 v[64:65], v[64:65], v[70:71]
	s_wait_loadcnt 0x0
	v_pk_add_f32 v[64:65], v[138:139], v[64:65] neg_lo:[0,1] neg_hi:[0,1]
	scratch_store_b64 off, v[64:65], off offset:88
	s_wait_xcnt 0x0
	v_cmpx_lt_u32_e32 10, v0
	s_cbranch_execz .LBB30_179
; %bb.178:
	scratch_load_b64 v[64:65], off, off offset:80
	v_mov_b64_e32 v[66:67], 0
	scratch_store_b64 off, v[66:67], off offset:80
	s_wait_loadcnt 0x0
	ds_store_b64 v1, v[64:65]
.LBB30_179:
	s_wait_xcnt 0x0
	s_or_b32 exec_lo, exec_lo, s0
	s_wait_storecnt_dscnt 0x0
	s_barrier_signal -1
	s_barrier_wait -1
	s_clause 0xa
	scratch_load_b128 v[64:67], off, off offset:88
	scratch_load_b128 v[68:71], off, off offset:104
	;; [unrolled: 1-line block ×10, first 2 shown]
	scratch_load_b64 v[144:145], off, off offset:80
	ds_load_2addr_b64 v[104:107], v5 offset0:55 offset1:56
	ds_load_2addr_b64 v[108:111], v5 offset0:57 offset1:58
	;; [unrolled: 1-line block ×10, first 2 shown]
	s_mov_b32 s0, exec_lo
	s_wait_dscnt 0x9
	v_dual_mov_b32 v146, v107 :: v_dual_mov_b32 v147, v106
	s_wait_dscnt 0x8
	v_dual_mov_b32 v148, v111 :: v_dual_mov_b32 v149, v110
	;; [unrolled: 2-line block ×4, first 2 shown]
	s_wait_loadcnt_dscnt 0xa05
	v_dual_mul_f32 v5, v120, v65 :: v_dual_mul_f32 v7, v122, v67
	v_dual_mul_f32 v27, v121, v65 :: v_dual_mul_f32 v29, v123, v67
	s_wait_loadcnt_dscnt 0x904
	v_dual_mul_f32 v11, v124, v69 :: v_dual_mul_f32 v13, v126, v71
	s_delay_alu instid0(VALU_DEP_2) | instskip(SKIP_3) | instid1(VALU_DEP_3)
	v_dual_fmac_f32 v5, v121, v64 :: v_dual_fma_f32 v27, v120, v64, -v27
	v_dual_mul_f32 v31, v125, v69 :: v_dual_mul_f32 v33, v127, v71
	s_wait_loadcnt_dscnt 0x702
	v_dual_mul_f32 v39, v133, v77 :: v_dual_fmac_f32 v7, v123, v66
	v_dual_fma_f32 v29, v122, v66, -v29 :: v_dual_add_f32 v5, 0, v5
	v_dual_add_f32 v27, 0, v27 :: v_dual_fmac_f32 v11, v125, v68
	v_dual_mul_f32 v41, v135, v79 :: v_dual_fma_f32 v31, v124, v68, -v31
	s_delay_alu instid0(VALU_DEP_2)
	v_dual_add_f32 v5, v5, v7 :: v_dual_add_f32 v7, v27, v29
	v_dual_mul_f32 v15, v128, v73 :: v_dual_mul_f32 v17, v130, v75
	v_dual_mul_f32 v35, v129, v73 :: v_dual_mul_f32 v37, v131, v75
	s_wait_loadcnt_dscnt 0x601
	v_dual_mul_f32 v27, v137, v81 :: v_dual_fmac_f32 v13, v127, v70
	v_dual_fma_f32 v29, v126, v70, -v33 :: v_dual_add_f32 v5, v5, v11
	v_dual_add_f32 v7, v7, v31 :: v_dual_fmac_f32 v15, v129, v72
	v_dual_mul_f32 v11, v139, v83 :: v_dual_fma_f32 v31, v128, v72, -v35
	s_delay_alu instid0(VALU_DEP_3) | instskip(NEXT) | instid1(VALU_DEP_3)
	v_dual_add_f32 v5, v5, v13 :: v_dual_fmac_f32 v17, v131, v74
	v_dual_add_f32 v7, v7, v29 :: v_dual_fma_f32 v29, v130, v74, -v37
	v_dual_mul_f32 v19, v132, v77 :: v_dual_mul_f32 v21, v134, v79
	s_wait_loadcnt_dscnt 0x500
	s_delay_alu instid0(VALU_DEP_2) | instskip(SKIP_1) | instid1(VALU_DEP_3)
	v_dual_mul_f32 v13, v141, v85 :: v_dual_add_f32 v7, v7, v31
	v_dual_add_f32 v5, v5, v15 :: v_dual_fma_f32 v31, v132, v76, -v39
	v_dual_mul_f32 v15, v143, v87 :: v_dual_fmac_f32 v19, v133, v76
	s_delay_alu instid0(VALU_DEP_3) | instskip(NEXT) | instid1(VALU_DEP_3)
	v_add_f32_e32 v7, v7, v29
	v_dual_add_f32 v5, v5, v17 :: v_dual_fmac_f32 v21, v135, v78
	v_dual_mul_f32 v23, v136, v81 :: v_dual_mul_f32 v25, v138, v83
	s_delay_alu instid0(VALU_DEP_2) | instskip(SKIP_2) | instid1(VALU_DEP_3)
	v_dual_fma_f32 v17, v134, v78, -v41 :: v_dual_add_f32 v5, v5, v19
	s_wait_loadcnt 0x4
	v_mov_b32_e32 v66, v91
	v_dual_add_f32 v7, v7, v31 :: v_dual_fmac_f32 v23, v137, v80
	s_delay_alu instid0(VALU_DEP_3) | instskip(SKIP_1) | instid1(VALU_DEP_3)
	v_dual_fma_f32 v19, v136, v80, -v27 :: v_dual_add_f32 v5, v5, v21
	v_dual_mul_f32 v155, v140, v85 :: v_dual_mul_f32 v157, v142, v87
	v_dual_add_f32 v7, v7, v17 :: v_dual_fma_f32 v11, v138, v82, -v11
	s_delay_alu instid0(VALU_DEP_3) | instskip(SKIP_1) | instid1(VALU_DEP_3)
	v_dual_fmac_f32 v25, v139, v82 :: v_dual_add_f32 v5, v5, v23
	v_pk_mul_f32 v[64:65], v[104:105], v[88:89] op_sel:[1,1] op_sel_hi:[0,1]
	v_dual_add_f32 v7, v7, v19 :: v_dual_fmac_f32 v155, v141, v84
	s_wait_loadcnt 0x3
	v_dual_mov_b32 v70, v95 :: v_dual_fma_f32 v154, v140, v84, -v13
	s_delay_alu instid0(VALU_DEP_2) | instskip(SKIP_3) | instid1(VALU_DEP_4)
	v_dual_add_f32 v73, v5, v25 :: v_dual_add_f32 v72, v7, v11
	v_dual_fmac_f32 v157, v143, v86 :: v_dual_fma_f32 v156, v142, v86, -v15
	v_pk_fma_f32 v[74:75], v[104:105], v[88:89], v[64:65] op_sel_hi:[1,0,1]
	v_pk_mul_f32 v[66:67], v[146:147], v[66:67] op_sel_hi:[1,0]
	v_pk_add_f32 v[72:73], v[72:73], v[154:155]
	v_pk_fma_f32 v[64:65], v[104:105], v[88:89], v[64:65] neg_lo:[0,0,1] neg_hi:[0,0,1]
	v_pk_mul_f32 v[68:69], v[108:109], v[92:93] op_sel:[1,1] op_sel_hi:[0,1]
	v_mov_b32_e32 v65, v75
	v_pk_fma_f32 v[74:75], v[106:107], v[90:91], v[66:67] op_sel_hi:[1,0,1]
	v_pk_add_f32 v[72:73], v[72:73], v[156:157]
	v_pk_fma_f32 v[66:67], v[106:107], v[90:91], v[66:67] neg_lo:[0,0,1] neg_hi:[0,0,1]
	v_pk_fma_f32 v[78:79], v[108:109], v[92:93], v[68:69] op_sel_hi:[1,0,1]
	v_pk_mul_f32 v[70:71], v[148:149], v[70:71] op_sel_hi:[1,0]
	v_mov_b32_e32 v67, v75
	v_pk_add_f32 v[64:65], v[72:73], v[64:65]
	s_wait_loadcnt 0x2
	v_pk_mul_f32 v[76:77], v[112:113], v[96:97] op_sel:[1,1] op_sel_hi:[0,1]
	v_mov_b32_e32 v72, v99
	v_pk_fma_f32 v[68:69], v[108:109], v[92:93], v[68:69] neg_lo:[0,0,1] neg_hi:[0,0,1]
	v_mov_b32_e32 v69, v79
	v_pk_fma_f32 v[74:75], v[110:111], v[94:95], v[70:71] op_sel_hi:[1,0,1]
	v_pk_add_f32 v[64:65], v[64:65], v[66:67]
	v_pk_fma_f32 v[66:67], v[112:113], v[96:97], v[76:77] op_sel_hi:[1,0,1]
	v_pk_mul_f32 v[72:73], v[150:151], v[72:73] op_sel_hi:[1,0]
	v_pk_fma_f32 v[70:71], v[110:111], v[94:95], v[70:71] neg_lo:[0,0,1] neg_hi:[0,0,1]
	v_mov_b32_e32 v71, v75
	v_pk_add_f32 v[64:65], v[64:65], v[68:69]
	v_pk_fma_f32 v[74:75], v[112:113], v[96:97], v[76:77] neg_lo:[0,0,1] neg_hi:[0,0,1]
	v_mov_b32_e32 v75, v67
	v_pk_fma_f32 v[66:67], v[114:115], v[98:99], v[72:73] op_sel_hi:[1,0,1]
	s_wait_loadcnt 0x1
	v_pk_mul_f32 v[68:69], v[116:117], v[100:101] op_sel:[1,1] op_sel_hi:[0,1]
	v_pk_add_f32 v[64:65], v[64:65], v[70:71]
	v_mov_b32_e32 v66, v103
	v_pk_fma_f32 v[72:73], v[114:115], v[98:99], v[72:73] neg_lo:[0,0,1] neg_hi:[0,0,1]
	v_mov_b32_e32 v73, v67
	v_pk_fma_f32 v[70:71], v[116:117], v[100:101], v[68:69] op_sel_hi:[1,0,1]
	v_pk_add_f32 v[64:65], v[64:65], v[74:75]
	v_pk_mul_f32 v[66:67], v[152:153], v[66:67] op_sel_hi:[1,0]
	v_pk_fma_f32 v[68:69], v[116:117], v[100:101], v[68:69] neg_lo:[0,0,1] neg_hi:[0,0,1]
	s_delay_alu instid0(VALU_DEP_4) | instskip(NEXT) | instid1(VALU_DEP_4)
	v_mov_b32_e32 v69, v71
	v_pk_add_f32 v[64:65], v[64:65], v[72:73]
	s_delay_alu instid0(VALU_DEP_4) | instskip(SKIP_1) | instid1(VALU_DEP_2)
	v_pk_fma_f32 v[70:71], v[118:119], v[102:103], v[66:67] op_sel_hi:[1,0,1]
	v_pk_fma_f32 v[66:67], v[118:119], v[102:103], v[66:67] neg_lo:[0,0,1] neg_hi:[0,0,1]
	v_mov_b32_e32 v67, v71
	s_delay_alu instid0(VALU_DEP_4) | instskip(NEXT) | instid1(VALU_DEP_1)
	v_pk_add_f32 v[64:65], v[64:65], v[68:69]
	v_pk_add_f32 v[64:65], v[64:65], v[66:67]
	s_wait_loadcnt 0x0
	s_delay_alu instid0(VALU_DEP_1)
	v_pk_add_f32 v[64:65], v[144:145], v[64:65] neg_lo:[0,1] neg_hi:[0,1]
	scratch_store_b64 off, v[64:65], off offset:80
	s_wait_xcnt 0x0
	v_cmpx_lt_u32_e32 9, v0
	s_cbranch_execz .LBB30_181
; %bb.180:
	scratch_load_b64 v[64:65], off, off offset:72
	v_mov_b64_e32 v[66:67], 0
	scratch_store_b64 off, v[66:67], off offset:72
	s_wait_loadcnt 0x0
	ds_store_b64 v1, v[64:65]
.LBB30_181:
	s_wait_xcnt 0x0
	s_or_b32 exec_lo, exec_lo, s0
	s_wait_storecnt_dscnt 0x0
	s_barrier_signal -1
	s_barrier_wait -1
	s_clause 0xb
	scratch_load_b128 v[64:67], off, off offset:80
	scratch_load_b128 v[68:71], off, off offset:96
	;; [unrolled: 1-line block ×10, first 2 shown]
	scratch_load_b64 v[144:145], off, off offset:240
	scratch_load_b64 v[146:147], off, off offset:72
	v_mov_b32_e32 v5, 0
	ds_load_b128 v[104:107], v5 offset:432
	ds_load_b128 v[108:111], v5 offset:448
	;; [unrolled: 1-line block ×10, first 2 shown]
	ds_load_b64 v[148:149], v5 offset:496
	s_mov_b32 s0, exec_lo
	s_wait_dscnt 0xa
	v_dual_mov_b32 v150, v107 :: v_dual_mov_b32 v151, v106
	s_wait_dscnt 0x7
	v_dual_mov_b32 v152, v111 :: v_dual_mov_b32 v157, v118
	v_dual_mov_b32 v153, v110 :: v_dual_mov_b32 v154, v115
	;; [unrolled: 1-line block ×3, first 2 shown]
	s_wait_loadcnt_dscnt 0xb06
	v_dual_mul_f32 v7, v120, v65 :: v_dual_mul_f32 v11, v122, v67
	s_wait_loadcnt_dscnt 0xa05
	v_mul_f32_e32 v13, v124, v69
	v_dual_mul_f32 v31, v121, v65 :: v_dual_mul_f32 v33, v123, v67
	s_wait_loadcnt_dscnt 0x803
	v_dual_fmac_f32 v7, v121, v64 :: v_dual_mul_f32 v45, v135, v79
	v_dual_mul_f32 v35, v125, v69 :: v_dual_mul_f32 v37, v127, v71
	s_delay_alu instid0(VALU_DEP_3)
	v_dual_mul_f32 v43, v133, v77 :: v_dual_fma_f32 v31, v120, v64, -v31
	v_dual_fmac_f32 v11, v123, v66 :: v_dual_fma_f32 v33, v122, v66, -v33
	s_wait_loadcnt_dscnt 0x702
	v_dual_add_f32 v7, 0, v7 :: v_dual_mul_f32 v47, v137, v81
	v_dual_mul_f32 v15, v126, v71 :: v_dual_mul_f32 v17, v128, v73
	v_dual_add_f32 v31, 0, v31 :: v_dual_fmac_f32 v13, v125, v68
	s_delay_alu instid0(VALU_DEP_3) | instskip(SKIP_1) | instid1(VALU_DEP_3)
	v_dual_fma_f32 v35, v124, v68, -v35 :: v_dual_add_f32 v7, v7, v11
	v_dual_mul_f32 v39, v129, v73 :: v_dual_mul_f32 v41, v131, v75
	v_dual_add_f32 v11, v31, v33 :: v_dual_fma_f32 v33, v126, v70, -v37
	v_dual_fmac_f32 v15, v127, v70 :: v_dual_fmac_f32 v17, v129, v72
	s_delay_alu instid0(VALU_DEP_4) | instskip(NEXT) | instid1(VALU_DEP_3)
	v_dual_add_f32 v7, v7, v13 :: v_dual_mul_f32 v19, v130, v75
	v_dual_mul_f32 v21, v132, v77 :: v_dual_add_f32 v11, v11, v35
	s_delay_alu instid0(VALU_DEP_2) | instskip(SKIP_1) | instid1(VALU_DEP_3)
	v_dual_fma_f32 v35, v128, v72, -v39 :: v_dual_add_f32 v7, v7, v15
	v_dual_mul_f32 v23, v134, v79 :: v_dual_mul_f32 v25, v136, v81
	v_dual_add_f32 v11, v11, v33 :: v_dual_fmac_f32 v21, v133, v76
	v_fmac_f32_e32 v19, v131, v74
	s_delay_alu instid0(VALU_DEP_4) | instskip(SKIP_3) | instid1(VALU_DEP_3)
	v_add_f32_e32 v7, v7, v17
	s_wait_loadcnt_dscnt 0x601
	v_dual_mul_f32 v31, v139, v83 :: v_dual_mul_f32 v13, v141, v85
	v_dual_fma_f32 v33, v130, v74, -v41 :: v_dual_add_f32 v11, v11, v35
	v_dual_fmac_f32 v25, v137, v80 :: v_dual_add_f32 v7, v7, v19
	v_dual_mul_f32 v27, v138, v83 :: v_dual_mul_f32 v29, v140, v85
	v_dual_mul_f32 v15, v143, v87 :: v_dual_fma_f32 v35, v132, v76, -v43
	s_wait_loadcnt 0x4
	v_dual_mov_b32 v64, v91 :: v_dual_mov_b32 v68, v95
	s_delay_alu instid0(VALU_DEP_2) | instskip(SKIP_4) | instid1(VALU_DEP_4)
	v_dual_add_f32 v7, v7, v21 :: v_dual_fma_f32 v158, v142, v86, -v15
	v_dual_fma_f32 v21, v136, v80, -v47 :: v_dual_add_f32 v11, v11, v33
	v_dual_fmac_f32 v29, v141, v84 :: v_dual_mul_f32 v159, v142, v87
	v_dual_mul_f32 v161, v104, v89 :: v_dual_fmac_f32 v23, v135, v78
	v_fma_f32 v13, v140, v84, -v13
	v_dual_fma_f32 v19, v134, v78, -v45 :: v_dual_add_f32 v11, v11, v35
	s_delay_alu instid0(VALU_DEP_3) | instskip(SKIP_4) | instid1(VALU_DEP_4)
	v_fmac_f32_e32 v161, v105, v88
	v_pk_mul_f32 v[64:65], v[150:151], v[64:65] op_sel_hi:[1,0]
	v_dual_mul_f32 v17, v105, v89 :: v_dual_add_f32 v7, v7, v23
	v_fmac_f32_e32 v27, v139, v82
	v_fmac_f32_e32 v159, v143, v86
	v_pk_fma_f32 v[76:77], v[106:107], v[90:91], v[64:65] op_sel_hi:[1,0,1]
	v_add_f32_e32 v11, v11, v19
	v_pk_fma_f32 v[64:65], v[106:107], v[90:91], v[64:65] neg_lo:[0,0,1] neg_hi:[0,0,1]
	v_dual_fma_f32 v19, v138, v82, -v31 :: v_dual_fma_f32 v160, v104, v88, -v17
	s_delay_alu instid0(VALU_DEP_4) | instskip(NEXT) | instid1(VALU_DEP_4)
	v_dual_add_f32 v7, v7, v25 :: v_dual_mov_b32 v65, v77
	v_add_f32_e32 v11, v11, v21
	v_pk_mul_f32 v[66:67], v[108:109], v[92:93] op_sel:[1,1] op_sel_hi:[0,1]
	v_pk_mul_f32 v[68:69], v[152:153], v[68:69] op_sel_hi:[1,0]
	s_delay_alu instid0(VALU_DEP_4)
	v_add_f32_e32 v7, v7, v27
	s_wait_loadcnt 0x3
	v_pk_mul_f32 v[70:71], v[112:113], v[96:97] op_sel:[1,1] op_sel_hi:[0,1]
	v_add_f32_e32 v11, v11, v19
	v_pk_fma_f32 v[78:79], v[108:109], v[92:93], v[66:67] op_sel_hi:[1,0,1]
	v_pk_fma_f32 v[66:67], v[108:109], v[92:93], v[66:67] neg_lo:[0,0,1] neg_hi:[0,0,1]
	v_add_f32_e32 v73, v7, v29
	v_mov_b32_e32 v74, v99
	v_add_f32_e32 v72, v11, v13
	v_mov_b32_e32 v67, v79
	v_pk_fma_f32 v[78:79], v[110:111], v[94:95], v[68:69] op_sel_hi:[1,0,1]
	v_pk_fma_f32 v[68:69], v[110:111], v[94:95], v[68:69] neg_lo:[0,0,1] neg_hi:[0,0,1]
	v_pk_mul_f32 v[74:75], v[154:155], v[74:75] op_sel_hi:[1,0]
	v_pk_add_f32 v[72:73], v[72:73], v[158:159]
	s_wait_loadcnt 0x2
	v_pk_mul_f32 v[76:77], v[116:117], v[100:101] op_sel:[1,1] op_sel_hi:[0,1]
	v_mov_b32_e32 v69, v79
	s_delay_alu instid0(VALU_DEP_3) | instskip(NEXT) | instid1(VALU_DEP_1)
	v_pk_add_f32 v[72:73], v[72:73], v[160:161]
	v_pk_add_f32 v[64:65], v[72:73], v[64:65]
	v_pk_fma_f32 v[72:73], v[112:113], v[96:97], v[70:71] op_sel_hi:[1,0,1]
	v_pk_fma_f32 v[70:71], v[112:113], v[96:97], v[70:71] neg_lo:[0,0,1] neg_hi:[0,0,1]
	s_delay_alu instid0(VALU_DEP_3) | instskip(NEXT) | instid1(VALU_DEP_3)
	v_pk_add_f32 v[64:65], v[64:65], v[66:67]
	v_dual_mov_b32 v66, v103 :: v_dual_mov_b32 v71, v73
	v_pk_fma_f32 v[72:73], v[114:115], v[98:99], v[74:75] op_sel_hi:[1,0,1]
	v_pk_fma_f32 v[74:75], v[114:115], v[98:99], v[74:75] neg_lo:[0,0,1] neg_hi:[0,0,1]
	s_delay_alu instid0(VALU_DEP_4)
	v_pk_add_f32 v[64:65], v[64:65], v[68:69]
	v_pk_fma_f32 v[68:69], v[116:117], v[100:101], v[76:77] op_sel_hi:[1,0,1]
	v_pk_mul_f32 v[66:67], v[156:157], v[66:67] op_sel_hi:[1,0]
	v_mov_b32_e32 v75, v73
	s_wait_loadcnt_dscnt 0x100
	v_pk_mul_f32 v[72:73], v[148:149], v[144:145] op_sel:[1,1] op_sel_hi:[0,1]
	v_pk_add_f32 v[64:65], v[64:65], v[70:71]
	v_pk_fma_f32 v[70:71], v[116:117], v[100:101], v[76:77] neg_lo:[0,0,1] neg_hi:[0,0,1]
	v_mov_b32_e32 v71, v69
	v_pk_fma_f32 v[68:69], v[118:119], v[102:103], v[66:67] op_sel_hi:[1,0,1]
	v_pk_fma_f32 v[66:67], v[118:119], v[102:103], v[66:67] neg_lo:[0,0,1] neg_hi:[0,0,1]
	v_pk_add_f32 v[64:65], v[64:65], v[74:75]
	s_delay_alu instid0(VALU_DEP_3) | instskip(SKIP_1) | instid1(VALU_DEP_3)
	v_mov_b32_e32 v67, v69
	v_pk_fma_f32 v[68:69], v[148:149], v[144:145], v[72:73] op_sel_hi:[1,0,1]
	v_pk_add_f32 v[64:65], v[64:65], v[70:71]
	v_pk_fma_f32 v[70:71], v[148:149], v[144:145], v[72:73] neg_lo:[0,0,1] neg_hi:[0,0,1]
	s_delay_alu instid0(VALU_DEP_3) | instskip(NEXT) | instid1(VALU_DEP_3)
	v_mov_b32_e32 v71, v69
	v_pk_add_f32 v[64:65], v[64:65], v[66:67]
	s_delay_alu instid0(VALU_DEP_1) | instskip(SKIP_1) | instid1(VALU_DEP_1)
	v_pk_add_f32 v[64:65], v[64:65], v[70:71]
	s_wait_loadcnt 0x0
	v_pk_add_f32 v[64:65], v[146:147], v[64:65] neg_lo:[0,1] neg_hi:[0,1]
	scratch_store_b64 off, v[64:65], off offset:72
	s_wait_xcnt 0x0
	v_cmpx_lt_u32_e32 8, v0
	s_cbranch_execz .LBB30_183
; %bb.182:
	scratch_load_b64 v[64:65], off, off offset:64
	v_mov_b64_e32 v[66:67], 0
	scratch_store_b64 off, v[66:67], off offset:64
	s_wait_loadcnt 0x0
	ds_store_b64 v1, v[64:65]
.LBB30_183:
	s_wait_xcnt 0x0
	s_or_b32 exec_lo, exec_lo, s0
	s_wait_storecnt_dscnt 0x0
	s_barrier_signal -1
	s_barrier_wait -1
	s_clause 0xb
	scratch_load_b128 v[64:67], off, off offset:72
	scratch_load_b128 v[68:71], off, off offset:88
	scratch_load_b128 v[72:75], off, off offset:104
	scratch_load_b128 v[76:79], off, off offset:120
	scratch_load_b128 v[80:83], off, off offset:136
	scratch_load_b128 v[84:87], off, off offset:152
	scratch_load_b128 v[88:91], off, off offset:168
	scratch_load_b128 v[92:95], off, off offset:184
	scratch_load_b128 v[96:99], off, off offset:200
	scratch_load_b128 v[100:103], off, off offset:216
	scratch_load_b128 v[104:107], off, off offset:232
	scratch_load_b64 v[152:153], off, off offset:64
	ds_load_2addr_b64 v[108:111], v5 offset0:55 offset1:56
	ds_load_2addr_b64 v[112:115], v5 offset0:57 offset1:58
	;; [unrolled: 1-line block ×11, first 2 shown]
	s_mov_b32 s0, exec_lo
	s_wait_dscnt 0xa
	v_dual_mov_b32 v154, v111 :: v_dual_mov_b32 v155, v110
	s_wait_dscnt 0x9
	v_dual_mov_b32 v156, v115 :: v_dual_mov_b32 v157, v114
	;; [unrolled: 2-line block ×4, first 2 shown]
	s_wait_loadcnt_dscnt 0xb06
	v_dual_mul_f32 v5, v124, v65 :: v_dual_mul_f32 v7, v126, v67
	v_dual_mul_f32 v31, v125, v65 :: v_dual_mul_f32 v33, v127, v67
	s_wait_loadcnt_dscnt 0xa05
	v_dual_mul_f32 v11, v128, v69 :: v_dual_mul_f32 v13, v130, v71
	s_delay_alu instid0(VALU_DEP_2) | instskip(SKIP_3) | instid1(VALU_DEP_3)
	v_dual_fmac_f32 v5, v125, v64 :: v_dual_fma_f32 v31, v124, v64, -v31
	v_dual_mul_f32 v35, v129, v69 :: v_dual_mul_f32 v37, v131, v71
	s_wait_loadcnt_dscnt 0x803
	v_dual_mul_f32 v43, v137, v77 :: v_dual_fmac_f32 v7, v127, v66
	v_dual_fma_f32 v33, v126, v66, -v33 :: v_dual_add_f32 v5, 0, v5
	v_dual_add_f32 v31, 0, v31 :: v_dual_fmac_f32 v11, v129, v68
	v_dual_mul_f32 v45, v139, v79 :: v_dual_fma_f32 v35, v128, v68, -v35
	s_delay_alu instid0(VALU_DEP_2)
	v_dual_add_f32 v5, v5, v7 :: v_dual_add_f32 v7, v31, v33
	v_dual_mul_f32 v15, v132, v73 :: v_dual_mul_f32 v17, v134, v75
	v_dual_mul_f32 v39, v133, v73 :: v_dual_mul_f32 v41, v135, v75
	s_wait_loadcnt_dscnt 0x702
	v_dual_mul_f32 v31, v141, v81 :: v_dual_fmac_f32 v13, v131, v70
	v_dual_fma_f32 v33, v130, v70, -v37 :: v_dual_add_f32 v5, v5, v11
	v_dual_add_f32 v7, v7, v35 :: v_dual_fmac_f32 v15, v133, v72
	v_dual_mul_f32 v11, v143, v83 :: v_dual_fma_f32 v35, v132, v72, -v39
	s_delay_alu instid0(VALU_DEP_3) | instskip(NEXT) | instid1(VALU_DEP_3)
	v_dual_add_f32 v5, v5, v13 :: v_dual_fmac_f32 v17, v135, v74
	v_dual_add_f32 v7, v7, v33 :: v_dual_fma_f32 v33, v134, v74, -v41
	v_dual_mul_f32 v19, v136, v77 :: v_dual_mul_f32 v21, v138, v79
	s_wait_loadcnt_dscnt 0x601
	s_delay_alu instid0(VALU_DEP_2) | instskip(SKIP_1) | instid1(VALU_DEP_3)
	v_dual_mul_f32 v13, v145, v85 :: v_dual_add_f32 v7, v7, v35
	v_dual_add_f32 v5, v5, v15 :: v_dual_fma_f32 v35, v136, v76, -v43
	v_dual_mul_f32 v15, v147, v87 :: v_dual_fmac_f32 v19, v137, v76
	s_delay_alu instid0(VALU_DEP_3) | instskip(NEXT) | instid1(VALU_DEP_3)
	v_dual_add_f32 v7, v7, v33 :: v_dual_fma_f32 v33, v138, v78, -v45
	v_dual_add_f32 v5, v5, v17 :: v_dual_fmac_f32 v21, v139, v78
	v_dual_mul_f32 v23, v140, v81 :: v_dual_mul_f32 v25, v142, v83
	s_wait_loadcnt_dscnt 0x500
	s_delay_alu instid0(VALU_DEP_3) | instskip(NEXT) | instid1(VALU_DEP_3)
	v_dual_mul_f32 v17, v149, v89 :: v_dual_add_f32 v7, v7, v35
	v_dual_add_f32 v5, v5, v19 :: v_dual_fma_f32 v31, v140, v80, -v31
	s_delay_alu instid0(VALU_DEP_3) | instskip(NEXT) | instid1(VALU_DEP_3)
	v_dual_mul_f32 v19, v151, v91 :: v_dual_fmac_f32 v23, v141, v80
	v_dual_add_f32 v7, v7, v33 :: v_dual_fma_f32 v11, v142, v82, -v11
	s_delay_alu instid0(VALU_DEP_3) | instskip(SKIP_1) | instid1(VALU_DEP_3)
	v_dual_add_f32 v5, v5, v21 :: v_dual_fmac_f32 v25, v143, v82
	v_dual_mul_f32 v27, v144, v85 :: v_dual_mul_f32 v29, v146, v87
	v_add_f32_e32 v7, v7, v31
	s_wait_loadcnt 0x4
	s_delay_alu instid0(VALU_DEP_3) | instskip(NEXT) | instid1(VALU_DEP_3)
	v_dual_add_f32 v5, v5, v23 :: v_dual_mov_b32 v66, v95
	v_dual_fmac_f32 v27, v145, v84 :: v_dual_fma_f32 v13, v144, v84, -v13
	s_delay_alu instid0(VALU_DEP_3) | instskip(NEXT) | instid1(VALU_DEP_3)
	v_dual_add_f32 v7, v7, v11 :: v_dual_fma_f32 v11, v146, v86, -v15
	v_add_f32_e32 v5, v5, v25
	v_dual_mul_f32 v163, v148, v89 :: v_dual_mul_f32 v165, v150, v91
	v_fmac_f32_e32 v29, v147, v86
	s_delay_alu instid0(VALU_DEP_3)
	v_dual_add_f32 v7, v7, v13 :: v_dual_add_f32 v5, v5, v27
	v_pk_mul_f32 v[64:65], v[108:109], v[92:93] op_sel:[1,1] op_sel_hi:[0,1]
	s_wait_loadcnt 0x3
	v_dual_mov_b32 v70, v99 :: v_dual_fma_f32 v162, v148, v88, -v17
	v_fmac_f32_e32 v163, v149, v88
	v_dual_add_f32 v73, v5, v29 :: v_dual_add_f32 v72, v7, v11
	v_dual_fmac_f32 v165, v151, v90 :: v_dual_fma_f32 v164, v150, v90, -v19
	v_pk_fma_f32 v[74:75], v[108:109], v[92:93], v[64:65] op_sel_hi:[1,0,1]
	v_pk_mul_f32 v[66:67], v[154:155], v[66:67] op_sel_hi:[1,0]
	s_delay_alu instid0(VALU_DEP_4)
	v_pk_add_f32 v[72:73], v[72:73], v[162:163]
	v_pk_fma_f32 v[64:65], v[108:109], v[92:93], v[64:65] neg_lo:[0,0,1] neg_hi:[0,0,1]
	v_pk_mul_f32 v[68:69], v[112:113], v[96:97] op_sel:[1,1] op_sel_hi:[0,1]
	v_mov_b32_e32 v65, v75
	v_pk_fma_f32 v[74:75], v[110:111], v[94:95], v[66:67] op_sel_hi:[1,0,1]
	v_pk_add_f32 v[72:73], v[72:73], v[164:165]
	v_pk_fma_f32 v[66:67], v[110:111], v[94:95], v[66:67] neg_lo:[0,0,1] neg_hi:[0,0,1]
	v_pk_fma_f32 v[78:79], v[112:113], v[96:97], v[68:69] op_sel_hi:[1,0,1]
	v_pk_mul_f32 v[70:71], v[156:157], v[70:71] op_sel_hi:[1,0]
	v_mov_b32_e32 v67, v75
	v_pk_add_f32 v[64:65], v[72:73], v[64:65]
	s_wait_loadcnt 0x2
	v_pk_mul_f32 v[76:77], v[116:117], v[100:101] op_sel:[1,1] op_sel_hi:[0,1]
	v_mov_b32_e32 v72, v103
	v_pk_fma_f32 v[68:69], v[112:113], v[96:97], v[68:69] neg_lo:[0,0,1] neg_hi:[0,0,1]
	v_mov_b32_e32 v69, v79
	v_pk_fma_f32 v[74:75], v[114:115], v[98:99], v[70:71] op_sel_hi:[1,0,1]
	v_pk_add_f32 v[64:65], v[64:65], v[66:67]
	v_pk_fma_f32 v[66:67], v[116:117], v[100:101], v[76:77] op_sel_hi:[1,0,1]
	v_pk_mul_f32 v[72:73], v[158:159], v[72:73] op_sel_hi:[1,0]
	v_pk_fma_f32 v[70:71], v[114:115], v[98:99], v[70:71] neg_lo:[0,0,1] neg_hi:[0,0,1]
	v_mov_b32_e32 v71, v75
	v_pk_add_f32 v[64:65], v[64:65], v[68:69]
	v_pk_fma_f32 v[74:75], v[116:117], v[100:101], v[76:77] neg_lo:[0,0,1] neg_hi:[0,0,1]
	v_mov_b32_e32 v75, v67
	v_pk_fma_f32 v[66:67], v[118:119], v[102:103], v[72:73] op_sel_hi:[1,0,1]
	s_wait_loadcnt 0x1
	v_pk_mul_f32 v[68:69], v[120:121], v[104:105] op_sel:[1,1] op_sel_hi:[0,1]
	v_pk_add_f32 v[64:65], v[64:65], v[70:71]
	v_mov_b32_e32 v66, v107
	v_pk_fma_f32 v[72:73], v[118:119], v[102:103], v[72:73] neg_lo:[0,0,1] neg_hi:[0,0,1]
	v_mov_b32_e32 v73, v67
	v_pk_fma_f32 v[70:71], v[120:121], v[104:105], v[68:69] op_sel_hi:[1,0,1]
	v_pk_add_f32 v[64:65], v[64:65], v[74:75]
	v_pk_mul_f32 v[66:67], v[160:161], v[66:67] op_sel_hi:[1,0]
	v_pk_fma_f32 v[68:69], v[120:121], v[104:105], v[68:69] neg_lo:[0,0,1] neg_hi:[0,0,1]
	s_delay_alu instid0(VALU_DEP_4) | instskip(NEXT) | instid1(VALU_DEP_4)
	v_mov_b32_e32 v69, v71
	v_pk_add_f32 v[64:65], v[64:65], v[72:73]
	s_delay_alu instid0(VALU_DEP_4) | instskip(SKIP_1) | instid1(VALU_DEP_2)
	v_pk_fma_f32 v[70:71], v[122:123], v[106:107], v[66:67] op_sel_hi:[1,0,1]
	v_pk_fma_f32 v[66:67], v[122:123], v[106:107], v[66:67] neg_lo:[0,0,1] neg_hi:[0,0,1]
	v_mov_b32_e32 v67, v71
	s_delay_alu instid0(VALU_DEP_4) | instskip(NEXT) | instid1(VALU_DEP_1)
	v_pk_add_f32 v[64:65], v[64:65], v[68:69]
	v_pk_add_f32 v[64:65], v[64:65], v[66:67]
	s_wait_loadcnt 0x0
	s_delay_alu instid0(VALU_DEP_1)
	v_pk_add_f32 v[64:65], v[152:153], v[64:65] neg_lo:[0,1] neg_hi:[0,1]
	scratch_store_b64 off, v[64:65], off offset:64
	s_wait_xcnt 0x0
	v_cmpx_lt_u32_e32 7, v0
	s_cbranch_execz .LBB30_185
; %bb.184:
	scratch_load_b64 v[64:65], off, off offset:56
	v_mov_b64_e32 v[66:67], 0
	scratch_store_b64 off, v[66:67], off offset:56
	s_wait_loadcnt 0x0
	ds_store_b64 v1, v[64:65]
.LBB30_185:
	s_wait_xcnt 0x0
	s_or_b32 exec_lo, exec_lo, s0
	s_wait_storecnt_dscnt 0x0
	s_barrier_signal -1
	s_barrier_wait -1
	s_clause 0xc
	scratch_load_b128 v[64:67], off, off offset:64
	scratch_load_b128 v[68:71], off, off offset:80
	;; [unrolled: 1-line block ×11, first 2 shown]
	scratch_load_b64 v[152:153], off, off offset:240
	scratch_load_b64 v[154:155], off, off offset:56
	v_mov_b32_e32 v5, 0
	ds_load_b128 v[108:111], v5 offset:432
	ds_load_b128 v[112:115], v5 offset:448
	;; [unrolled: 1-line block ×11, first 2 shown]
	ds_load_b64 v[156:157], v5 offset:496
	s_mov_b32 s0, exec_lo
	s_wait_dscnt 0xb
	v_dual_mov_b32 v158, v111 :: v_dual_mov_b32 v159, v110
	s_wait_dscnt 0x8
	v_dual_mov_b32 v160, v115 :: v_dual_mov_b32 v165, v122
	v_dual_mov_b32 v161, v114 :: v_dual_mov_b32 v162, v119
	;; [unrolled: 1-line block ×3, first 2 shown]
	s_wait_loadcnt_dscnt 0xc07
	v_dual_mul_f32 v7, v124, v65 :: v_dual_mul_f32 v35, v125, v65
	v_dual_mul_f32 v37, v127, v67 :: v_dual_mul_f32 v11, v126, v67
	s_wait_loadcnt_dscnt 0xb06
	v_mul_f32_e32 v13, v128, v69
	s_wait_loadcnt_dscnt 0x904
	v_dual_mul_f32 v47, v137, v77 :: v_dual_fma_f32 v35, v124, v64, -v35
	v_dual_fmac_f32 v7, v125, v64 :: v_dual_mul_f32 v49, v139, v79
	v_dual_mul_f32 v39, v129, v69 :: v_dual_mul_f32 v41, v131, v71
	v_dual_fmac_f32 v11, v127, v66 :: v_dual_fma_f32 v37, v126, v66, -v37
	s_wait_loadcnt_dscnt 0x803
	s_delay_alu instid0(VALU_DEP_3) | instskip(SKIP_1) | instid1(VALU_DEP_2)
	v_dual_add_f32 v7, 0, v7 :: v_dual_mul_f32 v51, v141, v81
	v_dual_add_f32 v35, 0, v35 :: v_dual_fmac_f32 v13, v129, v68
	v_dual_fma_f32 v39, v128, v68, -v39 :: v_dual_add_f32 v7, v7, v11
	v_dual_mul_f32 v15, v130, v71 :: v_dual_mul_f32 v17, v132, v73
	s_delay_alu instid0(VALU_DEP_3) | instskip(SKIP_2) | instid1(VALU_DEP_3)
	v_dual_add_f32 v11, v35, v37 :: v_dual_fma_f32 v37, v130, v70, -v41
	v_dual_mul_f32 v43, v133, v73 :: v_dual_mul_f32 v45, v135, v75
	v_dual_mul_f32 v19, v134, v75 :: v_dual_mul_f32 v21, v136, v77
	v_add_f32_e32 v11, v11, v39
	v_dual_fmac_f32 v15, v131, v70 :: v_dual_fmac_f32 v17, v133, v72
	s_delay_alu instid0(VALU_DEP_4) | instskip(NEXT) | instid1(VALU_DEP_3)
	v_dual_add_f32 v7, v7, v13 :: v_dual_fma_f32 v39, v132, v72, -v43
	v_dual_add_f32 v11, v11, v37 :: v_dual_fmac_f32 v21, v137, v76
	v_dual_mul_f32 v23, v138, v79 :: v_dual_mul_f32 v25, v140, v81
	s_delay_alu instid0(VALU_DEP_3) | instskip(NEXT) | instid1(VALU_DEP_3)
	v_dual_add_f32 v7, v7, v15 :: v_dual_fma_f32 v37, v134, v74, -v45
	v_add_f32_e32 v11, v11, v39
	s_wait_loadcnt_dscnt 0x701
	v_dual_mul_f32 v35, v143, v83 :: v_dual_mul_f32 v13, v149, v85
	v_dual_mul_f32 v15, v151, v87 :: v_dual_fma_f32 v39, v136, v76, -v47
	v_fmac_f32_e32 v19, v135, v74
	v_dual_add_f32 v7, v7, v17 :: v_dual_fmac_f32 v25, v141, v80
	v_dual_add_f32 v11, v11, v37 :: v_dual_mul_f32 v27, v142, v83
	v_dual_mul_f32 v29, v148, v85 :: v_dual_mul_f32 v31, v150, v87
	s_wait_loadcnt 0x6
	v_dual_mul_f32 v33, v144, v89 :: v_dual_fma_f32 v37, v138, v78, -v49
	v_add_f32_e32 v7, v7, v19
	v_add_f32_e32 v11, v11, v39
	s_wait_loadcnt 0x4
	v_dual_mov_b32 v64, v95 :: v_dual_mov_b32 v68, v99
	v_dual_mul_f32 v19, v147, v91 :: v_dual_fmac_f32 v29, v149, v84
	v_dual_fmac_f32 v23, v139, v78 :: v_dual_fma_f32 v13, v148, v84, -v13
	v_dual_fma_f32 v39, v140, v80, -v51 :: v_dual_add_f32 v7, v7, v21
	v_dual_fma_f32 v15, v150, v86, -v15 :: v_dual_fmac_f32 v33, v145, v88
	s_delay_alu instid0(VALU_DEP_4) | instskip(SKIP_1) | instid1(VALU_DEP_4)
	v_dual_add_f32 v11, v11, v37 :: v_dual_fma_f32 v166, v146, v90, -v19
	v_pk_mul_f32 v[64:65], v[158:159], v[64:65] op_sel_hi:[1,0]
	v_dual_mul_f32 v17, v145, v89 :: v_dual_add_f32 v7, v7, v23
	v_fma_f32 v23, v142, v82, -v35
	v_dual_mul_f32 v167, v146, v91 :: v_dual_mul_f32 v169, v108, v93
	s_delay_alu instid0(VALU_DEP_4) | instskip(SKIP_4) | instid1(VALU_DEP_4)
	v_pk_fma_f32 v[76:77], v[110:111], v[94:95], v[64:65] op_sel_hi:[1,0,1]
	v_add_f32_e32 v11, v11, v39
	v_pk_fma_f32 v[64:65], v[110:111], v[94:95], v[64:65] neg_lo:[0,0,1] neg_hi:[0,0,1]
	v_dual_mul_f32 v21, v109, v93 :: v_dual_fmac_f32 v27, v143, v82
	v_fmac_f32_e32 v169, v109, v92
	v_dual_mov_b32 v65, v77 :: v_dual_add_f32 v11, v11, v23
	s_delay_alu instid0(VALU_DEP_3) | instskip(SKIP_2) | instid1(VALU_DEP_4)
	v_dual_fma_f32 v168, v108, v92, -v21 :: v_dual_fmac_f32 v31, v151, v86
	v_fmac_f32_e32 v167, v147, v90
	v_pk_mul_f32 v[66:67], v[112:113], v[96:97] op_sel:[1,1] op_sel_hi:[0,1]
	v_dual_add_f32 v11, v11, v13 :: v_dual_fma_f32 v13, v144, v88, -v17
	v_add_f32_e32 v7, v7, v25
	v_pk_mul_f32 v[68:69], v[160:161], v[68:69] op_sel_hi:[1,0]
	s_delay_alu instid0(VALU_DEP_4) | instskip(NEXT) | instid1(VALU_DEP_4)
	v_pk_fma_f32 v[78:79], v[112:113], v[96:97], v[66:67] op_sel_hi:[1,0,1]
	v_add_f32_e32 v11, v11, v15
	v_pk_fma_f32 v[66:67], v[112:113], v[96:97], v[66:67] neg_lo:[0,0,1] neg_hi:[0,0,1]
	v_add_f32_e32 v7, v7, v27
	s_wait_loadcnt 0x3
	v_pk_mul_f32 v[70:71], v[116:117], v[100:101] op_sel:[1,1] op_sel_hi:[0,1]
	v_dual_mov_b32 v74, v103 :: v_dual_mov_b32 v67, v79
	v_add_f32_e32 v72, v11, v13
	v_add_f32_e32 v7, v7, v29
	v_pk_fma_f32 v[78:79], v[114:115], v[98:99], v[68:69] op_sel_hi:[1,0,1]
	v_pk_fma_f32 v[68:69], v[114:115], v[98:99], v[68:69] neg_lo:[0,0,1] neg_hi:[0,0,1]
	v_pk_mul_f32 v[74:75], v[162:163], v[74:75] op_sel_hi:[1,0]
	s_wait_loadcnt 0x2
	v_pk_mul_f32 v[76:77], v[120:121], v[104:105] op_sel:[1,1] op_sel_hi:[0,1]
	v_add_f32_e32 v7, v7, v31
	v_mov_b32_e32 v69, v79
	s_delay_alu instid0(VALU_DEP_2) | instskip(NEXT) | instid1(VALU_DEP_1)
	v_add_f32_e32 v73, v7, v33
	v_pk_add_f32 v[72:73], v[72:73], v[166:167]
	s_delay_alu instid0(VALU_DEP_1) | instskip(NEXT) | instid1(VALU_DEP_1)
	v_pk_add_f32 v[72:73], v[72:73], v[168:169]
	v_pk_add_f32 v[64:65], v[72:73], v[64:65]
	v_pk_fma_f32 v[72:73], v[116:117], v[100:101], v[70:71] op_sel_hi:[1,0,1]
	v_pk_fma_f32 v[70:71], v[116:117], v[100:101], v[70:71] neg_lo:[0,0,1] neg_hi:[0,0,1]
	s_delay_alu instid0(VALU_DEP_3) | instskip(NEXT) | instid1(VALU_DEP_3)
	v_pk_add_f32 v[64:65], v[64:65], v[66:67]
	v_dual_mov_b32 v66, v107 :: v_dual_mov_b32 v71, v73
	v_pk_fma_f32 v[72:73], v[118:119], v[102:103], v[74:75] op_sel_hi:[1,0,1]
	v_pk_fma_f32 v[74:75], v[118:119], v[102:103], v[74:75] neg_lo:[0,0,1] neg_hi:[0,0,1]
	s_delay_alu instid0(VALU_DEP_4)
	v_pk_add_f32 v[64:65], v[64:65], v[68:69]
	v_pk_fma_f32 v[68:69], v[120:121], v[104:105], v[76:77] op_sel_hi:[1,0,1]
	v_pk_mul_f32 v[66:67], v[164:165], v[66:67] op_sel_hi:[1,0]
	v_mov_b32_e32 v75, v73
	s_wait_loadcnt_dscnt 0x100
	v_pk_mul_f32 v[72:73], v[156:157], v[152:153] op_sel:[1,1] op_sel_hi:[0,1]
	v_pk_add_f32 v[64:65], v[64:65], v[70:71]
	v_pk_fma_f32 v[70:71], v[120:121], v[104:105], v[76:77] neg_lo:[0,0,1] neg_hi:[0,0,1]
	v_mov_b32_e32 v71, v69
	v_pk_fma_f32 v[68:69], v[122:123], v[106:107], v[66:67] op_sel_hi:[1,0,1]
	v_pk_fma_f32 v[66:67], v[122:123], v[106:107], v[66:67] neg_lo:[0,0,1] neg_hi:[0,0,1]
	v_pk_add_f32 v[64:65], v[64:65], v[74:75]
	s_delay_alu instid0(VALU_DEP_3) | instskip(SKIP_1) | instid1(VALU_DEP_3)
	v_mov_b32_e32 v67, v69
	v_pk_fma_f32 v[68:69], v[156:157], v[152:153], v[72:73] op_sel_hi:[1,0,1]
	v_pk_add_f32 v[64:65], v[64:65], v[70:71]
	v_pk_fma_f32 v[70:71], v[156:157], v[152:153], v[72:73] neg_lo:[0,0,1] neg_hi:[0,0,1]
	s_delay_alu instid0(VALU_DEP_3) | instskip(NEXT) | instid1(VALU_DEP_3)
	v_mov_b32_e32 v71, v69
	v_pk_add_f32 v[64:65], v[64:65], v[66:67]
	s_delay_alu instid0(VALU_DEP_1) | instskip(SKIP_1) | instid1(VALU_DEP_1)
	v_pk_add_f32 v[64:65], v[64:65], v[70:71]
	s_wait_loadcnt 0x0
	v_pk_add_f32 v[64:65], v[154:155], v[64:65] neg_lo:[0,1] neg_hi:[0,1]
	scratch_store_b64 off, v[64:65], off offset:56
	s_wait_xcnt 0x0
	v_cmpx_lt_u32_e32 6, v0
	s_cbranch_execz .LBB30_187
; %bb.186:
	scratch_load_b64 v[64:65], off, off offset:48
	v_mov_b64_e32 v[66:67], 0
	scratch_store_b64 off, v[66:67], off offset:48
	s_wait_loadcnt 0x0
	ds_store_b64 v1, v[64:65]
.LBB30_187:
	s_wait_xcnt 0x0
	s_or_b32 exec_lo, exec_lo, s0
	s_wait_storecnt_dscnt 0x0
	s_barrier_signal -1
	s_barrier_wait -1
	s_clause 0xc
	scratch_load_b128 v[64:67], off, off offset:56
	scratch_load_b128 v[68:71], off, off offset:72
	;; [unrolled: 1-line block ×12, first 2 shown]
	scratch_load_b64 v[160:161], off, off offset:48
	ds_load_2addr_b64 v[112:115], v5 offset0:55 offset1:56
	ds_load_2addr_b64 v[116:119], v5 offset0:57 offset1:58
	;; [unrolled: 1-line block ×12, first 2 shown]
	s_mov_b32 s0, exec_lo
	s_wait_dscnt 0xb
	v_dual_mov_b32 v162, v115 :: v_dual_mov_b32 v163, v114
	s_wait_dscnt 0xa
	v_dual_mov_b32 v164, v119 :: v_dual_mov_b32 v165, v118
	s_wait_dscnt 0x9
	v_dual_mov_b32 v166, v123 :: v_dual_mov_b32 v167, v122
	s_wait_dscnt 0x8
	v_dual_mov_b32 v168, v127 :: v_dual_mov_b32 v169, v126
	s_wait_loadcnt_dscnt 0xc07
	v_dual_mul_f32 v5, v128, v65 :: v_dual_mul_f32 v7, v130, v67
	v_dual_mul_f32 v35, v129, v65 :: v_dual_mul_f32 v37, v131, v67
	s_wait_loadcnt_dscnt 0xb06
	v_dual_mul_f32 v11, v132, v69 :: v_dual_mul_f32 v13, v134, v71
	s_delay_alu instid0(VALU_DEP_2) | instskip(SKIP_3) | instid1(VALU_DEP_3)
	v_dual_fmac_f32 v5, v129, v64 :: v_dual_fma_f32 v35, v128, v64, -v35
	v_dual_mul_f32 v39, v133, v69 :: v_dual_mul_f32 v41, v135, v71
	s_wait_loadcnt_dscnt 0x904
	v_dual_mul_f32 v47, v141, v77 :: v_dual_fmac_f32 v7, v131, v66
	v_dual_fma_f32 v37, v130, v66, -v37 :: v_dual_add_f32 v5, 0, v5
	v_dual_add_f32 v35, 0, v35 :: v_dual_fmac_f32 v11, v133, v68
	v_dual_mul_f32 v49, v143, v79 :: v_dual_fma_f32 v39, v132, v68, -v39
	s_delay_alu instid0(VALU_DEP_2)
	v_dual_add_f32 v5, v5, v7 :: v_dual_add_f32 v7, v35, v37
	v_dual_mul_f32 v15, v136, v73 :: v_dual_mul_f32 v17, v138, v75
	v_dual_mul_f32 v43, v137, v73 :: v_dual_mul_f32 v45, v139, v75
	s_wait_loadcnt_dscnt 0x803
	v_dual_mul_f32 v35, v145, v81 :: v_dual_fmac_f32 v13, v135, v70
	v_dual_fma_f32 v37, v134, v70, -v41 :: v_dual_add_f32 v5, v5, v11
	v_dual_add_f32 v7, v7, v39 :: v_dual_fmac_f32 v15, v137, v72
	v_dual_mul_f32 v11, v147, v83 :: v_dual_fma_f32 v39, v136, v72, -v43
	s_delay_alu instid0(VALU_DEP_3) | instskip(NEXT) | instid1(VALU_DEP_3)
	v_dual_add_f32 v5, v5, v13 :: v_dual_fmac_f32 v17, v139, v74
	v_dual_add_f32 v7, v7, v37 :: v_dual_fma_f32 v37, v138, v74, -v45
	v_dual_mul_f32 v19, v140, v77 :: v_dual_mul_f32 v21, v142, v79
	s_wait_loadcnt_dscnt 0x702
	s_delay_alu instid0(VALU_DEP_2) | instskip(SKIP_1) | instid1(VALU_DEP_3)
	v_dual_mul_f32 v13, v149, v85 :: v_dual_add_f32 v7, v7, v39
	v_dual_add_f32 v5, v5, v15 :: v_dual_fma_f32 v39, v140, v76, -v47
	v_dual_mul_f32 v15, v151, v87 :: v_dual_fmac_f32 v19, v141, v76
	s_delay_alu instid0(VALU_DEP_3) | instskip(NEXT) | instid1(VALU_DEP_3)
	v_dual_add_f32 v7, v7, v37 :: v_dual_fma_f32 v37, v142, v78, -v49
	v_dual_add_f32 v5, v5, v17 :: v_dual_fmac_f32 v21, v143, v78
	v_dual_mul_f32 v23, v144, v81 :: v_dual_mul_f32 v25, v146, v83
	s_wait_loadcnt_dscnt 0x601
	s_delay_alu instid0(VALU_DEP_3) | instskip(NEXT) | instid1(VALU_DEP_3)
	v_dual_mul_f32 v17, v153, v89 :: v_dual_add_f32 v7, v7, v39
	v_dual_add_f32 v5, v5, v19 :: v_dual_fma_f32 v35, v144, v80, -v35
	s_delay_alu instid0(VALU_DEP_3) | instskip(NEXT) | instid1(VALU_DEP_3)
	v_dual_mul_f32 v19, v155, v91 :: v_dual_fmac_f32 v23, v145, v80
	v_dual_add_f32 v7, v7, v37 :: v_dual_fma_f32 v11, v146, v82, -v11
	s_delay_alu instid0(VALU_DEP_3) | instskip(SKIP_2) | instid1(VALU_DEP_3)
	v_dual_add_f32 v5, v5, v21 :: v_dual_fmac_f32 v25, v147, v82
	v_dual_mul_f32 v27, v148, v85 :: v_dual_mul_f32 v29, v150, v87
	s_wait_loadcnt_dscnt 0x500
	v_dual_mul_f32 v21, v157, v93 :: v_dual_add_f32 v7, v7, v35
	s_delay_alu instid0(VALU_DEP_3) | instskip(NEXT) | instid1(VALU_DEP_3)
	v_dual_add_f32 v5, v5, v23 :: v_dual_fma_f32 v13, v148, v84, -v13
	v_dual_mul_f32 v23, v159, v95 :: v_dual_fmac_f32 v27, v149, v84
	s_delay_alu instid0(VALU_DEP_2) | instskip(SKIP_2) | instid1(VALU_DEP_3)
	v_dual_add_f32 v7, v7, v11 :: v_dual_add_f32 v5, v5, v25
	v_dual_mul_f32 v31, v152, v89 :: v_dual_mul_f32 v33, v154, v91
	v_dual_fmac_f32 v29, v151, v86 :: v_dual_fma_f32 v11, v150, v86, -v15
	v_dual_add_f32 v5, v5, v27 :: v_dual_add_f32 v7, v7, v13
	s_wait_loadcnt 0x4
	s_delay_alu instid0(VALU_DEP_3) | instskip(NEXT) | instid1(VALU_DEP_2)
	v_dual_mov_b32 v66, v99 :: v_dual_fmac_f32 v31, v153, v88
	v_dual_fma_f32 v13, v152, v88, -v17 :: v_dual_add_f32 v5, v5, v29
	s_delay_alu instid0(VALU_DEP_3) | instskip(SKIP_1) | instid1(VALU_DEP_3)
	v_dual_add_f32 v7, v7, v11 :: v_dual_fma_f32 v11, v154, v90, -v19
	v_dual_mul_f32 v171, v156, v93 :: v_dual_mul_f32 v173, v158, v95
	v_dual_fmac_f32 v33, v155, v90 :: v_dual_add_f32 v5, v5, v31
	s_delay_alu instid0(VALU_DEP_2) | instskip(SKIP_3) | instid1(VALU_DEP_3)
	v_dual_add_f32 v7, v7, v13 :: v_dual_fmac_f32 v171, v157, v92
	v_pk_mul_f32 v[64:65], v[112:113], v[96:97] op_sel:[1,1] op_sel_hi:[0,1]
	s_wait_loadcnt 0x3
	v_dual_mov_b32 v70, v103 :: v_dual_fma_f32 v170, v156, v92, -v21
	v_dual_add_f32 v73, v5, v33 :: v_dual_add_f32 v72, v7, v11
	v_dual_fmac_f32 v173, v159, v94 :: v_dual_fma_f32 v172, v158, v94, -v23
	v_pk_fma_f32 v[74:75], v[112:113], v[96:97], v[64:65] op_sel_hi:[1,0,1]
	v_pk_mul_f32 v[66:67], v[162:163], v[66:67] op_sel_hi:[1,0]
	s_delay_alu instid0(VALU_DEP_4)
	v_pk_add_f32 v[72:73], v[72:73], v[170:171]
	v_pk_fma_f32 v[64:65], v[112:113], v[96:97], v[64:65] neg_lo:[0,0,1] neg_hi:[0,0,1]
	v_pk_mul_f32 v[68:69], v[116:117], v[100:101] op_sel:[1,1] op_sel_hi:[0,1]
	v_mov_b32_e32 v65, v75
	v_pk_fma_f32 v[74:75], v[114:115], v[98:99], v[66:67] op_sel_hi:[1,0,1]
	v_pk_add_f32 v[72:73], v[72:73], v[172:173]
	v_pk_fma_f32 v[66:67], v[114:115], v[98:99], v[66:67] neg_lo:[0,0,1] neg_hi:[0,0,1]
	v_pk_fma_f32 v[78:79], v[116:117], v[100:101], v[68:69] op_sel_hi:[1,0,1]
	v_pk_mul_f32 v[70:71], v[164:165], v[70:71] op_sel_hi:[1,0]
	v_mov_b32_e32 v67, v75
	v_pk_add_f32 v[64:65], v[72:73], v[64:65]
	s_wait_loadcnt 0x2
	v_pk_mul_f32 v[76:77], v[120:121], v[104:105] op_sel:[1,1] op_sel_hi:[0,1]
	v_mov_b32_e32 v72, v107
	v_pk_fma_f32 v[68:69], v[116:117], v[100:101], v[68:69] neg_lo:[0,0,1] neg_hi:[0,0,1]
	v_mov_b32_e32 v69, v79
	v_pk_fma_f32 v[74:75], v[118:119], v[102:103], v[70:71] op_sel_hi:[1,0,1]
	v_pk_add_f32 v[64:65], v[64:65], v[66:67]
	v_pk_fma_f32 v[66:67], v[120:121], v[104:105], v[76:77] op_sel_hi:[1,0,1]
	v_pk_mul_f32 v[72:73], v[166:167], v[72:73] op_sel_hi:[1,0]
	v_pk_fma_f32 v[70:71], v[118:119], v[102:103], v[70:71] neg_lo:[0,0,1] neg_hi:[0,0,1]
	v_mov_b32_e32 v71, v75
	v_pk_add_f32 v[64:65], v[64:65], v[68:69]
	v_pk_fma_f32 v[74:75], v[120:121], v[104:105], v[76:77] neg_lo:[0,0,1] neg_hi:[0,0,1]
	v_mov_b32_e32 v75, v67
	v_pk_fma_f32 v[66:67], v[122:123], v[106:107], v[72:73] op_sel_hi:[1,0,1]
	s_wait_loadcnt 0x1
	v_pk_mul_f32 v[68:69], v[124:125], v[108:109] op_sel:[1,1] op_sel_hi:[0,1]
	v_pk_add_f32 v[64:65], v[64:65], v[70:71]
	v_mov_b32_e32 v66, v111
	v_pk_fma_f32 v[72:73], v[122:123], v[106:107], v[72:73] neg_lo:[0,0,1] neg_hi:[0,0,1]
	v_mov_b32_e32 v73, v67
	v_pk_fma_f32 v[70:71], v[124:125], v[108:109], v[68:69] op_sel_hi:[1,0,1]
	v_pk_add_f32 v[64:65], v[64:65], v[74:75]
	v_pk_mul_f32 v[66:67], v[168:169], v[66:67] op_sel_hi:[1,0]
	v_pk_fma_f32 v[68:69], v[124:125], v[108:109], v[68:69] neg_lo:[0,0,1] neg_hi:[0,0,1]
	s_delay_alu instid0(VALU_DEP_4) | instskip(NEXT) | instid1(VALU_DEP_4)
	v_mov_b32_e32 v69, v71
	v_pk_add_f32 v[64:65], v[64:65], v[72:73]
	s_delay_alu instid0(VALU_DEP_4) | instskip(SKIP_1) | instid1(VALU_DEP_2)
	v_pk_fma_f32 v[70:71], v[126:127], v[110:111], v[66:67] op_sel_hi:[1,0,1]
	v_pk_fma_f32 v[66:67], v[126:127], v[110:111], v[66:67] neg_lo:[0,0,1] neg_hi:[0,0,1]
	v_mov_b32_e32 v67, v71
	s_delay_alu instid0(VALU_DEP_4) | instskip(NEXT) | instid1(VALU_DEP_1)
	v_pk_add_f32 v[64:65], v[64:65], v[68:69]
	v_pk_add_f32 v[64:65], v[64:65], v[66:67]
	s_wait_loadcnt 0x0
	s_delay_alu instid0(VALU_DEP_1)
	v_pk_add_f32 v[64:65], v[160:161], v[64:65] neg_lo:[0,1] neg_hi:[0,1]
	scratch_store_b64 off, v[64:65], off offset:48
	s_wait_xcnt 0x0
	v_cmpx_lt_u32_e32 5, v0
	s_cbranch_execz .LBB30_189
; %bb.188:
	scratch_load_b64 v[64:65], off, off offset:40
	v_mov_b64_e32 v[66:67], 0
	scratch_store_b64 off, v[66:67], off offset:40
	s_wait_loadcnt 0x0
	ds_store_b64 v1, v[64:65]
.LBB30_189:
	s_wait_xcnt 0x0
	s_or_b32 exec_lo, exec_lo, s0
	s_wait_storecnt_dscnt 0x0
	s_barrier_signal -1
	s_barrier_wait -1
	s_clause 0xd
	scratch_load_b128 v[64:67], off, off offset:48
	scratch_load_b128 v[68:71], off, off offset:64
	;; [unrolled: 1-line block ×12, first 2 shown]
	scratch_load_b64 v[160:161], off, off offset:240
	scratch_load_b64 v[162:163], off, off offset:40
	v_mov_b32_e32 v5, 0
	ds_load_b128 v[112:115], v5 offset:432
	ds_load_b128 v[116:119], v5 offset:448
	ds_load_b128 v[120:123], v5 offset:464
	ds_load_b128 v[124:127], v5 offset:480
	ds_load_b128 v[128:131], v5 offset:304
	ds_load_b128 v[132:135], v5 offset:320
	ds_load_b128 v[136:139], v5 offset:336
	ds_load_b128 v[140:143], v5 offset:352
	ds_load_b128 v[144:147], v5 offset:368
	ds_load_b128 v[148:151], v5 offset:384
	ds_load_b128 v[152:155], v5 offset:400
	ds_load_b128 v[156:159], v5 offset:416
	ds_load_b64 v[164:165], v5 offset:496
	s_mov_b32 s0, exec_lo
	s_wait_dscnt 0xc
	v_dual_mov_b32 v166, v115 :: v_dual_mov_b32 v167, v114
	s_wait_dscnt 0x9
	v_dual_mov_b32 v168, v119 :: v_dual_mov_b32 v173, v126
	v_dual_mov_b32 v169, v118 :: v_dual_mov_b32 v170, v123
	;; [unrolled: 1-line block ×3, first 2 shown]
	s_wait_loadcnt_dscnt 0xd08
	v_dual_mul_f32 v7, v128, v65 :: v_dual_mul_f32 v39, v129, v65
	v_dual_mul_f32 v41, v131, v67 :: v_dual_mul_f32 v11, v130, v67
	s_wait_loadcnt_dscnt 0xc07
	v_mul_f32_e32 v13, v132, v69
	s_wait_loadcnt_dscnt 0xa05
	v_dual_mul_f32 v51, v141, v77 :: v_dual_fma_f32 v39, v128, v64, -v39
	v_dual_fmac_f32 v7, v129, v64 :: v_dual_mul_f32 v53, v143, v79
	v_dual_mul_f32 v43, v133, v69 :: v_dual_mul_f32 v45, v135, v71
	v_dual_fmac_f32 v11, v131, v66 :: v_dual_fma_f32 v41, v130, v66, -v41
	s_wait_loadcnt_dscnt 0x904
	s_delay_alu instid0(VALU_DEP_3) | instskip(SKIP_2) | instid1(VALU_DEP_3)
	v_dual_add_f32 v7, 0, v7 :: v_dual_mul_f32 v55, v145, v81
	v_dual_add_f32 v39, 0, v39 :: v_dual_fmac_f32 v13, v133, v68
	v_dual_mul_f32 v15, v134, v71 :: v_dual_mul_f32 v17, v136, v73
	v_dual_fma_f32 v43, v132, v68, -v43 :: v_dual_add_f32 v7, v7, v11
	s_delay_alu instid0(VALU_DEP_3) | instskip(SKIP_1) | instid1(VALU_DEP_4)
	v_dual_add_f32 v11, v39, v41 :: v_dual_fma_f32 v41, v134, v70, -v45
	v_dual_mul_f32 v47, v137, v73 :: v_dual_mul_f32 v49, v139, v75
	v_dual_fmac_f32 v15, v135, v70 :: v_dual_fmac_f32 v17, v137, v72
	s_delay_alu instid0(VALU_DEP_4) | instskip(NEXT) | instid1(VALU_DEP_4)
	v_add_f32_e32 v7, v7, v13
	v_add_f32_e32 v11, v11, v43
	v_dual_mul_f32 v19, v138, v75 :: v_dual_mul_f32 v21, v140, v77
	s_delay_alu instid0(VALU_DEP_3) | instskip(NEXT) | instid1(VALU_DEP_3)
	v_dual_fma_f32 v43, v136, v72, -v47 :: v_dual_add_f32 v7, v7, v15
	v_dual_add_f32 v11, v11, v41 :: v_dual_mul_f32 v23, v142, v79
	s_delay_alu instid0(VALU_DEP_3) | instskip(NEXT) | instid1(VALU_DEP_3)
	v_dual_mul_f32 v25, v144, v81 :: v_dual_fmac_f32 v19, v139, v74
	v_dual_fma_f32 v41, v138, v74, -v49 :: v_dual_add_f32 v7, v7, v17
	s_delay_alu instid0(VALU_DEP_3) | instskip(NEXT) | instid1(VALU_DEP_3)
	v_dual_fmac_f32 v21, v141, v76 :: v_dual_add_f32 v11, v11, v43
	v_dual_fmac_f32 v25, v145, v80 :: v_dual_mul_f32 v39, v147, v83
	s_wait_loadcnt_dscnt 0x803
	v_dual_mul_f32 v13, v149, v85 :: v_dual_mul_f32 v15, v151, v87
	s_delay_alu instid0(VALU_DEP_3) | instskip(NEXT) | instid1(VALU_DEP_3)
	v_dual_fma_f32 v43, v140, v76, -v51 :: v_dual_add_f32 v11, v11, v41
	v_fma_f32 v39, v146, v82, -v39
	v_dual_fma_f32 v41, v142, v78, -v53 :: v_dual_add_f32 v7, v7, v19
	v_dual_mul_f32 v27, v146, v83 :: v_dual_mul_f32 v29, v148, v85
	v_fmac_f32_e32 v23, v143, v78
	v_dual_add_f32 v11, v11, v43 :: v_dual_fma_f32 v15, v150, v86, -v15
	s_delay_alu instid0(VALU_DEP_4) | instskip(SKIP_4) | instid1(VALU_DEP_2)
	v_dual_fma_f32 v43, v144, v80, -v55 :: v_dual_add_f32 v7, v7, v21
	v_dual_fma_f32 v13, v148, v84, -v13 :: v_dual_mul_f32 v31, v150, v87
	s_wait_loadcnt_dscnt 0x702
	v_dual_mul_f32 v33, v152, v89 :: v_dual_mul_f32 v17, v153, v89
	v_dual_add_f32 v11, v11, v41 :: v_dual_fmac_f32 v29, v149, v84
	v_dual_add_f32 v7, v7, v23 :: v_dual_fmac_f32 v33, v153, v88
	s_wait_loadcnt_dscnt 0x601
	v_dual_mul_f32 v19, v155, v91 :: v_dual_mul_f32 v21, v157, v93
	v_dual_mul_f32 v35, v154, v91 :: v_dual_mul_f32 v37, v156, v93
	s_delay_alu instid0(VALU_DEP_3) | instskip(SKIP_4) | instid1(VALU_DEP_3)
	v_add_f32_e32 v7, v7, v25
	s_wait_loadcnt 0x5
	v_dual_mul_f32 v25, v113, v97 :: v_dual_mul_f32 v23, v159, v95
	v_add_f32_e32 v11, v11, v43
	v_dual_fmac_f32 v27, v147, v82 :: v_dual_fmac_f32 v37, v157, v92
	v_dual_fma_f32 v176, v112, v96, -v25 :: v_dual_mov_b32 v64, v99
	s_wait_loadcnt 0x4
	v_mov_b32_e32 v68, v103
	v_add_f32_e32 v11, v11, v39
	v_dual_mul_f32 v175, v158, v95 :: v_dual_mul_f32 v177, v112, v97
	v_pk_mul_f32 v[64:65], v[166:167], v[64:65] op_sel_hi:[1,0]
	v_fmac_f32_e32 v35, v155, v90
	s_delay_alu instid0(VALU_DEP_4) | instskip(NEXT) | instid1(VALU_DEP_4)
	v_dual_add_f32 v11, v11, v13 :: v_dual_fma_f32 v13, v152, v88, -v17
	v_fmac_f32_e32 v177, v113, v96
	s_delay_alu instid0(VALU_DEP_4) | instskip(SKIP_1) | instid1(VALU_DEP_4)
	v_pk_fma_f32 v[76:77], v[114:115], v[98:99], v[64:65] op_sel_hi:[1,0,1]
	v_fmac_f32_e32 v31, v151, v86
	v_add_f32_e32 v11, v11, v15
	v_pk_fma_f32 v[64:65], v[114:115], v[98:99], v[64:65] neg_lo:[0,0,1] neg_hi:[0,0,1]
	s_delay_alu instid0(VALU_DEP_4) | instskip(SKIP_1) | instid1(VALU_DEP_4)
	v_dual_fma_f32 v15, v154, v90, -v19 :: v_dual_mov_b32 v65, v77
	v_fmac_f32_e32 v175, v159, v94
	v_dual_add_f32 v11, v11, v13 :: v_dual_fma_f32 v13, v156, v92, -v21
	v_dual_add_f32 v7, v7, v27 :: v_dual_fma_f32 v174, v158, v94, -v23
	v_pk_mul_f32 v[66:67], v[116:117], v[100:101] op_sel:[1,1] op_sel_hi:[0,1]
	s_delay_alu instid0(VALU_DEP_3) | instskip(SKIP_1) | instid1(VALU_DEP_4)
	v_add_f32_e32 v11, v11, v15
	v_pk_mul_f32 v[68:69], v[168:169], v[68:69] op_sel_hi:[1,0]
	v_add_f32_e32 v7, v7, v29
	s_wait_loadcnt 0x3
	v_pk_mul_f32 v[70:71], v[120:121], v[104:105] op_sel:[1,1] op_sel_hi:[0,1]
	v_pk_fma_f32 v[78:79], v[116:117], v[100:101], v[66:67] op_sel_hi:[1,0,1]
	v_add_f32_e32 v72, v11, v13
	v_pk_fma_f32 v[66:67], v[116:117], v[100:101], v[66:67] neg_lo:[0,0,1] neg_hi:[0,0,1]
	v_add_f32_e32 v7, v7, v31
	s_delay_alu instid0(VALU_DEP_4) | instskip(SKIP_2) | instid1(VALU_DEP_4)
	v_dual_mov_b32 v74, v107 :: v_dual_mov_b32 v67, v79
	v_pk_fma_f32 v[78:79], v[118:119], v[102:103], v[68:69] op_sel_hi:[1,0,1]
	v_pk_fma_f32 v[68:69], v[118:119], v[102:103], v[68:69] neg_lo:[0,0,1] neg_hi:[0,0,1]
	v_add_f32_e32 v7, v7, v33
	s_delay_alu instid0(VALU_DEP_4) | instskip(SKIP_4) | instid1(VALU_DEP_1)
	v_pk_mul_f32 v[74:75], v[170:171], v[74:75] op_sel_hi:[1,0]
	s_wait_loadcnt 0x2
	v_pk_mul_f32 v[76:77], v[124:125], v[108:109] op_sel:[1,1] op_sel_hi:[0,1]
	v_mov_b32_e32 v69, v79
	v_add_f32_e32 v7, v7, v35
	v_add_f32_e32 v73, v7, v37
	s_delay_alu instid0(VALU_DEP_1) | instskip(NEXT) | instid1(VALU_DEP_1)
	v_pk_add_f32 v[72:73], v[72:73], v[174:175]
	v_pk_add_f32 v[72:73], v[72:73], v[176:177]
	s_delay_alu instid0(VALU_DEP_1) | instskip(SKIP_2) | instid1(VALU_DEP_3)
	v_pk_add_f32 v[64:65], v[72:73], v[64:65]
	v_pk_fma_f32 v[72:73], v[120:121], v[104:105], v[70:71] op_sel_hi:[1,0,1]
	v_pk_fma_f32 v[70:71], v[120:121], v[104:105], v[70:71] neg_lo:[0,0,1] neg_hi:[0,0,1]
	v_pk_add_f32 v[64:65], v[64:65], v[66:67]
	s_delay_alu instid0(VALU_DEP_3) | instskip(SKIP_2) | instid1(VALU_DEP_4)
	v_dual_mov_b32 v66, v111 :: v_dual_mov_b32 v71, v73
	v_pk_fma_f32 v[72:73], v[122:123], v[106:107], v[74:75] op_sel_hi:[1,0,1]
	v_pk_fma_f32 v[74:75], v[122:123], v[106:107], v[74:75] neg_lo:[0,0,1] neg_hi:[0,0,1]
	v_pk_add_f32 v[64:65], v[64:65], v[68:69]
	v_pk_fma_f32 v[68:69], v[124:125], v[108:109], v[76:77] op_sel_hi:[1,0,1]
	v_pk_mul_f32 v[66:67], v[172:173], v[66:67] op_sel_hi:[1,0]
	v_mov_b32_e32 v75, v73
	s_wait_loadcnt_dscnt 0x100
	v_pk_mul_f32 v[72:73], v[164:165], v[160:161] op_sel:[1,1] op_sel_hi:[0,1]
	v_pk_add_f32 v[64:65], v[64:65], v[70:71]
	v_pk_fma_f32 v[70:71], v[124:125], v[108:109], v[76:77] neg_lo:[0,0,1] neg_hi:[0,0,1]
	v_mov_b32_e32 v71, v69
	v_pk_fma_f32 v[68:69], v[126:127], v[110:111], v[66:67] op_sel_hi:[1,0,1]
	v_pk_fma_f32 v[66:67], v[126:127], v[110:111], v[66:67] neg_lo:[0,0,1] neg_hi:[0,0,1]
	v_pk_add_f32 v[64:65], v[64:65], v[74:75]
	s_delay_alu instid0(VALU_DEP_3) | instskip(SKIP_1) | instid1(VALU_DEP_3)
	v_mov_b32_e32 v67, v69
	v_pk_fma_f32 v[68:69], v[164:165], v[160:161], v[72:73] op_sel_hi:[1,0,1]
	v_pk_add_f32 v[64:65], v[64:65], v[70:71]
	v_pk_fma_f32 v[70:71], v[164:165], v[160:161], v[72:73] neg_lo:[0,0,1] neg_hi:[0,0,1]
	s_delay_alu instid0(VALU_DEP_3) | instskip(NEXT) | instid1(VALU_DEP_3)
	v_mov_b32_e32 v71, v69
	v_pk_add_f32 v[64:65], v[64:65], v[66:67]
	s_delay_alu instid0(VALU_DEP_1) | instskip(SKIP_1) | instid1(VALU_DEP_1)
	v_pk_add_f32 v[64:65], v[64:65], v[70:71]
	s_wait_loadcnt 0x0
	v_pk_add_f32 v[64:65], v[162:163], v[64:65] neg_lo:[0,1] neg_hi:[0,1]
	scratch_store_b64 off, v[64:65], off offset:40
	s_wait_xcnt 0x0
	v_cmpx_lt_u32_e32 4, v0
	s_cbranch_execz .LBB30_191
; %bb.190:
	scratch_load_b64 v[64:65], off, off offset:32
	v_mov_b64_e32 v[66:67], 0
	scratch_store_b64 off, v[66:67], off offset:32
	s_wait_loadcnt 0x0
	ds_store_b64 v1, v[64:65]
.LBB30_191:
	s_wait_xcnt 0x0
	s_or_b32 exec_lo, exec_lo, s0
	s_wait_storecnt_dscnt 0x0
	s_barrier_signal -1
	s_barrier_wait -1
	s_clause 0xd
	scratch_load_b128 v[64:67], off, off offset:40
	scratch_load_b128 v[68:71], off, off offset:56
	;; [unrolled: 1-line block ×13, first 2 shown]
	scratch_load_b64 v[168:169], off, off offset:32
	ds_load_2addr_b64 v[116:119], v5 offset0:55 offset1:56
	ds_load_2addr_b64 v[120:123], v5 offset0:57 offset1:58
	;; [unrolled: 1-line block ×13, first 2 shown]
	s_mov_b32 s0, exec_lo
	s_wait_dscnt 0xc
	v_dual_mov_b32 v170, v119 :: v_dual_mov_b32 v171, v118
	s_wait_dscnt 0xb
	v_dual_mov_b32 v172, v123 :: v_dual_mov_b32 v173, v122
	;; [unrolled: 2-line block ×4, first 2 shown]
	s_wait_loadcnt_dscnt 0xd08
	v_dual_mul_f32 v5, v132, v65 :: v_dual_mul_f32 v7, v134, v67
	v_dual_mul_f32 v39, v133, v65 :: v_dual_mul_f32 v41, v135, v67
	s_wait_loadcnt_dscnt 0xc07
	v_dual_mul_f32 v11, v136, v69 :: v_dual_mul_f32 v13, v138, v71
	s_delay_alu instid0(VALU_DEP_2) | instskip(SKIP_3) | instid1(VALU_DEP_3)
	v_dual_fmac_f32 v5, v133, v64 :: v_dual_fma_f32 v39, v132, v64, -v39
	v_dual_mul_f32 v43, v137, v69 :: v_dual_mul_f32 v45, v139, v71
	s_wait_loadcnt_dscnt 0xa05
	v_dual_mul_f32 v51, v145, v77 :: v_dual_fmac_f32 v7, v135, v66
	v_dual_fma_f32 v41, v134, v66, -v41 :: v_dual_add_f32 v5, 0, v5
	v_dual_add_f32 v39, 0, v39 :: v_dual_fmac_f32 v11, v137, v68
	v_dual_mul_f32 v53, v147, v79 :: v_dual_fma_f32 v43, v136, v68, -v43
	s_delay_alu instid0(VALU_DEP_2)
	v_dual_add_f32 v5, v5, v7 :: v_dual_add_f32 v7, v39, v41
	v_dual_mul_f32 v15, v140, v73 :: v_dual_mul_f32 v17, v142, v75
	v_dual_mul_f32 v47, v141, v73 :: v_dual_mul_f32 v49, v143, v75
	s_wait_loadcnt_dscnt 0x903
	v_dual_mul_f32 v39, v153, v81 :: v_dual_fmac_f32 v13, v139, v70
	v_dual_fma_f32 v41, v138, v70, -v45 :: v_dual_add_f32 v5, v5, v11
	v_dual_add_f32 v7, v7, v43 :: v_dual_fmac_f32 v15, v141, v72
	v_dual_mul_f32 v11, v155, v83 :: v_dual_fma_f32 v43, v140, v72, -v47
	s_delay_alu instid0(VALU_DEP_3) | instskip(NEXT) | instid1(VALU_DEP_3)
	v_dual_add_f32 v5, v5, v13 :: v_dual_fmac_f32 v17, v143, v74
	v_dual_add_f32 v7, v7, v41 :: v_dual_fma_f32 v41, v142, v74, -v49
	v_dual_mul_f32 v19, v144, v77 :: v_dual_mul_f32 v21, v146, v79
	s_wait_loadcnt_dscnt 0x802
	s_delay_alu instid0(VALU_DEP_2) | instskip(SKIP_1) | instid1(VALU_DEP_3)
	v_dual_mul_f32 v13, v157, v85 :: v_dual_add_f32 v7, v7, v43
	v_dual_add_f32 v5, v5, v15 :: v_dual_fma_f32 v43, v144, v76, -v51
	v_dual_mul_f32 v15, v159, v87 :: v_dual_fmac_f32 v19, v145, v76
	s_delay_alu instid0(VALU_DEP_3) | instskip(NEXT) | instid1(VALU_DEP_3)
	v_dual_add_f32 v7, v7, v41 :: v_dual_fma_f32 v41, v146, v78, -v53
	v_dual_add_f32 v5, v5, v17 :: v_dual_fmac_f32 v21, v147, v78
	v_dual_mul_f32 v23, v152, v81 :: v_dual_mul_f32 v25, v154, v83
	s_wait_loadcnt_dscnt 0x701
	s_delay_alu instid0(VALU_DEP_3) | instskip(NEXT) | instid1(VALU_DEP_3)
	v_dual_mul_f32 v17, v161, v89 :: v_dual_add_f32 v7, v7, v43
	v_dual_add_f32 v5, v5, v19 :: v_dual_fma_f32 v39, v152, v80, -v39
	s_delay_alu instid0(VALU_DEP_3) | instskip(NEXT) | instid1(VALU_DEP_3)
	v_dual_mul_f32 v19, v163, v91 :: v_dual_fmac_f32 v23, v153, v80
	v_dual_add_f32 v7, v7, v41 :: v_dual_fma_f32 v11, v154, v82, -v11
	s_delay_alu instid0(VALU_DEP_3) | instskip(SKIP_2) | instid1(VALU_DEP_3)
	v_dual_add_f32 v5, v5, v21 :: v_dual_fmac_f32 v25, v155, v82
	v_dual_mul_f32 v27, v156, v85 :: v_dual_mul_f32 v29, v158, v87
	s_wait_loadcnt_dscnt 0x600
	v_dual_mul_f32 v21, v165, v93 :: v_dual_add_f32 v7, v7, v39
	s_delay_alu instid0(VALU_DEP_3) | instskip(NEXT) | instid1(VALU_DEP_3)
	v_dual_add_f32 v5, v5, v23 :: v_dual_fma_f32 v13, v156, v84, -v13
	v_dual_mul_f32 v23, v167, v95 :: v_dual_fmac_f32 v27, v157, v84
	s_delay_alu instid0(VALU_DEP_2) | instskip(SKIP_3) | instid1(VALU_DEP_3)
	v_dual_add_f32 v7, v7, v11 :: v_dual_add_f32 v5, v5, v25
	v_dual_mul_f32 v31, v160, v89 :: v_dual_mul_f32 v33, v162, v91
	s_wait_loadcnt 0x5
	v_dual_mul_f32 v11, v149, v97 :: v_dual_fmac_f32 v29, v159, v86
	v_dual_fma_f32 v15, v158, v86, -v15 :: v_dual_add_f32 v5, v5, v27
	s_delay_alu instid0(VALU_DEP_3) | instskip(SKIP_1) | instid1(VALU_DEP_2)
	v_dual_add_f32 v7, v7, v13 :: v_dual_fmac_f32 v31, v161, v88
	v_dual_mul_f32 v13, v151, v99 :: v_dual_fma_f32 v17, v160, v88, -v17
	v_dual_add_f32 v5, v5, v29 :: v_dual_add_f32 v7, v7, v15
	v_dual_mul_f32 v35, v164, v93 :: v_dual_mul_f32 v37, v166, v95
	v_dual_fmac_f32 v33, v163, v90 :: v_dual_fma_f32 v15, v162, v90, -v19
	s_delay_alu instid0(VALU_DEP_3) | instskip(SKIP_1) | instid1(VALU_DEP_3)
	v_dual_add_f32 v5, v5, v31 :: v_dual_add_f32 v7, v7, v17
	s_wait_loadcnt 0x4
	v_dual_mov_b32 v66, v103 :: v_dual_fmac_f32 v35, v165, v92
	s_delay_alu instid0(VALU_DEP_2) | instskip(NEXT) | instid1(VALU_DEP_3)
	v_dual_fma_f32 v17, v164, v92, -v21 :: v_dual_add_f32 v5, v5, v33
	v_dual_add_f32 v7, v7, v15 :: v_dual_fma_f32 v15, v166, v94, -v23
	v_dual_mul_f32 v179, v148, v97 :: v_dual_mul_f32 v181, v150, v99
	s_delay_alu instid0(VALU_DEP_3) | instskip(NEXT) | instid1(VALU_DEP_2)
	v_dual_fmac_f32 v37, v167, v94 :: v_dual_add_f32 v5, v5, v35
	v_dual_add_f32 v7, v7, v17 :: v_dual_fmac_f32 v179, v149, v96
	v_pk_mul_f32 v[64:65], v[116:117], v[100:101] op_sel:[1,1] op_sel_hi:[0,1]
	s_wait_loadcnt 0x3
	v_dual_mov_b32 v70, v107 :: v_dual_fma_f32 v178, v148, v96, -v11
	s_delay_alu instid0(VALU_DEP_3)
	v_dual_add_f32 v73, v5, v37 :: v_dual_add_f32 v72, v7, v15
	v_fmac_f32_e32 v181, v151, v98
	v_pk_fma_f32 v[74:75], v[116:117], v[100:101], v[64:65] op_sel_hi:[1,0,1]
	v_fma_f32 v180, v150, v98, -v13
	v_pk_mul_f32 v[66:67], v[170:171], v[66:67] op_sel_hi:[1,0]
	v_pk_add_f32 v[72:73], v[72:73], v[178:179]
	v_pk_fma_f32 v[64:65], v[116:117], v[100:101], v[64:65] neg_lo:[0,0,1] neg_hi:[0,0,1]
	v_pk_mul_f32 v[68:69], v[120:121], v[104:105] op_sel:[1,1] op_sel_hi:[0,1]
	v_mov_b32_e32 v65, v75
	v_pk_fma_f32 v[74:75], v[118:119], v[102:103], v[66:67] op_sel_hi:[1,0,1]
	v_pk_add_f32 v[72:73], v[72:73], v[180:181]
	v_pk_fma_f32 v[66:67], v[118:119], v[102:103], v[66:67] neg_lo:[0,0,1] neg_hi:[0,0,1]
	v_pk_fma_f32 v[78:79], v[120:121], v[104:105], v[68:69] op_sel_hi:[1,0,1]
	v_pk_mul_f32 v[70:71], v[172:173], v[70:71] op_sel_hi:[1,0]
	v_mov_b32_e32 v67, v75
	v_pk_add_f32 v[64:65], v[72:73], v[64:65]
	s_wait_loadcnt 0x2
	v_pk_mul_f32 v[76:77], v[124:125], v[108:109] op_sel:[1,1] op_sel_hi:[0,1]
	v_mov_b32_e32 v72, v111
	v_pk_fma_f32 v[68:69], v[120:121], v[104:105], v[68:69] neg_lo:[0,0,1] neg_hi:[0,0,1]
	v_pk_fma_f32 v[74:75], v[122:123], v[106:107], v[70:71] op_sel_hi:[1,0,1]
	v_mov_b32_e32 v69, v79
	v_pk_add_f32 v[64:65], v[64:65], v[66:67]
	v_pk_fma_f32 v[66:67], v[124:125], v[108:109], v[76:77] op_sel_hi:[1,0,1]
	v_pk_mul_f32 v[72:73], v[174:175], v[72:73] op_sel_hi:[1,0]
	v_pk_fma_f32 v[70:71], v[122:123], v[106:107], v[70:71] neg_lo:[0,0,1] neg_hi:[0,0,1]
	v_mov_b32_e32 v71, v75
	v_pk_add_f32 v[64:65], v[64:65], v[68:69]
	v_pk_fma_f32 v[74:75], v[124:125], v[108:109], v[76:77] neg_lo:[0,0,1] neg_hi:[0,0,1]
	v_mov_b32_e32 v75, v67
	v_pk_fma_f32 v[66:67], v[126:127], v[110:111], v[72:73] op_sel_hi:[1,0,1]
	s_wait_loadcnt 0x1
	v_pk_mul_f32 v[68:69], v[128:129], v[112:113] op_sel:[1,1] op_sel_hi:[0,1]
	v_pk_add_f32 v[64:65], v[64:65], v[70:71]
	v_mov_b32_e32 v66, v115
	v_pk_fma_f32 v[72:73], v[126:127], v[110:111], v[72:73] neg_lo:[0,0,1] neg_hi:[0,0,1]
	s_delay_alu instid0(VALU_DEP_4)
	v_pk_fma_f32 v[70:71], v[128:129], v[112:113], v[68:69] op_sel_hi:[1,0,1]
	v_mov_b32_e32 v73, v67
	v_pk_add_f32 v[64:65], v[64:65], v[74:75]
	v_pk_mul_f32 v[66:67], v[176:177], v[66:67] op_sel_hi:[1,0]
	v_pk_fma_f32 v[68:69], v[128:129], v[112:113], v[68:69] neg_lo:[0,0,1] neg_hi:[0,0,1]
	v_mov_b32_e32 v69, v71
	s_delay_alu instid0(VALU_DEP_4) | instskip(NEXT) | instid1(VALU_DEP_4)
	v_pk_add_f32 v[64:65], v[64:65], v[72:73]
	v_pk_fma_f32 v[70:71], v[130:131], v[114:115], v[66:67] op_sel_hi:[1,0,1]
	v_pk_fma_f32 v[66:67], v[130:131], v[114:115], v[66:67] neg_lo:[0,0,1] neg_hi:[0,0,1]
	s_delay_alu instid0(VALU_DEP_3) | instskip(NEXT) | instid1(VALU_DEP_3)
	v_pk_add_f32 v[64:65], v[64:65], v[68:69]
	v_mov_b32_e32 v67, v71
	s_delay_alu instid0(VALU_DEP_1) | instskip(SKIP_1) | instid1(VALU_DEP_1)
	v_pk_add_f32 v[64:65], v[64:65], v[66:67]
	s_wait_loadcnt 0x0
	v_pk_add_f32 v[64:65], v[168:169], v[64:65] neg_lo:[0,1] neg_hi:[0,1]
	scratch_store_b64 off, v[64:65], off offset:32
	s_wait_xcnt 0x0
	v_cmpx_lt_u32_e32 3, v0
	s_cbranch_execz .LBB30_193
; %bb.192:
	scratch_load_b64 v[64:65], off, off offset:24
	v_mov_b64_e32 v[66:67], 0
	scratch_store_b64 off, v[66:67], off offset:24
	s_wait_loadcnt 0x0
	ds_store_b64 v1, v[64:65]
.LBB30_193:
	s_wait_xcnt 0x0
	s_or_b32 exec_lo, exec_lo, s0
	s_wait_storecnt_dscnt 0x0
	s_barrier_signal -1
	s_barrier_wait -1
	s_clause 0xe
	scratch_load_b128 v[64:67], off, off offset:32
	scratch_load_b128 v[68:71], off, off offset:48
	;; [unrolled: 1-line block ×13, first 2 shown]
	scratch_load_b64 v[168:169], off, off offset:240
	scratch_load_b64 v[170:171], off, off offset:24
	v_mov_b32_e32 v5, 0
	ds_load_b128 v[116:119], v5 offset:432
	ds_load_b128 v[120:123], v5 offset:448
	;; [unrolled: 1-line block ×13, first 2 shown]
	ds_load_b64 v[172:173], v5 offset:496
	s_mov_b32 s0, exec_lo
	s_wait_dscnt 0xd
	v_dual_mov_b32 v174, v119 :: v_dual_mov_b32 v175, v118
	s_wait_dscnt 0xa
	v_dual_mov_b32 v176, v123 :: v_dual_mov_b32 v181, v130
	v_dual_mov_b32 v177, v122 :: v_dual_mov_b32 v178, v127
	;; [unrolled: 1-line block ×3, first 2 shown]
	s_wait_loadcnt_dscnt 0xe09
	v_dual_mul_f32 v7, v132, v65 :: v_dual_mul_f32 v43, v133, v65
	v_dual_mul_f32 v45, v135, v67 :: v_dual_mul_f32 v11, v134, v67
	s_wait_loadcnt_dscnt 0xd08
	v_mul_f32_e32 v13, v136, v69
	s_wait_loadcnt_dscnt 0xb05
	v_dual_mul_f32 v55, v149, v77 :: v_dual_fma_f32 v43, v132, v64, -v43
	v_dual_fmac_f32 v7, v133, v64 :: v_dual_mul_f32 v57, v151, v79
	v_dual_mul_f32 v47, v137, v69 :: v_dual_mul_f32 v49, v139, v71
	v_dual_fmac_f32 v11, v135, v66 :: v_dual_fma_f32 v45, v134, v66, -v45
	s_wait_loadcnt_dscnt 0xa04
	s_delay_alu instid0(VALU_DEP_3) | instskip(SKIP_1) | instid1(VALU_DEP_2)
	v_dual_add_f32 v7, 0, v7 :: v_dual_mul_f32 v59, v153, v81
	v_dual_add_f32 v43, 0, v43 :: v_dual_fmac_f32 v13, v137, v68
	v_dual_fma_f32 v47, v136, v68, -v47 :: v_dual_add_f32 v7, v7, v11
	v_dual_mul_f32 v51, v141, v73 :: v_dual_mul_f32 v53, v143, v75
	s_delay_alu instid0(VALU_DEP_3) | instskip(SKIP_2) | instid1(VALU_DEP_3)
	v_dual_add_f32 v11, v43, v45 :: v_dual_fma_f32 v45, v138, v70, -v49
	v_dual_mul_f32 v15, v138, v71 :: v_dual_mul_f32 v17, v140, v73
	v_dual_mul_f32 v19, v142, v75 :: v_dual_mul_f32 v21, v148, v77
	v_add_f32_e32 v11, v11, v47
	v_dual_add_f32 v7, v7, v13 :: v_dual_fma_f32 v47, v140, v72, -v51
	v_dual_mul_f32 v23, v150, v79 :: v_dual_mul_f32 v25, v152, v81
	s_delay_alu instid0(VALU_DEP_3) | instskip(SKIP_1) | instid1(VALU_DEP_2)
	v_dual_add_f32 v11, v11, v45 :: v_dual_fmac_f32 v21, v149, v76
	v_dual_fmac_f32 v15, v139, v70 :: v_dual_fmac_f32 v17, v141, v72
	v_dual_fma_f32 v45, v142, v74, -v53 :: v_dual_add_f32 v11, v11, v47
	s_delay_alu instid0(VALU_DEP_4) | instskip(SKIP_1) | instid1(VALU_DEP_3)
	v_dual_fmac_f32 v25, v153, v80 :: v_dual_mul_f32 v43, v155, v83
	s_wait_loadcnt_dscnt 0x903
	v_dual_mul_f32 v13, v157, v85 :: v_dual_add_f32 v7, v7, v15
	v_dual_mul_f32 v15, v159, v87 :: v_dual_fma_f32 v47, v148, v76, -v55
	s_delay_alu instid0(VALU_DEP_3) | instskip(SKIP_1) | instid1(VALU_DEP_4)
	v_dual_add_f32 v11, v11, v45 :: v_dual_fma_f32 v43, v154, v82, -v43
	v_fmac_f32_e32 v19, v143, v74
	v_dual_add_f32 v7, v7, v17 :: v_dual_fma_f32 v45, v150, v78, -v57
	s_delay_alu instid0(VALU_DEP_3) | instskip(SKIP_2) | instid1(VALU_DEP_3)
	v_dual_add_f32 v11, v11, v47 :: v_dual_fma_f32 v15, v158, v86, -v15
	s_wait_loadcnt_dscnt 0x802
	v_dual_mul_f32 v31, v158, v87 :: v_dual_mul_f32 v33, v160, v89
	v_dual_add_f32 v7, v7, v19 :: v_dual_fma_f32 v47, v152, v80, -v59
	s_delay_alu instid0(VALU_DEP_3) | instskip(SKIP_1) | instid1(VALU_DEP_3)
	v_dual_add_f32 v11, v11, v45 :: v_dual_mul_f32 v27, v154, v83
	v_mul_f32_e32 v29, v156, v85
	v_dual_add_f32 v7, v7, v21 :: v_dual_fma_f32 v13, v156, v84, -v13
	s_wait_loadcnt_dscnt 0x701
	v_mul_f32_e32 v21, v165, v93
	v_dual_fmac_f32 v33, v161, v88 :: v_dual_add_f32 v11, v11, v47
	s_wait_loadcnt 0x6
	v_dual_mul_f32 v39, v166, v95 :: v_dual_mul_f32 v41, v144, v97
	v_dual_fmac_f32 v23, v151, v78 :: v_dual_fmac_f32 v29, v157, v84
	s_delay_alu instid0(VALU_DEP_3) | instskip(NEXT) | instid1(VALU_DEP_2)
	v_dual_add_f32 v11, v11, v43 :: v_dual_mul_f32 v17, v161, v89
	v_dual_fmac_f32 v41, v145, v96 :: v_dual_add_f32 v7, v7, v23
	v_mul_f32_e32 v19, v163, v91
	s_delay_alu instid0(VALU_DEP_3) | instskip(SKIP_4) | instid1(VALU_DEP_3)
	v_add_f32_e32 v11, v11, v13
	s_wait_loadcnt 0x5
	v_dual_mul_f32 v13, v117, v101 :: v_dual_mul_f32 v23, v167, v95
	v_dual_fma_f32 v17, v160, v88, -v17 :: v_dual_mul_f32 v35, v162, v91
	v_mul_f32_e32 v37, v164, v93
	v_dual_fma_f32 v184, v116, v100, -v13 :: v_dual_add_f32 v11, v11, v15
	v_fmac_f32_e32 v27, v155, v82
	v_add_f32_e32 v7, v7, v25
	v_dual_mul_f32 v25, v145, v97 :: v_dual_fma_f32 v15, v162, v90, -v19
	s_delay_alu instid0(VALU_DEP_4) | instskip(SKIP_3) | instid1(VALU_DEP_3)
	v_add_f32_e32 v11, v11, v17
	s_wait_loadcnt 0x4
	v_dual_mov_b32 v64, v103 :: v_dual_mov_b32 v68, v107
	v_dual_fmac_f32 v37, v165, v92 :: v_dual_add_f32 v7, v7, v27
	v_dual_fma_f32 v17, v164, v92, -v21 :: v_dual_add_f32 v11, v11, v15
	v_dual_mul_f32 v183, v146, v99 :: v_dual_mul_f32 v185, v116, v101
	v_mul_f32_e32 v27, v147, v99
	v_fmac_f32_e32 v31, v159, v86
	s_delay_alu instid0(VALU_DEP_4) | instskip(SKIP_1) | instid1(VALU_DEP_4)
	v_dual_fma_f32 v15, v166, v94, -v23 :: v_dual_add_f32 v11, v11, v17
	v_dual_fma_f32 v17, v144, v96, -v25 :: v_dual_add_f32 v7, v7, v29
	v_fma_f32 v182, v146, v98, -v27
	v_pk_mul_f32 v[64:65], v[174:175], v[64:65] op_sel_hi:[1,0]
	v_dual_fmac_f32 v185, v117, v100 :: v_dual_fmac_f32 v35, v163, v90
	v_fmac_f32_e32 v39, v167, v94
	v_add_f32_e32 v11, v11, v15
	s_delay_alu instid0(VALU_DEP_4) | instskip(SKIP_3) | instid1(VALU_DEP_4)
	v_pk_fma_f32 v[76:77], v[118:119], v[102:103], v[64:65] op_sel_hi:[1,0,1]
	v_add_f32_e32 v7, v7, v31
	v_pk_fma_f32 v[64:65], v[118:119], v[102:103], v[64:65] neg_lo:[0,0,1] neg_hi:[0,0,1]
	v_fmac_f32_e32 v183, v147, v98
	v_dual_add_f32 v72, v11, v17 :: v_dual_mov_b32 v65, v77
	s_delay_alu instid0(VALU_DEP_4)
	v_add_f32_e32 v7, v7, v33
	v_pk_mul_f32 v[66:67], v[120:121], v[104:105] op_sel:[1,1] op_sel_hi:[0,1]
	v_pk_mul_f32 v[68:69], v[176:177], v[68:69] op_sel_hi:[1,0]
	s_wait_loadcnt 0x3
	v_pk_mul_f32 v[70:71], v[124:125], v[108:109] op_sel:[1,1] op_sel_hi:[0,1]
	s_wait_loadcnt 0x2
	v_pk_mul_f32 v[76:77], v[128:129], v[112:113] op_sel:[1,1] op_sel_hi:[0,1]
	v_add_f32_e32 v7, v7, v35
	v_pk_fma_f32 v[78:79], v[120:121], v[104:105], v[66:67] op_sel_hi:[1,0,1]
	v_pk_fma_f32 v[66:67], v[120:121], v[104:105], v[66:67] neg_lo:[0,0,1] neg_hi:[0,0,1]
	v_mov_b32_e32 v74, v111
	s_delay_alu instid0(VALU_DEP_4) | instskip(NEXT) | instid1(VALU_DEP_4)
	v_add_f32_e32 v7, v7, v37
	v_mov_b32_e32 v67, v79
	v_pk_fma_f32 v[78:79], v[122:123], v[106:107], v[68:69] op_sel_hi:[1,0,1]
	v_pk_fma_f32 v[68:69], v[122:123], v[106:107], v[68:69] neg_lo:[0,0,1] neg_hi:[0,0,1]
	v_pk_mul_f32 v[74:75], v[178:179], v[74:75] op_sel_hi:[1,0]
	v_add_f32_e32 v7, v7, v39
	s_delay_alu instid0(VALU_DEP_4) | instskip(NEXT) | instid1(VALU_DEP_2)
	v_mov_b32_e32 v69, v79
	v_add_f32_e32 v73, v7, v41
	s_delay_alu instid0(VALU_DEP_1) | instskip(NEXT) | instid1(VALU_DEP_1)
	v_pk_add_f32 v[72:73], v[72:73], v[182:183]
	v_pk_add_f32 v[72:73], v[72:73], v[184:185]
	s_delay_alu instid0(VALU_DEP_1) | instskip(SKIP_2) | instid1(VALU_DEP_3)
	v_pk_add_f32 v[64:65], v[72:73], v[64:65]
	v_pk_fma_f32 v[72:73], v[124:125], v[108:109], v[70:71] op_sel_hi:[1,0,1]
	v_pk_fma_f32 v[70:71], v[124:125], v[108:109], v[70:71] neg_lo:[0,0,1] neg_hi:[0,0,1]
	v_pk_add_f32 v[64:65], v[64:65], v[66:67]
	s_delay_alu instid0(VALU_DEP_3) | instskip(SKIP_2) | instid1(VALU_DEP_4)
	v_dual_mov_b32 v66, v115 :: v_dual_mov_b32 v71, v73
	v_pk_fma_f32 v[72:73], v[126:127], v[110:111], v[74:75] op_sel_hi:[1,0,1]
	v_pk_fma_f32 v[74:75], v[126:127], v[110:111], v[74:75] neg_lo:[0,0,1] neg_hi:[0,0,1]
	v_pk_add_f32 v[64:65], v[64:65], v[68:69]
	v_pk_fma_f32 v[68:69], v[128:129], v[112:113], v[76:77] op_sel_hi:[1,0,1]
	v_pk_mul_f32 v[66:67], v[180:181], v[66:67] op_sel_hi:[1,0]
	v_mov_b32_e32 v75, v73
	s_wait_loadcnt_dscnt 0x100
	v_pk_mul_f32 v[72:73], v[172:173], v[168:169] op_sel:[1,1] op_sel_hi:[0,1]
	v_pk_add_f32 v[64:65], v[64:65], v[70:71]
	v_pk_fma_f32 v[70:71], v[128:129], v[112:113], v[76:77] neg_lo:[0,0,1] neg_hi:[0,0,1]
	v_mov_b32_e32 v71, v69
	v_pk_fma_f32 v[68:69], v[130:131], v[114:115], v[66:67] op_sel_hi:[1,0,1]
	v_pk_fma_f32 v[66:67], v[130:131], v[114:115], v[66:67] neg_lo:[0,0,1] neg_hi:[0,0,1]
	v_pk_add_f32 v[64:65], v[64:65], v[74:75]
	s_delay_alu instid0(VALU_DEP_3) | instskip(SKIP_1) | instid1(VALU_DEP_3)
	v_mov_b32_e32 v67, v69
	v_pk_fma_f32 v[68:69], v[172:173], v[168:169], v[72:73] op_sel_hi:[1,0,1]
	v_pk_add_f32 v[64:65], v[64:65], v[70:71]
	v_pk_fma_f32 v[70:71], v[172:173], v[168:169], v[72:73] neg_lo:[0,0,1] neg_hi:[0,0,1]
	s_delay_alu instid0(VALU_DEP_3) | instskip(NEXT) | instid1(VALU_DEP_3)
	v_mov_b32_e32 v71, v69
	v_pk_add_f32 v[64:65], v[64:65], v[66:67]
	s_delay_alu instid0(VALU_DEP_1) | instskip(SKIP_1) | instid1(VALU_DEP_1)
	v_pk_add_f32 v[64:65], v[64:65], v[70:71]
	s_wait_loadcnt 0x0
	v_pk_add_f32 v[64:65], v[170:171], v[64:65] neg_lo:[0,1] neg_hi:[0,1]
	scratch_store_b64 off, v[64:65], off offset:24
	s_wait_xcnt 0x0
	v_cmpx_lt_u32_e32 2, v0
	s_cbranch_execz .LBB30_195
; %bb.194:
	scratch_load_b64 v[64:65], off, off offset:16
	v_mov_b64_e32 v[66:67], 0
	scratch_store_b64 off, v[66:67], off offset:16
	s_wait_loadcnt 0x0
	ds_store_b64 v1, v[64:65]
.LBB30_195:
	s_wait_xcnt 0x0
	s_or_b32 exec_lo, exec_lo, s0
	s_wait_storecnt_dscnt 0x0
	s_barrier_signal -1
	s_barrier_wait -1
	s_clause 0xe
	scratch_load_b128 v[64:67], off, off offset:24
	scratch_load_b128 v[68:71], off, off offset:40
	;; [unrolled: 1-line block ×14, first 2 shown]
	scratch_load_b64 v[176:177], off, off offset:16
	ds_load_2addr_b64 v[120:123], v5 offset0:55 offset1:56
	ds_load_2addr_b64 v[124:127], v5 offset0:57 offset1:58
	;; [unrolled: 1-line block ×14, first 2 shown]
	s_mov_b32 s0, exec_lo
	s_wait_dscnt 0xd
	v_dual_mov_b32 v178, v123 :: v_dual_mov_b32 v179, v122
	s_wait_dscnt 0xc
	v_dual_mov_b32 v180, v127 :: v_dual_mov_b32 v181, v126
	;; [unrolled: 2-line block ×4, first 2 shown]
	s_wait_loadcnt_dscnt 0xe09
	v_dual_mul_f32 v5, v136, v65 :: v_dual_mul_f32 v7, v138, v67
	v_dual_mul_f32 v43, v137, v65 :: v_dual_mul_f32 v45, v139, v67
	s_wait_loadcnt_dscnt 0xd08
	v_dual_mul_f32 v11, v140, v69 :: v_dual_mul_f32 v13, v142, v71
	s_delay_alu instid0(VALU_DEP_2) | instskip(SKIP_3) | instid1(VALU_DEP_3)
	v_dual_fmac_f32 v5, v137, v64 :: v_dual_fma_f32 v43, v136, v64, -v43
	v_dual_mul_f32 v47, v141, v69 :: v_dual_mul_f32 v49, v143, v71
	s_wait_loadcnt_dscnt 0xb06
	v_dual_mul_f32 v55, v149, v77 :: v_dual_fmac_f32 v7, v139, v66
	v_dual_fma_f32 v45, v138, v66, -v45 :: v_dual_add_f32 v5, 0, v5
	v_dual_add_f32 v43, 0, v43 :: v_dual_fmac_f32 v11, v141, v68
	v_dual_mul_f32 v57, v151, v79 :: v_dual_fma_f32 v47, v140, v68, -v47
	s_delay_alu instid0(VALU_DEP_2)
	v_dual_add_f32 v5, v5, v7 :: v_dual_add_f32 v7, v43, v45
	v_dual_mul_f32 v15, v144, v73 :: v_dual_mul_f32 v17, v146, v75
	v_dual_mul_f32 v51, v145, v73 :: v_dual_mul_f32 v53, v147, v75
	s_wait_loadcnt_dscnt 0xa05
	v_dual_mul_f32 v43, v153, v81 :: v_dual_fmac_f32 v13, v143, v70
	v_dual_fma_f32 v45, v142, v70, -v49 :: v_dual_add_f32 v5, v5, v11
	v_dual_add_f32 v7, v7, v47 :: v_dual_fmac_f32 v15, v145, v72
	v_dual_mul_f32 v11, v155, v83 :: v_dual_fma_f32 v47, v144, v72, -v51
	s_delay_alu instid0(VALU_DEP_3) | instskip(NEXT) | instid1(VALU_DEP_3)
	v_dual_add_f32 v5, v5, v13 :: v_dual_fmac_f32 v17, v147, v74
	v_dual_add_f32 v7, v7, v45 :: v_dual_fma_f32 v45, v146, v74, -v53
	v_dual_mul_f32 v19, v148, v77 :: v_dual_mul_f32 v21, v150, v79
	s_wait_loadcnt_dscnt 0x904
	s_delay_alu instid0(VALU_DEP_2) | instskip(SKIP_1) | instid1(VALU_DEP_3)
	v_dual_mul_f32 v13, v157, v85 :: v_dual_add_f32 v7, v7, v47
	v_dual_add_f32 v5, v5, v15 :: v_dual_fma_f32 v47, v148, v76, -v55
	v_dual_mul_f32 v15, v159, v87 :: v_dual_fmac_f32 v19, v149, v76
	s_delay_alu instid0(VALU_DEP_3) | instskip(NEXT) | instid1(VALU_DEP_3)
	v_dual_add_f32 v7, v7, v45 :: v_dual_fma_f32 v45, v150, v78, -v57
	v_dual_add_f32 v5, v5, v17 :: v_dual_fmac_f32 v21, v151, v78
	v_dual_mul_f32 v23, v152, v81 :: v_dual_mul_f32 v25, v154, v83
	s_wait_loadcnt_dscnt 0x803
	s_delay_alu instid0(VALU_DEP_3) | instskip(NEXT) | instid1(VALU_DEP_3)
	v_dual_mul_f32 v17, v161, v89 :: v_dual_add_f32 v7, v7, v47
	v_dual_add_f32 v5, v5, v19 :: v_dual_fma_f32 v43, v152, v80, -v43
	s_delay_alu instid0(VALU_DEP_3) | instskip(NEXT) | instid1(VALU_DEP_3)
	v_dual_mul_f32 v19, v163, v91 :: v_dual_fmac_f32 v23, v153, v80
	v_dual_add_f32 v7, v7, v45 :: v_dual_fma_f32 v11, v154, v82, -v11
	s_delay_alu instid0(VALU_DEP_3) | instskip(SKIP_2) | instid1(VALU_DEP_3)
	v_dual_add_f32 v5, v5, v21 :: v_dual_fmac_f32 v25, v155, v82
	v_dual_mul_f32 v27, v156, v85 :: v_dual_mul_f32 v29, v158, v87
	s_wait_loadcnt_dscnt 0x702
	v_dual_mul_f32 v21, v165, v93 :: v_dual_add_f32 v7, v7, v43
	s_delay_alu instid0(VALU_DEP_3) | instskip(NEXT) | instid1(VALU_DEP_3)
	v_dual_add_f32 v5, v5, v23 :: v_dual_fma_f32 v13, v156, v84, -v13
	v_dual_mul_f32 v23, v167, v95 :: v_dual_fmac_f32 v27, v157, v84
	s_delay_alu instid0(VALU_DEP_2) | instskip(SKIP_3) | instid1(VALU_DEP_3)
	v_dual_add_f32 v7, v7, v11 :: v_dual_add_f32 v5, v5, v25
	v_dual_mul_f32 v31, v160, v89 :: v_dual_mul_f32 v33, v162, v91
	s_wait_loadcnt_dscnt 0x601
	v_dual_mul_f32 v11, v169, v97 :: v_dual_fmac_f32 v29, v159, v86
	v_dual_fma_f32 v15, v158, v86, -v15 :: v_dual_add_f32 v5, v5, v27
	s_delay_alu instid0(VALU_DEP_3) | instskip(SKIP_1) | instid1(VALU_DEP_2)
	v_dual_add_f32 v7, v7, v13 :: v_dual_fmac_f32 v31, v161, v88
	v_dual_mul_f32 v13, v171, v99 :: v_dual_fma_f32 v17, v160, v88, -v17
	v_dual_add_f32 v5, v5, v29 :: v_dual_add_f32 v7, v7, v15
	v_dual_mul_f32 v35, v164, v93 :: v_dual_mul_f32 v37, v166, v95
	s_wait_loadcnt_dscnt 0x500
	v_dual_mul_f32 v15, v173, v101 :: v_dual_fmac_f32 v33, v163, v90
	s_delay_alu instid0(VALU_DEP_3) | instskip(NEXT) | instid1(VALU_DEP_3)
	v_dual_fma_f32 v19, v162, v90, -v19 :: v_dual_add_f32 v5, v5, v31
	v_dual_add_f32 v7, v7, v17 :: v_dual_fmac_f32 v35, v165, v92
	v_dual_mul_f32 v17, v175, v103 :: v_dual_fma_f32 v21, v164, v92, -v21
	s_delay_alu instid0(VALU_DEP_2) | instskip(SKIP_2) | instid1(VALU_DEP_3)
	v_dual_add_f32 v5, v5, v33 :: v_dual_add_f32 v7, v7, v19
	v_dual_mul_f32 v39, v168, v97 :: v_dual_mul_f32 v41, v170, v99
	v_dual_fmac_f32 v37, v167, v94 :: v_dual_fma_f32 v19, v166, v94, -v23
	v_dual_add_f32 v5, v5, v35 :: v_dual_add_f32 v7, v7, v21
	s_wait_loadcnt 0x4
	s_delay_alu instid0(VALU_DEP_3) | instskip(NEXT) | instid1(VALU_DEP_2)
	v_dual_mov_b32 v66, v107 :: v_dual_fmac_f32 v39, v169, v96
	v_dual_fma_f32 v11, v168, v96, -v11 :: v_dual_add_f32 v5, v5, v37
	s_delay_alu instid0(VALU_DEP_3) | instskip(SKIP_1) | instid1(VALU_DEP_3)
	v_dual_add_f32 v7, v7, v19 :: v_dual_fma_f32 v13, v170, v98, -v13
	v_dual_mul_f32 v187, v172, v101 :: v_dual_mul_f32 v189, v174, v103
	v_dual_fmac_f32 v41, v171, v98 :: v_dual_add_f32 v5, v5, v39
	s_delay_alu instid0(VALU_DEP_2)
	v_dual_add_f32 v7, v7, v11 :: v_dual_fmac_f32 v187, v173, v100
	v_pk_mul_f32 v[64:65], v[120:121], v[104:105] op_sel:[1,1] op_sel_hi:[0,1]
	s_wait_loadcnt 0x3
	v_dual_mov_b32 v70, v111 :: v_dual_fma_f32 v186, v172, v100, -v15
	v_dual_add_f32 v73, v5, v41 :: v_dual_fmac_f32 v189, v175, v102
	v_dual_add_f32 v72, v7, v13 :: v_dual_fma_f32 v188, v174, v102, -v17
	v_pk_fma_f32 v[74:75], v[120:121], v[104:105], v[64:65] op_sel_hi:[1,0,1]
	v_pk_mul_f32 v[66:67], v[178:179], v[66:67] op_sel_hi:[1,0]
	v_pk_fma_f32 v[64:65], v[120:121], v[104:105], v[64:65] neg_lo:[0,0,1] neg_hi:[0,0,1]
	s_delay_alu instid0(VALU_DEP_4)
	v_pk_add_f32 v[72:73], v[72:73], v[186:187]
	v_pk_mul_f32 v[68:69], v[124:125], v[108:109] op_sel:[1,1] op_sel_hi:[0,1]
	v_mov_b32_e32 v65, v75
	v_pk_fma_f32 v[74:75], v[122:123], v[106:107], v[66:67] op_sel_hi:[1,0,1]
	v_pk_fma_f32 v[66:67], v[122:123], v[106:107], v[66:67] neg_lo:[0,0,1] neg_hi:[0,0,1]
	v_pk_add_f32 v[72:73], v[72:73], v[188:189]
	v_pk_fma_f32 v[78:79], v[124:125], v[108:109], v[68:69] op_sel_hi:[1,0,1]
	v_pk_mul_f32 v[70:71], v[180:181], v[70:71] op_sel_hi:[1,0]
	v_mov_b32_e32 v67, v75
	s_wait_loadcnt 0x2
	v_pk_mul_f32 v[76:77], v[128:129], v[112:113] op_sel:[1,1] op_sel_hi:[0,1]
	v_pk_add_f32 v[64:65], v[72:73], v[64:65]
	v_mov_b32_e32 v72, v115
	v_pk_fma_f32 v[68:69], v[124:125], v[108:109], v[68:69] neg_lo:[0,0,1] neg_hi:[0,0,1]
	v_mov_b32_e32 v69, v79
	v_pk_fma_f32 v[74:75], v[126:127], v[110:111], v[70:71] op_sel_hi:[1,0,1]
	v_pk_add_f32 v[64:65], v[64:65], v[66:67]
	v_pk_fma_f32 v[66:67], v[128:129], v[112:113], v[76:77] op_sel_hi:[1,0,1]
	v_pk_mul_f32 v[72:73], v[182:183], v[72:73] op_sel_hi:[1,0]
	v_pk_fma_f32 v[70:71], v[126:127], v[110:111], v[70:71] neg_lo:[0,0,1] neg_hi:[0,0,1]
	v_mov_b32_e32 v71, v75
	v_pk_add_f32 v[64:65], v[64:65], v[68:69]
	v_pk_fma_f32 v[74:75], v[128:129], v[112:113], v[76:77] neg_lo:[0,0,1] neg_hi:[0,0,1]
	v_mov_b32_e32 v75, v67
	v_pk_fma_f32 v[66:67], v[130:131], v[114:115], v[72:73] op_sel_hi:[1,0,1]
	s_wait_loadcnt 0x1
	v_pk_mul_f32 v[68:69], v[132:133], v[116:117] op_sel:[1,1] op_sel_hi:[0,1]
	v_pk_add_f32 v[64:65], v[64:65], v[70:71]
	v_mov_b32_e32 v66, v119
	v_pk_fma_f32 v[72:73], v[130:131], v[114:115], v[72:73] neg_lo:[0,0,1] neg_hi:[0,0,1]
	v_mov_b32_e32 v73, v67
	v_pk_fma_f32 v[70:71], v[132:133], v[116:117], v[68:69] op_sel_hi:[1,0,1]
	v_pk_add_f32 v[64:65], v[64:65], v[74:75]
	v_pk_mul_f32 v[66:67], v[184:185], v[66:67] op_sel_hi:[1,0]
	v_pk_fma_f32 v[68:69], v[132:133], v[116:117], v[68:69] neg_lo:[0,0,1] neg_hi:[0,0,1]
	s_delay_alu instid0(VALU_DEP_4) | instskip(NEXT) | instid1(VALU_DEP_4)
	v_mov_b32_e32 v69, v71
	v_pk_add_f32 v[64:65], v[64:65], v[72:73]
	s_delay_alu instid0(VALU_DEP_4) | instskip(SKIP_1) | instid1(VALU_DEP_2)
	v_pk_fma_f32 v[70:71], v[134:135], v[118:119], v[66:67] op_sel_hi:[1,0,1]
	v_pk_fma_f32 v[66:67], v[134:135], v[118:119], v[66:67] neg_lo:[0,0,1] neg_hi:[0,0,1]
	v_mov_b32_e32 v67, v71
	s_delay_alu instid0(VALU_DEP_4) | instskip(NEXT) | instid1(VALU_DEP_1)
	v_pk_add_f32 v[64:65], v[64:65], v[68:69]
	v_pk_add_f32 v[64:65], v[64:65], v[66:67]
	s_wait_loadcnt 0x0
	s_delay_alu instid0(VALU_DEP_1)
	v_pk_add_f32 v[64:65], v[176:177], v[64:65] neg_lo:[0,1] neg_hi:[0,1]
	scratch_store_b64 off, v[64:65], off offset:16
	s_wait_xcnt 0x0
	v_cmpx_lt_u32_e32 1, v0
	s_cbranch_execz .LBB30_197
; %bb.196:
	scratch_load_b64 v[64:65], off, off offset:8
	v_mov_b64_e32 v[66:67], 0
	scratch_store_b64 off, v[66:67], off offset:8
	s_wait_loadcnt 0x0
	ds_store_b64 v1, v[64:65]
.LBB30_197:
	s_wait_xcnt 0x0
	s_or_b32 exec_lo, exec_lo, s0
	s_wait_storecnt_dscnt 0x0
	s_barrier_signal -1
	s_barrier_wait -1
	s_clause 0xf
	scratch_load_b128 v[66:69], off, off offset:16
	scratch_load_b128 v[70:73], off, off offset:32
	;; [unrolled: 1-line block ×14, first 2 shown]
	scratch_load_b64 v[178:179], off, off offset:240
	scratch_load_b64 v[180:181], off, off offset:8
	v_dual_mov_b32 v64, 0 :: v_dual_ashrrev_i32 v23, 31, v22
	v_dual_ashrrev_i32 v5, 31, v4 :: v_dual_ashrrev_i32 v7, 31, v6
	v_dual_ashrrev_i32 v11, 31, v10 :: v_dual_ashrrev_i32 v13, 31, v12
	ds_load_b128 v[122:125], v64 offset:432
	ds_load_b128 v[138:141], v64 offset:272
	;; [unrolled: 1-line block ×14, first 2 shown]
	ds_load_b64 v[182:183], v64 offset:496
	v_dual_ashrrev_i32 v15, 31, v14 :: v_dual_ashrrev_i32 v17, 31, v16
	v_dual_ashrrev_i32 v19, 31, v18 :: v_dual_ashrrev_i32 v21, 31, v20
	;; [unrolled: 1-line block ×6, first 2 shown]
	s_mov_b32 s0, exec_lo
	s_wait_dscnt 0xe
	v_dual_mov_b32 v184, v125 :: v_dual_mov_b32 v185, v124
	s_wait_dscnt 0xc
	v_dual_mov_b32 v186, v129 :: v_dual_mov_b32 v187, v128
	;; [unrolled: 2-line block ×4, first 2 shown]
	s_wait_loadcnt 0xf
	v_dual_mul_f32 v41, v138, v67 :: v_dual_mul_f32 v43, v140, v69
	v_dual_mul_f32 v45, v139, v67 :: v_dual_mul_f32 v47, v141, v69
	s_wait_loadcnt_dscnt 0xc07
	v_dual_mul_f32 v61, v150, v79 :: v_dual_mul_f32 v63, v152, v81
	s_delay_alu instid0(VALU_DEP_2)
	v_dual_mul_f32 v79, v151, v79 :: v_dual_fma_f32 v45, v138, v66, -v45
	v_dual_fmac_f32 v41, v139, v66 :: v_dual_mul_f32 v49, v142, v71
	s_wait_loadcnt 0x5
	v_dual_mul_f32 v51, v144, v73 :: v_dual_mul_f32 v69, v122, v107
	v_dual_mul_f32 v55, v143, v71 :: v_dual_mul_f32 v59, v148, v77
	v_dual_mul_f32 v66, v153, v81 :: v_dual_fma_f32 v47, v140, v68, -v47
	v_dual_fmac_f32 v43, v141, v68 :: v_dual_add_f32 v41, 0, v41
	s_wait_dscnt 0x6
	v_dual_add_f32 v45, 0, v45 :: v_dual_mul_f32 v68, v155, v83
	v_dual_mul_f32 v53, v146, v75 :: v_dual_mul_f32 v57, v145, v73
	v_dual_fmac_f32 v49, v143, v70 :: v_dual_fma_f32 v55, v142, v70, -v55
	v_add_f32_e32 v41, v41, v43
	s_delay_alu instid0(VALU_DEP_3) | instskip(SKIP_1) | instid1(VALU_DEP_2)
	v_dual_add_f32 v43, v45, v47 :: v_dual_fmac_f32 v53, v147, v74
	v_dual_mul_f32 v75, v147, v75 :: v_dual_mul_f32 v77, v149, v77
	v_dual_mul_f32 v45, v157, v85 :: v_dual_add_f32 v43, v43, v55
	v_dual_fmac_f32 v51, v145, v72 :: v_dual_fma_f32 v47, v144, v72, -v57
	s_delay_alu instid0(VALU_DEP_3)
	v_dual_add_f32 v41, v41, v49 :: v_dual_fma_f32 v55, v146, v74, -v75
	s_wait_dscnt 0x5
	v_mul_f32_e32 v49, v159, v87
	v_fmac_f32_e32 v61, v151, v78
	v_dual_add_f32 v43, v43, v47 :: v_dual_mul_f32 v47, v161, v89
	v_dual_add_f32 v41, v41, v51 :: v_dual_fma_f32 v51, v148, v76, -v77
	s_delay_alu instid0(VALU_DEP_2) | instskip(NEXT) | instid1(VALU_DEP_2)
	v_dual_fmac_f32 v59, v149, v76 :: v_dual_add_f32 v43, v43, v55
	v_dual_fma_f32 v55, v150, v78, -v79 :: v_dual_add_f32 v41, v41, v53
	s_wait_dscnt 0x4
	v_mul_f32_e32 v53, v163, v91
	v_dual_mul_f32 v65, v154, v83 :: v_dual_mul_f32 v71, v156, v85
	v_dual_add_f32 v43, v43, v51 :: v_dual_mul_f32 v51, v165, v93
	v_dual_add_f32 v41, v41, v59 :: v_dual_fma_f32 v57, v152, v80, -v66
	s_delay_alu instid0(VALU_DEP_2) | instskip(SKIP_1) | instid1(VALU_DEP_2)
	v_dual_fmac_f32 v63, v153, v80 :: v_dual_add_f32 v43, v43, v55
	s_wait_dscnt 0x3
	v_dual_mul_f32 v55, v167, v95 :: v_dual_add_f32 v41, v41, v61
	v_dual_fmac_f32 v65, v155, v82 :: v_dual_fma_f32 v59, v154, v82, -v68
	s_delay_alu instid0(VALU_DEP_3) | instskip(NEXT) | instid1(VALU_DEP_3)
	v_dual_add_f32 v43, v43, v57 :: v_dual_mul_f32 v73, v158, v87
	v_dual_mul_f32 v192, v160, v89 :: v_dual_add_f32 v41, v41, v63
	v_dual_mul_f32 v57, v169, v97 :: v_dual_fma_f32 v45, v156, v84, -v45
	s_delay_alu instid0(VALU_DEP_3) | instskip(SKIP_1) | instid1(VALU_DEP_3)
	v_dual_fmac_f32 v71, v157, v84 :: v_dual_add_f32 v43, v43, v59
	s_wait_dscnt 0x2
	v_dual_add_f32 v41, v41, v65 :: v_dual_mul_f32 v59, v171, v99
	v_fmac_f32_e32 v73, v159, v86
	s_delay_alu instid0(VALU_DEP_3) | instskip(NEXT) | instid1(VALU_DEP_3)
	v_dual_fma_f32 v49, v158, v86, -v49 :: v_dual_add_f32 v43, v43, v45
	v_add_f32_e32 v41, v41, v71
	v_dual_mul_f32 v193, v162, v91 :: v_dual_mul_f32 v194, v164, v93
	v_dual_mul_f32 v45, v173, v101 :: v_dual_fma_f32 v47, v160, v88, -v47
	s_delay_alu instid0(VALU_DEP_4) | instskip(SKIP_3) | instid1(VALU_DEP_3)
	v_dual_fmac_f32 v192, v161, v88 :: v_dual_add_f32 v43, v43, v49
	s_wait_dscnt 0x1
	v_dual_add_f32 v41, v41, v73 :: v_dual_mul_f32 v49, v175, v103
	v_fmac_f32_e32 v193, v163, v90
	v_dual_fma_f32 v53, v162, v90, -v53 :: v_dual_add_f32 v43, v43, v47
	s_delay_alu instid0(VALU_DEP_3) | instskip(SKIP_2) | instid1(VALU_DEP_4)
	v_dual_add_f32 v41, v41, v192 :: v_dual_mul_f32 v195, v166, v95
	v_mul_f32_e32 v196, v168, v97
	v_dual_mul_f32 v47, v177, v105 :: v_dual_fma_f32 v51, v164, v92, -v51
	v_dual_fmac_f32 v194, v165, v92 :: v_dual_add_f32 v43, v43, v53
	s_delay_alu instid0(VALU_DEP_4) | instskip(SKIP_1) | instid1(VALU_DEP_3)
	v_dual_add_f32 v41, v41, v193 :: v_dual_mul_f32 v53, v123, v107
	v_dual_fmac_f32 v195, v167, v94 :: v_dual_mov_b32 v68, v109
	v_dual_fma_f32 v55, v166, v94, -v55 :: v_dual_add_f32 v43, v43, v51
	s_delay_alu instid0(VALU_DEP_3) | instskip(SKIP_1) | instid1(VALU_DEP_3)
	v_dual_add_f32 v41, v41, v194 :: v_dual_fma_f32 v51, v168, v96, -v57
	v_dual_mul_f32 v197, v170, v99 :: v_dual_mul_f32 v198, v172, v101
	v_dual_fmac_f32 v196, v169, v96 :: v_dual_add_f32 v43, v43, v55
	s_delay_alu instid0(VALU_DEP_2) | instskip(SKIP_2) | instid1(VALU_DEP_3)
	v_dual_add_f32 v41, v41, v195 :: v_dual_fmac_f32 v197, v171, v98
	v_fma_f32 v55, v170, v98, -v59
	v_dual_mul_f32 v199, v174, v103 :: v_dual_mul_f32 v67, v176, v105
	v_dual_add_f32 v41, v41, v196 :: v_dual_add_f32 v43, v43, v51
	s_wait_loadcnt 0x4
	v_mov_b32_e32 v72, v113
	v_dual_fmac_f32 v198, v173, v100 :: v_dual_fma_f32 v45, v172, v100, -v45
	s_delay_alu instid0(VALU_DEP_3) | instskip(SKIP_2) | instid1(VALU_DEP_3)
	v_dual_add_f32 v41, v41, v197 :: v_dual_add_f32 v43, v43, v55
	v_dual_fmac_f32 v199, v175, v102 :: v_dual_fma_f32 v49, v174, v102, -v49
	v_pk_mul_f32 v[76:77], v[184:185], v[68:69] op_sel_hi:[1,0]
	v_dual_add_f32 v41, v41, v198 :: v_dual_add_f32 v43, v43, v45
	v_fmac_f32_e32 v67, v177, v104
	v_fma_f32 v66, v176, v104, -v47
	v_pk_mul_f32 v[70:71], v[126:127], v[110:111] op_sel:[1,1] op_sel_hi:[0,1]
	s_delay_alu instid0(VALU_DEP_4)
	v_dual_add_f32 v79, v41, v199 :: v_dual_add_f32 v78, v43, v49
	s_wait_loadcnt 0x3
	v_dual_mov_b32 v80, v117 :: v_dual_fmac_f32 v69, v123, v106
	v_pk_fma_f32 v[82:83], v[124:125], v[108:109], v[76:77] op_sel_hi:[1,0,1]
	v_fma_f32 v68, v122, v106, -v53
	v_pk_add_f32 v[66:67], v[78:79], v[66:67]
	v_pk_fma_f32 v[76:77], v[124:125], v[108:109], v[76:77] neg_lo:[0,0,1] neg_hi:[0,0,1]
	v_pk_fma_f32 v[78:79], v[126:127], v[110:111], v[70:71] op_sel_hi:[1,0,1]
	v_pk_mul_f32 v[72:73], v[186:187], v[72:73] op_sel_hi:[1,0]
	v_mov_b32_e32 v77, v83
	v_pk_add_f32 v[66:67], v[66:67], v[68:69]
	v_pk_fma_f32 v[70:71], v[126:127], v[110:111], v[70:71] neg_lo:[0,0,1] neg_hi:[0,0,1]
	v_pk_mul_f32 v[74:75], v[130:131], v[114:115] op_sel:[1,1] op_sel_hi:[0,1]
	v_mov_b32_e32 v71, v79
	v_pk_fma_f32 v[78:79], v[128:129], v[112:113], v[72:73] op_sel_hi:[1,0,1]
	v_pk_add_f32 v[66:67], v[66:67], v[76:77]
	v_pk_fma_f32 v[72:73], v[128:129], v[112:113], v[72:73] neg_lo:[0,0,1] neg_hi:[0,0,1]
	v_pk_fma_f32 v[76:77], v[130:131], v[114:115], v[74:75] op_sel_hi:[1,0,1]
	v_pk_mul_f32 v[80:81], v[188:189], v[80:81] op_sel_hi:[1,0]
	v_mov_b32_e32 v73, v79
	v_pk_add_f32 v[66:67], v[66:67], v[70:71]
	v_pk_fma_f32 v[74:75], v[130:131], v[114:115], v[74:75] neg_lo:[0,0,1] neg_hi:[0,0,1]
	s_wait_loadcnt 0x2
	v_pk_mul_f32 v[68:69], v[134:135], v[118:119] op_sel:[1,1] op_sel_hi:[0,1]
	v_dual_mov_b32 v70, v121 :: v_dual_mov_b32 v75, v77
	v_pk_fma_f32 v[76:77], v[132:133], v[116:117], v[80:81] op_sel_hi:[1,0,1]
	v_pk_add_f32 v[66:67], v[66:67], v[72:73]
	v_pk_fma_f32 v[78:79], v[132:133], v[116:117], v[80:81] neg_lo:[0,0,1] neg_hi:[0,0,1]
	v_pk_fma_f32 v[72:73], v[134:135], v[118:119], v[68:69] op_sel_hi:[1,0,1]
	v_pk_mul_f32 v[70:71], v[190:191], v[70:71] op_sel_hi:[1,0]
	v_dual_mov_b32 v79, v77 :: v_dual_ashrrev_i32 v41, 31, v40
	v_pk_add_f32 v[66:67], v[66:67], v[74:75]
	v_pk_fma_f32 v[68:69], v[134:135], v[118:119], v[68:69] neg_lo:[0,0,1] neg_hi:[0,0,1]
	v_dual_mov_b32 v69, v73 :: v_dual_ashrrev_i32 v43, 31, v42
	v_pk_fma_f32 v[72:73], v[136:137], v[120:121], v[70:71] op_sel_hi:[1,0,1]
	s_delay_alu instid0(VALU_DEP_4)
	v_pk_add_f32 v[66:67], v[66:67], v[78:79]
	s_wait_loadcnt_dscnt 0x100
	v_pk_mul_f32 v[74:75], v[182:183], v[178:179] op_sel:[1,1] op_sel_hi:[0,1]
	v_pk_fma_f32 v[70:71], v[136:137], v[120:121], v[70:71] neg_lo:[0,0,1] neg_hi:[0,0,1]
	v_dual_ashrrev_i32 v45, 31, v44 :: v_dual_mov_b32 v71, v73
	v_pk_add_f32 v[66:67], v[66:67], v[68:69]
	s_delay_alu instid0(VALU_DEP_4)
	v_pk_fma_f32 v[68:69], v[182:183], v[178:179], v[74:75] op_sel_hi:[1,0,1]
	v_pk_fma_f32 v[72:73], v[182:183], v[178:179], v[74:75] neg_lo:[0,0,1] neg_hi:[0,0,1]
	v_dual_ashrrev_i32 v47, 31, v46 :: v_dual_ashrrev_i32 v49, 31, v48
	v_ashrrev_i32_e32 v51, 31, v50
	v_pk_add_f32 v[66:67], v[66:67], v[70:71]
	v_dual_mov_b32 v73, v69 :: v_dual_ashrrev_i32 v53, 31, v52
	v_dual_ashrrev_i32 v55, 31, v54 :: v_dual_ashrrev_i32 v57, 31, v56
	v_ashrrev_i32_e32 v59, 31, v58
	s_delay_alu instid0(VALU_DEP_3) | instskip(SKIP_2) | instid1(VALU_DEP_2)
	v_pk_add_f32 v[66:67], v[66:67], v[72:73]
	v_dual_ashrrev_i32 v61, 31, v60 :: v_dual_ashrrev_i32 v63, 31, v62
	s_wait_loadcnt 0x0
	v_pk_add_f32 v[66:67], v[180:181], v[66:67] neg_lo:[0,1] neg_hi:[0,1]
	scratch_store_b64 off, v[66:67], off offset:8
	s_wait_xcnt 0x0
	v_cmpx_ne_u32_e32 0, v0
	s_cbranch_execz .LBB30_199
; %bb.198:
	scratch_load_b64 v[66:67], off, off
	v_mov_b64_e32 v[68:69], 0
	scratch_store_b64 off, v[68:69], off
	s_wait_loadcnt 0x0
	ds_store_b64 v1, v[66:67]
.LBB30_199:
	s_wait_xcnt 0x0
	s_or_b32 exec_lo, exec_lo, s0
	s_wait_storecnt_dscnt 0x0
	s_barrier_signal -1
	s_barrier_wait -1
	s_clause 0xf
	scratch_load_b128 v[66:69], off, off offset:8
	scratch_load_b128 v[70:73], off, off offset:24
	scratch_load_b128 v[74:77], off, off offset:40
	scratch_load_b128 v[78:81], off, off offset:56
	scratch_load_b128 v[82:85], off, off offset:72
	scratch_load_b128 v[86:89], off, off offset:88
	scratch_load_b128 v[90:93], off, off offset:104
	scratch_load_b128 v[94:97], off, off offset:120
	scratch_load_b128 v[98:101], off, off offset:136
	scratch_load_b128 v[102:105], off, off offset:152
	scratch_load_b128 v[106:109], off, off offset:168
	scratch_load_b128 v[110:113], off, off offset:184
	scratch_load_b128 v[114:117], off, off offset:200
	scratch_load_b128 v[118:121], off, off offset:216
	scratch_load_b128 v[122:125], off, off offset:232
	scratch_load_b64 v[0:1], off, off
	ds_load_2addr_b64 v[126:129], v64 offset0:55 offset1:56
	ds_load_2addr_b64 v[130:133], v64 offset0:57 offset1:58
	;; [unrolled: 1-line block ×15, first 2 shown]
	s_and_b32 vcc_lo, exec_lo, s18
	s_wait_dscnt 0xe
	v_dual_mov_b32 v64, v129 :: v_dual_mov_b32 v65, v128
	s_wait_dscnt 0xd
	v_dual_mov_b32 v186, v133 :: v_dual_mov_b32 v187, v132
	;; [unrolled: 2-line block ×4, first 2 shown]
	s_wait_loadcnt_dscnt 0xf0a
	v_dual_mul_f32 v192, v142, v67 :: v_dual_mul_f32 v194, v144, v69
	v_dual_mul_f32 v67, v143, v67 :: v_dual_mul_f32 v69, v145, v69
	s_wait_loadcnt_dscnt 0xc06
	v_dual_mul_f32 v200, v158, v79 :: v_dual_mul_f32 v201, v160, v81
	v_mul_f32_e32 v79, v159, v79
	s_delay_alu instid0(VALU_DEP_3)
	v_dual_fmac_f32 v192, v143, v66 :: v_dual_fma_f32 v66, v142, v66, -v67
	v_dual_mul_f32 v196, v146, v71 :: v_dual_mul_f32 v197, v148, v73
	v_dual_mul_f32 v71, v147, v71 :: v_dual_mul_f32 v73, v149, v73
	v_mul_f32_e32 v67, v161, v81
	v_dual_fmac_f32 v194, v145, v68 :: v_dual_fma_f32 v68, v144, v68, -v69
	v_dual_add_f32 v69, 0, v192 :: v_dual_add_f32 v66, 0, v66
	s_wait_loadcnt_dscnt 0xb05
	v_mul_f32_e32 v81, v163, v83
	v_dual_fmac_f32 v196, v147, v70 :: v_dual_fma_f32 v70, v146, v70, -v71
	s_delay_alu instid0(VALU_DEP_3) | instskip(SKIP_3) | instid1(VALU_DEP_3)
	v_dual_add_f32 v69, v69, v194 :: v_dual_fma_f32 v71, v148, v72, -v73
	v_add_f32_e32 v66, v66, v68
	v_dual_mul_f32 v198, v154, v75 :: v_dual_mul_f32 v199, v156, v77
	v_dual_mul_f32 v75, v155, v75 :: v_dual_mul_f32 v77, v157, v77
	v_dual_mul_f32 v68, v165, v85 :: v_dual_add_f32 v66, v66, v70
	s_wait_loadcnt_dscnt 0xa04
	v_dual_fmac_f32 v197, v149, v72 :: v_dual_mul_f32 v70, v167, v87
	v_dual_add_f32 v69, v69, v196 :: v_dual_fmac_f32 v198, v155, v74
	v_fma_f32 v72, v154, v74, -v75
	v_dual_add_f32 v66, v66, v71 :: v_dual_mul_f32 v71, v169, v89
	s_delay_alu instid0(VALU_DEP_3) | instskip(SKIP_2) | instid1(VALU_DEP_3)
	v_add_f32_e32 v69, v69, v197
	v_dual_fmac_f32 v199, v157, v76 :: v_dual_fma_f32 v73, v156, v76, -v77
	s_wait_loadcnt_dscnt 0x903
	v_dual_add_f32 v66, v66, v72 :: v_dual_mul_f32 v72, v171, v91
	v_fma_f32 v74, v158, v78, -v79
	v_add_f32_e32 v69, v69, v198
	s_delay_alu instid0(VALU_DEP_3) | instskip(SKIP_1) | instid1(VALU_DEP_3)
	v_dual_fmac_f32 v200, v159, v78 :: v_dual_add_f32 v66, v66, v73
	v_dual_fmac_f32 v201, v161, v80 :: v_dual_mul_f32 v202, v162, v83
	v_dual_mul_f32 v203, v164, v85 :: v_dual_add_f32 v69, v69, v199
	v_dual_mul_f32 v73, v173, v93 :: v_dual_fma_f32 v67, v160, v80, -v67
	s_wait_loadcnt_dscnt 0x802
	v_dual_add_f32 v66, v66, v74 :: v_dual_mul_f32 v74, v175, v95
	s_delay_alu instid0(VALU_DEP_3) | instskip(NEXT) | instid1(VALU_DEP_2)
	v_dual_fma_f32 v75, v162, v82, -v81 :: v_dual_add_f32 v69, v69, v200
	v_dual_fmac_f32 v202, v163, v82 :: v_dual_add_f32 v66, v66, v67
	v_dual_mul_f32 v67, v177, v97 :: v_dual_mul_f32 v204, v166, v87
	v_mul_f32_e32 v205, v168, v89
	s_delay_alu instid0(VALU_DEP_4)
	v_add_f32_e32 v69, v69, v201
	v_dual_fmac_f32 v203, v165, v84 :: v_dual_fma_f32 v68, v164, v84, -v68
	v_add_f32_e32 v66, v66, v75
	s_wait_loadcnt_dscnt 0x701
	v_dual_mul_f32 v75, v179, v99 :: v_dual_fma_f32 v70, v166, v86, -v70
	v_add_f32_e32 v69, v69, v202
	s_delay_alu instid0(VALU_DEP_3) | instskip(SKIP_1) | instid1(VALU_DEP_3)
	v_dual_fmac_f32 v204, v167, v86 :: v_dual_add_f32 v66, v66, v68
	v_dual_mul_f32 v76, v181, v101 :: v_dual_mul_f32 v206, v170, v91
	v_dual_mul_f32 v207, v172, v93 :: v_dual_add_f32 v69, v69, v203
	v_dual_fmac_f32 v205, v169, v88 :: v_dual_fma_f32 v68, v168, v88, -v71
	s_wait_loadcnt_dscnt 0x600
	v_dual_add_f32 v66, v66, v70 :: v_dual_mul_f32 v77, v183, v103
	s_delay_alu instid0(VALU_DEP_3) | instskip(NEXT) | instid1(VALU_DEP_2)
	v_dual_fma_f32 v70, v170, v90, -v72 :: v_dual_add_f32 v69, v69, v204
	v_dual_fmac_f32 v206, v171, v90 :: v_dual_add_f32 v66, v66, v68
	v_dual_mul_f32 v78, v185, v105 :: v_dual_mul_f32 v208, v174, v95
	v_mul_f32_e32 v209, v176, v97
	s_delay_alu instid0(VALU_DEP_4)
	v_add_f32_e32 v69, v69, v205
	v_dual_fmac_f32 v207, v173, v92 :: v_dual_fma_f32 v68, v172, v92, -v73
	s_wait_loadcnt 0x5
	v_mul_f32_e32 v73, v151, v107
	v_fmac_f32_e32 v208, v175, v94
	v_add_f32_e32 v69, v69, v206
	v_add_f32_e32 v66, v66, v70
	v_fma_f32 v70, v174, v94, -v74
	v_dual_mul_f32 v210, v178, v99 :: v_dual_mul_f32 v211, v180, v101
	s_delay_alu instid0(VALU_DEP_3) | instskip(SKIP_2) | instid1(VALU_DEP_3)
	v_dual_add_f32 v69, v69, v207 :: v_dual_add_f32 v66, v66, v68
	v_mul_f32_e32 v79, v153, v109
	v_dual_fmac_f32 v209, v177, v96 :: v_dual_fma_f32 v68, v176, v96, -v67
	v_dual_add_f32 v69, v69, v208 :: v_dual_add_f32 v70, v66, v70
	v_dual_fmac_f32 v210, v179, v98 :: v_dual_fma_f32 v71, v178, v98, -v75
	v_dual_mul_f32 v212, v182, v103 :: v_dual_mul_f32 v213, v184, v105
	s_delay_alu instid0(VALU_DEP_3) | instskip(SKIP_2) | instid1(VALU_DEP_3)
	v_dual_add_f32 v69, v69, v209 :: v_dual_add_f32 v70, v70, v68
	s_wait_loadcnt 0x4
	v_dual_mov_b32 v68, v113 :: v_dual_fma_f32 v72, v180, v100, -v76
	v_dual_fmac_f32 v211, v181, v100 :: v_dual_fmac_f32 v212, v183, v102
	v_fma_f32 v75, v182, v102, -v77
	v_dual_add_f32 v74, v70, v71 :: v_dual_add_f32 v69, v69, v210
	v_dual_mul_f32 v193, v150, v107 :: v_dual_mul_f32 v195, v152, v109
	v_pk_mul_f32 v[66:67], v[126:127], v[110:111] op_sel:[1,1] op_sel_hi:[0,1]
	s_delay_alu instid0(VALU_DEP_3) | instskip(SKIP_2) | instid1(VALU_DEP_2)
	v_dual_add_f32 v74, v74, v72 :: v_dual_add_f32 v69, v69, v211
	s_wait_loadcnt 0x3
	v_dual_fma_f32 v76, v184, v104, -v78 :: v_dual_mov_b32 v72, v117
	v_dual_fmac_f32 v193, v151, v106 :: v_dual_add_f32 v78, v74, v75
	s_delay_alu instid0(VALU_DEP_3)
	v_add_f32_e32 v69, v69, v212
	v_fma_f32 v194, v152, v108, -v79
	v_pk_mul_f32 v[70:71], v[130:131], v[114:115] op_sel:[1,1] op_sel_hi:[0,1]
	s_wait_loadcnt 0x2
	v_pk_mul_f32 v[74:75], v[134:135], v[118:119] op_sel:[1,1] op_sel_hi:[0,1]
	v_add_f32_e32 v76, v78, v76
	v_pk_fma_f32 v[78:79], v[126:127], v[110:111], v[66:67] op_sel_hi:[1,0,1]
	v_fmac_f32_e32 v213, v185, v104
	v_pk_mul_f32 v[64:65], v[64:65], v[68:69] op_sel_hi:[1,0]
	v_pk_fma_f32 v[66:67], v[126:127], v[110:111], v[66:67] neg_lo:[0,0,1] neg_hi:[0,0,1]
	v_pk_fma_f32 v[80:81], v[130:131], v[114:115], v[70:71] op_sel_hi:[1,0,1]
	v_dual_mov_b32 v67, v79 :: v_dual_fma_f32 v192, v150, v106, -v73
	v_add_f32_e32 v77, v69, v213
	v_pk_fma_f32 v[78:79], v[128:129], v[112:113], v[64:65] op_sel_hi:[1,0,1]
	v_pk_mul_f32 v[72:73], v[186:187], v[72:73] op_sel_hi:[1,0]
	v_pk_fma_f32 v[64:65], v[128:129], v[112:113], v[64:65] neg_lo:[0,0,1] neg_hi:[0,0,1]
	v_pk_fma_f32 v[70:71], v[130:131], v[114:115], v[70:71] neg_lo:[0,0,1] neg_hi:[0,0,1]
	s_delay_alu instid0(VALU_DEP_4) | instskip(SKIP_4) | instid1(VALU_DEP_3)
	v_dual_mov_b32 v71, v81 :: v_dual_mov_b32 v65, v79
	v_pk_add_f32 v[68:69], v[76:77], v[192:193]
	v_pk_fma_f32 v[78:79], v[132:133], v[116:117], v[72:73] op_sel_hi:[1,0,1]
	v_fmac_f32_e32 v195, v153, v108
	v_pk_fma_f32 v[72:73], v[132:133], v[116:117], v[72:73] neg_lo:[0,0,1] neg_hi:[0,0,1]
	v_dual_mov_b32 v76, v121 :: v_dual_mov_b32 v73, v79
	s_delay_alu instid0(VALU_DEP_3) | instskip(NEXT) | instid1(VALU_DEP_2)
	v_pk_add_f32 v[68:69], v[68:69], v[194:195]
	v_pk_mul_f32 v[76:77], v[188:189], v[76:77] op_sel_hi:[1,0]
	s_delay_alu instid0(VALU_DEP_2) | instskip(SKIP_2) | instid1(VALU_DEP_2)
	v_pk_add_f32 v[66:67], v[68:69], v[66:67]
	s_wait_loadcnt 0x1
	v_pk_mul_f32 v[68:69], v[138:139], v[122:123] op_sel:[1,1] op_sel_hi:[0,1]
	v_pk_add_f32 v[64:65], v[66:67], v[64:65]
	v_pk_fma_f32 v[66:67], v[134:135], v[118:119], v[74:75] op_sel_hi:[1,0,1]
	v_mov_b32_e32 v66, v125
	s_delay_alu instid0(VALU_DEP_3)
	v_pk_add_f32 v[64:65], v[64:65], v[70:71]
	v_pk_fma_f32 v[70:71], v[134:135], v[118:119], v[74:75] neg_lo:[0,0,1] neg_hi:[0,0,1]
	v_pk_fma_f32 v[74:75], v[136:137], v[120:121], v[76:77] op_sel_hi:[1,0,1]
	v_mov_b32_e32 v71, v67
	v_pk_fma_f32 v[76:77], v[136:137], v[120:121], v[76:77] neg_lo:[0,0,1] neg_hi:[0,0,1]
	v_pk_add_f32 v[64:65], v[64:65], v[72:73]
	v_pk_fma_f32 v[72:73], v[138:139], v[122:123], v[68:69] op_sel_hi:[1,0,1]
	v_pk_mul_f32 v[66:67], v[190:191], v[66:67] op_sel_hi:[1,0]
	v_mov_b32_e32 v77, v75
	v_pk_fma_f32 v[68:69], v[138:139], v[122:123], v[68:69] neg_lo:[0,0,1] neg_hi:[0,0,1]
	v_pk_add_f32 v[64:65], v[64:65], v[70:71]
	s_delay_alu instid0(VALU_DEP_4) | instskip(SKIP_2) | instid1(VALU_DEP_4)
	v_pk_fma_f32 v[70:71], v[140:141], v[124:125], v[66:67] op_sel_hi:[1,0,1]
	v_mov_b32_e32 v69, v73
	v_pk_fma_f32 v[66:67], v[140:141], v[124:125], v[66:67] neg_lo:[0,0,1] neg_hi:[0,0,1]
	v_pk_add_f32 v[64:65], v[64:65], v[76:77]
	s_delay_alu instid0(VALU_DEP_4) | instskip(NEXT) | instid1(VALU_DEP_2)
	v_mov_b32_e32 v67, v71
	v_pk_add_f32 v[64:65], v[64:65], v[68:69]
	s_delay_alu instid0(VALU_DEP_1) | instskip(SKIP_1) | instid1(VALU_DEP_1)
	v_pk_add_f32 v[64:65], v[64:65], v[66:67]
	s_wait_loadcnt 0x0
	v_pk_add_f32 v[0:1], v[0:1], v[64:65] neg_lo:[0,1] neg_hi:[0,1]
	scratch_store_b64 off, v[0:1], off
	s_cbranch_vccz .LBB30_260
; %bb.200:
	s_wait_xcnt 0x0
	v_mov_b32_e32 v0, 0
	global_load_b32 v1, v0, s[2:3] offset:116
	s_wait_loadcnt 0x0
	v_cmp_ne_u32_e32 vcc_lo, 30, v1
	s_cbranch_vccz .LBB30_202
; %bb.201:
	v_lshlrev_b32_e32 v1, 3, v1
	scratch_load_b64 v[64:65], v1, off offset:-8
	scratch_load_b64 v[66:67], off, off offset:232
	s_wait_loadcnt 0x1
	scratch_store_b64 off, v[64:65], off offset:232
	s_wait_loadcnt 0x0
	scratch_store_b64 v1, v[66:67], off offset:-8
.LBB30_202:
	global_load_b32 v0, v0, s[2:3] offset:112
	s_wait_loadcnt 0x0
	v_cmp_eq_u32_e32 vcc_lo, 29, v0
	s_cbranch_vccnz .LBB30_204
; %bb.203:
	s_wait_xcnt 0x0
	v_lshlrev_b32_e32 v0, 3, v0
	s_delay_alu instid0(VALU_DEP_1)
	v_mov_b32_e32 v66, v0
	scratch_load_b64 v[0:1], v66, off offset:-8
	scratch_load_b64 v[64:65], off, off offset:224
	s_wait_loadcnt 0x1
	scratch_store_b64 off, v[0:1], off offset:224
	s_wait_loadcnt 0x0
	scratch_store_b64 v66, v[64:65], off offset:-8
.LBB30_204:
	s_wait_xcnt 0x0
	v_mov_b32_e32 v0, 0
	global_load_b32 v1, v0, s[2:3] offset:108
	s_wait_loadcnt 0x0
	v_cmp_eq_u32_e32 vcc_lo, 28, v1
	s_cbranch_vccnz .LBB30_206
; %bb.205:
	v_lshlrev_b32_e32 v1, 3, v1
	scratch_load_b64 v[64:65], v1, off offset:-8
	scratch_load_b64 v[66:67], off, off offset:216
	s_wait_loadcnt 0x1
	scratch_store_b64 off, v[64:65], off offset:216
	s_wait_loadcnt 0x0
	scratch_store_b64 v1, v[66:67], off offset:-8
.LBB30_206:
	global_load_b32 v0, v0, s[2:3] offset:104
	s_wait_loadcnt 0x0
	v_cmp_eq_u32_e32 vcc_lo, 27, v0
	s_cbranch_vccnz .LBB30_208
; %bb.207:
	s_wait_xcnt 0x0
	v_lshlrev_b32_e32 v0, 3, v0
	s_delay_alu instid0(VALU_DEP_1)
	v_mov_b32_e32 v66, v0
	scratch_load_b64 v[0:1], v66, off offset:-8
	scratch_load_b64 v[64:65], off, off offset:208
	s_wait_loadcnt 0x1
	scratch_store_b64 off, v[0:1], off offset:208
	s_wait_loadcnt 0x0
	scratch_store_b64 v66, v[64:65], off offset:-8
.LBB30_208:
	s_wait_xcnt 0x0
	v_mov_b32_e32 v0, 0
	global_load_b32 v1, v0, s[2:3] offset:100
	s_wait_loadcnt 0x0
	v_cmp_eq_u32_e32 vcc_lo, 26, v1
	s_cbranch_vccnz .LBB30_210
; %bb.209:
	v_lshlrev_b32_e32 v1, 3, v1
	scratch_load_b64 v[64:65], v1, off offset:-8
	scratch_load_b64 v[66:67], off, off offset:200
	s_wait_loadcnt 0x1
	scratch_store_b64 off, v[64:65], off offset:200
	s_wait_loadcnt 0x0
	scratch_store_b64 v1, v[66:67], off offset:-8
.LBB30_210:
	global_load_b32 v0, v0, s[2:3] offset:96
	s_wait_loadcnt 0x0
	v_cmp_eq_u32_e32 vcc_lo, 25, v0
	s_cbranch_vccnz .LBB30_212
; %bb.211:
	s_wait_xcnt 0x0
	v_lshlrev_b32_e32 v0, 3, v0
	s_delay_alu instid0(VALU_DEP_1)
	v_mov_b32_e32 v66, v0
	scratch_load_b64 v[0:1], v66, off offset:-8
	scratch_load_b64 v[64:65], off, off offset:192
	s_wait_loadcnt 0x1
	scratch_store_b64 off, v[0:1], off offset:192
	s_wait_loadcnt 0x0
	scratch_store_b64 v66, v[64:65], off offset:-8
.LBB30_212:
	s_wait_xcnt 0x0
	v_mov_b32_e32 v0, 0
	global_load_b32 v1, v0, s[2:3] offset:92
	s_wait_loadcnt 0x0
	v_cmp_eq_u32_e32 vcc_lo, 24, v1
	s_cbranch_vccnz .LBB30_214
; %bb.213:
	v_lshlrev_b32_e32 v1, 3, v1
	scratch_load_b64 v[64:65], v1, off offset:-8
	scratch_load_b64 v[66:67], off, off offset:184
	s_wait_loadcnt 0x1
	scratch_store_b64 off, v[64:65], off offset:184
	s_wait_loadcnt 0x0
	scratch_store_b64 v1, v[66:67], off offset:-8
.LBB30_214:
	global_load_b32 v0, v0, s[2:3] offset:88
	s_wait_loadcnt 0x0
	v_cmp_eq_u32_e32 vcc_lo, 23, v0
	s_cbranch_vccnz .LBB30_216
; %bb.215:
	s_wait_xcnt 0x0
	v_lshlrev_b32_e32 v0, 3, v0
	s_delay_alu instid0(VALU_DEP_1)
	v_mov_b32_e32 v66, v0
	scratch_load_b64 v[0:1], v66, off offset:-8
	scratch_load_b64 v[64:65], off, off offset:176
	s_wait_loadcnt 0x1
	scratch_store_b64 off, v[0:1], off offset:176
	s_wait_loadcnt 0x0
	scratch_store_b64 v66, v[64:65], off offset:-8
.LBB30_216:
	s_wait_xcnt 0x0
	v_mov_b32_e32 v0, 0
	global_load_b32 v1, v0, s[2:3] offset:84
	s_wait_loadcnt 0x0
	v_cmp_eq_u32_e32 vcc_lo, 22, v1
	s_cbranch_vccnz .LBB30_218
; %bb.217:
	v_lshlrev_b32_e32 v1, 3, v1
	scratch_load_b64 v[64:65], v1, off offset:-8
	scratch_load_b64 v[66:67], off, off offset:168
	s_wait_loadcnt 0x1
	scratch_store_b64 off, v[64:65], off offset:168
	s_wait_loadcnt 0x0
	scratch_store_b64 v1, v[66:67], off offset:-8
.LBB30_218:
	global_load_b32 v0, v0, s[2:3] offset:80
	s_wait_loadcnt 0x0
	v_cmp_eq_u32_e32 vcc_lo, 21, v0
	s_cbranch_vccnz .LBB30_220
; %bb.219:
	s_wait_xcnt 0x0
	v_lshlrev_b32_e32 v0, 3, v0
	s_delay_alu instid0(VALU_DEP_1)
	v_mov_b32_e32 v66, v0
	scratch_load_b64 v[0:1], v66, off offset:-8
	scratch_load_b64 v[64:65], off, off offset:160
	s_wait_loadcnt 0x1
	scratch_store_b64 off, v[0:1], off offset:160
	s_wait_loadcnt 0x0
	scratch_store_b64 v66, v[64:65], off offset:-8
.LBB30_220:
	s_wait_xcnt 0x0
	v_mov_b32_e32 v0, 0
	global_load_b32 v1, v0, s[2:3] offset:76
	s_wait_loadcnt 0x0
	v_cmp_eq_u32_e32 vcc_lo, 20, v1
	s_cbranch_vccnz .LBB30_222
; %bb.221:
	v_lshlrev_b32_e32 v1, 3, v1
	scratch_load_b64 v[64:65], v1, off offset:-8
	scratch_load_b64 v[66:67], off, off offset:152
	s_wait_loadcnt 0x1
	scratch_store_b64 off, v[64:65], off offset:152
	s_wait_loadcnt 0x0
	scratch_store_b64 v1, v[66:67], off offset:-8
.LBB30_222:
	global_load_b32 v0, v0, s[2:3] offset:72
	s_wait_loadcnt 0x0
	v_cmp_eq_u32_e32 vcc_lo, 19, v0
	s_cbranch_vccnz .LBB30_224
; %bb.223:
	s_wait_xcnt 0x0
	v_lshlrev_b32_e32 v0, 3, v0
	s_delay_alu instid0(VALU_DEP_1)
	v_mov_b32_e32 v66, v0
	scratch_load_b64 v[0:1], v66, off offset:-8
	scratch_load_b64 v[64:65], off, off offset:144
	s_wait_loadcnt 0x1
	scratch_store_b64 off, v[0:1], off offset:144
	s_wait_loadcnt 0x0
	scratch_store_b64 v66, v[64:65], off offset:-8
.LBB30_224:
	s_wait_xcnt 0x0
	v_mov_b32_e32 v0, 0
	global_load_b32 v1, v0, s[2:3] offset:68
	s_wait_loadcnt 0x0
	v_cmp_eq_u32_e32 vcc_lo, 18, v1
	s_cbranch_vccnz .LBB30_226
; %bb.225:
	v_lshlrev_b32_e32 v1, 3, v1
	scratch_load_b64 v[64:65], v1, off offset:-8
	scratch_load_b64 v[66:67], off, off offset:136
	s_wait_loadcnt 0x1
	scratch_store_b64 off, v[64:65], off offset:136
	s_wait_loadcnt 0x0
	scratch_store_b64 v1, v[66:67], off offset:-8
.LBB30_226:
	global_load_b32 v0, v0, s[2:3] offset:64
	s_wait_loadcnt 0x0
	v_cmp_eq_u32_e32 vcc_lo, 17, v0
	s_cbranch_vccnz .LBB30_228
; %bb.227:
	s_wait_xcnt 0x0
	v_lshlrev_b32_e32 v0, 3, v0
	s_delay_alu instid0(VALU_DEP_1)
	v_mov_b32_e32 v66, v0
	scratch_load_b64 v[0:1], v66, off offset:-8
	scratch_load_b64 v[64:65], off, off offset:128
	s_wait_loadcnt 0x1
	scratch_store_b64 off, v[0:1], off offset:128
	s_wait_loadcnt 0x0
	scratch_store_b64 v66, v[64:65], off offset:-8
.LBB30_228:
	s_wait_xcnt 0x0
	v_mov_b32_e32 v0, 0
	global_load_b32 v1, v0, s[2:3] offset:60
	s_wait_loadcnt 0x0
	v_cmp_eq_u32_e32 vcc_lo, 16, v1
	s_cbranch_vccnz .LBB30_230
; %bb.229:
	v_lshlrev_b32_e32 v1, 3, v1
	scratch_load_b64 v[64:65], v1, off offset:-8
	scratch_load_b64 v[66:67], off, off offset:120
	s_wait_loadcnt 0x1
	scratch_store_b64 off, v[64:65], off offset:120
	s_wait_loadcnt 0x0
	scratch_store_b64 v1, v[66:67], off offset:-8
.LBB30_230:
	global_load_b32 v0, v0, s[2:3] offset:56
	s_wait_loadcnt 0x0
	v_cmp_eq_u32_e32 vcc_lo, 15, v0
	s_cbranch_vccnz .LBB30_232
; %bb.231:
	s_wait_xcnt 0x0
	v_lshlrev_b32_e32 v0, 3, v0
	s_delay_alu instid0(VALU_DEP_1)
	v_mov_b32_e32 v66, v0
	scratch_load_b64 v[0:1], v66, off offset:-8
	scratch_load_b64 v[64:65], off, off offset:112
	s_wait_loadcnt 0x1
	scratch_store_b64 off, v[0:1], off offset:112
	s_wait_loadcnt 0x0
	scratch_store_b64 v66, v[64:65], off offset:-8
.LBB30_232:
	s_wait_xcnt 0x0
	v_mov_b32_e32 v0, 0
	global_load_b32 v1, v0, s[2:3] offset:52
	s_wait_loadcnt 0x0
	v_cmp_eq_u32_e32 vcc_lo, 14, v1
	s_cbranch_vccnz .LBB30_234
; %bb.233:
	v_lshlrev_b32_e32 v1, 3, v1
	scratch_load_b64 v[64:65], v1, off offset:-8
	scratch_load_b64 v[66:67], off, off offset:104
	s_wait_loadcnt 0x1
	scratch_store_b64 off, v[64:65], off offset:104
	s_wait_loadcnt 0x0
	scratch_store_b64 v1, v[66:67], off offset:-8
.LBB30_234:
	global_load_b32 v0, v0, s[2:3] offset:48
	s_wait_loadcnt 0x0
	v_cmp_eq_u32_e32 vcc_lo, 13, v0
	s_cbranch_vccnz .LBB30_236
; %bb.235:
	s_wait_xcnt 0x0
	v_lshlrev_b32_e32 v0, 3, v0
	s_delay_alu instid0(VALU_DEP_1)
	v_mov_b32_e32 v66, v0
	scratch_load_b64 v[0:1], v66, off offset:-8
	scratch_load_b64 v[64:65], off, off offset:96
	s_wait_loadcnt 0x1
	scratch_store_b64 off, v[0:1], off offset:96
	s_wait_loadcnt 0x0
	scratch_store_b64 v66, v[64:65], off offset:-8
.LBB30_236:
	s_wait_xcnt 0x0
	v_mov_b32_e32 v0, 0
	global_load_b32 v1, v0, s[2:3] offset:44
	s_wait_loadcnt 0x0
	v_cmp_eq_u32_e32 vcc_lo, 12, v1
	s_cbranch_vccnz .LBB30_238
; %bb.237:
	v_lshlrev_b32_e32 v1, 3, v1
	scratch_load_b64 v[64:65], v1, off offset:-8
	scratch_load_b64 v[66:67], off, off offset:88
	s_wait_loadcnt 0x1
	scratch_store_b64 off, v[64:65], off offset:88
	s_wait_loadcnt 0x0
	scratch_store_b64 v1, v[66:67], off offset:-8
.LBB30_238:
	global_load_b32 v0, v0, s[2:3] offset:40
	s_wait_loadcnt 0x0
	v_cmp_eq_u32_e32 vcc_lo, 11, v0
	s_cbranch_vccnz .LBB30_240
; %bb.239:
	s_wait_xcnt 0x0
	v_lshlrev_b32_e32 v0, 3, v0
	s_delay_alu instid0(VALU_DEP_1)
	v_mov_b32_e32 v66, v0
	scratch_load_b64 v[0:1], v66, off offset:-8
	scratch_load_b64 v[64:65], off, off offset:80
	s_wait_loadcnt 0x1
	scratch_store_b64 off, v[0:1], off offset:80
	s_wait_loadcnt 0x0
	scratch_store_b64 v66, v[64:65], off offset:-8
.LBB30_240:
	s_wait_xcnt 0x0
	v_mov_b32_e32 v0, 0
	global_load_b32 v1, v0, s[2:3] offset:36
	s_wait_loadcnt 0x0
	v_cmp_eq_u32_e32 vcc_lo, 10, v1
	s_cbranch_vccnz .LBB30_242
; %bb.241:
	v_lshlrev_b32_e32 v1, 3, v1
	scratch_load_b64 v[64:65], v1, off offset:-8
	scratch_load_b64 v[66:67], off, off offset:72
	s_wait_loadcnt 0x1
	scratch_store_b64 off, v[64:65], off offset:72
	s_wait_loadcnt 0x0
	scratch_store_b64 v1, v[66:67], off offset:-8
.LBB30_242:
	global_load_b32 v0, v0, s[2:3] offset:32
	s_wait_loadcnt 0x0
	v_cmp_eq_u32_e32 vcc_lo, 9, v0
	s_cbranch_vccnz .LBB30_244
; %bb.243:
	s_wait_xcnt 0x0
	v_lshlrev_b32_e32 v0, 3, v0
	s_delay_alu instid0(VALU_DEP_1)
	v_mov_b32_e32 v66, v0
	scratch_load_b64 v[0:1], v66, off offset:-8
	scratch_load_b64 v[64:65], off, off offset:64
	s_wait_loadcnt 0x1
	scratch_store_b64 off, v[0:1], off offset:64
	s_wait_loadcnt 0x0
	scratch_store_b64 v66, v[64:65], off offset:-8
.LBB30_244:
	s_wait_xcnt 0x0
	v_mov_b32_e32 v0, 0
	global_load_b32 v1, v0, s[2:3] offset:28
	s_wait_loadcnt 0x0
	v_cmp_eq_u32_e32 vcc_lo, 8, v1
	s_cbranch_vccnz .LBB30_246
; %bb.245:
	v_lshlrev_b32_e32 v1, 3, v1
	scratch_load_b64 v[64:65], v1, off offset:-8
	scratch_load_b64 v[66:67], off, off offset:56
	s_wait_loadcnt 0x1
	scratch_store_b64 off, v[64:65], off offset:56
	s_wait_loadcnt 0x0
	scratch_store_b64 v1, v[66:67], off offset:-8
.LBB30_246:
	global_load_b32 v0, v0, s[2:3] offset:24
	s_wait_loadcnt 0x0
	v_cmp_eq_u32_e32 vcc_lo, 7, v0
	s_cbranch_vccnz .LBB30_248
; %bb.247:
	s_wait_xcnt 0x0
	v_lshlrev_b32_e32 v0, 3, v0
	s_delay_alu instid0(VALU_DEP_1)
	v_mov_b32_e32 v66, v0
	scratch_load_b64 v[0:1], v66, off offset:-8
	scratch_load_b64 v[64:65], off, off offset:48
	s_wait_loadcnt 0x1
	scratch_store_b64 off, v[0:1], off offset:48
	s_wait_loadcnt 0x0
	scratch_store_b64 v66, v[64:65], off offset:-8
.LBB30_248:
	s_wait_xcnt 0x0
	v_mov_b32_e32 v0, 0
	global_load_b32 v1, v0, s[2:3] offset:20
	s_wait_loadcnt 0x0
	v_cmp_eq_u32_e32 vcc_lo, 6, v1
	s_cbranch_vccnz .LBB30_250
; %bb.249:
	v_lshlrev_b32_e32 v1, 3, v1
	scratch_load_b64 v[64:65], v1, off offset:-8
	scratch_load_b64 v[66:67], off, off offset:40
	s_wait_loadcnt 0x1
	scratch_store_b64 off, v[64:65], off offset:40
	s_wait_loadcnt 0x0
	scratch_store_b64 v1, v[66:67], off offset:-8
.LBB30_250:
	global_load_b32 v0, v0, s[2:3] offset:16
	s_wait_loadcnt 0x0
	v_cmp_eq_u32_e32 vcc_lo, 5, v0
	s_cbranch_vccnz .LBB30_252
; %bb.251:
	s_wait_xcnt 0x0
	v_lshlrev_b32_e32 v0, 3, v0
	s_delay_alu instid0(VALU_DEP_1)
	v_mov_b32_e32 v66, v0
	scratch_load_b64 v[0:1], v66, off offset:-8
	scratch_load_b64 v[64:65], off, off offset:32
	s_wait_loadcnt 0x1
	scratch_store_b64 off, v[0:1], off offset:32
	s_wait_loadcnt 0x0
	scratch_store_b64 v66, v[64:65], off offset:-8
.LBB30_252:
	s_wait_xcnt 0x0
	v_mov_b32_e32 v0, 0
	global_load_b32 v1, v0, s[2:3] offset:12
	s_wait_loadcnt 0x0
	v_cmp_eq_u32_e32 vcc_lo, 4, v1
	s_cbranch_vccnz .LBB30_254
; %bb.253:
	v_lshlrev_b32_e32 v1, 3, v1
	scratch_load_b64 v[64:65], v1, off offset:-8
	scratch_load_b64 v[66:67], off, off offset:24
	s_wait_loadcnt 0x1
	scratch_store_b64 off, v[64:65], off offset:24
	s_wait_loadcnt 0x0
	scratch_store_b64 v1, v[66:67], off offset:-8
.LBB30_254:
	global_load_b32 v0, v0, s[2:3] offset:8
	s_wait_loadcnt 0x0
	v_cmp_eq_u32_e32 vcc_lo, 3, v0
	s_cbranch_vccnz .LBB30_256
; %bb.255:
	s_wait_xcnt 0x0
	v_lshlrev_b32_e32 v0, 3, v0
	s_delay_alu instid0(VALU_DEP_1)
	v_mov_b32_e32 v66, v0
	scratch_load_b64 v[0:1], v66, off offset:-8
	scratch_load_b64 v[64:65], off, off offset:16
	s_wait_loadcnt 0x1
	scratch_store_b64 off, v[0:1], off offset:16
	s_wait_loadcnt 0x0
	scratch_store_b64 v66, v[64:65], off offset:-8
.LBB30_256:
	s_wait_xcnt 0x0
	v_mov_b32_e32 v0, 0
	global_load_b32 v1, v0, s[2:3] offset:4
	s_wait_loadcnt 0x0
	v_cmp_eq_u32_e32 vcc_lo, 2, v1
	s_cbranch_vccnz .LBB30_258
; %bb.257:
	v_lshlrev_b32_e32 v1, 3, v1
	scratch_load_b64 v[64:65], v1, off offset:-8
	scratch_load_b64 v[66:67], off, off offset:8
	s_wait_loadcnt 0x1
	scratch_store_b64 off, v[64:65], off offset:8
	s_wait_loadcnt 0x0
	scratch_store_b64 v1, v[66:67], off offset:-8
.LBB30_258:
	global_load_b32 v64, v0, s[2:3]
	scratch_load_b64 v[0:1], off, off
	s_wait_loadcnt 0x1
	v_cmp_eq_u32_e32 vcc_lo, 1, v64
	s_cbranch_vccnz .LBB30_260
; %bb.259:
	v_lshlrev_b32_e32 v64, 3, v64
	s_delay_alu instid0(VALU_DEP_1)
	v_mov_b32_e32 v66, v64
	scratch_load_b64 v[64:65], v66, off offset:-8
	s_wait_loadcnt 0x0
	scratch_store_b64 off, v[64:65], off
	scratch_store_b64 v66, v[0:1], off offset:-8
	scratch_load_b64 v[0:1], off, off
.LBB30_260:
	v_lshl_add_u64 v[64:65], v[4:5], 3, s[4:5]
	v_lshl_add_u64 v[66:67], v[6:7], 3, s[4:5]
	;; [unrolled: 1-line block ×4, first 2 shown]
	s_clause 0xe
	scratch_load_b128 v[60:63], off, off offset:8
	scratch_load_b128 v[68:71], off, off offset:24
	;; [unrolled: 1-line block ×15, first 2 shown]
	v_lshl_add_u64 v[10:11], v[10:11], 3, s[4:5]
	v_lshl_add_u64 v[12:13], v[12:13], 3, s[4:5]
	;; [unrolled: 1-line block ×25, first 2 shown]
	s_wait_loadcnt 0xf
	global_store_b64 v[2:3], v[0:1], off
	s_wait_loadcnt 0xe
	s_clause 0x1
	global_store_b64 v[8:9], v[60:61], off
	global_store_b64 v[64:65], v[62:63], off
	s_wait_loadcnt 0xd
	s_clause 0x1
	global_store_b64 v[66:67], v[68:69], off
	;; [unrolled: 4-line block ×15, first 2 shown]
	global_store_b64 v[6:7], v[122:123], off
	s_sendmsg sendmsg(MSG_DEALLOC_VGPRS)
	s_endpgm
	.section	.rodata,"a",@progbits
	.p2align	6, 0x0
	.amdhsa_kernel _ZN9rocsolver6v33100L18getri_kernel_smallILi31E19rocblas_complex_numIfEPS3_EEvT1_iilPiilS6_bb
		.amdhsa_group_segment_fixed_size 504
		.amdhsa_private_segment_fixed_size 256
		.amdhsa_kernarg_size 60
		.amdhsa_user_sgpr_count 2
		.amdhsa_user_sgpr_dispatch_ptr 0
		.amdhsa_user_sgpr_queue_ptr 0
		.amdhsa_user_sgpr_kernarg_segment_ptr 1
		.amdhsa_user_sgpr_dispatch_id 0
		.amdhsa_user_sgpr_kernarg_preload_length 0
		.amdhsa_user_sgpr_kernarg_preload_offset 0
		.amdhsa_user_sgpr_private_segment_size 0
		.amdhsa_wavefront_size32 1
		.amdhsa_uses_dynamic_stack 0
		.amdhsa_enable_private_segment 1
		.amdhsa_system_sgpr_workgroup_id_x 1
		.amdhsa_system_sgpr_workgroup_id_y 0
		.amdhsa_system_sgpr_workgroup_id_z 0
		.amdhsa_system_sgpr_workgroup_info 0
		.amdhsa_system_vgpr_workitem_id 0
		.amdhsa_next_free_vgpr 214
		.amdhsa_next_free_sgpr 19
		.amdhsa_named_barrier_count 0
		.amdhsa_reserve_vcc 1
		.amdhsa_float_round_mode_32 0
		.amdhsa_float_round_mode_16_64 0
		.amdhsa_float_denorm_mode_32 3
		.amdhsa_float_denorm_mode_16_64 3
		.amdhsa_fp16_overflow 0
		.amdhsa_memory_ordered 1
		.amdhsa_forward_progress 1
		.amdhsa_inst_pref_size 255
		.amdhsa_round_robin_scheduling 0
		.amdhsa_exception_fp_ieee_invalid_op 0
		.amdhsa_exception_fp_denorm_src 0
		.amdhsa_exception_fp_ieee_div_zero 0
		.amdhsa_exception_fp_ieee_overflow 0
		.amdhsa_exception_fp_ieee_underflow 0
		.amdhsa_exception_fp_ieee_inexact 0
		.amdhsa_exception_int_div_zero 0
	.end_amdhsa_kernel
	.section	.text._ZN9rocsolver6v33100L18getri_kernel_smallILi31E19rocblas_complex_numIfEPS3_EEvT1_iilPiilS6_bb,"axG",@progbits,_ZN9rocsolver6v33100L18getri_kernel_smallILi31E19rocblas_complex_numIfEPS3_EEvT1_iilPiilS6_bb,comdat
.Lfunc_end30:
	.size	_ZN9rocsolver6v33100L18getri_kernel_smallILi31E19rocblas_complex_numIfEPS3_EEvT1_iilPiilS6_bb, .Lfunc_end30-_ZN9rocsolver6v33100L18getri_kernel_smallILi31E19rocblas_complex_numIfEPS3_EEvT1_iilPiilS6_bb
                                        ; -- End function
	.set _ZN9rocsolver6v33100L18getri_kernel_smallILi31E19rocblas_complex_numIfEPS3_EEvT1_iilPiilS6_bb.num_vgpr, 214
	.set _ZN9rocsolver6v33100L18getri_kernel_smallILi31E19rocblas_complex_numIfEPS3_EEvT1_iilPiilS6_bb.num_agpr, 0
	.set _ZN9rocsolver6v33100L18getri_kernel_smallILi31E19rocblas_complex_numIfEPS3_EEvT1_iilPiilS6_bb.numbered_sgpr, 19
	.set _ZN9rocsolver6v33100L18getri_kernel_smallILi31E19rocblas_complex_numIfEPS3_EEvT1_iilPiilS6_bb.num_named_barrier, 0
	.set _ZN9rocsolver6v33100L18getri_kernel_smallILi31E19rocblas_complex_numIfEPS3_EEvT1_iilPiilS6_bb.private_seg_size, 256
	.set _ZN9rocsolver6v33100L18getri_kernel_smallILi31E19rocblas_complex_numIfEPS3_EEvT1_iilPiilS6_bb.uses_vcc, 1
	.set _ZN9rocsolver6v33100L18getri_kernel_smallILi31E19rocblas_complex_numIfEPS3_EEvT1_iilPiilS6_bb.uses_flat_scratch, 1
	.set _ZN9rocsolver6v33100L18getri_kernel_smallILi31E19rocblas_complex_numIfEPS3_EEvT1_iilPiilS6_bb.has_dyn_sized_stack, 0
	.set _ZN9rocsolver6v33100L18getri_kernel_smallILi31E19rocblas_complex_numIfEPS3_EEvT1_iilPiilS6_bb.has_recursion, 0
	.set _ZN9rocsolver6v33100L18getri_kernel_smallILi31E19rocblas_complex_numIfEPS3_EEvT1_iilPiilS6_bb.has_indirect_call, 0
	.section	.AMDGPU.csdata,"",@progbits
; Kernel info:
; codeLenInByte = 42332
; TotalNumSgprs: 21
; NumVgprs: 214
; ScratchSize: 256
; MemoryBound: 0
; FloatMode: 240
; IeeeMode: 1
; LDSByteSize: 504 bytes/workgroup (compile time only)
; SGPRBlocks: 0
; VGPRBlocks: 13
; NumSGPRsForWavesPerEU: 21
; NumVGPRsForWavesPerEU: 214
; NamedBarCnt: 0
; Occupancy: 4
; WaveLimiterHint : 1
; COMPUTE_PGM_RSRC2:SCRATCH_EN: 1
; COMPUTE_PGM_RSRC2:USER_SGPR: 2
; COMPUTE_PGM_RSRC2:TRAP_HANDLER: 0
; COMPUTE_PGM_RSRC2:TGID_X_EN: 1
; COMPUTE_PGM_RSRC2:TGID_Y_EN: 0
; COMPUTE_PGM_RSRC2:TGID_Z_EN: 0
; COMPUTE_PGM_RSRC2:TIDIG_COMP_CNT: 0
	.section	.text._ZN9rocsolver6v33100L18getri_kernel_smallILi32E19rocblas_complex_numIfEPS3_EEvT1_iilPiilS6_bb,"axG",@progbits,_ZN9rocsolver6v33100L18getri_kernel_smallILi32E19rocblas_complex_numIfEPS3_EEvT1_iilPiilS6_bb,comdat
	.globl	_ZN9rocsolver6v33100L18getri_kernel_smallILi32E19rocblas_complex_numIfEPS3_EEvT1_iilPiilS6_bb ; -- Begin function _ZN9rocsolver6v33100L18getri_kernel_smallILi32E19rocblas_complex_numIfEPS3_EEvT1_iilPiilS6_bb
	.p2align	8
	.type	_ZN9rocsolver6v33100L18getri_kernel_smallILi32E19rocblas_complex_numIfEPS3_EEvT1_iilPiilS6_bb,@function
_ZN9rocsolver6v33100L18getri_kernel_smallILi32E19rocblas_complex_numIfEPS3_EEvT1_iilPiilS6_bb: ; @_ZN9rocsolver6v33100L18getri_kernel_smallILi32E19rocblas_complex_numIfEPS3_EEvT1_iilPiilS6_bb
; %bb.0:
	s_mov_b32 s2, exec_lo
	v_cmpx_gt_u32_e32 32, v0
	s_cbranch_execz .LBB31_142
; %bb.1:
	s_clause 0x2
	s_load_b32 s2, s[0:1], 0x38
	s_load_b128 s[12:15], s[0:1], 0x10
	s_load_b128 s[4:7], s[0:1], 0x28
	s_getreg_b32 s9, hwreg(HW_REG_IB_STS2, 6, 4)
	s_wait_kmcnt 0x0
	s_bitcmp1_b32 s2, 8
	s_cselect_b32 s18, -1, 0
	s_bfe_u32 s3, ttmp6, 0x4000c
	s_and_b32 s8, ttmp6, 15
	s_add_co_i32 s3, s3, 1
	s_delay_alu instid0(SALU_CYCLE_1) | instskip(NEXT) | instid1(SALU_CYCLE_1)
	s_mul_i32 s3, ttmp9, s3
	s_add_co_i32 s8, s8, s3
	s_cmp_eq_u32 s9, 0
	s_cselect_b32 s16, ttmp9, s8
	s_bfe_u32 s2, s2, 0x10008
	s_ashr_i32 s17, s16, 31
	s_cmp_eq_u32 s2, 0
                                        ; implicit-def: $sgpr2_sgpr3
	s_cbranch_scc1 .LBB31_3
; %bb.2:
	s_load_b32 s2, s[0:1], 0x20
	s_mul_u64 s[4:5], s[4:5], s[16:17]
	s_delay_alu instid0(SALU_CYCLE_1) | instskip(NEXT) | instid1(SALU_CYCLE_1)
	s_lshl_b64 s[4:5], s[4:5], 2
	s_add_nc_u64 s[4:5], s[14:15], s[4:5]
	s_wait_kmcnt 0x0
	s_ashr_i32 s3, s2, 31
	s_delay_alu instid0(SALU_CYCLE_1) | instskip(NEXT) | instid1(SALU_CYCLE_1)
	s_lshl_b64 s[2:3], s[2:3], 2
	s_add_nc_u64 s[2:3], s[4:5], s[2:3]
.LBB31_3:
	s_clause 0x1
	s_load_b128 s[8:11], s[0:1], 0x0
	s_load_b32 s14, s[0:1], 0x38
	s_wait_xcnt 0x0
	s_mul_u64 s[0:1], s[12:13], s[16:17]
	v_lshlrev_b32_e32 v66, 3, v0
	s_lshl_b64 s[0:1], s[0:1], 3
	v_mov_b32_e32 v67, 0
	s_wait_kmcnt 0x0
	v_add3_u32 v2, s11, s11, v0
	s_ashr_i32 s5, s10, 31
	s_mov_b32 s4, s10
	s_add_nc_u64 s[0:1], s[8:9], s[0:1]
	s_lshl_b64 s[4:5], s[4:5], 3
	v_add_nc_u32_e32 v6, s11, v2
	s_add_nc_u64 s[4:5], s[0:1], s[4:5]
	s_ashr_i32 s1, s11, 31
	s_mov_b32 s0, s11
	s_bitcmp0_b32 s14, 0
	v_add_nc_u32_e32 v10, s11, v6
	v_add_nc_u64_e32 v[4:5], s[4:5], v[66:67]
	s_delay_alu instid0(VALU_DEP_2) | instskip(NEXT) | instid1(VALU_DEP_2)
	v_add_nc_u32_e32 v12, s11, v10
	v_lshl_add_u64 v[8:9], s[0:1], 3, v[4:5]
	s_mov_b32 s1, -1
	s_delay_alu instid0(VALU_DEP_2) | instskip(SKIP_4) | instid1(VALU_DEP_1)
	v_add_nc_u32_e32 v14, s11, v12
	s_clause 0x1
	global_load_b64 v[68:69], v0, s[4:5] scale_offset
	global_load_b64 v[70:71], v[8:9], off
	v_add_nc_u32_e32 v16, s11, v14
	v_add_nc_u32_e32 v18, s11, v16
	s_delay_alu instid0(VALU_DEP_1) | instskip(NEXT) | instid1(VALU_DEP_1)
	v_add_nc_u32_e32 v20, s11, v18
	v_add_nc_u32_e32 v22, s11, v20
	s_clause 0x3
	global_load_b64 v[72:73], v2, s[4:5] scale_offset
	global_load_b64 v[74:75], v6, s[4:5] scale_offset
	;; [unrolled: 1-line block ×4, first 2 shown]
	v_add_nc_u32_e32 v24, s11, v22
	s_delay_alu instid0(VALU_DEP_1) | instskip(NEXT) | instid1(VALU_DEP_1)
	v_add_nc_u32_e32 v26, s11, v24
	v_add_nc_u32_e32 v28, s11, v26
	s_delay_alu instid0(VALU_DEP_1)
	v_add_nc_u32_e32 v30, s11, v28
	s_clause 0x3
	global_load_b64 v[80:81], v14, s[4:5] scale_offset
	global_load_b64 v[82:83], v16, s[4:5] scale_offset
	;; [unrolled: 1-line block ×4, first 2 shown]
	v_add_nc_u32_e32 v32, s11, v30
	s_delay_alu instid0(VALU_DEP_1) | instskip(NEXT) | instid1(VALU_DEP_1)
	v_add_nc_u32_e32 v34, s11, v32
	v_add_nc_u32_e32 v36, s11, v34
	s_delay_alu instid0(VALU_DEP_1)
	v_add_nc_u32_e32 v38, s11, v36
	s_clause 0x3
	global_load_b64 v[88:89], v22, s[4:5] scale_offset
	global_load_b64 v[90:91], v24, s[4:5] scale_offset
	;; [unrolled: 1-line block ×4, first 2 shown]
	v_add_nc_u32_e32 v40, s11, v38
	s_delay_alu instid0(VALU_DEP_1)
	v_add_nc_u32_e32 v42, s11, v40
	s_clause 0x3
	global_load_b64 v[96:97], v30, s[4:5] scale_offset
	global_load_b64 v[98:99], v32, s[4:5] scale_offset
	;; [unrolled: 1-line block ×4, first 2 shown]
	v_add_nc_u32_e32 v44, s11, v42
	s_delay_alu instid0(VALU_DEP_1) | instskip(NEXT) | instid1(VALU_DEP_1)
	v_add_nc_u32_e32 v46, s11, v44
	v_add_nc_u32_e32 v48, s11, v46
	s_delay_alu instid0(VALU_DEP_1)
	v_add_nc_u32_e32 v50, s11, v48
	s_clause 0x3
	global_load_b64 v[104:105], v38, s[4:5] scale_offset
	global_load_b64 v[106:107], v40, s[4:5] scale_offset
	;; [unrolled: 1-line block ×4, first 2 shown]
	v_add_nc_u32_e32 v52, s11, v50
	s_delay_alu instid0(VALU_DEP_1)
	v_add_nc_u32_e32 v54, s11, v52
	s_clause 0x3
	global_load_b64 v[112:113], v46, s[4:5] scale_offset
	global_load_b64 v[114:115], v48, s[4:5] scale_offset
	;; [unrolled: 1-line block ×4, first 2 shown]
	v_add_nc_u32_e32 v56, s11, v54
	s_delay_alu instid0(VALU_DEP_1) | instskip(NEXT) | instid1(VALU_DEP_1)
	v_add_nc_u32_e32 v58, s11, v56
	v_add_nc_u32_e32 v60, s11, v58
	s_delay_alu instid0(VALU_DEP_1) | instskip(NEXT) | instid1(VALU_DEP_1)
	v_add_nc_u32_e32 v62, s11, v60
	v_add_nc_u32_e32 v64, s11, v62
	s_clause 0x5
	global_load_b64 v[120:121], v54, s[4:5] scale_offset
	global_load_b64 v[122:123], v56, s[4:5] scale_offset
	;; [unrolled: 1-line block ×6, first 2 shown]
	s_wait_loadcnt 0x1e
	scratch_store_b128 off, v[68:71], off
	s_wait_loadcnt 0x1c
	scratch_store_b128 off, v[72:75], off offset:16
	s_wait_loadcnt 0x1a
	scratch_store_b128 off, v[76:79], off offset:32
	;; [unrolled: 2-line block ×15, first 2 shown]
	s_cbranch_scc1 .LBB31_140
; %bb.4:
	v_cmp_eq_u32_e64 s0, 0, v0
	s_wait_xcnt 0x0
	s_and_saveexec_b32 s1, s0
; %bb.5:
	v_mov_b32_e32 v1, 0
	ds_store_b32 v1, v1 offset:512
; %bb.6:
	s_or_b32 exec_lo, exec_lo, s1
	s_wait_storecnt_dscnt 0x0
	s_barrier_signal -1
	s_barrier_wait -1
	scratch_load_b64 v[68:69], v0, off scale_offset
	s_wait_loadcnt 0x0
	v_cmp_eq_f32_e32 vcc_lo, 0, v68
	v_cmp_eq_f32_e64 s1, 0, v69
	s_and_b32 s1, vcc_lo, s1
	s_delay_alu instid0(SALU_CYCLE_1)
	s_and_saveexec_b32 s8, s1
	s_cbranch_execz .LBB31_10
; %bb.7:
	v_mov_b32_e32 v1, 0
	s_mov_b32 s9, 0
	ds_load_b32 v3, v1 offset:512
	s_wait_dscnt 0x0
	v_readfirstlane_b32 s1, v3
	v_add_nc_u32_e32 v3, 1, v0
	s_cmp_eq_u32 s1, 0
	s_delay_alu instid0(VALU_DEP_1) | instskip(SKIP_1) | instid1(SALU_CYCLE_1)
	v_cmp_gt_i32_e32 vcc_lo, s1, v3
	s_cselect_b32 s10, -1, 0
	s_or_b32 s10, s10, vcc_lo
	s_delay_alu instid0(SALU_CYCLE_1)
	s_and_b32 exec_lo, exec_lo, s10
	s_cbranch_execz .LBB31_10
; %bb.8:
	v_mov_b32_e32 v7, s1
.LBB31_9:                               ; =>This Inner Loop Header: Depth=1
	ds_cmpstore_rtn_b32 v7, v1, v3, v7 offset:512
	s_wait_dscnt 0x0
	v_cmp_ne_u32_e32 vcc_lo, 0, v7
	v_cmp_le_i32_e64 s1, v7, v3
	s_and_b32 s1, vcc_lo, s1
	s_delay_alu instid0(SALU_CYCLE_1) | instskip(NEXT) | instid1(SALU_CYCLE_1)
	s_and_b32 s1, exec_lo, s1
	s_or_b32 s9, s1, s9
	s_delay_alu instid0(SALU_CYCLE_1)
	s_and_not1_b32 exec_lo, exec_lo, s9
	s_cbranch_execnz .LBB31_9
.LBB31_10:
	s_or_b32 exec_lo, exec_lo, s8
	v_mov_b32_e32 v1, 0
	s_barrier_signal -1
	s_barrier_wait -1
	ds_load_b32 v3, v1 offset:512
	s_and_saveexec_b32 s1, s0
	s_cbranch_execz .LBB31_12
; %bb.11:
	s_lshl_b64 s[8:9], s[16:17], 2
	s_delay_alu instid0(SALU_CYCLE_1)
	s_add_nc_u64 s[8:9], s[6:7], s[8:9]
	s_wait_dscnt 0x0
	global_store_b32 v1, v3, s[8:9]
.LBB31_12:
	s_wait_xcnt 0x0
	s_or_b32 exec_lo, exec_lo, s1
	s_wait_dscnt 0x0
	v_cmp_ne_u32_e32 vcc_lo, 0, v3
	s_mov_b32 s1, 0
	s_cbranch_vccnz .LBB31_140
; %bb.13:
	v_lshl_add_u32 v3, v0, 3, 0
                                        ; implicit-def: $vgpr71
                                        ; implicit-def: $vgpr72
	scratch_load_b64 v[68:69], v3, off
	s_wait_loadcnt 0x0
	v_cmp_ngt_f32_e64 s1, |v68|, |v69|
	s_wait_xcnt 0x0
	s_and_saveexec_b32 s8, s1
	s_delay_alu instid0(SALU_CYCLE_1)
	s_xor_b32 s1, exec_lo, s8
	s_cbranch_execz .LBB31_15
; %bb.14:
	v_div_scale_f32 v1, null, v69, v69, v68
	v_div_scale_f32 v13, vcc_lo, v68, v69, v68
	s_delay_alu instid0(VALU_DEP_2) | instskip(SKIP_1) | instid1(TRANS32_DEP_1)
	v_rcp_f32_e32 v7, v1
	v_nop
	v_fma_f32 v11, -v1, v7, 1.0
	s_delay_alu instid0(VALU_DEP_1) | instskip(NEXT) | instid1(VALU_DEP_1)
	v_fmac_f32_e32 v7, v11, v7
	v_mul_f32_e32 v11, v13, v7
	s_delay_alu instid0(VALU_DEP_1) | instskip(NEXT) | instid1(VALU_DEP_1)
	v_fma_f32 v15, -v1, v11, v13
	v_fmac_f32_e32 v11, v15, v7
	s_delay_alu instid0(VALU_DEP_1) | instskip(NEXT) | instid1(VALU_DEP_1)
	v_fma_f32 v1, -v1, v11, v13
	v_div_fmas_f32 v1, v1, v7, v11
	s_delay_alu instid0(VALU_DEP_1) | instskip(NEXT) | instid1(VALU_DEP_1)
	v_div_fixup_f32 v1, v1, v69, v68
	v_fmac_f32_e32 v69, v68, v1
	s_delay_alu instid0(VALU_DEP_1) | instskip(NEXT) | instid1(VALU_DEP_1)
	v_div_scale_f32 v7, null, v69, v69, -1.0
	v_rcp_f32_e32 v11, v7
	v_nop
	s_delay_alu instid0(TRANS32_DEP_1) | instskip(NEXT) | instid1(VALU_DEP_1)
	v_fma_f32 v13, -v7, v11, 1.0
	v_fmac_f32_e32 v11, v13, v11
	v_div_scale_f32 v13, vcc_lo, -1.0, v69, -1.0
	s_delay_alu instid0(VALU_DEP_1) | instskip(NEXT) | instid1(VALU_DEP_1)
	v_mul_f32_e32 v15, v13, v11
	v_fma_f32 v17, -v7, v15, v13
	s_delay_alu instid0(VALU_DEP_1) | instskip(NEXT) | instid1(VALU_DEP_1)
	v_fmac_f32_e32 v15, v17, v11
	v_fma_f32 v7, -v7, v15, v13
	s_delay_alu instid0(VALU_DEP_1) | instskip(NEXT) | instid1(VALU_DEP_1)
	v_div_fmas_f32 v7, v7, v11, v15
	v_div_fixup_f32 v71, v7, v69, -1.0
                                        ; implicit-def: $vgpr68_vgpr69
	s_delay_alu instid0(VALU_DEP_1) | instskip(NEXT) | instid1(VALU_DEP_1)
	v_mul_f32_e32 v72, v1, v71
	v_xor_b32_e32 v70, 0x80000000, v72
.LBB31_15:
	s_and_not1_saveexec_b32 s1, s1
	s_cbranch_execz .LBB31_17
; %bb.16:
	v_div_scale_f32 v1, null, v68, v68, v69
	v_div_scale_f32 v13, vcc_lo, v69, v68, v69
	s_delay_alu instid0(VALU_DEP_2) | instskip(SKIP_1) | instid1(TRANS32_DEP_1)
	v_rcp_f32_e32 v7, v1
	v_nop
	v_fma_f32 v11, -v1, v7, 1.0
	s_delay_alu instid0(VALU_DEP_1) | instskip(NEXT) | instid1(VALU_DEP_1)
	v_fmac_f32_e32 v7, v11, v7
	v_mul_f32_e32 v11, v13, v7
	s_delay_alu instid0(VALU_DEP_1) | instskip(NEXT) | instid1(VALU_DEP_1)
	v_fma_f32 v15, -v1, v11, v13
	v_fmac_f32_e32 v11, v15, v7
	s_delay_alu instid0(VALU_DEP_1) | instskip(NEXT) | instid1(VALU_DEP_1)
	v_fma_f32 v1, -v1, v11, v13
	v_div_fmas_f32 v1, v1, v7, v11
	s_delay_alu instid0(VALU_DEP_1) | instskip(NEXT) | instid1(VALU_DEP_1)
	v_div_fixup_f32 v1, v1, v68, v69
	v_fmac_f32_e32 v68, v69, v1
	s_delay_alu instid0(VALU_DEP_1) | instskip(SKIP_1) | instid1(VALU_DEP_2)
	v_div_scale_f32 v7, null, v68, v68, 1.0
	v_div_scale_f32 v15, vcc_lo, 1.0, v68, 1.0
	v_rcp_f32_e32 v11, v7
	v_nop
	s_delay_alu instid0(TRANS32_DEP_1) | instskip(NEXT) | instid1(VALU_DEP_1)
	v_fma_f32 v13, -v7, v11, 1.0
	v_fmac_f32_e32 v11, v13, v11
	s_delay_alu instid0(VALU_DEP_1) | instskip(NEXT) | instid1(VALU_DEP_1)
	v_mul_f32_e32 v13, v15, v11
	v_fma_f32 v17, -v7, v13, v15
	s_delay_alu instid0(VALU_DEP_1) | instskip(NEXT) | instid1(VALU_DEP_1)
	v_fmac_f32_e32 v13, v17, v11
	v_fma_f32 v7, -v7, v13, v15
	s_delay_alu instid0(VALU_DEP_1) | instskip(NEXT) | instid1(VALU_DEP_1)
	v_div_fmas_f32 v7, v7, v11, v13
	v_div_fixup_f32 v70, v7, v68, 1.0
	s_delay_alu instid0(VALU_DEP_1)
	v_xor_b32_e32 v72, 0x80000000, v70
	v_mul_f32_e64 v71, v1, -v70
.LBB31_17:
	s_or_b32 exec_lo, exec_lo, s1
	scratch_store_b64 v3, v[70:71], off
	scratch_load_b64 v[68:69], off, off offset:8
	v_xor_b32_e32 v73, 0x80000000, v71
	v_add_nc_u32_e32 v1, 0x100, v66
	s_wait_loadcnt 0x0
	ds_store_2addr_b64 v66, v[72:73], v[68:69] offset1:32
	s_wait_storecnt_dscnt 0x0
	s_barrier_signal -1
	s_barrier_wait -1
	s_wait_xcnt 0x0
	s_and_saveexec_b32 s1, s0
	s_cbranch_execz .LBB31_19
; %bb.18:
	scratch_load_b64 v[68:69], v3, off
	ds_load_b64 v[70:71], v1
	s_wait_loadcnt_dscnt 0x0
	v_pk_mul_f32 v[74:75], v[70:71], v[68:69] op_sel:[1,1] op_sel_hi:[0,1]
	s_delay_alu instid0(VALU_DEP_1) | instskip(SKIP_2) | instid1(VALU_DEP_3)
	v_pk_fma_f32 v[76:77], v[70:71], v[68:69], v[74:75] op_sel_hi:[1,0,1]
	v_mov_b32_e32 v7, 0
	v_pk_fma_f32 v[68:69], v[70:71], v[68:69], v[74:75] neg_lo:[0,0,1] neg_hi:[0,0,1]
	v_mov_b32_e32 v69, v77
	ds_load_b64 v[72:73], v7 offset:8
	v_pk_add_f32 v[68:69], v[68:69], 0 op_sel_hi:[1,0]
	s_wait_dscnt 0x0
	s_delay_alu instid0(VALU_DEP_1) | instskip(NEXT) | instid1(VALU_DEP_1)
	v_pk_mul_f32 v[70:71], v[68:69], v[72:73] op_sel:[1,1] op_sel_hi:[0,1]
	v_pk_fma_f32 v[74:75], v[68:69], v[72:73], v[70:71] op_sel_hi:[1,0,1]
	v_pk_fma_f32 v[68:69], v[68:69], v[72:73], v[70:71] neg_lo:[0,0,1] neg_hi:[0,0,1]
	s_delay_alu instid0(VALU_DEP_2)
	v_mov_b32_e32 v69, v75
	scratch_store_b64 off, v[68:69], off offset:8
.LBB31_19:
	s_wait_xcnt 0x0
	s_or_b32 exec_lo, exec_lo, s1
	s_wait_storecnt 0x0
	s_barrier_signal -1
	s_barrier_wait -1
	scratch_load_b64 v[68:69], off, off offset:16
	s_mov_b32 s1, exec_lo
	s_wait_loadcnt 0x0
	ds_store_b64 v1, v[68:69]
	s_wait_dscnt 0x0
	s_barrier_signal -1
	s_barrier_wait -1
	v_cmpx_gt_u32_e32 2, v0
	s_cbranch_execz .LBB31_23
; %bb.20:
	scratch_load_b64 v[68:69], v3, off
	ds_load_b64 v[70:71], v1
	s_wait_loadcnt_dscnt 0x0
	v_pk_mul_f32 v[72:73], v[70:71], v[68:69] op_sel:[1,1] op_sel_hi:[0,1]
	s_delay_alu instid0(VALU_DEP_1) | instskip(SKIP_1) | instid1(VALU_DEP_2)
	v_pk_fma_f32 v[74:75], v[70:71], v[68:69], v[72:73] op_sel_hi:[1,0,1]
	v_pk_fma_f32 v[68:69], v[70:71], v[68:69], v[72:73] neg_lo:[0,0,1] neg_hi:[0,0,1]
	v_mov_b32_e32 v69, v75
	s_delay_alu instid0(VALU_DEP_1)
	v_pk_add_f32 v[68:69], v[68:69], 0 op_sel_hi:[1,0]
	s_and_saveexec_b32 s8, s0
	s_cbranch_execz .LBB31_22
; %bb.21:
	scratch_load_b64 v[70:71], off, off offset:8
	v_mov_b32_e32 v3, 0
	ds_load_b64 v[72:73], v3 offset:264
	s_wait_loadcnt_dscnt 0x0
	v_pk_mul_f32 v[74:75], v[72:73], v[70:71] op_sel:[1,1] op_sel_hi:[0,1]
	s_delay_alu instid0(VALU_DEP_1) | instskip(SKIP_1) | instid1(VALU_DEP_2)
	v_pk_fma_f32 v[76:77], v[72:73], v[70:71], v[74:75] op_sel_hi:[1,0,1]
	v_pk_fma_f32 v[70:71], v[72:73], v[70:71], v[74:75] neg_lo:[0,0,1] neg_hi:[0,0,1]
	v_mov_b32_e32 v71, v77
	s_delay_alu instid0(VALU_DEP_1)
	v_pk_add_f32 v[68:69], v[68:69], v[70:71]
.LBB31_22:
	s_or_b32 exec_lo, exec_lo, s8
	v_mov_b32_e32 v3, 0
	ds_load_b64 v[70:71], v3 offset:16
	s_wait_dscnt 0x0
	v_pk_mul_f32 v[72:73], v[68:69], v[70:71] op_sel:[1,1] op_sel_hi:[0,1]
	s_delay_alu instid0(VALU_DEP_1) | instskip(SKIP_1) | instid1(VALU_DEP_2)
	v_pk_fma_f32 v[74:75], v[68:69], v[70:71], v[72:73] op_sel_hi:[1,0,1]
	v_pk_fma_f32 v[68:69], v[68:69], v[70:71], v[72:73] neg_lo:[0,0,1] neg_hi:[0,0,1]
	v_mov_b32_e32 v69, v75
	scratch_store_b64 off, v[68:69], off offset:16
.LBB31_23:
	s_wait_xcnt 0x0
	s_or_b32 exec_lo, exec_lo, s1
	s_wait_storecnt 0x0
	s_barrier_signal -1
	s_barrier_wait -1
	scratch_load_b64 v[68:69], off, off offset:24
	v_add_nc_u32_e32 v3, -1, v0
	s_mov_b32 s0, exec_lo
	s_wait_loadcnt 0x0
	ds_store_b64 v1, v[68:69]
	s_wait_dscnt 0x0
	s_barrier_signal -1
	s_barrier_wait -1
	v_cmpx_gt_u32_e32 3, v0
	s_cbranch_execz .LBB31_27
; %bb.24:
	v_dual_mov_b32 v68, 0 :: v_dual_add_nc_u32 v7, -1, v0
	v_add_nc_u32_e32 v11, 0x100, v66
	v_mov_b32_e32 v13, v66
	s_mov_b32 s1, 0
	s_delay_alu instid0(VALU_DEP_3)
	v_mov_b32_e32 v69, v68
.LBB31_25:                              ; =>This Inner Loop Header: Depth=1
	scratch_load_b64 v[70:71], v13, off
	ds_load_b64 v[72:73], v11
	s_wait_xcnt 0x0
	v_dual_add_nc_u32 v11, 8, v11 :: v_dual_add_nc_u32 v13, 8, v13
	s_wait_loadcnt_dscnt 0x0
	v_pk_mul_f32 v[74:75], v[72:73], v[70:71] op_sel:[1,1] op_sel_hi:[0,1]
	s_delay_alu instid0(VALU_DEP_1) | instskip(SKIP_2) | instid1(VALU_DEP_3)
	v_pk_fma_f32 v[76:77], v[72:73], v[70:71], v[74:75] op_sel_hi:[1,0,1]
	v_add_nc_u32_e32 v7, 1, v7
	v_pk_fma_f32 v[70:71], v[72:73], v[70:71], v[74:75] neg_lo:[0,0,1] neg_hi:[0,0,1]
	v_mov_b32_e32 v71, v77
	s_delay_alu instid0(VALU_DEP_3) | instskip(NEXT) | instid1(VALU_DEP_2)
	v_cmp_lt_u32_e32 vcc_lo, 1, v7
	v_pk_add_f32 v[68:69], v[68:69], v[70:71]
	s_or_b32 s1, vcc_lo, s1
	s_delay_alu instid0(SALU_CYCLE_1)
	s_and_not1_b32 exec_lo, exec_lo, s1
	s_cbranch_execnz .LBB31_25
; %bb.26:
	s_or_b32 exec_lo, exec_lo, s1
	v_mov_b32_e32 v7, 0
	ds_load_b64 v[70:71], v7 offset:24
	s_wait_dscnt 0x0
	v_pk_mul_f32 v[72:73], v[68:69], v[70:71] op_sel:[1,1] op_sel_hi:[0,1]
	s_delay_alu instid0(VALU_DEP_1) | instskip(SKIP_1) | instid1(VALU_DEP_2)
	v_pk_fma_f32 v[74:75], v[68:69], v[70:71], v[72:73] op_sel_hi:[1,0,1]
	v_pk_fma_f32 v[68:69], v[68:69], v[70:71], v[72:73] neg_lo:[0,0,1] neg_hi:[0,0,1]
	v_mov_b32_e32 v69, v75
	scratch_store_b64 off, v[68:69], off offset:24
.LBB31_27:
	s_wait_xcnt 0x0
	s_or_b32 exec_lo, exec_lo, s0
	s_wait_storecnt 0x0
	s_barrier_signal -1
	s_barrier_wait -1
	scratch_load_b64 v[68:69], off, off offset:32
	s_mov_b32 s0, exec_lo
	s_wait_loadcnt 0x0
	ds_store_b64 v1, v[68:69]
	s_wait_dscnt 0x0
	s_barrier_signal -1
	s_barrier_wait -1
	v_cmpx_gt_u32_e32 4, v0
	s_cbranch_execz .LBB31_31
; %bb.28:
	v_dual_mov_b32 v68, 0 :: v_dual_add_nc_u32 v7, -1, v0
	v_add_nc_u32_e32 v11, 0x100, v66
	v_mov_b32_e32 v13, v66
	s_mov_b32 s1, 0
	s_delay_alu instid0(VALU_DEP_3)
	v_mov_b32_e32 v69, v68
.LBB31_29:                              ; =>This Inner Loop Header: Depth=1
	scratch_load_b64 v[70:71], v13, off
	ds_load_b64 v[72:73], v11
	s_wait_xcnt 0x0
	v_dual_add_nc_u32 v11, 8, v11 :: v_dual_add_nc_u32 v13, 8, v13
	s_wait_loadcnt_dscnt 0x0
	v_pk_mul_f32 v[74:75], v[72:73], v[70:71] op_sel:[1,1] op_sel_hi:[0,1]
	s_delay_alu instid0(VALU_DEP_1) | instskip(SKIP_2) | instid1(VALU_DEP_3)
	v_pk_fma_f32 v[76:77], v[72:73], v[70:71], v[74:75] op_sel_hi:[1,0,1]
	v_add_nc_u32_e32 v7, 1, v7
	v_pk_fma_f32 v[70:71], v[72:73], v[70:71], v[74:75] neg_lo:[0,0,1] neg_hi:[0,0,1]
	v_mov_b32_e32 v71, v77
	s_delay_alu instid0(VALU_DEP_3) | instskip(NEXT) | instid1(VALU_DEP_2)
	v_cmp_lt_u32_e32 vcc_lo, 2, v7
	v_pk_add_f32 v[68:69], v[68:69], v[70:71]
	s_or_b32 s1, vcc_lo, s1
	s_delay_alu instid0(SALU_CYCLE_1)
	s_and_not1_b32 exec_lo, exec_lo, s1
	s_cbranch_execnz .LBB31_29
; %bb.30:
	s_or_b32 exec_lo, exec_lo, s1
	v_mov_b32_e32 v7, 0
	ds_load_b64 v[70:71], v7 offset:32
	s_wait_dscnt 0x0
	v_pk_mul_f32 v[72:73], v[68:69], v[70:71] op_sel:[1,1] op_sel_hi:[0,1]
	s_delay_alu instid0(VALU_DEP_1) | instskip(SKIP_1) | instid1(VALU_DEP_2)
	v_pk_fma_f32 v[74:75], v[68:69], v[70:71], v[72:73] op_sel_hi:[1,0,1]
	v_pk_fma_f32 v[68:69], v[68:69], v[70:71], v[72:73] neg_lo:[0,0,1] neg_hi:[0,0,1]
	v_mov_b32_e32 v69, v75
	scratch_store_b64 off, v[68:69], off offset:32
.LBB31_31:
	s_wait_xcnt 0x0
	s_or_b32 exec_lo, exec_lo, s0
	s_wait_storecnt 0x0
	s_barrier_signal -1
	s_barrier_wait -1
	scratch_load_b64 v[68:69], off, off offset:40
	;; [unrolled: 52-line block ×19, first 2 shown]
	s_mov_b32 s0, exec_lo
	s_wait_loadcnt 0x0
	ds_store_b64 v1, v[68:69]
	s_wait_dscnt 0x0
	s_barrier_signal -1
	s_barrier_wait -1
	v_cmpx_gt_u32_e32 22, v0
	s_cbranch_execz .LBB31_103
; %bb.100:
	v_dual_mov_b32 v68, 0 :: v_dual_add_nc_u32 v7, -1, v0
	v_add_nc_u32_e32 v11, 0x100, v66
	v_mov_b32_e32 v13, v66
	s_mov_b32 s1, 0
	s_delay_alu instid0(VALU_DEP_3)
	v_mov_b32_e32 v69, v68
.LBB31_101:                             ; =>This Inner Loop Header: Depth=1
	scratch_load_b64 v[70:71], v13, off
	ds_load_b64 v[72:73], v11
	s_wait_xcnt 0x0
	v_dual_add_nc_u32 v11, 8, v11 :: v_dual_add_nc_u32 v13, 8, v13
	s_wait_loadcnt_dscnt 0x0
	v_pk_mul_f32 v[74:75], v[72:73], v[70:71] op_sel:[1,1] op_sel_hi:[0,1]
	s_delay_alu instid0(VALU_DEP_1) | instskip(SKIP_2) | instid1(VALU_DEP_3)
	v_pk_fma_f32 v[76:77], v[72:73], v[70:71], v[74:75] op_sel_hi:[1,0,1]
	v_add_nc_u32_e32 v7, 1, v7
	v_pk_fma_f32 v[70:71], v[72:73], v[70:71], v[74:75] neg_lo:[0,0,1] neg_hi:[0,0,1]
	v_mov_b32_e32 v71, v77
	s_delay_alu instid0(VALU_DEP_3) | instskip(NEXT) | instid1(VALU_DEP_2)
	v_cmp_lt_u32_e32 vcc_lo, 20, v7
	v_pk_add_f32 v[68:69], v[68:69], v[70:71]
	s_or_b32 s1, vcc_lo, s1
	s_delay_alu instid0(SALU_CYCLE_1)
	s_and_not1_b32 exec_lo, exec_lo, s1
	s_cbranch_execnz .LBB31_101
; %bb.102:
	s_or_b32 exec_lo, exec_lo, s1
	v_mov_b32_e32 v7, 0
	ds_load_b64 v[70:71], v7 offset:176
	s_wait_dscnt 0x0
	v_pk_mul_f32 v[72:73], v[68:69], v[70:71] op_sel:[1,1] op_sel_hi:[0,1]
	s_delay_alu instid0(VALU_DEP_1) | instskip(SKIP_1) | instid1(VALU_DEP_2)
	v_pk_fma_f32 v[74:75], v[68:69], v[70:71], v[72:73] op_sel_hi:[1,0,1]
	v_pk_fma_f32 v[68:69], v[68:69], v[70:71], v[72:73] neg_lo:[0,0,1] neg_hi:[0,0,1]
	v_mov_b32_e32 v69, v75
	scratch_store_b64 off, v[68:69], off offset:176
.LBB31_103:
	s_wait_xcnt 0x0
	s_or_b32 exec_lo, exec_lo, s0
	s_wait_storecnt 0x0
	s_barrier_signal -1
	s_barrier_wait -1
	scratch_load_b64 v[68:69], off, off offset:184
	s_mov_b32 s0, exec_lo
	s_wait_loadcnt 0x0
	ds_store_b64 v1, v[68:69]
	s_wait_dscnt 0x0
	s_barrier_signal -1
	s_barrier_wait -1
	v_cmpx_gt_u32_e32 23, v0
	s_cbranch_execz .LBB31_107
; %bb.104:
	v_dual_mov_b32 v68, 0 :: v_dual_add_nc_u32 v7, -1, v0
	v_add_nc_u32_e32 v11, 0x100, v66
	v_mov_b32_e32 v13, v66
	s_mov_b32 s1, 0
	s_delay_alu instid0(VALU_DEP_3)
	v_mov_b32_e32 v69, v68
.LBB31_105:                             ; =>This Inner Loop Header: Depth=1
	scratch_load_b64 v[70:71], v13, off
	ds_load_b64 v[72:73], v11
	s_wait_xcnt 0x0
	v_dual_add_nc_u32 v11, 8, v11 :: v_dual_add_nc_u32 v13, 8, v13
	s_wait_loadcnt_dscnt 0x0
	v_pk_mul_f32 v[74:75], v[72:73], v[70:71] op_sel:[1,1] op_sel_hi:[0,1]
	s_delay_alu instid0(VALU_DEP_1) | instskip(SKIP_2) | instid1(VALU_DEP_3)
	v_pk_fma_f32 v[76:77], v[72:73], v[70:71], v[74:75] op_sel_hi:[1,0,1]
	v_add_nc_u32_e32 v7, 1, v7
	v_pk_fma_f32 v[70:71], v[72:73], v[70:71], v[74:75] neg_lo:[0,0,1] neg_hi:[0,0,1]
	v_mov_b32_e32 v71, v77
	s_delay_alu instid0(VALU_DEP_3) | instskip(NEXT) | instid1(VALU_DEP_2)
	v_cmp_lt_u32_e32 vcc_lo, 21, v7
	v_pk_add_f32 v[68:69], v[68:69], v[70:71]
	s_or_b32 s1, vcc_lo, s1
	s_delay_alu instid0(SALU_CYCLE_1)
	s_and_not1_b32 exec_lo, exec_lo, s1
	s_cbranch_execnz .LBB31_105
; %bb.106:
	s_or_b32 exec_lo, exec_lo, s1
	v_mov_b32_e32 v7, 0
	ds_load_b64 v[70:71], v7 offset:184
	s_wait_dscnt 0x0
	v_pk_mul_f32 v[72:73], v[68:69], v[70:71] op_sel:[1,1] op_sel_hi:[0,1]
	s_delay_alu instid0(VALU_DEP_1) | instskip(SKIP_1) | instid1(VALU_DEP_2)
	v_pk_fma_f32 v[74:75], v[68:69], v[70:71], v[72:73] op_sel_hi:[1,0,1]
	v_pk_fma_f32 v[68:69], v[68:69], v[70:71], v[72:73] neg_lo:[0,0,1] neg_hi:[0,0,1]
	v_mov_b32_e32 v69, v75
	scratch_store_b64 off, v[68:69], off offset:184
.LBB31_107:
	s_wait_xcnt 0x0
	s_or_b32 exec_lo, exec_lo, s0
	s_wait_storecnt 0x0
	s_barrier_signal -1
	s_barrier_wait -1
	scratch_load_b64 v[68:69], off, off offset:192
	;; [unrolled: 52-line block ×9, first 2 shown]
	s_mov_b32 s0, exec_lo
	s_wait_loadcnt 0x0
	ds_store_b64 v1, v[68:69]
	s_wait_dscnt 0x0
	s_barrier_signal -1
	s_barrier_wait -1
	v_cmpx_ne_u32_e32 31, v0
	s_cbranch_execz .LBB31_139
; %bb.136:
	v_dual_mov_b32 v68, 0 :: v_dual_mov_b32 v7, v66
	s_mov_b32 s1, 0
	s_delay_alu instid0(VALU_DEP_1)
	v_mov_b32_e32 v69, v68
.LBB31_137:                             ; =>This Inner Loop Header: Depth=1
	scratch_load_b64 v[66:67], v7, off
	ds_load_b64 v[70:71], v1
	s_wait_xcnt 0x0
	v_dual_add_nc_u32 v1, 8, v1 :: v_dual_add_nc_u32 v7, 8, v7
	s_wait_loadcnt_dscnt 0x0
	v_pk_mul_f32 v[72:73], v[70:71], v[66:67] op_sel:[1,1] op_sel_hi:[0,1]
	s_delay_alu instid0(VALU_DEP_1) | instskip(SKIP_2) | instid1(VALU_DEP_3)
	v_pk_fma_f32 v[74:75], v[70:71], v[66:67], v[72:73] op_sel_hi:[1,0,1]
	v_add_nc_u32_e32 v3, 1, v3
	v_pk_fma_f32 v[66:67], v[70:71], v[66:67], v[72:73] neg_lo:[0,0,1] neg_hi:[0,0,1]
	v_mov_b32_e32 v67, v75
	s_delay_alu instid0(VALU_DEP_3) | instskip(NEXT) | instid1(VALU_DEP_2)
	v_cmp_lt_u32_e32 vcc_lo, 29, v3
	v_pk_add_f32 v[68:69], v[68:69], v[66:67]
	s_or_b32 s1, vcc_lo, s1
	s_delay_alu instid0(SALU_CYCLE_1)
	s_and_not1_b32 exec_lo, exec_lo, s1
	s_cbranch_execnz .LBB31_137
; %bb.138:
	s_or_b32 exec_lo, exec_lo, s1
	v_mov_b32_e32 v1, 0
	ds_load_b64 v[66:67], v1 offset:248
	s_wait_dscnt 0x0
	v_pk_mul_f32 v[70:71], v[68:69], v[66:67] op_sel:[1,1] op_sel_hi:[0,1]
	s_delay_alu instid0(VALU_DEP_1) | instskip(SKIP_1) | instid1(VALU_DEP_2)
	v_pk_fma_f32 v[72:73], v[68:69], v[66:67], v[70:71] op_sel_hi:[1,0,1]
	v_pk_fma_f32 v[66:67], v[68:69], v[66:67], v[70:71] neg_lo:[0,0,1] neg_hi:[0,0,1]
	v_mov_b32_e32 v67, v73
	scratch_store_b64 off, v[66:67], off offset:248
.LBB31_139:
	s_wait_xcnt 0x0
	s_or_b32 exec_lo, exec_lo, s0
	s_mov_b32 s1, -1
	s_wait_storecnt 0x0
	s_barrier_signal -1
	s_barrier_wait -1
.LBB31_140:
	s_and_b32 vcc_lo, exec_lo, s1
	s_cbranch_vccz .LBB31_142
; %bb.141:
	v_mov_b32_e32 v1, 0
	s_lshl_b64 s[0:1], s[16:17], 2
	s_delay_alu instid0(SALU_CYCLE_1)
	s_add_nc_u64 s[0:1], s[6:7], s[0:1]
	global_load_b32 v1, v1, s[0:1]
	s_wait_loadcnt 0x0
	v_cmp_ne_u32_e32 vcc_lo, 0, v1
	s_cbranch_vccz .LBB31_143
.LBB31_142:
	s_sendmsg sendmsg(MSG_DEALLOC_VGPRS)
	s_endpgm
.LBB31_143:
	s_wait_xcnt 0x0
	v_lshl_add_u32 v1, v0, 3, 0x100
	s_mov_b32 s0, exec_lo
	v_cmpx_eq_u32_e32 31, v0
	s_cbranch_execz .LBB31_145
; %bb.144:
	scratch_load_b64 v[66:67], off, off offset:240
	v_mov_b64_e32 v[68:69], 0
	scratch_store_b64 off, v[68:69], off offset:240
	s_wait_loadcnt 0x0
	ds_store_b64 v1, v[66:67]
.LBB31_145:
	s_wait_xcnt 0x0
	s_or_b32 exec_lo, exec_lo, s0
	s_wait_storecnt_dscnt 0x0
	s_barrier_signal -1
	s_barrier_wait -1
	s_clause 0x1
	scratch_load_b64 v[66:67], off, off offset:248
	scratch_load_b64 v[68:69], off, off offset:240
	v_mov_b32_e32 v3, 0
	s_mov_b32 s0, exec_lo
	ds_load_b64 v[70:71], v3 offset:504
	s_wait_loadcnt_dscnt 0x100
	v_pk_mul_f32 v[72:73], v[70:71], v[66:67] op_sel:[1,1] op_sel_hi:[0,1]
	s_delay_alu instid0(VALU_DEP_1) | instskip(SKIP_1) | instid1(VALU_DEP_2)
	v_pk_fma_f32 v[74:75], v[70:71], v[66:67], v[72:73] op_sel_hi:[1,0,1]
	v_pk_fma_f32 v[66:67], v[70:71], v[66:67], v[72:73] neg_lo:[0,0,1] neg_hi:[0,0,1]
	v_mov_b32_e32 v67, v75
	s_delay_alu instid0(VALU_DEP_1) | instskip(SKIP_1) | instid1(VALU_DEP_1)
	v_pk_add_f32 v[66:67], v[66:67], 0 op_sel_hi:[1,0]
	s_wait_loadcnt 0x0
	v_pk_add_f32 v[66:67], v[68:69], v[66:67] neg_lo:[0,1] neg_hi:[0,1]
	scratch_store_b64 off, v[66:67], off offset:240
	s_wait_xcnt 0x0
	v_cmpx_lt_u32_e32 29, v0
	s_cbranch_execz .LBB31_147
; %bb.146:
	scratch_load_b64 v[66:67], off, off offset:232
	v_mov_b64_e32 v[68:69], 0
	scratch_store_b64 off, v[68:69], off offset:232
	s_wait_loadcnt 0x0
	ds_store_b64 v1, v[66:67]
.LBB31_147:
	s_wait_xcnt 0x0
	s_or_b32 exec_lo, exec_lo, s0
	s_wait_storecnt_dscnt 0x0
	s_barrier_signal -1
	s_barrier_wait -1
	s_clause 0x1
	scratch_load_b128 v[66:69], off, off offset:240
	scratch_load_b64 v[74:75], off, off offset:232
	ds_load_b128 v[70:73], v3 offset:496
	s_mov_b32 s0, exec_lo
	s_wait_dscnt 0x0
	v_dual_mov_b32 v76, v73 :: v_dual_mov_b32 v77, v72
	s_wait_loadcnt 0x1
	v_pk_mul_f32 v[78:79], v[70:71], v[66:67] op_sel:[1,1] op_sel_hi:[0,1]
	s_delay_alu instid0(VALU_DEP_1) | instskip(SKIP_2) | instid1(VALU_DEP_3)
	v_pk_fma_f32 v[82:83], v[70:71], v[66:67], v[78:79] op_sel_hi:[1,0,1]
	v_mov_b32_e32 v80, v69
	v_pk_fma_f32 v[66:67], v[70:71], v[66:67], v[78:79] neg_lo:[0,0,1] neg_hi:[0,0,1]
	v_mov_b32_e32 v67, v83
	s_delay_alu instid0(VALU_DEP_3) | instskip(NEXT) | instid1(VALU_DEP_2)
	v_pk_mul_f32 v[76:77], v[76:77], v[80:81] op_sel_hi:[1,0]
	v_pk_add_f32 v[66:67], v[66:67], 0 op_sel_hi:[1,0]
	s_delay_alu instid0(VALU_DEP_2) | instskip(SKIP_1) | instid1(VALU_DEP_2)
	v_pk_fma_f32 v[70:71], v[72:73], v[68:69], v[76:77] op_sel_hi:[1,0,1]
	v_pk_fma_f32 v[68:69], v[72:73], v[68:69], v[76:77] neg_lo:[0,0,1] neg_hi:[0,0,1]
	v_mov_b32_e32 v69, v71
	s_delay_alu instid0(VALU_DEP_1) | instskip(SKIP_1) | instid1(VALU_DEP_1)
	v_pk_add_f32 v[66:67], v[66:67], v[68:69]
	s_wait_loadcnt 0x0
	v_pk_add_f32 v[66:67], v[74:75], v[66:67] neg_lo:[0,1] neg_hi:[0,1]
	scratch_store_b64 off, v[66:67], off offset:232
	s_wait_xcnt 0x0
	v_cmpx_lt_u32_e32 28, v0
	s_cbranch_execz .LBB31_149
; %bb.148:
	scratch_load_b64 v[66:67], off, off offset:224
	v_mov_b64_e32 v[68:69], 0
	scratch_store_b64 off, v[68:69], off offset:224
	s_wait_loadcnt 0x0
	ds_store_b64 v1, v[66:67]
.LBB31_149:
	s_wait_xcnt 0x0
	s_or_b32 exec_lo, exec_lo, s0
	s_wait_storecnt_dscnt 0x0
	s_barrier_signal -1
	s_barrier_wait -1
	s_clause 0x2
	scratch_load_b128 v[66:69], off, off offset:232
	scratch_load_b64 v[74:75], off, off offset:248
	scratch_load_b64 v[76:77], off, off offset:224
	v_mov_b32_e32 v3, 0
	ds_load_2addr_b64 v[70:73], v3 offset0:61 offset1:62
	ds_load_b64 v[78:79], v3 offset:504
	s_mov_b32 s0, exec_lo
	s_wait_dscnt 0x1
	v_dual_mov_b32 v80, v73 :: v_dual_mov_b32 v81, v72
	s_wait_loadcnt 0x2
	v_mov_b32_e32 v84, v69
	v_pk_mul_f32 v[82:83], v[70:71], v[66:67] op_sel:[1,1] op_sel_hi:[0,1]
	s_delay_alu instid0(VALU_DEP_2) | instskip(NEXT) | instid1(VALU_DEP_2)
	v_pk_mul_f32 v[80:81], v[80:81], v[84:85] op_sel_hi:[1,0]
	v_pk_fma_f32 v[86:87], v[70:71], v[66:67], v[82:83] op_sel_hi:[1,0,1]
	v_pk_fma_f32 v[66:67], v[70:71], v[66:67], v[82:83] neg_lo:[0,0,1] neg_hi:[0,0,1]
	s_wait_loadcnt_dscnt 0x100
	v_pk_mul_f32 v[82:83], v[78:79], v[74:75] op_sel:[1,1] op_sel_hi:[0,1]
	v_pk_fma_f32 v[70:71], v[72:73], v[68:69], v[80:81] op_sel_hi:[1,0,1]
	v_mov_b32_e32 v67, v87
	v_pk_fma_f32 v[68:69], v[72:73], v[68:69], v[80:81] neg_lo:[0,0,1] neg_hi:[0,0,1]
	s_delay_alu instid0(VALU_DEP_4) | instskip(NEXT) | instid1(VALU_DEP_4)
	v_pk_fma_f32 v[72:73], v[78:79], v[74:75], v[82:83] neg_lo:[0,0,1] neg_hi:[0,0,1]
	v_mov_b32_e32 v69, v71
	s_delay_alu instid0(VALU_DEP_4) | instskip(SKIP_1) | instid1(VALU_DEP_2)
	v_pk_add_f32 v[66:67], v[66:67], 0 op_sel_hi:[1,0]
	v_pk_fma_f32 v[70:71], v[78:79], v[74:75], v[82:83] op_sel_hi:[1,0,1]
	v_pk_add_f32 v[66:67], v[66:67], v[68:69]
	s_delay_alu instid0(VALU_DEP_2) | instskip(NEXT) | instid1(VALU_DEP_1)
	v_mov_b32_e32 v73, v71
	v_pk_add_f32 v[66:67], v[66:67], v[72:73]
	s_wait_loadcnt 0x0
	s_delay_alu instid0(VALU_DEP_1)
	v_pk_add_f32 v[66:67], v[76:77], v[66:67] neg_lo:[0,1] neg_hi:[0,1]
	scratch_store_b64 off, v[66:67], off offset:224
	s_wait_xcnt 0x0
	v_cmpx_lt_u32_e32 27, v0
	s_cbranch_execz .LBB31_151
; %bb.150:
	scratch_load_b64 v[66:67], off, off offset:216
	v_mov_b64_e32 v[68:69], 0
	scratch_store_b64 off, v[68:69], off offset:216
	s_wait_loadcnt 0x0
	ds_store_b64 v1, v[66:67]
.LBB31_151:
	s_wait_xcnt 0x0
	s_or_b32 exec_lo, exec_lo, s0
	s_wait_storecnt_dscnt 0x0
	s_barrier_signal -1
	s_barrier_wait -1
	s_clause 0x2
	scratch_load_b128 v[66:69], off, off offset:224
	scratch_load_b128 v[70:73], off, off offset:240
	scratch_load_b64 v[82:83], off, off offset:216
	ds_load_b128 v[74:77], v3 offset:480
	ds_load_b128 v[78:81], v3 offset:496
	s_mov_b32 s0, exec_lo
	s_wait_dscnt 0x1
	v_dual_mov_b32 v84, v77 :: v_dual_mov_b32 v85, v76
	s_wait_loadcnt_dscnt 0x200
	v_dual_mov_b32 v90, v81 :: v_dual_mov_b32 v88, v69
	v_pk_mul_f32 v[86:87], v[74:75], v[66:67] op_sel:[1,1] op_sel_hi:[0,1]
	s_delay_alu instid0(VALU_DEP_2) | instskip(NEXT) | instid1(VALU_DEP_2)
	v_pk_mul_f32 v[84:85], v[84:85], v[88:89] op_sel_hi:[1,0]
	v_pk_fma_f32 v[92:93], v[74:75], v[66:67], v[86:87] op_sel_hi:[1,0,1]
	v_pk_fma_f32 v[66:67], v[74:75], v[66:67], v[86:87] neg_lo:[0,0,1] neg_hi:[0,0,1]
	v_mov_b32_e32 v91, v80
	s_wait_loadcnt 0x1
	v_pk_mul_f32 v[88:89], v[78:79], v[70:71] op_sel:[1,1] op_sel_hi:[0,1]
	v_pk_fma_f32 v[74:75], v[76:77], v[68:69], v[84:85] op_sel_hi:[1,0,1]
	v_dual_mov_b32 v67, v93 :: v_dual_mov_b32 v74, v73
	v_pk_fma_f32 v[68:69], v[76:77], v[68:69], v[84:85] neg_lo:[0,0,1] neg_hi:[0,0,1]
	s_delay_alu instid0(VALU_DEP_4) | instskip(NEXT) | instid1(VALU_DEP_4)
	v_pk_fma_f32 v[86:87], v[78:79], v[70:71], v[88:89] op_sel_hi:[1,0,1]
	v_mov_b32_e32 v69, v75
	s_delay_alu instid0(VALU_DEP_4) | instskip(SKIP_2) | instid1(VALU_DEP_3)
	v_pk_add_f32 v[66:67], v[66:67], 0 op_sel_hi:[1,0]
	v_pk_mul_f32 v[74:75], v[90:91], v[74:75] op_sel_hi:[1,0]
	v_pk_fma_f32 v[70:71], v[78:79], v[70:71], v[88:89] neg_lo:[0,0,1] neg_hi:[0,0,1]
	v_pk_add_f32 v[66:67], v[66:67], v[68:69]
	s_delay_alu instid0(VALU_DEP_3) | instskip(SKIP_2) | instid1(VALU_DEP_3)
	v_pk_fma_f32 v[68:69], v[80:81], v[72:73], v[74:75] op_sel_hi:[1,0,1]
	v_mov_b32_e32 v71, v87
	v_pk_fma_f32 v[72:73], v[80:81], v[72:73], v[74:75] neg_lo:[0,0,1] neg_hi:[0,0,1]
	v_mov_b32_e32 v73, v69
	s_delay_alu instid0(VALU_DEP_3) | instskip(NEXT) | instid1(VALU_DEP_1)
	v_pk_add_f32 v[66:67], v[66:67], v[70:71]
	v_pk_add_f32 v[66:67], v[66:67], v[72:73]
	s_wait_loadcnt 0x0
	s_delay_alu instid0(VALU_DEP_1)
	v_pk_add_f32 v[66:67], v[82:83], v[66:67] neg_lo:[0,1] neg_hi:[0,1]
	scratch_store_b64 off, v[66:67], off offset:216
	s_wait_xcnt 0x0
	v_cmpx_lt_u32_e32 26, v0
	s_cbranch_execz .LBB31_153
; %bb.152:
	scratch_load_b64 v[66:67], off, off offset:208
	v_mov_b64_e32 v[68:69], 0
	scratch_store_b64 off, v[68:69], off offset:208
	s_wait_loadcnt 0x0
	ds_store_b64 v1, v[66:67]
.LBB31_153:
	s_wait_xcnt 0x0
	s_or_b32 exec_lo, exec_lo, s0
	s_wait_storecnt_dscnt 0x0
	s_barrier_signal -1
	s_barrier_wait -1
	s_clause 0x3
	scratch_load_b128 v[66:69], off, off offset:216
	scratch_load_b128 v[70:73], off, off offset:232
	scratch_load_b64 v[82:83], off, off offset:248
	scratch_load_b64 v[84:85], off, off offset:208
	v_mov_b32_e32 v3, 0
	ds_load_2addr_b64 v[74:77], v3 offset0:59 offset1:60
	ds_load_2addr_b64 v[78:81], v3 offset0:61 offset1:62
	s_mov_b32 s0, exec_lo
	s_wait_dscnt 0x1
	v_dual_mov_b32 v86, v77 :: v_dual_mov_b32 v87, v76
	ds_load_b64 v[92:93], v3 offset:504
	s_wait_dscnt 0x1
	v_dual_mov_b32 v94, v81 :: v_dual_mov_b32 v95, v80
	s_wait_loadcnt 0x3
	v_pk_mul_f32 v[88:89], v[74:75], v[66:67] op_sel:[1,1] op_sel_hi:[0,1]
	v_mov_b32_e32 v90, v69
	s_delay_alu instid0(VALU_DEP_2) | instskip(NEXT) | instid1(VALU_DEP_2)
	v_pk_fma_f32 v[96:97], v[74:75], v[66:67], v[88:89] op_sel_hi:[1,0,1]
	v_pk_mul_f32 v[86:87], v[86:87], v[90:91] op_sel_hi:[1,0]
	v_pk_fma_f32 v[66:67], v[74:75], v[66:67], v[88:89] neg_lo:[0,0,1] neg_hi:[0,0,1]
	s_wait_loadcnt 0x2
	v_pk_mul_f32 v[90:91], v[78:79], v[70:71] op_sel:[1,1] op_sel_hi:[0,1]
	v_dual_mov_b32 v96, v73 :: v_dual_mov_b32 v67, v97
	v_pk_fma_f32 v[74:75], v[76:77], v[68:69], v[86:87] op_sel_hi:[1,0,1]
	v_pk_fma_f32 v[68:69], v[76:77], v[68:69], v[86:87] neg_lo:[0,0,1] neg_hi:[0,0,1]
	s_delay_alu instid0(VALU_DEP_4) | instskip(NEXT) | instid1(VALU_DEP_4)
	v_pk_fma_f32 v[88:89], v[78:79], v[70:71], v[90:91] op_sel_hi:[1,0,1]
	v_pk_mul_f32 v[94:95], v[94:95], v[96:97] op_sel_hi:[1,0]
	v_pk_add_f32 v[66:67], v[66:67], 0 op_sel_hi:[1,0]
	v_mov_b32_e32 v69, v75
	v_pk_fma_f32 v[70:71], v[78:79], v[70:71], v[90:91] neg_lo:[0,0,1] neg_hi:[0,0,1]
	v_mov_b32_e32 v71, v89
	v_pk_fma_f32 v[74:75], v[80:81], v[72:73], v[94:95] op_sel_hi:[1,0,1]
	v_pk_fma_f32 v[72:73], v[80:81], v[72:73], v[94:95] neg_lo:[0,0,1] neg_hi:[0,0,1]
	v_pk_add_f32 v[66:67], v[66:67], v[68:69]
	s_wait_loadcnt_dscnt 0x100
	v_pk_mul_f32 v[68:69], v[92:93], v[82:83] op_sel:[1,1] op_sel_hi:[0,1]
	s_delay_alu instid0(VALU_DEP_2) | instskip(NEXT) | instid1(VALU_DEP_2)
	v_pk_add_f32 v[66:67], v[66:67], v[70:71]
	v_pk_fma_f32 v[70:71], v[92:93], v[82:83], v[68:69] op_sel_hi:[1,0,1]
	v_mov_b32_e32 v73, v75
	v_pk_fma_f32 v[68:69], v[92:93], v[82:83], v[68:69] neg_lo:[0,0,1] neg_hi:[0,0,1]
	s_delay_alu instid0(VALU_DEP_3) | instskip(NEXT) | instid1(VALU_DEP_3)
	v_mov_b32_e32 v69, v71
	v_pk_add_f32 v[66:67], v[66:67], v[72:73]
	s_delay_alu instid0(VALU_DEP_1) | instskip(SKIP_1) | instid1(VALU_DEP_1)
	v_pk_add_f32 v[66:67], v[66:67], v[68:69]
	s_wait_loadcnt 0x0
	v_pk_add_f32 v[66:67], v[84:85], v[66:67] neg_lo:[0,1] neg_hi:[0,1]
	scratch_store_b64 off, v[66:67], off offset:208
	s_wait_xcnt 0x0
	v_cmpx_lt_u32_e32 25, v0
	s_cbranch_execz .LBB31_155
; %bb.154:
	scratch_load_b64 v[66:67], off, off offset:200
	v_mov_b64_e32 v[68:69], 0
	scratch_store_b64 off, v[68:69], off offset:200
	s_wait_loadcnt 0x0
	ds_store_b64 v1, v[66:67]
.LBB31_155:
	s_wait_xcnt 0x0
	s_or_b32 exec_lo, exec_lo, s0
	s_wait_storecnt_dscnt 0x0
	s_barrier_signal -1
	s_barrier_wait -1
	s_clause 0x3
	scratch_load_b128 v[66:69], off, off offset:208
	scratch_load_b128 v[70:73], off, off offset:224
	;; [unrolled: 1-line block ×3, first 2 shown]
	scratch_load_b64 v[90:91], off, off offset:200
	ds_load_b128 v[78:81], v3 offset:464
	ds_load_b128 v[82:85], v3 offset:480
	;; [unrolled: 1-line block ×3, first 2 shown]
	s_mov_b32 s0, exec_lo
	s_wait_dscnt 0x2
	v_dual_mov_b32 v92, v81 :: v_dual_mov_b32 v93, v80
	s_wait_dscnt 0x1
	v_dual_mov_b32 v94, v85 :: v_dual_mov_b32 v95, v84
	;; [unrolled: 2-line block ×3, first 2 shown]
	s_wait_loadcnt 0x3
	v_pk_mul_f32 v[96:97], v[78:79], v[66:67] op_sel:[1,1] op_sel_hi:[0,1]
	v_mov_b32_e32 v98, v69
	s_delay_alu instid0(VALU_DEP_2) | instskip(NEXT) | instid1(VALU_DEP_2)
	v_pk_fma_f32 v[102:103], v[78:79], v[66:67], v[96:97] op_sel_hi:[1,0,1]
	v_pk_mul_f32 v[92:93], v[92:93], v[98:99] op_sel_hi:[1,0]
	v_pk_fma_f32 v[66:67], v[78:79], v[66:67], v[96:97] neg_lo:[0,0,1] neg_hi:[0,0,1]
	s_wait_loadcnt 0x2
	v_pk_mul_f32 v[98:99], v[82:83], v[70:71] op_sel:[1,1] op_sel_hi:[0,1]
	v_mov_b32_e32 v102, v73
	v_pk_fma_f32 v[78:79], v[80:81], v[68:69], v[92:93] op_sel_hi:[1,0,1]
	v_mov_b32_e32 v67, v103
	v_pk_fma_f32 v[68:69], v[80:81], v[68:69], v[92:93] neg_lo:[0,0,1] neg_hi:[0,0,1]
	v_pk_fma_f32 v[96:97], v[82:83], v[70:71], v[98:99] op_sel_hi:[1,0,1]
	v_pk_mul_f32 v[94:95], v[94:95], v[102:103] op_sel_hi:[1,0]
	v_mov_b32_e32 v69, v79
	v_pk_add_f32 v[66:67], v[66:67], 0 op_sel_hi:[1,0]
	v_pk_fma_f32 v[70:71], v[82:83], v[70:71], v[98:99] neg_lo:[0,0,1] neg_hi:[0,0,1]
	s_wait_loadcnt 0x1
	v_pk_mul_f32 v[78:79], v[86:87], v[74:75] op_sel:[1,1] op_sel_hi:[0,1]
	v_mov_b32_e32 v71, v97
	v_pk_fma_f32 v[80:81], v[84:85], v[72:73], v[94:95] op_sel_hi:[1,0,1]
	v_pk_add_f32 v[66:67], v[66:67], v[68:69]
	v_mov_b32_e32 v68, v77
	v_pk_fma_f32 v[72:73], v[84:85], v[72:73], v[94:95] neg_lo:[0,0,1] neg_hi:[0,0,1]
	v_pk_fma_f32 v[82:83], v[86:87], v[74:75], v[78:79] op_sel_hi:[1,0,1]
	v_mov_b32_e32 v73, v81
	v_pk_add_f32 v[66:67], v[66:67], v[70:71]
	v_pk_mul_f32 v[68:69], v[100:101], v[68:69] op_sel_hi:[1,0]
	v_pk_fma_f32 v[70:71], v[86:87], v[74:75], v[78:79] neg_lo:[0,0,1] neg_hi:[0,0,1]
	v_mov_b32_e32 v71, v83
	s_delay_alu instid0(VALU_DEP_4) | instskip(NEXT) | instid1(VALU_DEP_4)
	v_pk_add_f32 v[66:67], v[66:67], v[72:73]
	v_pk_fma_f32 v[72:73], v[88:89], v[76:77], v[68:69] op_sel_hi:[1,0,1]
	v_pk_fma_f32 v[68:69], v[88:89], v[76:77], v[68:69] neg_lo:[0,0,1] neg_hi:[0,0,1]
	s_delay_alu instid0(VALU_DEP_3) | instskip(NEXT) | instid1(VALU_DEP_3)
	v_pk_add_f32 v[66:67], v[66:67], v[70:71]
	v_mov_b32_e32 v69, v73
	s_delay_alu instid0(VALU_DEP_1) | instskip(SKIP_1) | instid1(VALU_DEP_1)
	v_pk_add_f32 v[66:67], v[66:67], v[68:69]
	s_wait_loadcnt 0x0
	v_pk_add_f32 v[66:67], v[90:91], v[66:67] neg_lo:[0,1] neg_hi:[0,1]
	scratch_store_b64 off, v[66:67], off offset:200
	s_wait_xcnt 0x0
	v_cmpx_lt_u32_e32 24, v0
	s_cbranch_execz .LBB31_157
; %bb.156:
	scratch_load_b64 v[66:67], off, off offset:192
	v_mov_b64_e32 v[68:69], 0
	scratch_store_b64 off, v[68:69], off offset:192
	s_wait_loadcnt 0x0
	ds_store_b64 v1, v[66:67]
.LBB31_157:
	s_wait_xcnt 0x0
	s_or_b32 exec_lo, exec_lo, s0
	s_wait_storecnt_dscnt 0x0
	s_barrier_signal -1
	s_barrier_wait -1
	s_clause 0x4
	scratch_load_b128 v[66:69], off, off offset:200
	scratch_load_b128 v[70:73], off, off offset:216
	;; [unrolled: 1-line block ×3, first 2 shown]
	scratch_load_b64 v[90:91], off, off offset:248
	scratch_load_b64 v[92:93], off, off offset:192
	v_mov_b32_e32 v3, 0
	ds_load_2addr_b64 v[78:81], v3 offset0:57 offset1:58
	ds_load_2addr_b64 v[82:85], v3 offset0:59 offset1:60
	;; [unrolled: 1-line block ×3, first 2 shown]
	ds_load_b64 v[94:95], v3 offset:504
	s_mov_b32 s0, exec_lo
	s_wait_dscnt 0x3
	v_dual_mov_b32 v96, v81 :: v_dual_mov_b32 v97, v80
	s_wait_dscnt 0x2
	v_dual_mov_b32 v98, v85 :: v_dual_mov_b32 v99, v84
	;; [unrolled: 2-line block ×3, first 2 shown]
	s_wait_loadcnt 0x4
	v_pk_mul_f32 v[100:101], v[78:79], v[66:67] op_sel:[1,1] op_sel_hi:[0,1]
	v_mov_b32_e32 v102, v69
	s_wait_loadcnt 0x3
	v_pk_mul_f32 v[106:107], v[82:83], v[70:71] op_sel:[1,1] op_sel_hi:[0,1]
	s_wait_loadcnt 0x2
	v_pk_mul_f32 v[110:111], v[86:87], v[74:75] op_sel:[1,1] op_sel_hi:[0,1]
	v_pk_fma_f32 v[108:109], v[78:79], v[66:67], v[100:101] op_sel_hi:[1,0,1]
	v_pk_mul_f32 v[96:97], v[96:97], v[102:103] op_sel_hi:[1,0]
	v_pk_fma_f32 v[66:67], v[78:79], v[66:67], v[100:101] neg_lo:[0,0,1] neg_hi:[0,0,1]
	v_mov_b32_e32 v102, v73
	v_pk_fma_f32 v[100:101], v[82:83], v[70:71], v[106:107] op_sel_hi:[1,0,1]
	v_mov_b32_e32 v67, v109
	v_pk_fma_f32 v[78:79], v[80:81], v[68:69], v[96:97] op_sel_hi:[1,0,1]
	v_pk_fma_f32 v[68:69], v[80:81], v[68:69], v[96:97] neg_lo:[0,0,1] neg_hi:[0,0,1]
	v_pk_mul_f32 v[98:99], v[98:99], v[102:103] op_sel_hi:[1,0]
	v_pk_fma_f32 v[70:71], v[82:83], v[70:71], v[106:107] neg_lo:[0,0,1] neg_hi:[0,0,1]
	v_pk_add_f32 v[66:67], v[66:67], 0 op_sel_hi:[1,0]
	v_dual_mov_b32 v69, v79 :: v_dual_mov_b32 v78, v77
	s_delay_alu instid0(VALU_DEP_4) | instskip(SKIP_2) | instid1(VALU_DEP_4)
	v_pk_fma_f32 v[80:81], v[84:85], v[72:73], v[98:99] op_sel_hi:[1,0,1]
	v_mov_b32_e32 v71, v101
	v_pk_fma_f32 v[72:73], v[84:85], v[72:73], v[98:99] neg_lo:[0,0,1] neg_hi:[0,0,1]
	v_pk_add_f32 v[66:67], v[66:67], v[68:69]
	v_pk_fma_f32 v[68:69], v[86:87], v[74:75], v[110:111] op_sel_hi:[1,0,1]
	v_pk_mul_f32 v[78:79], v[104:105], v[78:79] op_sel_hi:[1,0]
	v_mov_b32_e32 v73, v81
	s_delay_alu instid0(VALU_DEP_4)
	v_pk_add_f32 v[66:67], v[66:67], v[70:71]
	v_pk_fma_f32 v[70:71], v[86:87], v[74:75], v[110:111] neg_lo:[0,0,1] neg_hi:[0,0,1]
	v_mov_b32_e32 v71, v69
	v_pk_fma_f32 v[68:69], v[88:89], v[76:77], v[78:79] op_sel_hi:[1,0,1]
	v_pk_fma_f32 v[74:75], v[88:89], v[76:77], v[78:79] neg_lo:[0,0,1] neg_hi:[0,0,1]
	v_pk_add_f32 v[66:67], v[66:67], v[72:73]
	s_wait_loadcnt_dscnt 0x100
	v_pk_mul_f32 v[72:73], v[94:95], v[90:91] op_sel:[1,1] op_sel_hi:[0,1]
	v_mov_b32_e32 v75, v69
	s_delay_alu instid0(VALU_DEP_3) | instskip(NEXT) | instid1(VALU_DEP_3)
	v_pk_add_f32 v[66:67], v[66:67], v[70:71]
	v_pk_fma_f32 v[68:69], v[94:95], v[90:91], v[72:73] op_sel_hi:[1,0,1]
	v_pk_fma_f32 v[70:71], v[94:95], v[90:91], v[72:73] neg_lo:[0,0,1] neg_hi:[0,0,1]
	s_delay_alu instid0(VALU_DEP_3) | instskip(NEXT) | instid1(VALU_DEP_3)
	v_pk_add_f32 v[66:67], v[66:67], v[74:75]
	v_mov_b32_e32 v71, v69
	s_delay_alu instid0(VALU_DEP_1) | instskip(SKIP_1) | instid1(VALU_DEP_1)
	v_pk_add_f32 v[66:67], v[66:67], v[70:71]
	s_wait_loadcnt 0x0
	v_pk_add_f32 v[66:67], v[92:93], v[66:67] neg_lo:[0,1] neg_hi:[0,1]
	scratch_store_b64 off, v[66:67], off offset:192
	s_wait_xcnt 0x0
	v_cmpx_lt_u32_e32 23, v0
	s_cbranch_execz .LBB31_159
; %bb.158:
	scratch_load_b64 v[66:67], off, off offset:184
	v_mov_b64_e32 v[68:69], 0
	scratch_store_b64 off, v[68:69], off offset:184
	s_wait_loadcnt 0x0
	ds_store_b64 v1, v[66:67]
.LBB31_159:
	s_wait_xcnt 0x0
	s_or_b32 exec_lo, exec_lo, s0
	s_wait_storecnt_dscnt 0x0
	s_barrier_signal -1
	s_barrier_wait -1
	s_clause 0x4
	scratch_load_b128 v[66:69], off, off offset:192
	scratch_load_b128 v[70:73], off, off offset:208
	;; [unrolled: 1-line block ×4, first 2 shown]
	scratch_load_b64 v[98:99], off, off offset:184
	ds_load_b128 v[82:85], v3 offset:448
	ds_load_b128 v[86:89], v3 offset:464
	;; [unrolled: 1-line block ×4, first 2 shown]
	s_mov_b32 s0, exec_lo
	s_wait_dscnt 0x3
	v_dual_mov_b32 v100, v85 :: v_dual_mov_b32 v101, v84
	s_wait_dscnt 0x2
	v_dual_mov_b32 v102, v89 :: v_dual_mov_b32 v103, v88
	;; [unrolled: 2-line block ×3, first 2 shown]
	v_dual_mov_b32 v105, v92 :: v_dual_mov_b32 v110, v97
	s_wait_loadcnt 0x4
	v_mov_b32_e32 v108, v69
	v_pk_mul_f32 v[106:107], v[82:83], v[66:67] op_sel:[1,1] op_sel_hi:[0,1]
	s_wait_loadcnt 0x3
	v_pk_mul_f32 v[112:113], v[86:87], v[70:71] op_sel:[1,1] op_sel_hi:[0,1]
	s_wait_loadcnt 0x2
	v_pk_mul_f32 v[116:117], v[90:91], v[74:75] op_sel:[1,1] op_sel_hi:[0,1]
	v_pk_mul_f32 v[100:101], v[100:101], v[108:109] op_sel_hi:[1,0]
	v_pk_fma_f32 v[114:115], v[82:83], v[66:67], v[106:107] op_sel_hi:[1,0,1]
	v_pk_fma_f32 v[66:67], v[82:83], v[66:67], v[106:107] neg_lo:[0,0,1] neg_hi:[0,0,1]
	v_mov_b32_e32 v108, v73
	v_pk_fma_f32 v[106:107], v[86:87], v[70:71], v[112:113] op_sel_hi:[1,0,1]
	v_pk_fma_f32 v[82:83], v[84:85], v[68:69], v[100:101] op_sel_hi:[1,0,1]
	v_mov_b32_e32 v67, v115
	v_pk_fma_f32 v[68:69], v[84:85], v[68:69], v[100:101] neg_lo:[0,0,1] neg_hi:[0,0,1]
	v_pk_mul_f32 v[102:103], v[102:103], v[108:109] op_sel_hi:[1,0]
	s_delay_alu instid0(VALU_DEP_4) | instskip(NEXT) | instid1(VALU_DEP_4)
	v_dual_mov_b32 v82, v77 :: v_dual_mov_b32 v69, v83
	v_pk_add_f32 v[66:67], v[66:67], 0 op_sel_hi:[1,0]
	v_pk_fma_f32 v[70:71], v[86:87], v[70:71], v[112:113] neg_lo:[0,0,1] neg_hi:[0,0,1]
	v_mov_b32_e32 v71, v107
	v_pk_fma_f32 v[84:85], v[88:89], v[72:73], v[102:103] op_sel_hi:[1,0,1]
	v_pk_mul_f32 v[82:83], v[104:105], v[82:83] op_sel_hi:[1,0]
	v_pk_add_f32 v[66:67], v[66:67], v[68:69]
	v_pk_fma_f32 v[68:69], v[90:91], v[74:75], v[116:117] op_sel_hi:[1,0,1]
	v_pk_fma_f32 v[72:73], v[88:89], v[72:73], v[102:103] neg_lo:[0,0,1] neg_hi:[0,0,1]
	v_mov_b32_e32 v73, v85
	v_pk_fma_f32 v[74:75], v[90:91], v[74:75], v[116:117] neg_lo:[0,0,1] neg_hi:[0,0,1]
	v_pk_add_f32 v[66:67], v[66:67], v[70:71]
	v_mov_b32_e32 v75, v69
	v_pk_fma_f32 v[68:69], v[92:93], v[76:77], v[82:83] op_sel_hi:[1,0,1]
	s_wait_loadcnt 0x1
	v_pk_mul_f32 v[70:71], v[94:95], v[78:79] op_sel:[1,1] op_sel_hi:[0,1]
	v_mov_b32_e32 v68, v81
	v_pk_add_f32 v[66:67], v[66:67], v[72:73]
	v_pk_fma_f32 v[76:77], v[92:93], v[76:77], v[82:83] neg_lo:[0,0,1] neg_hi:[0,0,1]
	v_mov_b32_e32 v77, v69
	v_pk_fma_f32 v[72:73], v[94:95], v[78:79], v[70:71] op_sel_hi:[1,0,1]
	v_pk_mul_f32 v[68:69], v[110:111], v[68:69] op_sel_hi:[1,0]
	v_pk_add_f32 v[66:67], v[66:67], v[74:75]
	v_pk_fma_f32 v[70:71], v[94:95], v[78:79], v[70:71] neg_lo:[0,0,1] neg_hi:[0,0,1]
	s_delay_alu instid0(VALU_DEP_4) | instskip(NEXT) | instid1(VALU_DEP_4)
	v_mov_b32_e32 v71, v73
	v_pk_fma_f32 v[72:73], v[96:97], v[80:81], v[68:69] op_sel_hi:[1,0,1]
	s_delay_alu instid0(VALU_DEP_4) | instskip(SKIP_1) | instid1(VALU_DEP_3)
	v_pk_add_f32 v[66:67], v[66:67], v[76:77]
	v_pk_fma_f32 v[68:69], v[96:97], v[80:81], v[68:69] neg_lo:[0,0,1] neg_hi:[0,0,1]
	v_mov_b32_e32 v69, v73
	s_delay_alu instid0(VALU_DEP_3) | instskip(NEXT) | instid1(VALU_DEP_1)
	v_pk_add_f32 v[66:67], v[66:67], v[70:71]
	v_pk_add_f32 v[66:67], v[66:67], v[68:69]
	s_wait_loadcnt 0x0
	s_delay_alu instid0(VALU_DEP_1)
	v_pk_add_f32 v[66:67], v[98:99], v[66:67] neg_lo:[0,1] neg_hi:[0,1]
	scratch_store_b64 off, v[66:67], off offset:184
	s_wait_xcnt 0x0
	v_cmpx_lt_u32_e32 22, v0
	s_cbranch_execz .LBB31_161
; %bb.160:
	scratch_load_b64 v[66:67], off, off offset:176
	v_mov_b64_e32 v[68:69], 0
	scratch_store_b64 off, v[68:69], off offset:176
	s_wait_loadcnt 0x0
	ds_store_b64 v1, v[66:67]
.LBB31_161:
	s_wait_xcnt 0x0
	s_or_b32 exec_lo, exec_lo, s0
	s_wait_storecnt_dscnt 0x0
	s_barrier_signal -1
	s_barrier_wait -1
	s_clause 0x5
	scratch_load_b128 v[66:69], off, off offset:184
	scratch_load_b128 v[70:73], off, off offset:200
	;; [unrolled: 1-line block ×4, first 2 shown]
	scratch_load_b64 v[98:99], off, off offset:248
	scratch_load_b64 v[100:101], off, off offset:176
	v_mov_b32_e32 v3, 0
	ds_load_2addr_b64 v[82:85], v3 offset0:55 offset1:56
	ds_load_2addr_b64 v[86:89], v3 offset0:57 offset1:58
	;; [unrolled: 1-line block ×4, first 2 shown]
	ds_load_b64 v[102:103], v3 offset:504
	s_mov_b32 s0, exec_lo
	s_wait_dscnt 0x4
	v_dual_mov_b32 v104, v85 :: v_dual_mov_b32 v105, v84
	s_wait_dscnt 0x1
	v_dual_mov_b32 v106, v89 :: v_dual_mov_b32 v111, v96
	v_dual_mov_b32 v107, v88 :: v_dual_mov_b32 v108, v93
	;; [unrolled: 1-line block ×3, first 2 shown]
	s_wait_loadcnt 0x5
	v_dual_mov_b32 v112, v69 :: v_dual_mul_f32 v113, v82, v67
	v_mul_f32_e32 v7, v83, v67
	s_wait_loadcnt 0x4
	v_pk_mul_f32 v[114:115], v[86:87], v[70:71] op_sel:[1,1] op_sel_hi:[0,1]
	v_mov_b32_e32 v116, v73
	s_wait_loadcnt 0x3
	v_pk_mul_f32 v[118:119], v[90:91], v[74:75] op_sel:[1,1] op_sel_hi:[0,1]
	v_pk_mul_f32 v[104:105], v[104:105], v[112:113] op_sel_hi:[1,0]
	v_dual_fmac_f32 v113, v83, v66 :: v_dual_fma_f32 v112, v82, v66, -v7
	v_mov_b32_e32 v66, v77
	v_pk_fma_f32 v[120:121], v[86:87], v[70:71], v[114:115] op_sel_hi:[1,0,1]
	s_delay_alu instid0(VALU_DEP_4)
	v_pk_fma_f32 v[82:83], v[84:85], v[68:69], v[104:105] op_sel_hi:[1,0,1]
	v_pk_fma_f32 v[68:69], v[84:85], v[68:69], v[104:105] neg_lo:[0,0,1] neg_hi:[0,0,1]
	v_pk_mul_f32 v[106:107], v[106:107], v[116:117] op_sel_hi:[1,0]
	v_pk_add_f32 v[112:113], v[112:113], 0 op_sel_hi:[1,0]
	v_pk_fma_f32 v[70:71], v[86:87], v[70:71], v[114:115] neg_lo:[0,0,1] neg_hi:[0,0,1]
	v_dual_mov_b32 v69, v83 :: v_dual_mov_b32 v71, v121
	s_delay_alu instid0(VALU_DEP_4) | instskip(SKIP_2) | instid1(VALU_DEP_4)
	v_pk_fma_f32 v[84:85], v[88:89], v[72:73], v[106:107] op_sel_hi:[1,0,1]
	v_pk_fma_f32 v[72:73], v[88:89], v[72:73], v[106:107] neg_lo:[0,0,1] neg_hi:[0,0,1]
	v_pk_fma_f32 v[86:87], v[90:91], v[74:75], v[118:119] op_sel_hi:[1,0,1]
	v_pk_add_f32 v[68:69], v[112:113], v[68:69]
	v_pk_mul_f32 v[66:67], v[108:109], v[66:67] op_sel_hi:[1,0]
	v_mov_b32_e32 v73, v85
	v_pk_fma_f32 v[74:75], v[90:91], v[74:75], v[118:119] neg_lo:[0,0,1] neg_hi:[0,0,1]
	s_wait_loadcnt 0x2
	v_pk_mul_f32 v[82:83], v[94:95], v[78:79] op_sel:[1,1] op_sel_hi:[0,1]
	v_pk_add_f32 v[68:69], v[68:69], v[70:71]
	v_mov_b32_e32 v70, v81
	v_pk_fma_f32 v[84:85], v[92:93], v[76:77], v[66:67] op_sel_hi:[1,0,1]
	v_mov_b32_e32 v75, v87
	v_pk_fma_f32 v[66:67], v[92:93], v[76:77], v[66:67] neg_lo:[0,0,1] neg_hi:[0,0,1]
	v_pk_add_f32 v[68:69], v[68:69], v[72:73]
	v_pk_fma_f32 v[72:73], v[94:95], v[78:79], v[82:83] op_sel_hi:[1,0,1]
	v_pk_mul_f32 v[70:71], v[110:111], v[70:71] op_sel_hi:[1,0]
	v_mov_b32_e32 v67, v85
	s_delay_alu instid0(VALU_DEP_4)
	v_pk_add_f32 v[68:69], v[68:69], v[74:75]
	v_pk_fma_f32 v[74:75], v[94:95], v[78:79], v[82:83] neg_lo:[0,0,1] neg_hi:[0,0,1]
	v_mov_b32_e32 v75, v73
	v_pk_fma_f32 v[72:73], v[96:97], v[80:81], v[70:71] op_sel_hi:[1,0,1]
	v_pk_fma_f32 v[70:71], v[96:97], v[80:81], v[70:71] neg_lo:[0,0,1] neg_hi:[0,0,1]
	v_pk_add_f32 v[66:67], v[68:69], v[66:67]
	s_wait_loadcnt_dscnt 0x100
	v_pk_mul_f32 v[68:69], v[102:103], v[98:99] op_sel:[1,1] op_sel_hi:[0,1]
	v_mov_b32_e32 v71, v73
	s_delay_alu instid0(VALU_DEP_3) | instskip(NEXT) | instid1(VALU_DEP_3)
	v_pk_add_f32 v[66:67], v[66:67], v[74:75]
	v_pk_fma_f32 v[72:73], v[102:103], v[98:99], v[68:69] op_sel_hi:[1,0,1]
	v_pk_fma_f32 v[68:69], v[102:103], v[98:99], v[68:69] neg_lo:[0,0,1] neg_hi:[0,0,1]
	s_delay_alu instid0(VALU_DEP_3) | instskip(NEXT) | instid1(VALU_DEP_3)
	v_pk_add_f32 v[66:67], v[66:67], v[70:71]
	v_mov_b32_e32 v69, v73
	s_delay_alu instid0(VALU_DEP_1) | instskip(SKIP_1) | instid1(VALU_DEP_1)
	v_pk_add_f32 v[66:67], v[66:67], v[68:69]
	s_wait_loadcnt 0x0
	v_pk_add_f32 v[66:67], v[100:101], v[66:67] neg_lo:[0,1] neg_hi:[0,1]
	scratch_store_b64 off, v[66:67], off offset:176
	s_wait_xcnt 0x0
	v_cmpx_lt_u32_e32 21, v0
	s_cbranch_execz .LBB31_163
; %bb.162:
	scratch_load_b64 v[66:67], off, off offset:168
	v_mov_b64_e32 v[68:69], 0
	scratch_store_b64 off, v[68:69], off offset:168
	s_wait_loadcnt 0x0
	ds_store_b64 v1, v[66:67]
.LBB31_163:
	s_wait_xcnt 0x0
	s_or_b32 exec_lo, exec_lo, s0
	s_wait_storecnt_dscnt 0x0
	s_barrier_signal -1
	s_barrier_wait -1
	s_clause 0x5
	scratch_load_b128 v[66:69], off, off offset:176
	scratch_load_b128 v[70:73], off, off offset:192
	scratch_load_b128 v[74:77], off, off offset:208
	scratch_load_b128 v[78:81], off, off offset:224
	scratch_load_b128 v[82:85], off, off offset:240
	scratch_load_b64 v[106:107], off, off offset:168
	ds_load_b128 v[86:89], v3 offset:448
	ds_load_b128 v[90:93], v3 offset:464
	;; [unrolled: 1-line block ×5, first 2 shown]
	s_mov_b32 s0, exec_lo
	s_wait_dscnt 0x4
	v_dual_mov_b32 v108, v89 :: v_dual_mov_b32 v109, v88
	s_wait_dscnt 0x3
	v_dual_mov_b32 v110, v93 :: v_dual_mov_b32 v111, v92
	;; [unrolled: 2-line block ×4, first 2 shown]
	s_wait_loadcnt_dscnt 0x500
	v_dual_mul_f32 v117, v102, v67 :: v_dual_mul_f32 v119, v104, v69
	v_dual_mul_f32 v3, v103, v67 :: v_dual_mul_f32 v7, v105, v69
	s_wait_loadcnt 0x4
	v_pk_mul_f32 v[120:121], v[86:87], v[70:71] op_sel:[1,1] op_sel_hi:[0,1]
	s_wait_loadcnt 0x3
	v_dual_mov_b32 v122, v73 :: v_dual_mov_b32 v126, v77
	v_dual_fmac_f32 v117, v103, v66 :: v_dual_fma_f32 v116, v102, v66, -v3
	v_fma_f32 v118, v104, v68, -v7
	v_pk_fma_f32 v[66:67], v[86:87], v[70:71], v[120:121] op_sel_hi:[1,0,1]
	v_fmac_f32_e32 v119, v105, v68
	v_pk_mul_f32 v[68:69], v[108:109], v[122:123] op_sel_hi:[1,0]
	v_pk_fma_f32 v[70:71], v[86:87], v[70:71], v[120:121] neg_lo:[0,0,1] neg_hi:[0,0,1]
	v_pk_add_f32 v[102:103], v[116:117], 0 op_sel_hi:[1,0]
	v_mov_b32_e32 v71, v67
	v_pk_mul_f32 v[124:125], v[90:91], v[74:75] op_sel:[1,1] op_sel_hi:[0,1]
	v_pk_fma_f32 v[66:67], v[88:89], v[72:73], v[68:69] op_sel_hi:[1,0,1]
	v_pk_fma_f32 v[68:69], v[88:89], v[72:73], v[68:69] neg_lo:[0,0,1] neg_hi:[0,0,1]
	v_pk_mul_f32 v[108:109], v[110:111], v[126:127] op_sel_hi:[1,0]
	s_wait_loadcnt 0x2
	v_pk_mul_f32 v[104:105], v[94:95], v[78:79] op_sel:[1,1] op_sel_hi:[0,1]
	v_pk_fma_f32 v[72:73], v[90:91], v[74:75], v[124:125] neg_lo:[0,0,1] neg_hi:[0,0,1]
	v_mov_b32_e32 v69, v67
	v_pk_add_f32 v[86:87], v[102:103], v[118:119]
	v_pk_fma_f32 v[102:103], v[90:91], v[74:75], v[124:125] op_sel_hi:[1,0,1]
	v_pk_fma_f32 v[74:75], v[92:93], v[76:77], v[108:109] op_sel_hi:[1,0,1]
	v_pk_fma_f32 v[76:77], v[92:93], v[76:77], v[108:109] neg_lo:[0,0,1] neg_hi:[0,0,1]
	s_delay_alu instid0(VALU_DEP_4) | instskip(NEXT) | instid1(VALU_DEP_4)
	v_pk_add_f32 v[66:67], v[86:87], v[70:71]
	v_dual_mov_b32 v70, v81 :: v_dual_mov_b32 v73, v103
	s_delay_alu instid0(VALU_DEP_2) | instskip(SKIP_1) | instid1(VALU_DEP_3)
	v_pk_add_f32 v[66:67], v[66:67], v[68:69]
	v_pk_fma_f32 v[68:69], v[94:95], v[78:79], v[104:105] op_sel_hi:[1,0,1]
	v_pk_mul_f32 v[70:71], v[112:113], v[70:71] op_sel_hi:[1,0]
	v_mov_b32_e32 v77, v75
	v_pk_fma_f32 v[74:75], v[94:95], v[78:79], v[104:105] neg_lo:[0,0,1] neg_hi:[0,0,1]
	v_pk_add_f32 v[66:67], v[66:67], v[72:73]
	v_mov_b32_e32 v75, v69
	v_pk_fma_f32 v[68:69], v[96:97], v[80:81], v[70:71] op_sel_hi:[1,0,1]
	s_wait_loadcnt 0x1
	v_pk_mul_f32 v[72:73], v[98:99], v[82:83] op_sel:[1,1] op_sel_hi:[0,1]
	v_mov_b32_e32 v68, v85
	v_pk_add_f32 v[66:67], v[66:67], v[76:77]
	v_pk_fma_f32 v[70:71], v[96:97], v[80:81], v[70:71] neg_lo:[0,0,1] neg_hi:[0,0,1]
	v_mov_b32_e32 v71, v69
	v_pk_fma_f32 v[76:77], v[98:99], v[82:83], v[72:73] op_sel_hi:[1,0,1]
	v_pk_mul_f32 v[68:69], v[114:115], v[68:69] op_sel_hi:[1,0]
	v_pk_add_f32 v[66:67], v[66:67], v[74:75]
	v_pk_fma_f32 v[72:73], v[98:99], v[82:83], v[72:73] neg_lo:[0,0,1] neg_hi:[0,0,1]
	s_delay_alu instid0(VALU_DEP_2) | instskip(NEXT) | instid1(VALU_DEP_4)
	v_pk_add_f32 v[66:67], v[66:67], v[70:71]
	v_pk_fma_f32 v[70:71], v[100:101], v[84:85], v[68:69] op_sel_hi:[1,0,1]
	v_mov_b32_e32 v73, v77
	v_pk_fma_f32 v[68:69], v[100:101], v[84:85], v[68:69] neg_lo:[0,0,1] neg_hi:[0,0,1]
	s_delay_alu instid0(VALU_DEP_3) | instskip(NEXT) | instid1(VALU_DEP_3)
	v_mov_b32_e32 v69, v71
	v_pk_add_f32 v[66:67], v[66:67], v[72:73]
	s_delay_alu instid0(VALU_DEP_1) | instskip(SKIP_1) | instid1(VALU_DEP_1)
	v_pk_add_f32 v[66:67], v[66:67], v[68:69]
	s_wait_loadcnt 0x0
	v_pk_add_f32 v[66:67], v[106:107], v[66:67] neg_lo:[0,1] neg_hi:[0,1]
	scratch_store_b64 off, v[66:67], off offset:168
	s_wait_xcnt 0x0
	v_cmpx_lt_u32_e32 20, v0
	s_cbranch_execz .LBB31_165
; %bb.164:
	scratch_load_b64 v[66:67], off, off offset:160
	v_mov_b64_e32 v[68:69], 0
	scratch_store_b64 off, v[68:69], off offset:160
	s_wait_loadcnt 0x0
	ds_store_b64 v1, v[66:67]
.LBB31_165:
	s_wait_xcnt 0x0
	s_or_b32 exec_lo, exec_lo, s0
	s_wait_storecnt_dscnt 0x0
	s_barrier_signal -1
	s_barrier_wait -1
	s_clause 0x6
	scratch_load_b128 v[66:69], off, off offset:168
	scratch_load_b128 v[70:73], off, off offset:184
	;; [unrolled: 1-line block ×5, first 2 shown]
	scratch_load_b64 v[106:107], off, off offset:248
	scratch_load_b64 v[108:109], off, off offset:160
	v_mov_b32_e32 v3, 0
	ds_load_2addr_b64 v[86:89], v3 offset0:55 offset1:56
	ds_load_2addr_b64 v[90:93], v3 offset0:57 offset1:58
	;; [unrolled: 1-line block ×5, first 2 shown]
	ds_load_b64 v[110:111], v3 offset:504
	s_mov_b32 s0, exec_lo
	s_wait_dscnt 0x5
	v_dual_mov_b32 v112, v89 :: v_dual_mov_b32 v113, v88
	s_wait_dscnt 0x2
	v_dual_mov_b32 v114, v93 :: v_dual_mov_b32 v119, v100
	v_dual_mov_b32 v115, v92 :: v_dual_mov_b32 v116, v97
	;; [unrolled: 1-line block ×3, first 2 shown]
	s_wait_loadcnt_dscnt 0x601
	v_dual_mul_f32 v7, v102, v67 :: v_dual_mul_f32 v11, v103, v67
	v_dual_mul_f32 v13, v105, v69 :: v_dual_mul_f32 v121, v104, v69
	s_wait_loadcnt 0x5
	v_dual_mul_f32 v123, v86, v71 :: v_dual_mul_f32 v15, v87, v71
	s_wait_loadcnt 0x4
	v_dual_mov_b32 v122, v73 :: v_dual_mov_b32 v126, v77
	v_fmac_f32_e32 v7, v103, v66
	v_dual_fma_f32 v11, v102, v66, -v11 :: v_dual_fmac_f32 v121, v105, v68
	v_pk_mul_f32 v[124:125], v[90:91], v[74:75] op_sel:[1,1] op_sel_hi:[0,1]
	s_delay_alu instid0(VALU_DEP_3)
	v_dual_fma_f32 v120, v104, v68, -v13 :: v_dual_add_f32 v69, 0, v7
	v_pk_mul_f32 v[66:67], v[112:113], v[122:123] op_sel_hi:[1,0]
	s_wait_loadcnt 0x3
	v_dual_add_f32 v68, 0, v11 :: v_dual_mov_b32 v102, v81
	v_fmac_f32_e32 v123, v87, v70
	v_fma_f32 v122, v86, v70, -v15
	v_pk_fma_f32 v[70:71], v[88:89], v[72:73], v[66:67] op_sel_hi:[1,0,1]
	s_delay_alu instid0(VALU_DEP_4) | instskip(SKIP_4) | instid1(VALU_DEP_4)
	v_pk_add_f32 v[68:69], v[68:69], v[120:121]
	v_pk_fma_f32 v[86:87], v[90:91], v[74:75], v[124:125] op_sel_hi:[1,0,1]
	v_pk_fma_f32 v[66:67], v[88:89], v[72:73], v[66:67] neg_lo:[0,0,1] neg_hi:[0,0,1]
	v_pk_fma_f32 v[72:73], v[90:91], v[74:75], v[124:125] neg_lo:[0,0,1] neg_hi:[0,0,1]
	v_pk_mul_f32 v[104:105], v[114:115], v[126:127] op_sel_hi:[1,0]
	v_dual_mov_b32 v67, v71 :: v_dual_mov_b32 v73, v87
	v_pk_add_f32 v[68:69], v[68:69], v[122:123]
	v_pk_mul_f32 v[128:129], v[94:95], v[78:79] op_sel:[1,1] op_sel_hi:[0,1]
	s_delay_alu instid0(VALU_DEP_4)
	v_pk_fma_f32 v[74:75], v[92:93], v[76:77], v[104:105] op_sel_hi:[1,0,1]
	v_pk_fma_f32 v[76:77], v[92:93], v[76:77], v[104:105] neg_lo:[0,0,1] neg_hi:[0,0,1]
	v_pk_mul_f32 v[86:87], v[116:117], v[102:103] op_sel_hi:[1,0]
	v_pk_add_f32 v[66:67], v[68:69], v[66:67]
	v_pk_fma_f32 v[68:69], v[94:95], v[78:79], v[128:129] op_sel_hi:[1,0,1]
	s_wait_loadcnt 0x2
	v_dual_mov_b32 v77, v75 :: v_dual_mov_b32 v68, v85
	v_pk_mul_f32 v[70:71], v[98:99], v[82:83] op_sel:[1,1] op_sel_hi:[0,1]
	v_pk_add_f32 v[66:67], v[66:67], v[72:73]
	v_pk_fma_f32 v[72:73], v[94:95], v[78:79], v[128:129] neg_lo:[0,0,1] neg_hi:[0,0,1]
	v_pk_fma_f32 v[74:75], v[96:97], v[80:81], v[86:87] op_sel_hi:[1,0,1]
	v_mov_b32_e32 v73, v69
	v_pk_fma_f32 v[78:79], v[96:97], v[80:81], v[86:87] neg_lo:[0,0,1] neg_hi:[0,0,1]
	v_pk_add_f32 v[66:67], v[66:67], v[76:77]
	v_pk_fma_f32 v[76:77], v[98:99], v[82:83], v[70:71] op_sel_hi:[1,0,1]
	v_pk_mul_f32 v[68:69], v[118:119], v[68:69] op_sel_hi:[1,0]
	v_mov_b32_e32 v79, v75
	v_pk_fma_f32 v[70:71], v[98:99], v[82:83], v[70:71] neg_lo:[0,0,1] neg_hi:[0,0,1]
	v_pk_add_f32 v[66:67], v[66:67], v[72:73]
	s_wait_loadcnt_dscnt 0x100
	v_pk_mul_f32 v[74:75], v[110:111], v[106:107] op_sel:[1,1] op_sel_hi:[0,1]
	v_pk_fma_f32 v[72:73], v[100:101], v[84:85], v[68:69] op_sel_hi:[1,0,1]
	v_mov_b32_e32 v71, v77
	v_pk_fma_f32 v[68:69], v[100:101], v[84:85], v[68:69] neg_lo:[0,0,1] neg_hi:[0,0,1]
	v_pk_add_f32 v[66:67], v[66:67], v[78:79]
	s_delay_alu instid0(VALU_DEP_4) | instskip(SKIP_1) | instid1(VALU_DEP_3)
	v_mov_b32_e32 v69, v73
	v_pk_fma_f32 v[72:73], v[110:111], v[106:107], v[74:75] neg_lo:[0,0,1] neg_hi:[0,0,1]
	v_pk_add_f32 v[66:67], v[66:67], v[70:71]
	v_pk_fma_f32 v[70:71], v[110:111], v[106:107], v[74:75] op_sel_hi:[1,0,1]
	s_delay_alu instid0(VALU_DEP_2) | instskip(NEXT) | instid1(VALU_DEP_2)
	v_pk_add_f32 v[66:67], v[66:67], v[68:69]
	v_mov_b32_e32 v73, v71
	s_delay_alu instid0(VALU_DEP_1) | instskip(SKIP_1) | instid1(VALU_DEP_1)
	v_pk_add_f32 v[66:67], v[66:67], v[72:73]
	s_wait_loadcnt 0x0
	v_pk_add_f32 v[66:67], v[108:109], v[66:67] neg_lo:[0,1] neg_hi:[0,1]
	scratch_store_b64 off, v[66:67], off offset:160
	s_wait_xcnt 0x0
	v_cmpx_lt_u32_e32 19, v0
	s_cbranch_execz .LBB31_167
; %bb.166:
	scratch_load_b64 v[66:67], off, off offset:152
	v_mov_b64_e32 v[68:69], 0
	scratch_store_b64 off, v[68:69], off offset:152
	s_wait_loadcnt 0x0
	ds_store_b64 v1, v[66:67]
.LBB31_167:
	s_wait_xcnt 0x0
	s_or_b32 exec_lo, exec_lo, s0
	s_wait_storecnt_dscnt 0x0
	s_barrier_signal -1
	s_barrier_wait -1
	s_clause 0x6
	scratch_load_b128 v[66:69], off, off offset:160
	scratch_load_b128 v[70:73], off, off offset:176
	scratch_load_b128 v[74:77], off, off offset:192
	scratch_load_b128 v[78:81], off, off offset:208
	scratch_load_b128 v[82:85], off, off offset:224
	scratch_load_b128 v[86:89], off, off offset:240
	scratch_load_b64 v[114:115], off, off offset:152
	ds_load_b128 v[90:93], v3 offset:448
	ds_load_b128 v[94:97], v3 offset:464
	;; [unrolled: 1-line block ×6, first 2 shown]
	s_mov_b32 s0, exec_lo
	s_wait_dscnt 0x5
	v_dual_mov_b32 v116, v93 :: v_dual_mov_b32 v117, v92
	s_wait_dscnt 0x4
	v_dual_mov_b32 v118, v97 :: v_dual_mov_b32 v119, v96
	;; [unrolled: 2-line block ×4, first 2 shown]
	s_wait_loadcnt_dscnt 0x601
	v_dual_mul_f32 v3, v106, v67 :: v_dual_mul_f32 v7, v108, v69
	v_dual_mul_f32 v11, v107, v67 :: v_dual_mul_f32 v13, v109, v69
	s_wait_loadcnt 0x4
	s_delay_alu instid0(VALU_DEP_2)
	v_dual_mov_b32 v130, v77 :: v_dual_fmac_f32 v3, v107, v66
	s_wait_dscnt 0x0
	v_dual_mul_f32 v125, v110, v71 :: v_dual_mul_f32 v127, v112, v73
	v_dual_fma_f32 v11, v106, v66, -v11 :: v_dual_fma_f32 v13, v108, v68, -v13
	v_dual_mul_f32 v15, v111, v71 :: v_dual_mul_f32 v17, v113, v73
	v_dual_fmac_f32 v7, v109, v68 :: v_dual_add_f32 v3, 0, v3
	s_wait_loadcnt 0x3
	s_delay_alu instid0(VALU_DEP_3) | instskip(SKIP_3) | instid1(VALU_DEP_4)
	v_dual_add_f32 v11, 0, v11 :: v_dual_mov_b32 v68, v81
	v_pk_mul_f32 v[128:129], v[90:91], v[74:75] op_sel:[1,1] op_sel_hi:[0,1]
	v_dual_fmac_f32 v125, v111, v70 :: v_dual_fma_f32 v124, v110, v70, -v15
	v_dual_add_f32 v71, v3, v7 :: v_dual_fmac_f32 v127, v113, v72
	v_dual_add_f32 v70, v11, v13 :: v_dual_fma_f32 v126, v112, v72, -v17
	s_delay_alu instid0(VALU_DEP_4) | instskip(SKIP_2) | instid1(VALU_DEP_4)
	v_pk_fma_f32 v[72:73], v[90:91], v[74:75], v[128:129] op_sel_hi:[1,0,1]
	v_pk_mul_f32 v[106:107], v[116:117], v[130:131] op_sel_hi:[1,0]
	v_pk_fma_f32 v[74:75], v[90:91], v[74:75], v[128:129] neg_lo:[0,0,1] neg_hi:[0,0,1]
	v_pk_add_f32 v[70:71], v[70:71], v[124:125]
	v_pk_mul_f32 v[66:67], v[94:95], v[78:79] op_sel:[1,1] op_sel_hi:[0,1]
	v_mov_b32_e32 v75, v73
	v_pk_fma_f32 v[72:73], v[92:93], v[76:77], v[106:107] op_sel_hi:[1,0,1]
	v_pk_fma_f32 v[76:77], v[92:93], v[76:77], v[106:107] neg_lo:[0,0,1] neg_hi:[0,0,1]
	v_pk_add_f32 v[70:71], v[70:71], v[126:127]
	v_pk_fma_f32 v[90:91], v[94:95], v[78:79], v[66:67] op_sel_hi:[1,0,1]
	v_pk_mul_f32 v[68:69], v[118:119], v[68:69] op_sel_hi:[1,0]
	v_mov_b32_e32 v77, v73
	v_pk_fma_f32 v[66:67], v[94:95], v[78:79], v[66:67] neg_lo:[0,0,1] neg_hi:[0,0,1]
	v_pk_add_f32 v[70:71], v[70:71], v[74:75]
	s_wait_loadcnt 0x2
	v_pk_mul_f32 v[108:109], v[98:99], v[82:83] op_sel:[1,1] op_sel_hi:[0,1]
	v_dual_mov_b32 v72, v85 :: v_dual_mov_b32 v67, v91
	v_pk_fma_f32 v[74:75], v[96:97], v[80:81], v[68:69] op_sel_hi:[1,0,1]
	v_pk_add_f32 v[70:71], v[70:71], v[76:77]
	v_pk_fma_f32 v[68:69], v[96:97], v[80:81], v[68:69] neg_lo:[0,0,1] neg_hi:[0,0,1]
	v_pk_fma_f32 v[76:77], v[98:99], v[82:83], v[108:109] op_sel_hi:[1,0,1]
	v_pk_mul_f32 v[72:73], v[120:121], v[72:73] op_sel_hi:[1,0]
	v_mov_b32_e32 v69, v75
	v_pk_add_f32 v[66:67], v[70:71], v[66:67]
	v_pk_fma_f32 v[74:75], v[98:99], v[82:83], v[108:109] neg_lo:[0,0,1] neg_hi:[0,0,1]
	s_wait_loadcnt 0x1
	v_pk_mul_f32 v[70:71], v[102:103], v[86:87] op_sel:[1,1] op_sel_hi:[0,1]
	v_mov_b32_e32 v75, v77
	v_pk_fma_f32 v[76:77], v[100:101], v[84:85], v[72:73] op_sel_hi:[1,0,1]
	v_pk_add_f32 v[66:67], v[66:67], v[68:69]
	v_mov_b32_e32 v68, v89
	v_pk_fma_f32 v[72:73], v[100:101], v[84:85], v[72:73] neg_lo:[0,0,1] neg_hi:[0,0,1]
	v_pk_fma_f32 v[78:79], v[102:103], v[86:87], v[70:71] op_sel_hi:[1,0,1]
	v_mov_b32_e32 v73, v77
	v_pk_add_f32 v[66:67], v[66:67], v[74:75]
	v_pk_mul_f32 v[68:69], v[122:123], v[68:69] op_sel_hi:[1,0]
	v_pk_fma_f32 v[70:71], v[102:103], v[86:87], v[70:71] neg_lo:[0,0,1] neg_hi:[0,0,1]
	s_delay_alu instid0(VALU_DEP_3) | instskip(NEXT) | instid1(VALU_DEP_3)
	v_pk_add_f32 v[66:67], v[66:67], v[72:73]
	v_pk_fma_f32 v[72:73], v[104:105], v[88:89], v[68:69] op_sel_hi:[1,0,1]
	v_mov_b32_e32 v71, v79
	v_pk_fma_f32 v[68:69], v[104:105], v[88:89], v[68:69] neg_lo:[0,0,1] neg_hi:[0,0,1]
	s_delay_alu instid0(VALU_DEP_3) | instskip(NEXT) | instid1(VALU_DEP_3)
	v_mov_b32_e32 v69, v73
	v_pk_add_f32 v[66:67], v[66:67], v[70:71]
	s_delay_alu instid0(VALU_DEP_1) | instskip(SKIP_1) | instid1(VALU_DEP_1)
	v_pk_add_f32 v[66:67], v[66:67], v[68:69]
	s_wait_loadcnt 0x0
	v_pk_add_f32 v[66:67], v[114:115], v[66:67] neg_lo:[0,1] neg_hi:[0,1]
	scratch_store_b64 off, v[66:67], off offset:152
	s_wait_xcnt 0x0
	v_cmpx_lt_u32_e32 18, v0
	s_cbranch_execz .LBB31_169
; %bb.168:
	scratch_load_b64 v[66:67], off, off offset:144
	v_mov_b64_e32 v[68:69], 0
	scratch_store_b64 off, v[68:69], off offset:144
	s_wait_loadcnt 0x0
	ds_store_b64 v1, v[66:67]
.LBB31_169:
	s_wait_xcnt 0x0
	s_or_b32 exec_lo, exec_lo, s0
	s_wait_storecnt_dscnt 0x0
	s_barrier_signal -1
	s_barrier_wait -1
	s_clause 0x7
	scratch_load_b128 v[66:69], off, off offset:152
	scratch_load_b128 v[70:73], off, off offset:168
	;; [unrolled: 1-line block ×6, first 2 shown]
	scratch_load_b64 v[114:115], off, off offset:248
	scratch_load_b64 v[116:117], off, off offset:144
	v_mov_b32_e32 v3, 0
	ds_load_2addr_b64 v[90:93], v3 offset0:55 offset1:56
	ds_load_2addr_b64 v[94:97], v3 offset0:57 offset1:58
	;; [unrolled: 1-line block ×6, first 2 shown]
	ds_load_b64 v[118:119], v3 offset:504
	s_mov_b32 s0, exec_lo
	s_wait_dscnt 0x6
	v_dual_mov_b32 v120, v93 :: v_dual_mov_b32 v121, v92
	s_wait_dscnt 0x3
	v_dual_mov_b32 v122, v97 :: v_dual_mov_b32 v127, v104
	v_dual_mov_b32 v123, v96 :: v_dual_mov_b32 v124, v101
	;; [unrolled: 1-line block ×3, first 2 shown]
	s_wait_loadcnt_dscnt 0x702
	v_dual_mul_f32 v7, v106, v67 :: v_dual_mul_f32 v15, v107, v67
	v_dual_mul_f32 v17, v109, v69 :: v_dual_mul_f32 v11, v108, v69
	s_wait_loadcnt_dscnt 0x601
	s_delay_alu instid0(VALU_DEP_2) | instskip(NEXT) | instid1(VALU_DEP_2)
	v_dual_mul_f32 v13, v110, v71 :: v_dual_fmac_f32 v7, v107, v66
	v_dual_fma_f32 v15, v106, v66, -v15 :: v_dual_fma_f32 v17, v108, v68, -v17
	v_dual_mul_f32 v19, v111, v71 :: v_dual_mul_f32 v21, v113, v73
	s_wait_loadcnt 0x4
	v_mov_b32_e32 v66, v81
	v_dual_fmac_f32 v11, v109, v68 :: v_dual_add_f32 v7, 0, v7
	v_dual_add_f32 v15, 0, v15 :: v_dual_fmac_f32 v13, v111, v70
	v_dual_mul_f32 v129, v112, v73 :: v_dual_mul_f32 v131, v90, v75
	v_dual_mul_f32 v23, v91, v75 :: v_dual_mov_b32 v130, v77
	s_delay_alu instid0(VALU_DEP_4) | instskip(NEXT) | instid1(VALU_DEP_3)
	v_dual_fma_f32 v19, v110, v70, -v19 :: v_dual_add_f32 v7, v7, v11
	v_dual_add_f32 v11, v15, v17 :: v_dual_fmac_f32 v129, v113, v72
	v_pk_mul_f32 v[132:133], v[94:95], v[78:79] op_sel:[1,1] op_sel_hi:[0,1]
	s_delay_alu instid0(VALU_DEP_3)
	v_dual_fma_f32 v128, v112, v72, -v21 :: v_dual_add_f32 v73, v7, v13
	v_pk_mul_f32 v[70:71], v[120:121], v[130:131] op_sel_hi:[1,0]
	s_wait_loadcnt 0x3
	v_dual_add_f32 v72, v11, v19 :: v_dual_mov_b32 v106, v85
	v_fmac_f32_e32 v131, v91, v74
	v_fma_f32 v130, v90, v74, -v23
	v_pk_fma_f32 v[74:75], v[92:93], v[76:77], v[70:71] op_sel_hi:[1,0,1]
	s_delay_alu instid0(VALU_DEP_4) | instskip(SKIP_4) | instid1(VALU_DEP_4)
	v_pk_add_f32 v[72:73], v[72:73], v[128:129]
	v_pk_fma_f32 v[90:91], v[94:95], v[78:79], v[132:133] op_sel_hi:[1,0,1]
	v_pk_fma_f32 v[70:71], v[92:93], v[76:77], v[70:71] neg_lo:[0,0,1] neg_hi:[0,0,1]
	v_pk_fma_f32 v[76:77], v[94:95], v[78:79], v[132:133] neg_lo:[0,0,1] neg_hi:[0,0,1]
	v_pk_mul_f32 v[66:67], v[122:123], v[66:67] op_sel_hi:[1,0]
	v_dual_mov_b32 v71, v75 :: v_dual_mov_b32 v77, v91
	v_pk_add_f32 v[72:73], v[72:73], v[130:131]
	v_pk_mul_f32 v[68:69], v[98:99], v[82:83] op_sel:[1,1] op_sel_hi:[0,1]
	s_delay_alu instid0(VALU_DEP_4)
	v_pk_fma_f32 v[78:79], v[96:97], v[80:81], v[66:67] op_sel_hi:[1,0,1]
	v_pk_fma_f32 v[66:67], v[96:97], v[80:81], v[66:67] neg_lo:[0,0,1] neg_hi:[0,0,1]
	v_pk_mul_f32 v[90:91], v[124:125], v[106:107] op_sel_hi:[1,0]
	v_pk_add_f32 v[70:71], v[72:73], v[70:71]
	v_pk_fma_f32 v[72:73], v[98:99], v[82:83], v[68:69] op_sel_hi:[1,0,1]
	s_wait_loadcnt 0x2
	v_dual_mov_b32 v67, v79 :: v_dual_mov_b32 v72, v89
	v_pk_fma_f32 v[68:69], v[98:99], v[82:83], v[68:69] neg_lo:[0,0,1] neg_hi:[0,0,1]
	v_pk_add_f32 v[70:71], v[70:71], v[76:77]
	v_pk_mul_f32 v[74:75], v[102:103], v[86:87] op_sel:[1,1] op_sel_hi:[0,1]
	v_pk_fma_f32 v[76:77], v[100:101], v[84:85], v[90:91] op_sel_hi:[1,0,1]
	v_mov_b32_e32 v69, v73
	v_pk_fma_f32 v[78:79], v[100:101], v[84:85], v[90:91] neg_lo:[0,0,1] neg_hi:[0,0,1]
	v_pk_add_f32 v[66:67], v[70:71], v[66:67]
	v_pk_fma_f32 v[70:71], v[102:103], v[86:87], v[74:75] op_sel_hi:[1,0,1]
	v_pk_mul_f32 v[72:73], v[126:127], v[72:73] op_sel_hi:[1,0]
	v_mov_b32_e32 v79, v77
	s_delay_alu instid0(VALU_DEP_4)
	v_pk_add_f32 v[66:67], v[66:67], v[68:69]
	v_pk_fma_f32 v[68:69], v[102:103], v[86:87], v[74:75] neg_lo:[0,0,1] neg_hi:[0,0,1]
	v_mov_b32_e32 v69, v71
	v_pk_fma_f32 v[70:71], v[104:105], v[88:89], v[72:73] op_sel_hi:[1,0,1]
	s_wait_loadcnt_dscnt 0x100
	v_pk_mul_f32 v[74:75], v[118:119], v[114:115] op_sel:[1,1] op_sel_hi:[0,1]
	v_pk_add_f32 v[66:67], v[66:67], v[78:79]
	v_pk_fma_f32 v[72:73], v[104:105], v[88:89], v[72:73] neg_lo:[0,0,1] neg_hi:[0,0,1]
	v_mov_b32_e32 v73, v71
	s_delay_alu instid0(VALU_DEP_4) | instskip(NEXT) | instid1(VALU_DEP_4)
	v_pk_fma_f32 v[70:71], v[118:119], v[114:115], v[74:75] neg_lo:[0,0,1] neg_hi:[0,0,1]
	v_pk_add_f32 v[66:67], v[66:67], v[68:69]
	v_pk_fma_f32 v[68:69], v[118:119], v[114:115], v[74:75] op_sel_hi:[1,0,1]
	s_delay_alu instid0(VALU_DEP_2) | instskip(NEXT) | instid1(VALU_DEP_2)
	v_pk_add_f32 v[66:67], v[66:67], v[72:73]
	v_mov_b32_e32 v71, v69
	s_delay_alu instid0(VALU_DEP_1) | instskip(SKIP_1) | instid1(VALU_DEP_1)
	v_pk_add_f32 v[66:67], v[66:67], v[70:71]
	s_wait_loadcnt 0x0
	v_pk_add_f32 v[66:67], v[116:117], v[66:67] neg_lo:[0,1] neg_hi:[0,1]
	scratch_store_b64 off, v[66:67], off offset:144
	s_wait_xcnt 0x0
	v_cmpx_lt_u32_e32 17, v0
	s_cbranch_execz .LBB31_171
; %bb.170:
	scratch_load_b64 v[66:67], off, off offset:136
	v_mov_b64_e32 v[68:69], 0
	scratch_store_b64 off, v[68:69], off offset:136
	s_wait_loadcnt 0x0
	ds_store_b64 v1, v[66:67]
.LBB31_171:
	s_wait_xcnt 0x0
	s_or_b32 exec_lo, exec_lo, s0
	s_wait_storecnt_dscnt 0x0
	s_barrier_signal -1
	s_barrier_wait -1
	s_clause 0x7
	scratch_load_b128 v[66:69], off, off offset:144
	scratch_load_b128 v[70:73], off, off offset:160
	;; [unrolled: 1-line block ×7, first 2 shown]
	scratch_load_b64 v[122:123], off, off offset:136
	ds_load_b128 v[94:97], v3 offset:448
	ds_load_b128 v[98:101], v3 offset:464
	;; [unrolled: 1-line block ×7, first 2 shown]
	s_mov_b32 s0, exec_lo
	s_wait_dscnt 0x6
	v_dual_mov_b32 v124, v97 :: v_dual_mov_b32 v125, v96
	s_wait_dscnt 0x5
	v_dual_mov_b32 v126, v101 :: v_dual_mov_b32 v127, v100
	;; [unrolled: 2-line block ×4, first 2 shown]
	s_wait_loadcnt_dscnt 0x702
	v_dual_mul_f32 v3, v110, v67 :: v_dual_mul_f32 v7, v112, v69
	v_dual_mul_f32 v15, v111, v67 :: v_dual_mul_f32 v17, v113, v69
	s_wait_loadcnt_dscnt 0x601
	v_dual_mul_f32 v11, v114, v71 :: v_dual_mul_f32 v13, v116, v73
	s_delay_alu instid0(VALU_DEP_3) | instskip(SKIP_2) | instid1(VALU_DEP_3)
	v_fmac_f32_e32 v3, v111, v66
	v_dual_mul_f32 v19, v115, v71 :: v_dual_mul_f32 v21, v117, v73
	v_dual_fma_f32 v17, v112, v68, -v17 :: v_dual_fma_f32 v15, v110, v66, -v15
	v_dual_add_f32 v3, 0, v3 :: v_dual_fmac_f32 v7, v113, v68
	s_wait_loadcnt 0x4
	v_dual_mov_b32 v68, v81 :: v_dual_fmac_f32 v11, v115, v70
	s_delay_alu instid0(VALU_DEP_3) | instskip(NEXT) | instid1(VALU_DEP_3)
	v_dual_add_f32 v15, 0, v15 :: v_dual_fma_f32 v19, v114, v70, -v19
	v_add_f32_e32 v3, v3, v7
	s_wait_dscnt 0x0
	v_dual_mul_f32 v133, v118, v75 :: v_dual_mul_f32 v135, v120, v77
	s_delay_alu instid0(VALU_DEP_3) | instskip(SKIP_3) | instid1(VALU_DEP_3)
	v_dual_add_f32 v7, v15, v17 :: v_dual_fmac_f32 v13, v117, v72
	v_dual_mul_f32 v23, v119, v75 :: v_dual_mul_f32 v25, v121, v77
	v_dual_fma_f32 v15, v116, v72, -v21 :: v_dual_add_f32 v3, v3, v11
	s_wait_loadcnt 0x3
	v_dual_add_f32 v7, v7, v19 :: v_dual_mov_b32 v72, v85
	v_pk_mul_f32 v[66:67], v[94:95], v[78:79] op_sel:[1,1] op_sel_hi:[0,1]
	v_dual_fmac_f32 v133, v119, v74 :: v_dual_fma_f32 v132, v118, v74, -v23
	v_dual_add_f32 v75, v3, v13 :: v_dual_fmac_f32 v135, v121, v76
	s_delay_alu instid0(VALU_DEP_4) | instskip(NEXT) | instid1(VALU_DEP_4)
	v_dual_add_f32 v74, v7, v15 :: v_dual_fma_f32 v134, v120, v76, -v25
	v_pk_fma_f32 v[76:77], v[94:95], v[78:79], v[66:67] op_sel_hi:[1,0,1]
	v_pk_mul_f32 v[68:69], v[124:125], v[68:69] op_sel_hi:[1,0]
	v_pk_fma_f32 v[66:67], v[94:95], v[78:79], v[66:67] neg_lo:[0,0,1] neg_hi:[0,0,1]
	s_delay_alu instid0(VALU_DEP_4)
	v_pk_add_f32 v[74:75], v[74:75], v[132:133]
	v_pk_mul_f32 v[70:71], v[98:99], v[82:83] op_sel:[1,1] op_sel_hi:[0,1]
	v_mov_b32_e32 v67, v77
	v_pk_fma_f32 v[76:77], v[96:97], v[80:81], v[68:69] op_sel_hi:[1,0,1]
	v_pk_fma_f32 v[68:69], v[96:97], v[80:81], v[68:69] neg_lo:[0,0,1] neg_hi:[0,0,1]
	v_pk_add_f32 v[74:75], v[74:75], v[134:135]
	v_pk_fma_f32 v[78:79], v[98:99], v[82:83], v[70:71] op_sel_hi:[1,0,1]
	v_pk_mul_f32 v[72:73], v[126:127], v[72:73] op_sel_hi:[1,0]
	v_mov_b32_e32 v69, v77
	s_wait_loadcnt 0x2
	v_pk_mul_f32 v[110:111], v[102:103], v[86:87] op_sel:[1,1] op_sel_hi:[0,1]
	v_pk_add_f32 v[66:67], v[74:75], v[66:67]
	v_mov_b32_e32 v74, v89
	v_pk_fma_f32 v[70:71], v[98:99], v[82:83], v[70:71] neg_lo:[0,0,1] neg_hi:[0,0,1]
	v_mov_b32_e32 v71, v79
	v_pk_fma_f32 v[76:77], v[100:101], v[84:85], v[72:73] op_sel_hi:[1,0,1]
	v_pk_add_f32 v[66:67], v[66:67], v[68:69]
	v_pk_fma_f32 v[68:69], v[102:103], v[86:87], v[110:111] op_sel_hi:[1,0,1]
	v_pk_mul_f32 v[74:75], v[128:129], v[74:75] op_sel_hi:[1,0]
	v_pk_fma_f32 v[72:73], v[100:101], v[84:85], v[72:73] neg_lo:[0,0,1] neg_hi:[0,0,1]
	v_mov_b32_e32 v73, v77
	v_pk_add_f32 v[66:67], v[66:67], v[70:71]
	v_pk_fma_f32 v[76:77], v[102:103], v[86:87], v[110:111] neg_lo:[0,0,1] neg_hi:[0,0,1]
	v_mov_b32_e32 v77, v69
	v_pk_fma_f32 v[68:69], v[104:105], v[88:89], v[74:75] op_sel_hi:[1,0,1]
	s_wait_loadcnt 0x1
	v_pk_mul_f32 v[70:71], v[106:107], v[90:91] op_sel:[1,1] op_sel_hi:[0,1]
	v_pk_add_f32 v[66:67], v[66:67], v[72:73]
	v_mov_b32_e32 v68, v93
	v_pk_fma_f32 v[74:75], v[104:105], v[88:89], v[74:75] neg_lo:[0,0,1] neg_hi:[0,0,1]
	v_mov_b32_e32 v75, v69
	v_pk_fma_f32 v[72:73], v[106:107], v[90:91], v[70:71] op_sel_hi:[1,0,1]
	v_pk_add_f32 v[66:67], v[66:67], v[76:77]
	v_pk_mul_f32 v[68:69], v[130:131], v[68:69] op_sel_hi:[1,0]
	v_pk_fma_f32 v[70:71], v[106:107], v[90:91], v[70:71] neg_lo:[0,0,1] neg_hi:[0,0,1]
	s_delay_alu instid0(VALU_DEP_4) | instskip(NEXT) | instid1(VALU_DEP_4)
	v_mov_b32_e32 v71, v73
	v_pk_add_f32 v[66:67], v[66:67], v[74:75]
	s_delay_alu instid0(VALU_DEP_4) | instskip(SKIP_1) | instid1(VALU_DEP_2)
	v_pk_fma_f32 v[72:73], v[108:109], v[92:93], v[68:69] op_sel_hi:[1,0,1]
	v_pk_fma_f32 v[68:69], v[108:109], v[92:93], v[68:69] neg_lo:[0,0,1] neg_hi:[0,0,1]
	v_mov_b32_e32 v69, v73
	s_delay_alu instid0(VALU_DEP_4) | instskip(NEXT) | instid1(VALU_DEP_1)
	v_pk_add_f32 v[66:67], v[66:67], v[70:71]
	v_pk_add_f32 v[66:67], v[66:67], v[68:69]
	s_wait_loadcnt 0x0
	s_delay_alu instid0(VALU_DEP_1)
	v_pk_add_f32 v[66:67], v[122:123], v[66:67] neg_lo:[0,1] neg_hi:[0,1]
	scratch_store_b64 off, v[66:67], off offset:136
	s_wait_xcnt 0x0
	v_cmpx_lt_u32_e32 16, v0
	s_cbranch_execz .LBB31_173
; %bb.172:
	scratch_load_b64 v[66:67], off, off offset:128
	v_mov_b64_e32 v[68:69], 0
	scratch_store_b64 off, v[68:69], off offset:128
	s_wait_loadcnt 0x0
	ds_store_b64 v1, v[66:67]
.LBB31_173:
	s_wait_xcnt 0x0
	s_or_b32 exec_lo, exec_lo, s0
	s_wait_storecnt_dscnt 0x0
	s_barrier_signal -1
	s_barrier_wait -1
	s_clause 0x8
	scratch_load_b128 v[66:69], off, off offset:136
	scratch_load_b128 v[70:73], off, off offset:152
	scratch_load_b128 v[74:77], off, off offset:168
	scratch_load_b128 v[78:81], off, off offset:184
	scratch_load_b128 v[82:85], off, off offset:200
	scratch_load_b128 v[86:89], off, off offset:216
	scratch_load_b128 v[90:93], off, off offset:232
	scratch_load_b64 v[122:123], off, off offset:248
	scratch_load_b64 v[124:125], off, off offset:128
	v_mov_b32_e32 v3, 0
	ds_load_2addr_b64 v[94:97], v3 offset0:55 offset1:56
	ds_load_2addr_b64 v[98:101], v3 offset0:57 offset1:58
	;; [unrolled: 1-line block ×7, first 2 shown]
	ds_load_b64 v[126:127], v3 offset:504
	s_mov_b32 s0, exec_lo
	s_wait_dscnt 0x7
	v_dual_mov_b32 v128, v97 :: v_dual_mov_b32 v129, v96
	s_wait_dscnt 0x4
	v_dual_mov_b32 v130, v101 :: v_dual_mov_b32 v135, v108
	v_dual_mov_b32 v131, v100 :: v_dual_mov_b32 v132, v105
	;; [unrolled: 1-line block ×3, first 2 shown]
	s_wait_loadcnt_dscnt 0x803
	v_dual_mul_f32 v7, v110, v67 :: v_dual_mul_f32 v19, v111, v67
	v_dual_mul_f32 v21, v113, v69 :: v_dual_mul_f32 v11, v112, v69
	s_wait_loadcnt_dscnt 0x702
	v_mul_f32_e32 v13, v114, v71
	s_wait_loadcnt 0x5
	v_dual_mul_f32 v31, v95, v79 :: v_dual_fma_f32 v19, v110, v66, -v19
	v_dual_fmac_f32 v7, v111, v66 :: v_dual_mov_b32 v66, v81
	v_dual_mul_f32 v23, v115, v71 :: v_dual_mul_f32 v25, v117, v73
	v_dual_fmac_f32 v11, v113, v68 :: v_dual_fma_f32 v21, v112, v68, -v21
	s_delay_alu instid0(VALU_DEP_3) | instskip(NEXT) | instid1(VALU_DEP_3)
	v_dual_add_f32 v7, 0, v7 :: v_dual_fmac_f32 v13, v115, v70
	v_dual_add_f32 v19, 0, v19 :: v_dual_fma_f32 v23, v114, v70, -v23
	s_wait_dscnt 0x1
	v_dual_mul_f32 v15, v116, v73 :: v_dual_mul_f32 v17, v118, v75
	s_wait_loadcnt 0x4
	v_dual_add_f32 v7, v7, v11 :: v_dual_mov_b32 v70, v85
	s_delay_alu instid0(VALU_DEP_2) | instskip(SKIP_1) | instid1(VALU_DEP_3)
	v_dual_add_f32 v11, v19, v21 :: v_dual_fmac_f32 v15, v117, v72
	v_dual_mul_f32 v27, v119, v75 :: v_dual_mul_f32 v29, v121, v77
	v_dual_fma_f32 v19, v116, v72, -v25 :: v_dual_add_f32 v7, v7, v13
	s_delay_alu instid0(VALU_DEP_2) | instskip(SKIP_2) | instid1(VALU_DEP_4)
	v_dual_add_f32 v11, v11, v23 :: v_dual_fma_f32 v13, v118, v74, -v27
	v_dual_mul_f32 v137, v120, v77 :: v_dual_mul_f32 v139, v94, v79
	v_fmac_f32_e32 v17, v119, v74
	v_add_f32_e32 v7, v7, v15
	s_delay_alu instid0(VALU_DEP_4)
	v_dual_add_f32 v11, v11, v19 :: v_dual_fma_f32 v136, v120, v76, -v29
	v_pk_mul_f32 v[66:67], v[128:129], v[66:67] op_sel_hi:[1,0]
	v_pk_mul_f32 v[70:71], v[130:131], v[70:71] op_sel_hi:[1,0]
	v_pk_mul_f32 v[68:69], v[98:99], v[82:83] op_sel:[1,1] op_sel_hi:[0,1]
	v_fmac_f32_e32 v137, v121, v76
	s_wait_loadcnt 0x3
	v_dual_mov_b32 v76, v89 :: v_dual_add_f32 v75, v7, v17
	v_fma_f32 v138, v94, v78, -v31
	v_fmac_f32_e32 v139, v95, v78
	v_pk_fma_f32 v[78:79], v[96:97], v[80:81], v[66:67] op_sel_hi:[1,0,1]
	v_pk_fma_f32 v[66:67], v[96:97], v[80:81], v[66:67] neg_lo:[0,0,1] neg_hi:[0,0,1]
	v_pk_fma_f32 v[80:81], v[100:101], v[84:85], v[70:71] op_sel_hi:[1,0,1]
	v_add_f32_e32 v74, v11, v13
	v_pk_fma_f32 v[70:71], v[100:101], v[84:85], v[70:71] neg_lo:[0,0,1] neg_hi:[0,0,1]
	v_pk_fma_f32 v[94:95], v[98:99], v[82:83], v[68:69] op_sel_hi:[1,0,1]
	v_pk_fma_f32 v[68:69], v[98:99], v[82:83], v[68:69] neg_lo:[0,0,1] neg_hi:[0,0,1]
	v_mov_b32_e32 v71, v81
	v_pk_add_f32 v[74:75], v[74:75], v[136:137]
	s_delay_alu instid0(VALU_DEP_4) | instskip(SKIP_2) | instid1(VALU_DEP_4)
	v_dual_mov_b32 v67, v79 :: v_dual_mov_b32 v69, v95
	v_pk_mul_f32 v[72:73], v[102:103], v[86:87] op_sel:[1,1] op_sel_hi:[0,1]
	v_pk_mul_f32 v[76:77], v[132:133], v[76:77] op_sel_hi:[1,0]
	v_pk_add_f32 v[74:75], v[74:75], v[138:139]
	s_wait_loadcnt 0x2
	v_pk_mul_f32 v[78:79], v[106:107], v[90:91] op_sel:[1,1] op_sel_hi:[0,1]
	s_delay_alu instid0(VALU_DEP_2) | instskip(SKIP_2) | instid1(VALU_DEP_3)
	v_pk_add_f32 v[66:67], v[74:75], v[66:67]
	v_pk_fma_f32 v[74:75], v[102:103], v[86:87], v[72:73] op_sel_hi:[1,0,1]
	v_pk_fma_f32 v[72:73], v[102:103], v[86:87], v[72:73] neg_lo:[0,0,1] neg_hi:[0,0,1]
	v_pk_add_f32 v[66:67], v[66:67], v[68:69]
	s_delay_alu instid0(VALU_DEP_3) | instskip(SKIP_2) | instid1(VALU_DEP_4)
	v_dual_mov_b32 v68, v93 :: v_dual_mov_b32 v73, v75
	v_pk_fma_f32 v[74:75], v[104:105], v[88:89], v[76:77] op_sel_hi:[1,0,1]
	v_pk_fma_f32 v[76:77], v[104:105], v[88:89], v[76:77] neg_lo:[0,0,1] neg_hi:[0,0,1]
	v_pk_add_f32 v[66:67], v[66:67], v[70:71]
	v_pk_fma_f32 v[70:71], v[106:107], v[90:91], v[78:79] op_sel_hi:[1,0,1]
	v_pk_mul_f32 v[68:69], v[134:135], v[68:69] op_sel_hi:[1,0]
	v_mov_b32_e32 v77, v75
	s_wait_loadcnt_dscnt 0x100
	v_pk_mul_f32 v[74:75], v[126:127], v[122:123] op_sel:[1,1] op_sel_hi:[0,1]
	v_pk_add_f32 v[66:67], v[66:67], v[72:73]
	v_pk_fma_f32 v[72:73], v[106:107], v[90:91], v[78:79] neg_lo:[0,0,1] neg_hi:[0,0,1]
	v_mov_b32_e32 v73, v71
	v_pk_fma_f32 v[70:71], v[108:109], v[92:93], v[68:69] op_sel_hi:[1,0,1]
	v_pk_fma_f32 v[68:69], v[108:109], v[92:93], v[68:69] neg_lo:[0,0,1] neg_hi:[0,0,1]
	v_pk_add_f32 v[66:67], v[66:67], v[76:77]
	s_delay_alu instid0(VALU_DEP_3) | instskip(SKIP_1) | instid1(VALU_DEP_3)
	v_mov_b32_e32 v69, v71
	v_pk_fma_f32 v[70:71], v[126:127], v[122:123], v[74:75] op_sel_hi:[1,0,1]
	v_pk_add_f32 v[66:67], v[66:67], v[72:73]
	v_pk_fma_f32 v[72:73], v[126:127], v[122:123], v[74:75] neg_lo:[0,0,1] neg_hi:[0,0,1]
	s_delay_alu instid0(VALU_DEP_3) | instskip(NEXT) | instid1(VALU_DEP_3)
	v_mov_b32_e32 v73, v71
	v_pk_add_f32 v[66:67], v[66:67], v[68:69]
	s_delay_alu instid0(VALU_DEP_1) | instskip(SKIP_1) | instid1(VALU_DEP_1)
	v_pk_add_f32 v[66:67], v[66:67], v[72:73]
	s_wait_loadcnt 0x0
	v_pk_add_f32 v[66:67], v[124:125], v[66:67] neg_lo:[0,1] neg_hi:[0,1]
	scratch_store_b64 off, v[66:67], off offset:128
	s_wait_xcnt 0x0
	v_cmpx_lt_u32_e32 15, v0
	s_cbranch_execz .LBB31_175
; %bb.174:
	scratch_load_b64 v[66:67], off, off offset:120
	v_mov_b64_e32 v[68:69], 0
	scratch_store_b64 off, v[68:69], off offset:120
	s_wait_loadcnt 0x0
	ds_store_b64 v1, v[66:67]
.LBB31_175:
	s_wait_xcnt 0x0
	s_or_b32 exec_lo, exec_lo, s0
	s_wait_storecnt_dscnt 0x0
	s_barrier_signal -1
	s_barrier_wait -1
	s_clause 0x8
	scratch_load_b128 v[66:69], off, off offset:128
	scratch_load_b128 v[70:73], off, off offset:144
	;; [unrolled: 1-line block ×8, first 2 shown]
	scratch_load_b64 v[130:131], off, off offset:120
	ds_load_b128 v[98:101], v3 offset:448
	ds_load_b128 v[102:105], v3 offset:464
	;; [unrolled: 1-line block ×8, first 2 shown]
	s_mov_b32 s0, exec_lo
	s_wait_dscnt 0x7
	v_dual_mov_b32 v132, v101 :: v_dual_mov_b32 v133, v100
	s_wait_dscnt 0x6
	v_dual_mov_b32 v134, v105 :: v_dual_mov_b32 v135, v104
	;; [unrolled: 2-line block ×4, first 2 shown]
	s_wait_loadcnt_dscnt 0x803
	v_dual_mul_f32 v3, v114, v67 :: v_dual_mul_f32 v7, v116, v69
	v_dual_mul_f32 v19, v115, v67 :: v_dual_mul_f32 v21, v117, v69
	s_wait_loadcnt_dscnt 0x702
	v_dual_mul_f32 v11, v118, v71 :: v_dual_mul_f32 v13, v120, v73
	s_delay_alu instid0(VALU_DEP_3)
	v_fmac_f32_e32 v3, v115, v66
	s_wait_loadcnt_dscnt 0x500
	v_dual_fma_f32 v19, v114, v66, -v19 :: v_dual_mul_f32 v31, v127, v79
	v_dual_mul_f32 v23, v119, v71 :: v_dual_mul_f32 v25, v121, v73
	v_dual_fma_f32 v21, v116, v68, -v21 :: v_dual_fmac_f32 v7, v117, v68
	v_add_f32_e32 v3, 0, v3
	s_delay_alu instid0(VALU_DEP_4) | instskip(SKIP_1) | instid1(VALU_DEP_3)
	v_dual_add_f32 v19, 0, v19 :: v_dual_mul_f32 v33, v129, v81
	v_dual_fmac_f32 v11, v119, v70 :: v_dual_fmac_f32 v13, v121, v72
	v_dual_fma_f32 v23, v118, v70, -v23 :: v_dual_add_f32 v3, v3, v7
	s_delay_alu instid0(VALU_DEP_3) | instskip(SKIP_4) | instid1(VALU_DEP_2)
	v_dual_add_f32 v7, v19, v21 :: v_dual_fma_f32 v19, v120, v72, -v25
	v_dual_mul_f32 v15, v122, v75 :: v_dual_mul_f32 v17, v124, v77
	v_dual_mul_f32 v27, v123, v75 :: v_dual_mul_f32 v29, v125, v77
	s_wait_loadcnt 0x4
	v_dual_add_f32 v3, v3, v11 :: v_dual_mov_b32 v68, v85
	v_dual_add_f32 v7, v7, v23 :: v_dual_fma_f32 v11, v122, v74, -v27
	v_pk_mul_f32 v[66:67], v[98:99], v[82:83] op_sel:[1,1] op_sel_hi:[0,1]
	v_dual_fmac_f32 v15, v123, v74 :: v_dual_fmac_f32 v17, v125, v76
	s_delay_alu instid0(VALU_DEP_4) | instskip(SKIP_3) | instid1(VALU_DEP_3)
	v_dual_add_f32 v3, v3, v13 :: v_dual_fma_f32 v13, v124, v76, -v29
	s_wait_loadcnt 0x3
	v_dual_add_f32 v7, v7, v19 :: v_dual_mov_b32 v72, v89
	v_dual_mul_f32 v141, v126, v79 :: v_dual_mul_f32 v143, v128, v81
	v_dual_add_f32 v3, v3, v15 :: v_dual_fma_f32 v140, v126, v78, -v31
	s_delay_alu instid0(VALU_DEP_3)
	v_add_f32_e32 v7, v7, v11
	v_pk_fma_f32 v[76:77], v[98:99], v[82:83], v[66:67] op_sel_hi:[1,0,1]
	v_pk_mul_f32 v[68:69], v[132:133], v[68:69] op_sel_hi:[1,0]
	v_pk_fma_f32 v[66:67], v[98:99], v[82:83], v[66:67] neg_lo:[0,0,1] neg_hi:[0,0,1]
	v_fmac_f32_e32 v141, v127, v78
	v_dual_add_f32 v75, v3, v17 :: v_dual_fma_f32 v142, v128, v80, -v33
	v_fmac_f32_e32 v143, v129, v80
	v_mov_b32_e32 v67, v77
	v_pk_fma_f32 v[76:77], v[100:101], v[84:85], v[68:69] op_sel_hi:[1,0,1]
	v_add_f32_e32 v74, v7, v13
	v_pk_fma_f32 v[68:69], v[100:101], v[84:85], v[68:69] neg_lo:[0,0,1] neg_hi:[0,0,1]
	v_pk_mul_f32 v[70:71], v[102:103], v[86:87] op_sel:[1,1] op_sel_hi:[0,1]
	v_pk_mul_f32 v[72:73], v[134:135], v[72:73] op_sel_hi:[1,0]
	v_mov_b32_e32 v69, v77
	v_pk_add_f32 v[74:75], v[74:75], v[140:141]
	s_wait_loadcnt 0x2
	v_pk_mul_f32 v[78:79], v[106:107], v[90:91] op_sel:[1,1] op_sel_hi:[0,1]
	v_pk_fma_f32 v[80:81], v[102:103], v[86:87], v[70:71] op_sel_hi:[1,0,1]
	v_pk_fma_f32 v[70:71], v[102:103], v[86:87], v[70:71] neg_lo:[0,0,1] neg_hi:[0,0,1]
	v_pk_fma_f32 v[76:77], v[104:105], v[88:89], v[72:73] op_sel_hi:[1,0,1]
	v_pk_add_f32 v[74:75], v[74:75], v[142:143]
	v_pk_fma_f32 v[72:73], v[104:105], v[88:89], v[72:73] neg_lo:[0,0,1] neg_hi:[0,0,1]
	v_mov_b32_e32 v71, v81
	s_delay_alu instid0(VALU_DEP_3) | instskip(SKIP_1) | instid1(VALU_DEP_2)
	v_pk_add_f32 v[66:67], v[74:75], v[66:67]
	v_mov_b32_e32 v74, v93
	v_pk_add_f32 v[66:67], v[66:67], v[68:69]
	v_pk_fma_f32 v[68:69], v[106:107], v[90:91], v[78:79] op_sel_hi:[1,0,1]
	s_delay_alu instid0(VALU_DEP_3)
	v_pk_mul_f32 v[74:75], v[136:137], v[74:75] op_sel_hi:[1,0]
	v_mov_b32_e32 v73, v77
	v_pk_fma_f32 v[76:77], v[106:107], v[90:91], v[78:79] neg_lo:[0,0,1] neg_hi:[0,0,1]
	v_pk_add_f32 v[66:67], v[66:67], v[70:71]
	v_mov_b32_e32 v77, v69
	v_pk_fma_f32 v[68:69], v[108:109], v[92:93], v[74:75] op_sel_hi:[1,0,1]
	s_wait_loadcnt 0x1
	v_pk_mul_f32 v[70:71], v[110:111], v[94:95] op_sel:[1,1] op_sel_hi:[0,1]
	v_mov_b32_e32 v68, v97
	v_pk_add_f32 v[66:67], v[66:67], v[72:73]
	v_pk_fma_f32 v[74:75], v[108:109], v[92:93], v[74:75] neg_lo:[0,0,1] neg_hi:[0,0,1]
	v_mov_b32_e32 v75, v69
	v_pk_fma_f32 v[72:73], v[110:111], v[94:95], v[70:71] op_sel_hi:[1,0,1]
	v_pk_mul_f32 v[68:69], v[138:139], v[68:69] op_sel_hi:[1,0]
	v_pk_add_f32 v[66:67], v[66:67], v[76:77]
	v_pk_fma_f32 v[70:71], v[110:111], v[94:95], v[70:71] neg_lo:[0,0,1] neg_hi:[0,0,1]
	s_delay_alu instid0(VALU_DEP_4) | instskip(NEXT) | instid1(VALU_DEP_4)
	v_mov_b32_e32 v71, v73
	v_pk_fma_f32 v[72:73], v[112:113], v[96:97], v[68:69] op_sel_hi:[1,0,1]
	s_delay_alu instid0(VALU_DEP_4) | instskip(SKIP_1) | instid1(VALU_DEP_3)
	v_pk_add_f32 v[66:67], v[66:67], v[74:75]
	v_pk_fma_f32 v[68:69], v[112:113], v[96:97], v[68:69] neg_lo:[0,0,1] neg_hi:[0,0,1]
	v_mov_b32_e32 v69, v73
	s_delay_alu instid0(VALU_DEP_3) | instskip(NEXT) | instid1(VALU_DEP_1)
	v_pk_add_f32 v[66:67], v[66:67], v[70:71]
	v_pk_add_f32 v[66:67], v[66:67], v[68:69]
	s_wait_loadcnt 0x0
	s_delay_alu instid0(VALU_DEP_1)
	v_pk_add_f32 v[66:67], v[130:131], v[66:67] neg_lo:[0,1] neg_hi:[0,1]
	scratch_store_b64 off, v[66:67], off offset:120
	s_wait_xcnt 0x0
	v_cmpx_lt_u32_e32 14, v0
	s_cbranch_execz .LBB31_177
; %bb.176:
	scratch_load_b64 v[66:67], off, off offset:112
	v_mov_b64_e32 v[68:69], 0
	scratch_store_b64 off, v[68:69], off offset:112
	s_wait_loadcnt 0x0
	ds_store_b64 v1, v[66:67]
.LBB31_177:
	s_wait_xcnt 0x0
	s_or_b32 exec_lo, exec_lo, s0
	s_wait_storecnt_dscnt 0x0
	s_barrier_signal -1
	s_barrier_wait -1
	s_clause 0x9
	scratch_load_b128 v[66:69], off, off offset:120
	scratch_load_b128 v[70:73], off, off offset:136
	;; [unrolled: 1-line block ×8, first 2 shown]
	scratch_load_b64 v[130:131], off, off offset:248
	scratch_load_b64 v[132:133], off, off offset:112
	v_mov_b32_e32 v3, 0
	ds_load_2addr_b64 v[98:101], v3 offset0:55 offset1:56
	ds_load_2addr_b64 v[102:105], v3 offset0:57 offset1:58
	;; [unrolled: 1-line block ×8, first 2 shown]
	ds_load_b64 v[134:135], v3 offset:504
	s_mov_b32 s0, exec_lo
	s_wait_dscnt 0x7
	v_dual_mov_b32 v137, v100 :: v_dual_mov_b32 v138, v105
	s_wait_dscnt 0x6
	v_dual_mov_b32 v139, v104 :: v_dual_mov_b32 v140, v109
	;; [unrolled: 2-line block ×3, first 2 shown]
	v_dual_mov_b32 v141, v108 :: v_dual_mov_b32 v142, v113
	s_wait_loadcnt_dscnt 0x904
	v_dual_mul_f32 v7, v114, v67 :: v_dual_mul_f32 v23, v115, v67
	v_dual_mul_f32 v25, v117, v69 :: v_dual_mul_f32 v11, v116, v69
	s_wait_loadcnt_dscnt 0x803
	v_mul_f32_e32 v13, v118, v71
	s_wait_loadcnt_dscnt 0x601
	v_dual_mul_f32 v35, v127, v79 :: v_dual_fma_f32 v23, v114, v66, -v23
	v_dual_fmac_f32 v7, v115, v66 :: v_dual_mul_f32 v37, v129, v81
	v_dual_mul_f32 v27, v119, v71 :: v_dual_mul_f32 v29, v121, v73
	v_dual_fmac_f32 v11, v117, v68 :: v_dual_fma_f32 v25, v116, v68, -v25
	s_delay_alu instid0(VALU_DEP_3) | instskip(NEXT) | instid1(VALU_DEP_3)
	v_dual_add_f32 v7, 0, v7 :: v_dual_fmac_f32 v13, v119, v70
	v_dual_add_f32 v23, 0, v23 :: v_dual_fma_f32 v27, v118, v70, -v27
	v_dual_mul_f32 v15, v120, v73 :: v_dual_mul_f32 v17, v122, v75
	s_delay_alu instid0(VALU_DEP_3) | instskip(NEXT) | instid1(VALU_DEP_3)
	v_add_f32_e32 v7, v7, v11
	v_dual_add_f32 v11, v23, v25 :: v_dual_fma_f32 v23, v120, v72, -v29
	v_dual_mul_f32 v31, v123, v75 :: v_dual_mul_f32 v33, v125, v77
	s_delay_alu instid0(VALU_DEP_3) | instskip(SKIP_1) | instid1(VALU_DEP_3)
	v_dual_fmac_f32 v15, v121, v72 :: v_dual_add_f32 v7, v7, v13
	s_wait_loadcnt 0x4
	v_dual_add_f32 v11, v11, v27 :: v_dual_mov_b32 v70, v89
	v_dual_mul_f32 v19, v124, v77 :: v_dual_mul_f32 v21, v126, v79
	v_dual_fmac_f32 v17, v123, v74 :: v_dual_fma_f32 v13, v122, v74, -v31
	v_dual_add_f32 v7, v7, v15 :: v_dual_fma_f32 v15, v124, v76, -v33
	s_delay_alu instid0(VALU_DEP_4) | instskip(SKIP_2) | instid1(VALU_DEP_4)
	v_dual_add_f32 v11, v11, v23 :: v_dual_mul_f32 v145, v128, v81
	v_mul_f32_e32 v147, v98, v83
	v_pk_mul_f32 v[68:69], v[102:103], v[86:87] op_sel:[1,1] op_sel_hi:[0,1]
	v_dual_fmac_f32 v19, v125, v76 :: v_dual_add_f32 v7, v7, v17
	s_delay_alu instid0(VALU_DEP_4) | instskip(SKIP_4) | instid1(VALU_DEP_3)
	v_dual_fmac_f32 v145, v129, v80 :: v_dual_add_f32 v11, v11, v13
	v_dual_fma_f32 v144, v128, v80, -v37 :: v_dual_mul_f32 v39, v99, v83
	v_dual_mov_b32 v66, v85 :: v_dual_fmac_f32 v21, v127, v78
	s_wait_loadcnt 0x3
	v_dual_mov_b32 v76, v93 :: v_dual_fma_f32 v13, v126, v78, -v35
	v_dual_add_f32 v7, v7, v19 :: v_dual_fma_f32 v146, v98, v82, -v39
	v_pk_fma_f32 v[80:81], v[102:103], v[86:87], v[68:69] op_sel_hi:[1,0,1]
	v_add_f32_e32 v11, v11, v15
	v_pk_mul_f32 v[70:71], v[138:139], v[70:71] op_sel_hi:[1,0]
	v_pk_fma_f32 v[68:69], v[102:103], v[86:87], v[68:69] neg_lo:[0,0,1] neg_hi:[0,0,1]
	v_pk_mul_f32 v[66:67], v[136:137], v[66:67] op_sel_hi:[1,0]
	s_delay_alu instid0(VALU_DEP_4) | instskip(NEXT) | instid1(VALU_DEP_4)
	v_dual_mov_b32 v69, v81 :: v_dual_add_f32 v74, v11, v13
	v_pk_fma_f32 v[80:81], v[104:105], v[88:89], v[70:71] op_sel_hi:[1,0,1]
	v_add_f32_e32 v75, v7, v21
	v_pk_fma_f32 v[70:71], v[104:105], v[88:89], v[70:71] neg_lo:[0,0,1] neg_hi:[0,0,1]
	v_fmac_f32_e32 v147, v99, v82
	v_pk_fma_f32 v[78:79], v[100:101], v[84:85], v[66:67] op_sel_hi:[1,0,1]
	v_mov_b32_e32 v71, v81
	v_pk_add_f32 v[74:75], v[74:75], v[144:145]
	v_pk_fma_f32 v[66:67], v[100:101], v[84:85], v[66:67] neg_lo:[0,0,1] neg_hi:[0,0,1]
	v_pk_mul_f32 v[72:73], v[106:107], v[90:91] op_sel:[1,1] op_sel_hi:[0,1]
	v_mov_b32_e32 v67, v79
	v_pk_mul_f32 v[76:77], v[140:141], v[76:77] op_sel_hi:[1,0]
	v_pk_add_f32 v[74:75], v[74:75], v[146:147]
	s_wait_loadcnt 0x2
	v_pk_mul_f32 v[78:79], v[110:111], v[94:95] op_sel:[1,1] op_sel_hi:[0,1]
	s_delay_alu instid0(VALU_DEP_2) | instskip(SKIP_2) | instid1(VALU_DEP_3)
	v_pk_add_f32 v[66:67], v[74:75], v[66:67]
	v_pk_fma_f32 v[74:75], v[106:107], v[90:91], v[72:73] op_sel_hi:[1,0,1]
	v_pk_fma_f32 v[72:73], v[106:107], v[90:91], v[72:73] neg_lo:[0,0,1] neg_hi:[0,0,1]
	v_pk_add_f32 v[66:67], v[66:67], v[68:69]
	s_delay_alu instid0(VALU_DEP_3) | instskip(SKIP_2) | instid1(VALU_DEP_4)
	v_dual_mov_b32 v68, v97 :: v_dual_mov_b32 v73, v75
	v_pk_fma_f32 v[74:75], v[108:109], v[92:93], v[76:77] op_sel_hi:[1,0,1]
	v_pk_fma_f32 v[76:77], v[108:109], v[92:93], v[76:77] neg_lo:[0,0,1] neg_hi:[0,0,1]
	v_pk_add_f32 v[66:67], v[66:67], v[70:71]
	v_pk_fma_f32 v[70:71], v[110:111], v[94:95], v[78:79] op_sel_hi:[1,0,1]
	v_pk_mul_f32 v[68:69], v[142:143], v[68:69] op_sel_hi:[1,0]
	v_mov_b32_e32 v77, v75
	s_wait_loadcnt_dscnt 0x100
	v_pk_mul_f32 v[74:75], v[134:135], v[130:131] op_sel:[1,1] op_sel_hi:[0,1]
	v_pk_add_f32 v[66:67], v[66:67], v[72:73]
	v_pk_fma_f32 v[72:73], v[110:111], v[94:95], v[78:79] neg_lo:[0,0,1] neg_hi:[0,0,1]
	v_mov_b32_e32 v73, v71
	v_pk_fma_f32 v[70:71], v[112:113], v[96:97], v[68:69] op_sel_hi:[1,0,1]
	v_pk_fma_f32 v[68:69], v[112:113], v[96:97], v[68:69] neg_lo:[0,0,1] neg_hi:[0,0,1]
	v_pk_add_f32 v[66:67], v[66:67], v[76:77]
	s_delay_alu instid0(VALU_DEP_3) | instskip(SKIP_1) | instid1(VALU_DEP_3)
	v_mov_b32_e32 v69, v71
	v_pk_fma_f32 v[70:71], v[134:135], v[130:131], v[74:75] op_sel_hi:[1,0,1]
	v_pk_add_f32 v[66:67], v[66:67], v[72:73]
	v_pk_fma_f32 v[72:73], v[134:135], v[130:131], v[74:75] neg_lo:[0,0,1] neg_hi:[0,0,1]
	s_delay_alu instid0(VALU_DEP_3) | instskip(NEXT) | instid1(VALU_DEP_3)
	v_mov_b32_e32 v73, v71
	v_pk_add_f32 v[66:67], v[66:67], v[68:69]
	s_delay_alu instid0(VALU_DEP_1) | instskip(SKIP_1) | instid1(VALU_DEP_1)
	v_pk_add_f32 v[66:67], v[66:67], v[72:73]
	s_wait_loadcnt 0x0
	v_pk_add_f32 v[66:67], v[132:133], v[66:67] neg_lo:[0,1] neg_hi:[0,1]
	scratch_store_b64 off, v[66:67], off offset:112
	s_wait_xcnt 0x0
	v_cmpx_lt_u32_e32 13, v0
	s_cbranch_execz .LBB31_179
; %bb.178:
	scratch_load_b64 v[66:67], off, off offset:104
	v_mov_b64_e32 v[68:69], 0
	scratch_store_b64 off, v[68:69], off offset:104
	s_wait_loadcnt 0x0
	ds_store_b64 v1, v[66:67]
.LBB31_179:
	s_wait_xcnt 0x0
	s_or_b32 exec_lo, exec_lo, s0
	s_wait_storecnt_dscnt 0x0
	s_barrier_signal -1
	s_barrier_wait -1
	s_clause 0x9
	scratch_load_b128 v[66:69], off, off offset:112
	scratch_load_b128 v[70:73], off, off offset:128
	;; [unrolled: 1-line block ×9, first 2 shown]
	scratch_load_b64 v[138:139], off, off offset:104
	ds_load_b128 v[102:105], v3 offset:448
	ds_load_b128 v[106:109], v3 offset:464
	;; [unrolled: 1-line block ×9, first 2 shown]
	s_mov_b32 s0, exec_lo
	s_wait_dscnt 0x8
	v_dual_mov_b32 v140, v105 :: v_dual_mov_b32 v141, v104
	s_wait_dscnt 0x7
	v_dual_mov_b32 v142, v109 :: v_dual_mov_b32 v143, v108
	;; [unrolled: 2-line block ×4, first 2 shown]
	s_wait_loadcnt_dscnt 0x904
	v_dual_mul_f32 v3, v118, v67 :: v_dual_mul_f32 v7, v120, v69
	v_dual_mul_f32 v23, v119, v67 :: v_dual_mul_f32 v25, v121, v69
	s_wait_loadcnt_dscnt 0x803
	v_dual_mul_f32 v11, v122, v71 :: v_dual_mul_f32 v13, v124, v73
	s_delay_alu instid0(VALU_DEP_3)
	v_fmac_f32_e32 v3, v119, v66
	s_wait_loadcnt_dscnt 0x601
	v_dual_fma_f32 v23, v118, v66, -v23 :: v_dual_mul_f32 v35, v131, v79
	v_dual_mul_f32 v27, v123, v71 :: v_dual_mul_f32 v29, v125, v73
	v_dual_fma_f32 v25, v120, v68, -v25 :: v_dual_fmac_f32 v7, v121, v68
	v_add_f32_e32 v3, 0, v3
	s_delay_alu instid0(VALU_DEP_4) | instskip(SKIP_1) | instid1(VALU_DEP_3)
	v_dual_add_f32 v23, 0, v23 :: v_dual_mul_f32 v37, v133, v81
	v_dual_fmac_f32 v11, v123, v70 :: v_dual_fmac_f32 v13, v125, v72
	v_dual_fma_f32 v27, v122, v70, -v27 :: v_dual_add_f32 v3, v3, v7
	s_delay_alu instid0(VALU_DEP_3) | instskip(SKIP_2) | instid1(VALU_DEP_4)
	v_dual_add_f32 v7, v23, v25 :: v_dual_fma_f32 v25, v124, v72, -v29
	v_dual_mul_f32 v15, v126, v75 :: v_dual_mul_f32 v17, v128, v77
	v_dual_mul_f32 v31, v127, v75 :: v_dual_mul_f32 v33, v129, v77
	v_add_f32_e32 v3, v3, v11
	s_delay_alu instid0(VALU_DEP_3) | instskip(NEXT) | instid1(VALU_DEP_4)
	v_dual_add_f32 v7, v7, v27 :: v_dual_fmac_f32 v17, v129, v76
	v_fmac_f32_e32 v15, v127, v74
	s_delay_alu instid0(VALU_DEP_3) | instskip(SKIP_1) | instid1(VALU_DEP_3)
	v_dual_fma_f32 v27, v126, v74, -v31 :: v_dual_add_f32 v3, v3, v13
	s_wait_loadcnt 0x4
	v_dual_mov_b32 v68, v89 :: v_dual_add_f32 v7, v7, v25
	v_dual_mul_f32 v19, v130, v79 :: v_dual_mul_f32 v21, v132, v81
	s_delay_alu instid0(VALU_DEP_3) | instskip(NEXT) | instid1(VALU_DEP_3)
	v_dual_fma_f32 v13, v128, v76, -v33 :: v_dual_add_f32 v3, v3, v15
	v_dual_fma_f32 v15, v130, v78, -v35 :: v_dual_add_f32 v7, v7, v27
	s_wait_dscnt 0x0
	v_dual_mul_f32 v149, v134, v83 :: v_dual_mul_f32 v151, v136, v85
	v_dual_mul_f32 v23, v135, v83 :: v_dual_mul_f32 v11, v137, v85
	v_pk_mul_f32 v[66:67], v[102:103], v[86:87] op_sel:[1,1] op_sel_hi:[0,1]
	s_wait_loadcnt 0x3
	v_dual_fmac_f32 v19, v131, v78 :: v_dual_mov_b32 v72, v93
	v_dual_add_f32 v7, v7, v13 :: v_dual_fmac_f32 v151, v137, v84
	v_dual_fmac_f32 v21, v133, v80 :: v_dual_add_f32 v3, v3, v17
	v_fma_f32 v148, v134, v82, -v23
	v_pk_mul_f32 v[70:71], v[106:107], v[90:91] op_sel:[1,1] op_sel_hi:[0,1]
	v_fma_f32 v13, v132, v80, -v37
	v_pk_fma_f32 v[76:77], v[102:103], v[86:87], v[66:67] op_sel_hi:[1,0,1]
	v_dual_add_f32 v3, v3, v19 :: v_dual_fma_f32 v150, v136, v84, -v11
	v_add_f32_e32 v7, v7, v15
	v_pk_mul_f32 v[68:69], v[140:141], v[68:69] op_sel_hi:[1,0]
	v_pk_fma_f32 v[66:67], v[102:103], v[86:87], v[66:67] neg_lo:[0,0,1] neg_hi:[0,0,1]
	s_delay_alu instid0(VALU_DEP_4)
	v_dual_add_f32 v75, v3, v21 :: v_dual_mov_b32 v67, v77
	v_pk_fma_f32 v[80:81], v[106:107], v[90:91], v[70:71] op_sel_hi:[1,0,1]
	v_add_f32_e32 v74, v7, v13
	v_pk_fma_f32 v[76:77], v[104:105], v[88:89], v[68:69] op_sel_hi:[1,0,1]
	v_fmac_f32_e32 v149, v135, v82
	v_pk_fma_f32 v[68:69], v[104:105], v[88:89], v[68:69] neg_lo:[0,0,1] neg_hi:[0,0,1]
	v_pk_fma_f32 v[70:71], v[106:107], v[90:91], v[70:71] neg_lo:[0,0,1] neg_hi:[0,0,1]
	s_delay_alu instid0(VALU_DEP_4) | instskip(NEXT) | instid1(VALU_DEP_4)
	v_dual_mov_b32 v71, v81 :: v_dual_mov_b32 v69, v77
	v_pk_add_f32 v[74:75], v[74:75], v[148:149]
	v_pk_mul_f32 v[72:73], v[142:143], v[72:73] op_sel_hi:[1,0]
	s_wait_loadcnt 0x2
	v_pk_mul_f32 v[78:79], v[110:111], v[94:95] op_sel:[1,1] op_sel_hi:[0,1]
	s_delay_alu instid0(VALU_DEP_3) | instskip(NEXT) | instid1(VALU_DEP_3)
	v_pk_add_f32 v[74:75], v[74:75], v[150:151]
	v_pk_fma_f32 v[76:77], v[108:109], v[92:93], v[72:73] op_sel_hi:[1,0,1]
	v_pk_fma_f32 v[72:73], v[108:109], v[92:93], v[72:73] neg_lo:[0,0,1] neg_hi:[0,0,1]
	s_delay_alu instid0(VALU_DEP_3) | instskip(SKIP_1) | instid1(VALU_DEP_2)
	v_pk_add_f32 v[66:67], v[74:75], v[66:67]
	v_mov_b32_e32 v74, v97
	v_pk_add_f32 v[66:67], v[66:67], v[68:69]
	v_pk_fma_f32 v[68:69], v[110:111], v[94:95], v[78:79] op_sel_hi:[1,0,1]
	s_delay_alu instid0(VALU_DEP_3)
	v_pk_mul_f32 v[74:75], v[144:145], v[74:75] op_sel_hi:[1,0]
	v_mov_b32_e32 v73, v77
	v_pk_fma_f32 v[76:77], v[110:111], v[94:95], v[78:79] neg_lo:[0,0,1] neg_hi:[0,0,1]
	v_pk_add_f32 v[66:67], v[66:67], v[70:71]
	v_mov_b32_e32 v77, v69
	v_pk_fma_f32 v[68:69], v[112:113], v[96:97], v[74:75] op_sel_hi:[1,0,1]
	s_wait_loadcnt 0x1
	v_pk_mul_f32 v[70:71], v[114:115], v[98:99] op_sel:[1,1] op_sel_hi:[0,1]
	v_mov_b32_e32 v68, v101
	v_pk_add_f32 v[66:67], v[66:67], v[72:73]
	v_pk_fma_f32 v[74:75], v[112:113], v[96:97], v[74:75] neg_lo:[0,0,1] neg_hi:[0,0,1]
	v_mov_b32_e32 v75, v69
	v_pk_fma_f32 v[72:73], v[114:115], v[98:99], v[70:71] op_sel_hi:[1,0,1]
	v_pk_mul_f32 v[68:69], v[146:147], v[68:69] op_sel_hi:[1,0]
	v_pk_add_f32 v[66:67], v[66:67], v[76:77]
	v_pk_fma_f32 v[70:71], v[114:115], v[98:99], v[70:71] neg_lo:[0,0,1] neg_hi:[0,0,1]
	s_delay_alu instid0(VALU_DEP_4) | instskip(NEXT) | instid1(VALU_DEP_4)
	v_mov_b32_e32 v71, v73
	v_pk_fma_f32 v[72:73], v[116:117], v[100:101], v[68:69] op_sel_hi:[1,0,1]
	s_delay_alu instid0(VALU_DEP_4) | instskip(SKIP_1) | instid1(VALU_DEP_3)
	v_pk_add_f32 v[66:67], v[66:67], v[74:75]
	v_pk_fma_f32 v[68:69], v[116:117], v[100:101], v[68:69] neg_lo:[0,0,1] neg_hi:[0,0,1]
	v_mov_b32_e32 v69, v73
	s_delay_alu instid0(VALU_DEP_3) | instskip(NEXT) | instid1(VALU_DEP_1)
	v_pk_add_f32 v[66:67], v[66:67], v[70:71]
	v_pk_add_f32 v[66:67], v[66:67], v[68:69]
	s_wait_loadcnt 0x0
	s_delay_alu instid0(VALU_DEP_1)
	v_pk_add_f32 v[66:67], v[138:139], v[66:67] neg_lo:[0,1] neg_hi:[0,1]
	scratch_store_b64 off, v[66:67], off offset:104
	s_wait_xcnt 0x0
	v_cmpx_lt_u32_e32 12, v0
	s_cbranch_execz .LBB31_181
; %bb.180:
	scratch_load_b64 v[66:67], off, off offset:96
	v_mov_b64_e32 v[68:69], 0
	scratch_store_b64 off, v[68:69], off offset:96
	s_wait_loadcnt 0x0
	ds_store_b64 v1, v[66:67]
.LBB31_181:
	s_wait_xcnt 0x0
	s_or_b32 exec_lo, exec_lo, s0
	s_wait_storecnt_dscnt 0x0
	s_barrier_signal -1
	s_barrier_wait -1
	s_clause 0xa
	scratch_load_b128 v[66:69], off, off offset:104
	scratch_load_b128 v[70:73], off, off offset:120
	;; [unrolled: 1-line block ×9, first 2 shown]
	scratch_load_b64 v[138:139], off, off offset:248
	scratch_load_b64 v[140:141], off, off offset:96
	v_mov_b32_e32 v3, 0
	ds_load_2addr_b64 v[102:105], v3 offset0:55 offset1:56
	ds_load_2addr_b64 v[106:109], v3 offset0:57 offset1:58
	ds_load_2addr_b64 v[110:113], v3 offset0:59 offset1:60
	ds_load_2addr_b64 v[114:117], v3 offset0:61 offset1:62
	ds_load_2addr_b64 v[118:121], v3 offset0:45 offset1:46
	ds_load_2addr_b64 v[122:125], v3 offset0:47 offset1:48
	ds_load_2addr_b64 v[126:129], v3 offset0:49 offset1:50
	ds_load_2addr_b64 v[130:133], v3 offset0:51 offset1:52
	ds_load_2addr_b64 v[134:137], v3 offset0:53 offset1:54
	ds_load_b64 v[142:143], v3 offset:504
	s_mov_b32 s0, exec_lo
	s_wait_dscnt 0x8
	v_dual_mov_b32 v145, v104 :: v_dual_mov_b32 v146, v109
	s_wait_dscnt 0x7
	v_dual_mov_b32 v147, v108 :: v_dual_mov_b32 v148, v113
	s_wait_dscnt 0x6
	v_dual_mov_b32 v151, v116 :: v_dual_mov_b32 v144, v105
	v_dual_mov_b32 v149, v112 :: v_dual_mov_b32 v150, v117
	s_wait_loadcnt_dscnt 0xa05
	v_dual_mul_f32 v7, v118, v67 :: v_dual_mul_f32 v27, v119, v67
	v_dual_mul_f32 v29, v121, v69 :: v_dual_mul_f32 v11, v120, v69
	s_wait_loadcnt_dscnt 0x904
	v_mul_f32_e32 v13, v122, v71
	s_wait_loadcnt_dscnt 0x702
	v_dual_mul_f32 v39, v131, v79 :: v_dual_fma_f32 v27, v118, v66, -v27
	v_dual_fmac_f32 v7, v119, v66 :: v_dual_mul_f32 v41, v133, v81
	v_dual_mul_f32 v31, v123, v71 :: v_dual_mul_f32 v33, v125, v73
	v_dual_fmac_f32 v11, v121, v68 :: v_dual_fma_f32 v29, v120, v68, -v29
	s_delay_alu instid0(VALU_DEP_3) | instskip(NEXT) | instid1(VALU_DEP_3)
	v_dual_add_f32 v7, 0, v7 :: v_dual_fmac_f32 v13, v123, v70
	v_dual_add_f32 v27, 0, v27 :: v_dual_fma_f32 v31, v122, v70, -v31
	v_dual_mul_f32 v15, v124, v73 :: v_dual_mul_f32 v17, v126, v75
	s_delay_alu instid0(VALU_DEP_3) | instskip(NEXT) | instid1(VALU_DEP_3)
	v_add_f32_e32 v7, v7, v11
	v_dual_add_f32 v11, v27, v29 :: v_dual_fma_f32 v29, v124, v72, -v33
	v_dual_mul_f32 v35, v127, v75 :: v_dual_mul_f32 v37, v129, v77
	s_delay_alu instid0(VALU_DEP_3) | instskip(SKIP_1) | instid1(VALU_DEP_3)
	v_dual_fmac_f32 v15, v125, v72 :: v_dual_add_f32 v7, v7, v13
	s_wait_loadcnt 0x5
	v_dual_add_f32 v11, v11, v31 :: v_dual_mov_b32 v66, v89
	v_dual_mul_f32 v19, v128, v77 :: v_dual_mul_f32 v21, v130, v79
	s_wait_loadcnt 0x4
	v_dual_fmac_f32 v17, v127, v74 :: v_dual_mov_b32 v70, v93
	v_dual_fma_f32 v31, v126, v74, -v35 :: v_dual_add_f32 v7, v7, v15
	v_dual_fma_f32 v15, v128, v76, -v37 :: v_dual_add_f32 v11, v11, v29
	s_wait_dscnt 0x1
	v_dual_mul_f32 v23, v132, v81 :: v_dual_mul_f32 v25, v134, v83
	v_dual_mul_f32 v13, v103, v87 :: v_dual_fmac_f32 v19, v129, v76
	s_delay_alu instid0(VALU_DEP_2)
	v_dual_add_f32 v7, v7, v17 :: v_dual_fmac_f32 v23, v133, v80
	v_dual_fma_f32 v17, v130, v78, -v39 :: v_dual_add_f32 v11, v11, v31
	v_dual_mul_f32 v153, v136, v85 :: v_dual_mul_f32 v155, v102, v87
	v_dual_mul_f32 v43, v135, v83 :: v_dual_mul_f32 v27, v137, v85
	v_pk_mul_f32 v[68:69], v[106:107], v[90:91] op_sel:[1,1] op_sel_hi:[0,1]
	v_fmac_f32_e32 v21, v131, v78
	v_add_f32_e32 v7, v7, v19
	v_dual_add_f32 v11, v11, v15 :: v_dual_fmac_f32 v153, v137, v84
	v_fma_f32 v15, v132, v80, -v41
	v_fma_f32 v152, v136, v84, -v27
	v_pk_fma_f32 v[80:81], v[106:107], v[90:91], v[68:69] op_sel_hi:[1,0,1]
	s_delay_alu instid0(VALU_DEP_4)
	v_dual_add_f32 v11, v11, v17 :: v_dual_fma_f32 v154, v102, v86, -v13
	v_dual_fma_f32 v17, v134, v82, -v43 :: v_dual_add_f32 v7, v7, v21
	s_wait_loadcnt 0x3
	v_mov_b32_e32 v76, v97
	v_pk_mul_f32 v[70:71], v[146:147], v[70:71] op_sel_hi:[1,0]
	v_pk_fma_f32 v[68:69], v[106:107], v[90:91], v[68:69] neg_lo:[0,0,1] neg_hi:[0,0,1]
	v_dual_fmac_f32 v25, v135, v82 :: v_dual_mov_b32 v69, v81
	v_add_f32_e32 v11, v11, v15
	s_delay_alu instid0(VALU_DEP_4) | instskip(SKIP_3) | instid1(VALU_DEP_4)
	v_pk_fma_f32 v[80:81], v[108:109], v[92:93], v[70:71] op_sel_hi:[1,0,1]
	v_add_f32_e32 v7, v7, v23
	v_pk_fma_f32 v[70:71], v[108:109], v[92:93], v[70:71] neg_lo:[0,0,1] neg_hi:[0,0,1]
	v_pk_mul_f32 v[66:67], v[144:145], v[66:67] op_sel_hi:[1,0]
	v_dual_add_f32 v74, v11, v17 :: v_dual_mov_b32 v71, v81
	s_delay_alu instid0(VALU_DEP_4) | instskip(SKIP_1) | instid1(VALU_DEP_4)
	v_add_f32_e32 v75, v7, v25
	v_fmac_f32_e32 v155, v103, v86
	v_pk_fma_f32 v[78:79], v[104:105], v[88:89], v[66:67] op_sel_hi:[1,0,1]
	v_pk_fma_f32 v[66:67], v[104:105], v[88:89], v[66:67] neg_lo:[0,0,1] neg_hi:[0,0,1]
	v_pk_mul_f32 v[72:73], v[110:111], v[94:95] op_sel:[1,1] op_sel_hi:[0,1]
	v_pk_add_f32 v[74:75], v[74:75], v[152:153]
	v_pk_mul_f32 v[76:77], v[148:149], v[76:77] op_sel_hi:[1,0]
	v_mov_b32_e32 v67, v79
	s_wait_loadcnt 0x2
	v_pk_mul_f32 v[78:79], v[114:115], v[98:99] op_sel:[1,1] op_sel_hi:[0,1]
	v_pk_add_f32 v[74:75], v[74:75], v[154:155]
	s_delay_alu instid0(VALU_DEP_1) | instskip(SKIP_2) | instid1(VALU_DEP_3)
	v_pk_add_f32 v[66:67], v[74:75], v[66:67]
	v_pk_fma_f32 v[74:75], v[110:111], v[94:95], v[72:73] op_sel_hi:[1,0,1]
	v_pk_fma_f32 v[72:73], v[110:111], v[94:95], v[72:73] neg_lo:[0,0,1] neg_hi:[0,0,1]
	v_pk_add_f32 v[66:67], v[66:67], v[68:69]
	s_delay_alu instid0(VALU_DEP_3) | instskip(SKIP_2) | instid1(VALU_DEP_4)
	v_dual_mov_b32 v68, v101 :: v_dual_mov_b32 v73, v75
	v_pk_fma_f32 v[74:75], v[112:113], v[96:97], v[76:77] op_sel_hi:[1,0,1]
	v_pk_fma_f32 v[76:77], v[112:113], v[96:97], v[76:77] neg_lo:[0,0,1] neg_hi:[0,0,1]
	v_pk_add_f32 v[66:67], v[66:67], v[70:71]
	v_pk_fma_f32 v[70:71], v[114:115], v[98:99], v[78:79] op_sel_hi:[1,0,1]
	v_pk_mul_f32 v[68:69], v[150:151], v[68:69] op_sel_hi:[1,0]
	v_mov_b32_e32 v77, v75
	s_wait_loadcnt_dscnt 0x100
	v_pk_mul_f32 v[74:75], v[142:143], v[138:139] op_sel:[1,1] op_sel_hi:[0,1]
	v_pk_add_f32 v[66:67], v[66:67], v[72:73]
	v_pk_fma_f32 v[72:73], v[114:115], v[98:99], v[78:79] neg_lo:[0,0,1] neg_hi:[0,0,1]
	v_mov_b32_e32 v73, v71
	v_pk_fma_f32 v[70:71], v[116:117], v[100:101], v[68:69] op_sel_hi:[1,0,1]
	v_pk_fma_f32 v[68:69], v[116:117], v[100:101], v[68:69] neg_lo:[0,0,1] neg_hi:[0,0,1]
	v_pk_add_f32 v[66:67], v[66:67], v[76:77]
	s_delay_alu instid0(VALU_DEP_3) | instskip(SKIP_1) | instid1(VALU_DEP_3)
	v_mov_b32_e32 v69, v71
	v_pk_fma_f32 v[70:71], v[142:143], v[138:139], v[74:75] op_sel_hi:[1,0,1]
	v_pk_add_f32 v[66:67], v[66:67], v[72:73]
	v_pk_fma_f32 v[72:73], v[142:143], v[138:139], v[74:75] neg_lo:[0,0,1] neg_hi:[0,0,1]
	s_delay_alu instid0(VALU_DEP_3) | instskip(NEXT) | instid1(VALU_DEP_3)
	v_mov_b32_e32 v73, v71
	v_pk_add_f32 v[66:67], v[66:67], v[68:69]
	s_delay_alu instid0(VALU_DEP_1) | instskip(SKIP_1) | instid1(VALU_DEP_1)
	v_pk_add_f32 v[66:67], v[66:67], v[72:73]
	s_wait_loadcnt 0x0
	v_pk_add_f32 v[66:67], v[140:141], v[66:67] neg_lo:[0,1] neg_hi:[0,1]
	scratch_store_b64 off, v[66:67], off offset:96
	s_wait_xcnt 0x0
	v_cmpx_lt_u32_e32 11, v0
	s_cbranch_execz .LBB31_183
; %bb.182:
	scratch_load_b64 v[66:67], off, off offset:88
	v_mov_b64_e32 v[68:69], 0
	scratch_store_b64 off, v[68:69], off offset:88
	s_wait_loadcnt 0x0
	ds_store_b64 v1, v[66:67]
.LBB31_183:
	s_wait_xcnt 0x0
	s_or_b32 exec_lo, exec_lo, s0
	s_wait_storecnt_dscnt 0x0
	s_barrier_signal -1
	s_barrier_wait -1
	s_clause 0xa
	scratch_load_b128 v[66:69], off, off offset:96
	scratch_load_b128 v[70:73], off, off offset:112
	;; [unrolled: 1-line block ×10, first 2 shown]
	scratch_load_b64 v[146:147], off, off offset:88
	ds_load_b128 v[106:109], v3 offset:448
	ds_load_b128 v[110:113], v3 offset:464
	;; [unrolled: 1-line block ×10, first 2 shown]
	s_mov_b32 s0, exec_lo
	s_wait_dscnt 0x9
	v_dual_mov_b32 v148, v109 :: v_dual_mov_b32 v149, v108
	s_wait_dscnt 0x8
	v_dual_mov_b32 v150, v113 :: v_dual_mov_b32 v151, v112
	;; [unrolled: 2-line block ×4, first 2 shown]
	s_wait_loadcnt_dscnt 0xa05
	v_dual_mul_f32 v3, v122, v67 :: v_dual_mul_f32 v7, v124, v69
	v_dual_mul_f32 v27, v123, v67 :: v_dual_mul_f32 v29, v125, v69
	s_wait_loadcnt_dscnt 0x904
	v_dual_mul_f32 v11, v126, v71 :: v_dual_mul_f32 v13, v128, v73
	s_delay_alu instid0(VALU_DEP_3)
	v_fmac_f32_e32 v3, v123, v66
	s_wait_loadcnt_dscnt 0x702
	v_dual_fma_f32 v27, v122, v66, -v27 :: v_dual_mul_f32 v39, v135, v79
	v_dual_mul_f32 v31, v127, v71 :: v_dual_mul_f32 v33, v129, v73
	v_dual_fma_f32 v29, v124, v68, -v29 :: v_dual_fmac_f32 v7, v125, v68
	v_add_f32_e32 v3, 0, v3
	s_delay_alu instid0(VALU_DEP_4) | instskip(SKIP_1) | instid1(VALU_DEP_3)
	v_dual_add_f32 v27, 0, v27 :: v_dual_mul_f32 v41, v137, v81
	v_dual_fmac_f32 v11, v127, v70 :: v_dual_fmac_f32 v13, v129, v72
	v_dual_fma_f32 v31, v126, v70, -v31 :: v_dual_add_f32 v3, v3, v7
	s_delay_alu instid0(VALU_DEP_3) | instskip(SKIP_2) | instid1(VALU_DEP_4)
	v_dual_add_f32 v7, v27, v29 :: v_dual_fma_f32 v29, v128, v72, -v33
	v_dual_mul_f32 v15, v130, v75 :: v_dual_mul_f32 v17, v132, v77
	v_dual_mul_f32 v35, v131, v75 :: v_dual_mul_f32 v37, v133, v77
	v_add_f32_e32 v3, v3, v11
	s_delay_alu instid0(VALU_DEP_3) | instskip(SKIP_2) | instid1(VALU_DEP_4)
	v_dual_add_f32 v7, v7, v31 :: v_dual_fmac_f32 v17, v133, v76
	v_dual_mul_f32 v19, v134, v79 :: v_dual_mul_f32 v21, v136, v81
	v_fmac_f32_e32 v15, v131, v74
	v_dual_fma_f32 v31, v130, v74, -v35 :: v_dual_add_f32 v3, v3, v13
	s_delay_alu instid0(VALU_DEP_3) | instskip(SKIP_2) | instid1(VALU_DEP_2)
	v_dual_add_f32 v7, v7, v29 :: v_dual_fmac_f32 v21, v137, v80
	s_wait_loadcnt_dscnt 0x601
	v_dual_fma_f32 v29, v132, v76, -v37 :: v_dual_mul_f32 v23, v138, v83
	v_dual_mul_f32 v25, v140, v85 :: v_dual_add_f32 v7, v7, v31
	s_wait_loadcnt 0x4
	v_dual_mov_b32 v68, v93 :: v_dual_fma_f32 v31, v134, v78, -v39
	v_add_f32_e32 v3, v3, v15
	v_dual_mul_f32 v27, v139, v83 :: v_dual_mul_f32 v11, v141, v85
	v_dual_fmac_f32 v19, v135, v78 :: v_dual_fmac_f32 v25, v141, v84
	s_delay_alu instid0(VALU_DEP_3) | instskip(NEXT) | instid1(VALU_DEP_3)
	v_add_f32_e32 v3, v3, v17
	v_dual_add_f32 v7, v7, v29 :: v_dual_fma_f32 v11, v140, v84, -v11
	s_wait_dscnt 0x0
	v_dual_mul_f32 v13, v143, v87 :: v_dual_mul_f32 v15, v145, v89
	v_pk_mul_f32 v[66:67], v[106:107], v[90:91] op_sel:[1,1] op_sel_hi:[0,1]
	v_dual_fma_f32 v17, v136, v80, -v41 :: v_dual_add_f32 v3, v3, v19
	s_wait_loadcnt 0x3
	v_dual_mov_b32 v72, v97 :: v_dual_add_f32 v7, v7, v31
	v_dual_fma_f32 v156, v142, v86, -v13 :: v_dual_mul_f32 v157, v142, v87
	v_dual_mul_f32 v159, v144, v89 :: v_dual_fma_f32 v19, v138, v82, -v27
	v_add_f32_e32 v3, v3, v21
	s_delay_alu instid0(VALU_DEP_4)
	v_dual_add_f32 v7, v7, v17 :: v_dual_fma_f32 v158, v144, v88, -v15
	v_pk_fma_f32 v[76:77], v[106:107], v[90:91], v[66:67] op_sel_hi:[1,0,1]
	v_fmac_f32_e32 v23, v139, v82
	v_pk_mul_f32 v[68:69], v[148:149], v[68:69] op_sel_hi:[1,0]
	v_pk_fma_f32 v[66:67], v[106:107], v[90:91], v[66:67] neg_lo:[0,0,1] neg_hi:[0,0,1]
	v_pk_mul_f32 v[70:71], v[110:111], v[94:95] op_sel:[1,1] op_sel_hi:[0,1]
	v_dual_add_f32 v7, v7, v19 :: v_dual_fmac_f32 v159, v145, v88
	v_mov_b32_e32 v67, v77
	v_pk_fma_f32 v[76:77], v[108:109], v[92:93], v[68:69] op_sel_hi:[1,0,1]
	v_add_f32_e32 v3, v3, v23
	v_pk_mul_f32 v[72:73], v[150:151], v[72:73] op_sel_hi:[1,0]
	v_pk_fma_f32 v[68:69], v[108:109], v[92:93], v[68:69] neg_lo:[0,0,1] neg_hi:[0,0,1]
	v_add_f32_e32 v74, v7, v11
	v_pk_fma_f32 v[80:81], v[110:111], v[94:95], v[70:71] op_sel_hi:[1,0,1]
	v_dual_fmac_f32 v157, v143, v86 :: v_dual_mov_b32 v69, v77
	v_pk_fma_f32 v[76:77], v[112:113], v[96:97], v[72:73] op_sel_hi:[1,0,1]
	v_add_f32_e32 v75, v3, v25
	v_pk_fma_f32 v[70:71], v[110:111], v[94:95], v[70:71] neg_lo:[0,0,1] neg_hi:[0,0,1]
	v_pk_fma_f32 v[72:73], v[112:113], v[96:97], v[72:73] neg_lo:[0,0,1] neg_hi:[0,0,1]
	s_delay_alu instid0(VALU_DEP_4) | instskip(NEXT) | instid1(VALU_DEP_4)
	v_dual_mov_b32 v71, v81 :: v_dual_mov_b32 v73, v77
	v_pk_add_f32 v[74:75], v[74:75], v[156:157]
	s_wait_loadcnt 0x2
	v_pk_mul_f32 v[78:79], v[114:115], v[98:99] op_sel:[1,1] op_sel_hi:[0,1]
	s_delay_alu instid0(VALU_DEP_2) | instskip(NEXT) | instid1(VALU_DEP_2)
	v_pk_add_f32 v[74:75], v[74:75], v[158:159]
	v_pk_fma_f32 v[76:77], v[114:115], v[98:99], v[78:79] neg_lo:[0,0,1] neg_hi:[0,0,1]
	s_delay_alu instid0(VALU_DEP_2) | instskip(SKIP_1) | instid1(VALU_DEP_2)
	v_pk_add_f32 v[66:67], v[74:75], v[66:67]
	v_mov_b32_e32 v74, v101
	v_pk_add_f32 v[66:67], v[66:67], v[68:69]
	v_pk_fma_f32 v[68:69], v[114:115], v[98:99], v[78:79] op_sel_hi:[1,0,1]
	s_delay_alu instid0(VALU_DEP_3) | instskip(NEXT) | instid1(VALU_DEP_3)
	v_pk_mul_f32 v[74:75], v[152:153], v[74:75] op_sel_hi:[1,0]
	v_pk_add_f32 v[66:67], v[66:67], v[70:71]
	s_delay_alu instid0(VALU_DEP_3) | instskip(NEXT) | instid1(VALU_DEP_3)
	v_mov_b32_e32 v77, v69
	v_pk_fma_f32 v[68:69], v[116:117], v[100:101], v[74:75] op_sel_hi:[1,0,1]
	s_wait_loadcnt 0x1
	v_pk_mul_f32 v[70:71], v[118:119], v[102:103] op_sel:[1,1] op_sel_hi:[0,1]
	v_mov_b32_e32 v68, v105
	v_pk_add_f32 v[66:67], v[66:67], v[72:73]
	v_pk_fma_f32 v[74:75], v[116:117], v[100:101], v[74:75] neg_lo:[0,0,1] neg_hi:[0,0,1]
	v_mov_b32_e32 v75, v69
	v_pk_fma_f32 v[72:73], v[118:119], v[102:103], v[70:71] op_sel_hi:[1,0,1]
	v_pk_mul_f32 v[68:69], v[154:155], v[68:69] op_sel_hi:[1,0]
	v_pk_add_f32 v[66:67], v[66:67], v[76:77]
	v_pk_fma_f32 v[70:71], v[118:119], v[102:103], v[70:71] neg_lo:[0,0,1] neg_hi:[0,0,1]
	s_delay_alu instid0(VALU_DEP_4) | instskip(NEXT) | instid1(VALU_DEP_4)
	v_mov_b32_e32 v71, v73
	v_pk_fma_f32 v[72:73], v[120:121], v[104:105], v[68:69] op_sel_hi:[1,0,1]
	s_delay_alu instid0(VALU_DEP_4) | instskip(SKIP_1) | instid1(VALU_DEP_3)
	v_pk_add_f32 v[66:67], v[66:67], v[74:75]
	v_pk_fma_f32 v[68:69], v[120:121], v[104:105], v[68:69] neg_lo:[0,0,1] neg_hi:[0,0,1]
	v_mov_b32_e32 v69, v73
	s_delay_alu instid0(VALU_DEP_3) | instskip(NEXT) | instid1(VALU_DEP_1)
	v_pk_add_f32 v[66:67], v[66:67], v[70:71]
	v_pk_add_f32 v[66:67], v[66:67], v[68:69]
	s_wait_loadcnt 0x0
	s_delay_alu instid0(VALU_DEP_1)
	v_pk_add_f32 v[66:67], v[146:147], v[66:67] neg_lo:[0,1] neg_hi:[0,1]
	scratch_store_b64 off, v[66:67], off offset:88
	s_wait_xcnt 0x0
	v_cmpx_lt_u32_e32 10, v0
	s_cbranch_execz .LBB31_185
; %bb.184:
	scratch_load_b64 v[66:67], off, off offset:80
	v_mov_b64_e32 v[68:69], 0
	scratch_store_b64 off, v[68:69], off offset:80
	s_wait_loadcnt 0x0
	ds_store_b64 v1, v[66:67]
.LBB31_185:
	s_wait_xcnt 0x0
	s_or_b32 exec_lo, exec_lo, s0
	s_wait_storecnt_dscnt 0x0
	s_barrier_signal -1
	s_barrier_wait -1
	s_clause 0xb
	scratch_load_b128 v[66:69], off, off offset:88
	scratch_load_b128 v[70:73], off, off offset:104
	scratch_load_b128 v[74:77], off, off offset:120
	scratch_load_b128 v[78:81], off, off offset:136
	scratch_load_b128 v[82:85], off, off offset:152
	scratch_load_b128 v[86:89], off, off offset:168
	scratch_load_b128 v[90:93], off, off offset:184
	scratch_load_b128 v[94:97], off, off offset:200
	scratch_load_b128 v[98:101], off, off offset:216
	scratch_load_b128 v[102:105], off, off offset:232
	scratch_load_b64 v[146:147], off, off offset:248
	scratch_load_b64 v[148:149], off, off offset:80
	v_mov_b32_e32 v3, 0
	ds_load_2addr_b64 v[106:109], v3 offset0:55 offset1:56
	ds_load_2addr_b64 v[110:113], v3 offset0:57 offset1:58
	;; [unrolled: 1-line block ×10, first 2 shown]
	ds_load_b64 v[150:151], v3 offset:504
	s_mov_b32 s0, exec_lo
	s_wait_dscnt 0x9
	v_dual_mov_b32 v153, v108 :: v_dual_mov_b32 v154, v113
	s_wait_dscnt 0x8
	v_dual_mov_b32 v155, v112 :: v_dual_mov_b32 v156, v117
	;; [unrolled: 2-line block ×3, first 2 shown]
	v_dual_mov_b32 v157, v116 :: v_dual_mov_b32 v158, v121
	s_wait_loadcnt_dscnt 0xb06
	v_dual_mul_f32 v7, v122, v67 :: v_dual_mul_f32 v31, v123, v67
	v_dual_mul_f32 v33, v125, v69 :: v_dual_mul_f32 v11, v124, v69
	s_wait_loadcnt_dscnt 0xa05
	v_mul_f32_e32 v13, v126, v71
	s_wait_loadcnt_dscnt 0x803
	v_dual_mul_f32 v43, v135, v79 :: v_dual_fma_f32 v31, v122, v66, -v31
	v_dual_fmac_f32 v7, v123, v66 :: v_dual_mul_f32 v45, v137, v81
	v_dual_mul_f32 v35, v127, v71 :: v_dual_mul_f32 v37, v129, v73
	v_dual_fmac_f32 v11, v125, v68 :: v_dual_fma_f32 v33, v124, v68, -v33
	s_delay_alu instid0(VALU_DEP_3) | instskip(NEXT) | instid1(VALU_DEP_3)
	v_dual_add_f32 v7, 0, v7 :: v_dual_fmac_f32 v13, v127, v70
	v_dual_add_f32 v31, 0, v31 :: v_dual_fma_f32 v35, v126, v70, -v35
	v_dual_mul_f32 v15, v128, v73 :: v_dual_mul_f32 v17, v130, v75
	s_delay_alu instid0(VALU_DEP_3) | instskip(NEXT) | instid1(VALU_DEP_3)
	v_add_f32_e32 v7, v7, v11
	v_dual_add_f32 v11, v31, v33 :: v_dual_fma_f32 v33, v128, v72, -v37
	v_dual_mul_f32 v39, v131, v75 :: v_dual_mul_f32 v41, v133, v77
	s_delay_alu instid0(VALU_DEP_3) | instskip(NEXT) | instid1(VALU_DEP_3)
	v_dual_fmac_f32 v15, v129, v72 :: v_dual_add_f32 v7, v7, v13
	v_dual_add_f32 v11, v11, v35 :: v_dual_mul_f32 v19, v132, v77
	v_dual_mul_f32 v21, v134, v79 :: v_dual_fmac_f32 v17, v131, v74
	s_wait_loadcnt 0x5
	v_dual_mov_b32 v66, v93 :: v_dual_fma_f32 v35, v130, v74, -v39
	s_wait_dscnt 0x1
	v_dual_add_f32 v7, v7, v15 :: v_dual_mul_f32 v15, v145, v89
	v_add_f32_e32 v11, v11, v33
	v_dual_mul_f32 v23, v136, v81 :: v_dual_mul_f32 v25, v138, v83
	v_dual_mul_f32 v13, v143, v87 :: v_dual_fmac_f32 v19, v133, v76
	s_delay_alu instid0(VALU_DEP_4) | instskip(NEXT) | instid1(VALU_DEP_3)
	v_dual_fma_f32 v33, v132, v76, -v41 :: v_dual_add_f32 v7, v7, v17
	v_dual_fmac_f32 v23, v137, v80 :: v_dual_add_f32 v11, v11, v35
	v_dual_mul_f32 v27, v140, v85 :: v_dual_mul_f32 v29, v142, v87
	v_dual_mul_f32 v47, v139, v83 :: v_dual_mul_f32 v31, v141, v85
	s_wait_loadcnt 0x4
	v_dual_fmac_f32 v21, v135, v78 :: v_dual_mov_b32 v70, v97
	v_dual_fma_f32 v35, v134, v78, -v43 :: v_dual_add_f32 v7, v7, v19
	v_fmac_f32_e32 v27, v141, v84
	v_dual_fma_f32 v19, v136, v80, -v45 :: v_dual_add_f32 v11, v11, v33
	v_dual_mul_f32 v161, v144, v89 :: v_dual_mul_f32 v163, v106, v91
	s_delay_alu instid0(VALU_DEP_4) | instskip(NEXT) | instid1(VALU_DEP_2)
	v_dual_add_f32 v7, v7, v21 :: v_dual_fma_f32 v13, v142, v86, -v13
	v_dual_add_f32 v11, v11, v35 :: v_dual_fmac_f32 v161, v145, v88
	v_pk_mul_f32 v[68:69], v[110:111], v[94:95] op_sel:[1,1] op_sel_hi:[0,1]
	v_dual_mul_f32 v17, v107, v91 :: v_dual_fma_f32 v21, v138, v82, -v47
	v_dual_fmac_f32 v25, v139, v82 :: v_dual_fma_f32 v160, v144, v88, -v15
	s_wait_loadcnt 0x3
	v_dual_add_f32 v7, v7, v23 :: v_dual_mov_b32 v76, v101
	s_delay_alu instid0(VALU_DEP_3) | instskip(SKIP_4) | instid1(VALU_DEP_4)
	v_dual_add_f32 v11, v11, v19 :: v_dual_fma_f32 v162, v106, v90, -v17
	v_pk_fma_f32 v[80:81], v[110:111], v[94:95], v[68:69] op_sel_hi:[1,0,1]
	v_pk_mul_f32 v[70:71], v[154:155], v[70:71] op_sel_hi:[1,0]
	v_pk_fma_f32 v[68:69], v[110:111], v[94:95], v[68:69] neg_lo:[0,0,1] neg_hi:[0,0,1]
	v_dual_fma_f32 v19, v140, v84, -v31 :: v_dual_add_f32 v7, v7, v25
	v_mov_b32_e32 v69, v81
	s_delay_alu instid0(VALU_DEP_4) | instskip(SKIP_3) | instid1(VALU_DEP_4)
	v_pk_fma_f32 v[80:81], v[112:113], v[96:97], v[70:71] op_sel_hi:[1,0,1]
	v_add_f32_e32 v11, v11, v21
	v_pk_fma_f32 v[70:71], v[112:113], v[96:97], v[70:71] neg_lo:[0,0,1] neg_hi:[0,0,1]
	v_fmac_f32_e32 v29, v143, v86
	v_dual_add_f32 v7, v7, v27 :: v_dual_mov_b32 v71, v81
	s_delay_alu instid0(VALU_DEP_4) | instskip(SKIP_2) | instid1(VALU_DEP_4)
	v_add_f32_e32 v11, v11, v19
	v_pk_mul_f32 v[66:67], v[152:153], v[66:67] op_sel_hi:[1,0]
	v_fmac_f32_e32 v163, v107, v90
	v_add_f32_e32 v75, v7, v29
	v_pk_mul_f32 v[72:73], v[114:115], v[98:99] op_sel:[1,1] op_sel_hi:[0,1]
	v_add_f32_e32 v74, v11, v13
	v_pk_fma_f32 v[78:79], v[108:109], v[92:93], v[66:67] op_sel_hi:[1,0,1]
	v_pk_fma_f32 v[66:67], v[108:109], v[92:93], v[66:67] neg_lo:[0,0,1] neg_hi:[0,0,1]
	v_pk_mul_f32 v[76:77], v[156:157], v[76:77] op_sel_hi:[1,0]
	s_delay_alu instid0(VALU_DEP_4) | instskip(NEXT) | instid1(VALU_DEP_4)
	v_pk_add_f32 v[74:75], v[74:75], v[160:161]
	v_mov_b32_e32 v67, v79
	s_wait_loadcnt 0x2
	v_pk_mul_f32 v[78:79], v[118:119], v[102:103] op_sel:[1,1] op_sel_hi:[0,1]
	s_delay_alu instid0(VALU_DEP_3) | instskip(NEXT) | instid1(VALU_DEP_1)
	v_pk_add_f32 v[74:75], v[74:75], v[162:163]
	v_pk_add_f32 v[66:67], v[74:75], v[66:67]
	v_pk_fma_f32 v[74:75], v[114:115], v[98:99], v[72:73] op_sel_hi:[1,0,1]
	v_pk_fma_f32 v[72:73], v[114:115], v[98:99], v[72:73] neg_lo:[0,0,1] neg_hi:[0,0,1]
	s_delay_alu instid0(VALU_DEP_3) | instskip(NEXT) | instid1(VALU_DEP_3)
	v_pk_add_f32 v[66:67], v[66:67], v[68:69]
	v_dual_mov_b32 v68, v105 :: v_dual_mov_b32 v73, v75
	v_pk_fma_f32 v[74:75], v[116:117], v[100:101], v[76:77] op_sel_hi:[1,0,1]
	v_pk_fma_f32 v[76:77], v[116:117], v[100:101], v[76:77] neg_lo:[0,0,1] neg_hi:[0,0,1]
	s_delay_alu instid0(VALU_DEP_4)
	v_pk_add_f32 v[66:67], v[66:67], v[70:71]
	v_pk_fma_f32 v[70:71], v[118:119], v[102:103], v[78:79] op_sel_hi:[1,0,1]
	v_pk_mul_f32 v[68:69], v[158:159], v[68:69] op_sel_hi:[1,0]
	v_mov_b32_e32 v77, v75
	s_wait_loadcnt_dscnt 0x100
	v_pk_mul_f32 v[74:75], v[150:151], v[146:147] op_sel:[1,1] op_sel_hi:[0,1]
	v_pk_add_f32 v[66:67], v[66:67], v[72:73]
	v_pk_fma_f32 v[72:73], v[118:119], v[102:103], v[78:79] neg_lo:[0,0,1] neg_hi:[0,0,1]
	v_mov_b32_e32 v73, v71
	v_pk_fma_f32 v[70:71], v[120:121], v[104:105], v[68:69] op_sel_hi:[1,0,1]
	v_pk_fma_f32 v[68:69], v[120:121], v[104:105], v[68:69] neg_lo:[0,0,1] neg_hi:[0,0,1]
	v_pk_add_f32 v[66:67], v[66:67], v[76:77]
	s_delay_alu instid0(VALU_DEP_3) | instskip(SKIP_1) | instid1(VALU_DEP_3)
	v_mov_b32_e32 v69, v71
	v_pk_fma_f32 v[70:71], v[150:151], v[146:147], v[74:75] op_sel_hi:[1,0,1]
	v_pk_add_f32 v[66:67], v[66:67], v[72:73]
	v_pk_fma_f32 v[72:73], v[150:151], v[146:147], v[74:75] neg_lo:[0,0,1] neg_hi:[0,0,1]
	s_delay_alu instid0(VALU_DEP_3) | instskip(NEXT) | instid1(VALU_DEP_3)
	v_mov_b32_e32 v73, v71
	v_pk_add_f32 v[66:67], v[66:67], v[68:69]
	s_delay_alu instid0(VALU_DEP_1) | instskip(SKIP_1) | instid1(VALU_DEP_1)
	v_pk_add_f32 v[66:67], v[66:67], v[72:73]
	s_wait_loadcnt 0x0
	v_pk_add_f32 v[66:67], v[148:149], v[66:67] neg_lo:[0,1] neg_hi:[0,1]
	scratch_store_b64 off, v[66:67], off offset:80
	s_wait_xcnt 0x0
	v_cmpx_lt_u32_e32 9, v0
	s_cbranch_execz .LBB31_187
; %bb.186:
	scratch_load_b64 v[66:67], off, off offset:72
	v_mov_b64_e32 v[68:69], 0
	scratch_store_b64 off, v[68:69], off offset:72
	s_wait_loadcnt 0x0
	ds_store_b64 v1, v[66:67]
.LBB31_187:
	s_wait_xcnt 0x0
	s_or_b32 exec_lo, exec_lo, s0
	s_wait_storecnt_dscnt 0x0
	s_barrier_signal -1
	s_barrier_wait -1
	s_clause 0xb
	scratch_load_b128 v[66:69], off, off offset:80
	scratch_load_b128 v[70:73], off, off offset:96
	;; [unrolled: 1-line block ×11, first 2 shown]
	scratch_load_b64 v[154:155], off, off offset:72
	ds_load_b128 v[110:113], v3 offset:448
	ds_load_b128 v[114:117], v3 offset:464
	;; [unrolled: 1-line block ×11, first 2 shown]
	s_mov_b32 s0, exec_lo
	s_wait_dscnt 0xa
	v_dual_mov_b32 v156, v113 :: v_dual_mov_b32 v157, v112
	s_wait_dscnt 0x9
	v_dual_mov_b32 v158, v117 :: v_dual_mov_b32 v159, v116
	;; [unrolled: 2-line block ×4, first 2 shown]
	s_wait_loadcnt_dscnt 0xb06
	v_dual_mul_f32 v3, v126, v67 :: v_dual_mul_f32 v7, v128, v69
	v_dual_mul_f32 v31, v127, v67 :: v_dual_mul_f32 v33, v129, v69
	s_wait_loadcnt_dscnt 0xa05
	v_dual_mul_f32 v35, v131, v71 :: v_dual_mul_f32 v37, v133, v73
	s_delay_alu instid0(VALU_DEP_3) | instskip(SKIP_3) | instid1(VALU_DEP_3)
	v_fmac_f32_e32 v3, v127, v66
	s_wait_loadcnt_dscnt 0x803
	v_dual_fma_f32 v31, v126, v66, -v31 :: v_dual_mul_f32 v43, v139, v79
	v_dual_fma_f32 v33, v128, v68, -v33 :: v_dual_fmac_f32 v7, v129, v68
	v_add_f32_e32 v3, 0, v3
	s_delay_alu instid0(VALU_DEP_3) | instskip(SKIP_1) | instid1(VALU_DEP_3)
	v_dual_add_f32 v31, 0, v31 :: v_dual_mul_f32 v45, v141, v81
	v_dual_mul_f32 v11, v130, v71 :: v_dual_mul_f32 v13, v132, v73
	v_dual_fma_f32 v35, v130, v70, -v35 :: v_dual_add_f32 v3, v3, v7
	s_delay_alu instid0(VALU_DEP_3) | instskip(SKIP_3) | instid1(VALU_DEP_3)
	v_dual_add_f32 v7, v31, v33 :: v_dual_fma_f32 v33, v132, v72, -v37
	v_dual_mul_f32 v15, v134, v75 :: v_dual_mul_f32 v17, v136, v77
	v_dual_mul_f32 v39, v135, v75 :: v_dual_mul_f32 v41, v137, v77
	v_dual_fmac_f32 v11, v131, v70 :: v_dual_fmac_f32 v13, v133, v72
	v_dual_add_f32 v7, v7, v35 :: v_dual_fmac_f32 v17, v137, v76
	v_dual_mul_f32 v19, v138, v79 :: v_dual_mul_f32 v21, v140, v81
	s_delay_alu instid0(VALU_DEP_3) | instskip(NEXT) | instid1(VALU_DEP_3)
	v_dual_add_f32 v3, v3, v11 :: v_dual_fma_f32 v35, v134, v74, -v39
	v_add_f32_e32 v7, v7, v33
	v_dual_fmac_f32 v15, v135, v74 :: v_dual_fma_f32 v33, v136, v76, -v41
	s_delay_alu instid0(VALU_DEP_3) | instskip(NEXT) | instid1(VALU_DEP_3)
	v_dual_add_f32 v3, v3, v13 :: v_dual_fmac_f32 v21, v141, v80
	v_add_f32_e32 v7, v7, v35
	s_wait_loadcnt_dscnt 0x702
	v_dual_mul_f32 v31, v143, v83 :: v_dual_mul_f32 v11, v145, v85
	s_delay_alu instid0(VALU_DEP_3) | instskip(NEXT) | instid1(VALU_DEP_3)
	v_dual_fma_f32 v35, v138, v78, -v43 :: v_dual_add_f32 v3, v3, v15
	v_dual_add_f32 v7, v7, v33 :: v_dual_mul_f32 v23, v142, v83
	s_wait_loadcnt_dscnt 0x601
	v_dual_mul_f32 v25, v144, v85 :: v_dual_mul_f32 v27, v146, v87
	v_dual_mul_f32 v29, v148, v89 :: v_dual_fmac_f32 v19, v139, v78
	v_dual_fma_f32 v33, v140, v80, -v45 :: v_dual_add_f32 v3, v3, v17
	v_fma_f32 v31, v142, v82, -v31
	v_dual_fma_f32 v11, v144, v84, -v11 :: v_dual_add_f32 v7, v7, v35
	s_delay_alu instid0(VALU_DEP_4)
	v_dual_fmac_f32 v29, v149, v88 :: v_dual_mul_f32 v13, v147, v87
	s_wait_loadcnt_dscnt 0x500
	v_dual_mul_f32 v15, v149, v89 :: v_dual_mul_f32 v17, v151, v91
	s_wait_loadcnt 0x4
	v_dual_mov_b32 v68, v97 :: v_dual_add_f32 v7, v7, v33
	v_dual_fmac_f32 v25, v145, v84 :: v_dual_add_f32 v3, v3, v19
	v_dual_fma_f32 v13, v146, v86, -v13 :: v_dual_mul_f32 v19, v153, v93
	s_wait_loadcnt 0x3
	v_dual_fmac_f32 v23, v143, v82 :: v_dual_mov_b32 v72, v101
	s_delay_alu instid0(VALU_DEP_3) | instskip(SKIP_4) | instid1(VALU_DEP_4)
	v_add_f32_e32 v3, v3, v21
	v_pk_mul_f32 v[66:67], v[110:111], v[94:95] op_sel:[1,1] op_sel_hi:[0,1]
	v_dual_fma_f32 v164, v150, v90, -v17 :: v_dual_add_f32 v7, v7, v31
	v_dual_fma_f32 v166, v152, v92, -v19 :: v_dual_mul_f32 v165, v150, v91
	v_mul_f32_e32 v167, v152, v93
	v_pk_fma_f32 v[76:77], v[110:111], v[94:95], v[66:67] op_sel_hi:[1,0,1]
	s_delay_alu instid0(VALU_DEP_4) | instskip(NEXT) | instid1(VALU_DEP_3)
	v_dual_add_f32 v7, v7, v11 :: v_dual_fma_f32 v11, v148, v88, -v15
	v_dual_add_f32 v3, v3, v23 :: v_dual_fmac_f32 v167, v153, v92
	v_pk_mul_f32 v[68:69], v[156:157], v[68:69] op_sel_hi:[1,0]
	v_pk_fma_f32 v[66:67], v[110:111], v[94:95], v[66:67] neg_lo:[0,0,1] neg_hi:[0,0,1]
	v_dual_fmac_f32 v27, v147, v86 :: v_dual_mov_b32 v67, v77
	v_pk_mul_f32 v[70:71], v[114:115], v[98:99] op_sel:[1,1] op_sel_hi:[0,1]
	s_delay_alu instid0(VALU_DEP_4) | instskip(SKIP_4) | instid1(VALU_DEP_4)
	v_pk_fma_f32 v[76:77], v[112:113], v[96:97], v[68:69] op_sel_hi:[1,0,1]
	v_add_f32_e32 v3, v3, v25
	v_pk_mul_f32 v[72:73], v[158:159], v[72:73] op_sel_hi:[1,0]
	v_pk_fma_f32 v[68:69], v[112:113], v[96:97], v[68:69] neg_lo:[0,0,1] neg_hi:[0,0,1]
	v_pk_fma_f32 v[80:81], v[114:115], v[98:99], v[70:71] op_sel_hi:[1,0,1]
	v_dual_mov_b32 v69, v77 :: v_dual_add_f32 v3, v3, v27
	s_delay_alu instid0(VALU_DEP_4)
	v_pk_fma_f32 v[76:77], v[116:117], v[100:101], v[72:73] op_sel_hi:[1,0,1]
	v_add_f32_e32 v7, v7, v13
	v_pk_fma_f32 v[70:71], v[114:115], v[98:99], v[70:71] neg_lo:[0,0,1] neg_hi:[0,0,1]
	v_pk_fma_f32 v[72:73], v[116:117], v[100:101], v[72:73] neg_lo:[0,0,1] neg_hi:[0,0,1]
	v_dual_fmac_f32 v165, v151, v90 :: v_dual_mov_b32 v71, v81
	v_dual_add_f32 v75, v3, v29 :: v_dual_mov_b32 v73, v77
	v_add_f32_e32 v74, v7, v11
	s_wait_loadcnt 0x2
	v_pk_mul_f32 v[78:79], v[118:119], v[102:103] op_sel:[1,1] op_sel_hi:[0,1]
	s_delay_alu instid0(VALU_DEP_2) | instskip(NEXT) | instid1(VALU_DEP_2)
	v_pk_add_f32 v[74:75], v[74:75], v[164:165]
	v_pk_fma_f32 v[76:77], v[118:119], v[102:103], v[78:79] neg_lo:[0,0,1] neg_hi:[0,0,1]
	s_delay_alu instid0(VALU_DEP_2) | instskip(NEXT) | instid1(VALU_DEP_1)
	v_pk_add_f32 v[74:75], v[74:75], v[166:167]
	v_pk_add_f32 v[66:67], v[74:75], v[66:67]
	v_mov_b32_e32 v74, v105
	s_delay_alu instid0(VALU_DEP_2) | instskip(SKIP_1) | instid1(VALU_DEP_3)
	v_pk_add_f32 v[66:67], v[66:67], v[68:69]
	v_pk_fma_f32 v[68:69], v[118:119], v[102:103], v[78:79] op_sel_hi:[1,0,1]
	v_pk_mul_f32 v[74:75], v[160:161], v[74:75] op_sel_hi:[1,0]
	s_delay_alu instid0(VALU_DEP_3) | instskip(NEXT) | instid1(VALU_DEP_3)
	v_pk_add_f32 v[66:67], v[66:67], v[70:71]
	v_mov_b32_e32 v77, v69
	s_delay_alu instid0(VALU_DEP_3)
	v_pk_fma_f32 v[68:69], v[120:121], v[104:105], v[74:75] op_sel_hi:[1,0,1]
	s_wait_loadcnt 0x1
	v_pk_mul_f32 v[70:71], v[122:123], v[106:107] op_sel:[1,1] op_sel_hi:[0,1]
	v_mov_b32_e32 v68, v109
	v_pk_add_f32 v[66:67], v[66:67], v[72:73]
	v_pk_fma_f32 v[74:75], v[120:121], v[104:105], v[74:75] neg_lo:[0,0,1] neg_hi:[0,0,1]
	v_mov_b32_e32 v75, v69
	v_pk_fma_f32 v[72:73], v[122:123], v[106:107], v[70:71] op_sel_hi:[1,0,1]
	v_pk_mul_f32 v[68:69], v[162:163], v[68:69] op_sel_hi:[1,0]
	v_pk_add_f32 v[66:67], v[66:67], v[76:77]
	v_pk_fma_f32 v[70:71], v[122:123], v[106:107], v[70:71] neg_lo:[0,0,1] neg_hi:[0,0,1]
	s_delay_alu instid0(VALU_DEP_4) | instskip(NEXT) | instid1(VALU_DEP_4)
	v_mov_b32_e32 v71, v73
	v_pk_fma_f32 v[72:73], v[124:125], v[108:109], v[68:69] op_sel_hi:[1,0,1]
	s_delay_alu instid0(VALU_DEP_4) | instskip(SKIP_1) | instid1(VALU_DEP_3)
	v_pk_add_f32 v[66:67], v[66:67], v[74:75]
	v_pk_fma_f32 v[68:69], v[124:125], v[108:109], v[68:69] neg_lo:[0,0,1] neg_hi:[0,0,1]
	v_mov_b32_e32 v69, v73
	s_delay_alu instid0(VALU_DEP_3) | instskip(NEXT) | instid1(VALU_DEP_1)
	v_pk_add_f32 v[66:67], v[66:67], v[70:71]
	v_pk_add_f32 v[66:67], v[66:67], v[68:69]
	s_wait_loadcnt 0x0
	s_delay_alu instid0(VALU_DEP_1)
	v_pk_add_f32 v[66:67], v[154:155], v[66:67] neg_lo:[0,1] neg_hi:[0,1]
	scratch_store_b64 off, v[66:67], off offset:72
	s_wait_xcnt 0x0
	v_cmpx_lt_u32_e32 8, v0
	s_cbranch_execz .LBB31_189
; %bb.188:
	scratch_load_b64 v[66:67], off, off offset:64
	v_mov_b64_e32 v[68:69], 0
	scratch_store_b64 off, v[68:69], off offset:64
	s_wait_loadcnt 0x0
	ds_store_b64 v1, v[66:67]
.LBB31_189:
	s_wait_xcnt 0x0
	s_or_b32 exec_lo, exec_lo, s0
	s_wait_storecnt_dscnt 0x0
	s_barrier_signal -1
	s_barrier_wait -1
	s_clause 0xc
	scratch_load_b128 v[66:69], off, off offset:72
	scratch_load_b128 v[70:73], off, off offset:88
	;; [unrolled: 1-line block ×11, first 2 shown]
	scratch_load_b64 v[154:155], off, off offset:248
	scratch_load_b64 v[156:157], off, off offset:64
	v_mov_b32_e32 v3, 0
	ds_load_2addr_b64 v[110:113], v3 offset0:55 offset1:56
	ds_load_2addr_b64 v[114:117], v3 offset0:57 offset1:58
	;; [unrolled: 1-line block ×11, first 2 shown]
	ds_load_b64 v[158:159], v3 offset:504
	s_mov_b32 s0, exec_lo
	s_wait_dscnt 0xa
	v_dual_mov_b32 v161, v112 :: v_dual_mov_b32 v162, v117
	s_wait_dscnt 0x9
	v_dual_mov_b32 v163, v116 :: v_dual_mov_b32 v164, v121
	;; [unrolled: 2-line block ×3, first 2 shown]
	v_dual_mov_b32 v165, v120 :: v_dual_mov_b32 v166, v125
	s_wait_loadcnt_dscnt 0xc07
	v_dual_mul_f32 v7, v126, v67 :: v_dual_mul_f32 v11, v128, v69
	s_wait_loadcnt_dscnt 0xb06
	v_mul_f32_e32 v13, v130, v71
	v_dual_mul_f32 v35, v127, v67 :: v_dual_mul_f32 v37, v129, v69
	s_wait_loadcnt_dscnt 0x904
	v_dual_fmac_f32 v7, v127, v66 :: v_dual_mul_f32 v49, v141, v81
	s_delay_alu instid0(VALU_DEP_2) | instskip(NEXT) | instid1(VALU_DEP_3)
	v_dual_mul_f32 v47, v139, v79 :: v_dual_fma_f32 v35, v126, v66, -v35
	v_dual_fmac_f32 v11, v129, v68 :: v_dual_fma_f32 v37, v128, v68, -v37
	s_delay_alu instid0(VALU_DEP_3) | instskip(SKIP_3) | instid1(VALU_DEP_3)
	v_dual_add_f32 v7, 0, v7 :: v_dual_fmac_f32 v13, v131, v70
	v_dual_mul_f32 v15, v132, v73 :: v_dual_mul_f32 v17, v134, v75
	v_dual_mul_f32 v39, v131, v71 :: v_dual_mul_f32 v41, v133, v73
	v_add_f32_e32 v35, 0, v35
	v_dual_add_f32 v7, v7, v11 :: v_dual_fmac_f32 v15, v133, v72
	v_dual_mul_f32 v43, v135, v75 :: v_dual_mul_f32 v45, v137, v77
	s_delay_alu instid0(VALU_DEP_3) | instskip(NEXT) | instid1(VALU_DEP_3)
	v_dual_fma_f32 v39, v130, v70, -v39 :: v_dual_add_f32 v11, v35, v37
	v_dual_fma_f32 v37, v132, v72, -v41 :: v_dual_add_f32 v7, v7, v13
	v_dual_mul_f32 v19, v136, v77 :: v_dual_mul_f32 v21, v138, v79
	s_delay_alu instid0(VALU_DEP_3) | instskip(SKIP_1) | instid1(VALU_DEP_4)
	v_add_f32_e32 v11, v11, v39
	v_dual_fmac_f32 v17, v135, v74 :: v_dual_fma_f32 v39, v134, v74, -v43
	v_dual_add_f32 v7, v7, v15 :: v_dual_mul_f32 v23, v140, v81
	s_wait_loadcnt_dscnt 0x803
	v_mul_f32_e32 v25, v142, v83
	s_wait_loadcnt_dscnt 0x701
	v_dual_mul_f32 v13, v151, v87 :: v_dual_fmac_f32 v19, v137, v76
	v_mul_f32_e32 v15, v153, v89
	v_dual_add_f32 v11, v11, v37 :: v_dual_fma_f32 v37, v136, v76, -v45
	v_dual_add_f32 v7, v7, v17 :: v_dual_fmac_f32 v23, v141, v80
	v_dual_mul_f32 v27, v144, v85 :: v_dual_mul_f32 v29, v150, v87
	s_delay_alu instid0(VALU_DEP_3) | instskip(SKIP_2) | instid1(VALU_DEP_3)
	v_add_f32_e32 v11, v11, v39
	s_wait_loadcnt 0x5
	v_dual_fmac_f32 v21, v139, v78 :: v_dual_mov_b32 v66, v97
	v_dual_add_f32 v7, v7, v19 :: v_dual_fmac_f32 v27, v145, v84
	v_dual_mul_f32 v51, v143, v83 :: v_dual_mul_f32 v35, v145, v85
	v_dual_fma_f32 v39, v138, v78, -v47 :: v_dual_add_f32 v11, v11, v37
	s_delay_alu instid0(VALU_DEP_3) | instskip(SKIP_2) | instid1(VALU_DEP_3)
	v_dual_add_f32 v7, v7, v21 :: v_dual_fma_f32 v13, v150, v86, -v13
	v_dual_mul_f32 v17, v147, v91 :: v_dual_fma_f32 v37, v140, v80, -v49
	v_dual_mul_f32 v169, v148, v93 :: v_dual_mul_f32 v171, v110, v95
	v_dual_add_f32 v7, v7, v23 :: v_dual_fma_f32 v23, v144, v84, -v35
	s_wait_loadcnt 0x4
	v_dual_add_f32 v11, v11, v39 :: v_dual_mov_b32 v70, v101
	v_fma_f32 v39, v142, v82, -v51
	v_pk_mul_f32 v[68:69], v[114:115], v[98:99] op_sel:[1,1] op_sel_hi:[0,1]
	s_delay_alu instid0(VALU_DEP_3) | instskip(NEXT) | instid1(VALU_DEP_4)
	v_dual_fmac_f32 v169, v149, v92 :: v_dual_add_f32 v11, v11, v37
	v_pk_mul_f32 v[70:71], v[162:163], v[70:71] op_sel_hi:[1,0]
	v_dual_fmac_f32 v25, v143, v82 :: v_dual_fma_f32 v15, v152, v88, -v15
	s_delay_alu instid0(VALU_DEP_4) | instskip(SKIP_3) | instid1(VALU_DEP_3)
	v_pk_fma_f32 v[80:81], v[114:115], v[98:99], v[68:69] op_sel_hi:[1,0,1]
	s_wait_loadcnt 0x3
	v_dual_add_f32 v11, v11, v39 :: v_dual_mov_b32 v76, v105
	v_pk_fma_f32 v[68:69], v[114:115], v[98:99], v[68:69] neg_lo:[0,0,1] neg_hi:[0,0,1]
	v_dual_fmac_f32 v29, v151, v86 :: v_dual_mov_b32 v69, v81
	v_pk_fma_f32 v[80:81], v[116:117], v[100:101], v[70:71] op_sel_hi:[1,0,1]
	s_delay_alu instid0(VALU_DEP_4) | instskip(SKIP_3) | instid1(VALU_DEP_4)
	v_add_f32_e32 v11, v11, v23
	v_pk_fma_f32 v[70:71], v[116:117], v[100:101], v[70:71] neg_lo:[0,0,1] neg_hi:[0,0,1]
	v_dual_mul_f32 v31, v152, v89 :: v_dual_mul_f32 v33, v146, v91
	v_mul_f32_e32 v19, v149, v93
	v_dual_mov_b32 v71, v81 :: v_dual_add_f32 v11, v11, v13
	v_dual_fma_f32 v13, v146, v90, -v17 :: v_dual_add_f32 v7, v7, v25
	s_delay_alu instid0(VALU_DEP_3) | instskip(SKIP_1) | instid1(VALU_DEP_3)
	v_dual_fma_f32 v168, v148, v92, -v19 :: v_dual_mul_f32 v21, v111, v95
	v_dual_fmac_f32 v31, v153, v88 :: v_dual_fmac_f32 v33, v147, v90
	v_add_f32_e32 v7, v7, v27
	s_delay_alu instid0(VALU_DEP_3) | instskip(SKIP_2) | instid1(VALU_DEP_4)
	v_dual_add_f32 v11, v11, v15 :: v_dual_fma_f32 v170, v110, v94, -v21
	v_pk_mul_f32 v[66:67], v[160:161], v[66:67] op_sel_hi:[1,0]
	v_fmac_f32_e32 v171, v111, v94
	v_add_f32_e32 v7, v7, v29
	s_delay_alu instid0(VALU_DEP_4)
	v_add_f32_e32 v74, v11, v13
	v_pk_mul_f32 v[72:73], v[118:119], v[102:103] op_sel:[1,1] op_sel_hi:[0,1]
	v_pk_fma_f32 v[78:79], v[112:113], v[96:97], v[66:67] op_sel_hi:[1,0,1]
	v_pk_fma_f32 v[66:67], v[112:113], v[96:97], v[66:67] neg_lo:[0,0,1] neg_hi:[0,0,1]
	v_add_f32_e32 v7, v7, v31
	v_pk_mul_f32 v[76:77], v[164:165], v[76:77] op_sel_hi:[1,0]
	s_delay_alu instid0(VALU_DEP_4) | instskip(SKIP_3) | instid1(VALU_DEP_1)
	v_mov_b32_e32 v67, v79
	s_wait_loadcnt 0x2
	v_pk_mul_f32 v[78:79], v[122:123], v[106:107] op_sel:[1,1] op_sel_hi:[0,1]
	v_add_f32_e32 v75, v7, v33
	v_pk_add_f32 v[74:75], v[74:75], v[168:169]
	s_delay_alu instid0(VALU_DEP_1) | instskip(NEXT) | instid1(VALU_DEP_1)
	v_pk_add_f32 v[74:75], v[74:75], v[170:171]
	v_pk_add_f32 v[66:67], v[74:75], v[66:67]
	v_pk_fma_f32 v[74:75], v[118:119], v[102:103], v[72:73] op_sel_hi:[1,0,1]
	v_pk_fma_f32 v[72:73], v[118:119], v[102:103], v[72:73] neg_lo:[0,0,1] neg_hi:[0,0,1]
	s_delay_alu instid0(VALU_DEP_3) | instskip(NEXT) | instid1(VALU_DEP_3)
	v_pk_add_f32 v[66:67], v[66:67], v[68:69]
	v_dual_mov_b32 v68, v109 :: v_dual_mov_b32 v73, v75
	v_pk_fma_f32 v[74:75], v[120:121], v[104:105], v[76:77] op_sel_hi:[1,0,1]
	v_pk_fma_f32 v[76:77], v[120:121], v[104:105], v[76:77] neg_lo:[0,0,1] neg_hi:[0,0,1]
	s_delay_alu instid0(VALU_DEP_4)
	v_pk_add_f32 v[66:67], v[66:67], v[70:71]
	v_pk_fma_f32 v[70:71], v[122:123], v[106:107], v[78:79] op_sel_hi:[1,0,1]
	v_pk_mul_f32 v[68:69], v[166:167], v[68:69] op_sel_hi:[1,0]
	v_mov_b32_e32 v77, v75
	s_wait_loadcnt_dscnt 0x100
	v_pk_mul_f32 v[74:75], v[158:159], v[154:155] op_sel:[1,1] op_sel_hi:[0,1]
	v_pk_add_f32 v[66:67], v[66:67], v[72:73]
	v_pk_fma_f32 v[72:73], v[122:123], v[106:107], v[78:79] neg_lo:[0,0,1] neg_hi:[0,0,1]
	v_mov_b32_e32 v73, v71
	v_pk_fma_f32 v[70:71], v[124:125], v[108:109], v[68:69] op_sel_hi:[1,0,1]
	v_pk_fma_f32 v[68:69], v[124:125], v[108:109], v[68:69] neg_lo:[0,0,1] neg_hi:[0,0,1]
	v_pk_add_f32 v[66:67], v[66:67], v[76:77]
	s_delay_alu instid0(VALU_DEP_3) | instskip(SKIP_1) | instid1(VALU_DEP_3)
	v_mov_b32_e32 v69, v71
	v_pk_fma_f32 v[70:71], v[158:159], v[154:155], v[74:75] op_sel_hi:[1,0,1]
	v_pk_add_f32 v[66:67], v[66:67], v[72:73]
	v_pk_fma_f32 v[72:73], v[158:159], v[154:155], v[74:75] neg_lo:[0,0,1] neg_hi:[0,0,1]
	s_delay_alu instid0(VALU_DEP_3) | instskip(NEXT) | instid1(VALU_DEP_3)
	v_mov_b32_e32 v73, v71
	v_pk_add_f32 v[66:67], v[66:67], v[68:69]
	s_delay_alu instid0(VALU_DEP_1) | instskip(SKIP_1) | instid1(VALU_DEP_1)
	v_pk_add_f32 v[66:67], v[66:67], v[72:73]
	s_wait_loadcnt 0x0
	v_pk_add_f32 v[66:67], v[156:157], v[66:67] neg_lo:[0,1] neg_hi:[0,1]
	scratch_store_b64 off, v[66:67], off offset:64
	s_wait_xcnt 0x0
	v_cmpx_lt_u32_e32 7, v0
	s_cbranch_execz .LBB31_191
; %bb.190:
	scratch_load_b64 v[66:67], off, off offset:56
	v_mov_b64_e32 v[68:69], 0
	scratch_store_b64 off, v[68:69], off offset:56
	s_wait_loadcnt 0x0
	ds_store_b64 v1, v[66:67]
.LBB31_191:
	s_wait_xcnt 0x0
	s_or_b32 exec_lo, exec_lo, s0
	s_wait_storecnt_dscnt 0x0
	s_barrier_signal -1
	s_barrier_wait -1
	s_clause 0xc
	scratch_load_b128 v[66:69], off, off offset:64
	scratch_load_b128 v[70:73], off, off offset:80
	;; [unrolled: 1-line block ×12, first 2 shown]
	scratch_load_b64 v[162:163], off, off offset:56
	ds_load_b128 v[114:117], v3 offset:448
	ds_load_b128 v[118:121], v3 offset:464
	;; [unrolled: 1-line block ×12, first 2 shown]
	s_mov_b32 s0, exec_lo
	s_wait_dscnt 0xb
	v_dual_mov_b32 v164, v117 :: v_dual_mov_b32 v165, v116
	s_wait_dscnt 0xa
	v_dual_mov_b32 v166, v121 :: v_dual_mov_b32 v167, v120
	;; [unrolled: 2-line block ×4, first 2 shown]
	s_wait_loadcnt_dscnt 0xc07
	v_dual_mul_f32 v3, v130, v67 :: v_dual_mul_f32 v7, v132, v69
	v_dual_mul_f32 v35, v131, v67 :: v_dual_mul_f32 v37, v133, v69
	s_wait_loadcnt_dscnt 0xb06
	v_dual_mul_f32 v39, v135, v71 :: v_dual_mul_f32 v41, v137, v73
	s_delay_alu instid0(VALU_DEP_3) | instskip(SKIP_3) | instid1(VALU_DEP_3)
	v_fmac_f32_e32 v3, v131, v66
	s_wait_loadcnt_dscnt 0x904
	v_dual_fma_f32 v35, v130, v66, -v35 :: v_dual_mul_f32 v47, v143, v79
	v_dual_fma_f32 v37, v132, v68, -v37 :: v_dual_fmac_f32 v7, v133, v68
	v_add_f32_e32 v3, 0, v3
	s_delay_alu instid0(VALU_DEP_3) | instskip(SKIP_1) | instid1(VALU_DEP_3)
	v_dual_add_f32 v35, 0, v35 :: v_dual_mul_f32 v49, v145, v81
	v_dual_mul_f32 v11, v134, v71 :: v_dual_mul_f32 v13, v136, v73
	v_dual_fma_f32 v39, v134, v70, -v39 :: v_dual_add_f32 v3, v3, v7
	s_delay_alu instid0(VALU_DEP_3) | instskip(SKIP_3) | instid1(VALU_DEP_3)
	v_dual_add_f32 v7, v35, v37 :: v_dual_fma_f32 v37, v136, v72, -v41
	v_dual_mul_f32 v15, v138, v75 :: v_dual_mul_f32 v17, v140, v77
	v_dual_mul_f32 v43, v139, v75 :: v_dual_mul_f32 v45, v141, v77
	v_dual_fmac_f32 v11, v135, v70 :: v_dual_fmac_f32 v13, v137, v72
	v_dual_add_f32 v7, v7, v39 :: v_dual_fmac_f32 v17, v141, v76
	v_dual_mul_f32 v19, v142, v79 :: v_dual_mul_f32 v21, v144, v81
	s_delay_alu instid0(VALU_DEP_3) | instskip(NEXT) | instid1(VALU_DEP_3)
	v_dual_add_f32 v3, v3, v11 :: v_dual_fma_f32 v39, v138, v74, -v43
	v_add_f32_e32 v7, v7, v37
	v_dual_fmac_f32 v15, v139, v74 :: v_dual_fma_f32 v37, v140, v76, -v45
	s_wait_loadcnt_dscnt 0x803
	v_dual_fmac_f32 v21, v145, v80 :: v_dual_mul_f32 v35, v147, v83
	s_delay_alu instid0(VALU_DEP_3) | instskip(SKIP_3) | instid1(VALU_DEP_3)
	v_dual_mul_f32 v11, v149, v85 :: v_dual_add_f32 v7, v7, v39
	v_dual_add_f32 v3, v3, v13 :: v_dual_fma_f32 v39, v142, v78, -v47
	s_wait_loadcnt_dscnt 0x702
	v_dual_mul_f32 v27, v150, v87 :: v_dual_mul_f32 v29, v152, v89
	v_dual_add_f32 v7, v7, v37 :: v_dual_fma_f32 v11, v148, v84, -v11
	s_delay_alu instid0(VALU_DEP_3) | instskip(SKIP_1) | instid1(VALU_DEP_3)
	v_dual_add_f32 v3, v3, v15 :: v_dual_fma_f32 v37, v144, v80, -v49
	v_dual_mul_f32 v23, v146, v83 :: v_dual_mul_f32 v25, v148, v85
	v_dual_add_f32 v7, v7, v39 :: v_dual_fmac_f32 v29, v153, v88
	v_fmac_f32_e32 v19, v143, v78
	s_delay_alu instid0(VALU_DEP_4)
	v_dual_add_f32 v3, v3, v17 :: v_dual_fma_f32 v35, v146, v82, -v35
	s_wait_loadcnt_dscnt 0x601
	v_mul_f32_e32 v17, v155, v91
	v_add_f32_e32 v7, v7, v37
	v_dual_mul_f32 v13, v151, v87 :: v_dual_mul_f32 v15, v153, v89
	s_wait_loadcnt 0x4
	v_dual_fmac_f32 v23, v147, v82 :: v_dual_mov_b32 v68, v101
	v_dual_fmac_f32 v25, v149, v84 :: v_dual_add_f32 v3, v3, v19
	s_delay_alu instid0(VALU_DEP_3)
	v_dual_fma_f32 v13, v150, v86, -v13 :: v_dual_add_f32 v7, v7, v35
	s_wait_loadcnt 0x3
	v_mov_b32_e32 v72, v105
	v_pk_mul_f32 v[66:67], v[114:115], v[98:99] op_sel:[1,1] op_sel_hi:[0,1]
	s_wait_dscnt 0x0
	v_dual_mul_f32 v173, v158, v95 :: v_dual_mul_f32 v175, v160, v97
	v_add_f32_e32 v3, v3, v21
	v_add_f32_e32 v7, v7, v11
	v_pk_fma_f32 v[76:77], v[114:115], v[98:99], v[66:67] op_sel_hi:[1,0,1]
	v_pk_mul_f32 v[68:69], v[164:165], v[68:69] op_sel_hi:[1,0]
	v_pk_fma_f32 v[66:67], v[114:115], v[98:99], v[66:67] neg_lo:[0,0,1] neg_hi:[0,0,1]
	v_dual_mul_f32 v31, v154, v91 :: v_dual_mul_f32 v33, v156, v93
	v_dual_mul_f32 v19, v157, v93 :: v_dual_fmac_f32 v27, v151, v86
	v_dual_mov_b32 v67, v77 :: v_dual_fma_f32 v11, v152, v88, -v15
	v_dual_add_f32 v3, v3, v23 :: v_dual_fmac_f32 v175, v161, v96
	v_pk_fma_f32 v[76:77], v[116:117], v[100:101], v[68:69] op_sel_hi:[1,0,1]
	v_add_f32_e32 v7, v7, v13
	v_pk_mul_f32 v[72:73], v[166:167], v[72:73] op_sel_hi:[1,0]
	v_pk_fma_f32 v[68:69], v[116:117], v[100:101], v[68:69] neg_lo:[0,0,1] neg_hi:[0,0,1]
	v_dual_mul_f32 v21, v159, v95 :: v_dual_fmac_f32 v33, v157, v92
	v_mov_b32_e32 v69, v77
	s_delay_alu instid0(VALU_DEP_4) | instskip(SKIP_1) | instid1(VALU_DEP_4)
	v_pk_fma_f32 v[76:77], v[120:121], v[104:105], v[72:73] op_sel_hi:[1,0,1]
	v_dual_add_f32 v7, v7, v11 :: v_dual_fma_f32 v11, v156, v92, -v19
	v_dual_add_f32 v3, v3, v25 :: v_dual_fma_f32 v172, v158, v94, -v21
	v_mul_f32_e32 v23, v161, v97
	v_pk_mul_f32 v[70:71], v[118:119], v[102:103] op_sel:[1,1] op_sel_hi:[0,1]
	v_fmac_f32_e32 v31, v155, v90
	s_delay_alu instid0(VALU_DEP_4) | instskip(NEXT) | instid1(VALU_DEP_4)
	v_dual_add_f32 v3, v3, v27 :: v_dual_fma_f32 v13, v154, v90, -v17
	v_fma_f32 v174, v160, v96, -v23
	s_delay_alu instid0(VALU_DEP_4) | instskip(SKIP_1) | instid1(VALU_DEP_4)
	v_pk_fma_f32 v[80:81], v[118:119], v[102:103], v[70:71] op_sel_hi:[1,0,1]
	v_pk_fma_f32 v[70:71], v[118:119], v[102:103], v[70:71] neg_lo:[0,0,1] neg_hi:[0,0,1]
	v_add_f32_e32 v3, v3, v29
	v_pk_fma_f32 v[72:73], v[120:121], v[104:105], v[72:73] neg_lo:[0,0,1] neg_hi:[0,0,1]
	v_dual_mov_b32 v73, v77 :: v_dual_add_f32 v7, v7, v13
	s_delay_alu instid0(VALU_DEP_3)
	v_dual_mov_b32 v71, v81 :: v_dual_add_f32 v3, v3, v31
	v_fmac_f32_e32 v173, v159, v94
	s_wait_loadcnt 0x2
	v_pk_mul_f32 v[78:79], v[122:123], v[106:107] op_sel:[1,1] op_sel_hi:[0,1]
	v_add_f32_e32 v74, v7, v11
	v_add_f32_e32 v75, v3, v33
	s_delay_alu instid0(VALU_DEP_3) | instskip(NEXT) | instid1(VALU_DEP_2)
	v_pk_fma_f32 v[76:77], v[122:123], v[106:107], v[78:79] neg_lo:[0,0,1] neg_hi:[0,0,1]
	v_pk_add_f32 v[74:75], v[74:75], v[172:173]
	s_delay_alu instid0(VALU_DEP_1) | instskip(NEXT) | instid1(VALU_DEP_1)
	v_pk_add_f32 v[74:75], v[74:75], v[174:175]
	v_pk_add_f32 v[66:67], v[74:75], v[66:67]
	v_mov_b32_e32 v74, v109
	s_delay_alu instid0(VALU_DEP_2) | instskip(SKIP_1) | instid1(VALU_DEP_3)
	v_pk_add_f32 v[66:67], v[66:67], v[68:69]
	v_pk_fma_f32 v[68:69], v[122:123], v[106:107], v[78:79] op_sel_hi:[1,0,1]
	v_pk_mul_f32 v[74:75], v[168:169], v[74:75] op_sel_hi:[1,0]
	s_delay_alu instid0(VALU_DEP_3) | instskip(NEXT) | instid1(VALU_DEP_3)
	v_pk_add_f32 v[66:67], v[66:67], v[70:71]
	v_mov_b32_e32 v77, v69
	s_delay_alu instid0(VALU_DEP_3)
	v_pk_fma_f32 v[68:69], v[124:125], v[108:109], v[74:75] op_sel_hi:[1,0,1]
	s_wait_loadcnt 0x1
	v_pk_mul_f32 v[70:71], v[126:127], v[110:111] op_sel:[1,1] op_sel_hi:[0,1]
	v_mov_b32_e32 v68, v113
	v_pk_add_f32 v[66:67], v[66:67], v[72:73]
	v_pk_fma_f32 v[74:75], v[124:125], v[108:109], v[74:75] neg_lo:[0,0,1] neg_hi:[0,0,1]
	v_mov_b32_e32 v75, v69
	v_pk_fma_f32 v[72:73], v[126:127], v[110:111], v[70:71] op_sel_hi:[1,0,1]
	v_pk_mul_f32 v[68:69], v[170:171], v[68:69] op_sel_hi:[1,0]
	v_pk_add_f32 v[66:67], v[66:67], v[76:77]
	v_pk_fma_f32 v[70:71], v[126:127], v[110:111], v[70:71] neg_lo:[0,0,1] neg_hi:[0,0,1]
	s_delay_alu instid0(VALU_DEP_4) | instskip(NEXT) | instid1(VALU_DEP_4)
	v_mov_b32_e32 v71, v73
	v_pk_fma_f32 v[72:73], v[128:129], v[112:113], v[68:69] op_sel_hi:[1,0,1]
	s_delay_alu instid0(VALU_DEP_4) | instskip(SKIP_1) | instid1(VALU_DEP_3)
	v_pk_add_f32 v[66:67], v[66:67], v[74:75]
	v_pk_fma_f32 v[68:69], v[128:129], v[112:113], v[68:69] neg_lo:[0,0,1] neg_hi:[0,0,1]
	v_mov_b32_e32 v69, v73
	s_delay_alu instid0(VALU_DEP_3) | instskip(NEXT) | instid1(VALU_DEP_1)
	v_pk_add_f32 v[66:67], v[66:67], v[70:71]
	v_pk_add_f32 v[66:67], v[66:67], v[68:69]
	s_wait_loadcnt 0x0
	s_delay_alu instid0(VALU_DEP_1)
	v_pk_add_f32 v[66:67], v[162:163], v[66:67] neg_lo:[0,1] neg_hi:[0,1]
	scratch_store_b64 off, v[66:67], off offset:56
	s_wait_xcnt 0x0
	v_cmpx_lt_u32_e32 6, v0
	s_cbranch_execz .LBB31_193
; %bb.192:
	scratch_load_b64 v[66:67], off, off offset:48
	v_mov_b64_e32 v[68:69], 0
	scratch_store_b64 off, v[68:69], off offset:48
	s_wait_loadcnt 0x0
	ds_store_b64 v1, v[66:67]
.LBB31_193:
	s_wait_xcnt 0x0
	s_or_b32 exec_lo, exec_lo, s0
	s_wait_storecnt_dscnt 0x0
	s_barrier_signal -1
	s_barrier_wait -1
	s_clause 0xd
	scratch_load_b128 v[66:69], off, off offset:56
	scratch_load_b128 v[70:73], off, off offset:72
	;; [unrolled: 1-line block ×12, first 2 shown]
	scratch_load_b64 v[162:163], off, off offset:248
	scratch_load_b64 v[164:165], off, off offset:48
	v_mov_b32_e32 v3, 0
	ds_load_2addr_b64 v[114:117], v3 offset0:55 offset1:56
	ds_load_2addr_b64 v[118:121], v3 offset0:57 offset1:58
	;; [unrolled: 1-line block ×12, first 2 shown]
	ds_load_b64 v[166:167], v3 offset:504
	s_mov_b32 s0, exec_lo
	s_wait_dscnt 0xb
	v_dual_mov_b32 v169, v116 :: v_dual_mov_b32 v170, v121
	s_wait_dscnt 0xa
	v_dual_mov_b32 v171, v120 :: v_dual_mov_b32 v172, v125
	;; [unrolled: 2-line block ×3, first 2 shown]
	v_dual_mov_b32 v173, v124 :: v_dual_mov_b32 v174, v129
	s_wait_loadcnt_dscnt 0xd08
	v_dual_mul_f32 v7, v130, v67 :: v_dual_mul_f32 v39, v131, v67
	v_dual_mul_f32 v41, v133, v69 :: v_dual_mul_f32 v11, v132, v69
	s_wait_loadcnt_dscnt 0xc07
	v_mul_f32_e32 v13, v134, v71
	s_wait_loadcnt_dscnt 0xa05
	v_dual_mul_f32 v51, v143, v79 :: v_dual_fma_f32 v39, v130, v66, -v39
	v_dual_fmac_f32 v7, v131, v66 :: v_dual_mul_f32 v53, v145, v81
	v_dual_mul_f32 v43, v135, v71 :: v_dual_mul_f32 v45, v137, v73
	v_dual_fmac_f32 v11, v133, v68 :: v_dual_fma_f32 v41, v132, v68, -v41
	s_delay_alu instid0(VALU_DEP_3) | instskip(NEXT) | instid1(VALU_DEP_3)
	v_dual_add_f32 v7, 0, v7 :: v_dual_fmac_f32 v13, v135, v70
	v_dual_add_f32 v39, 0, v39 :: v_dual_fma_f32 v43, v134, v70, -v43
	v_dual_mul_f32 v15, v136, v73 :: v_dual_mul_f32 v17, v138, v75
	s_delay_alu instid0(VALU_DEP_3) | instskip(NEXT) | instid1(VALU_DEP_3)
	v_add_f32_e32 v7, v7, v11
	v_dual_add_f32 v11, v39, v41 :: v_dual_fma_f32 v41, v136, v72, -v45
	v_dual_mul_f32 v47, v139, v75 :: v_dual_mul_f32 v49, v141, v77
	s_delay_alu instid0(VALU_DEP_3) | instskip(NEXT) | instid1(VALU_DEP_2)
	v_dual_fmac_f32 v15, v137, v72 :: v_dual_add_f32 v7, v7, v13
	v_dual_add_f32 v11, v11, v43 :: v_dual_fma_f32 v43, v138, v74, -v47
	v_dual_mul_f32 v19, v140, v77 :: v_dual_mul_f32 v21, v142, v79
	s_wait_loadcnt_dscnt 0x803
	s_delay_alu instid0(VALU_DEP_3) | instskip(NEXT) | instid1(VALU_DEP_3)
	v_dual_add_f32 v7, v7, v15 :: v_dual_mul_f32 v15, v153, v89
	v_dual_add_f32 v11, v11, v41 :: v_dual_fma_f32 v41, v140, v76, -v49
	v_dual_mul_f32 v55, v147, v83 :: v_dual_mul_f32 v39, v149, v85
	v_fmac_f32_e32 v17, v139, v74
	s_delay_alu instid0(VALU_DEP_3) | instskip(SKIP_2) | instid1(VALU_DEP_3)
	v_dual_add_f32 v11, v11, v43 :: v_dual_fma_f32 v43, v142, v78, -v51
	v_dual_mul_f32 v23, v144, v81 :: v_dual_mul_f32 v25, v146, v83
	v_dual_mul_f32 v13, v151, v87 :: v_dual_fmac_f32 v19, v141, v76
	v_dual_add_f32 v11, v11, v41 :: v_dual_fma_f32 v39, v148, v84, -v39
	s_delay_alu instid0(VALU_DEP_3) | instskip(NEXT) | instid1(VALU_DEP_2)
	v_dual_add_f32 v7, v7, v17 :: v_dual_fmac_f32 v23, v145, v80
	v_dual_fma_f32 v41, v144, v80, -v53 :: v_dual_add_f32 v11, v11, v43
	s_wait_loadcnt 0x5
	v_dual_mov_b32 v66, v101 :: v_dual_mul_f32 v27, v148, v85
	v_mul_f32_e32 v29, v150, v87
	s_wait_dscnt 0x2
	v_dual_mul_f32 v17, v155, v91 :: v_dual_fma_f32 v43, v146, v82, -v55
	v_fmac_f32_e32 v21, v143, v78
	v_dual_add_f32 v7, v7, v19 :: v_dual_fmac_f32 v27, v149, v84
	s_wait_loadcnt 0x4
	v_dual_add_f32 v11, v11, v41 :: v_dual_mov_b32 v70, v105
	v_mul_f32_e32 v19, v157, v93
	s_delay_alu instid0(VALU_DEP_3) | instskip(NEXT) | instid1(VALU_DEP_3)
	v_dual_add_f32 v7, v7, v21 :: v_dual_fma_f32 v13, v150, v86, -v13
	v_add_f32_e32 v11, v11, v43
	v_dual_fmac_f32 v25, v147, v82 :: v_dual_fma_f32 v15, v152, v88, -v15
	s_delay_alu instid0(VALU_DEP_3)
	v_add_f32_e32 v7, v7, v23
	v_pk_mul_f32 v[68:69], v[118:119], v[102:103] op_sel:[1,1] op_sel_hi:[0,1]
	s_wait_loadcnt 0x3
	v_dual_add_f32 v11, v11, v39 :: v_dual_mov_b32 v76, v109
	s_wait_dscnt 0x1
	v_dual_mul_f32 v35, v156, v93 :: v_dual_mul_f32 v37, v158, v95
	v_pk_fma_f32 v[80:81], v[118:119], v[102:103], v[68:69] op_sel_hi:[1,0,1]
	s_delay_alu instid0(VALU_DEP_3) | instskip(NEXT) | instid1(VALU_DEP_3)
	v_dual_add_f32 v11, v11, v13 :: v_dual_fma_f32 v13, v154, v90, -v17
	v_dual_add_f32 v7, v7, v25 :: v_dual_fmac_f32 v35, v157, v92
	v_pk_fma_f32 v[68:69], v[118:119], v[102:103], v[68:69] neg_lo:[0,0,1] neg_hi:[0,0,1]
	v_dual_mul_f32 v31, v152, v89 :: v_dual_mul_f32 v33, v154, v91
	v_dual_mul_f32 v177, v160, v97 :: v_dual_mul_f32 v179, v114, v99
	s_delay_alu instid0(VALU_DEP_2) | instskip(SKIP_1) | instid1(VALU_DEP_3)
	v_dual_mul_f32 v21, v159, v95 :: v_dual_fmac_f32 v31, v153, v88
	v_dual_mul_f32 v23, v161, v97 :: v_dual_fmac_f32 v29, v151, v86
	v_dual_add_f32 v7, v7, v27 :: v_dual_fmac_f32 v177, v161, v96
	v_dual_mov_b32 v69, v81 :: v_dual_add_f32 v11, v11, v15
	s_delay_alu instid0(VALU_DEP_3) | instskip(SKIP_1) | instid1(VALU_DEP_3)
	v_dual_mul_f32 v25, v115, v99 :: v_dual_fma_f32 v176, v160, v96, -v23
	v_pk_mul_f32 v[70:71], v[170:171], v[70:71] op_sel_hi:[1,0]
	v_dual_fma_f32 v15, v156, v92, -v19 :: v_dual_add_f32 v11, v11, v13
	v_dual_fma_f32 v13, v158, v94, -v21 :: v_dual_add_f32 v7, v7, v29
	s_delay_alu instid0(VALU_DEP_4) | instskip(NEXT) | instid1(VALU_DEP_4)
	v_fma_f32 v178, v114, v98, -v25
	v_pk_fma_f32 v[80:81], v[120:121], v[104:105], v[70:71] op_sel_hi:[1,0,1]
	v_fmac_f32_e32 v33, v155, v90
	v_pk_fma_f32 v[70:71], v[120:121], v[104:105], v[70:71] neg_lo:[0,0,1] neg_hi:[0,0,1]
	v_add_f32_e32 v7, v7, v31
	s_delay_alu instid0(VALU_DEP_4) | instskip(SKIP_2) | instid1(VALU_DEP_4)
	v_dual_fmac_f32 v37, v159, v94 :: v_dual_mov_b32 v71, v81
	v_add_f32_e32 v11, v11, v15
	v_pk_mul_f32 v[66:67], v[168:169], v[66:67] op_sel_hi:[1,0]
	v_add_f32_e32 v7, v7, v33
	v_fmac_f32_e32 v179, v115, v98
	v_pk_mul_f32 v[72:73], v[122:123], v[106:107] op_sel:[1,1] op_sel_hi:[0,1]
	v_add_f32_e32 v74, v11, v13
	v_pk_fma_f32 v[78:79], v[116:117], v[100:101], v[66:67] op_sel_hi:[1,0,1]
	v_add_f32_e32 v7, v7, v35
	v_pk_fma_f32 v[66:67], v[116:117], v[100:101], v[66:67] neg_lo:[0,0,1] neg_hi:[0,0,1]
	v_pk_mul_f32 v[76:77], v[172:173], v[76:77] op_sel_hi:[1,0]
	s_delay_alu instid0(VALU_DEP_4) | instskip(NEXT) | instid1(VALU_DEP_4)
	v_mov_b32_e32 v67, v79
	v_add_f32_e32 v75, v7, v37
	s_wait_loadcnt 0x2
	v_pk_mul_f32 v[78:79], v[126:127], v[110:111] op_sel:[1,1] op_sel_hi:[0,1]
	s_delay_alu instid0(VALU_DEP_2) | instskip(NEXT) | instid1(VALU_DEP_1)
	v_pk_add_f32 v[74:75], v[74:75], v[176:177]
	v_pk_add_f32 v[74:75], v[74:75], v[178:179]
	s_delay_alu instid0(VALU_DEP_1) | instskip(SKIP_2) | instid1(VALU_DEP_3)
	v_pk_add_f32 v[66:67], v[74:75], v[66:67]
	v_pk_fma_f32 v[74:75], v[122:123], v[106:107], v[72:73] op_sel_hi:[1,0,1]
	v_pk_fma_f32 v[72:73], v[122:123], v[106:107], v[72:73] neg_lo:[0,0,1] neg_hi:[0,0,1]
	v_pk_add_f32 v[66:67], v[66:67], v[68:69]
	s_delay_alu instid0(VALU_DEP_3) | instskip(SKIP_2) | instid1(VALU_DEP_4)
	v_dual_mov_b32 v68, v113 :: v_dual_mov_b32 v73, v75
	v_pk_fma_f32 v[74:75], v[124:125], v[108:109], v[76:77] op_sel_hi:[1,0,1]
	v_pk_fma_f32 v[76:77], v[124:125], v[108:109], v[76:77] neg_lo:[0,0,1] neg_hi:[0,0,1]
	v_pk_add_f32 v[66:67], v[66:67], v[70:71]
	v_pk_fma_f32 v[70:71], v[126:127], v[110:111], v[78:79] op_sel_hi:[1,0,1]
	v_pk_mul_f32 v[68:69], v[174:175], v[68:69] op_sel_hi:[1,0]
	v_mov_b32_e32 v77, v75
	s_wait_loadcnt_dscnt 0x100
	v_pk_mul_f32 v[74:75], v[166:167], v[162:163] op_sel:[1,1] op_sel_hi:[0,1]
	v_pk_add_f32 v[66:67], v[66:67], v[72:73]
	v_pk_fma_f32 v[72:73], v[126:127], v[110:111], v[78:79] neg_lo:[0,0,1] neg_hi:[0,0,1]
	v_mov_b32_e32 v73, v71
	v_pk_fma_f32 v[70:71], v[128:129], v[112:113], v[68:69] op_sel_hi:[1,0,1]
	v_pk_fma_f32 v[68:69], v[128:129], v[112:113], v[68:69] neg_lo:[0,0,1] neg_hi:[0,0,1]
	v_pk_add_f32 v[66:67], v[66:67], v[76:77]
	s_delay_alu instid0(VALU_DEP_3) | instskip(SKIP_1) | instid1(VALU_DEP_3)
	v_mov_b32_e32 v69, v71
	v_pk_fma_f32 v[70:71], v[166:167], v[162:163], v[74:75] op_sel_hi:[1,0,1]
	v_pk_add_f32 v[66:67], v[66:67], v[72:73]
	v_pk_fma_f32 v[72:73], v[166:167], v[162:163], v[74:75] neg_lo:[0,0,1] neg_hi:[0,0,1]
	s_delay_alu instid0(VALU_DEP_3) | instskip(NEXT) | instid1(VALU_DEP_3)
	v_mov_b32_e32 v73, v71
	v_pk_add_f32 v[66:67], v[66:67], v[68:69]
	s_delay_alu instid0(VALU_DEP_1) | instskip(SKIP_1) | instid1(VALU_DEP_1)
	v_pk_add_f32 v[66:67], v[66:67], v[72:73]
	s_wait_loadcnt 0x0
	v_pk_add_f32 v[66:67], v[164:165], v[66:67] neg_lo:[0,1] neg_hi:[0,1]
	scratch_store_b64 off, v[66:67], off offset:48
	s_wait_xcnt 0x0
	v_cmpx_lt_u32_e32 5, v0
	s_cbranch_execz .LBB31_195
; %bb.194:
	scratch_load_b64 v[66:67], off, off offset:40
	v_mov_b64_e32 v[68:69], 0
	scratch_store_b64 off, v[68:69], off offset:40
	s_wait_loadcnt 0x0
	ds_store_b64 v1, v[66:67]
.LBB31_195:
	s_wait_xcnt 0x0
	s_or_b32 exec_lo, exec_lo, s0
	s_wait_storecnt_dscnt 0x0
	s_barrier_signal -1
	s_barrier_wait -1
	s_clause 0xd
	scratch_load_b128 v[66:69], off, off offset:48
	scratch_load_b128 v[70:73], off, off offset:64
	;; [unrolled: 1-line block ×13, first 2 shown]
	scratch_load_b64 v[170:171], off, off offset:40
	ds_load_b128 v[118:121], v3 offset:448
	ds_load_b128 v[122:125], v3 offset:464
	;; [unrolled: 1-line block ×13, first 2 shown]
	s_mov_b32 s0, exec_lo
	s_wait_dscnt 0xc
	v_dual_mov_b32 v172, v121 :: v_dual_mov_b32 v173, v120
	s_wait_dscnt 0xb
	v_dual_mov_b32 v174, v125 :: v_dual_mov_b32 v175, v124
	s_wait_dscnt 0xa
	v_dual_mov_b32 v176, v129 :: v_dual_mov_b32 v177, v128
	s_wait_dscnt 0x9
	v_dual_mov_b32 v178, v133 :: v_dual_mov_b32 v179, v132
	s_wait_loadcnt_dscnt 0xd08
	v_dual_mul_f32 v3, v134, v67 :: v_dual_mul_f32 v7, v136, v69
	v_dual_mul_f32 v39, v135, v67 :: v_dual_mul_f32 v41, v137, v69
	s_wait_loadcnt_dscnt 0xc07
	v_dual_mul_f32 v43, v139, v71 :: v_dual_mul_f32 v45, v141, v73
	s_delay_alu instid0(VALU_DEP_3) | instskip(SKIP_3) | instid1(VALU_DEP_3)
	v_fmac_f32_e32 v3, v135, v66
	s_wait_loadcnt_dscnt 0xa05
	v_dual_fma_f32 v39, v134, v66, -v39 :: v_dual_mul_f32 v51, v147, v79
	v_dual_fma_f32 v41, v136, v68, -v41 :: v_dual_fmac_f32 v7, v137, v68
	v_add_f32_e32 v3, 0, v3
	s_delay_alu instid0(VALU_DEP_3) | instskip(SKIP_1) | instid1(VALU_DEP_3)
	v_dual_add_f32 v39, 0, v39 :: v_dual_mul_f32 v53, v149, v81
	v_dual_mul_f32 v11, v138, v71 :: v_dual_mul_f32 v13, v140, v73
	v_dual_fma_f32 v43, v138, v70, -v43 :: v_dual_add_f32 v3, v3, v7
	s_delay_alu instid0(VALU_DEP_3) | instskip(SKIP_3) | instid1(VALU_DEP_3)
	v_dual_add_f32 v7, v39, v41 :: v_dual_fma_f32 v41, v140, v72, -v45
	v_dual_mul_f32 v15, v142, v75 :: v_dual_mul_f32 v17, v144, v77
	v_dual_mul_f32 v47, v143, v75 :: v_dual_mul_f32 v49, v145, v77
	v_dual_fmac_f32 v11, v139, v70 :: v_dual_fmac_f32 v13, v141, v72
	v_dual_add_f32 v7, v7, v43 :: v_dual_fmac_f32 v17, v145, v76
	v_dual_mul_f32 v19, v146, v79 :: v_dual_mul_f32 v21, v148, v81
	s_delay_alu instid0(VALU_DEP_3) | instskip(NEXT) | instid1(VALU_DEP_3)
	v_dual_add_f32 v3, v3, v11 :: v_dual_fma_f32 v43, v142, v74, -v47
	v_add_f32_e32 v7, v7, v41
	v_dual_fmac_f32 v15, v143, v74 :: v_dual_fma_f32 v41, v144, v76, -v49
	s_wait_loadcnt_dscnt 0x903
	v_dual_fmac_f32 v21, v149, v80 :: v_dual_mul_f32 v39, v155, v83
	s_delay_alu instid0(VALU_DEP_3) | instskip(SKIP_3) | instid1(VALU_DEP_3)
	v_dual_mul_f32 v11, v157, v85 :: v_dual_add_f32 v7, v7, v43
	v_dual_add_f32 v3, v3, v13 :: v_dual_fma_f32 v43, v146, v78, -v51
	s_wait_loadcnt_dscnt 0x802
	v_dual_mul_f32 v27, v158, v87 :: v_dual_mul_f32 v29, v160, v89
	v_dual_add_f32 v7, v7, v41 :: v_dual_fma_f32 v11, v156, v84, -v11
	s_delay_alu instid0(VALU_DEP_3) | instskip(SKIP_1) | instid1(VALU_DEP_3)
	v_dual_add_f32 v3, v3, v15 :: v_dual_fma_f32 v41, v148, v80, -v53
	v_dual_mul_f32 v23, v154, v83 :: v_dual_mul_f32 v25, v156, v85
	v_dual_add_f32 v7, v7, v43 :: v_dual_fmac_f32 v29, v161, v88
	v_fmac_f32_e32 v19, v147, v78
	s_delay_alu instid0(VALU_DEP_4)
	v_dual_add_f32 v3, v3, v17 :: v_dual_fma_f32 v39, v154, v82, -v39
	s_wait_loadcnt_dscnt 0x701
	v_mul_f32_e32 v17, v163, v91
	v_add_f32_e32 v7, v7, v41
	v_dual_mul_f32 v13, v159, v87 :: v_dual_mul_f32 v15, v161, v89
	v_dual_fmac_f32 v25, v157, v84 :: v_dual_add_f32 v3, v3, v19
	s_wait_loadcnt 0x4
	s_delay_alu instid0(VALU_DEP_3) | instskip(SKIP_1) | instid1(VALU_DEP_3)
	v_dual_add_f32 v7, v7, v39 :: v_dual_mov_b32 v68, v105
	v_fmac_f32_e32 v23, v155, v82
	v_dual_fma_f32 v13, v158, v86, -v13 :: v_dual_add_f32 v3, v3, v21
	s_delay_alu instid0(VALU_DEP_3) | instskip(SKIP_3) | instid1(VALU_DEP_4)
	v_dual_fma_f32 v15, v160, v88, -v15 :: v_dual_add_f32 v7, v7, v11
	v_dual_mul_f32 v31, v162, v91 :: v_dual_mul_f32 v33, v164, v93
	v_dual_mul_f32 v181, v150, v99 :: v_dual_mul_f32 v183, v152, v101
	v_mul_f32_e32 v19, v165, v93
	v_add_f32_e32 v7, v7, v13
	v_dual_mul_f32 v13, v153, v101 :: v_dual_add_f32 v3, v3, v23
	s_wait_dscnt 0x0
	v_dual_mul_f32 v35, v166, v95 :: v_dual_mul_f32 v37, v168, v97
	v_dual_mul_f32 v21, v167, v95 :: v_dual_fmac_f32 v33, v165, v92
	v_dual_mul_f32 v23, v169, v97 :: v_dual_fmac_f32 v27, v159, v86
	s_delay_alu instid0(VALU_DEP_3)
	v_fmac_f32_e32 v37, v169, v96
	v_fma_f32 v17, v162, v90, -v17
	s_wait_loadcnt 0x3
	v_pk_mul_f32 v[70:71], v[122:123], v[106:107] op_sel:[1,1] op_sel_hi:[0,1]
	v_dual_fmac_f32 v183, v153, v100 :: v_dual_add_f32 v7, v7, v15
	v_dual_fma_f32 v15, v164, v92, -v19 :: v_dual_add_f32 v3, v3, v25
	v_dual_mul_f32 v11, v151, v99 :: v_dual_mov_b32 v72, v109
	v_pk_mul_f32 v[66:67], v[118:119], v[102:103] op_sel:[1,1] op_sel_hi:[0,1]
	v_pk_fma_f32 v[80:81], v[122:123], v[106:107], v[70:71] op_sel_hi:[1,0,1]
	v_dual_add_f32 v7, v7, v17 :: v_dual_fma_f32 v17, v166, v94, -v21
	s_delay_alu instid0(VALU_DEP_4) | instskip(SKIP_2) | instid1(VALU_DEP_3)
	v_dual_add_f32 v3, v3, v27 :: v_dual_fma_f32 v180, v150, v98, -v11
	v_dual_fmac_f32 v31, v163, v90 :: v_dual_fma_f32 v182, v152, v100, -v13
	v_pk_fma_f32 v[76:77], v[118:119], v[102:103], v[66:67] op_sel_hi:[1,0,1]
	v_add_f32_e32 v3, v3, v29
	v_pk_mul_f32 v[68:69], v[172:173], v[68:69] op_sel_hi:[1,0]
	v_pk_fma_f32 v[66:67], v[118:119], v[102:103], v[66:67] neg_lo:[0,0,1] neg_hi:[0,0,1]
	v_pk_mul_f32 v[72:73], v[174:175], v[72:73] op_sel_hi:[1,0]
	s_delay_alu instid0(VALU_DEP_4) | instskip(NEXT) | instid1(VALU_DEP_4)
	v_dual_mov_b32 v67, v77 :: v_dual_add_f32 v3, v3, v31
	v_pk_fma_f32 v[76:77], v[120:121], v[104:105], v[68:69] op_sel_hi:[1,0,1]
	v_pk_fma_f32 v[68:69], v[120:121], v[104:105], v[68:69] neg_lo:[0,0,1] neg_hi:[0,0,1]
	v_pk_fma_f32 v[70:71], v[122:123], v[106:107], v[70:71] neg_lo:[0,0,1] neg_hi:[0,0,1]
	s_delay_alu instid0(VALU_DEP_4) | instskip(NEXT) | instid1(VALU_DEP_4)
	v_dual_mov_b32 v71, v81 :: v_dual_add_f32 v3, v3, v33
	v_dual_add_f32 v7, v7, v15 :: v_dual_mov_b32 v69, v77
	v_pk_fma_f32 v[76:77], v[124:125], v[108:109], v[72:73] op_sel_hi:[1,0,1]
	v_fmac_f32_e32 v35, v167, v94
	v_pk_fma_f32 v[72:73], v[124:125], v[108:109], v[72:73] neg_lo:[0,0,1] neg_hi:[0,0,1]
	s_delay_alu instid0(VALU_DEP_4) | instskip(NEXT) | instid1(VALU_DEP_3)
	v_dual_fma_f32 v15, v168, v96, -v23 :: v_dual_add_f32 v7, v7, v17
	v_dual_mov_b32 v73, v77 :: v_dual_add_f32 v3, v3, v35
	v_fmac_f32_e32 v181, v151, v98
	s_wait_loadcnt 0x2
	v_pk_mul_f32 v[78:79], v[126:127], v[110:111] op_sel:[1,1] op_sel_hi:[0,1]
	v_add_f32_e32 v74, v7, v15
	v_add_f32_e32 v75, v3, v37
	s_delay_alu instid0(VALU_DEP_3) | instskip(NEXT) | instid1(VALU_DEP_2)
	v_pk_fma_f32 v[76:77], v[126:127], v[110:111], v[78:79] neg_lo:[0,0,1] neg_hi:[0,0,1]
	v_pk_add_f32 v[74:75], v[74:75], v[180:181]
	s_delay_alu instid0(VALU_DEP_1) | instskip(NEXT) | instid1(VALU_DEP_1)
	v_pk_add_f32 v[74:75], v[74:75], v[182:183]
	v_pk_add_f32 v[66:67], v[74:75], v[66:67]
	v_mov_b32_e32 v74, v113
	s_delay_alu instid0(VALU_DEP_2) | instskip(SKIP_1) | instid1(VALU_DEP_3)
	v_pk_add_f32 v[66:67], v[66:67], v[68:69]
	v_pk_fma_f32 v[68:69], v[126:127], v[110:111], v[78:79] op_sel_hi:[1,0,1]
	v_pk_mul_f32 v[74:75], v[176:177], v[74:75] op_sel_hi:[1,0]
	s_delay_alu instid0(VALU_DEP_3) | instskip(NEXT) | instid1(VALU_DEP_3)
	v_pk_add_f32 v[66:67], v[66:67], v[70:71]
	v_mov_b32_e32 v77, v69
	s_delay_alu instid0(VALU_DEP_3)
	v_pk_fma_f32 v[68:69], v[128:129], v[112:113], v[74:75] op_sel_hi:[1,0,1]
	s_wait_loadcnt 0x1
	v_pk_mul_f32 v[70:71], v[130:131], v[114:115] op_sel:[1,1] op_sel_hi:[0,1]
	v_mov_b32_e32 v68, v117
	v_pk_add_f32 v[66:67], v[66:67], v[72:73]
	v_pk_fma_f32 v[74:75], v[128:129], v[112:113], v[74:75] neg_lo:[0,0,1] neg_hi:[0,0,1]
	v_mov_b32_e32 v75, v69
	v_pk_fma_f32 v[72:73], v[130:131], v[114:115], v[70:71] op_sel_hi:[1,0,1]
	v_pk_mul_f32 v[68:69], v[178:179], v[68:69] op_sel_hi:[1,0]
	v_pk_add_f32 v[66:67], v[66:67], v[76:77]
	v_pk_fma_f32 v[70:71], v[130:131], v[114:115], v[70:71] neg_lo:[0,0,1] neg_hi:[0,0,1]
	s_delay_alu instid0(VALU_DEP_4) | instskip(NEXT) | instid1(VALU_DEP_4)
	v_mov_b32_e32 v71, v73
	v_pk_fma_f32 v[72:73], v[132:133], v[116:117], v[68:69] op_sel_hi:[1,0,1]
	s_delay_alu instid0(VALU_DEP_4) | instskip(SKIP_1) | instid1(VALU_DEP_3)
	v_pk_add_f32 v[66:67], v[66:67], v[74:75]
	v_pk_fma_f32 v[68:69], v[132:133], v[116:117], v[68:69] neg_lo:[0,0,1] neg_hi:[0,0,1]
	v_mov_b32_e32 v69, v73
	s_delay_alu instid0(VALU_DEP_3) | instskip(NEXT) | instid1(VALU_DEP_1)
	v_pk_add_f32 v[66:67], v[66:67], v[70:71]
	v_pk_add_f32 v[66:67], v[66:67], v[68:69]
	s_wait_loadcnt 0x0
	s_delay_alu instid0(VALU_DEP_1)
	v_pk_add_f32 v[66:67], v[170:171], v[66:67] neg_lo:[0,1] neg_hi:[0,1]
	scratch_store_b64 off, v[66:67], off offset:40
	s_wait_xcnt 0x0
	v_cmpx_lt_u32_e32 4, v0
	s_cbranch_execz .LBB31_197
; %bb.196:
	scratch_load_b64 v[66:67], off, off offset:32
	v_mov_b64_e32 v[68:69], 0
	scratch_store_b64 off, v[68:69], off offset:32
	s_wait_loadcnt 0x0
	ds_store_b64 v1, v[66:67]
.LBB31_197:
	s_wait_xcnt 0x0
	s_or_b32 exec_lo, exec_lo, s0
	s_wait_storecnt_dscnt 0x0
	s_barrier_signal -1
	s_barrier_wait -1
	s_clause 0xe
	scratch_load_b128 v[66:69], off, off offset:40
	scratch_load_b128 v[70:73], off, off offset:56
	;; [unrolled: 1-line block ×13, first 2 shown]
	scratch_load_b64 v[170:171], off, off offset:248
	scratch_load_b64 v[172:173], off, off offset:32
	v_mov_b32_e32 v3, 0
	ds_load_2addr_b64 v[118:121], v3 offset0:55 offset1:56
	ds_load_2addr_b64 v[122:125], v3 offset0:57 offset1:58
	;; [unrolled: 1-line block ×13, first 2 shown]
	ds_load_b64 v[174:175], v3 offset:504
	s_mov_b32 s0, exec_lo
	s_wait_dscnt 0xc
	v_dual_mov_b32 v177, v120 :: v_dual_mov_b32 v178, v125
	s_wait_dscnt 0xb
	v_dual_mov_b32 v179, v124 :: v_dual_mov_b32 v180, v129
	;; [unrolled: 2-line block ×3, first 2 shown]
	v_dual_mov_b32 v181, v128 :: v_dual_mov_b32 v182, v133
	s_wait_loadcnt_dscnt 0xe09
	v_dual_mul_f32 v7, v134, v67 :: v_dual_mul_f32 v11, v136, v69
	s_wait_loadcnt_dscnt 0xd08
	v_mul_f32_e32 v13, v138, v71
	v_dual_mul_f32 v43, v135, v67 :: v_dual_mul_f32 v45, v137, v69
	s_wait_loadcnt_dscnt 0xb05
	v_dual_fmac_f32 v7, v135, v66 :: v_dual_mul_f32 v57, v153, v81
	s_delay_alu instid0(VALU_DEP_2) | instskip(NEXT) | instid1(VALU_DEP_3)
	v_dual_mul_f32 v55, v151, v79 :: v_dual_fma_f32 v43, v134, v66, -v43
	v_dual_fmac_f32 v11, v137, v68 :: v_dual_fma_f32 v45, v136, v68, -v45
	s_delay_alu instid0(VALU_DEP_3) | instskip(SKIP_3) | instid1(VALU_DEP_3)
	v_dual_add_f32 v7, 0, v7 :: v_dual_fmac_f32 v13, v139, v70
	v_dual_mul_f32 v15, v140, v73 :: v_dual_mul_f32 v17, v142, v75
	v_dual_mul_f32 v47, v139, v71 :: v_dual_mul_f32 v49, v141, v73
	v_add_f32_e32 v43, 0, v43
	v_dual_add_f32 v7, v7, v11 :: v_dual_fmac_f32 v15, v141, v72
	v_dual_mul_f32 v51, v143, v75 :: v_dual_mul_f32 v53, v145, v77
	s_delay_alu instid0(VALU_DEP_3) | instskip(NEXT) | instid1(VALU_DEP_3)
	v_dual_fma_f32 v47, v138, v70, -v47 :: v_dual_add_f32 v11, v43, v45
	v_dual_fma_f32 v45, v140, v72, -v49 :: v_dual_add_f32 v7, v7, v13
	v_dual_mul_f32 v19, v144, v77 :: v_dual_mul_f32 v21, v150, v79
	s_delay_alu instid0(VALU_DEP_3) | instskip(SKIP_1) | instid1(VALU_DEP_4)
	v_add_f32_e32 v11, v11, v47
	v_dual_fmac_f32 v17, v143, v74 :: v_dual_fma_f32 v47, v142, v74, -v51
	v_dual_add_f32 v7, v7, v15 :: v_dual_mul_f32 v23, v152, v81
	s_wait_loadcnt_dscnt 0xa04
	v_mul_f32_e32 v25, v154, v83
	s_wait_loadcnt_dscnt 0x903
	v_dual_mul_f32 v13, v159, v87 :: v_dual_fmac_f32 v19, v145, v76
	v_mul_f32_e32 v15, v161, v89
	v_dual_add_f32 v11, v11, v45 :: v_dual_fma_f32 v45, v144, v76, -v53
	v_dual_add_f32 v7, v7, v17 :: v_dual_fmac_f32 v23, v153, v80
	v_dual_mul_f32 v27, v156, v85 :: v_dual_mul_f32 v29, v158, v87
	s_delay_alu instid0(VALU_DEP_3) | instskip(SKIP_1) | instid1(VALU_DEP_3)
	v_add_f32_e32 v11, v11, v47
	v_fmac_f32_e32 v21, v151, v78
	v_dual_add_f32 v7, v7, v19 :: v_dual_fmac_f32 v27, v157, v84
	v_dual_mul_f32 v59, v155, v83 :: v_dual_mul_f32 v43, v157, v85
	s_delay_alu instid0(VALU_DEP_4) | instskip(NEXT) | instid1(VALU_DEP_3)
	v_dual_fma_f32 v47, v150, v78, -v55 :: v_dual_add_f32 v11, v11, v45
	v_dual_add_f32 v7, v7, v21 :: v_dual_fma_f32 v13, v158, v86, -v13
	s_wait_loadcnt_dscnt 0x802
	v_mul_f32_e32 v17, v163, v91
	v_dual_fmac_f32 v25, v155, v82 :: v_dual_fma_f32 v15, v160, v88, -v15
	v_dual_fma_f32 v43, v156, v84, -v43 :: v_dual_add_f32 v11, v11, v47
	v_dual_fma_f32 v47, v154, v82, -v59 :: v_dual_add_f32 v7, v7, v23
	s_delay_alu instid0(VALU_DEP_4) | instskip(SKIP_2) | instid1(VALU_DEP_3)
	v_dual_fma_f32 v17, v162, v90, -v17 :: v_dual_mul_f32 v35, v164, v93
	s_wait_loadcnt_dscnt 0x701
	v_dual_mul_f32 v37, v166, v95 :: v_dual_fma_f32 v45, v152, v80, -v57
	v_add_f32_e32 v7, v7, v25
	s_wait_loadcnt 0x6
	v_dual_mul_f32 v39, v168, v97 :: v_dual_mul_f32 v41, v146, v99
	v_dual_fmac_f32 v35, v165, v92 :: v_dual_mul_f32 v19, v165, v93
	s_delay_alu instid0(VALU_DEP_2)
	v_dual_add_f32 v7, v7, v27 :: v_dual_fmac_f32 v39, v169, v96
	v_mul_f32_e32 v27, v149, v101
	s_wait_loadcnt 0x5
	v_dual_add_f32 v11, v11, v45 :: v_dual_mov_b32 v66, v105
	v_mul_f32_e32 v23, v169, v97
	v_dual_mul_f32 v185, v148, v101 :: v_dual_mul_f32 v187, v118, v103
	s_delay_alu instid0(VALU_DEP_3) | instskip(SKIP_3) | instid1(VALU_DEP_3)
	v_add_f32_e32 v11, v11, v47
	s_wait_loadcnt 0x4
	v_pk_mul_f32 v[68:69], v[122:123], v[106:107] op_sel:[1,1] op_sel_hi:[0,1]
	v_dual_mul_f32 v31, v160, v89 :: v_dual_mul_f32 v33, v162, v91
	v_dual_fmac_f32 v185, v149, v100 :: v_dual_add_f32 v11, v11, v43
	s_delay_alu instid0(VALU_DEP_3) | instskip(SKIP_1) | instid1(VALU_DEP_4)
	v_pk_fma_f32 v[80:81], v[122:123], v[106:107], v[68:69] op_sel_hi:[1,0,1]
	v_pk_fma_f32 v[68:69], v[122:123], v[106:107], v[68:69] neg_lo:[0,0,1] neg_hi:[0,0,1]
	v_dual_mul_f32 v21, v167, v95 :: v_dual_fmac_f32 v31, v161, v88
	s_delay_alu instid0(VALU_DEP_4) | instskip(SKIP_2) | instid1(VALU_DEP_3)
	v_add_f32_e32 v11, v11, v13
	v_dual_fmac_f32 v29, v159, v86 :: v_dual_mov_b32 v70, v109
	v_dual_mov_b32 v69, v81 :: v_dual_mul_f32 v25, v147, v99
	v_dual_add_f32 v11, v11, v15 :: v_dual_fma_f32 v15, v164, v92, -v19
	s_delay_alu instid0(VALU_DEP_3) | instskip(SKIP_1) | instid1(VALU_DEP_3)
	v_add_f32_e32 v7, v7, v29
	v_dual_mul_f32 v13, v119, v103 :: v_dual_fma_f32 v184, v148, v100, -v27
	v_dual_add_f32 v11, v11, v17 :: v_dual_fma_f32 v17, v166, v94, -v21
	s_wait_loadcnt 0x3
	v_dual_fmac_f32 v33, v163, v90 :: v_dual_mov_b32 v76, v113
	v_pk_mul_f32 v[70:71], v[178:179], v[70:71] op_sel_hi:[1,0]
	s_delay_alu instid0(VALU_DEP_3) | instskip(SKIP_1) | instid1(VALU_DEP_3)
	v_dual_add_f32 v11, v11, v15 :: v_dual_fma_f32 v186, v118, v102, -v13
	v_dual_fmac_f32 v37, v167, v94 :: v_dual_fma_f32 v15, v168, v96, -v23
	v_pk_fma_f32 v[80:81], v[124:125], v[108:109], v[70:71] op_sel_hi:[1,0,1]
	s_delay_alu instid0(VALU_DEP_3) | instskip(SKIP_2) | instid1(VALU_DEP_4)
	v_dual_add_f32 v11, v11, v17 :: v_dual_fma_f32 v17, v146, v98, -v25
	v_add_f32_e32 v7, v7, v31
	v_pk_fma_f32 v[70:71], v[124:125], v[108:109], v[70:71] neg_lo:[0,0,1] neg_hi:[0,0,1]
	v_dual_mov_b32 v71, v81 :: v_dual_fmac_f32 v41, v147, v98
	s_delay_alu instid0(VALU_DEP_4) | instskip(NEXT) | instid1(VALU_DEP_4)
	v_add_f32_e32 v11, v11, v15
	v_add_f32_e32 v7, v7, v33
	v_pk_mul_f32 v[66:67], v[176:177], v[66:67] op_sel_hi:[1,0]
	v_fmac_f32_e32 v187, v119, v102
	v_pk_mul_f32 v[72:73], v[126:127], v[110:111] op_sel:[1,1] op_sel_hi:[0,1]
	v_add_f32_e32 v74, v11, v17
	v_add_f32_e32 v7, v7, v35
	v_pk_fma_f32 v[78:79], v[120:121], v[104:105], v[66:67] op_sel_hi:[1,0,1]
	v_pk_fma_f32 v[66:67], v[120:121], v[104:105], v[66:67] neg_lo:[0,0,1] neg_hi:[0,0,1]
	v_pk_mul_f32 v[76:77], v[180:181], v[76:77] op_sel_hi:[1,0]
	s_delay_alu instid0(VALU_DEP_4) | instskip(NEXT) | instid1(VALU_DEP_4)
	v_add_f32_e32 v7, v7, v37
	v_mov_b32_e32 v67, v79
	s_wait_loadcnt 0x2
	v_pk_mul_f32 v[78:79], v[130:131], v[114:115] op_sel:[1,1] op_sel_hi:[0,1]
	s_delay_alu instid0(VALU_DEP_3) | instskip(NEXT) | instid1(VALU_DEP_1)
	v_add_f32_e32 v7, v7, v39
	v_add_f32_e32 v75, v7, v41
	s_delay_alu instid0(VALU_DEP_1) | instskip(NEXT) | instid1(VALU_DEP_1)
	v_pk_add_f32 v[74:75], v[74:75], v[184:185]
	v_pk_add_f32 v[74:75], v[74:75], v[186:187]
	s_delay_alu instid0(VALU_DEP_1) | instskip(SKIP_2) | instid1(VALU_DEP_3)
	v_pk_add_f32 v[66:67], v[74:75], v[66:67]
	v_pk_fma_f32 v[74:75], v[126:127], v[110:111], v[72:73] op_sel_hi:[1,0,1]
	v_pk_fma_f32 v[72:73], v[126:127], v[110:111], v[72:73] neg_lo:[0,0,1] neg_hi:[0,0,1]
	v_pk_add_f32 v[66:67], v[66:67], v[68:69]
	s_delay_alu instid0(VALU_DEP_3) | instskip(SKIP_2) | instid1(VALU_DEP_4)
	v_dual_mov_b32 v68, v117 :: v_dual_mov_b32 v73, v75
	v_pk_fma_f32 v[74:75], v[128:129], v[112:113], v[76:77] op_sel_hi:[1,0,1]
	v_pk_fma_f32 v[76:77], v[128:129], v[112:113], v[76:77] neg_lo:[0,0,1] neg_hi:[0,0,1]
	v_pk_add_f32 v[66:67], v[66:67], v[70:71]
	v_pk_fma_f32 v[70:71], v[130:131], v[114:115], v[78:79] op_sel_hi:[1,0,1]
	v_pk_mul_f32 v[68:69], v[182:183], v[68:69] op_sel_hi:[1,0]
	v_mov_b32_e32 v77, v75
	s_wait_loadcnt_dscnt 0x100
	v_pk_mul_f32 v[74:75], v[174:175], v[170:171] op_sel:[1,1] op_sel_hi:[0,1]
	v_pk_add_f32 v[66:67], v[66:67], v[72:73]
	v_pk_fma_f32 v[72:73], v[130:131], v[114:115], v[78:79] neg_lo:[0,0,1] neg_hi:[0,0,1]
	v_mov_b32_e32 v73, v71
	v_pk_fma_f32 v[70:71], v[132:133], v[116:117], v[68:69] op_sel_hi:[1,0,1]
	v_pk_fma_f32 v[68:69], v[132:133], v[116:117], v[68:69] neg_lo:[0,0,1] neg_hi:[0,0,1]
	v_pk_add_f32 v[66:67], v[66:67], v[76:77]
	s_delay_alu instid0(VALU_DEP_3) | instskip(SKIP_1) | instid1(VALU_DEP_3)
	v_mov_b32_e32 v69, v71
	v_pk_fma_f32 v[70:71], v[174:175], v[170:171], v[74:75] op_sel_hi:[1,0,1]
	v_pk_add_f32 v[66:67], v[66:67], v[72:73]
	v_pk_fma_f32 v[72:73], v[174:175], v[170:171], v[74:75] neg_lo:[0,0,1] neg_hi:[0,0,1]
	s_delay_alu instid0(VALU_DEP_3) | instskip(NEXT) | instid1(VALU_DEP_3)
	v_mov_b32_e32 v73, v71
	v_pk_add_f32 v[66:67], v[66:67], v[68:69]
	s_delay_alu instid0(VALU_DEP_1) | instskip(SKIP_1) | instid1(VALU_DEP_1)
	v_pk_add_f32 v[66:67], v[66:67], v[72:73]
	s_wait_loadcnt 0x0
	v_pk_add_f32 v[66:67], v[172:173], v[66:67] neg_lo:[0,1] neg_hi:[0,1]
	scratch_store_b64 off, v[66:67], off offset:32
	s_wait_xcnt 0x0
	v_cmpx_lt_u32_e32 3, v0
	s_cbranch_execz .LBB31_199
; %bb.198:
	scratch_load_b64 v[66:67], off, off offset:24
	v_mov_b64_e32 v[68:69], 0
	scratch_store_b64 off, v[68:69], off offset:24
	s_wait_loadcnt 0x0
	ds_store_b64 v1, v[66:67]
.LBB31_199:
	s_wait_xcnt 0x0
	s_or_b32 exec_lo, exec_lo, s0
	s_wait_storecnt_dscnt 0x0
	s_barrier_signal -1
	s_barrier_wait -1
	s_clause 0xe
	scratch_load_b128 v[66:69], off, off offset:32
	scratch_load_b128 v[70:73], off, off offset:48
	;; [unrolled: 1-line block ×14, first 2 shown]
	scratch_load_b64 v[178:179], off, off offset:24
	ds_load_b128 v[122:125], v3 offset:448
	ds_load_b128 v[126:129], v3 offset:464
	;; [unrolled: 1-line block ×14, first 2 shown]
	s_mov_b32 s0, exec_lo
	s_wait_dscnt 0xd
	v_dual_mov_b32 v180, v125 :: v_dual_mov_b32 v181, v124
	s_wait_dscnt 0xc
	v_dual_mov_b32 v182, v129 :: v_dual_mov_b32 v183, v128
	;; [unrolled: 2-line block ×4, first 2 shown]
	s_wait_loadcnt_dscnt 0xe09
	v_dual_mul_f32 v3, v138, v67 :: v_dual_mul_f32 v7, v140, v69
	v_dual_mul_f32 v43, v139, v67 :: v_dual_mul_f32 v45, v141, v69
	s_wait_loadcnt_dscnt 0xd08
	v_dual_mul_f32 v47, v143, v71 :: v_dual_mul_f32 v49, v145, v73
	s_delay_alu instid0(VALU_DEP_3) | instskip(SKIP_3) | instid1(VALU_DEP_3)
	v_fmac_f32_e32 v3, v139, v66
	s_wait_loadcnt_dscnt 0xb06
	v_dual_fma_f32 v43, v138, v66, -v43 :: v_dual_mul_f32 v55, v151, v79
	v_dual_fma_f32 v45, v140, v68, -v45 :: v_dual_fmac_f32 v7, v141, v68
	v_add_f32_e32 v3, 0, v3
	s_delay_alu instid0(VALU_DEP_3) | instskip(SKIP_1) | instid1(VALU_DEP_3)
	v_dual_add_f32 v43, 0, v43 :: v_dual_mul_f32 v57, v153, v81
	v_dual_mul_f32 v11, v142, v71 :: v_dual_mul_f32 v13, v144, v73
	v_dual_fma_f32 v47, v142, v70, -v47 :: v_dual_add_f32 v3, v3, v7
	s_delay_alu instid0(VALU_DEP_3) | instskip(SKIP_3) | instid1(VALU_DEP_3)
	v_dual_add_f32 v7, v43, v45 :: v_dual_fma_f32 v45, v144, v72, -v49
	v_dual_mul_f32 v15, v146, v75 :: v_dual_mul_f32 v17, v148, v77
	v_dual_mul_f32 v51, v147, v75 :: v_dual_mul_f32 v53, v149, v77
	v_dual_fmac_f32 v11, v143, v70 :: v_dual_fmac_f32 v13, v145, v72
	v_dual_add_f32 v7, v7, v47 :: v_dual_fmac_f32 v17, v149, v76
	v_dual_mul_f32 v19, v150, v79 :: v_dual_mul_f32 v21, v152, v81
	s_delay_alu instid0(VALU_DEP_3) | instskip(NEXT) | instid1(VALU_DEP_3)
	v_dual_add_f32 v3, v3, v11 :: v_dual_fma_f32 v47, v146, v74, -v51
	v_add_f32_e32 v7, v7, v45
	v_dual_fmac_f32 v15, v147, v74 :: v_dual_fma_f32 v45, v148, v76, -v53
	s_wait_loadcnt_dscnt 0xa05
	v_dual_fmac_f32 v21, v153, v80 :: v_dual_mul_f32 v43, v155, v83
	s_delay_alu instid0(VALU_DEP_3) | instskip(SKIP_3) | instid1(VALU_DEP_3)
	v_dual_mul_f32 v11, v157, v85 :: v_dual_add_f32 v7, v7, v47
	v_dual_add_f32 v3, v3, v13 :: v_dual_fma_f32 v47, v150, v78, -v55
	s_wait_loadcnt_dscnt 0x904
	v_dual_mul_f32 v27, v158, v87 :: v_dual_mul_f32 v29, v160, v89
	v_dual_add_f32 v7, v7, v45 :: v_dual_fma_f32 v11, v156, v84, -v11
	s_delay_alu instid0(VALU_DEP_3) | instskip(SKIP_1) | instid1(VALU_DEP_3)
	v_dual_add_f32 v3, v3, v15 :: v_dual_fma_f32 v45, v152, v80, -v57
	v_dual_mul_f32 v23, v154, v83 :: v_dual_mul_f32 v25, v156, v85
	v_dual_add_f32 v7, v7, v47 :: v_dual_fmac_f32 v29, v161, v88
	v_fmac_f32_e32 v19, v151, v78
	s_delay_alu instid0(VALU_DEP_4)
	v_dual_add_f32 v3, v3, v17 :: v_dual_fma_f32 v43, v154, v82, -v43
	s_wait_loadcnt_dscnt 0x803
	v_mul_f32_e32 v17, v163, v91
	v_add_f32_e32 v7, v7, v45
	v_dual_mul_f32 v13, v159, v87 :: v_dual_mul_f32 v15, v161, v89
	v_dual_fmac_f32 v25, v157, v84 :: v_dual_add_f32 v3, v3, v19
	s_delay_alu instid0(VALU_DEP_3) | instskip(SKIP_1) | instid1(VALU_DEP_4)
	v_add_f32_e32 v7, v7, v43
	v_fmac_f32_e32 v23, v155, v82
	v_fma_f32 v13, v158, v86, -v13
	v_dual_mul_f32 v31, v162, v91 :: v_dual_mul_f32 v33, v164, v93
	v_dual_add_f32 v3, v3, v21 :: v_dual_fma_f32 v15, v160, v88, -v15
	v_add_f32_e32 v7, v7, v11
	s_wait_loadcnt_dscnt 0x601
	v_dual_mul_f32 v39, v170, v99 :: v_dual_mul_f32 v41, v172, v101
	v_dual_mul_f32 v19, v165, v93 :: v_dual_mul_f32 v35, v166, v95
	v_mul_f32_e32 v37, v168, v97
	s_delay_alu instid0(VALU_DEP_3) | instskip(SKIP_1) | instid1(VALU_DEP_4)
	v_dual_add_f32 v7, v7, v13 :: v_dual_fmac_f32 v41, v173, v100
	v_dual_mul_f32 v13, v173, v101 :: v_dual_add_f32 v3, v3, v23
	v_dual_fma_f32 v19, v164, v92, -v19 :: v_dual_mul_f32 v21, v167, v95
	v_dual_fmac_f32 v33, v165, v92 :: v_dual_fmac_f32 v27, v159, v86
	s_delay_alu instid0(VALU_DEP_3) | instskip(NEXT) | instid1(VALU_DEP_3)
	v_dual_fmac_f32 v37, v169, v96 :: v_dual_add_f32 v3, v3, v25
	v_dual_fma_f32 v21, v166, v94, -v21 :: v_dual_mul_f32 v11, v171, v99
	s_wait_loadcnt_dscnt 0x400
	v_dual_mov_b32 v68, v109 :: v_dual_mul_f32 v189, v174, v103
	s_delay_alu instid0(VALU_DEP_3) | instskip(NEXT) | instid1(VALU_DEP_3)
	v_dual_mul_f32 v191, v176, v105 :: v_dual_add_f32 v3, v3, v27
	v_dual_fma_f32 v11, v170, v98, -v11 :: v_dual_mul_f32 v23, v169, v97
	v_dual_fmac_f32 v31, v163, v90 :: v_dual_fma_f32 v13, v172, v100, -v13
	s_delay_alu instid0(VALU_DEP_3)
	v_dual_fma_f32 v17, v162, v90, -v17 :: v_dual_add_f32 v3, v3, v29
	s_wait_loadcnt 0x3
	v_dual_mov_b32 v72, v113 :: v_dual_add_f32 v7, v7, v15
	v_dual_mul_f32 v15, v175, v103 :: v_dual_fmac_f32 v189, v175, v102
	v_pk_mul_f32 v[66:67], v[122:123], v[106:107] op_sel:[1,1] op_sel_hi:[0,1]
	v_dual_add_f32 v3, v3, v31 :: v_dual_fmac_f32 v191, v177, v104
	s_delay_alu instid0(VALU_DEP_3) | instskip(SKIP_1) | instid1(VALU_DEP_4)
	v_dual_fma_f32 v188, v174, v102, -v15 :: v_dual_add_f32 v7, v7, v17
	v_mul_f32_e32 v17, v177, v105
	v_pk_fma_f32 v[76:77], v[122:123], v[106:107], v[66:67] op_sel_hi:[1,0,1]
	v_pk_mul_f32 v[68:69], v[180:181], v[68:69] op_sel_hi:[1,0]
	v_pk_fma_f32 v[66:67], v[122:123], v[106:107], v[66:67] neg_lo:[0,0,1] neg_hi:[0,0,1]
	v_fmac_f32_e32 v35, v167, v94
	v_pk_mul_f32 v[70:71], v[126:127], v[110:111] op_sel:[1,1] op_sel_hi:[0,1]
	v_dual_fma_f32 v190, v176, v104, -v17 :: v_dual_add_f32 v7, v7, v19
	v_mov_b32_e32 v67, v77
	v_pk_fma_f32 v[76:77], v[124:125], v[108:109], v[68:69] op_sel_hi:[1,0,1]
	v_add_f32_e32 v3, v3, v33
	v_pk_mul_f32 v[72:73], v[182:183], v[72:73] op_sel_hi:[1,0]
	v_pk_fma_f32 v[68:69], v[124:125], v[108:109], v[68:69] neg_lo:[0,0,1] neg_hi:[0,0,1]
	v_fma_f32 v19, v168, v96, -v23
	v_pk_fma_f32 v[80:81], v[126:127], v[110:111], v[70:71] op_sel_hi:[1,0,1]
	v_dual_mov_b32 v69, v77 :: v_dual_add_f32 v3, v3, v35
	v_pk_fma_f32 v[76:77], v[128:129], v[112:113], v[72:73] op_sel_hi:[1,0,1]
	v_add_f32_e32 v7, v7, v21
	v_pk_fma_f32 v[70:71], v[126:127], v[110:111], v[70:71] neg_lo:[0,0,1] neg_hi:[0,0,1]
	v_pk_fma_f32 v[72:73], v[128:129], v[112:113], v[72:73] neg_lo:[0,0,1] neg_hi:[0,0,1]
	v_dual_fmac_f32 v39, v171, v98 :: v_dual_mov_b32 v71, v81
	v_dual_add_f32 v3, v3, v37 :: v_dual_mov_b32 v73, v77
	v_add_f32_e32 v7, v7, v19
	s_wait_loadcnt 0x2
	v_pk_mul_f32 v[78:79], v[130:131], v[114:115] op_sel:[1,1] op_sel_hi:[0,1]
	s_delay_alu instid0(VALU_DEP_3) | instskip(NEXT) | instid1(VALU_DEP_3)
	v_add_f32_e32 v3, v3, v39
	v_add_f32_e32 v7, v7, v11
	s_delay_alu instid0(VALU_DEP_3) | instskip(NEXT) | instid1(VALU_DEP_3)
	v_pk_fma_f32 v[76:77], v[130:131], v[114:115], v[78:79] neg_lo:[0,0,1] neg_hi:[0,0,1]
	v_add_f32_e32 v75, v3, v41
	s_delay_alu instid0(VALU_DEP_3) | instskip(NEXT) | instid1(VALU_DEP_1)
	v_add_f32_e32 v74, v7, v13
	v_pk_add_f32 v[74:75], v[74:75], v[188:189]
	s_delay_alu instid0(VALU_DEP_1) | instskip(NEXT) | instid1(VALU_DEP_1)
	v_pk_add_f32 v[74:75], v[74:75], v[190:191]
	v_pk_add_f32 v[66:67], v[74:75], v[66:67]
	v_mov_b32_e32 v74, v117
	s_delay_alu instid0(VALU_DEP_2) | instskip(SKIP_1) | instid1(VALU_DEP_3)
	v_pk_add_f32 v[66:67], v[66:67], v[68:69]
	v_pk_fma_f32 v[68:69], v[130:131], v[114:115], v[78:79] op_sel_hi:[1,0,1]
	v_pk_mul_f32 v[74:75], v[184:185], v[74:75] op_sel_hi:[1,0]
	s_delay_alu instid0(VALU_DEP_3) | instskip(NEXT) | instid1(VALU_DEP_3)
	v_pk_add_f32 v[66:67], v[66:67], v[70:71]
	v_mov_b32_e32 v77, v69
	s_delay_alu instid0(VALU_DEP_3)
	v_pk_fma_f32 v[68:69], v[132:133], v[116:117], v[74:75] op_sel_hi:[1,0,1]
	s_wait_loadcnt 0x1
	v_pk_mul_f32 v[70:71], v[134:135], v[118:119] op_sel:[1,1] op_sel_hi:[0,1]
	v_mov_b32_e32 v68, v121
	v_pk_add_f32 v[66:67], v[66:67], v[72:73]
	v_pk_fma_f32 v[74:75], v[132:133], v[116:117], v[74:75] neg_lo:[0,0,1] neg_hi:[0,0,1]
	v_mov_b32_e32 v75, v69
	v_pk_fma_f32 v[72:73], v[134:135], v[118:119], v[70:71] op_sel_hi:[1,0,1]
	v_pk_mul_f32 v[68:69], v[186:187], v[68:69] op_sel_hi:[1,0]
	v_pk_add_f32 v[66:67], v[66:67], v[76:77]
	v_pk_fma_f32 v[70:71], v[134:135], v[118:119], v[70:71] neg_lo:[0,0,1] neg_hi:[0,0,1]
	s_delay_alu instid0(VALU_DEP_4) | instskip(NEXT) | instid1(VALU_DEP_4)
	v_mov_b32_e32 v71, v73
	v_pk_fma_f32 v[72:73], v[136:137], v[120:121], v[68:69] op_sel_hi:[1,0,1]
	s_delay_alu instid0(VALU_DEP_4) | instskip(SKIP_1) | instid1(VALU_DEP_3)
	v_pk_add_f32 v[66:67], v[66:67], v[74:75]
	v_pk_fma_f32 v[68:69], v[136:137], v[120:121], v[68:69] neg_lo:[0,0,1] neg_hi:[0,0,1]
	v_mov_b32_e32 v69, v73
	s_delay_alu instid0(VALU_DEP_3) | instskip(NEXT) | instid1(VALU_DEP_1)
	v_pk_add_f32 v[66:67], v[66:67], v[70:71]
	v_pk_add_f32 v[66:67], v[66:67], v[68:69]
	s_wait_loadcnt 0x0
	s_delay_alu instid0(VALU_DEP_1)
	v_pk_add_f32 v[66:67], v[178:179], v[66:67] neg_lo:[0,1] neg_hi:[0,1]
	scratch_store_b64 off, v[66:67], off offset:24
	s_wait_xcnt 0x0
	v_cmpx_lt_u32_e32 2, v0
	s_cbranch_execz .LBB31_201
; %bb.200:
	scratch_load_b64 v[66:67], off, off offset:16
	v_mov_b64_e32 v[68:69], 0
	scratch_store_b64 off, v[68:69], off offset:16
	s_wait_loadcnt 0x0
	ds_store_b64 v1, v[66:67]
.LBB31_201:
	s_wait_xcnt 0x0
	s_or_b32 exec_lo, exec_lo, s0
	s_wait_storecnt_dscnt 0x0
	s_barrier_signal -1
	s_barrier_wait -1
	s_clause 0xf
	scratch_load_b128 v[66:69], off, off offset:24
	scratch_load_b128 v[70:73], off, off offset:40
	scratch_load_b128 v[74:77], off, off offset:56
	scratch_load_b128 v[78:81], off, off offset:72
	scratch_load_b128 v[82:85], off, off offset:88
	scratch_load_b128 v[86:89], off, off offset:104
	scratch_load_b128 v[90:93], off, off offset:120
	scratch_load_b128 v[94:97], off, off offset:136
	scratch_load_b128 v[98:101], off, off offset:152
	scratch_load_b128 v[102:105], off, off offset:168
	scratch_load_b128 v[106:109], off, off offset:184
	scratch_load_b128 v[110:113], off, off offset:200
	scratch_load_b128 v[114:117], off, off offset:216
	scratch_load_b128 v[118:121], off, off offset:232
	scratch_load_b64 v[178:179], off, off offset:248
	scratch_load_b64 v[180:181], off, off offset:16
	v_mov_b32_e32 v45, 0
	ds_load_2addr_b64 v[122:125], v45 offset0:55 offset1:56
	ds_load_2addr_b64 v[126:129], v45 offset0:57 offset1:58
	;; [unrolled: 1-line block ×14, first 2 shown]
	ds_load_b64 v[182:183], v45 offset:504
	s_mov_b32 s0, exec_lo
	s_wait_dscnt 0xd
	v_dual_mov_b32 v185, v124 :: v_dual_mov_b32 v186, v129
	s_wait_dscnt 0xc
	v_dual_mov_b32 v187, v128 :: v_dual_mov_b32 v188, v133
	s_wait_dscnt 0xb
	v_dual_mov_b32 v191, v136 :: v_dual_mov_b32 v184, v125
	v_dual_mov_b32 v189, v132 :: v_dual_mov_b32 v190, v137
	s_wait_loadcnt_dscnt 0xf0a
	v_dual_mul_f32 v3, v138, v67 :: v_dual_mul_f32 v47, v139, v67
	v_dual_mul_f32 v49, v141, v69 :: v_dual_mul_f32 v7, v140, v69
	s_wait_loadcnt_dscnt 0xe09
	v_mul_f32_e32 v11, v142, v71
	s_wait_loadcnt_dscnt 0xc07
	v_dual_mul_f32 v59, v151, v79 :: v_dual_fma_f32 v47, v138, v66, -v47
	v_dual_fmac_f32 v3, v139, v66 :: v_dual_mul_f32 v61, v153, v81
	v_dual_mul_f32 v51, v143, v71 :: v_dual_mul_f32 v53, v145, v73
	v_dual_fmac_f32 v7, v141, v68 :: v_dual_fma_f32 v49, v140, v68, -v49
	s_delay_alu instid0(VALU_DEP_3) | instskip(NEXT) | instid1(VALU_DEP_3)
	v_dual_add_f32 v3, 0, v3 :: v_dual_fmac_f32 v11, v143, v70
	v_dual_add_f32 v47, 0, v47 :: v_dual_fma_f32 v51, v142, v70, -v51
	v_dual_mul_f32 v13, v144, v73 :: v_dual_mul_f32 v15, v146, v75
	s_delay_alu instid0(VALU_DEP_3) | instskip(NEXT) | instid1(VALU_DEP_3)
	v_add_f32_e32 v3, v3, v7
	v_dual_add_f32 v7, v47, v49 :: v_dual_fma_f32 v49, v144, v72, -v53
	v_dual_mul_f32 v55, v147, v75 :: v_dual_mul_f32 v57, v149, v77
	s_delay_alu instid0(VALU_DEP_3) | instskip(NEXT) | instid1(VALU_DEP_3)
	v_dual_fmac_f32 v13, v145, v72 :: v_dual_add_f32 v3, v3, v11
	v_dual_add_f32 v7, v7, v51 :: v_dual_mul_f32 v17, v148, v77
	v_dual_mul_f32 v19, v150, v79 :: v_dual_mul_f32 v21, v152, v81
	s_wait_loadcnt_dscnt 0xb06
	v_dual_mul_f32 v23, v154, v83 :: v_dual_fmac_f32 v15, v147, v74
	v_dual_fma_f32 v51, v146, v74, -v55 :: v_dual_add_f32 v3, v3, v13
	s_wait_loadcnt_dscnt 0xa05
	v_mul_f32_e32 v13, v161, v89
	v_dual_add_f32 v7, v7, v49 :: v_dual_fmac_f32 v21, v153, v80
	v_dual_mul_f32 v11, v159, v87 :: v_dual_fmac_f32 v17, v149, v76
	s_delay_alu instid0(VALU_DEP_2) | instskip(SKIP_4) | instid1(VALU_DEP_3)
	v_dual_fma_f32 v49, v148, v76, -v57 :: v_dual_add_f32 v7, v7, v51
	v_dual_fma_f32 v51, v150, v78, -v59 :: v_dual_add_f32 v3, v3, v15
	v_dual_mul_f32 v25, v156, v85 :: v_dual_mul_f32 v27, v158, v87
	v_fmac_f32_e32 v19, v151, v78
	v_dual_mul_f32 v63, v155, v83 :: v_dual_mul_f32 v47, v157, v85
	v_dual_add_f32 v3, v3, v17 :: v_dual_fmac_f32 v25, v157, v84
	v_add_f32_e32 v7, v7, v49
	s_wait_loadcnt_dscnt 0x904
	v_mul_f32_e32 v15, v163, v91
	v_dual_fmac_f32 v23, v155, v82 :: v_dual_fma_f32 v13, v160, v88, -v13
	v_dual_add_f32 v3, v3, v19 :: v_dual_fma_f32 v11, v158, v86, -v11
	v_dual_fma_f32 v47, v156, v84, -v47 :: v_dual_add_f32 v7, v7, v51
	s_delay_alu instid0(VALU_DEP_2) | instskip(SKIP_3) | instid1(VALU_DEP_3)
	v_dual_fma_f32 v51, v154, v82, -v63 :: v_dual_add_f32 v3, v3, v21
	v_dual_fma_f32 v15, v162, v90, -v15 :: v_dual_fma_f32 v49, v152, v80, -v61
	s_wait_loadcnt_dscnt 0x803
	v_dual_mul_f32 v33, v164, v93 :: v_dual_mul_f32 v35, v166, v95
	v_dual_add_f32 v3, v3, v23 :: v_dual_mul_f32 v37, v168, v97
	s_wait_loadcnt_dscnt 0x702
	v_dual_mul_f32 v39, v170, v99 :: v_dual_mul_f32 v17, v165, v93
	s_delay_alu instid0(VALU_DEP_2) | instskip(NEXT) | instid1(VALU_DEP_3)
	v_dual_fmac_f32 v33, v165, v92 :: v_dual_add_f32 v3, v3, v25
	v_fmac_f32_e32 v37, v169, v96
	v_mul_f32_e32 v25, v173, v101
	v_add_f32_e32 v7, v7, v49
	v_dual_mul_f32 v21, v169, v97 :: v_dual_fma_f32 v17, v164, v92, -v17
	s_wait_loadcnt_dscnt 0x501
	v_dual_mul_f32 v193, v176, v105 :: v_dual_mul_f32 v195, v122, v107
	s_delay_alu instid0(VALU_DEP_3)
	v_add_f32_e32 v7, v7, v51
	s_wait_loadcnt 0x4
	v_pk_mul_f32 v[68:69], v[126:127], v[110:111] op_sel:[1,1] op_sel_hi:[0,1]
	v_dual_mov_b32 v70, v113 :: v_dual_mul_f32 v29, v160, v89
	v_mul_f32_e32 v31, v162, v91
	v_add_f32_e32 v7, v7, v47
	v_mul_f32_e32 v19, v167, v95
	v_dual_fmac_f32 v27, v159, v86 :: v_dual_mov_b32 v66, v109
	s_delay_alu instid0(VALU_DEP_3)
	v_dual_fmac_f32 v193, v177, v104 :: v_dual_add_f32 v7, v7, v11
	v_pk_fma_f32 v[80:81], v[126:127], v[110:111], v[68:69] op_sel_hi:[1,0,1]
	v_pk_mul_f32 v[70:71], v[186:187], v[70:71] op_sel_hi:[1,0]
	v_pk_fma_f32 v[68:69], v[126:127], v[110:111], v[68:69] neg_lo:[0,0,1] neg_hi:[0,0,1]
	v_dual_mul_f32 v41, v172, v101 :: v_dual_mul_f32 v43, v174, v103
	v_dual_add_f32 v7, v7, v13 :: v_dual_fmac_f32 v29, v161, v88
	v_dual_mul_f32 v23, v171, v99 :: v_dual_fma_f32 v19, v166, v94, -v19
	v_add_f32_e32 v3, v3, v27
	s_wait_loadcnt 0x3
	s_delay_alu instid0(VALU_DEP_3) | instskip(SKIP_2) | instid1(VALU_DEP_3)
	v_dual_add_f32 v7, v7, v15 :: v_dual_mov_b32 v76, v117
	v_dual_fmac_f32 v35, v167, v94 :: v_dual_mov_b32 v69, v81
	v_pk_fma_f32 v[80:81], v[128:129], v[112:113], v[70:71] op_sel_hi:[1,0,1]
	v_add_f32_e32 v7, v7, v17
	v_pk_fma_f32 v[70:71], v[128:129], v[112:113], v[70:71] neg_lo:[0,0,1] neg_hi:[0,0,1]
	v_dual_mul_f32 v11, v175, v103 :: v_dual_fmac_f32 v41, v173, v100
	v_dual_fmac_f32 v31, v163, v90 :: v_dual_fma_f32 v17, v168, v96, -v21
	s_delay_alu instid0(VALU_DEP_4) | instskip(SKIP_1) | instid1(VALU_DEP_4)
	v_dual_mov_b32 v71, v81 :: v_dual_add_f32 v7, v7, v19
	v_dual_fma_f32 v19, v170, v98, -v23 :: v_dual_add_f32 v3, v3, v29
	v_dual_fma_f32 v11, v174, v102, -v11 :: v_dual_mul_f32 v13, v177, v105
	s_delay_alu instid0(VALU_DEP_3) | instskip(NEXT) | instid1(VALU_DEP_3)
	v_dual_add_f32 v7, v7, v17 :: v_dual_fma_f32 v17, v172, v100, -v25
	v_add_f32_e32 v3, v3, v31
	v_dual_mul_f32 v15, v123, v107 :: v_dual_fmac_f32 v195, v123, v106
	s_delay_alu instid0(VALU_DEP_4) | instskip(NEXT) | instid1(VALU_DEP_2)
	v_dual_fma_f32 v192, v176, v104, -v13 :: v_dual_fmac_f32 v39, v171, v98
	v_dual_add_f32 v3, v3, v33 :: v_dual_fma_f32 v194, v122, v106, -v15
	v_add_f32_e32 v7, v7, v19
	v_fmac_f32_e32 v43, v175, v102
	v_pk_mul_f32 v[66:67], v[184:185], v[66:67] op_sel_hi:[1,0]
	s_delay_alu instid0(VALU_DEP_4)
	v_add_f32_e32 v3, v3, v35
	v_pk_mul_f32 v[72:73], v[130:131], v[114:115] op_sel:[1,1] op_sel_hi:[0,1]
	v_add_f32_e32 v7, v7, v17
	v_pk_mul_f32 v[76:77], v[188:189], v[76:77] op_sel_hi:[1,0]
	v_pk_fma_f32 v[78:79], v[124:125], v[108:109], v[66:67] op_sel_hi:[1,0,1]
	v_add_f32_e32 v3, v3, v37
	v_pk_fma_f32 v[66:67], v[124:125], v[108:109], v[66:67] neg_lo:[0,0,1] neg_hi:[0,0,1]
	v_add_f32_e32 v74, v7, v11
	s_delay_alu instid0(VALU_DEP_4) | instskip(NEXT) | instid1(VALU_DEP_4)
	v_mov_b32_e32 v67, v79
	v_add_f32_e32 v3, v3, v39
	s_wait_loadcnt 0x2
	v_pk_mul_f32 v[78:79], v[134:135], v[118:119] op_sel:[1,1] op_sel_hi:[0,1]
	s_delay_alu instid0(VALU_DEP_2) | instskip(NEXT) | instid1(VALU_DEP_1)
	v_add_f32_e32 v3, v3, v41
	v_add_f32_e32 v75, v3, v43
	s_delay_alu instid0(VALU_DEP_1) | instskip(NEXT) | instid1(VALU_DEP_1)
	v_pk_add_f32 v[74:75], v[74:75], v[192:193]
	v_pk_add_f32 v[74:75], v[74:75], v[194:195]
	s_delay_alu instid0(VALU_DEP_1) | instskip(SKIP_2) | instid1(VALU_DEP_3)
	v_pk_add_f32 v[66:67], v[74:75], v[66:67]
	v_pk_fma_f32 v[74:75], v[130:131], v[114:115], v[72:73] op_sel_hi:[1,0,1]
	v_pk_fma_f32 v[72:73], v[130:131], v[114:115], v[72:73] neg_lo:[0,0,1] neg_hi:[0,0,1]
	v_pk_add_f32 v[66:67], v[66:67], v[68:69]
	s_delay_alu instid0(VALU_DEP_3) | instskip(SKIP_2) | instid1(VALU_DEP_4)
	v_dual_mov_b32 v68, v121 :: v_dual_mov_b32 v73, v75
	v_pk_fma_f32 v[74:75], v[132:133], v[116:117], v[76:77] op_sel_hi:[1,0,1]
	v_pk_fma_f32 v[76:77], v[132:133], v[116:117], v[76:77] neg_lo:[0,0,1] neg_hi:[0,0,1]
	v_pk_add_f32 v[66:67], v[66:67], v[70:71]
	v_pk_fma_f32 v[70:71], v[134:135], v[118:119], v[78:79] op_sel_hi:[1,0,1]
	v_pk_mul_f32 v[68:69], v[190:191], v[68:69] op_sel_hi:[1,0]
	v_mov_b32_e32 v77, v75
	s_wait_loadcnt_dscnt 0x100
	v_pk_mul_f32 v[74:75], v[182:183], v[178:179] op_sel:[1,1] op_sel_hi:[0,1]
	v_pk_add_f32 v[66:67], v[66:67], v[72:73]
	v_pk_fma_f32 v[72:73], v[134:135], v[118:119], v[78:79] neg_lo:[0,0,1] neg_hi:[0,0,1]
	v_mov_b32_e32 v73, v71
	v_pk_fma_f32 v[70:71], v[136:137], v[120:121], v[68:69] op_sel_hi:[1,0,1]
	v_pk_fma_f32 v[68:69], v[136:137], v[120:121], v[68:69] neg_lo:[0,0,1] neg_hi:[0,0,1]
	v_pk_add_f32 v[66:67], v[66:67], v[76:77]
	s_delay_alu instid0(VALU_DEP_3) | instskip(SKIP_1) | instid1(VALU_DEP_3)
	v_mov_b32_e32 v69, v71
	v_pk_fma_f32 v[70:71], v[182:183], v[178:179], v[74:75] op_sel_hi:[1,0,1]
	v_pk_add_f32 v[66:67], v[66:67], v[72:73]
	v_pk_fma_f32 v[72:73], v[182:183], v[178:179], v[74:75] neg_lo:[0,0,1] neg_hi:[0,0,1]
	s_delay_alu instid0(VALU_DEP_3) | instskip(NEXT) | instid1(VALU_DEP_3)
	v_mov_b32_e32 v73, v71
	v_pk_add_f32 v[66:67], v[66:67], v[68:69]
	s_delay_alu instid0(VALU_DEP_1) | instskip(SKIP_1) | instid1(VALU_DEP_1)
	v_pk_add_f32 v[66:67], v[66:67], v[72:73]
	s_wait_loadcnt 0x0
	v_pk_add_f32 v[66:67], v[180:181], v[66:67] neg_lo:[0,1] neg_hi:[0,1]
	scratch_store_b64 off, v[66:67], off offset:16
	s_wait_xcnt 0x0
	v_cmpx_lt_u32_e32 1, v0
	s_cbranch_execz .LBB31_203
; %bb.202:
	scratch_load_b64 v[66:67], off, off offset:8
	v_mov_b64_e32 v[68:69], 0
	scratch_store_b64 off, v[68:69], off offset:8
	s_wait_loadcnt 0x0
	ds_store_b64 v1, v[66:67]
.LBB31_203:
	s_wait_xcnt 0x0
	s_or_b32 exec_lo, exec_lo, s0
	s_wait_storecnt_dscnt 0x0
	s_barrier_signal -1
	s_barrier_wait -1
	s_clause 0xf
	scratch_load_b128 v[66:69], off, off offset:16
	scratch_load_b128 v[70:73], off, off offset:32
	;; [unrolled: 1-line block ×15, first 2 shown]
	scratch_load_b64 v[186:187], off, off offset:8
	ds_load_b128 v[126:129], v45 offset:272
	ds_load_b128 v[130:133], v45 offset:432
	;; [unrolled: 1-line block ×15, first 2 shown]
	v_ashrrev_i32_e32 v35, 31, v34
	v_ashrrev_i32_e32 v39, 31, v38
	;; [unrolled: 1-line block ×3, first 2 shown]
	v_dual_ashrrev_i32 v3, 31, v2 :: v_dual_ashrrev_i32 v13, 31, v12
	v_dual_ashrrev_i32 v7, 31, v6 :: v_dual_ashrrev_i32 v17, 31, v16
	;; [unrolled: 1-line block ×6, first 2 shown]
	s_wait_dscnt 0xb
	v_dual_mov_b32 v188, v137 :: v_dual_mov_b32 v195, v148
	s_wait_dscnt 0xa
	v_dual_mov_b32 v189, v136 :: v_dual_mov_b32 v190, v141
	;; [unrolled: 2-line block ×3, first 2 shown]
	v_dual_mov_b32 v193, v144 :: v_dual_mov_b32 v194, v149
	v_dual_ashrrev_i32 v27, 31, v26 :: v_dual_ashrrev_i32 v37, 31, v36
	v_dual_ashrrev_i32 v31, 31, v30 :: v_dual_ashrrev_i32 v41, 31, v40
	s_mov_b32 s0, exec_lo
	s_wait_loadcnt 0xf
	v_dual_mul_f32 v45, v126, v67 :: v_dual_mul_f32 v47, v128, v69
	v_dual_mul_f32 v49, v127, v67 :: v_dual_mul_f32 v51, v129, v69
	s_wait_loadcnt_dscnt 0xe08
	s_delay_alu instid0(VALU_DEP_2) | instskip(SKIP_1) | instid1(VALU_DEP_3)
	v_dual_mul_f32 v53, v150, v71 :: v_dual_fmac_f32 v45, v127, v66
	v_dual_mul_f32 v55, v152, v73 :: v_dual_mul_f32 v57, v151, v71
	v_dual_fma_f32 v49, v126, v66, -v49 :: v_dual_fmac_f32 v47, v129, v68
	s_wait_loadcnt_dscnt 0x500
	v_dual_mul_f32 v206, v184, v105 :: v_dual_mul_f32 v67, v130, v107
	v_dual_fma_f32 v51, v128, v68, -v51 :: v_dual_add_f32 v45, 0, v45
	s_delay_alu instid0(VALU_DEP_3) | instskip(SKIP_2) | instid1(VALU_DEP_4)
	v_dual_fmac_f32 v53, v151, v70 :: v_dual_add_f32 v49, 0, v49
	v_dual_fma_f32 v57, v150, v70, -v57 :: v_dual_mul_f32 v59, v153, v73
	v_dual_mul_f32 v61, v154, v75 :: v_dual_mul_f32 v69, v132, v109
	v_add_f32_e32 v45, v45, v47
	s_delay_alu instid0(VALU_DEP_3) | instskip(SKIP_2) | instid1(VALU_DEP_4)
	v_dual_add_f32 v47, v49, v51 :: v_dual_fma_f32 v51, v152, v72, -v59
	v_dual_mul_f32 v63, v156, v77 :: v_dual_mul_f32 v65, v155, v75
	v_dual_mul_f32 v49, v163, v83 :: v_dual_fmac_f32 v55, v153, v72
	v_dual_add_f32 v45, v45, v53 :: v_dual_fmac_f32 v61, v155, v74
	s_delay_alu instid0(VALU_DEP_3) | instskip(SKIP_1) | instid1(VALU_DEP_2)
	v_dual_add_f32 v47, v47, v57 :: v_dual_fma_f32 v57, v154, v74, -v65
	v_dual_mul_f32 v71, v157, v77 :: v_dual_mul_f32 v73, v158, v79
	v_dual_mul_f32 v53, v165, v85 :: v_dual_add_f32 v47, v47, v51
	s_delay_alu instid0(VALU_DEP_2) | instskip(SKIP_2) | instid1(VALU_DEP_3)
	v_dual_add_f32 v45, v45, v55 :: v_dual_fma_f32 v55, v156, v76, -v71
	v_dual_mul_f32 v204, v180, v101 :: v_dual_mul_f32 v79, v159, v79
	v_dual_mul_f32 v51, v167, v87 :: v_dual_fmac_f32 v63, v157, v76
	v_dual_add_f32 v45, v45, v61 :: v_dual_fmac_f32 v73, v159, v78
	s_delay_alu instid0(VALU_DEP_3) | instskip(SKIP_2) | instid1(VALU_DEP_3)
	v_dual_add_f32 v47, v47, v57 :: v_dual_fma_f32 v59, v158, v78, -v79
	v_dual_mul_f32 v75, v160, v81 :: v_dual_mul_f32 v77, v162, v83
	v_dual_mul_f32 v81, v161, v81 :: v_dual_mul_f32 v205, v182, v103
	v_dual_mul_f32 v57, v169, v89 :: v_dual_add_f32 v47, v47, v55
	s_delay_alu instid0(VALU_DEP_2) | instskip(NEXT) | instid1(VALU_DEP_4)
	v_dual_add_f32 v45, v45, v63 :: v_dual_fma_f32 v61, v160, v80, -v81
	v_dual_mul_f32 v55, v171, v91 :: v_dual_fmac_f32 v75, v161, v80
	s_delay_alu instid0(VALU_DEP_2) | instskip(SKIP_2) | instid1(VALU_DEP_3)
	v_dual_add_f32 v47, v47, v59 :: v_dual_add_f32 v45, v45, v73
	v_dual_mul_f32 v196, v164, v85 :: v_dual_mul_f32 v197, v166, v87
	v_dual_mul_f32 v59, v173, v93 :: v_dual_fmac_f32 v77, v163, v82
	v_dual_fma_f32 v49, v162, v82, -v49 :: v_dual_add_f32 v45, v45, v75
	s_delay_alu instid0(VALU_DEP_3) | instskip(SKIP_1) | instid1(VALU_DEP_3)
	v_dual_add_f32 v47, v47, v61 :: v_dual_fmac_f32 v196, v165, v84
	v_dual_mul_f32 v61, v175, v95 :: v_dual_fma_f32 v53, v164, v84, -v53
	v_dual_add_f32 v45, v45, v77 :: v_dual_fmac_f32 v197, v167, v86
	s_delay_alu instid0(VALU_DEP_3) | instskip(SKIP_1) | instid1(VALU_DEP_2)
	v_dual_add_f32 v47, v47, v49 :: v_dual_fma_f32 v51, v166, v86, -v51
	v_dual_mul_f32 v198, v168, v89 :: v_dual_mul_f32 v199, v170, v91
	v_dual_add_f32 v45, v45, v196 :: v_dual_add_f32 v47, v47, v53
	s_delay_alu instid0(VALU_DEP_2) | instskip(SKIP_1) | instid1(VALU_DEP_3)
	v_dual_fma_f32 v57, v168, v88, -v57 :: v_dual_fmac_f32 v198, v169, v88
	v_dual_mul_f32 v200, v172, v93 :: v_dual_mul_f32 v201, v174, v95
	v_dual_add_f32 v45, v45, v197 :: v_dual_add_f32 v47, v47, v51
	v_dual_mul_f32 v51, v181, v101 :: v_dual_fmac_f32 v199, v171, v90
	v_fma_f32 v55, v170, v90, -v55
	s_delay_alu instid0(VALU_DEP_3) | instskip(SKIP_1) | instid1(VALU_DEP_2)
	v_dual_add_f32 v45, v45, v198 :: v_dual_add_f32 v47, v47, v57
	v_dual_mul_f32 v57, v183, v103 :: v_dual_fmac_f32 v200, v173, v92
	v_dual_fma_f32 v59, v172, v92, -v59 :: v_dual_add_f32 v45, v45, v199
	v_fmac_f32_e32 v201, v175, v94
	s_delay_alu instid0(VALU_DEP_4) | instskip(SKIP_3) | instid1(VALU_DEP_3)
	v_dual_add_f32 v47, v47, v55 :: v_dual_mul_f32 v55, v185, v105
	v_dual_mul_f32 v202, v176, v97 :: v_dual_mul_f32 v203, v178, v99
	v_dual_mul_f32 v49, v177, v97 :: v_dual_mul_f32 v53, v179, v99
	v_dual_fma_f32 v61, v174, v94, -v61 :: v_dual_add_f32 v45, v45, v200
	v_dual_add_f32 v47, v47, v59 :: v_dual_fmac_f32 v202, v177, v96
	s_delay_alu instid0(VALU_DEP_3) | instskip(NEXT) | instid1(VALU_DEP_3)
	v_dual_mul_f32 v59, v131, v107 :: v_dual_fma_f32 v49, v176, v96, -v49
	v_dual_add_f32 v45, v45, v201 :: v_dual_fmac_f32 v203, v179, v98
	s_delay_alu instid0(VALU_DEP_3) | instskip(SKIP_1) | instid1(VALU_DEP_3)
	v_dual_add_f32 v47, v47, v61 :: v_dual_fma_f32 v53, v178, v98, -v53
	v_mul_f32_e32 v61, v133, v109
	v_add_f32_e32 v45, v45, v202
	s_wait_loadcnt 0x4
	s_delay_alu instid0(VALU_DEP_3) | instskip(SKIP_1) | instid1(VALU_DEP_3)
	v_dual_mov_b32 v72, v113 :: v_dual_add_f32 v47, v47, v49
	v_dual_fmac_f32 v204, v181, v100 :: v_dual_fma_f32 v49, v180, v100, -v51
	v_dual_add_f32 v45, v45, v203 :: v_dual_fmac_f32 v205, v183, v102
	s_delay_alu instid0(VALU_DEP_3) | instskip(SKIP_1) | instid1(VALU_DEP_3)
	v_dual_add_f32 v47, v47, v53 :: v_dual_fma_f32 v51, v182, v102, -v57
	v_fmac_f32_e32 v206, v185, v104
	v_add_f32_e32 v45, v45, v204
	v_pk_mul_f32 v[70:71], v[134:135], v[110:111] op_sel:[1,1] op_sel_hi:[0,1]
	s_delay_alu instid0(VALU_DEP_4) | instskip(SKIP_2) | instid1(VALU_DEP_2)
	v_dual_add_f32 v47, v47, v49 :: v_dual_fma_f32 v49, v184, v104, -v55
	s_wait_loadcnt 0x3
	v_dual_mov_b32 v76, v117 :: v_dual_fmac_f32 v67, v131, v106
	v_dual_add_f32 v45, v45, v205 :: v_dual_add_f32 v47, v47, v51
	v_dual_fma_f32 v66, v130, v106, -v59 :: v_dual_fmac_f32 v69, v133, v108
	s_delay_alu instid0(VALU_DEP_2) | instskip(NEXT) | instid1(VALU_DEP_3)
	v_dual_fma_f32 v68, v132, v108, -v61 :: v_dual_add_f32 v79, v45, v206
	v_add_f32_e32 v78, v47, v49
	v_pk_fma_f32 v[80:81], v[134:135], v[110:111], v[70:71] op_sel_hi:[1,0,1]
	v_pk_mul_f32 v[72:73], v[188:189], v[72:73] op_sel_hi:[1,0]
	v_pk_fma_f32 v[70:71], v[134:135], v[110:111], v[70:71] neg_lo:[0,0,1] neg_hi:[0,0,1]
	v_pk_mul_f32 v[74:75], v[138:139], v[114:115] op_sel:[1,1] op_sel_hi:[0,1]
	v_pk_add_f32 v[66:67], v[78:79], v[66:67]
	v_mov_b32_e32 v71, v81
	v_pk_fma_f32 v[80:81], v[136:137], v[112:113], v[72:73] op_sel_hi:[1,0,1]
	v_pk_fma_f32 v[72:73], v[136:137], v[112:113], v[72:73] neg_lo:[0,0,1] neg_hi:[0,0,1]
	v_pk_mul_f32 v[76:77], v[190:191], v[76:77] op_sel_hi:[1,0]
	v_pk_add_f32 v[66:67], v[66:67], v[68:69]
	v_pk_fma_f32 v[68:69], v[138:139], v[114:115], v[74:75] op_sel_hi:[1,0,1]
	v_mov_b32_e32 v73, v81
	s_wait_loadcnt 0x2
	v_pk_mul_f32 v[78:79], v[142:143], v[118:119] op_sel:[1,1] op_sel_hi:[0,1]
	v_mov_b32_e32 v68, v121
	v_pk_add_f32 v[66:67], v[66:67], v[70:71]
	v_pk_fma_f32 v[70:71], v[138:139], v[114:115], v[74:75] neg_lo:[0,0,1] neg_hi:[0,0,1]
	v_mov_b32_e32 v71, v69
	v_pk_fma_f32 v[74:75], v[140:141], v[116:117], v[76:77] op_sel_hi:[1,0,1]
	v_pk_mul_f32 v[68:69], v[192:193], v[68:69] op_sel_hi:[1,0]
	v_pk_add_f32 v[66:67], v[66:67], v[72:73]
	v_pk_fma_f32 v[72:73], v[142:143], v[118:119], v[78:79] op_sel_hi:[1,0,1]
	v_pk_fma_f32 v[76:77], v[140:141], v[116:117], v[76:77] neg_lo:[0,0,1] neg_hi:[0,0,1]
	v_mov_b32_e32 v77, v75
	v_pk_fma_f32 v[74:75], v[142:143], v[118:119], v[78:79] neg_lo:[0,0,1] neg_hi:[0,0,1]
	v_pk_add_f32 v[66:67], v[66:67], v[70:71]
	v_mov_b32_e32 v75, v73
	v_pk_fma_f32 v[72:73], v[144:145], v[120:121], v[68:69] op_sel_hi:[1,0,1]
	s_wait_loadcnt 0x1
	v_pk_mul_f32 v[70:71], v[146:147], v[122:123] op_sel:[1,1] op_sel_hi:[0,1]
	v_mov_b32_e32 v72, v125
	v_pk_add_f32 v[66:67], v[66:67], v[76:77]
	v_pk_fma_f32 v[68:69], v[144:145], v[120:121], v[68:69] neg_lo:[0,0,1] neg_hi:[0,0,1]
	v_dual_mov_b32 v69, v73 :: v_dual_ashrrev_i32 v45, 31, v44
	v_pk_fma_f32 v[76:77], v[146:147], v[122:123], v[70:71] op_sel_hi:[1,0,1]
	s_delay_alu instid0(VALU_DEP_4) | instskip(SKIP_2) | instid1(VALU_DEP_4)
	v_pk_add_f32 v[66:67], v[66:67], v[74:75]
	v_pk_mul_f32 v[72:73], v[194:195], v[72:73] op_sel_hi:[1,0]
	v_pk_fma_f32 v[70:71], v[146:147], v[122:123], v[70:71] neg_lo:[0,0,1] neg_hi:[0,0,1]
	v_dual_ashrrev_i32 v47, 31, v46 :: v_dual_mov_b32 v71, v77
	s_delay_alu instid0(VALU_DEP_4) | instskip(NEXT) | instid1(VALU_DEP_4)
	v_pk_add_f32 v[66:67], v[66:67], v[68:69]
	v_pk_fma_f32 v[68:69], v[148:149], v[124:125], v[72:73] op_sel_hi:[1,0,1]
	v_pk_fma_f32 v[72:73], v[148:149], v[124:125], v[72:73] neg_lo:[0,0,1] neg_hi:[0,0,1]
	v_dual_ashrrev_i32 v49, 31, v48 :: v_dual_ashrrev_i32 v51, 31, v50
	v_ashrrev_i32_e32 v53, 31, v52
	v_pk_add_f32 v[66:67], v[66:67], v[70:71]
	v_dual_mov_b32 v73, v69 :: v_dual_ashrrev_i32 v55, 31, v54
	v_dual_ashrrev_i32 v57, 31, v56 :: v_dual_ashrrev_i32 v59, 31, v58
	v_ashrrev_i32_e32 v61, 31, v60
	s_delay_alu instid0(VALU_DEP_3) | instskip(SKIP_2) | instid1(VALU_DEP_2)
	v_pk_add_f32 v[66:67], v[66:67], v[72:73]
	v_dual_ashrrev_i32 v63, 31, v62 :: v_dual_ashrrev_i32 v65, 31, v64
	s_wait_loadcnt 0x0
	v_pk_add_f32 v[66:67], v[186:187], v[66:67] neg_lo:[0,1] neg_hi:[0,1]
	scratch_store_b64 off, v[66:67], off offset:8
	s_wait_xcnt 0x0
	v_cmpx_ne_u32_e32 0, v0
	s_cbranch_execz .LBB31_205
; %bb.204:
	scratch_load_b64 v[66:67], off, off
	v_mov_b64_e32 v[68:69], 0
	scratch_store_b64 off, v[68:69], off
	s_wait_loadcnt 0x0
	ds_store_b64 v1, v[66:67]
.LBB31_205:
	s_wait_xcnt 0x0
	s_or_b32 exec_lo, exec_lo, s0
	s_wait_storecnt_dscnt 0x0
	s_barrier_signal -1
	s_barrier_wait -1
	s_clause 0x10
	scratch_load_b128 v[68:71], off, off offset:8
	scratch_load_b128 v[72:75], off, off offset:24
	;; [unrolled: 1-line block ×15, first 2 shown]
	scratch_load_b64 v[0:1], off, off offset:248
	scratch_load_b64 v[188:189], off, off
	v_mov_b32_e32 v66, 0
	ds_load_2addr_b64 v[128:131], v66 offset0:55 offset1:56
	ds_load_2addr_b64 v[132:135], v66 offset0:57 offset1:58
	;; [unrolled: 1-line block ×15, first 2 shown]
	ds_load_b64 v[190:191], v66 offset:504
	s_and_b32 vcc_lo, exec_lo, s18
	s_wait_dscnt 0xf
	v_dual_mov_b32 v192, v131 :: v_dual_mov_b32 v193, v130
	s_wait_dscnt 0xc
	v_dual_mov_b32 v194, v135 :: v_dual_mov_b32 v199, v142
	v_dual_mov_b32 v195, v134 :: v_dual_mov_b32 v196, v139
	;; [unrolled: 1-line block ×3, first 2 shown]
	s_wait_loadcnt_dscnt 0x100b
	v_dual_mul_f32 v67, v144, v69 :: v_dual_mul_f32 v69, v145, v69
	s_wait_loadcnt_dscnt 0xf09
	v_dual_mul_f32 v200, v146, v71 :: v_dual_mul_f32 v202, v152, v73
	s_wait_loadcnt_dscnt 0xd07
	v_dual_mul_f32 v206, v158, v79 :: v_dual_mul_f32 v207, v160, v81
	v_dual_mul_f32 v71, v147, v71 :: v_dual_mul_f32 v81, v161, v81
	v_dual_fmac_f32 v67, v145, v68 :: v_dual_fma_f32 v68, v144, v68, -v69
	v_dual_mul_f32 v73, v153, v73 :: v_dual_mul_f32 v69, v163, v83
	s_delay_alu instid0(VALU_DEP_3) | instskip(NEXT) | instid1(VALU_DEP_3)
	v_dual_fmac_f32 v200, v147, v70 :: v_dual_fma_f32 v70, v146, v70, -v71
	v_dual_add_f32 v67, 0, v67 :: v_dual_add_f32 v68, 0, v68
	v_dual_mul_f32 v204, v154, v75 :: v_dual_mul_f32 v205, v156, v77
	s_wait_loadcnt_dscnt 0xc06
	v_dual_mul_f32 v75, v155, v75 :: v_dual_mul_f32 v71, v165, v85
	s_delay_alu instid0(VALU_DEP_3) | instskip(SKIP_1) | instid1(VALU_DEP_3)
	v_dual_fmac_f32 v202, v153, v72 :: v_dual_add_f32 v68, v68, v70
	v_fma_f32 v72, v152, v72, -v73
	v_dual_add_f32 v67, v67, v200 :: v_dual_fma_f32 v73, v154, v74, -v75
	v_dual_mul_f32 v77, v157, v77 :: v_dual_mul_f32 v79, v159, v79
	s_delay_alu instid0(VALU_DEP_3)
	v_dual_mul_f32 v70, v167, v87 :: v_dual_add_f32 v68, v68, v72
	s_wait_loadcnt_dscnt 0xb05
	v_dual_fmac_f32 v204, v155, v74 :: v_dual_mul_f32 v72, v169, v89
	v_dual_add_f32 v67, v67, v202 :: v_dual_fmac_f32 v205, v157, v76
	v_fma_f32 v74, v156, v76, -v77
	v_dual_add_f32 v68, v68, v73 :: v_dual_mul_f32 v73, v171, v91
	s_delay_alu instid0(VALU_DEP_3) | instskip(SKIP_1) | instid1(VALU_DEP_3)
	v_add_f32_e32 v67, v67, v204
	v_dual_fmac_f32 v206, v159, v78 :: v_dual_fma_f32 v75, v158, v78, -v79
	v_dual_add_f32 v68, v68, v74 :: v_dual_mul_f32 v208, v162, v83
	v_mul_f32_e32 v209, v164, v85
	s_delay_alu instid0(VALU_DEP_4)
	v_add_f32_e32 v67, v67, v205
	s_wait_loadcnt_dscnt 0xa04
	v_dual_mul_f32 v74, v173, v93 :: v_dual_fma_f32 v76, v160, v80, -v81
	v_dual_fmac_f32 v207, v161, v80 :: v_dual_add_f32 v68, v68, v75
	v_fmac_f32_e32 v208, v163, v82
	v_add_f32_e32 v67, v67, v206
	v_dual_mul_f32 v75, v175, v95 :: v_dual_fma_f32 v69, v162, v82, -v69
	s_delay_alu instid0(VALU_DEP_4) | instskip(NEXT) | instid1(VALU_DEP_3)
	v_dual_add_f32 v68, v68, v76 :: v_dual_mul_f32 v210, v166, v87
	v_dual_mul_f32 v211, v168, v89 :: v_dual_add_f32 v67, v67, v207
	s_wait_loadcnt_dscnt 0x903
	v_dual_mul_f32 v76, v177, v97 :: v_dual_fma_f32 v71, v164, v84, -v71
	s_delay_alu instid0(VALU_DEP_3) | instskip(NEXT) | instid1(VALU_DEP_3)
	v_dual_fmac_f32 v209, v165, v84 :: v_dual_add_f32 v68, v68, v69
	v_dual_add_f32 v67, v67, v208 :: v_dual_fma_f32 v70, v166, v86, -v70
	v_dual_fmac_f32 v210, v167, v86 :: v_dual_mul_f32 v212, v170, v91
	v_mul_f32_e32 v213, v172, v93
	s_delay_alu instid0(VALU_DEP_3) | instskip(SKIP_3) | instid1(VALU_DEP_4)
	v_dual_add_f32 v67, v67, v209 :: v_dual_fmac_f32 v211, v169, v88
	v_add_f32_e32 v68, v68, v71
	v_fma_f32 v72, v168, v88, -v72
	v_dual_fmac_f32 v212, v171, v90 :: v_dual_fma_f32 v73, v170, v90, -v73
	v_add_f32_e32 v67, v67, v210
	s_wait_loadcnt_dscnt 0x802
	v_dual_add_f32 v68, v68, v70 :: v_dual_mul_f32 v70, v183, v103
	v_dual_mul_f32 v214, v174, v95 :: v_dual_mul_f32 v215, v176, v97
	s_delay_alu instid0(VALU_DEP_2) | instskip(SKIP_3) | instid1(VALU_DEP_3)
	v_dual_add_f32 v67, v67, v211 :: v_dual_add_f32 v68, v68, v72
	s_wait_loadcnt_dscnt 0x701
	v_dual_mul_f32 v72, v185, v105 :: v_dual_fma_f32 v74, v172, v92, -v74
	v_fmac_f32_e32 v213, v173, v92
	v_dual_add_f32 v67, v67, v212 :: v_dual_fma_f32 v75, v174, v94, -v75
	v_dual_add_f32 v68, v68, v73 :: v_dual_mul_f32 v73, v187, v107
	s_wait_loadcnt 0x6
	v_dual_fmac_f32 v214, v175, v94 :: v_dual_mul_f32 v77, v149, v109
	s_delay_alu instid0(VALU_DEP_3) | instskip(NEXT) | instid1(VALU_DEP_3)
	v_dual_add_f32 v67, v67, v213 :: v_dual_fmac_f32 v215, v177, v96
	v_dual_add_f32 v68, v68, v74 :: v_dual_mul_f32 v216, v178, v99
	v_dual_mul_f32 v217, v180, v101 :: v_dual_mul_f32 v69, v179, v99
	v_dual_mul_f32 v71, v181, v101 :: v_dual_fma_f32 v74, v176, v96, -v76
	s_delay_alu instid0(VALU_DEP_3) | instskip(NEXT) | instid1(VALU_DEP_4)
	v_dual_add_f32 v67, v67, v214 :: v_dual_add_f32 v68, v68, v75
	v_fmac_f32_e32 v216, v179, v98
	s_delay_alu instid0(VALU_DEP_4) | instskip(NEXT) | instid1(VALU_DEP_3)
	v_dual_mul_f32 v76, v151, v111 :: v_dual_fma_f32 v69, v178, v98, -v69
	v_dual_add_f32 v67, v67, v215 :: v_dual_add_f32 v68, v68, v74
	v_dual_mul_f32 v218, v182, v103 :: v_dual_mul_f32 v219, v184, v105
	s_wait_loadcnt 0x5
	v_dual_mul_f32 v79, v129, v113 :: v_dual_fma_f32 v71, v180, v100, -v71
	s_delay_alu instid0(VALU_DEP_3) | instskip(SKIP_3) | instid1(VALU_DEP_3)
	v_dual_fmac_f32 v217, v181, v100 :: v_dual_add_f32 v69, v68, v69
	v_dual_add_f32 v67, v67, v216 :: v_dual_fma_f32 v74, v182, v102, -v70
	v_mov_b32_e32 v68, v115
	v_dual_fmac_f32 v218, v183, v102 :: v_dual_fmac_f32 v219, v185, v104
	v_dual_add_f32 v67, v67, v217 :: v_dual_fma_f32 v75, v184, v104, -v72
	v_add_f32_e32 v69, v69, v71
	v_dual_mul_f32 v220, v186, v107 :: v_dual_mul_f32 v221, v148, v109
	s_wait_loadcnt 0x4
	v_dual_mov_b32 v72, v119 :: v_dual_fma_f32 v73, v186, v106, -v73
	s_delay_alu instid0(VALU_DEP_3) | instskip(SKIP_2) | instid1(VALU_DEP_3)
	v_add_f32_e32 v69, v69, v74
	v_add_f32_e32 v67, v67, v218
	v_dual_fmac_f32 v220, v187, v106 :: v_dual_mul_f32 v201, v150, v111
	v_dual_mul_f32 v203, v128, v113 :: v_dual_add_f32 v69, v69, v75
	s_delay_alu instid0(VALU_DEP_3) | instskip(SKIP_1) | instid1(VALU_DEP_3)
	v_dual_add_f32 v67, v67, v219 :: v_dual_fmac_f32 v221, v149, v108
	v_fma_f32 v78, v148, v108, -v77
	v_dual_fmac_f32 v201, v151, v110 :: v_dual_fmac_f32 v203, v129, v112
	s_delay_alu instid0(VALU_DEP_3) | instskip(SKIP_3) | instid1(VALU_DEP_4)
	v_dual_add_f32 v67, v67, v220 :: v_dual_fma_f32 v200, v150, v110, -v76
	v_add_f32_e32 v73, v69, v73
	v_pk_mul_f32 v[68:69], v[192:193], v[68:69] op_sel_hi:[1,0]
	v_pk_mul_f32 v[70:71], v[132:133], v[116:117] op_sel:[1,1] op_sel_hi:[0,1]
	v_dual_add_f32 v77, v67, v221 :: v_dual_fma_f32 v202, v128, v112, -v79
	s_wait_loadcnt 0x3
	v_dual_add_f32 v76, v73, v78 :: v_dual_mov_b32 v78, v123
	v_pk_fma_f32 v[80:81], v[130:131], v[114:115], v[68:69] op_sel_hi:[1,0,1]
	v_pk_fma_f32 v[68:69], v[130:131], v[114:115], v[68:69] neg_lo:[0,0,1] neg_hi:[0,0,1]
	v_pk_fma_f32 v[82:83], v[132:133], v[116:117], v[70:71] op_sel_hi:[1,0,1]
	s_delay_alu instid0(VALU_DEP_4)
	v_pk_add_f32 v[76:77], v[76:77], v[200:201]
	v_pk_mul_f32 v[72:73], v[194:195], v[72:73] op_sel_hi:[1,0]
	v_mov_b32_e32 v69, v81
	v_pk_fma_f32 v[70:71], v[132:133], v[116:117], v[70:71] neg_lo:[0,0,1] neg_hi:[0,0,1]
	v_pk_mul_f32 v[74:75], v[136:137], v[120:121] op_sel:[1,1] op_sel_hi:[0,1]
	v_pk_add_f32 v[76:77], v[76:77], v[202:203]
	v_mov_b32_e32 v71, v83
	v_pk_fma_f32 v[82:83], v[134:135], v[118:119], v[72:73] op_sel_hi:[1,0,1]
	v_pk_fma_f32 v[72:73], v[134:135], v[118:119], v[72:73] neg_lo:[0,0,1] neg_hi:[0,0,1]
	v_pk_mul_f32 v[78:79], v[196:197], v[78:79] op_sel_hi:[1,0]
	v_pk_add_f32 v[68:69], v[76:77], v[68:69]
	v_pk_fma_f32 v[76:77], v[136:137], v[120:121], v[74:75] op_sel_hi:[1,0,1]
	v_mov_b32_e32 v73, v83
	v_pk_fma_f32 v[74:75], v[136:137], v[120:121], v[74:75] neg_lo:[0,0,1] neg_hi:[0,0,1]
	s_wait_loadcnt 0x2
	v_pk_mul_f32 v[80:81], v[140:141], v[124:125] op_sel:[1,1] op_sel_hi:[0,1]
	v_pk_add_f32 v[68:69], v[68:69], v[70:71]
	v_dual_mov_b32 v70, v127 :: v_dual_mov_b32 v75, v77
	v_pk_fma_f32 v[76:77], v[138:139], v[122:123], v[78:79] op_sel_hi:[1,0,1]
	v_pk_fma_f32 v[78:79], v[138:139], v[122:123], v[78:79] neg_lo:[0,0,1] neg_hi:[0,0,1]
	s_delay_alu instid0(VALU_DEP_4)
	v_pk_add_f32 v[68:69], v[68:69], v[72:73]
	v_pk_fma_f32 v[72:73], v[140:141], v[124:125], v[80:81] op_sel_hi:[1,0,1]
	v_pk_mul_f32 v[70:71], v[198:199], v[70:71] op_sel_hi:[1,0]
	v_mov_b32_e32 v79, v77
	v_pk_fma_f32 v[76:77], v[140:141], v[124:125], v[80:81] neg_lo:[0,0,1] neg_hi:[0,0,1]
	v_pk_add_f32 v[68:69], v[68:69], v[74:75]
	s_wait_loadcnt_dscnt 0x100
	v_pk_mul_f32 v[74:75], v[190:191], v[0:1] op_sel:[1,1] op_sel_hi:[0,1]
	v_mov_b32_e32 v77, v73
	v_pk_fma_f32 v[72:73], v[142:143], v[126:127], v[70:71] op_sel_hi:[1,0,1]
	v_pk_fma_f32 v[70:71], v[142:143], v[126:127], v[70:71] neg_lo:[0,0,1] neg_hi:[0,0,1]
	v_pk_add_f32 v[68:69], v[68:69], v[78:79]
	v_pk_fma_f32 v[78:79], v[190:191], v[0:1], v[74:75] op_sel_hi:[1,0,1]
	v_pk_fma_f32 v[0:1], v[190:191], v[0:1], v[74:75] neg_lo:[0,0,1] neg_hi:[0,0,1]
	v_mov_b32_e32 v71, v73
	s_delay_alu instid0(VALU_DEP_4) | instskip(NEXT) | instid1(VALU_DEP_4)
	v_pk_add_f32 v[68:69], v[68:69], v[76:77]
	v_mov_b32_e32 v1, v79
	s_delay_alu instid0(VALU_DEP_2) | instskip(NEXT) | instid1(VALU_DEP_1)
	v_pk_add_f32 v[68:69], v[68:69], v[70:71]
	v_pk_add_f32 v[0:1], v[68:69], v[0:1]
	s_wait_loadcnt 0x0
	s_delay_alu instid0(VALU_DEP_1)
	v_pk_add_f32 v[0:1], v[188:189], v[0:1] neg_lo:[0,1] neg_hi:[0,1]
	scratch_store_b64 off, v[0:1], off
	s_cbranch_vccz .LBB31_268
; %bb.206:
	global_load_b32 v0, v66, s[2:3] offset:120
	s_wait_loadcnt 0x0
	v_cmp_ne_u32_e32 vcc_lo, 31, v0
	s_cbranch_vccz .LBB31_208
; %bb.207:
	v_lshlrev_b32_e32 v0, 3, v0
	s_delay_alu instid0(VALU_DEP_1)
	v_mov_b32_e32 v68, v0
	scratch_load_b64 v[0:1], v68, off offset:-8
	scratch_load_b64 v[66:67], off, off offset:240
	s_wait_loadcnt 0x1
	scratch_store_b64 off, v[0:1], off offset:240
	s_wait_loadcnt 0x0
	scratch_store_b64 v68, v[66:67], off offset:-8
.LBB31_208:
	s_wait_xcnt 0x1
	v_mov_b32_e32 v0, 0
	global_load_b32 v1, v0, s[2:3] offset:116
	s_wait_loadcnt 0x0
	v_cmp_eq_u32_e32 vcc_lo, 30, v1
	s_cbranch_vccnz .LBB31_210
; %bb.209:
	v_lshlrev_b32_e32 v1, 3, v1
	scratch_load_b64 v[66:67], v1, off offset:-8
	scratch_load_b64 v[68:69], off, off offset:232
	s_wait_loadcnt 0x1
	scratch_store_b64 off, v[66:67], off offset:232
	s_wait_loadcnt 0x0
	scratch_store_b64 v1, v[68:69], off offset:-8
.LBB31_210:
	global_load_b32 v0, v0, s[2:3] offset:112
	s_wait_loadcnt 0x0
	v_cmp_eq_u32_e32 vcc_lo, 29, v0
	s_cbranch_vccnz .LBB31_212
; %bb.211:
	s_wait_xcnt 0x0
	v_lshlrev_b32_e32 v0, 3, v0
	s_delay_alu instid0(VALU_DEP_1)
	v_mov_b32_e32 v68, v0
	scratch_load_b64 v[0:1], v68, off offset:-8
	scratch_load_b64 v[66:67], off, off offset:224
	s_wait_loadcnt 0x1
	scratch_store_b64 off, v[0:1], off offset:224
	s_wait_loadcnt 0x0
	scratch_store_b64 v68, v[66:67], off offset:-8
.LBB31_212:
	s_wait_xcnt 0x0
	v_mov_b32_e32 v0, 0
	global_load_b32 v1, v0, s[2:3] offset:108
	s_wait_loadcnt 0x0
	v_cmp_eq_u32_e32 vcc_lo, 28, v1
	s_cbranch_vccnz .LBB31_214
; %bb.213:
	v_lshlrev_b32_e32 v1, 3, v1
	scratch_load_b64 v[66:67], v1, off offset:-8
	scratch_load_b64 v[68:69], off, off offset:216
	s_wait_loadcnt 0x1
	scratch_store_b64 off, v[66:67], off offset:216
	s_wait_loadcnt 0x0
	scratch_store_b64 v1, v[68:69], off offset:-8
.LBB31_214:
	global_load_b32 v0, v0, s[2:3] offset:104
	s_wait_loadcnt 0x0
	v_cmp_eq_u32_e32 vcc_lo, 27, v0
	s_cbranch_vccnz .LBB31_216
; %bb.215:
	s_wait_xcnt 0x0
	v_lshlrev_b32_e32 v0, 3, v0
	s_delay_alu instid0(VALU_DEP_1)
	v_mov_b32_e32 v68, v0
	scratch_load_b64 v[0:1], v68, off offset:-8
	scratch_load_b64 v[66:67], off, off offset:208
	s_wait_loadcnt 0x1
	scratch_store_b64 off, v[0:1], off offset:208
	s_wait_loadcnt 0x0
	scratch_store_b64 v68, v[66:67], off offset:-8
.LBB31_216:
	;; [unrolled: 31-line block ×14, first 2 shown]
	s_wait_xcnt 0x0
	v_mov_b32_e32 v0, 0
	global_load_b32 v1, v0, s[2:3] offset:4
	s_wait_loadcnt 0x0
	v_cmp_eq_u32_e32 vcc_lo, 2, v1
	s_cbranch_vccnz .LBB31_266
; %bb.265:
	v_lshlrev_b32_e32 v1, 3, v1
	scratch_load_b64 v[66:67], v1, off offset:-8
	scratch_load_b64 v[68:69], off, off offset:8
	s_wait_loadcnt 0x1
	scratch_store_b64 off, v[66:67], off offset:8
	s_wait_loadcnt 0x0
	scratch_store_b64 v1, v[68:69], off offset:-8
.LBB31_266:
	global_load_b32 v66, v0, s[2:3]
	scratch_load_b64 v[0:1], off, off
	s_wait_loadcnt 0x1
	v_cmp_eq_u32_e32 vcc_lo, 1, v66
	s_cbranch_vccnz .LBB31_268
; %bb.267:
	v_lshlrev_b32_e32 v66, 3, v66
	s_delay_alu instid0(VALU_DEP_1)
	v_mov_b32_e32 v68, v66
	scratch_load_b64 v[66:67], v68, off offset:-8
	s_wait_loadcnt 0x0
	scratch_store_b64 off, v[66:67], off
	scratch_store_b64 v68, v[0:1], off offset:-8
	scratch_load_b64 v[0:1], off, off
.LBB31_268:
	s_clause 0xf
	scratch_load_b128 v[66:69], off, off offset:8
	scratch_load_b128 v[70:73], off, off offset:24
	;; [unrolled: 1-line block ×15, first 2 shown]
	scratch_load_b64 v[126:127], off, off offset:248
	v_lshl_add_u64 v[2:3], v[2:3], 3, s[4:5]
	v_lshl_add_u64 v[6:7], v[6:7], 3, s[4:5]
	;; [unrolled: 1-line block ×30, first 2 shown]
	s_wait_loadcnt 0x10
	global_store_b64 v[4:5], v[0:1], off
	s_wait_loadcnt 0xf
	s_clause 0x1
	global_store_b64 v[8:9], v[66:67], off
	global_store_b64 v[2:3], v[68:69], off
	s_wait_loadcnt 0xe
	s_clause 0x1
	global_store_b64 v[6:7], v[70:71], off
	global_store_b64 v[10:11], v[72:73], off
	s_wait_loadcnt 0xd
	s_clause 0x1
	global_store_b64 v[12:13], v[74:75], off
	global_store_b64 v[14:15], v[76:77], off
	s_wait_loadcnt 0xc
	s_clause 0x1
	global_store_b64 v[16:17], v[78:79], off
	global_store_b64 v[18:19], v[80:81], off
	s_wait_loadcnt 0xb
	s_clause 0x1
	global_store_b64 v[20:21], v[82:83], off
	global_store_b64 v[22:23], v[84:85], off
	s_wait_loadcnt 0xa
	s_clause 0x1
	global_store_b64 v[24:25], v[86:87], off
	global_store_b64 v[26:27], v[88:89], off
	s_wait_loadcnt 0x9
	s_clause 0x1
	global_store_b64 v[28:29], v[90:91], off
	global_store_b64 v[30:31], v[92:93], off
	s_wait_loadcnt 0x8
	s_clause 0x1
	global_store_b64 v[32:33], v[94:95], off
	global_store_b64 v[34:35], v[96:97], off
	s_wait_loadcnt 0x7
	s_clause 0x1
	global_store_b64 v[36:37], v[98:99], off
	global_store_b64 v[38:39], v[100:101], off
	s_wait_loadcnt 0x6
	s_clause 0x1
	global_store_b64 v[40:41], v[102:103], off
	global_store_b64 v[42:43], v[104:105], off
	s_wait_loadcnt 0x5
	s_clause 0x1
	global_store_b64 v[44:45], v[106:107], off
	global_store_b64 v[46:47], v[108:109], off
	s_wait_loadcnt 0x4
	s_clause 0x1
	global_store_b64 v[48:49], v[110:111], off
	global_store_b64 v[50:51], v[112:113], off
	s_wait_loadcnt 0x3
	s_clause 0x1
	global_store_b64 v[52:53], v[114:115], off
	global_store_b64 v[54:55], v[116:117], off
	s_wait_loadcnt 0x2
	s_clause 0x1
	global_store_b64 v[56:57], v[118:119], off
	global_store_b64 v[58:59], v[120:121], off
	s_wait_loadcnt 0x1
	s_clause 0x1
	global_store_b64 v[60:61], v[122:123], off
	global_store_b64 v[62:63], v[124:125], off
	s_wait_loadcnt 0x0
	global_store_b64 v[64:65], v[126:127], off
	s_sendmsg sendmsg(MSG_DEALLOC_VGPRS)
	s_endpgm
	.section	.rodata,"a",@progbits
	.p2align	6, 0x0
	.amdhsa_kernel _ZN9rocsolver6v33100L18getri_kernel_smallILi32E19rocblas_complex_numIfEPS3_EEvT1_iilPiilS6_bb
		.amdhsa_group_segment_fixed_size 516
		.amdhsa_private_segment_fixed_size 272
		.amdhsa_kernarg_size 60
		.amdhsa_user_sgpr_count 2
		.amdhsa_user_sgpr_dispatch_ptr 0
		.amdhsa_user_sgpr_queue_ptr 0
		.amdhsa_user_sgpr_kernarg_segment_ptr 1
		.amdhsa_user_sgpr_dispatch_id 0
		.amdhsa_user_sgpr_kernarg_preload_length 0
		.amdhsa_user_sgpr_kernarg_preload_offset 0
		.amdhsa_user_sgpr_private_segment_size 0
		.amdhsa_wavefront_size32 1
		.amdhsa_uses_dynamic_stack 0
		.amdhsa_enable_private_segment 1
		.amdhsa_system_sgpr_workgroup_id_x 1
		.amdhsa_system_sgpr_workgroup_id_y 0
		.amdhsa_system_sgpr_workgroup_id_z 0
		.amdhsa_system_sgpr_workgroup_info 0
		.amdhsa_system_vgpr_workitem_id 0
		.amdhsa_next_free_vgpr 222
		.amdhsa_next_free_sgpr 19
		.amdhsa_named_barrier_count 0
		.amdhsa_reserve_vcc 1
		.amdhsa_float_round_mode_32 0
		.amdhsa_float_round_mode_16_64 0
		.amdhsa_float_denorm_mode_32 3
		.amdhsa_float_denorm_mode_16_64 3
		.amdhsa_fp16_overflow 0
		.amdhsa_memory_ordered 1
		.amdhsa_forward_progress 1
		.amdhsa_inst_pref_size 255
		.amdhsa_round_robin_scheduling 0
		.amdhsa_exception_fp_ieee_invalid_op 0
		.amdhsa_exception_fp_denorm_src 0
		.amdhsa_exception_fp_ieee_div_zero 0
		.amdhsa_exception_fp_ieee_overflow 0
		.amdhsa_exception_fp_ieee_underflow 0
		.amdhsa_exception_fp_ieee_inexact 0
		.amdhsa_exception_int_div_zero 0
	.end_amdhsa_kernel
	.section	.text._ZN9rocsolver6v33100L18getri_kernel_smallILi32E19rocblas_complex_numIfEPS3_EEvT1_iilPiilS6_bb,"axG",@progbits,_ZN9rocsolver6v33100L18getri_kernel_smallILi32E19rocblas_complex_numIfEPS3_EEvT1_iilPiilS6_bb,comdat
.Lfunc_end31:
	.size	_ZN9rocsolver6v33100L18getri_kernel_smallILi32E19rocblas_complex_numIfEPS3_EEvT1_iilPiilS6_bb, .Lfunc_end31-_ZN9rocsolver6v33100L18getri_kernel_smallILi32E19rocblas_complex_numIfEPS3_EEvT1_iilPiilS6_bb
                                        ; -- End function
	.set _ZN9rocsolver6v33100L18getri_kernel_smallILi32E19rocblas_complex_numIfEPS3_EEvT1_iilPiilS6_bb.num_vgpr, 222
	.set _ZN9rocsolver6v33100L18getri_kernel_smallILi32E19rocblas_complex_numIfEPS3_EEvT1_iilPiilS6_bb.num_agpr, 0
	.set _ZN9rocsolver6v33100L18getri_kernel_smallILi32E19rocblas_complex_numIfEPS3_EEvT1_iilPiilS6_bb.numbered_sgpr, 19
	.set _ZN9rocsolver6v33100L18getri_kernel_smallILi32E19rocblas_complex_numIfEPS3_EEvT1_iilPiilS6_bb.num_named_barrier, 0
	.set _ZN9rocsolver6v33100L18getri_kernel_smallILi32E19rocblas_complex_numIfEPS3_EEvT1_iilPiilS6_bb.private_seg_size, 272
	.set _ZN9rocsolver6v33100L18getri_kernel_smallILi32E19rocblas_complex_numIfEPS3_EEvT1_iilPiilS6_bb.uses_vcc, 1
	.set _ZN9rocsolver6v33100L18getri_kernel_smallILi32E19rocblas_complex_numIfEPS3_EEvT1_iilPiilS6_bb.uses_flat_scratch, 1
	.set _ZN9rocsolver6v33100L18getri_kernel_smallILi32E19rocblas_complex_numIfEPS3_EEvT1_iilPiilS6_bb.has_dyn_sized_stack, 0
	.set _ZN9rocsolver6v33100L18getri_kernel_smallILi32E19rocblas_complex_numIfEPS3_EEvT1_iilPiilS6_bb.has_recursion, 0
	.set _ZN9rocsolver6v33100L18getri_kernel_smallILi32E19rocblas_complex_numIfEPS3_EEvT1_iilPiilS6_bb.has_indirect_call, 0
	.section	.AMDGPU.csdata,"",@progbits
; Kernel info:
; codeLenInByte = 44436
; TotalNumSgprs: 21
; NumVgprs: 222
; ScratchSize: 272
; MemoryBound: 0
; FloatMode: 240
; IeeeMode: 1
; LDSByteSize: 516 bytes/workgroup (compile time only)
; SGPRBlocks: 0
; VGPRBlocks: 13
; NumSGPRsForWavesPerEU: 21
; NumVGPRsForWavesPerEU: 222
; NamedBarCnt: 0
; Occupancy: 4
; WaveLimiterHint : 1
; COMPUTE_PGM_RSRC2:SCRATCH_EN: 1
; COMPUTE_PGM_RSRC2:USER_SGPR: 2
; COMPUTE_PGM_RSRC2:TRAP_HANDLER: 0
; COMPUTE_PGM_RSRC2:TGID_X_EN: 1
; COMPUTE_PGM_RSRC2:TGID_Y_EN: 0
; COMPUTE_PGM_RSRC2:TGID_Z_EN: 0
; COMPUTE_PGM_RSRC2:TIDIG_COMP_CNT: 0
	.section	.text._ZN9rocsolver6v33100L18getri_kernel_smallILi33E19rocblas_complex_numIfEPS3_EEvT1_iilPiilS6_bb,"axG",@progbits,_ZN9rocsolver6v33100L18getri_kernel_smallILi33E19rocblas_complex_numIfEPS3_EEvT1_iilPiilS6_bb,comdat
	.globl	_ZN9rocsolver6v33100L18getri_kernel_smallILi33E19rocblas_complex_numIfEPS3_EEvT1_iilPiilS6_bb ; -- Begin function _ZN9rocsolver6v33100L18getri_kernel_smallILi33E19rocblas_complex_numIfEPS3_EEvT1_iilPiilS6_bb
	.p2align	8
	.type	_ZN9rocsolver6v33100L18getri_kernel_smallILi33E19rocblas_complex_numIfEPS3_EEvT1_iilPiilS6_bb,@function
_ZN9rocsolver6v33100L18getri_kernel_smallILi33E19rocblas_complex_numIfEPS3_EEvT1_iilPiilS6_bb: ; @_ZN9rocsolver6v33100L18getri_kernel_smallILi33E19rocblas_complex_numIfEPS3_EEvT1_iilPiilS6_bb
; %bb.0:
	s_mov_b32 s2, exec_lo
	v_cmpx_gt_u32_e32 33, v0
	s_cbranch_execz .LBB32_146
; %bb.1:
	s_clause 0x2
	s_load_b32 s2, s[0:1], 0x38
	s_load_b128 s[12:15], s[0:1], 0x10
	s_load_b128 s[4:7], s[0:1], 0x28
	s_getreg_b32 s9, hwreg(HW_REG_IB_STS2, 6, 4)
	s_wait_kmcnt 0x0
	s_bitcmp1_b32 s2, 8
	s_cselect_b32 s18, -1, 0
	s_bfe_u32 s3, ttmp6, 0x4000c
	s_and_b32 s8, ttmp6, 15
	s_add_co_i32 s3, s3, 1
	s_delay_alu instid0(SALU_CYCLE_1) | instskip(NEXT) | instid1(SALU_CYCLE_1)
	s_mul_i32 s3, ttmp9, s3
	s_add_co_i32 s8, s8, s3
	s_cmp_eq_u32 s9, 0
	s_cselect_b32 s16, ttmp9, s8
	s_bfe_u32 s2, s2, 0x10008
	s_ashr_i32 s17, s16, 31
	s_cmp_eq_u32 s2, 0
                                        ; implicit-def: $sgpr2_sgpr3
	s_cbranch_scc1 .LBB32_3
; %bb.2:
	s_load_b32 s2, s[0:1], 0x20
	s_mul_u64 s[4:5], s[4:5], s[16:17]
	s_delay_alu instid0(SALU_CYCLE_1) | instskip(NEXT) | instid1(SALU_CYCLE_1)
	s_lshl_b64 s[4:5], s[4:5], 2
	s_add_nc_u64 s[4:5], s[14:15], s[4:5]
	s_wait_kmcnt 0x0
	s_ashr_i32 s3, s2, 31
	s_delay_alu instid0(SALU_CYCLE_1) | instskip(NEXT) | instid1(SALU_CYCLE_1)
	s_lshl_b64 s[2:3], s[2:3], 2
	s_add_nc_u64 s[2:3], s[4:5], s[2:3]
.LBB32_3:
	s_clause 0x1
	s_load_b128 s[8:11], s[0:1], 0x0
	s_load_b32 s14, s[0:1], 0x38
	s_wait_xcnt 0x0
	s_mul_u64 s[0:1], s[12:13], s[16:17]
	v_lshlrev_b32_e32 v68, 3, v0
	s_lshl_b64 s[0:1], s[0:1], 3
	v_mov_b32_e32 v69, 0
	s_wait_kmcnt 0x0
	v_add3_u32 v2, s11, s11, v0
	s_ashr_i32 s5, s10, 31
	s_mov_b32 s4, s10
	s_add_nc_u64 s[0:1], s[8:9], s[0:1]
	s_lshl_b64 s[4:5], s[4:5], 3
	v_add_nc_u32_e32 v6, s11, v2
	s_add_nc_u64 s[4:5], s[0:1], s[4:5]
	s_ashr_i32 s1, s11, 31
	s_mov_b32 s0, s11
	s_bitcmp0_b32 s14, 0
	v_add_nc_u32_e32 v10, s11, v6
	v_add_nc_u64_e32 v[4:5], s[4:5], v[68:69]
	s_delay_alu instid0(VALU_DEP_2) | instskip(NEXT) | instid1(VALU_DEP_2)
	v_add_nc_u32_e32 v12, s11, v10
	v_lshl_add_u64 v[8:9], s[0:1], 3, v[4:5]
	s_mov_b32 s1, -1
	s_delay_alu instid0(VALU_DEP_2) | instskip(SKIP_4) | instid1(VALU_DEP_1)
	v_add_nc_u32_e32 v14, s11, v12
	s_clause 0x1
	global_load_b64 v[70:71], v0, s[4:5] scale_offset
	global_load_b64 v[72:73], v[8:9], off
	v_add_nc_u32_e32 v16, s11, v14
	v_add_nc_u32_e32 v18, s11, v16
	s_delay_alu instid0(VALU_DEP_1) | instskip(NEXT) | instid1(VALU_DEP_1)
	v_add_nc_u32_e32 v20, s11, v18
	v_add_nc_u32_e32 v22, s11, v20
	s_clause 0x3
	global_load_b64 v[74:75], v2, s[4:5] scale_offset
	global_load_b64 v[76:77], v6, s[4:5] scale_offset
	;; [unrolled: 1-line block ×4, first 2 shown]
	v_add_nc_u32_e32 v24, s11, v22
	s_delay_alu instid0(VALU_DEP_1) | instskip(NEXT) | instid1(VALU_DEP_1)
	v_add_nc_u32_e32 v26, s11, v24
	v_add_nc_u32_e32 v28, s11, v26
	s_delay_alu instid0(VALU_DEP_1)
	v_add_nc_u32_e32 v30, s11, v28
	s_clause 0x3
	global_load_b64 v[82:83], v14, s[4:5] scale_offset
	global_load_b64 v[84:85], v16, s[4:5] scale_offset
	;; [unrolled: 1-line block ×4, first 2 shown]
	v_add_nc_u32_e32 v32, s11, v30
	s_delay_alu instid0(VALU_DEP_1) | instskip(NEXT) | instid1(VALU_DEP_1)
	v_add_nc_u32_e32 v34, s11, v32
	v_add_nc_u32_e32 v36, s11, v34
	s_delay_alu instid0(VALU_DEP_1)
	v_add_nc_u32_e32 v38, s11, v36
	s_clause 0x3
	global_load_b64 v[90:91], v22, s[4:5] scale_offset
	global_load_b64 v[92:93], v24, s[4:5] scale_offset
	;; [unrolled: 1-line block ×4, first 2 shown]
	v_add_nc_u32_e32 v40, s11, v38
	s_delay_alu instid0(VALU_DEP_1)
	v_add_nc_u32_e32 v42, s11, v40
	s_clause 0x3
	global_load_b64 v[98:99], v30, s[4:5] scale_offset
	global_load_b64 v[100:101], v32, s[4:5] scale_offset
	;; [unrolled: 1-line block ×4, first 2 shown]
	v_add_nc_u32_e32 v44, s11, v42
	s_delay_alu instid0(VALU_DEP_1) | instskip(NEXT) | instid1(VALU_DEP_1)
	v_add_nc_u32_e32 v46, s11, v44
	v_add_nc_u32_e32 v48, s11, v46
	s_delay_alu instid0(VALU_DEP_1)
	v_add_nc_u32_e32 v50, s11, v48
	s_clause 0x3
	global_load_b64 v[106:107], v38, s[4:5] scale_offset
	global_load_b64 v[108:109], v40, s[4:5] scale_offset
	;; [unrolled: 1-line block ×4, first 2 shown]
	v_add_nc_u32_e32 v52, s11, v50
	s_delay_alu instid0(VALU_DEP_1)
	v_add_nc_u32_e32 v54, s11, v52
	s_clause 0x3
	global_load_b64 v[114:115], v46, s[4:5] scale_offset
	global_load_b64 v[116:117], v48, s[4:5] scale_offset
	;; [unrolled: 1-line block ×4, first 2 shown]
	v_add_nc_u32_e32 v56, s11, v54
	s_delay_alu instid0(VALU_DEP_1) | instskip(NEXT) | instid1(VALU_DEP_1)
	v_add_nc_u32_e32 v58, s11, v56
	v_add_nc_u32_e32 v60, s11, v58
	s_delay_alu instid0(VALU_DEP_1) | instskip(NEXT) | instid1(VALU_DEP_1)
	v_add_nc_u32_e32 v62, s11, v60
	v_add_nc_u32_e32 v64, s11, v62
	s_delay_alu instid0(VALU_DEP_1)
	v_add_nc_u32_e32 v66, s11, v64
	s_clause 0x6
	global_load_b64 v[122:123], v54, s[4:5] scale_offset
	global_load_b64 v[124:125], v56, s[4:5] scale_offset
	;; [unrolled: 1-line block ×7, first 2 shown]
	s_wait_loadcnt 0x1f
	scratch_store_b128 off, v[70:73], off
	s_wait_loadcnt 0x1d
	scratch_store_b128 off, v[74:77], off offset:16
	s_wait_loadcnt 0x1b
	scratch_store_b128 off, v[78:81], off offset:32
	;; [unrolled: 2-line block ×15, first 2 shown]
	s_wait_loadcnt 0x0
	scratch_store_b64 off, v[134:135], off offset:256
	s_cbranch_scc1 .LBB32_144
; %bb.4:
	v_cmp_eq_u32_e64 s0, 0, v0
	s_wait_xcnt 0x0
	s_and_saveexec_b32 s1, s0
; %bb.5:
	v_mov_b32_e32 v1, 0
	ds_store_b32 v1, v1 offset:264
; %bb.6:
	s_or_b32 exec_lo, exec_lo, s1
	s_wait_storecnt_dscnt 0x0
	s_barrier_signal -1
	s_barrier_wait -1
	scratch_load_b64 v[70:71], v0, off scale_offset
	s_wait_loadcnt 0x0
	v_cmp_eq_f32_e32 vcc_lo, 0, v70
	v_cmp_eq_f32_e64 s1, 0, v71
	s_and_b32 s1, vcc_lo, s1
	s_delay_alu instid0(SALU_CYCLE_1)
	s_and_saveexec_b32 s8, s1
	s_cbranch_execz .LBB32_10
; %bb.7:
	v_mov_b32_e32 v1, 0
	s_mov_b32 s9, 0
	ds_load_b32 v3, v1 offset:264
	s_wait_dscnt 0x0
	v_readfirstlane_b32 s1, v3
	v_add_nc_u32_e32 v3, 1, v0
	s_cmp_eq_u32 s1, 0
	s_delay_alu instid0(VALU_DEP_1) | instskip(SKIP_1) | instid1(SALU_CYCLE_1)
	v_cmp_gt_i32_e32 vcc_lo, s1, v3
	s_cselect_b32 s10, -1, 0
	s_or_b32 s10, s10, vcc_lo
	s_delay_alu instid0(SALU_CYCLE_1)
	s_and_b32 exec_lo, exec_lo, s10
	s_cbranch_execz .LBB32_10
; %bb.8:
	v_mov_b32_e32 v7, s1
.LBB32_9:                               ; =>This Inner Loop Header: Depth=1
	ds_cmpstore_rtn_b32 v7, v1, v3, v7 offset:264
	s_wait_dscnt 0x0
	v_cmp_ne_u32_e32 vcc_lo, 0, v7
	v_cmp_le_i32_e64 s1, v7, v3
	s_and_b32 s1, vcc_lo, s1
	s_delay_alu instid0(SALU_CYCLE_1) | instskip(NEXT) | instid1(SALU_CYCLE_1)
	s_and_b32 s1, exec_lo, s1
	s_or_b32 s9, s1, s9
	s_delay_alu instid0(SALU_CYCLE_1)
	s_and_not1_b32 exec_lo, exec_lo, s9
	s_cbranch_execnz .LBB32_9
.LBB32_10:
	s_or_b32 exec_lo, exec_lo, s8
	v_mov_b32_e32 v1, 0
	s_barrier_signal -1
	s_barrier_wait -1
	ds_load_b32 v3, v1 offset:264
	s_and_saveexec_b32 s1, s0
	s_cbranch_execz .LBB32_12
; %bb.11:
	s_lshl_b64 s[8:9], s[16:17], 2
	s_delay_alu instid0(SALU_CYCLE_1)
	s_add_nc_u64 s[8:9], s[6:7], s[8:9]
	s_wait_dscnt 0x0
	global_store_b32 v1, v3, s[8:9]
.LBB32_12:
	s_wait_xcnt 0x0
	s_or_b32 exec_lo, exec_lo, s1
	s_wait_dscnt 0x0
	v_cmp_ne_u32_e32 vcc_lo, 0, v3
	s_mov_b32 s1, 0
	s_cbranch_vccnz .LBB32_144
; %bb.13:
	v_lshl_add_u32 v3, v0, 3, 0
                                        ; implicit-def: $vgpr73
                                        ; implicit-def: $vgpr74
	scratch_load_b64 v[70:71], v3, off
	s_wait_loadcnt 0x0
	v_cmp_ngt_f32_e64 s1, |v70|, |v71|
	s_wait_xcnt 0x0
	s_and_saveexec_b32 s8, s1
	s_delay_alu instid0(SALU_CYCLE_1)
	s_xor_b32 s1, exec_lo, s8
	s_cbranch_execz .LBB32_15
; %bb.14:
	v_div_scale_f32 v1, null, v71, v71, v70
	v_div_scale_f32 v13, vcc_lo, v70, v71, v70
	s_delay_alu instid0(VALU_DEP_2) | instskip(SKIP_1) | instid1(TRANS32_DEP_1)
	v_rcp_f32_e32 v7, v1
	v_nop
	v_fma_f32 v11, -v1, v7, 1.0
	s_delay_alu instid0(VALU_DEP_1) | instskip(NEXT) | instid1(VALU_DEP_1)
	v_fmac_f32_e32 v7, v11, v7
	v_mul_f32_e32 v11, v13, v7
	s_delay_alu instid0(VALU_DEP_1) | instskip(NEXT) | instid1(VALU_DEP_1)
	v_fma_f32 v15, -v1, v11, v13
	v_fmac_f32_e32 v11, v15, v7
	s_delay_alu instid0(VALU_DEP_1) | instskip(NEXT) | instid1(VALU_DEP_1)
	v_fma_f32 v1, -v1, v11, v13
	v_div_fmas_f32 v1, v1, v7, v11
	s_delay_alu instid0(VALU_DEP_1) | instskip(NEXT) | instid1(VALU_DEP_1)
	v_div_fixup_f32 v1, v1, v71, v70
	v_fmac_f32_e32 v71, v70, v1
	s_delay_alu instid0(VALU_DEP_1) | instskip(NEXT) | instid1(VALU_DEP_1)
	v_div_scale_f32 v7, null, v71, v71, -1.0
	v_rcp_f32_e32 v11, v7
	v_nop
	s_delay_alu instid0(TRANS32_DEP_1) | instskip(NEXT) | instid1(VALU_DEP_1)
	v_fma_f32 v13, -v7, v11, 1.0
	v_fmac_f32_e32 v11, v13, v11
	v_div_scale_f32 v13, vcc_lo, -1.0, v71, -1.0
	s_delay_alu instid0(VALU_DEP_1) | instskip(NEXT) | instid1(VALU_DEP_1)
	v_mul_f32_e32 v15, v13, v11
	v_fma_f32 v17, -v7, v15, v13
	s_delay_alu instid0(VALU_DEP_1) | instskip(NEXT) | instid1(VALU_DEP_1)
	v_fmac_f32_e32 v15, v17, v11
	v_fma_f32 v7, -v7, v15, v13
	s_delay_alu instid0(VALU_DEP_1) | instskip(NEXT) | instid1(VALU_DEP_1)
	v_div_fmas_f32 v7, v7, v11, v15
	v_div_fixup_f32 v73, v7, v71, -1.0
                                        ; implicit-def: $vgpr70_vgpr71
	s_delay_alu instid0(VALU_DEP_1) | instskip(NEXT) | instid1(VALU_DEP_1)
	v_mul_f32_e32 v74, v1, v73
	v_xor_b32_e32 v72, 0x80000000, v74
.LBB32_15:
	s_and_not1_saveexec_b32 s1, s1
	s_cbranch_execz .LBB32_17
; %bb.16:
	v_div_scale_f32 v1, null, v70, v70, v71
	v_div_scale_f32 v13, vcc_lo, v71, v70, v71
	s_delay_alu instid0(VALU_DEP_2) | instskip(SKIP_1) | instid1(TRANS32_DEP_1)
	v_rcp_f32_e32 v7, v1
	v_nop
	v_fma_f32 v11, -v1, v7, 1.0
	s_delay_alu instid0(VALU_DEP_1) | instskip(NEXT) | instid1(VALU_DEP_1)
	v_fmac_f32_e32 v7, v11, v7
	v_mul_f32_e32 v11, v13, v7
	s_delay_alu instid0(VALU_DEP_1) | instskip(NEXT) | instid1(VALU_DEP_1)
	v_fma_f32 v15, -v1, v11, v13
	v_fmac_f32_e32 v11, v15, v7
	s_delay_alu instid0(VALU_DEP_1) | instskip(NEXT) | instid1(VALU_DEP_1)
	v_fma_f32 v1, -v1, v11, v13
	v_div_fmas_f32 v1, v1, v7, v11
	s_delay_alu instid0(VALU_DEP_1) | instskip(NEXT) | instid1(VALU_DEP_1)
	v_div_fixup_f32 v1, v1, v70, v71
	v_fmac_f32_e32 v70, v71, v1
	s_delay_alu instid0(VALU_DEP_1) | instskip(SKIP_1) | instid1(VALU_DEP_2)
	v_div_scale_f32 v7, null, v70, v70, 1.0
	v_div_scale_f32 v15, vcc_lo, 1.0, v70, 1.0
	v_rcp_f32_e32 v11, v7
	v_nop
	s_delay_alu instid0(TRANS32_DEP_1) | instskip(NEXT) | instid1(VALU_DEP_1)
	v_fma_f32 v13, -v7, v11, 1.0
	v_fmac_f32_e32 v11, v13, v11
	s_delay_alu instid0(VALU_DEP_1) | instskip(NEXT) | instid1(VALU_DEP_1)
	v_mul_f32_e32 v13, v15, v11
	v_fma_f32 v17, -v7, v13, v15
	s_delay_alu instid0(VALU_DEP_1) | instskip(NEXT) | instid1(VALU_DEP_1)
	v_fmac_f32_e32 v13, v17, v11
	v_fma_f32 v7, -v7, v13, v15
	s_delay_alu instid0(VALU_DEP_1) | instskip(NEXT) | instid1(VALU_DEP_1)
	v_div_fmas_f32 v7, v7, v11, v13
	v_div_fixup_f32 v72, v7, v70, 1.0
	s_delay_alu instid0(VALU_DEP_1)
	v_xor_b32_e32 v74, 0x80000000, v72
	v_mul_f32_e64 v73, v1, -v72
.LBB32_17:
	s_or_b32 exec_lo, exec_lo, s1
	scratch_store_b64 v3, v[72:73], off
	scratch_load_b64 v[70:71], off, off offset:8
	v_xor_b32_e32 v75, 0x80000000, v73
	v_add_nc_u32_e32 v1, 0x110, v68
	s_wait_loadcnt 0x0
	ds_store_2addr_b64 v68, v[74:75], v[70:71] offset1:34
	s_wait_storecnt_dscnt 0x0
	s_barrier_signal -1
	s_barrier_wait -1
	s_wait_xcnt 0x0
	s_and_saveexec_b32 s1, s0
	s_cbranch_execz .LBB32_19
; %bb.18:
	scratch_load_b64 v[70:71], v3, off
	ds_load_b64 v[72:73], v1
	s_wait_loadcnt_dscnt 0x0
	v_pk_mul_f32 v[76:77], v[72:73], v[70:71] op_sel:[1,1] op_sel_hi:[0,1]
	s_delay_alu instid0(VALU_DEP_1) | instskip(SKIP_2) | instid1(VALU_DEP_3)
	v_pk_fma_f32 v[78:79], v[72:73], v[70:71], v[76:77] op_sel_hi:[1,0,1]
	v_mov_b32_e32 v7, 0
	v_pk_fma_f32 v[70:71], v[72:73], v[70:71], v[76:77] neg_lo:[0,0,1] neg_hi:[0,0,1]
	v_mov_b32_e32 v71, v79
	ds_load_b64 v[74:75], v7 offset:8
	v_pk_add_f32 v[70:71], v[70:71], 0 op_sel_hi:[1,0]
	s_wait_dscnt 0x0
	s_delay_alu instid0(VALU_DEP_1) | instskip(NEXT) | instid1(VALU_DEP_1)
	v_pk_mul_f32 v[72:73], v[70:71], v[74:75] op_sel:[1,1] op_sel_hi:[0,1]
	v_pk_fma_f32 v[76:77], v[70:71], v[74:75], v[72:73] op_sel_hi:[1,0,1]
	v_pk_fma_f32 v[70:71], v[70:71], v[74:75], v[72:73] neg_lo:[0,0,1] neg_hi:[0,0,1]
	s_delay_alu instid0(VALU_DEP_2)
	v_mov_b32_e32 v71, v77
	scratch_store_b64 off, v[70:71], off offset:8
.LBB32_19:
	s_wait_xcnt 0x0
	s_or_b32 exec_lo, exec_lo, s1
	s_wait_storecnt 0x0
	s_barrier_signal -1
	s_barrier_wait -1
	scratch_load_b64 v[70:71], off, off offset:16
	s_mov_b32 s1, exec_lo
	s_wait_loadcnt 0x0
	ds_store_b64 v1, v[70:71]
	s_wait_dscnt 0x0
	s_barrier_signal -1
	s_barrier_wait -1
	v_cmpx_gt_u32_e32 2, v0
	s_cbranch_execz .LBB32_23
; %bb.20:
	scratch_load_b64 v[70:71], v3, off
	ds_load_b64 v[72:73], v1
	s_wait_loadcnt_dscnt 0x0
	v_pk_mul_f32 v[74:75], v[72:73], v[70:71] op_sel:[1,1] op_sel_hi:[0,1]
	s_delay_alu instid0(VALU_DEP_1) | instskip(SKIP_1) | instid1(VALU_DEP_2)
	v_pk_fma_f32 v[76:77], v[72:73], v[70:71], v[74:75] op_sel_hi:[1,0,1]
	v_pk_fma_f32 v[70:71], v[72:73], v[70:71], v[74:75] neg_lo:[0,0,1] neg_hi:[0,0,1]
	v_mov_b32_e32 v71, v77
	s_delay_alu instid0(VALU_DEP_1)
	v_pk_add_f32 v[70:71], v[70:71], 0 op_sel_hi:[1,0]
	s_and_saveexec_b32 s8, s0
	s_cbranch_execz .LBB32_22
; %bb.21:
	scratch_load_b64 v[72:73], off, off offset:8
	v_mov_b32_e32 v3, 0
	ds_load_b64 v[74:75], v3 offset:280
	s_wait_loadcnt_dscnt 0x0
	v_pk_mul_f32 v[76:77], v[74:75], v[72:73] op_sel:[1,1] op_sel_hi:[0,1]
	s_delay_alu instid0(VALU_DEP_1) | instskip(SKIP_1) | instid1(VALU_DEP_2)
	v_pk_fma_f32 v[78:79], v[74:75], v[72:73], v[76:77] op_sel_hi:[1,0,1]
	v_pk_fma_f32 v[72:73], v[74:75], v[72:73], v[76:77] neg_lo:[0,0,1] neg_hi:[0,0,1]
	v_mov_b32_e32 v73, v79
	s_delay_alu instid0(VALU_DEP_1)
	v_pk_add_f32 v[70:71], v[70:71], v[72:73]
.LBB32_22:
	s_or_b32 exec_lo, exec_lo, s8
	v_mov_b32_e32 v3, 0
	ds_load_b64 v[72:73], v3 offset:16
	s_wait_dscnt 0x0
	v_pk_mul_f32 v[74:75], v[70:71], v[72:73] op_sel:[1,1] op_sel_hi:[0,1]
	s_delay_alu instid0(VALU_DEP_1) | instskip(SKIP_1) | instid1(VALU_DEP_2)
	v_pk_fma_f32 v[76:77], v[70:71], v[72:73], v[74:75] op_sel_hi:[1,0,1]
	v_pk_fma_f32 v[70:71], v[70:71], v[72:73], v[74:75] neg_lo:[0,0,1] neg_hi:[0,0,1]
	v_mov_b32_e32 v71, v77
	scratch_store_b64 off, v[70:71], off offset:16
.LBB32_23:
	s_wait_xcnt 0x0
	s_or_b32 exec_lo, exec_lo, s1
	s_wait_storecnt 0x0
	s_barrier_signal -1
	s_barrier_wait -1
	scratch_load_b64 v[70:71], off, off offset:24
	v_add_nc_u32_e32 v3, -1, v0
	s_mov_b32 s0, exec_lo
	s_wait_loadcnt 0x0
	ds_store_b64 v1, v[70:71]
	s_wait_dscnt 0x0
	s_barrier_signal -1
	s_barrier_wait -1
	v_cmpx_gt_u32_e32 3, v0
	s_cbranch_execz .LBB32_27
; %bb.24:
	v_dual_mov_b32 v70, 0 :: v_dual_add_nc_u32 v7, -1, v0
	v_add_nc_u32_e32 v11, 0x110, v68
	v_mov_b32_e32 v13, v68
	s_mov_b32 s1, 0
	s_delay_alu instid0(VALU_DEP_3)
	v_mov_b32_e32 v71, v70
.LBB32_25:                              ; =>This Inner Loop Header: Depth=1
	scratch_load_b64 v[72:73], v13, off
	ds_load_b64 v[74:75], v11
	s_wait_xcnt 0x0
	v_dual_add_nc_u32 v11, 8, v11 :: v_dual_add_nc_u32 v13, 8, v13
	s_wait_loadcnt_dscnt 0x0
	v_pk_mul_f32 v[76:77], v[74:75], v[72:73] op_sel:[1,1] op_sel_hi:[0,1]
	s_delay_alu instid0(VALU_DEP_1) | instskip(SKIP_2) | instid1(VALU_DEP_3)
	v_pk_fma_f32 v[78:79], v[74:75], v[72:73], v[76:77] op_sel_hi:[1,0,1]
	v_add_nc_u32_e32 v7, 1, v7
	v_pk_fma_f32 v[72:73], v[74:75], v[72:73], v[76:77] neg_lo:[0,0,1] neg_hi:[0,0,1]
	v_mov_b32_e32 v73, v79
	s_delay_alu instid0(VALU_DEP_3) | instskip(NEXT) | instid1(VALU_DEP_2)
	v_cmp_lt_u32_e32 vcc_lo, 1, v7
	v_pk_add_f32 v[70:71], v[70:71], v[72:73]
	s_or_b32 s1, vcc_lo, s1
	s_delay_alu instid0(SALU_CYCLE_1)
	s_and_not1_b32 exec_lo, exec_lo, s1
	s_cbranch_execnz .LBB32_25
; %bb.26:
	s_or_b32 exec_lo, exec_lo, s1
	v_mov_b32_e32 v7, 0
	ds_load_b64 v[72:73], v7 offset:24
	s_wait_dscnt 0x0
	v_pk_mul_f32 v[74:75], v[70:71], v[72:73] op_sel:[1,1] op_sel_hi:[0,1]
	s_delay_alu instid0(VALU_DEP_1) | instskip(SKIP_1) | instid1(VALU_DEP_2)
	v_pk_fma_f32 v[76:77], v[70:71], v[72:73], v[74:75] op_sel_hi:[1,0,1]
	v_pk_fma_f32 v[70:71], v[70:71], v[72:73], v[74:75] neg_lo:[0,0,1] neg_hi:[0,0,1]
	v_mov_b32_e32 v71, v77
	scratch_store_b64 off, v[70:71], off offset:24
.LBB32_27:
	s_wait_xcnt 0x0
	s_or_b32 exec_lo, exec_lo, s0
	s_wait_storecnt 0x0
	s_barrier_signal -1
	s_barrier_wait -1
	scratch_load_b64 v[70:71], off, off offset:32
	s_mov_b32 s0, exec_lo
	s_wait_loadcnt 0x0
	ds_store_b64 v1, v[70:71]
	s_wait_dscnt 0x0
	s_barrier_signal -1
	s_barrier_wait -1
	v_cmpx_gt_u32_e32 4, v0
	s_cbranch_execz .LBB32_31
; %bb.28:
	v_dual_mov_b32 v70, 0 :: v_dual_add_nc_u32 v7, -1, v0
	v_add_nc_u32_e32 v11, 0x110, v68
	v_mov_b32_e32 v13, v68
	s_mov_b32 s1, 0
	s_delay_alu instid0(VALU_DEP_3)
	v_mov_b32_e32 v71, v70
.LBB32_29:                              ; =>This Inner Loop Header: Depth=1
	scratch_load_b64 v[72:73], v13, off
	ds_load_b64 v[74:75], v11
	s_wait_xcnt 0x0
	v_dual_add_nc_u32 v11, 8, v11 :: v_dual_add_nc_u32 v13, 8, v13
	s_wait_loadcnt_dscnt 0x0
	v_pk_mul_f32 v[76:77], v[74:75], v[72:73] op_sel:[1,1] op_sel_hi:[0,1]
	s_delay_alu instid0(VALU_DEP_1) | instskip(SKIP_2) | instid1(VALU_DEP_3)
	v_pk_fma_f32 v[78:79], v[74:75], v[72:73], v[76:77] op_sel_hi:[1,0,1]
	v_add_nc_u32_e32 v7, 1, v7
	v_pk_fma_f32 v[72:73], v[74:75], v[72:73], v[76:77] neg_lo:[0,0,1] neg_hi:[0,0,1]
	v_mov_b32_e32 v73, v79
	s_delay_alu instid0(VALU_DEP_3) | instskip(NEXT) | instid1(VALU_DEP_2)
	v_cmp_lt_u32_e32 vcc_lo, 2, v7
	v_pk_add_f32 v[70:71], v[70:71], v[72:73]
	s_or_b32 s1, vcc_lo, s1
	s_delay_alu instid0(SALU_CYCLE_1)
	s_and_not1_b32 exec_lo, exec_lo, s1
	s_cbranch_execnz .LBB32_29
; %bb.30:
	s_or_b32 exec_lo, exec_lo, s1
	v_mov_b32_e32 v7, 0
	ds_load_b64 v[72:73], v7 offset:32
	s_wait_dscnt 0x0
	v_pk_mul_f32 v[74:75], v[70:71], v[72:73] op_sel:[1,1] op_sel_hi:[0,1]
	s_delay_alu instid0(VALU_DEP_1) | instskip(SKIP_1) | instid1(VALU_DEP_2)
	v_pk_fma_f32 v[76:77], v[70:71], v[72:73], v[74:75] op_sel_hi:[1,0,1]
	v_pk_fma_f32 v[70:71], v[70:71], v[72:73], v[74:75] neg_lo:[0,0,1] neg_hi:[0,0,1]
	v_mov_b32_e32 v71, v77
	scratch_store_b64 off, v[70:71], off offset:32
.LBB32_31:
	s_wait_xcnt 0x0
	s_or_b32 exec_lo, exec_lo, s0
	s_wait_storecnt 0x0
	s_barrier_signal -1
	s_barrier_wait -1
	scratch_load_b64 v[70:71], off, off offset:40
	;; [unrolled: 52-line block ×19, first 2 shown]
	s_mov_b32 s0, exec_lo
	s_wait_loadcnt 0x0
	ds_store_b64 v1, v[70:71]
	s_wait_dscnt 0x0
	s_barrier_signal -1
	s_barrier_wait -1
	v_cmpx_gt_u32_e32 22, v0
	s_cbranch_execz .LBB32_103
; %bb.100:
	v_dual_mov_b32 v70, 0 :: v_dual_add_nc_u32 v7, -1, v0
	v_add_nc_u32_e32 v11, 0x110, v68
	v_mov_b32_e32 v13, v68
	s_mov_b32 s1, 0
	s_delay_alu instid0(VALU_DEP_3)
	v_mov_b32_e32 v71, v70
.LBB32_101:                             ; =>This Inner Loop Header: Depth=1
	scratch_load_b64 v[72:73], v13, off
	ds_load_b64 v[74:75], v11
	s_wait_xcnt 0x0
	v_dual_add_nc_u32 v11, 8, v11 :: v_dual_add_nc_u32 v13, 8, v13
	s_wait_loadcnt_dscnt 0x0
	v_pk_mul_f32 v[76:77], v[74:75], v[72:73] op_sel:[1,1] op_sel_hi:[0,1]
	s_delay_alu instid0(VALU_DEP_1) | instskip(SKIP_2) | instid1(VALU_DEP_3)
	v_pk_fma_f32 v[78:79], v[74:75], v[72:73], v[76:77] op_sel_hi:[1,0,1]
	v_add_nc_u32_e32 v7, 1, v7
	v_pk_fma_f32 v[72:73], v[74:75], v[72:73], v[76:77] neg_lo:[0,0,1] neg_hi:[0,0,1]
	v_mov_b32_e32 v73, v79
	s_delay_alu instid0(VALU_DEP_3) | instskip(NEXT) | instid1(VALU_DEP_2)
	v_cmp_lt_u32_e32 vcc_lo, 20, v7
	v_pk_add_f32 v[70:71], v[70:71], v[72:73]
	s_or_b32 s1, vcc_lo, s1
	s_delay_alu instid0(SALU_CYCLE_1)
	s_and_not1_b32 exec_lo, exec_lo, s1
	s_cbranch_execnz .LBB32_101
; %bb.102:
	s_or_b32 exec_lo, exec_lo, s1
	v_mov_b32_e32 v7, 0
	ds_load_b64 v[72:73], v7 offset:176
	s_wait_dscnt 0x0
	v_pk_mul_f32 v[74:75], v[70:71], v[72:73] op_sel:[1,1] op_sel_hi:[0,1]
	s_delay_alu instid0(VALU_DEP_1) | instskip(SKIP_1) | instid1(VALU_DEP_2)
	v_pk_fma_f32 v[76:77], v[70:71], v[72:73], v[74:75] op_sel_hi:[1,0,1]
	v_pk_fma_f32 v[70:71], v[70:71], v[72:73], v[74:75] neg_lo:[0,0,1] neg_hi:[0,0,1]
	v_mov_b32_e32 v71, v77
	scratch_store_b64 off, v[70:71], off offset:176
.LBB32_103:
	s_wait_xcnt 0x0
	s_or_b32 exec_lo, exec_lo, s0
	s_wait_storecnt 0x0
	s_barrier_signal -1
	s_barrier_wait -1
	scratch_load_b64 v[70:71], off, off offset:184
	s_mov_b32 s0, exec_lo
	s_wait_loadcnt 0x0
	ds_store_b64 v1, v[70:71]
	s_wait_dscnt 0x0
	s_barrier_signal -1
	s_barrier_wait -1
	v_cmpx_gt_u32_e32 23, v0
	s_cbranch_execz .LBB32_107
; %bb.104:
	v_dual_mov_b32 v70, 0 :: v_dual_add_nc_u32 v7, -1, v0
	v_add_nc_u32_e32 v11, 0x110, v68
	v_mov_b32_e32 v13, v68
	s_mov_b32 s1, 0
	s_delay_alu instid0(VALU_DEP_3)
	v_mov_b32_e32 v71, v70
.LBB32_105:                             ; =>This Inner Loop Header: Depth=1
	scratch_load_b64 v[72:73], v13, off
	ds_load_b64 v[74:75], v11
	s_wait_xcnt 0x0
	v_dual_add_nc_u32 v11, 8, v11 :: v_dual_add_nc_u32 v13, 8, v13
	s_wait_loadcnt_dscnt 0x0
	v_pk_mul_f32 v[76:77], v[74:75], v[72:73] op_sel:[1,1] op_sel_hi:[0,1]
	s_delay_alu instid0(VALU_DEP_1) | instskip(SKIP_2) | instid1(VALU_DEP_3)
	v_pk_fma_f32 v[78:79], v[74:75], v[72:73], v[76:77] op_sel_hi:[1,0,1]
	v_add_nc_u32_e32 v7, 1, v7
	v_pk_fma_f32 v[72:73], v[74:75], v[72:73], v[76:77] neg_lo:[0,0,1] neg_hi:[0,0,1]
	v_mov_b32_e32 v73, v79
	s_delay_alu instid0(VALU_DEP_3) | instskip(NEXT) | instid1(VALU_DEP_2)
	v_cmp_lt_u32_e32 vcc_lo, 21, v7
	v_pk_add_f32 v[70:71], v[70:71], v[72:73]
	s_or_b32 s1, vcc_lo, s1
	s_delay_alu instid0(SALU_CYCLE_1)
	s_and_not1_b32 exec_lo, exec_lo, s1
	s_cbranch_execnz .LBB32_105
; %bb.106:
	s_or_b32 exec_lo, exec_lo, s1
	v_mov_b32_e32 v7, 0
	ds_load_b64 v[72:73], v7 offset:184
	s_wait_dscnt 0x0
	v_pk_mul_f32 v[74:75], v[70:71], v[72:73] op_sel:[1,1] op_sel_hi:[0,1]
	s_delay_alu instid0(VALU_DEP_1) | instskip(SKIP_1) | instid1(VALU_DEP_2)
	v_pk_fma_f32 v[76:77], v[70:71], v[72:73], v[74:75] op_sel_hi:[1,0,1]
	v_pk_fma_f32 v[70:71], v[70:71], v[72:73], v[74:75] neg_lo:[0,0,1] neg_hi:[0,0,1]
	v_mov_b32_e32 v71, v77
	scratch_store_b64 off, v[70:71], off offset:184
.LBB32_107:
	s_wait_xcnt 0x0
	s_or_b32 exec_lo, exec_lo, s0
	s_wait_storecnt 0x0
	s_barrier_signal -1
	s_barrier_wait -1
	scratch_load_b64 v[70:71], off, off offset:192
	;; [unrolled: 52-line block ×10, first 2 shown]
	s_mov_b32 s0, exec_lo
	s_wait_loadcnt 0x0
	ds_store_b64 v1, v[70:71]
	s_wait_dscnt 0x0
	s_barrier_signal -1
	s_barrier_wait -1
	v_cmpx_ne_u32_e32 32, v0
	s_cbranch_execz .LBB32_143
; %bb.140:
	v_dual_mov_b32 v70, 0 :: v_dual_mov_b32 v7, v68
	s_mov_b32 s1, 0
	s_delay_alu instid0(VALU_DEP_1)
	v_mov_b32_e32 v71, v70
.LBB32_141:                             ; =>This Inner Loop Header: Depth=1
	scratch_load_b64 v[68:69], v7, off
	ds_load_b64 v[72:73], v1
	s_wait_xcnt 0x0
	v_dual_add_nc_u32 v1, 8, v1 :: v_dual_add_nc_u32 v7, 8, v7
	s_wait_loadcnt_dscnt 0x0
	v_pk_mul_f32 v[74:75], v[72:73], v[68:69] op_sel:[1,1] op_sel_hi:[0,1]
	s_delay_alu instid0(VALU_DEP_1) | instskip(SKIP_2) | instid1(VALU_DEP_3)
	v_pk_fma_f32 v[76:77], v[72:73], v[68:69], v[74:75] op_sel_hi:[1,0,1]
	v_add_nc_u32_e32 v3, 1, v3
	v_pk_fma_f32 v[68:69], v[72:73], v[68:69], v[74:75] neg_lo:[0,0,1] neg_hi:[0,0,1]
	v_mov_b32_e32 v69, v77
	s_delay_alu instid0(VALU_DEP_3) | instskip(NEXT) | instid1(VALU_DEP_2)
	v_cmp_lt_u32_e32 vcc_lo, 30, v3
	v_pk_add_f32 v[70:71], v[70:71], v[68:69]
	s_or_b32 s1, vcc_lo, s1
	s_delay_alu instid0(SALU_CYCLE_1)
	s_and_not1_b32 exec_lo, exec_lo, s1
	s_cbranch_execnz .LBB32_141
; %bb.142:
	s_or_b32 exec_lo, exec_lo, s1
	v_mov_b32_e32 v1, 0
	ds_load_b64 v[68:69], v1 offset:256
	s_wait_dscnt 0x0
	v_pk_mul_f32 v[72:73], v[70:71], v[68:69] op_sel:[1,1] op_sel_hi:[0,1]
	s_delay_alu instid0(VALU_DEP_1) | instskip(SKIP_1) | instid1(VALU_DEP_2)
	v_pk_fma_f32 v[74:75], v[70:71], v[68:69], v[72:73] op_sel_hi:[1,0,1]
	v_pk_fma_f32 v[68:69], v[70:71], v[68:69], v[72:73] neg_lo:[0,0,1] neg_hi:[0,0,1]
	v_mov_b32_e32 v69, v75
	scratch_store_b64 off, v[68:69], off offset:256
.LBB32_143:
	s_wait_xcnt 0x0
	s_or_b32 exec_lo, exec_lo, s0
	s_mov_b32 s1, -1
	s_wait_storecnt 0x0
	s_barrier_signal -1
	s_barrier_wait -1
.LBB32_144:
	s_and_b32 vcc_lo, exec_lo, s1
	s_cbranch_vccz .LBB32_146
; %bb.145:
	v_mov_b32_e32 v1, 0
	s_lshl_b64 s[0:1], s[16:17], 2
	s_delay_alu instid0(SALU_CYCLE_1)
	s_add_nc_u64 s[0:1], s[6:7], s[0:1]
	global_load_b32 v1, v1, s[0:1]
	s_wait_loadcnt 0x0
	v_cmp_ne_u32_e32 vcc_lo, 0, v1
	s_cbranch_vccz .LBB32_147
.LBB32_146:
	s_sendmsg sendmsg(MSG_DEALLOC_VGPRS)
	s_endpgm
.LBB32_147:
	s_wait_xcnt 0x0
	v_lshl_add_u32 v1, v0, 3, 0x110
	s_mov_b32 s0, exec_lo
	v_cmpx_eq_u32_e32 32, v0
	s_cbranch_execz .LBB32_149
; %bb.148:
	scratch_load_b64 v[68:69], off, off offset:248
	v_mov_b64_e32 v[70:71], 0
	scratch_store_b64 off, v[70:71], off offset:248
	s_wait_loadcnt 0x0
	ds_store_b64 v1, v[68:69]
.LBB32_149:
	s_wait_xcnt 0x0
	s_or_b32 exec_lo, exec_lo, s0
	s_wait_storecnt_dscnt 0x0
	s_barrier_signal -1
	s_barrier_wait -1
	s_clause 0x1
	scratch_load_b64 v[68:69], off, off offset:256
	scratch_load_b64 v[70:71], off, off offset:248
	v_mov_b32_e32 v3, 0
	s_mov_b32 s0, exec_lo
	ds_load_b64 v[72:73], v3 offset:528
	s_wait_loadcnt_dscnt 0x100
	v_pk_mul_f32 v[74:75], v[72:73], v[68:69] op_sel:[1,1] op_sel_hi:[0,1]
	s_delay_alu instid0(VALU_DEP_1) | instskip(SKIP_1) | instid1(VALU_DEP_2)
	v_pk_fma_f32 v[76:77], v[72:73], v[68:69], v[74:75] op_sel_hi:[1,0,1]
	v_pk_fma_f32 v[68:69], v[72:73], v[68:69], v[74:75] neg_lo:[0,0,1] neg_hi:[0,0,1]
	v_mov_b32_e32 v69, v77
	s_delay_alu instid0(VALU_DEP_1) | instskip(SKIP_1) | instid1(VALU_DEP_1)
	v_pk_add_f32 v[68:69], v[68:69], 0 op_sel_hi:[1,0]
	s_wait_loadcnt 0x0
	v_pk_add_f32 v[68:69], v[70:71], v[68:69] neg_lo:[0,1] neg_hi:[0,1]
	scratch_store_b64 off, v[68:69], off offset:248
	s_wait_xcnt 0x0
	v_cmpx_lt_u32_e32 30, v0
	s_cbranch_execz .LBB32_151
; %bb.150:
	scratch_load_b64 v[68:69], off, off offset:240
	v_mov_b64_e32 v[70:71], 0
	scratch_store_b64 off, v[70:71], off offset:240
	s_wait_loadcnt 0x0
	ds_store_b64 v1, v[68:69]
.LBB32_151:
	s_wait_xcnt 0x0
	s_or_b32 exec_lo, exec_lo, s0
	s_wait_storecnt_dscnt 0x0
	s_barrier_signal -1
	s_barrier_wait -1
	s_clause 0x1
	scratch_load_b128 v[68:71], off, off offset:248
	scratch_load_b64 v[76:77], off, off offset:240
	ds_load_2addr_b64 v[72:75], v3 offset0:65 offset1:66
	s_mov_b32 s0, exec_lo
	s_wait_dscnt 0x0
	v_dual_mov_b32 v78, v75 :: v_dual_mov_b32 v79, v74
	s_wait_loadcnt 0x1
	v_pk_mul_f32 v[80:81], v[72:73], v[68:69] op_sel:[1,1] op_sel_hi:[0,1]
	s_delay_alu instid0(VALU_DEP_1) | instskip(SKIP_2) | instid1(VALU_DEP_3)
	v_pk_fma_f32 v[84:85], v[72:73], v[68:69], v[80:81] op_sel_hi:[1,0,1]
	v_mov_b32_e32 v82, v71
	v_pk_fma_f32 v[68:69], v[72:73], v[68:69], v[80:81] neg_lo:[0,0,1] neg_hi:[0,0,1]
	v_mov_b32_e32 v69, v85
	s_delay_alu instid0(VALU_DEP_3) | instskip(NEXT) | instid1(VALU_DEP_2)
	v_pk_mul_f32 v[78:79], v[78:79], v[82:83] op_sel_hi:[1,0]
	v_pk_add_f32 v[68:69], v[68:69], 0 op_sel_hi:[1,0]
	s_delay_alu instid0(VALU_DEP_2) | instskip(SKIP_1) | instid1(VALU_DEP_2)
	v_pk_fma_f32 v[72:73], v[74:75], v[70:71], v[78:79] op_sel_hi:[1,0,1]
	v_pk_fma_f32 v[70:71], v[74:75], v[70:71], v[78:79] neg_lo:[0,0,1] neg_hi:[0,0,1]
	v_mov_b32_e32 v71, v73
	s_delay_alu instid0(VALU_DEP_1) | instskip(SKIP_1) | instid1(VALU_DEP_1)
	v_pk_add_f32 v[68:69], v[68:69], v[70:71]
	s_wait_loadcnt 0x0
	v_pk_add_f32 v[68:69], v[76:77], v[68:69] neg_lo:[0,1] neg_hi:[0,1]
	scratch_store_b64 off, v[68:69], off offset:240
	s_wait_xcnt 0x0
	v_cmpx_lt_u32_e32 29, v0
	s_cbranch_execz .LBB32_153
; %bb.152:
	scratch_load_b64 v[68:69], off, off offset:232
	v_mov_b64_e32 v[70:71], 0
	scratch_store_b64 off, v[70:71], off offset:232
	s_wait_loadcnt 0x0
	ds_store_b64 v1, v[68:69]
.LBB32_153:
	s_wait_xcnt 0x0
	s_or_b32 exec_lo, exec_lo, s0
	s_wait_storecnt_dscnt 0x0
	s_barrier_signal -1
	s_barrier_wait -1
	s_clause 0x2
	scratch_load_b128 v[68:71], off, off offset:240
	scratch_load_b64 v[76:77], off, off offset:256
	scratch_load_b64 v[78:79], off, off offset:232
	v_mov_b32_e32 v3, 0
	ds_load_b128 v[72:75], v3 offset:512
	ds_load_b64 v[80:81], v3 offset:528
	s_mov_b32 s0, exec_lo
	s_wait_dscnt 0x1
	v_dual_mov_b32 v82, v75 :: v_dual_mov_b32 v83, v74
	s_wait_loadcnt 0x2
	v_mov_b32_e32 v86, v71
	v_pk_mul_f32 v[84:85], v[72:73], v[68:69] op_sel:[1,1] op_sel_hi:[0,1]
	s_delay_alu instid0(VALU_DEP_2) | instskip(NEXT) | instid1(VALU_DEP_2)
	v_pk_mul_f32 v[82:83], v[82:83], v[86:87] op_sel_hi:[1,0]
	v_pk_fma_f32 v[88:89], v[72:73], v[68:69], v[84:85] op_sel_hi:[1,0,1]
	v_pk_fma_f32 v[68:69], v[72:73], v[68:69], v[84:85] neg_lo:[0,0,1] neg_hi:[0,0,1]
	s_wait_loadcnt_dscnt 0x100
	v_pk_mul_f32 v[84:85], v[80:81], v[76:77] op_sel:[1,1] op_sel_hi:[0,1]
	v_pk_fma_f32 v[72:73], v[74:75], v[70:71], v[82:83] op_sel_hi:[1,0,1]
	v_mov_b32_e32 v69, v89
	v_pk_fma_f32 v[70:71], v[74:75], v[70:71], v[82:83] neg_lo:[0,0,1] neg_hi:[0,0,1]
	s_delay_alu instid0(VALU_DEP_4) | instskip(NEXT) | instid1(VALU_DEP_4)
	v_pk_fma_f32 v[74:75], v[80:81], v[76:77], v[84:85] neg_lo:[0,0,1] neg_hi:[0,0,1]
	v_mov_b32_e32 v71, v73
	s_delay_alu instid0(VALU_DEP_4) | instskip(SKIP_1) | instid1(VALU_DEP_2)
	v_pk_add_f32 v[68:69], v[68:69], 0 op_sel_hi:[1,0]
	v_pk_fma_f32 v[72:73], v[80:81], v[76:77], v[84:85] op_sel_hi:[1,0,1]
	v_pk_add_f32 v[68:69], v[68:69], v[70:71]
	s_delay_alu instid0(VALU_DEP_2) | instskip(NEXT) | instid1(VALU_DEP_1)
	v_mov_b32_e32 v75, v73
	v_pk_add_f32 v[68:69], v[68:69], v[74:75]
	s_wait_loadcnt 0x0
	s_delay_alu instid0(VALU_DEP_1)
	v_pk_add_f32 v[68:69], v[78:79], v[68:69] neg_lo:[0,1] neg_hi:[0,1]
	scratch_store_b64 off, v[68:69], off offset:232
	s_wait_xcnt 0x0
	v_cmpx_lt_u32_e32 28, v0
	s_cbranch_execz .LBB32_155
; %bb.154:
	scratch_load_b64 v[68:69], off, off offset:224
	v_mov_b64_e32 v[70:71], 0
	scratch_store_b64 off, v[70:71], off offset:224
	s_wait_loadcnt 0x0
	ds_store_b64 v1, v[68:69]
.LBB32_155:
	s_wait_xcnt 0x0
	s_or_b32 exec_lo, exec_lo, s0
	s_wait_storecnt_dscnt 0x0
	s_barrier_signal -1
	s_barrier_wait -1
	s_clause 0x2
	scratch_load_b128 v[68:71], off, off offset:232
	scratch_load_b128 v[72:75], off, off offset:248
	scratch_load_b64 v[84:85], off, off offset:224
	ds_load_2addr_b64 v[76:79], v3 offset0:63 offset1:64
	ds_load_2addr_b64 v[80:83], v3 offset0:65 offset1:66
	s_mov_b32 s0, exec_lo
	s_wait_dscnt 0x1
	v_dual_mov_b32 v86, v79 :: v_dual_mov_b32 v87, v78
	s_wait_loadcnt_dscnt 0x200
	v_dual_mov_b32 v92, v83 :: v_dual_mov_b32 v90, v71
	v_pk_mul_f32 v[88:89], v[76:77], v[68:69] op_sel:[1,1] op_sel_hi:[0,1]
	s_delay_alu instid0(VALU_DEP_2) | instskip(NEXT) | instid1(VALU_DEP_2)
	v_pk_mul_f32 v[86:87], v[86:87], v[90:91] op_sel_hi:[1,0]
	v_pk_fma_f32 v[94:95], v[76:77], v[68:69], v[88:89] op_sel_hi:[1,0,1]
	v_pk_fma_f32 v[68:69], v[76:77], v[68:69], v[88:89] neg_lo:[0,0,1] neg_hi:[0,0,1]
	v_mov_b32_e32 v93, v82
	s_wait_loadcnt 0x1
	v_pk_mul_f32 v[90:91], v[80:81], v[72:73] op_sel:[1,1] op_sel_hi:[0,1]
	v_pk_fma_f32 v[76:77], v[78:79], v[70:71], v[86:87] op_sel_hi:[1,0,1]
	v_dual_mov_b32 v69, v95 :: v_dual_mov_b32 v76, v75
	v_pk_fma_f32 v[70:71], v[78:79], v[70:71], v[86:87] neg_lo:[0,0,1] neg_hi:[0,0,1]
	s_delay_alu instid0(VALU_DEP_4) | instskip(NEXT) | instid1(VALU_DEP_4)
	v_pk_fma_f32 v[88:89], v[80:81], v[72:73], v[90:91] op_sel_hi:[1,0,1]
	v_mov_b32_e32 v71, v77
	s_delay_alu instid0(VALU_DEP_4) | instskip(SKIP_2) | instid1(VALU_DEP_3)
	v_pk_add_f32 v[68:69], v[68:69], 0 op_sel_hi:[1,0]
	v_pk_mul_f32 v[76:77], v[92:93], v[76:77] op_sel_hi:[1,0]
	v_pk_fma_f32 v[72:73], v[80:81], v[72:73], v[90:91] neg_lo:[0,0,1] neg_hi:[0,0,1]
	v_pk_add_f32 v[68:69], v[68:69], v[70:71]
	s_delay_alu instid0(VALU_DEP_3) | instskip(SKIP_2) | instid1(VALU_DEP_3)
	v_pk_fma_f32 v[70:71], v[82:83], v[74:75], v[76:77] op_sel_hi:[1,0,1]
	v_mov_b32_e32 v73, v89
	v_pk_fma_f32 v[74:75], v[82:83], v[74:75], v[76:77] neg_lo:[0,0,1] neg_hi:[0,0,1]
	v_mov_b32_e32 v75, v71
	s_delay_alu instid0(VALU_DEP_3) | instskip(NEXT) | instid1(VALU_DEP_1)
	v_pk_add_f32 v[68:69], v[68:69], v[72:73]
	v_pk_add_f32 v[68:69], v[68:69], v[74:75]
	s_wait_loadcnt 0x0
	s_delay_alu instid0(VALU_DEP_1)
	v_pk_add_f32 v[68:69], v[84:85], v[68:69] neg_lo:[0,1] neg_hi:[0,1]
	scratch_store_b64 off, v[68:69], off offset:224
	s_wait_xcnt 0x0
	v_cmpx_lt_u32_e32 27, v0
	s_cbranch_execz .LBB32_157
; %bb.156:
	scratch_load_b64 v[68:69], off, off offset:216
	v_mov_b64_e32 v[70:71], 0
	scratch_store_b64 off, v[70:71], off offset:216
	s_wait_loadcnt 0x0
	ds_store_b64 v1, v[68:69]
.LBB32_157:
	s_wait_xcnt 0x0
	s_or_b32 exec_lo, exec_lo, s0
	s_wait_storecnt_dscnt 0x0
	s_barrier_signal -1
	s_barrier_wait -1
	s_clause 0x3
	scratch_load_b128 v[68:71], off, off offset:224
	scratch_load_b128 v[72:75], off, off offset:240
	scratch_load_b64 v[84:85], off, off offset:256
	scratch_load_b64 v[86:87], off, off offset:216
	v_mov_b32_e32 v3, 0
	ds_load_b128 v[76:79], v3 offset:496
	ds_load_b128 v[80:83], v3 offset:512
	s_mov_b32 s0, exec_lo
	s_wait_dscnt 0x1
	v_dual_mov_b32 v88, v79 :: v_dual_mov_b32 v89, v78
	ds_load_b64 v[94:95], v3 offset:528
	s_wait_dscnt 0x1
	v_dual_mov_b32 v96, v83 :: v_dual_mov_b32 v97, v82
	s_wait_loadcnt 0x3
	v_pk_mul_f32 v[90:91], v[76:77], v[68:69] op_sel:[1,1] op_sel_hi:[0,1]
	v_mov_b32_e32 v92, v71
	s_delay_alu instid0(VALU_DEP_2) | instskip(NEXT) | instid1(VALU_DEP_2)
	v_pk_fma_f32 v[98:99], v[76:77], v[68:69], v[90:91] op_sel_hi:[1,0,1]
	v_pk_mul_f32 v[88:89], v[88:89], v[92:93] op_sel_hi:[1,0]
	v_pk_fma_f32 v[68:69], v[76:77], v[68:69], v[90:91] neg_lo:[0,0,1] neg_hi:[0,0,1]
	s_wait_loadcnt 0x2
	v_pk_mul_f32 v[92:93], v[80:81], v[72:73] op_sel:[1,1] op_sel_hi:[0,1]
	v_dual_mov_b32 v98, v75 :: v_dual_mov_b32 v69, v99
	v_pk_fma_f32 v[76:77], v[78:79], v[70:71], v[88:89] op_sel_hi:[1,0,1]
	v_pk_fma_f32 v[70:71], v[78:79], v[70:71], v[88:89] neg_lo:[0,0,1] neg_hi:[0,0,1]
	s_delay_alu instid0(VALU_DEP_4) | instskip(NEXT) | instid1(VALU_DEP_4)
	v_pk_fma_f32 v[90:91], v[80:81], v[72:73], v[92:93] op_sel_hi:[1,0,1]
	v_pk_mul_f32 v[96:97], v[96:97], v[98:99] op_sel_hi:[1,0]
	v_pk_add_f32 v[68:69], v[68:69], 0 op_sel_hi:[1,0]
	v_mov_b32_e32 v71, v77
	v_pk_fma_f32 v[72:73], v[80:81], v[72:73], v[92:93] neg_lo:[0,0,1] neg_hi:[0,0,1]
	v_mov_b32_e32 v73, v91
	v_pk_fma_f32 v[76:77], v[82:83], v[74:75], v[96:97] op_sel_hi:[1,0,1]
	v_pk_fma_f32 v[74:75], v[82:83], v[74:75], v[96:97] neg_lo:[0,0,1] neg_hi:[0,0,1]
	v_pk_add_f32 v[68:69], v[68:69], v[70:71]
	s_wait_loadcnt_dscnt 0x100
	v_pk_mul_f32 v[70:71], v[94:95], v[84:85] op_sel:[1,1] op_sel_hi:[0,1]
	s_delay_alu instid0(VALU_DEP_2) | instskip(NEXT) | instid1(VALU_DEP_2)
	v_pk_add_f32 v[68:69], v[68:69], v[72:73]
	v_pk_fma_f32 v[72:73], v[94:95], v[84:85], v[70:71] op_sel_hi:[1,0,1]
	v_mov_b32_e32 v75, v77
	v_pk_fma_f32 v[70:71], v[94:95], v[84:85], v[70:71] neg_lo:[0,0,1] neg_hi:[0,0,1]
	s_delay_alu instid0(VALU_DEP_3) | instskip(NEXT) | instid1(VALU_DEP_3)
	v_mov_b32_e32 v71, v73
	v_pk_add_f32 v[68:69], v[68:69], v[74:75]
	s_delay_alu instid0(VALU_DEP_1) | instskip(SKIP_1) | instid1(VALU_DEP_1)
	v_pk_add_f32 v[68:69], v[68:69], v[70:71]
	s_wait_loadcnt 0x0
	v_pk_add_f32 v[68:69], v[86:87], v[68:69] neg_lo:[0,1] neg_hi:[0,1]
	scratch_store_b64 off, v[68:69], off offset:216
	s_wait_xcnt 0x0
	v_cmpx_lt_u32_e32 26, v0
	s_cbranch_execz .LBB32_159
; %bb.158:
	scratch_load_b64 v[68:69], off, off offset:208
	v_mov_b64_e32 v[70:71], 0
	scratch_store_b64 off, v[70:71], off offset:208
	s_wait_loadcnt 0x0
	ds_store_b64 v1, v[68:69]
.LBB32_159:
	s_wait_xcnt 0x0
	s_or_b32 exec_lo, exec_lo, s0
	s_wait_storecnt_dscnt 0x0
	s_barrier_signal -1
	s_barrier_wait -1
	s_clause 0x3
	scratch_load_b128 v[68:71], off, off offset:216
	scratch_load_b128 v[72:75], off, off offset:232
	;; [unrolled: 1-line block ×3, first 2 shown]
	scratch_load_b64 v[92:93], off, off offset:208
	ds_load_2addr_b64 v[80:83], v3 offset0:61 offset1:62
	ds_load_2addr_b64 v[84:87], v3 offset0:63 offset1:64
	;; [unrolled: 1-line block ×3, first 2 shown]
	s_mov_b32 s0, exec_lo
	s_wait_dscnt 0x2
	v_dual_mov_b32 v94, v83 :: v_dual_mov_b32 v95, v82
	s_wait_dscnt 0x1
	v_dual_mov_b32 v96, v87 :: v_dual_mov_b32 v97, v86
	;; [unrolled: 2-line block ×3, first 2 shown]
	s_wait_loadcnt 0x3
	v_pk_mul_f32 v[98:99], v[80:81], v[68:69] op_sel:[1,1] op_sel_hi:[0,1]
	v_mov_b32_e32 v100, v71
	s_delay_alu instid0(VALU_DEP_2) | instskip(NEXT) | instid1(VALU_DEP_2)
	v_pk_fma_f32 v[104:105], v[80:81], v[68:69], v[98:99] op_sel_hi:[1,0,1]
	v_pk_mul_f32 v[94:95], v[94:95], v[100:101] op_sel_hi:[1,0]
	v_pk_fma_f32 v[68:69], v[80:81], v[68:69], v[98:99] neg_lo:[0,0,1] neg_hi:[0,0,1]
	s_wait_loadcnt 0x2
	v_pk_mul_f32 v[100:101], v[84:85], v[72:73] op_sel:[1,1] op_sel_hi:[0,1]
	v_mov_b32_e32 v104, v75
	v_pk_fma_f32 v[80:81], v[82:83], v[70:71], v[94:95] op_sel_hi:[1,0,1]
	v_mov_b32_e32 v69, v105
	v_pk_fma_f32 v[70:71], v[82:83], v[70:71], v[94:95] neg_lo:[0,0,1] neg_hi:[0,0,1]
	v_pk_fma_f32 v[98:99], v[84:85], v[72:73], v[100:101] op_sel_hi:[1,0,1]
	v_pk_mul_f32 v[96:97], v[96:97], v[104:105] op_sel_hi:[1,0]
	v_mov_b32_e32 v71, v81
	v_pk_add_f32 v[68:69], v[68:69], 0 op_sel_hi:[1,0]
	v_pk_fma_f32 v[72:73], v[84:85], v[72:73], v[100:101] neg_lo:[0,0,1] neg_hi:[0,0,1]
	s_wait_loadcnt 0x1
	v_pk_mul_f32 v[80:81], v[88:89], v[76:77] op_sel:[1,1] op_sel_hi:[0,1]
	v_mov_b32_e32 v73, v99
	v_pk_fma_f32 v[82:83], v[86:87], v[74:75], v[96:97] op_sel_hi:[1,0,1]
	v_pk_add_f32 v[68:69], v[68:69], v[70:71]
	v_mov_b32_e32 v70, v79
	v_pk_fma_f32 v[74:75], v[86:87], v[74:75], v[96:97] neg_lo:[0,0,1] neg_hi:[0,0,1]
	v_pk_fma_f32 v[84:85], v[88:89], v[76:77], v[80:81] op_sel_hi:[1,0,1]
	v_mov_b32_e32 v75, v83
	v_pk_add_f32 v[68:69], v[68:69], v[72:73]
	v_pk_mul_f32 v[70:71], v[102:103], v[70:71] op_sel_hi:[1,0]
	v_pk_fma_f32 v[72:73], v[88:89], v[76:77], v[80:81] neg_lo:[0,0,1] neg_hi:[0,0,1]
	v_mov_b32_e32 v73, v85
	s_delay_alu instid0(VALU_DEP_4) | instskip(NEXT) | instid1(VALU_DEP_4)
	v_pk_add_f32 v[68:69], v[68:69], v[74:75]
	v_pk_fma_f32 v[74:75], v[90:91], v[78:79], v[70:71] op_sel_hi:[1,0,1]
	v_pk_fma_f32 v[70:71], v[90:91], v[78:79], v[70:71] neg_lo:[0,0,1] neg_hi:[0,0,1]
	s_delay_alu instid0(VALU_DEP_3) | instskip(NEXT) | instid1(VALU_DEP_3)
	v_pk_add_f32 v[68:69], v[68:69], v[72:73]
	v_mov_b32_e32 v71, v75
	s_delay_alu instid0(VALU_DEP_1) | instskip(SKIP_1) | instid1(VALU_DEP_1)
	v_pk_add_f32 v[68:69], v[68:69], v[70:71]
	s_wait_loadcnt 0x0
	v_pk_add_f32 v[68:69], v[92:93], v[68:69] neg_lo:[0,1] neg_hi:[0,1]
	scratch_store_b64 off, v[68:69], off offset:208
	s_wait_xcnt 0x0
	v_cmpx_lt_u32_e32 25, v0
	s_cbranch_execz .LBB32_161
; %bb.160:
	scratch_load_b64 v[68:69], off, off offset:200
	v_mov_b64_e32 v[70:71], 0
	scratch_store_b64 off, v[70:71], off offset:200
	s_wait_loadcnt 0x0
	ds_store_b64 v1, v[68:69]
.LBB32_161:
	s_wait_xcnt 0x0
	s_or_b32 exec_lo, exec_lo, s0
	s_wait_storecnt_dscnt 0x0
	s_barrier_signal -1
	s_barrier_wait -1
	s_clause 0x4
	scratch_load_b128 v[68:71], off, off offset:208
	scratch_load_b128 v[72:75], off, off offset:224
	scratch_load_b128 v[76:79], off, off offset:240
	scratch_load_b64 v[92:93], off, off offset:256
	scratch_load_b64 v[94:95], off, off offset:200
	v_mov_b32_e32 v3, 0
	ds_load_b128 v[80:83], v3 offset:480
	ds_load_b128 v[84:87], v3 offset:496
	;; [unrolled: 1-line block ×3, first 2 shown]
	ds_load_b64 v[96:97], v3 offset:528
	s_mov_b32 s0, exec_lo
	s_wait_dscnt 0x3
	v_dual_mov_b32 v98, v83 :: v_dual_mov_b32 v99, v82
	s_wait_dscnt 0x2
	v_dual_mov_b32 v100, v87 :: v_dual_mov_b32 v101, v86
	;; [unrolled: 2-line block ×3, first 2 shown]
	s_wait_loadcnt 0x4
	v_pk_mul_f32 v[102:103], v[80:81], v[68:69] op_sel:[1,1] op_sel_hi:[0,1]
	v_mov_b32_e32 v104, v71
	s_wait_loadcnt 0x3
	v_pk_mul_f32 v[108:109], v[84:85], v[72:73] op_sel:[1,1] op_sel_hi:[0,1]
	s_wait_loadcnt 0x2
	v_pk_mul_f32 v[112:113], v[88:89], v[76:77] op_sel:[1,1] op_sel_hi:[0,1]
	v_pk_fma_f32 v[110:111], v[80:81], v[68:69], v[102:103] op_sel_hi:[1,0,1]
	v_pk_mul_f32 v[98:99], v[98:99], v[104:105] op_sel_hi:[1,0]
	v_pk_fma_f32 v[68:69], v[80:81], v[68:69], v[102:103] neg_lo:[0,0,1] neg_hi:[0,0,1]
	v_mov_b32_e32 v104, v75
	v_pk_fma_f32 v[102:103], v[84:85], v[72:73], v[108:109] op_sel_hi:[1,0,1]
	v_mov_b32_e32 v69, v111
	v_pk_fma_f32 v[80:81], v[82:83], v[70:71], v[98:99] op_sel_hi:[1,0,1]
	v_pk_fma_f32 v[70:71], v[82:83], v[70:71], v[98:99] neg_lo:[0,0,1] neg_hi:[0,0,1]
	v_pk_mul_f32 v[100:101], v[100:101], v[104:105] op_sel_hi:[1,0]
	v_pk_fma_f32 v[72:73], v[84:85], v[72:73], v[108:109] neg_lo:[0,0,1] neg_hi:[0,0,1]
	v_pk_add_f32 v[68:69], v[68:69], 0 op_sel_hi:[1,0]
	v_dual_mov_b32 v71, v81 :: v_dual_mov_b32 v80, v79
	s_delay_alu instid0(VALU_DEP_4) | instskip(SKIP_2) | instid1(VALU_DEP_4)
	v_pk_fma_f32 v[82:83], v[86:87], v[74:75], v[100:101] op_sel_hi:[1,0,1]
	v_mov_b32_e32 v73, v103
	v_pk_fma_f32 v[74:75], v[86:87], v[74:75], v[100:101] neg_lo:[0,0,1] neg_hi:[0,0,1]
	v_pk_add_f32 v[68:69], v[68:69], v[70:71]
	v_pk_fma_f32 v[70:71], v[88:89], v[76:77], v[112:113] op_sel_hi:[1,0,1]
	v_pk_mul_f32 v[80:81], v[106:107], v[80:81] op_sel_hi:[1,0]
	v_mov_b32_e32 v75, v83
	s_delay_alu instid0(VALU_DEP_4)
	v_pk_add_f32 v[68:69], v[68:69], v[72:73]
	v_pk_fma_f32 v[72:73], v[88:89], v[76:77], v[112:113] neg_lo:[0,0,1] neg_hi:[0,0,1]
	v_mov_b32_e32 v73, v71
	v_pk_fma_f32 v[70:71], v[90:91], v[78:79], v[80:81] op_sel_hi:[1,0,1]
	v_pk_fma_f32 v[76:77], v[90:91], v[78:79], v[80:81] neg_lo:[0,0,1] neg_hi:[0,0,1]
	v_pk_add_f32 v[68:69], v[68:69], v[74:75]
	s_wait_loadcnt_dscnt 0x100
	v_pk_mul_f32 v[74:75], v[96:97], v[92:93] op_sel:[1,1] op_sel_hi:[0,1]
	v_mov_b32_e32 v77, v71
	s_delay_alu instid0(VALU_DEP_3) | instskip(NEXT) | instid1(VALU_DEP_3)
	v_pk_add_f32 v[68:69], v[68:69], v[72:73]
	v_pk_fma_f32 v[70:71], v[96:97], v[92:93], v[74:75] op_sel_hi:[1,0,1]
	v_pk_fma_f32 v[72:73], v[96:97], v[92:93], v[74:75] neg_lo:[0,0,1] neg_hi:[0,0,1]
	s_delay_alu instid0(VALU_DEP_3) | instskip(NEXT) | instid1(VALU_DEP_3)
	v_pk_add_f32 v[68:69], v[68:69], v[76:77]
	v_mov_b32_e32 v73, v71
	s_delay_alu instid0(VALU_DEP_1) | instskip(SKIP_1) | instid1(VALU_DEP_1)
	v_pk_add_f32 v[68:69], v[68:69], v[72:73]
	s_wait_loadcnt 0x0
	v_pk_add_f32 v[68:69], v[94:95], v[68:69] neg_lo:[0,1] neg_hi:[0,1]
	scratch_store_b64 off, v[68:69], off offset:200
	s_wait_xcnt 0x0
	v_cmpx_lt_u32_e32 24, v0
	s_cbranch_execz .LBB32_163
; %bb.162:
	scratch_load_b64 v[68:69], off, off offset:192
	v_mov_b64_e32 v[70:71], 0
	scratch_store_b64 off, v[70:71], off offset:192
	s_wait_loadcnt 0x0
	ds_store_b64 v1, v[68:69]
.LBB32_163:
	s_wait_xcnt 0x0
	s_or_b32 exec_lo, exec_lo, s0
	s_wait_storecnt_dscnt 0x0
	s_barrier_signal -1
	s_barrier_wait -1
	s_clause 0x4
	scratch_load_b128 v[68:71], off, off offset:200
	scratch_load_b128 v[72:75], off, off offset:216
	;; [unrolled: 1-line block ×4, first 2 shown]
	scratch_load_b64 v[100:101], off, off offset:192
	ds_load_2addr_b64 v[84:87], v3 offset0:59 offset1:60
	ds_load_2addr_b64 v[88:91], v3 offset0:61 offset1:62
	;; [unrolled: 1-line block ×4, first 2 shown]
	s_mov_b32 s0, exec_lo
	s_wait_dscnt 0x3
	v_dual_mov_b32 v102, v87 :: v_dual_mov_b32 v103, v86
	s_wait_dscnt 0x2
	v_dual_mov_b32 v104, v91 :: v_dual_mov_b32 v105, v90
	;; [unrolled: 2-line block ×3, first 2 shown]
	v_dual_mov_b32 v107, v94 :: v_dual_mov_b32 v112, v99
	s_wait_loadcnt 0x4
	v_mov_b32_e32 v110, v71
	v_pk_mul_f32 v[108:109], v[84:85], v[68:69] op_sel:[1,1] op_sel_hi:[0,1]
	s_wait_loadcnt 0x3
	v_pk_mul_f32 v[114:115], v[88:89], v[72:73] op_sel:[1,1] op_sel_hi:[0,1]
	s_wait_loadcnt 0x2
	v_pk_mul_f32 v[118:119], v[92:93], v[76:77] op_sel:[1,1] op_sel_hi:[0,1]
	v_pk_mul_f32 v[102:103], v[102:103], v[110:111] op_sel_hi:[1,0]
	v_pk_fma_f32 v[116:117], v[84:85], v[68:69], v[108:109] op_sel_hi:[1,0,1]
	v_pk_fma_f32 v[68:69], v[84:85], v[68:69], v[108:109] neg_lo:[0,0,1] neg_hi:[0,0,1]
	v_mov_b32_e32 v110, v75
	v_pk_fma_f32 v[108:109], v[88:89], v[72:73], v[114:115] op_sel_hi:[1,0,1]
	v_pk_fma_f32 v[84:85], v[86:87], v[70:71], v[102:103] op_sel_hi:[1,0,1]
	v_mov_b32_e32 v69, v117
	v_pk_fma_f32 v[70:71], v[86:87], v[70:71], v[102:103] neg_lo:[0,0,1] neg_hi:[0,0,1]
	v_pk_mul_f32 v[104:105], v[104:105], v[110:111] op_sel_hi:[1,0]
	s_delay_alu instid0(VALU_DEP_4) | instskip(NEXT) | instid1(VALU_DEP_4)
	v_dual_mov_b32 v84, v79 :: v_dual_mov_b32 v71, v85
	v_pk_add_f32 v[68:69], v[68:69], 0 op_sel_hi:[1,0]
	v_pk_fma_f32 v[72:73], v[88:89], v[72:73], v[114:115] neg_lo:[0,0,1] neg_hi:[0,0,1]
	v_mov_b32_e32 v73, v109
	v_pk_fma_f32 v[86:87], v[90:91], v[74:75], v[104:105] op_sel_hi:[1,0,1]
	v_pk_mul_f32 v[84:85], v[106:107], v[84:85] op_sel_hi:[1,0]
	v_pk_add_f32 v[68:69], v[68:69], v[70:71]
	v_pk_fma_f32 v[70:71], v[92:93], v[76:77], v[118:119] op_sel_hi:[1,0,1]
	v_pk_fma_f32 v[74:75], v[90:91], v[74:75], v[104:105] neg_lo:[0,0,1] neg_hi:[0,0,1]
	v_mov_b32_e32 v75, v87
	v_pk_fma_f32 v[76:77], v[92:93], v[76:77], v[118:119] neg_lo:[0,0,1] neg_hi:[0,0,1]
	v_pk_add_f32 v[68:69], v[68:69], v[72:73]
	v_mov_b32_e32 v77, v71
	v_pk_fma_f32 v[70:71], v[94:95], v[78:79], v[84:85] op_sel_hi:[1,0,1]
	s_wait_loadcnt 0x1
	v_pk_mul_f32 v[72:73], v[96:97], v[80:81] op_sel:[1,1] op_sel_hi:[0,1]
	v_mov_b32_e32 v70, v83
	v_pk_add_f32 v[68:69], v[68:69], v[74:75]
	v_pk_fma_f32 v[78:79], v[94:95], v[78:79], v[84:85] neg_lo:[0,0,1] neg_hi:[0,0,1]
	v_mov_b32_e32 v79, v71
	v_pk_fma_f32 v[74:75], v[96:97], v[80:81], v[72:73] op_sel_hi:[1,0,1]
	v_pk_mul_f32 v[70:71], v[112:113], v[70:71] op_sel_hi:[1,0]
	v_pk_add_f32 v[68:69], v[68:69], v[76:77]
	v_pk_fma_f32 v[72:73], v[96:97], v[80:81], v[72:73] neg_lo:[0,0,1] neg_hi:[0,0,1]
	s_delay_alu instid0(VALU_DEP_4) | instskip(NEXT) | instid1(VALU_DEP_4)
	v_mov_b32_e32 v73, v75
	v_pk_fma_f32 v[74:75], v[98:99], v[82:83], v[70:71] op_sel_hi:[1,0,1]
	s_delay_alu instid0(VALU_DEP_4) | instskip(SKIP_1) | instid1(VALU_DEP_3)
	v_pk_add_f32 v[68:69], v[68:69], v[78:79]
	v_pk_fma_f32 v[70:71], v[98:99], v[82:83], v[70:71] neg_lo:[0,0,1] neg_hi:[0,0,1]
	v_mov_b32_e32 v71, v75
	s_delay_alu instid0(VALU_DEP_3) | instskip(NEXT) | instid1(VALU_DEP_1)
	v_pk_add_f32 v[68:69], v[68:69], v[72:73]
	v_pk_add_f32 v[68:69], v[68:69], v[70:71]
	s_wait_loadcnt 0x0
	s_delay_alu instid0(VALU_DEP_1)
	v_pk_add_f32 v[68:69], v[100:101], v[68:69] neg_lo:[0,1] neg_hi:[0,1]
	scratch_store_b64 off, v[68:69], off offset:192
	s_wait_xcnt 0x0
	v_cmpx_lt_u32_e32 23, v0
	s_cbranch_execz .LBB32_165
; %bb.164:
	scratch_load_b64 v[68:69], off, off offset:184
	v_mov_b64_e32 v[70:71], 0
	scratch_store_b64 off, v[70:71], off offset:184
	s_wait_loadcnt 0x0
	ds_store_b64 v1, v[68:69]
.LBB32_165:
	s_wait_xcnt 0x0
	s_or_b32 exec_lo, exec_lo, s0
	s_wait_storecnt_dscnt 0x0
	s_barrier_signal -1
	s_barrier_wait -1
	s_clause 0x5
	scratch_load_b128 v[68:71], off, off offset:192
	scratch_load_b128 v[72:75], off, off offset:208
	;; [unrolled: 1-line block ×4, first 2 shown]
	scratch_load_b64 v[100:101], off, off offset:256
	scratch_load_b64 v[102:103], off, off offset:184
	v_mov_b32_e32 v3, 0
	ds_load_b128 v[84:87], v3 offset:464
	ds_load_b128 v[88:91], v3 offset:480
	;; [unrolled: 1-line block ×4, first 2 shown]
	ds_load_b64 v[104:105], v3 offset:528
	s_mov_b32 s0, exec_lo
	s_wait_dscnt 0x4
	v_dual_mov_b32 v106, v87 :: v_dual_mov_b32 v107, v86
	s_wait_dscnt 0x1
	v_dual_mov_b32 v108, v91 :: v_dual_mov_b32 v113, v98
	v_dual_mov_b32 v109, v90 :: v_dual_mov_b32 v110, v95
	;; [unrolled: 1-line block ×3, first 2 shown]
	s_wait_loadcnt 0x5
	v_dual_mov_b32 v114, v71 :: v_dual_mul_f32 v115, v84, v69
	v_mul_f32_e32 v7, v85, v69
	s_wait_loadcnt 0x4
	v_pk_mul_f32 v[116:117], v[88:89], v[72:73] op_sel:[1,1] op_sel_hi:[0,1]
	v_mov_b32_e32 v118, v75
	s_wait_loadcnt 0x3
	v_pk_mul_f32 v[120:121], v[92:93], v[76:77] op_sel:[1,1] op_sel_hi:[0,1]
	v_pk_mul_f32 v[106:107], v[106:107], v[114:115] op_sel_hi:[1,0]
	v_fmac_f32_e32 v115, v85, v68
	v_dual_fma_f32 v114, v84, v68, -v7 :: v_dual_mov_b32 v68, v79
	v_pk_fma_f32 v[122:123], v[88:89], v[72:73], v[116:117] op_sel_hi:[1,0,1]
	s_delay_alu instid0(VALU_DEP_4)
	v_pk_fma_f32 v[84:85], v[86:87], v[70:71], v[106:107] op_sel_hi:[1,0,1]
	v_pk_fma_f32 v[70:71], v[86:87], v[70:71], v[106:107] neg_lo:[0,0,1] neg_hi:[0,0,1]
	v_pk_mul_f32 v[108:109], v[108:109], v[118:119] op_sel_hi:[1,0]
	v_pk_add_f32 v[114:115], v[114:115], 0 op_sel_hi:[1,0]
	v_pk_fma_f32 v[72:73], v[88:89], v[72:73], v[116:117] neg_lo:[0,0,1] neg_hi:[0,0,1]
	v_dual_mov_b32 v71, v85 :: v_dual_mov_b32 v73, v123
	s_delay_alu instid0(VALU_DEP_4) | instskip(SKIP_2) | instid1(VALU_DEP_4)
	v_pk_fma_f32 v[86:87], v[90:91], v[74:75], v[108:109] op_sel_hi:[1,0,1]
	v_pk_fma_f32 v[74:75], v[90:91], v[74:75], v[108:109] neg_lo:[0,0,1] neg_hi:[0,0,1]
	v_pk_fma_f32 v[88:89], v[92:93], v[76:77], v[120:121] op_sel_hi:[1,0,1]
	v_pk_add_f32 v[70:71], v[114:115], v[70:71]
	v_pk_mul_f32 v[68:69], v[110:111], v[68:69] op_sel_hi:[1,0]
	v_mov_b32_e32 v75, v87
	v_pk_fma_f32 v[76:77], v[92:93], v[76:77], v[120:121] neg_lo:[0,0,1] neg_hi:[0,0,1]
	s_wait_loadcnt 0x2
	v_pk_mul_f32 v[84:85], v[96:97], v[80:81] op_sel:[1,1] op_sel_hi:[0,1]
	v_pk_add_f32 v[70:71], v[70:71], v[72:73]
	v_mov_b32_e32 v72, v83
	v_pk_fma_f32 v[86:87], v[94:95], v[78:79], v[68:69] op_sel_hi:[1,0,1]
	v_mov_b32_e32 v77, v89
	v_pk_fma_f32 v[68:69], v[94:95], v[78:79], v[68:69] neg_lo:[0,0,1] neg_hi:[0,0,1]
	v_pk_add_f32 v[70:71], v[70:71], v[74:75]
	v_pk_fma_f32 v[74:75], v[96:97], v[80:81], v[84:85] op_sel_hi:[1,0,1]
	v_pk_mul_f32 v[72:73], v[112:113], v[72:73] op_sel_hi:[1,0]
	v_mov_b32_e32 v69, v87
	s_delay_alu instid0(VALU_DEP_4)
	v_pk_add_f32 v[70:71], v[70:71], v[76:77]
	v_pk_fma_f32 v[76:77], v[96:97], v[80:81], v[84:85] neg_lo:[0,0,1] neg_hi:[0,0,1]
	v_mov_b32_e32 v77, v75
	v_pk_fma_f32 v[74:75], v[98:99], v[82:83], v[72:73] op_sel_hi:[1,0,1]
	v_pk_fma_f32 v[72:73], v[98:99], v[82:83], v[72:73] neg_lo:[0,0,1] neg_hi:[0,0,1]
	v_pk_add_f32 v[68:69], v[70:71], v[68:69]
	s_wait_loadcnt_dscnt 0x100
	v_pk_mul_f32 v[70:71], v[104:105], v[100:101] op_sel:[1,1] op_sel_hi:[0,1]
	v_mov_b32_e32 v73, v75
	s_delay_alu instid0(VALU_DEP_3) | instskip(NEXT) | instid1(VALU_DEP_3)
	v_pk_add_f32 v[68:69], v[68:69], v[76:77]
	v_pk_fma_f32 v[74:75], v[104:105], v[100:101], v[70:71] op_sel_hi:[1,0,1]
	v_pk_fma_f32 v[70:71], v[104:105], v[100:101], v[70:71] neg_lo:[0,0,1] neg_hi:[0,0,1]
	s_delay_alu instid0(VALU_DEP_3) | instskip(NEXT) | instid1(VALU_DEP_3)
	v_pk_add_f32 v[68:69], v[68:69], v[72:73]
	v_mov_b32_e32 v71, v75
	s_delay_alu instid0(VALU_DEP_1) | instskip(SKIP_1) | instid1(VALU_DEP_1)
	v_pk_add_f32 v[68:69], v[68:69], v[70:71]
	s_wait_loadcnt 0x0
	v_pk_add_f32 v[68:69], v[102:103], v[68:69] neg_lo:[0,1] neg_hi:[0,1]
	scratch_store_b64 off, v[68:69], off offset:184
	s_wait_xcnt 0x0
	v_cmpx_lt_u32_e32 22, v0
	s_cbranch_execz .LBB32_167
; %bb.166:
	scratch_load_b64 v[68:69], off, off offset:176
	v_mov_b64_e32 v[70:71], 0
	scratch_store_b64 off, v[70:71], off offset:176
	s_wait_loadcnt 0x0
	ds_store_b64 v1, v[68:69]
.LBB32_167:
	s_wait_xcnt 0x0
	s_or_b32 exec_lo, exec_lo, s0
	s_wait_storecnt_dscnt 0x0
	s_barrier_signal -1
	s_barrier_wait -1
	s_clause 0x5
	scratch_load_b128 v[68:71], off, off offset:184
	scratch_load_b128 v[72:75], off, off offset:200
	;; [unrolled: 1-line block ×5, first 2 shown]
	scratch_load_b64 v[108:109], off, off offset:176
	ds_load_2addr_b64 v[88:91], v3 offset0:59 offset1:60
	ds_load_2addr_b64 v[92:95], v3 offset0:61 offset1:62
	;; [unrolled: 1-line block ×5, first 2 shown]
	s_mov_b32 s0, exec_lo
	s_wait_dscnt 0x4
	v_dual_mov_b32 v110, v91 :: v_dual_mov_b32 v111, v90
	s_wait_dscnt 0x3
	v_dual_mov_b32 v112, v95 :: v_dual_mov_b32 v113, v94
	;; [unrolled: 2-line block ×4, first 2 shown]
	s_wait_loadcnt_dscnt 0x500
	v_dual_mul_f32 v119, v104, v69 :: v_dual_mul_f32 v121, v106, v71
	v_dual_mul_f32 v3, v105, v69 :: v_dual_mul_f32 v7, v107, v71
	s_wait_loadcnt 0x4
	v_pk_mul_f32 v[122:123], v[88:89], v[72:73] op_sel:[1,1] op_sel_hi:[0,1]
	s_wait_loadcnt 0x3
	v_dual_mov_b32 v124, v75 :: v_dual_mov_b32 v128, v79
	v_dual_fmac_f32 v119, v105, v68 :: v_dual_fmac_f32 v121, v107, v70
	v_fma_f32 v118, v104, v68, -v3
	v_fma_f32 v120, v106, v70, -v7
	v_pk_fma_f32 v[68:69], v[88:89], v[72:73], v[122:123] op_sel_hi:[1,0,1]
	v_pk_mul_f32 v[70:71], v[110:111], v[124:125] op_sel_hi:[1,0]
	v_pk_fma_f32 v[72:73], v[88:89], v[72:73], v[122:123] neg_lo:[0,0,1] neg_hi:[0,0,1]
	v_pk_mul_f32 v[126:127], v[92:93], v[76:77] op_sel:[1,1] op_sel_hi:[0,1]
	v_pk_mul_f32 v[110:111], v[112:113], v[128:129] op_sel_hi:[1,0]
	v_mov_b32_e32 v73, v69
	v_pk_add_f32 v[104:105], v[118:119], 0 op_sel_hi:[1,0]
	v_pk_fma_f32 v[68:69], v[90:91], v[74:75], v[70:71] op_sel_hi:[1,0,1]
	v_pk_fma_f32 v[70:71], v[90:91], v[74:75], v[70:71] neg_lo:[0,0,1] neg_hi:[0,0,1]
	s_wait_loadcnt 0x2
	v_pk_mul_f32 v[106:107], v[96:97], v[80:81] op_sel:[1,1] op_sel_hi:[0,1]
	v_pk_fma_f32 v[74:75], v[92:93], v[76:77], v[126:127] neg_lo:[0,0,1] neg_hi:[0,0,1]
	v_mov_b32_e32 v71, v69
	v_pk_add_f32 v[88:89], v[104:105], v[120:121]
	v_pk_fma_f32 v[104:105], v[92:93], v[76:77], v[126:127] op_sel_hi:[1,0,1]
	v_pk_fma_f32 v[76:77], v[94:95], v[78:79], v[110:111] op_sel_hi:[1,0,1]
	v_pk_fma_f32 v[78:79], v[94:95], v[78:79], v[110:111] neg_lo:[0,0,1] neg_hi:[0,0,1]
	s_delay_alu instid0(VALU_DEP_4) | instskip(NEXT) | instid1(VALU_DEP_4)
	v_pk_add_f32 v[68:69], v[88:89], v[72:73]
	v_dual_mov_b32 v72, v83 :: v_dual_mov_b32 v75, v105
	s_delay_alu instid0(VALU_DEP_2) | instskip(SKIP_1) | instid1(VALU_DEP_3)
	v_pk_add_f32 v[68:69], v[68:69], v[70:71]
	v_pk_fma_f32 v[70:71], v[96:97], v[80:81], v[106:107] op_sel_hi:[1,0,1]
	v_pk_mul_f32 v[72:73], v[114:115], v[72:73] op_sel_hi:[1,0]
	v_mov_b32_e32 v79, v77
	v_pk_fma_f32 v[76:77], v[96:97], v[80:81], v[106:107] neg_lo:[0,0,1] neg_hi:[0,0,1]
	v_pk_add_f32 v[68:69], v[68:69], v[74:75]
	v_mov_b32_e32 v77, v71
	v_pk_fma_f32 v[70:71], v[98:99], v[82:83], v[72:73] op_sel_hi:[1,0,1]
	s_wait_loadcnt 0x1
	v_pk_mul_f32 v[74:75], v[100:101], v[84:85] op_sel:[1,1] op_sel_hi:[0,1]
	v_mov_b32_e32 v70, v87
	v_pk_add_f32 v[68:69], v[68:69], v[78:79]
	v_pk_fma_f32 v[72:73], v[98:99], v[82:83], v[72:73] neg_lo:[0,0,1] neg_hi:[0,0,1]
	v_mov_b32_e32 v73, v71
	v_pk_fma_f32 v[78:79], v[100:101], v[84:85], v[74:75] op_sel_hi:[1,0,1]
	v_pk_mul_f32 v[70:71], v[116:117], v[70:71] op_sel_hi:[1,0]
	v_pk_add_f32 v[68:69], v[68:69], v[76:77]
	v_pk_fma_f32 v[74:75], v[100:101], v[84:85], v[74:75] neg_lo:[0,0,1] neg_hi:[0,0,1]
	s_delay_alu instid0(VALU_DEP_2) | instskip(NEXT) | instid1(VALU_DEP_4)
	v_pk_add_f32 v[68:69], v[68:69], v[72:73]
	v_pk_fma_f32 v[72:73], v[102:103], v[86:87], v[70:71] op_sel_hi:[1,0,1]
	v_mov_b32_e32 v75, v79
	v_pk_fma_f32 v[70:71], v[102:103], v[86:87], v[70:71] neg_lo:[0,0,1] neg_hi:[0,0,1]
	s_delay_alu instid0(VALU_DEP_3) | instskip(NEXT) | instid1(VALU_DEP_3)
	v_mov_b32_e32 v71, v73
	v_pk_add_f32 v[68:69], v[68:69], v[74:75]
	s_delay_alu instid0(VALU_DEP_1) | instskip(SKIP_1) | instid1(VALU_DEP_1)
	v_pk_add_f32 v[68:69], v[68:69], v[70:71]
	s_wait_loadcnt 0x0
	v_pk_add_f32 v[68:69], v[108:109], v[68:69] neg_lo:[0,1] neg_hi:[0,1]
	scratch_store_b64 off, v[68:69], off offset:176
	s_wait_xcnt 0x0
	v_cmpx_lt_u32_e32 21, v0
	s_cbranch_execz .LBB32_169
; %bb.168:
	scratch_load_b64 v[68:69], off, off offset:168
	v_mov_b64_e32 v[70:71], 0
	scratch_store_b64 off, v[70:71], off offset:168
	s_wait_loadcnt 0x0
	ds_store_b64 v1, v[68:69]
.LBB32_169:
	s_wait_xcnt 0x0
	s_or_b32 exec_lo, exec_lo, s0
	s_wait_storecnt_dscnt 0x0
	s_barrier_signal -1
	s_barrier_wait -1
	s_clause 0x6
	scratch_load_b128 v[68:71], off, off offset:176
	scratch_load_b128 v[72:75], off, off offset:192
	;; [unrolled: 1-line block ×5, first 2 shown]
	scratch_load_b64 v[108:109], off, off offset:256
	scratch_load_b64 v[110:111], off, off offset:168
	v_mov_b32_e32 v3, 0
	ds_load_b128 v[88:91], v3 offset:464
	ds_load_b128 v[92:95], v3 offset:480
	;; [unrolled: 1-line block ×5, first 2 shown]
	ds_load_b64 v[112:113], v3 offset:528
	s_mov_b32 s0, exec_lo
	s_wait_dscnt 0x5
	v_dual_mov_b32 v114, v91 :: v_dual_mov_b32 v115, v90
	s_wait_dscnt 0x2
	v_dual_mov_b32 v116, v95 :: v_dual_mov_b32 v121, v102
	v_dual_mov_b32 v117, v94 :: v_dual_mov_b32 v118, v99
	;; [unrolled: 1-line block ×3, first 2 shown]
	s_wait_loadcnt_dscnt 0x601
	v_dual_mul_f32 v7, v104, v69 :: v_dual_mul_f32 v11, v105, v69
	v_dual_mul_f32 v13, v107, v71 :: v_dual_mul_f32 v123, v106, v71
	s_wait_loadcnt 0x5
	v_dual_mul_f32 v125, v88, v73 :: v_dual_mul_f32 v15, v89, v73
	s_wait_loadcnt 0x4
	v_dual_mov_b32 v124, v75 :: v_dual_mov_b32 v128, v79
	v_fmac_f32_e32 v7, v105, v68
	v_dual_fma_f32 v11, v104, v68, -v11 :: v_dual_fma_f32 v122, v106, v70, -v13
	v_fmac_f32_e32 v123, v107, v70
	s_delay_alu instid0(VALU_DEP_4) | instskip(NEXT) | instid1(VALU_DEP_4)
	v_pk_mul_f32 v[68:69], v[114:115], v[124:125] op_sel_hi:[1,0]
	v_add_f32_e32 v71, 0, v7
	s_wait_loadcnt 0x3
	v_dual_add_f32 v70, 0, v11 :: v_dual_mov_b32 v104, v83
	v_pk_mul_f32 v[126:127], v[92:93], v[76:77] op_sel:[1,1] op_sel_hi:[0,1]
	v_dual_fmac_f32 v125, v89, v72 :: v_dual_fma_f32 v124, v88, v72, -v15
	v_pk_fma_f32 v[72:73], v[90:91], v[74:75], v[68:69] op_sel_hi:[1,0,1]
	s_delay_alu instid0(VALU_DEP_4)
	v_pk_add_f32 v[70:71], v[70:71], v[122:123]
	v_pk_fma_f32 v[68:69], v[90:91], v[74:75], v[68:69] neg_lo:[0,0,1] neg_hi:[0,0,1]
	v_pk_fma_f32 v[88:89], v[92:93], v[76:77], v[126:127] op_sel_hi:[1,0,1]
	v_pk_mul_f32 v[106:107], v[116:117], v[128:129] op_sel_hi:[1,0]
	v_mov_b32_e32 v69, v73
	v_pk_add_f32 v[70:71], v[70:71], v[124:125]
	v_pk_fma_f32 v[74:75], v[92:93], v[76:77], v[126:127] neg_lo:[0,0,1] neg_hi:[0,0,1]
	v_pk_mul_f32 v[130:131], v[96:97], v[80:81] op_sel:[1,1] op_sel_hi:[0,1]
	v_mov_b32_e32 v75, v89
	v_pk_fma_f32 v[76:77], v[94:95], v[78:79], v[106:107] op_sel_hi:[1,0,1]
	v_pk_add_f32 v[68:69], v[70:71], v[68:69]
	v_pk_fma_f32 v[78:79], v[94:95], v[78:79], v[106:107] neg_lo:[0,0,1] neg_hi:[0,0,1]
	v_pk_fma_f32 v[70:71], v[96:97], v[80:81], v[130:131] op_sel_hi:[1,0,1]
	v_pk_mul_f32 v[88:89], v[118:119], v[104:105] op_sel_hi:[1,0]
	s_wait_loadcnt 0x2
	v_dual_mov_b32 v79, v77 :: v_dual_mov_b32 v70, v87
	v_pk_add_f32 v[68:69], v[68:69], v[74:75]
	v_pk_fma_f32 v[74:75], v[96:97], v[80:81], v[130:131] neg_lo:[0,0,1] neg_hi:[0,0,1]
	v_pk_mul_f32 v[72:73], v[100:101], v[84:85] op_sel:[1,1] op_sel_hi:[0,1]
	v_pk_fma_f32 v[76:77], v[98:99], v[82:83], v[88:89] op_sel_hi:[1,0,1]
	v_mov_b32_e32 v75, v71
	v_pk_add_f32 v[68:69], v[68:69], v[78:79]
	v_pk_fma_f32 v[80:81], v[98:99], v[82:83], v[88:89] neg_lo:[0,0,1] neg_hi:[0,0,1]
	v_pk_fma_f32 v[78:79], v[100:101], v[84:85], v[72:73] op_sel_hi:[1,0,1]
	v_pk_mul_f32 v[70:71], v[120:121], v[70:71] op_sel_hi:[1,0]
	v_mov_b32_e32 v81, v77
	v_pk_add_f32 v[68:69], v[68:69], v[74:75]
	v_pk_fma_f32 v[72:73], v[100:101], v[84:85], v[72:73] neg_lo:[0,0,1] neg_hi:[0,0,1]
	s_wait_loadcnt_dscnt 0x100
	v_pk_mul_f32 v[76:77], v[112:113], v[108:109] op_sel:[1,1] op_sel_hi:[0,1]
	v_pk_fma_f32 v[74:75], v[102:103], v[86:87], v[70:71] op_sel_hi:[1,0,1]
	v_mov_b32_e32 v73, v79
	v_pk_add_f32 v[68:69], v[68:69], v[80:81]
	v_pk_fma_f32 v[70:71], v[102:103], v[86:87], v[70:71] neg_lo:[0,0,1] neg_hi:[0,0,1]
	s_delay_alu instid0(VALU_DEP_4) | instskip(SKIP_1) | instid1(VALU_DEP_4)
	v_mov_b32_e32 v71, v75
	v_pk_fma_f32 v[74:75], v[112:113], v[108:109], v[76:77] neg_lo:[0,0,1] neg_hi:[0,0,1]
	v_pk_add_f32 v[68:69], v[68:69], v[72:73]
	v_pk_fma_f32 v[72:73], v[112:113], v[108:109], v[76:77] op_sel_hi:[1,0,1]
	s_delay_alu instid0(VALU_DEP_2) | instskip(NEXT) | instid1(VALU_DEP_2)
	v_pk_add_f32 v[68:69], v[68:69], v[70:71]
	v_mov_b32_e32 v75, v73
	s_delay_alu instid0(VALU_DEP_1) | instskip(SKIP_1) | instid1(VALU_DEP_1)
	v_pk_add_f32 v[68:69], v[68:69], v[74:75]
	s_wait_loadcnt 0x0
	v_pk_add_f32 v[68:69], v[110:111], v[68:69] neg_lo:[0,1] neg_hi:[0,1]
	scratch_store_b64 off, v[68:69], off offset:168
	s_wait_xcnt 0x0
	v_cmpx_lt_u32_e32 20, v0
	s_cbranch_execz .LBB32_171
; %bb.170:
	scratch_load_b64 v[68:69], off, off offset:160
	v_mov_b64_e32 v[70:71], 0
	scratch_store_b64 off, v[70:71], off offset:160
	s_wait_loadcnt 0x0
	ds_store_b64 v1, v[68:69]
.LBB32_171:
	s_wait_xcnt 0x0
	s_or_b32 exec_lo, exec_lo, s0
	s_wait_storecnt_dscnt 0x0
	s_barrier_signal -1
	s_barrier_wait -1
	s_clause 0x6
	scratch_load_b128 v[68:71], off, off offset:168
	scratch_load_b128 v[72:75], off, off offset:184
	;; [unrolled: 1-line block ×6, first 2 shown]
	scratch_load_b64 v[116:117], off, off offset:160
	ds_load_2addr_b64 v[92:95], v3 offset0:59 offset1:60
	ds_load_2addr_b64 v[96:99], v3 offset0:61 offset1:62
	;; [unrolled: 1-line block ×6, first 2 shown]
	s_mov_b32 s0, exec_lo
	s_wait_dscnt 0x5
	v_dual_mov_b32 v118, v95 :: v_dual_mov_b32 v119, v94
	s_wait_dscnt 0x4
	v_dual_mov_b32 v120, v99 :: v_dual_mov_b32 v121, v98
	;; [unrolled: 2-line block ×4, first 2 shown]
	s_wait_loadcnt_dscnt 0x601
	v_dual_mul_f32 v3, v108, v69 :: v_dual_mul_f32 v7, v110, v71
	v_dual_mul_f32 v11, v109, v69 :: v_dual_mul_f32 v13, v111, v71
	s_wait_loadcnt 0x4
	s_delay_alu instid0(VALU_DEP_2)
	v_dual_mov_b32 v132, v79 :: v_dual_fmac_f32 v3, v109, v68
	s_wait_dscnt 0x0
	v_dual_mul_f32 v127, v112, v73 :: v_dual_mul_f32 v129, v114, v75
	v_dual_fma_f32 v11, v108, v68, -v11 :: v_dual_fma_f32 v13, v110, v70, -v13
	v_dual_mul_f32 v15, v113, v73 :: v_dual_mul_f32 v17, v115, v75
	v_dual_fmac_f32 v7, v111, v70 :: v_dual_add_f32 v3, 0, v3
	s_wait_loadcnt 0x3
	s_delay_alu instid0(VALU_DEP_3) | instskip(SKIP_3) | instid1(VALU_DEP_4)
	v_dual_add_f32 v11, 0, v11 :: v_dual_mov_b32 v70, v83
	v_pk_mul_f32 v[130:131], v[92:93], v[76:77] op_sel:[1,1] op_sel_hi:[0,1]
	v_pk_mul_f32 v[68:69], v[96:97], v[80:81] op_sel:[1,1] op_sel_hi:[0,1]
	v_dual_fmac_f32 v127, v113, v72 :: v_dual_add_f32 v73, v3, v7
	v_dual_fma_f32 v126, v112, v72, -v15 :: v_dual_add_f32 v72, v11, v13
	v_fmac_f32_e32 v129, v115, v74
	v_fma_f32 v128, v114, v74, -v17
	v_pk_fma_f32 v[74:75], v[92:93], v[76:77], v[130:131] op_sel_hi:[1,0,1]
	v_pk_mul_f32 v[108:109], v[118:119], v[132:133] op_sel_hi:[1,0]
	v_pk_add_f32 v[72:73], v[72:73], v[126:127]
	v_pk_fma_f32 v[76:77], v[92:93], v[76:77], v[130:131] neg_lo:[0,0,1] neg_hi:[0,0,1]
	v_pk_fma_f32 v[92:93], v[96:97], v[80:81], v[68:69] op_sel_hi:[1,0,1]
	v_pk_fma_f32 v[68:69], v[96:97], v[80:81], v[68:69] neg_lo:[0,0,1] neg_hi:[0,0,1]
	v_mov_b32_e32 v77, v75
	v_pk_fma_f32 v[74:75], v[94:95], v[78:79], v[108:109] op_sel_hi:[1,0,1]
	v_pk_fma_f32 v[78:79], v[94:95], v[78:79], v[108:109] neg_lo:[0,0,1] neg_hi:[0,0,1]
	v_mov_b32_e32 v69, v93
	v_pk_add_f32 v[72:73], v[72:73], v[128:129]
	v_pk_mul_f32 v[70:71], v[120:121], v[70:71] op_sel_hi:[1,0]
	s_wait_loadcnt 0x2
	v_dual_mov_b32 v79, v75 :: v_dual_mov_b32 v74, v87
	v_pk_mul_f32 v[110:111], v[100:101], v[84:85] op_sel:[1,1] op_sel_hi:[0,1]
	v_pk_add_f32 v[72:73], v[72:73], v[76:77]
	v_pk_fma_f32 v[76:77], v[98:99], v[82:83], v[70:71] op_sel_hi:[1,0,1]
	v_pk_fma_f32 v[70:71], v[98:99], v[82:83], v[70:71] neg_lo:[0,0,1] neg_hi:[0,0,1]
	v_pk_mul_f32 v[74:75], v[122:123], v[74:75] op_sel_hi:[1,0]
	s_delay_alu instid0(VALU_DEP_4) | instskip(SKIP_3) | instid1(VALU_DEP_4)
	v_pk_add_f32 v[72:73], v[72:73], v[78:79]
	v_pk_fma_f32 v[78:79], v[100:101], v[84:85], v[110:111] op_sel_hi:[1,0,1]
	v_mov_b32_e32 v71, v77
	v_pk_fma_f32 v[76:77], v[100:101], v[84:85], v[110:111] neg_lo:[0,0,1] neg_hi:[0,0,1]
	v_pk_add_f32 v[68:69], v[72:73], v[68:69]
	s_wait_loadcnt 0x1
	v_pk_mul_f32 v[72:73], v[104:105], v[88:89] op_sel:[1,1] op_sel_hi:[0,1]
	v_mov_b32_e32 v77, v79
	v_pk_fma_f32 v[78:79], v[102:103], v[86:87], v[74:75] op_sel_hi:[1,0,1]
	v_pk_fma_f32 v[74:75], v[102:103], v[86:87], v[74:75] neg_lo:[0,0,1] neg_hi:[0,0,1]
	v_pk_add_f32 v[68:69], v[68:69], v[70:71]
	v_mov_b32_e32 v70, v91
	v_pk_fma_f32 v[80:81], v[104:105], v[88:89], v[72:73] op_sel_hi:[1,0,1]
	v_mov_b32_e32 v75, v79
	v_pk_fma_f32 v[72:73], v[104:105], v[88:89], v[72:73] neg_lo:[0,0,1] neg_hi:[0,0,1]
	v_pk_add_f32 v[68:69], v[68:69], v[76:77]
	v_pk_mul_f32 v[70:71], v[124:125], v[70:71] op_sel_hi:[1,0]
	s_delay_alu instid0(VALU_DEP_2) | instskip(NEXT) | instid1(VALU_DEP_2)
	v_pk_add_f32 v[68:69], v[68:69], v[74:75]
	v_pk_fma_f32 v[74:75], v[106:107], v[90:91], v[70:71] op_sel_hi:[1,0,1]
	v_mov_b32_e32 v73, v81
	v_pk_fma_f32 v[70:71], v[106:107], v[90:91], v[70:71] neg_lo:[0,0,1] neg_hi:[0,0,1]
	s_delay_alu instid0(VALU_DEP_3) | instskip(NEXT) | instid1(VALU_DEP_3)
	v_mov_b32_e32 v71, v75
	v_pk_add_f32 v[68:69], v[68:69], v[72:73]
	s_delay_alu instid0(VALU_DEP_1) | instskip(SKIP_1) | instid1(VALU_DEP_1)
	v_pk_add_f32 v[68:69], v[68:69], v[70:71]
	s_wait_loadcnt 0x0
	v_pk_add_f32 v[68:69], v[116:117], v[68:69] neg_lo:[0,1] neg_hi:[0,1]
	scratch_store_b64 off, v[68:69], off offset:160
	s_wait_xcnt 0x0
	v_cmpx_lt_u32_e32 19, v0
	s_cbranch_execz .LBB32_173
; %bb.172:
	scratch_load_b64 v[68:69], off, off offset:152
	v_mov_b64_e32 v[70:71], 0
	scratch_store_b64 off, v[70:71], off offset:152
	s_wait_loadcnt 0x0
	ds_store_b64 v1, v[68:69]
.LBB32_173:
	s_wait_xcnt 0x0
	s_or_b32 exec_lo, exec_lo, s0
	s_wait_storecnt_dscnt 0x0
	s_barrier_signal -1
	s_barrier_wait -1
	s_clause 0x7
	scratch_load_b128 v[68:71], off, off offset:160
	scratch_load_b128 v[72:75], off, off offset:176
	;; [unrolled: 1-line block ×6, first 2 shown]
	scratch_load_b64 v[116:117], off, off offset:256
	scratch_load_b64 v[118:119], off, off offset:152
	v_mov_b32_e32 v3, 0
	ds_load_b128 v[92:95], v3 offset:464
	ds_load_b128 v[96:99], v3 offset:480
	;; [unrolled: 1-line block ×6, first 2 shown]
	ds_load_b64 v[120:121], v3 offset:528
	s_mov_b32 s0, exec_lo
	s_wait_dscnt 0x6
	v_dual_mov_b32 v122, v95 :: v_dual_mov_b32 v123, v94
	s_wait_dscnt 0x3
	v_dual_mov_b32 v124, v99 :: v_dual_mov_b32 v129, v106
	v_dual_mov_b32 v125, v98 :: v_dual_mov_b32 v126, v103
	;; [unrolled: 1-line block ×3, first 2 shown]
	s_wait_loadcnt_dscnt 0x702
	v_dual_mul_f32 v7, v108, v69 :: v_dual_mul_f32 v15, v109, v69
	v_dual_mul_f32 v17, v111, v71 :: v_dual_mul_f32 v11, v110, v71
	s_wait_loadcnt_dscnt 0x601
	s_delay_alu instid0(VALU_DEP_2) | instskip(NEXT) | instid1(VALU_DEP_2)
	v_dual_mul_f32 v13, v112, v73 :: v_dual_fmac_f32 v7, v109, v68
	v_dual_fma_f32 v15, v108, v68, -v15 :: v_dual_fma_f32 v17, v110, v70, -v17
	s_wait_loadcnt 0x5
	v_dual_mul_f32 v131, v114, v75 :: v_dual_mul_f32 v133, v92, v77
	v_dual_mul_f32 v19, v113, v73 :: v_dual_mul_f32 v21, v115, v75
	v_dual_mul_f32 v23, v93, v77 :: v_dual_mov_b32 v132, v79
	s_wait_loadcnt 0x4
	v_mov_b32_e32 v68, v83
	v_dual_fmac_f32 v11, v111, v70 :: v_dual_add_f32 v7, 0, v7
	v_dual_add_f32 v15, 0, v15 :: v_dual_fmac_f32 v13, v113, v72
	v_fma_f32 v19, v112, v72, -v19
	v_pk_mul_f32 v[72:73], v[122:123], v[132:133] op_sel_hi:[1,0]
	s_delay_alu instid0(VALU_DEP_4) | instskip(NEXT) | instid1(VALU_DEP_4)
	v_add_f32_e32 v7, v7, v11
	v_dual_add_f32 v11, v15, v17 :: v_dual_fma_f32 v130, v114, v74, -v21
	v_dual_fmac_f32 v131, v115, v74 :: v_dual_fmac_f32 v133, v93, v76
	s_delay_alu instid0(VALU_DEP_3) | instskip(SKIP_1) | instid1(VALU_DEP_4)
	v_dual_add_f32 v75, v7, v13 :: v_dual_fma_f32 v132, v92, v76, -v23
	v_pk_fma_f32 v[76:77], v[94:95], v[78:79], v[72:73] op_sel_hi:[1,0,1]
	v_add_f32_e32 v74, v11, v19
	v_pk_fma_f32 v[72:73], v[94:95], v[78:79], v[72:73] neg_lo:[0,0,1] neg_hi:[0,0,1]
	v_pk_mul_f32 v[134:135], v[96:97], v[80:81] op_sel:[1,1] op_sel_hi:[0,1]
	v_pk_mul_f32 v[68:69], v[124:125], v[68:69] op_sel_hi:[1,0]
	v_mov_b32_e32 v73, v77
	v_pk_add_f32 v[74:75], v[74:75], v[130:131]
	s_wait_loadcnt 0x3
	v_pk_mul_f32 v[70:71], v[100:101], v[84:85] op_sel:[1,1] op_sel_hi:[0,1]
	v_pk_fma_f32 v[92:93], v[96:97], v[80:81], v[134:135] op_sel_hi:[1,0,1]
	v_pk_fma_f32 v[78:79], v[96:97], v[80:81], v[134:135] neg_lo:[0,0,1] neg_hi:[0,0,1]
	v_mov_b32_e32 v108, v87
	v_pk_add_f32 v[74:75], v[74:75], v[132:133]
	v_pk_fma_f32 v[80:81], v[98:99], v[82:83], v[68:69] op_sel_hi:[1,0,1]
	v_mov_b32_e32 v79, v93
	v_pk_fma_f32 v[68:69], v[98:99], v[82:83], v[68:69] neg_lo:[0,0,1] neg_hi:[0,0,1]
	v_pk_mul_f32 v[92:93], v[126:127], v[108:109] op_sel_hi:[1,0]
	v_pk_add_f32 v[72:73], v[74:75], v[72:73]
	v_pk_fma_f32 v[74:75], v[100:101], v[84:85], v[70:71] op_sel_hi:[1,0,1]
	s_wait_loadcnt 0x2
	v_dual_mov_b32 v69, v81 :: v_dual_mov_b32 v74, v91
	v_pk_fma_f32 v[70:71], v[100:101], v[84:85], v[70:71] neg_lo:[0,0,1] neg_hi:[0,0,1]
	v_pk_add_f32 v[72:73], v[72:73], v[78:79]
	v_pk_mul_f32 v[76:77], v[104:105], v[88:89] op_sel:[1,1] op_sel_hi:[0,1]
	v_pk_fma_f32 v[78:79], v[102:103], v[86:87], v[92:93] op_sel_hi:[1,0,1]
	v_mov_b32_e32 v71, v75
	v_pk_fma_f32 v[80:81], v[102:103], v[86:87], v[92:93] neg_lo:[0,0,1] neg_hi:[0,0,1]
	v_pk_add_f32 v[68:69], v[72:73], v[68:69]
	v_pk_fma_f32 v[72:73], v[104:105], v[88:89], v[76:77] op_sel_hi:[1,0,1]
	v_pk_mul_f32 v[74:75], v[128:129], v[74:75] op_sel_hi:[1,0]
	v_mov_b32_e32 v81, v79
	s_delay_alu instid0(VALU_DEP_4)
	v_pk_add_f32 v[68:69], v[68:69], v[70:71]
	v_pk_fma_f32 v[70:71], v[104:105], v[88:89], v[76:77] neg_lo:[0,0,1] neg_hi:[0,0,1]
	v_mov_b32_e32 v71, v73
	v_pk_fma_f32 v[72:73], v[106:107], v[90:91], v[74:75] op_sel_hi:[1,0,1]
	s_wait_loadcnt_dscnt 0x100
	v_pk_mul_f32 v[76:77], v[120:121], v[116:117] op_sel:[1,1] op_sel_hi:[0,1]
	v_pk_add_f32 v[68:69], v[68:69], v[80:81]
	v_pk_fma_f32 v[74:75], v[106:107], v[90:91], v[74:75] neg_lo:[0,0,1] neg_hi:[0,0,1]
	v_mov_b32_e32 v75, v73
	s_delay_alu instid0(VALU_DEP_4) | instskip(NEXT) | instid1(VALU_DEP_4)
	v_pk_fma_f32 v[72:73], v[120:121], v[116:117], v[76:77] neg_lo:[0,0,1] neg_hi:[0,0,1]
	v_pk_add_f32 v[68:69], v[68:69], v[70:71]
	v_pk_fma_f32 v[70:71], v[120:121], v[116:117], v[76:77] op_sel_hi:[1,0,1]
	s_delay_alu instid0(VALU_DEP_2) | instskip(NEXT) | instid1(VALU_DEP_2)
	v_pk_add_f32 v[68:69], v[68:69], v[74:75]
	v_mov_b32_e32 v73, v71
	s_delay_alu instid0(VALU_DEP_1) | instskip(SKIP_1) | instid1(VALU_DEP_1)
	v_pk_add_f32 v[68:69], v[68:69], v[72:73]
	s_wait_loadcnt 0x0
	v_pk_add_f32 v[68:69], v[118:119], v[68:69] neg_lo:[0,1] neg_hi:[0,1]
	scratch_store_b64 off, v[68:69], off offset:152
	s_wait_xcnt 0x0
	v_cmpx_lt_u32_e32 18, v0
	s_cbranch_execz .LBB32_175
; %bb.174:
	scratch_load_b64 v[68:69], off, off offset:144
	v_mov_b64_e32 v[70:71], 0
	scratch_store_b64 off, v[70:71], off offset:144
	s_wait_loadcnt 0x0
	ds_store_b64 v1, v[68:69]
.LBB32_175:
	s_wait_xcnt 0x0
	s_or_b32 exec_lo, exec_lo, s0
	s_wait_storecnt_dscnt 0x0
	s_barrier_signal -1
	s_barrier_wait -1
	s_clause 0x7
	scratch_load_b128 v[68:71], off, off offset:152
	scratch_load_b128 v[72:75], off, off offset:168
	;; [unrolled: 1-line block ×7, first 2 shown]
	scratch_load_b64 v[124:125], off, off offset:144
	ds_load_2addr_b64 v[96:99], v3 offset0:59 offset1:60
	ds_load_2addr_b64 v[100:103], v3 offset0:61 offset1:62
	;; [unrolled: 1-line block ×7, first 2 shown]
	s_mov_b32 s0, exec_lo
	s_wait_dscnt 0x6
	v_dual_mov_b32 v126, v99 :: v_dual_mov_b32 v127, v98
	s_wait_dscnt 0x5
	v_dual_mov_b32 v128, v103 :: v_dual_mov_b32 v129, v102
	;; [unrolled: 2-line block ×4, first 2 shown]
	s_wait_loadcnt_dscnt 0x702
	v_dual_mul_f32 v3, v112, v69 :: v_dual_mul_f32 v7, v114, v71
	v_dual_mul_f32 v15, v113, v69 :: v_dual_mul_f32 v17, v115, v71
	s_wait_loadcnt_dscnt 0x601
	v_dual_mul_f32 v11, v116, v73 :: v_dual_mul_f32 v13, v118, v75
	s_delay_alu instid0(VALU_DEP_3) | instskip(SKIP_2) | instid1(VALU_DEP_3)
	v_fmac_f32_e32 v3, v113, v68
	v_dual_mul_f32 v19, v117, v73 :: v_dual_mul_f32 v21, v119, v75
	v_dual_fma_f32 v17, v114, v70, -v17 :: v_dual_fma_f32 v15, v112, v68, -v15
	v_dual_add_f32 v3, 0, v3 :: v_dual_fmac_f32 v7, v115, v70
	s_wait_loadcnt 0x4
	v_dual_mov_b32 v70, v83 :: v_dual_fmac_f32 v11, v117, v72
	s_delay_alu instid0(VALU_DEP_3) | instskip(SKIP_2) | instid1(VALU_DEP_2)
	v_dual_add_f32 v15, 0, v15 :: v_dual_fma_f32 v19, v116, v72, -v19
	s_wait_dscnt 0x0
	v_dual_add_f32 v3, v3, v7 :: v_dual_mul_f32 v135, v120, v77
	v_dual_mul_f32 v137, v122, v79 :: v_dual_add_f32 v7, v15, v17
	v_dual_fma_f32 v15, v118, v74, -v21 :: v_dual_mul_f32 v23, v121, v77
	v_mul_f32_e32 v25, v123, v79
	v_pk_mul_f32 v[68:69], v[96:97], v[80:81] op_sel:[1,1] op_sel_hi:[0,1]
	s_wait_loadcnt 0x3
	v_pk_mul_f32 v[72:73], v[100:101], v[84:85] op_sel:[1,1] op_sel_hi:[0,1]
	v_dual_fmac_f32 v13, v119, v74 :: v_dual_fmac_f32 v135, v121, v76
	v_dual_add_f32 v3, v3, v11 :: v_dual_fma_f32 v134, v120, v76, -v23
	v_dual_add_f32 v7, v7, v19 :: v_dual_fma_f32 v136, v122, v78, -v25
	v_fmac_f32_e32 v137, v123, v78
	v_pk_fma_f32 v[78:79], v[96:97], v[80:81], v[68:69] op_sel_hi:[1,0,1]
	v_pk_fma_f32 v[68:69], v[96:97], v[80:81], v[68:69] neg_lo:[0,0,1] neg_hi:[0,0,1]
	s_delay_alu instid0(VALU_DEP_4)
	v_add_f32_e32 v76, v7, v15
	v_pk_fma_f32 v[80:81], v[100:101], v[84:85], v[72:73] op_sel_hi:[1,0,1]
	v_add_f32_e32 v77, v3, v13
	v_pk_fma_f32 v[72:73], v[100:101], v[84:85], v[72:73] neg_lo:[0,0,1] neg_hi:[0,0,1]
	v_pk_mul_f32 v[70:71], v[126:127], v[70:71] op_sel_hi:[1,0]
	v_dual_mov_b32 v74, v87 :: v_dual_mov_b32 v69, v79
	v_mov_b32_e32 v73, v81
	v_pk_add_f32 v[76:77], v[76:77], v[134:135]
	s_delay_alu instid0(VALU_DEP_4)
	v_pk_fma_f32 v[78:79], v[98:99], v[82:83], v[70:71] op_sel_hi:[1,0,1]
	v_pk_fma_f32 v[70:71], v[98:99], v[82:83], v[70:71] neg_lo:[0,0,1] neg_hi:[0,0,1]
	v_pk_mul_f32 v[74:75], v[128:129], v[74:75] op_sel_hi:[1,0]
	s_wait_loadcnt 0x2
	v_pk_mul_f32 v[112:113], v[104:105], v[88:89] op_sel:[1,1] op_sel_hi:[0,1]
	v_pk_add_f32 v[76:77], v[76:77], v[136:137]
	v_mov_b32_e32 v71, v79
	v_pk_fma_f32 v[78:79], v[102:103], v[86:87], v[74:75] op_sel_hi:[1,0,1]
	v_pk_fma_f32 v[74:75], v[102:103], v[86:87], v[74:75] neg_lo:[0,0,1] neg_hi:[0,0,1]
	s_delay_alu instid0(VALU_DEP_4) | instskip(SKIP_1) | instid1(VALU_DEP_2)
	v_pk_add_f32 v[68:69], v[76:77], v[68:69]
	v_mov_b32_e32 v76, v91
	v_pk_add_f32 v[68:69], v[68:69], v[70:71]
	v_pk_fma_f32 v[70:71], v[104:105], v[88:89], v[112:113] op_sel_hi:[1,0,1]
	s_delay_alu instid0(VALU_DEP_3)
	v_pk_mul_f32 v[76:77], v[130:131], v[76:77] op_sel_hi:[1,0]
	v_mov_b32_e32 v75, v79
	v_pk_fma_f32 v[78:79], v[104:105], v[88:89], v[112:113] neg_lo:[0,0,1] neg_hi:[0,0,1]
	v_pk_add_f32 v[68:69], v[68:69], v[72:73]
	v_mov_b32_e32 v79, v71
	v_pk_fma_f32 v[70:71], v[106:107], v[90:91], v[76:77] op_sel_hi:[1,0,1]
	s_wait_loadcnt 0x1
	v_pk_mul_f32 v[72:73], v[108:109], v[92:93] op_sel:[1,1] op_sel_hi:[0,1]
	v_mov_b32_e32 v70, v95
	v_pk_add_f32 v[68:69], v[68:69], v[74:75]
	v_pk_fma_f32 v[76:77], v[106:107], v[90:91], v[76:77] neg_lo:[0,0,1] neg_hi:[0,0,1]
	v_mov_b32_e32 v77, v71
	v_pk_fma_f32 v[74:75], v[108:109], v[92:93], v[72:73] op_sel_hi:[1,0,1]
	v_pk_mul_f32 v[70:71], v[132:133], v[70:71] op_sel_hi:[1,0]
	v_pk_add_f32 v[68:69], v[68:69], v[78:79]
	v_pk_fma_f32 v[72:73], v[108:109], v[92:93], v[72:73] neg_lo:[0,0,1] neg_hi:[0,0,1]
	s_delay_alu instid0(VALU_DEP_4) | instskip(NEXT) | instid1(VALU_DEP_4)
	v_mov_b32_e32 v73, v75
	v_pk_fma_f32 v[74:75], v[110:111], v[94:95], v[70:71] op_sel_hi:[1,0,1]
	s_delay_alu instid0(VALU_DEP_4) | instskip(SKIP_1) | instid1(VALU_DEP_3)
	v_pk_add_f32 v[68:69], v[68:69], v[76:77]
	v_pk_fma_f32 v[70:71], v[110:111], v[94:95], v[70:71] neg_lo:[0,0,1] neg_hi:[0,0,1]
	v_mov_b32_e32 v71, v75
	s_delay_alu instid0(VALU_DEP_3) | instskip(NEXT) | instid1(VALU_DEP_1)
	v_pk_add_f32 v[68:69], v[68:69], v[72:73]
	v_pk_add_f32 v[68:69], v[68:69], v[70:71]
	s_wait_loadcnt 0x0
	s_delay_alu instid0(VALU_DEP_1)
	v_pk_add_f32 v[68:69], v[124:125], v[68:69] neg_lo:[0,1] neg_hi:[0,1]
	scratch_store_b64 off, v[68:69], off offset:144
	s_wait_xcnt 0x0
	v_cmpx_lt_u32_e32 17, v0
	s_cbranch_execz .LBB32_177
; %bb.176:
	scratch_load_b64 v[68:69], off, off offset:136
	v_mov_b64_e32 v[70:71], 0
	scratch_store_b64 off, v[70:71], off offset:136
	s_wait_loadcnt 0x0
	ds_store_b64 v1, v[68:69]
.LBB32_177:
	s_wait_xcnt 0x0
	s_or_b32 exec_lo, exec_lo, s0
	s_wait_storecnt_dscnt 0x0
	s_barrier_signal -1
	s_barrier_wait -1
	s_clause 0x8
	scratch_load_b128 v[68:71], off, off offset:144
	scratch_load_b128 v[72:75], off, off offset:160
	;; [unrolled: 1-line block ×7, first 2 shown]
	scratch_load_b64 v[124:125], off, off offset:256
	scratch_load_b64 v[126:127], off, off offset:136
	v_mov_b32_e32 v3, 0
	ds_load_b128 v[96:99], v3 offset:464
	ds_load_b128 v[100:103], v3 offset:480
	;; [unrolled: 1-line block ×7, first 2 shown]
	ds_load_b64 v[128:129], v3 offset:528
	s_mov_b32 s0, exec_lo
	s_wait_dscnt 0x7
	v_dual_mov_b32 v130, v99 :: v_dual_mov_b32 v131, v98
	s_wait_dscnt 0x4
	v_dual_mov_b32 v132, v103 :: v_dual_mov_b32 v137, v110
	v_dual_mov_b32 v133, v102 :: v_dual_mov_b32 v134, v107
	;; [unrolled: 1-line block ×3, first 2 shown]
	s_wait_loadcnt_dscnt 0x803
	v_dual_mul_f32 v7, v112, v69 :: v_dual_mul_f32 v19, v113, v69
	v_dual_mul_f32 v21, v115, v71 :: v_dual_mul_f32 v11, v114, v71
	s_wait_loadcnt_dscnt 0x702
	v_mul_f32_e32 v13, v116, v73
	s_wait_loadcnt 0x5
	v_dual_mul_f32 v31, v97, v81 :: v_dual_fma_f32 v19, v112, v68, -v19
	v_dual_fmac_f32 v7, v113, v68 :: v_dual_mov_b32 v68, v83
	v_dual_mul_f32 v23, v117, v73 :: v_dual_mul_f32 v25, v119, v75
	v_dual_fmac_f32 v11, v115, v70 :: v_dual_fma_f32 v21, v114, v70, -v21
	s_delay_alu instid0(VALU_DEP_3) | instskip(NEXT) | instid1(VALU_DEP_3)
	v_dual_add_f32 v7, 0, v7 :: v_dual_fmac_f32 v13, v117, v72
	v_dual_add_f32 v19, 0, v19 :: v_dual_fma_f32 v23, v116, v72, -v23
	s_wait_dscnt 0x1
	v_dual_mul_f32 v15, v118, v75 :: v_dual_mul_f32 v17, v120, v77
	s_delay_alu instid0(VALU_DEP_3) | instskip(NEXT) | instid1(VALU_DEP_3)
	v_add_f32_e32 v7, v7, v11
	v_dual_add_f32 v11, v19, v21 :: v_dual_mul_f32 v139, v122, v79
	v_mul_f32_e32 v141, v96, v81
	v_dual_mul_f32 v27, v121, v77 :: v_dual_mul_f32 v29, v123, v79
	s_wait_loadcnt 0x4
	v_pk_mul_f32 v[70:71], v[100:101], v[84:85] op_sel:[1,1] op_sel_hi:[0,1]
	s_delay_alu instid0(VALU_DEP_3)
	v_dual_fmac_f32 v15, v119, v74 :: v_dual_fmac_f32 v141, v97, v80
	v_dual_fma_f32 v19, v118, v74, -v25 :: v_dual_add_f32 v7, v7, v13
	v_fma_f32 v138, v122, v78, -v29
	v_dual_fmac_f32 v17, v121, v76 :: v_dual_add_f32 v11, v11, v23
	v_fma_f32 v140, v96, v80, -v31
	v_pk_mul_f32 v[68:69], v[130:131], v[68:69] op_sel_hi:[1,0]
	v_dual_mov_b32 v72, v87 :: v_dual_fma_f32 v13, v120, v76, -v27
	v_pk_fma_f32 v[96:97], v[100:101], v[84:85], v[70:71] op_sel_hi:[1,0,1]
	v_add_f32_e32 v11, v11, v19
	s_delay_alu instid0(VALU_DEP_4) | instskip(SKIP_3) | instid1(VALU_DEP_4)
	v_pk_fma_f32 v[80:81], v[98:99], v[82:83], v[68:69] op_sel_hi:[1,0,1]
	v_add_f32_e32 v7, v7, v15
	v_pk_fma_f32 v[68:69], v[98:99], v[82:83], v[68:69] neg_lo:[0,0,1] neg_hi:[0,0,1]
	v_pk_fma_f32 v[70:71], v[100:101], v[84:85], v[70:71] neg_lo:[0,0,1] neg_hi:[0,0,1]
	v_dual_fmac_f32 v139, v123, v78 :: v_dual_mov_b32 v69, v81
	s_delay_alu instid0(VALU_DEP_4)
	v_dual_add_f32 v77, v7, v17 :: v_dual_mov_b32 v71, v97
	v_add_f32_e32 v76, v11, v13
	v_pk_mul_f32 v[72:73], v[132:133], v[72:73] op_sel_hi:[1,0]
	s_wait_loadcnt 0x3
	v_pk_mul_f32 v[74:75], v[104:105], v[88:89] op_sel:[1,1] op_sel_hi:[0,1]
	s_wait_loadcnt 0x2
	v_pk_mul_f32 v[80:81], v[108:109], v[92:93] op_sel:[1,1] op_sel_hi:[0,1]
	v_pk_add_f32 v[76:77], v[76:77], v[138:139]
	v_pk_fma_f32 v[82:83], v[102:103], v[86:87], v[72:73] op_sel_hi:[1,0,1]
	v_mov_b32_e32 v78, v91
	v_pk_fma_f32 v[72:73], v[102:103], v[86:87], v[72:73] neg_lo:[0,0,1] neg_hi:[0,0,1]
	s_delay_alu instid0(VALU_DEP_4) | instskip(NEXT) | instid1(VALU_DEP_4)
	v_pk_add_f32 v[76:77], v[76:77], v[140:141]
	v_mov_b32_e32 v73, v83
	s_delay_alu instid0(VALU_DEP_4) | instskip(NEXT) | instid1(VALU_DEP_3)
	v_pk_mul_f32 v[78:79], v[134:135], v[78:79] op_sel_hi:[1,0]
	v_pk_add_f32 v[68:69], v[76:77], v[68:69]
	v_pk_fma_f32 v[76:77], v[104:105], v[88:89], v[74:75] op_sel_hi:[1,0,1]
	v_pk_fma_f32 v[74:75], v[104:105], v[88:89], v[74:75] neg_lo:[0,0,1] neg_hi:[0,0,1]
	s_delay_alu instid0(VALU_DEP_3) | instskip(NEXT) | instid1(VALU_DEP_3)
	v_pk_add_f32 v[68:69], v[68:69], v[70:71]
	v_dual_mov_b32 v70, v95 :: v_dual_mov_b32 v75, v77
	v_pk_fma_f32 v[76:77], v[106:107], v[90:91], v[78:79] op_sel_hi:[1,0,1]
	v_pk_fma_f32 v[78:79], v[106:107], v[90:91], v[78:79] neg_lo:[0,0,1] neg_hi:[0,0,1]
	s_delay_alu instid0(VALU_DEP_4)
	v_pk_add_f32 v[68:69], v[68:69], v[72:73]
	v_pk_fma_f32 v[72:73], v[108:109], v[92:93], v[80:81] op_sel_hi:[1,0,1]
	v_pk_mul_f32 v[70:71], v[136:137], v[70:71] op_sel_hi:[1,0]
	v_mov_b32_e32 v79, v77
	s_wait_loadcnt_dscnt 0x100
	v_pk_mul_f32 v[76:77], v[128:129], v[124:125] op_sel:[1,1] op_sel_hi:[0,1]
	v_pk_add_f32 v[68:69], v[68:69], v[74:75]
	v_pk_fma_f32 v[74:75], v[108:109], v[92:93], v[80:81] neg_lo:[0,0,1] neg_hi:[0,0,1]
	v_mov_b32_e32 v75, v73
	v_pk_fma_f32 v[72:73], v[110:111], v[94:95], v[70:71] op_sel_hi:[1,0,1]
	v_pk_fma_f32 v[70:71], v[110:111], v[94:95], v[70:71] neg_lo:[0,0,1] neg_hi:[0,0,1]
	v_pk_add_f32 v[68:69], v[68:69], v[78:79]
	s_delay_alu instid0(VALU_DEP_3) | instskip(SKIP_1) | instid1(VALU_DEP_3)
	v_mov_b32_e32 v71, v73
	v_pk_fma_f32 v[72:73], v[128:129], v[124:125], v[76:77] op_sel_hi:[1,0,1]
	v_pk_add_f32 v[68:69], v[68:69], v[74:75]
	v_pk_fma_f32 v[74:75], v[128:129], v[124:125], v[76:77] neg_lo:[0,0,1] neg_hi:[0,0,1]
	s_delay_alu instid0(VALU_DEP_3) | instskip(NEXT) | instid1(VALU_DEP_3)
	v_mov_b32_e32 v75, v73
	v_pk_add_f32 v[68:69], v[68:69], v[70:71]
	s_delay_alu instid0(VALU_DEP_1) | instskip(SKIP_1) | instid1(VALU_DEP_1)
	v_pk_add_f32 v[68:69], v[68:69], v[74:75]
	s_wait_loadcnt 0x0
	v_pk_add_f32 v[68:69], v[126:127], v[68:69] neg_lo:[0,1] neg_hi:[0,1]
	scratch_store_b64 off, v[68:69], off offset:136
	s_wait_xcnt 0x0
	v_cmpx_lt_u32_e32 16, v0
	s_cbranch_execz .LBB32_179
; %bb.178:
	scratch_load_b64 v[68:69], off, off offset:128
	v_mov_b64_e32 v[70:71], 0
	scratch_store_b64 off, v[70:71], off offset:128
	s_wait_loadcnt 0x0
	ds_store_b64 v1, v[68:69]
.LBB32_179:
	s_wait_xcnt 0x0
	s_or_b32 exec_lo, exec_lo, s0
	s_wait_storecnt_dscnt 0x0
	s_barrier_signal -1
	s_barrier_wait -1
	s_clause 0x8
	scratch_load_b128 v[68:71], off, off offset:136
	scratch_load_b128 v[72:75], off, off offset:152
	;; [unrolled: 1-line block ×8, first 2 shown]
	scratch_load_b64 v[132:133], off, off offset:128
	ds_load_2addr_b64 v[100:103], v3 offset0:59 offset1:60
	ds_load_2addr_b64 v[104:107], v3 offset0:61 offset1:62
	;; [unrolled: 1-line block ×8, first 2 shown]
	s_mov_b32 s0, exec_lo
	s_wait_dscnt 0x7
	v_dual_mov_b32 v134, v103 :: v_dual_mov_b32 v135, v102
	s_wait_dscnt 0x6
	v_dual_mov_b32 v136, v107 :: v_dual_mov_b32 v137, v106
	;; [unrolled: 2-line block ×4, first 2 shown]
	s_wait_loadcnt_dscnt 0x803
	v_dual_mul_f32 v3, v116, v69 :: v_dual_mul_f32 v7, v118, v71
	v_dual_mul_f32 v19, v117, v69 :: v_dual_mul_f32 v21, v119, v71
	s_wait_loadcnt_dscnt 0x702
	v_dual_mul_f32 v11, v120, v73 :: v_dual_mul_f32 v13, v122, v75
	s_delay_alu instid0(VALU_DEP_3)
	v_fmac_f32_e32 v3, v117, v68
	s_wait_loadcnt_dscnt 0x500
	v_dual_fma_f32 v19, v116, v68, -v19 :: v_dual_mul_f32 v31, v129, v81
	v_dual_mul_f32 v23, v121, v73 :: v_dual_mul_f32 v25, v123, v75
	v_dual_fma_f32 v21, v118, v70, -v21 :: v_dual_fmac_f32 v7, v119, v70
	v_add_f32_e32 v3, 0, v3
	s_delay_alu instid0(VALU_DEP_4) | instskip(SKIP_2) | instid1(VALU_DEP_4)
	v_dual_add_f32 v19, 0, v19 :: v_dual_fmac_f32 v11, v121, v72
	v_dual_mul_f32 v15, v124, v77 :: v_dual_mul_f32 v17, v126, v79
	v_dual_mul_f32 v33, v131, v83 :: v_dual_fma_f32 v23, v120, v72, -v23
	v_add_f32_e32 v3, v3, v7
	s_delay_alu instid0(VALU_DEP_3) | instskip(SKIP_4) | instid1(VALU_DEP_4)
	v_dual_add_f32 v7, v19, v21 :: v_dual_fmac_f32 v15, v125, v76
	v_dual_mul_f32 v143, v128, v81 :: v_dual_mul_f32 v145, v130, v83
	v_dual_mul_f32 v27, v125, v77 :: v_dual_mul_f32 v29, v127, v79
	v_fmac_f32_e32 v13, v123, v74
	v_dual_fma_f32 v19, v122, v74, -v25 :: v_dual_add_f32 v3, v3, v11
	v_dual_add_f32 v7, v7, v23 :: v_dual_fmac_f32 v143, v129, v80
	s_delay_alu instid0(VALU_DEP_4) | instskip(NEXT) | instid1(VALU_DEP_3)
	v_dual_fma_f32 v11, v124, v76, -v27 :: v_dual_fmac_f32 v17, v127, v78
	v_dual_add_f32 v3, v3, v13 :: v_dual_fma_f32 v142, v128, v80, -v31
	s_delay_alu instid0(VALU_DEP_3) | instskip(NEXT) | instid1(VALU_DEP_2)
	v_dual_add_f32 v7, v7, v19 :: v_dual_fma_f32 v144, v130, v82, -v33
	v_dual_fma_f32 v13, v126, v78, -v29 :: v_dual_add_f32 v3, v3, v15
	s_wait_loadcnt 0x4
	v_pk_mul_f32 v[68:69], v[100:101], v[84:85] op_sel:[1,1] op_sel_hi:[0,1]
	s_delay_alu instid0(VALU_DEP_3)
	v_add_f32_e32 v7, v7, v11
	s_wait_loadcnt 0x3
	v_dual_mov_b32 v70, v87 :: v_dual_mov_b32 v74, v91
	v_add_f32_e32 v77, v3, v17
	v_fmac_f32_e32 v145, v131, v82
	v_add_f32_e32 v76, v7, v13
	v_pk_fma_f32 v[78:79], v[100:101], v[84:85], v[68:69] op_sel_hi:[1,0,1]
	v_pk_mul_f32 v[70:71], v[134:135], v[70:71] op_sel_hi:[1,0]
	v_pk_fma_f32 v[68:69], v[100:101], v[84:85], v[68:69] neg_lo:[0,0,1] neg_hi:[0,0,1]
	v_pk_mul_f32 v[72:73], v[104:105], v[88:89] op_sel:[1,1] op_sel_hi:[0,1]
	v_pk_add_f32 v[76:77], v[76:77], v[142:143]
	v_mov_b32_e32 v69, v79
	v_pk_fma_f32 v[78:79], v[102:103], v[86:87], v[70:71] op_sel_hi:[1,0,1]
	v_pk_fma_f32 v[70:71], v[102:103], v[86:87], v[70:71] neg_lo:[0,0,1] neg_hi:[0,0,1]
	v_pk_fma_f32 v[82:83], v[104:105], v[88:89], v[72:73] op_sel_hi:[1,0,1]
	v_pk_add_f32 v[76:77], v[76:77], v[144:145]
	v_pk_mul_f32 v[74:75], v[136:137], v[74:75] op_sel_hi:[1,0]
	v_mov_b32_e32 v71, v79
	s_wait_loadcnt 0x2
	v_pk_mul_f32 v[80:81], v[108:109], v[92:93] op_sel:[1,1] op_sel_hi:[0,1]
	v_pk_fma_f32 v[72:73], v[104:105], v[88:89], v[72:73] neg_lo:[0,0,1] neg_hi:[0,0,1]
	v_pk_add_f32 v[68:69], v[76:77], v[68:69]
	v_dual_mov_b32 v76, v95 :: v_dual_mov_b32 v73, v83
	v_pk_fma_f32 v[78:79], v[106:107], v[90:91], v[74:75] op_sel_hi:[1,0,1]
	v_pk_fma_f32 v[74:75], v[106:107], v[90:91], v[74:75] neg_lo:[0,0,1] neg_hi:[0,0,1]
	s_delay_alu instid0(VALU_DEP_4)
	v_pk_add_f32 v[68:69], v[68:69], v[70:71]
	v_pk_fma_f32 v[70:71], v[108:109], v[92:93], v[80:81] op_sel_hi:[1,0,1]
	v_pk_mul_f32 v[76:77], v[138:139], v[76:77] op_sel_hi:[1,0]
	v_mov_b32_e32 v75, v79
	v_pk_fma_f32 v[78:79], v[108:109], v[92:93], v[80:81] neg_lo:[0,0,1] neg_hi:[0,0,1]
	v_pk_add_f32 v[68:69], v[68:69], v[72:73]
	v_mov_b32_e32 v79, v71
	v_pk_fma_f32 v[70:71], v[110:111], v[94:95], v[76:77] op_sel_hi:[1,0,1]
	s_wait_loadcnt 0x1
	v_pk_mul_f32 v[72:73], v[112:113], v[96:97] op_sel:[1,1] op_sel_hi:[0,1]
	v_mov_b32_e32 v70, v99
	v_pk_add_f32 v[68:69], v[68:69], v[74:75]
	v_pk_fma_f32 v[76:77], v[110:111], v[94:95], v[76:77] neg_lo:[0,0,1] neg_hi:[0,0,1]
	v_mov_b32_e32 v77, v71
	v_pk_fma_f32 v[74:75], v[112:113], v[96:97], v[72:73] op_sel_hi:[1,0,1]
	v_pk_mul_f32 v[70:71], v[140:141], v[70:71] op_sel_hi:[1,0]
	v_pk_add_f32 v[68:69], v[68:69], v[78:79]
	v_pk_fma_f32 v[72:73], v[112:113], v[96:97], v[72:73] neg_lo:[0,0,1] neg_hi:[0,0,1]
	s_delay_alu instid0(VALU_DEP_4) | instskip(NEXT) | instid1(VALU_DEP_4)
	v_mov_b32_e32 v73, v75
	v_pk_fma_f32 v[74:75], v[114:115], v[98:99], v[70:71] op_sel_hi:[1,0,1]
	s_delay_alu instid0(VALU_DEP_4) | instskip(SKIP_1) | instid1(VALU_DEP_3)
	v_pk_add_f32 v[68:69], v[68:69], v[76:77]
	v_pk_fma_f32 v[70:71], v[114:115], v[98:99], v[70:71] neg_lo:[0,0,1] neg_hi:[0,0,1]
	v_mov_b32_e32 v71, v75
	s_delay_alu instid0(VALU_DEP_3) | instskip(NEXT) | instid1(VALU_DEP_1)
	v_pk_add_f32 v[68:69], v[68:69], v[72:73]
	v_pk_add_f32 v[68:69], v[68:69], v[70:71]
	s_wait_loadcnt 0x0
	s_delay_alu instid0(VALU_DEP_1)
	v_pk_add_f32 v[68:69], v[132:133], v[68:69] neg_lo:[0,1] neg_hi:[0,1]
	scratch_store_b64 off, v[68:69], off offset:128
	s_wait_xcnt 0x0
	v_cmpx_lt_u32_e32 15, v0
	s_cbranch_execz .LBB32_181
; %bb.180:
	scratch_load_b64 v[68:69], off, off offset:120
	v_mov_b64_e32 v[70:71], 0
	scratch_store_b64 off, v[70:71], off offset:120
	s_wait_loadcnt 0x0
	ds_store_b64 v1, v[68:69]
.LBB32_181:
	s_wait_xcnt 0x0
	s_or_b32 exec_lo, exec_lo, s0
	s_wait_storecnt_dscnt 0x0
	s_barrier_signal -1
	s_barrier_wait -1
	s_clause 0x9
	scratch_load_b128 v[68:71], off, off offset:128
	scratch_load_b128 v[72:75], off, off offset:144
	;; [unrolled: 1-line block ×8, first 2 shown]
	scratch_load_b64 v[132:133], off, off offset:256
	scratch_load_b64 v[134:135], off, off offset:120
	v_mov_b32_e32 v3, 0
	ds_load_b128 v[100:103], v3 offset:464
	ds_load_b128 v[104:107], v3 offset:480
	ds_load_b128 v[108:111], v3 offset:496
	ds_load_b128 v[112:115], v3 offset:512
	ds_load_b128 v[116:119], v3 offset:400
	ds_load_b128 v[120:123], v3 offset:416
	ds_load_b128 v[124:127], v3 offset:432
	ds_load_b128 v[128:131], v3 offset:448
	ds_load_b64 v[136:137], v3 offset:528
	s_mov_b32 s0, exec_lo
	s_wait_dscnt 0x8
	v_dual_mov_b32 v138, v103 :: v_dual_mov_b32 v139, v102
	s_wait_dscnt 0x5
	v_dual_mov_b32 v140, v107 :: v_dual_mov_b32 v145, v114
	v_dual_mov_b32 v141, v106 :: v_dual_mov_b32 v142, v111
	;; [unrolled: 1-line block ×3, first 2 shown]
	s_wait_loadcnt_dscnt 0x904
	v_dual_mul_f32 v7, v116, v69 :: v_dual_mul_f32 v23, v117, v69
	v_dual_mul_f32 v25, v119, v71 :: v_dual_mul_f32 v11, v118, v71
	s_wait_loadcnt_dscnt 0x803
	v_mul_f32_e32 v13, v120, v73
	s_wait_loadcnt_dscnt 0x601
	v_dual_mul_f32 v35, v129, v81 :: v_dual_fma_f32 v23, v116, v68, -v23
	v_dual_fmac_f32 v7, v117, v68 :: v_dual_mul_f32 v37, v131, v83
	v_dual_mul_f32 v27, v121, v73 :: v_dual_mul_f32 v29, v123, v75
	v_dual_fmac_f32 v11, v119, v70 :: v_dual_fma_f32 v25, v118, v70, -v25
	s_wait_loadcnt 0x5
	s_delay_alu instid0(VALU_DEP_3) | instskip(SKIP_2) | instid1(VALU_DEP_3)
	v_dual_add_f32 v7, 0, v7 :: v_dual_mul_f32 v39, v101, v85
	v_dual_add_f32 v23, 0, v23 :: v_dual_fmac_f32 v13, v121, v72
	v_dual_mul_f32 v15, v122, v75 :: v_dual_mul_f32 v17, v124, v77
	v_dual_fma_f32 v27, v120, v72, -v27 :: v_dual_add_f32 v7, v7, v11
	s_delay_alu instid0(VALU_DEP_3) | instskip(SKIP_3) | instid1(VALU_DEP_3)
	v_dual_add_f32 v11, v23, v25 :: v_dual_fma_f32 v23, v122, v74, -v29
	v_dual_mul_f32 v19, v126, v79 :: v_dual_mul_f32 v21, v128, v81
	v_dual_mul_f32 v31, v125, v77 :: v_dual_mul_f32 v33, v127, v79
	v_dual_mov_b32 v68, v87 :: v_dual_fmac_f32 v17, v125, v76
	v_dual_fmac_f32 v15, v123, v74 :: v_dual_fmac_f32 v21, v129, v80
	s_delay_alu instid0(VALU_DEP_3) | instskip(SKIP_1) | instid1(VALU_DEP_4)
	v_dual_add_f32 v7, v7, v13 :: v_dual_fma_f32 v13, v124, v76, -v31
	v_add_f32_e32 v11, v11, v27
	v_pk_mul_f32 v[68:69], v[138:139], v[68:69] op_sel_hi:[1,0]
	v_dual_mul_f32 v147, v130, v83 :: v_dual_mul_f32 v149, v100, v85
	s_delay_alu instid0(VALU_DEP_4) | instskip(NEXT) | instid1(VALU_DEP_4)
	v_dual_add_f32 v7, v7, v15 :: v_dual_fma_f32 v15, v126, v78, -v33
	v_dual_add_f32 v11, v11, v23 :: v_dual_fma_f32 v146, v130, v82, -v37
	s_delay_alu instid0(VALU_DEP_3) | instskip(NEXT) | instid1(VALU_DEP_2)
	v_dual_fmac_f32 v19, v127, v78 :: v_dual_fmac_f32 v149, v101, v84
	v_dual_fma_f32 v148, v100, v84, -v39 :: v_dual_add_f32 v11, v11, v13
	s_delay_alu instid0(VALU_DEP_4)
	v_dual_fma_f32 v13, v128, v80, -v35 :: v_dual_add_f32 v7, v7, v17
	v_pk_fma_f32 v[80:81], v[102:103], v[86:87], v[68:69] op_sel_hi:[1,0,1]
	v_pk_fma_f32 v[68:69], v[102:103], v[86:87], v[68:69] neg_lo:[0,0,1] neg_hi:[0,0,1]
	v_fmac_f32_e32 v147, v131, v82
	s_wait_loadcnt 0x4
	v_pk_mul_f32 v[70:71], v[104:105], v[88:89] op_sel:[1,1] op_sel_hi:[0,1]
	v_dual_add_f32 v7, v7, v19 :: v_dual_mov_b32 v69, v81
	v_add_f32_e32 v11, v11, v15
	s_wait_loadcnt 0x3
	v_dual_mov_b32 v72, v91 :: v_dual_mov_b32 v78, v95
	s_delay_alu instid0(VALU_DEP_3) | instskip(SKIP_2) | instid1(VALU_DEP_4)
	v_add_f32_e32 v77, v7, v21
	v_pk_fma_f32 v[82:83], v[104:105], v[88:89], v[70:71] op_sel_hi:[1,0,1]
	v_add_f32_e32 v76, v11, v13
	v_pk_mul_f32 v[72:73], v[140:141], v[72:73] op_sel_hi:[1,0]
	v_pk_fma_f32 v[70:71], v[104:105], v[88:89], v[70:71] neg_lo:[0,0,1] neg_hi:[0,0,1]
	v_pk_mul_f32 v[74:75], v[108:109], v[92:93] op_sel:[1,1] op_sel_hi:[0,1]
	v_mov_b32_e32 v71, v83
	v_pk_add_f32 v[76:77], v[76:77], v[146:147]
	v_pk_fma_f32 v[82:83], v[106:107], v[90:91], v[72:73] op_sel_hi:[1,0,1]
	v_pk_fma_f32 v[72:73], v[106:107], v[90:91], v[72:73] neg_lo:[0,0,1] neg_hi:[0,0,1]
	v_pk_mul_f32 v[78:79], v[142:143], v[78:79] op_sel_hi:[1,0]
	s_wait_loadcnt 0x2
	v_pk_mul_f32 v[80:81], v[112:113], v[96:97] op_sel:[1,1] op_sel_hi:[0,1]
	v_pk_add_f32 v[76:77], v[76:77], v[148:149]
	v_mov_b32_e32 v73, v83
	s_delay_alu instid0(VALU_DEP_2) | instskip(SKIP_2) | instid1(VALU_DEP_3)
	v_pk_add_f32 v[68:69], v[76:77], v[68:69]
	v_pk_fma_f32 v[76:77], v[108:109], v[92:93], v[74:75] op_sel_hi:[1,0,1]
	v_pk_fma_f32 v[74:75], v[108:109], v[92:93], v[74:75] neg_lo:[0,0,1] neg_hi:[0,0,1]
	v_pk_add_f32 v[68:69], v[68:69], v[70:71]
	s_delay_alu instid0(VALU_DEP_3) | instskip(SKIP_2) | instid1(VALU_DEP_4)
	v_dual_mov_b32 v70, v99 :: v_dual_mov_b32 v75, v77
	v_pk_fma_f32 v[76:77], v[110:111], v[94:95], v[78:79] op_sel_hi:[1,0,1]
	v_pk_fma_f32 v[78:79], v[110:111], v[94:95], v[78:79] neg_lo:[0,0,1] neg_hi:[0,0,1]
	v_pk_add_f32 v[68:69], v[68:69], v[72:73]
	v_pk_fma_f32 v[72:73], v[112:113], v[96:97], v[80:81] op_sel_hi:[1,0,1]
	v_pk_mul_f32 v[70:71], v[144:145], v[70:71] op_sel_hi:[1,0]
	v_mov_b32_e32 v79, v77
	s_wait_loadcnt_dscnt 0x100
	v_pk_mul_f32 v[76:77], v[136:137], v[132:133] op_sel:[1,1] op_sel_hi:[0,1]
	v_pk_add_f32 v[68:69], v[68:69], v[74:75]
	v_pk_fma_f32 v[74:75], v[112:113], v[96:97], v[80:81] neg_lo:[0,0,1] neg_hi:[0,0,1]
	v_mov_b32_e32 v75, v73
	v_pk_fma_f32 v[72:73], v[114:115], v[98:99], v[70:71] op_sel_hi:[1,0,1]
	v_pk_fma_f32 v[70:71], v[114:115], v[98:99], v[70:71] neg_lo:[0,0,1] neg_hi:[0,0,1]
	v_pk_add_f32 v[68:69], v[68:69], v[78:79]
	s_delay_alu instid0(VALU_DEP_3) | instskip(SKIP_1) | instid1(VALU_DEP_3)
	v_mov_b32_e32 v71, v73
	v_pk_fma_f32 v[72:73], v[136:137], v[132:133], v[76:77] op_sel_hi:[1,0,1]
	v_pk_add_f32 v[68:69], v[68:69], v[74:75]
	v_pk_fma_f32 v[74:75], v[136:137], v[132:133], v[76:77] neg_lo:[0,0,1] neg_hi:[0,0,1]
	s_delay_alu instid0(VALU_DEP_3) | instskip(NEXT) | instid1(VALU_DEP_3)
	v_mov_b32_e32 v75, v73
	v_pk_add_f32 v[68:69], v[68:69], v[70:71]
	s_delay_alu instid0(VALU_DEP_1) | instskip(SKIP_1) | instid1(VALU_DEP_1)
	v_pk_add_f32 v[68:69], v[68:69], v[74:75]
	s_wait_loadcnt 0x0
	v_pk_add_f32 v[68:69], v[134:135], v[68:69] neg_lo:[0,1] neg_hi:[0,1]
	scratch_store_b64 off, v[68:69], off offset:120
	s_wait_xcnt 0x0
	v_cmpx_lt_u32_e32 14, v0
	s_cbranch_execz .LBB32_183
; %bb.182:
	scratch_load_b64 v[68:69], off, off offset:112
	v_mov_b64_e32 v[70:71], 0
	scratch_store_b64 off, v[70:71], off offset:112
	s_wait_loadcnt 0x0
	ds_store_b64 v1, v[68:69]
.LBB32_183:
	s_wait_xcnt 0x0
	s_or_b32 exec_lo, exec_lo, s0
	s_wait_storecnt_dscnt 0x0
	s_barrier_signal -1
	s_barrier_wait -1
	s_clause 0x9
	scratch_load_b128 v[68:71], off, off offset:120
	scratch_load_b128 v[72:75], off, off offset:136
	;; [unrolled: 1-line block ×9, first 2 shown]
	scratch_load_b64 v[140:141], off, off offset:112
	ds_load_2addr_b64 v[104:107], v3 offset0:59 offset1:60
	ds_load_2addr_b64 v[108:111], v3 offset0:61 offset1:62
	;; [unrolled: 1-line block ×9, first 2 shown]
	s_mov_b32 s0, exec_lo
	s_wait_dscnt 0x8
	v_dual_mov_b32 v142, v107 :: v_dual_mov_b32 v143, v106
	s_wait_dscnt 0x7
	v_dual_mov_b32 v144, v111 :: v_dual_mov_b32 v145, v110
	;; [unrolled: 2-line block ×4, first 2 shown]
	s_wait_loadcnt_dscnt 0x904
	v_dual_mul_f32 v3, v120, v69 :: v_dual_mul_f32 v7, v122, v71
	v_dual_mul_f32 v23, v121, v69 :: v_dual_mul_f32 v25, v123, v71
	s_wait_loadcnt_dscnt 0x803
	v_dual_mul_f32 v11, v124, v73 :: v_dual_mul_f32 v13, v126, v75
	s_delay_alu instid0(VALU_DEP_3)
	v_fmac_f32_e32 v3, v121, v68
	s_wait_loadcnt_dscnt 0x601
	v_dual_fma_f32 v23, v120, v68, -v23 :: v_dual_mul_f32 v35, v133, v81
	v_dual_mul_f32 v27, v125, v73 :: v_dual_mul_f32 v29, v127, v75
	v_dual_fma_f32 v25, v122, v70, -v25 :: v_dual_fmac_f32 v7, v123, v70
	v_add_f32_e32 v3, 0, v3
	s_delay_alu instid0(VALU_DEP_4) | instskip(NEXT) | instid1(VALU_DEP_4)
	v_dual_add_f32 v23, 0, v23 :: v_dual_fmac_f32 v11, v125, v72
	v_dual_mul_f32 v37, v135, v83 :: v_dual_fma_f32 v27, v124, v72, -v27
	s_delay_alu instid0(VALU_DEP_3) | instskip(NEXT) | instid1(VALU_DEP_3)
	v_add_f32_e32 v3, v3, v7
	v_dual_add_f32 v7, v23, v25 :: v_dual_fma_f32 v25, v126, v74, -v29
	v_dual_mul_f32 v15, v128, v77 :: v_dual_mul_f32 v17, v130, v79
	v_dual_mul_f32 v31, v129, v77 :: v_dual_mul_f32 v33, v131, v79
	s_wait_loadcnt_dscnt 0x500
	v_dual_mul_f32 v23, v137, v85 :: v_dual_fmac_f32 v13, v127, v74
	s_delay_alu instid0(VALU_DEP_3) | instskip(SKIP_2) | instid1(VALU_DEP_3)
	v_dual_fmac_f32 v15, v129, v76 :: v_dual_add_f32 v3, v3, v11
	v_dual_add_f32 v7, v7, v27 :: v_dual_mul_f32 v19, v132, v81
	v_dual_mul_f32 v21, v134, v83 :: v_dual_fma_f32 v27, v128, v76, -v31
	v_dual_add_f32 v3, v3, v13 :: v_dual_fma_f32 v13, v130, v78, -v33
	s_delay_alu instid0(VALU_DEP_3) | instskip(SKIP_2) | instid1(VALU_DEP_2)
	v_add_f32_e32 v7, v7, v25
	v_dual_mul_f32 v151, v136, v85 :: v_dual_mul_f32 v153, v138, v87
	v_dual_mul_f32 v11, v139, v87 :: v_dual_fmac_f32 v19, v133, v80
	v_dual_fmac_f32 v17, v131, v78 :: v_dual_fmac_f32 v151, v137, v84
	v_dual_add_f32 v3, v3, v15 :: v_dual_fma_f32 v150, v136, v84, -v23
	s_delay_alu instid0(VALU_DEP_3) | instskip(NEXT) | instid1(VALU_DEP_2)
	v_dual_add_f32 v7, v7, v27 :: v_dual_fma_f32 v152, v138, v86, -v11
	v_dual_fma_f32 v15, v132, v80, -v35 :: v_dual_add_f32 v3, v3, v17
	v_fmac_f32_e32 v21, v135, v82
	s_delay_alu instid0(VALU_DEP_3)
	v_dual_add_f32 v7, v7, v13 :: v_dual_fma_f32 v13, v134, v82, -v37
	s_wait_loadcnt 0x4
	v_pk_mul_f32 v[68:69], v[104:105], v[88:89] op_sel:[1,1] op_sel_hi:[0,1]
	v_add_f32_e32 v3, v3, v19
	s_wait_loadcnt 0x3
	v_dual_mov_b32 v70, v91 :: v_dual_mov_b32 v74, v95
	v_add_f32_e32 v7, v7, v15
	v_fmac_f32_e32 v153, v139, v86
	v_add_f32_e32 v77, v3, v21
	v_pk_fma_f32 v[78:79], v[104:105], v[88:89], v[68:69] op_sel_hi:[1,0,1]
	v_pk_mul_f32 v[70:71], v[142:143], v[70:71] op_sel_hi:[1,0]
	v_add_f32_e32 v76, v7, v13
	v_pk_fma_f32 v[68:69], v[104:105], v[88:89], v[68:69] neg_lo:[0,0,1] neg_hi:[0,0,1]
	v_pk_mul_f32 v[72:73], v[108:109], v[92:93] op_sel:[1,1] op_sel_hi:[0,1]
	v_mov_b32_e32 v69, v79
	v_pk_fma_f32 v[78:79], v[106:107], v[90:91], v[70:71] op_sel_hi:[1,0,1]
	v_pk_add_f32 v[76:77], v[76:77], v[150:151]
	v_pk_fma_f32 v[70:71], v[106:107], v[90:91], v[70:71] neg_lo:[0,0,1] neg_hi:[0,0,1]
	v_pk_fma_f32 v[82:83], v[108:109], v[92:93], v[72:73] op_sel_hi:[1,0,1]
	v_pk_mul_f32 v[74:75], v[144:145], v[74:75] op_sel_hi:[1,0]
	v_mov_b32_e32 v71, v79
	v_pk_add_f32 v[76:77], v[76:77], v[152:153]
	s_wait_loadcnt 0x2
	v_pk_mul_f32 v[80:81], v[112:113], v[96:97] op_sel:[1,1] op_sel_hi:[0,1]
	v_pk_fma_f32 v[72:73], v[108:109], v[92:93], v[72:73] neg_lo:[0,0,1] neg_hi:[0,0,1]
	v_mov_b32_e32 v73, v83
	v_pk_fma_f32 v[78:79], v[110:111], v[94:95], v[74:75] op_sel_hi:[1,0,1]
	v_pk_add_f32 v[68:69], v[76:77], v[68:69]
	v_mov_b32_e32 v76, v99
	v_pk_fma_f32 v[74:75], v[110:111], v[94:95], v[74:75] neg_lo:[0,0,1] neg_hi:[0,0,1]
	s_delay_alu instid0(VALU_DEP_3) | instskip(SKIP_1) | instid1(VALU_DEP_4)
	v_pk_add_f32 v[68:69], v[68:69], v[70:71]
	v_pk_fma_f32 v[70:71], v[112:113], v[96:97], v[80:81] op_sel_hi:[1,0,1]
	v_pk_mul_f32 v[76:77], v[146:147], v[76:77] op_sel_hi:[1,0]
	v_mov_b32_e32 v75, v79
	v_pk_fma_f32 v[78:79], v[112:113], v[96:97], v[80:81] neg_lo:[0,0,1] neg_hi:[0,0,1]
	v_pk_add_f32 v[68:69], v[68:69], v[72:73]
	v_mov_b32_e32 v79, v71
	v_pk_fma_f32 v[70:71], v[114:115], v[98:99], v[76:77] op_sel_hi:[1,0,1]
	s_wait_loadcnt 0x1
	v_pk_mul_f32 v[72:73], v[116:117], v[100:101] op_sel:[1,1] op_sel_hi:[0,1]
	v_mov_b32_e32 v70, v103
	v_pk_add_f32 v[68:69], v[68:69], v[74:75]
	v_pk_fma_f32 v[76:77], v[114:115], v[98:99], v[76:77] neg_lo:[0,0,1] neg_hi:[0,0,1]
	v_mov_b32_e32 v77, v71
	v_pk_fma_f32 v[74:75], v[116:117], v[100:101], v[72:73] op_sel_hi:[1,0,1]
	v_pk_mul_f32 v[70:71], v[148:149], v[70:71] op_sel_hi:[1,0]
	v_pk_add_f32 v[68:69], v[68:69], v[78:79]
	v_pk_fma_f32 v[72:73], v[116:117], v[100:101], v[72:73] neg_lo:[0,0,1] neg_hi:[0,0,1]
	s_delay_alu instid0(VALU_DEP_4) | instskip(NEXT) | instid1(VALU_DEP_4)
	v_mov_b32_e32 v73, v75
	v_pk_fma_f32 v[74:75], v[118:119], v[102:103], v[70:71] op_sel_hi:[1,0,1]
	s_delay_alu instid0(VALU_DEP_4) | instskip(SKIP_1) | instid1(VALU_DEP_3)
	v_pk_add_f32 v[68:69], v[68:69], v[76:77]
	v_pk_fma_f32 v[70:71], v[118:119], v[102:103], v[70:71] neg_lo:[0,0,1] neg_hi:[0,0,1]
	v_mov_b32_e32 v71, v75
	s_delay_alu instid0(VALU_DEP_3) | instskip(NEXT) | instid1(VALU_DEP_1)
	v_pk_add_f32 v[68:69], v[68:69], v[72:73]
	v_pk_add_f32 v[68:69], v[68:69], v[70:71]
	s_wait_loadcnt 0x0
	s_delay_alu instid0(VALU_DEP_1)
	v_pk_add_f32 v[68:69], v[140:141], v[68:69] neg_lo:[0,1] neg_hi:[0,1]
	scratch_store_b64 off, v[68:69], off offset:112
	s_wait_xcnt 0x0
	v_cmpx_lt_u32_e32 13, v0
	s_cbranch_execz .LBB32_185
; %bb.184:
	scratch_load_b64 v[68:69], off, off offset:104
	v_mov_b64_e32 v[70:71], 0
	scratch_store_b64 off, v[70:71], off offset:104
	s_wait_loadcnt 0x0
	ds_store_b64 v1, v[68:69]
.LBB32_185:
	s_wait_xcnt 0x0
	s_or_b32 exec_lo, exec_lo, s0
	s_wait_storecnt_dscnt 0x0
	s_barrier_signal -1
	s_barrier_wait -1
	s_clause 0xa
	scratch_load_b128 v[68:71], off, off offset:112
	scratch_load_b128 v[72:75], off, off offset:128
	;; [unrolled: 1-line block ×9, first 2 shown]
	scratch_load_b64 v[140:141], off, off offset:256
	scratch_load_b64 v[142:143], off, off offset:104
	v_mov_b32_e32 v3, 0
	ds_load_b128 v[104:107], v3 offset:464
	ds_load_b128 v[108:111], v3 offset:480
	;; [unrolled: 1-line block ×9, first 2 shown]
	ds_load_b64 v[144:145], v3 offset:528
	s_mov_b32 s0, exec_lo
	s_wait_dscnt 0x9
	v_dual_mov_b32 v146, v107 :: v_dual_mov_b32 v147, v106
	s_wait_dscnt 0x6
	v_dual_mov_b32 v148, v111 :: v_dual_mov_b32 v153, v118
	v_dual_mov_b32 v149, v110 :: v_dual_mov_b32 v150, v115
	;; [unrolled: 1-line block ×3, first 2 shown]
	s_wait_loadcnt_dscnt 0xa05
	v_dual_mul_f32 v7, v120, v69 :: v_dual_mul_f32 v27, v121, v69
	v_dual_mul_f32 v29, v123, v71 :: v_dual_mul_f32 v11, v122, v71
	s_wait_loadcnt_dscnt 0x904
	v_mul_f32_e32 v13, v124, v73
	s_wait_loadcnt_dscnt 0x702
	v_dual_mul_f32 v39, v133, v81 :: v_dual_fma_f32 v27, v120, v68, -v27
	v_dual_fmac_f32 v7, v121, v68 :: v_dual_mul_f32 v41, v135, v83
	v_dual_mul_f32 v31, v125, v73 :: v_dual_mul_f32 v33, v127, v75
	v_dual_fmac_f32 v11, v123, v70 :: v_dual_fma_f32 v29, v122, v70, -v29
	s_wait_loadcnt_dscnt 0x601
	s_delay_alu instid0(VALU_DEP_3) | instskip(SKIP_2) | instid1(VALU_DEP_3)
	v_dual_add_f32 v7, 0, v7 :: v_dual_mul_f32 v43, v137, v85
	v_dual_add_f32 v27, 0, v27 :: v_dual_fmac_f32 v13, v125, v72
	v_dual_mul_f32 v15, v126, v75 :: v_dual_mul_f32 v17, v128, v77
	v_dual_fma_f32 v31, v124, v72, -v31 :: v_dual_add_f32 v7, v7, v11
	s_delay_alu instid0(VALU_DEP_3) | instskip(SKIP_1) | instid1(VALU_DEP_4)
	v_dual_add_f32 v11, v27, v29 :: v_dual_fma_f32 v29, v126, v74, -v33
	v_dual_mul_f32 v35, v129, v77 :: v_dual_mul_f32 v37, v131, v79
	v_dual_fmac_f32 v15, v127, v74 :: v_dual_fmac_f32 v17, v129, v76
	s_delay_alu instid0(VALU_DEP_4) | instskip(NEXT) | instid1(VALU_DEP_4)
	v_add_f32_e32 v7, v7, v13
	v_add_f32_e32 v11, v11, v31
	v_dual_mul_f32 v19, v130, v79 :: v_dual_mul_f32 v21, v132, v81
	s_delay_alu instid0(VALU_DEP_3) | instskip(NEXT) | instid1(VALU_DEP_3)
	v_dual_fma_f32 v31, v128, v76, -v35 :: v_dual_add_f32 v7, v7, v15
	v_dual_fma_f32 v15, v130, v78, -v37 :: v_dual_add_f32 v11, v11, v29
	v_dual_mul_f32 v23, v134, v83 :: v_dual_mul_f32 v25, v136, v85
	s_wait_loadcnt 0x4
	v_dual_mov_b32 v68, v91 :: v_dual_mov_b32 v72, v95
	v_dual_fmac_f32 v19, v131, v78 :: v_dual_fmac_f32 v21, v133, v80
	v_dual_add_f32 v7, v7, v17 :: v_dual_fma_f32 v17, v132, v80, -v39
	v_add_f32_e32 v11, v11, v31
	v_dual_mul_f32 v155, v138, v87 :: v_dual_mul_f32 v157, v104, v89
	v_dual_mul_f32 v27, v139, v87 :: v_dual_mul_f32 v13, v105, v89
	s_delay_alu instid0(VALU_DEP_3) | instskip(SKIP_1) | instid1(VALU_DEP_3)
	v_dual_add_f32 v11, v11, v15 :: v_dual_fma_f32 v15, v134, v82, -v41
	v_dual_fmac_f32 v25, v137, v84 :: v_dual_add_f32 v7, v7, v19
	v_fma_f32 v154, v138, v86, -v27
	v_pk_mul_f32 v[68:69], v[146:147], v[68:69] op_sel_hi:[1,0]
	v_dual_fmac_f32 v23, v135, v82 :: v_dual_fma_f32 v156, v104, v88, -v13
	v_dual_fmac_f32 v157, v105, v88 :: v_dual_add_f32 v11, v11, v17
	s_delay_alu instid0(VALU_DEP_3) | instskip(SKIP_2) | instid1(VALU_DEP_4)
	v_pk_fma_f32 v[80:81], v[106:107], v[90:91], v[68:69] op_sel_hi:[1,0,1]
	v_add_f32_e32 v7, v7, v21
	v_pk_fma_f32 v[68:69], v[106:107], v[90:91], v[68:69] neg_lo:[0,0,1] neg_hi:[0,0,1]
	v_dual_fma_f32 v17, v136, v84, -v43 :: v_dual_add_f32 v11, v11, v15
	s_delay_alu instid0(VALU_DEP_3) | instskip(SKIP_2) | instid1(VALU_DEP_4)
	v_dual_mov_b32 v69, v81 :: v_dual_add_f32 v7, v7, v23
	v_fmac_f32_e32 v155, v139, v86
	v_pk_mul_f32 v[70:71], v[108:109], v[92:93] op_sel:[1,1] op_sel_hi:[0,1]
	v_add_f32_e32 v76, v11, v17
	v_pk_mul_f32 v[72:73], v[148:149], v[72:73] op_sel_hi:[1,0]
	v_add_f32_e32 v77, v7, v25
	s_wait_loadcnt 0x3
	v_pk_mul_f32 v[74:75], v[112:113], v[96:97] op_sel:[1,1] op_sel_hi:[0,1]
	v_pk_fma_f32 v[82:83], v[108:109], v[92:93], v[70:71] op_sel_hi:[1,0,1]
	v_pk_fma_f32 v[70:71], v[108:109], v[92:93], v[70:71] neg_lo:[0,0,1] neg_hi:[0,0,1]
	v_mov_b32_e32 v78, v99
	v_pk_add_f32 v[76:77], v[76:77], v[154:155]
	s_wait_loadcnt 0x2
	v_pk_mul_f32 v[80:81], v[116:117], v[100:101] op_sel:[1,1] op_sel_hi:[0,1]
	v_mov_b32_e32 v71, v83
	v_pk_fma_f32 v[82:83], v[110:111], v[94:95], v[72:73] op_sel_hi:[1,0,1]
	v_pk_fma_f32 v[72:73], v[110:111], v[94:95], v[72:73] neg_lo:[0,0,1] neg_hi:[0,0,1]
	v_pk_add_f32 v[76:77], v[76:77], v[156:157]
	v_pk_mul_f32 v[78:79], v[150:151], v[78:79] op_sel_hi:[1,0]
	s_delay_alu instid0(VALU_DEP_4) | instskip(NEXT) | instid1(VALU_DEP_3)
	v_mov_b32_e32 v73, v83
	v_pk_add_f32 v[68:69], v[76:77], v[68:69]
	v_pk_fma_f32 v[76:77], v[112:113], v[96:97], v[74:75] op_sel_hi:[1,0,1]
	v_pk_fma_f32 v[74:75], v[112:113], v[96:97], v[74:75] neg_lo:[0,0,1] neg_hi:[0,0,1]
	s_delay_alu instid0(VALU_DEP_3) | instskip(NEXT) | instid1(VALU_DEP_3)
	v_pk_add_f32 v[68:69], v[68:69], v[70:71]
	v_dual_mov_b32 v70, v103 :: v_dual_mov_b32 v75, v77
	v_pk_fma_f32 v[76:77], v[114:115], v[98:99], v[78:79] op_sel_hi:[1,0,1]
	v_pk_fma_f32 v[78:79], v[114:115], v[98:99], v[78:79] neg_lo:[0,0,1] neg_hi:[0,0,1]
	s_delay_alu instid0(VALU_DEP_4)
	v_pk_add_f32 v[68:69], v[68:69], v[72:73]
	v_pk_fma_f32 v[72:73], v[116:117], v[100:101], v[80:81] op_sel_hi:[1,0,1]
	v_pk_mul_f32 v[70:71], v[152:153], v[70:71] op_sel_hi:[1,0]
	v_mov_b32_e32 v79, v77
	s_wait_loadcnt_dscnt 0x100
	v_pk_mul_f32 v[76:77], v[144:145], v[140:141] op_sel:[1,1] op_sel_hi:[0,1]
	v_pk_add_f32 v[68:69], v[68:69], v[74:75]
	v_pk_fma_f32 v[74:75], v[116:117], v[100:101], v[80:81] neg_lo:[0,0,1] neg_hi:[0,0,1]
	v_mov_b32_e32 v75, v73
	v_pk_fma_f32 v[72:73], v[118:119], v[102:103], v[70:71] op_sel_hi:[1,0,1]
	v_pk_fma_f32 v[70:71], v[118:119], v[102:103], v[70:71] neg_lo:[0,0,1] neg_hi:[0,0,1]
	v_pk_add_f32 v[68:69], v[68:69], v[78:79]
	s_delay_alu instid0(VALU_DEP_3) | instskip(SKIP_1) | instid1(VALU_DEP_3)
	v_mov_b32_e32 v71, v73
	v_pk_fma_f32 v[72:73], v[144:145], v[140:141], v[76:77] op_sel_hi:[1,0,1]
	v_pk_add_f32 v[68:69], v[68:69], v[74:75]
	v_pk_fma_f32 v[74:75], v[144:145], v[140:141], v[76:77] neg_lo:[0,0,1] neg_hi:[0,0,1]
	s_delay_alu instid0(VALU_DEP_3) | instskip(NEXT) | instid1(VALU_DEP_3)
	v_mov_b32_e32 v75, v73
	v_pk_add_f32 v[68:69], v[68:69], v[70:71]
	s_delay_alu instid0(VALU_DEP_1) | instskip(SKIP_1) | instid1(VALU_DEP_1)
	v_pk_add_f32 v[68:69], v[68:69], v[74:75]
	s_wait_loadcnt 0x0
	v_pk_add_f32 v[68:69], v[142:143], v[68:69] neg_lo:[0,1] neg_hi:[0,1]
	scratch_store_b64 off, v[68:69], off offset:104
	s_wait_xcnt 0x0
	v_cmpx_lt_u32_e32 12, v0
	s_cbranch_execz .LBB32_187
; %bb.186:
	scratch_load_b64 v[68:69], off, off offset:96
	v_mov_b64_e32 v[70:71], 0
	scratch_store_b64 off, v[70:71], off offset:96
	s_wait_loadcnt 0x0
	ds_store_b64 v1, v[68:69]
.LBB32_187:
	s_wait_xcnt 0x0
	s_or_b32 exec_lo, exec_lo, s0
	s_wait_storecnt_dscnt 0x0
	s_barrier_signal -1
	s_barrier_wait -1
	s_clause 0xa
	scratch_load_b128 v[68:71], off, off offset:104
	scratch_load_b128 v[72:75], off, off offset:120
	;; [unrolled: 1-line block ×10, first 2 shown]
	scratch_load_b64 v[148:149], off, off offset:96
	ds_load_2addr_b64 v[108:111], v3 offset0:59 offset1:60
	ds_load_2addr_b64 v[112:115], v3 offset0:61 offset1:62
	;; [unrolled: 1-line block ×10, first 2 shown]
	s_mov_b32 s0, exec_lo
	s_wait_dscnt 0x9
	v_dual_mov_b32 v150, v111 :: v_dual_mov_b32 v151, v110
	s_wait_dscnt 0x8
	v_dual_mov_b32 v152, v115 :: v_dual_mov_b32 v153, v114
	;; [unrolled: 2-line block ×4, first 2 shown]
	s_wait_loadcnt_dscnt 0xa05
	v_dual_mul_f32 v3, v124, v69 :: v_dual_mul_f32 v7, v126, v71
	v_dual_mul_f32 v27, v125, v69 :: v_dual_mul_f32 v29, v127, v71
	s_wait_loadcnt_dscnt 0x904
	v_dual_mul_f32 v11, v128, v73 :: v_dual_mul_f32 v13, v130, v75
	s_delay_alu instid0(VALU_DEP_3) | instskip(SKIP_3) | instid1(VALU_DEP_3)
	v_fmac_f32_e32 v3, v125, v68
	s_wait_loadcnt_dscnt 0x702
	v_dual_fma_f32 v27, v124, v68, -v27 :: v_dual_mul_f32 v39, v137, v81
	v_dual_fma_f32 v29, v126, v70, -v29 :: v_dual_fmac_f32 v7, v127, v70
	v_dual_add_f32 v3, 0, v3 :: v_dual_mul_f32 v31, v129, v73
	v_mul_f32_e32 v33, v131, v75
	s_delay_alu instid0(VALU_DEP_4) | instskip(NEXT) | instid1(VALU_DEP_3)
	v_dual_add_f32 v27, 0, v27 :: v_dual_fmac_f32 v11, v129, v72
	v_dual_add_f32 v3, v3, v7 :: v_dual_mul_f32 v15, v132, v77
	v_dual_mul_f32 v17, v134, v79 :: v_dual_mul_f32 v35, v133, v77
	v_mul_f32_e32 v37, v135, v79
	v_dual_mul_f32 v41, v139, v83 :: v_dual_fma_f32 v31, v128, v72, -v31
	v_dual_add_f32 v7, v27, v29 :: v_dual_fma_f32 v29, v130, v74, -v33
	s_wait_loadcnt_dscnt 0x601
	v_dual_mul_f32 v27, v141, v85 :: v_dual_fmac_f32 v13, v131, v74
	v_dual_fmac_f32 v15, v133, v76 :: v_dual_add_f32 v3, v3, v11
	v_dual_mul_f32 v19, v136, v81 :: v_dual_mul_f32 v21, v138, v83
	v_dual_add_f32 v7, v7, v31 :: v_dual_fma_f32 v31, v132, v76, -v35
	s_delay_alu instid0(VALU_DEP_2) | instskip(SKIP_4) | instid1(VALU_DEP_3)
	v_dual_add_f32 v3, v3, v13 :: v_dual_fmac_f32 v19, v137, v80
	v_dual_mul_f32 v23, v140, v85 :: v_dual_mul_f32 v25, v142, v87
	s_wait_loadcnt_dscnt 0x500
	v_mul_f32_e32 v13, v145, v89
	v_add_f32_e32 v7, v7, v29
	v_dual_fmac_f32 v17, v135, v78 :: v_dual_fmac_f32 v23, v141, v84
	v_dual_add_f32 v3, v3, v15 :: v_dual_mul_f32 v159, v144, v89
	v_mul_f32_e32 v161, v146, v91
	v_dual_mul_f32 v11, v143, v87 :: v_dual_fma_f32 v29, v134, v78, -v37
	v_add_f32_e32 v7, v7, v31
	s_delay_alu instid0(VALU_DEP_4) | instskip(NEXT) | instid1(VALU_DEP_3)
	v_dual_add_f32 v3, v3, v17 :: v_dual_fmac_f32 v159, v145, v88
	v_dual_mul_f32 v15, v147, v91 :: v_dual_fma_f32 v11, v142, v86, -v11
	s_delay_alu instid0(VALU_DEP_2) | instskip(NEXT) | instid1(VALU_DEP_4)
	v_dual_fma_f32 v31, v136, v80, -v39 :: v_dual_add_f32 v3, v3, v19
	v_dual_fma_f32 v19, v140, v84, -v27 :: v_dual_add_f32 v7, v7, v29
	v_fma_f32 v158, v144, v88, -v13
	v_fmac_f32_e32 v21, v139, v82
	v_fma_f32 v17, v138, v82, -v41
	s_delay_alu instid0(VALU_DEP_4) | instskip(SKIP_1) | instid1(VALU_DEP_4)
	v_dual_fma_f32 v160, v146, v90, -v15 :: v_dual_add_f32 v7, v7, v31
	v_fmac_f32_e32 v25, v143, v86
	v_add_f32_e32 v3, v3, v21
	s_wait_loadcnt 0x4
	v_pk_mul_f32 v[68:69], v[108:109], v[92:93] op_sel:[1,1] op_sel_hi:[0,1]
	s_wait_loadcnt 0x3
	v_dual_mov_b32 v70, v95 :: v_dual_mov_b32 v74, v99
	v_add_f32_e32 v7, v7, v17
	v_add_f32_e32 v3, v3, v23
	v_fmac_f32_e32 v161, v147, v90
	v_pk_fma_f32 v[78:79], v[108:109], v[92:93], v[68:69] op_sel_hi:[1,0,1]
	v_pk_mul_f32 v[70:71], v[150:151], v[70:71] op_sel_hi:[1,0]
	v_add_f32_e32 v7, v7, v19
	v_add_f32_e32 v77, v3, v25
	v_pk_fma_f32 v[68:69], v[108:109], v[92:93], v[68:69] neg_lo:[0,0,1] neg_hi:[0,0,1]
	v_pk_mul_f32 v[72:73], v[112:113], v[96:97] op_sel:[1,1] op_sel_hi:[0,1]
	v_mov_b32_e32 v69, v79
	v_add_f32_e32 v76, v7, v11
	v_pk_fma_f32 v[78:79], v[110:111], v[94:95], v[70:71] op_sel_hi:[1,0,1]
	v_pk_fma_f32 v[70:71], v[110:111], v[94:95], v[70:71] neg_lo:[0,0,1] neg_hi:[0,0,1]
	v_pk_fma_f32 v[82:83], v[112:113], v[96:97], v[72:73] op_sel_hi:[1,0,1]
	v_pk_mul_f32 v[74:75], v[152:153], v[74:75] op_sel_hi:[1,0]
	v_pk_add_f32 v[76:77], v[76:77], v[158:159]
	v_mov_b32_e32 v71, v79
	s_wait_loadcnt 0x2
	v_pk_mul_f32 v[80:81], v[116:117], v[100:101] op_sel:[1,1] op_sel_hi:[0,1]
	v_pk_fma_f32 v[72:73], v[112:113], v[96:97], v[72:73] neg_lo:[0,0,1] neg_hi:[0,0,1]
	v_mov_b32_e32 v73, v83
	v_pk_add_f32 v[76:77], v[76:77], v[160:161]
	v_pk_fma_f32 v[78:79], v[114:115], v[98:99], v[74:75] op_sel_hi:[1,0,1]
	v_pk_fma_f32 v[74:75], v[114:115], v[98:99], v[74:75] neg_lo:[0,0,1] neg_hi:[0,0,1]
	s_delay_alu instid0(VALU_DEP_3) | instskip(SKIP_1) | instid1(VALU_DEP_2)
	v_pk_add_f32 v[68:69], v[76:77], v[68:69]
	v_mov_b32_e32 v76, v103
	v_pk_add_f32 v[68:69], v[68:69], v[70:71]
	v_pk_fma_f32 v[70:71], v[116:117], v[100:101], v[80:81] op_sel_hi:[1,0,1]
	s_delay_alu instid0(VALU_DEP_3)
	v_pk_mul_f32 v[76:77], v[154:155], v[76:77] op_sel_hi:[1,0]
	v_mov_b32_e32 v75, v79
	v_pk_fma_f32 v[78:79], v[116:117], v[100:101], v[80:81] neg_lo:[0,0,1] neg_hi:[0,0,1]
	v_pk_add_f32 v[68:69], v[68:69], v[72:73]
	v_mov_b32_e32 v79, v71
	v_pk_fma_f32 v[70:71], v[118:119], v[102:103], v[76:77] op_sel_hi:[1,0,1]
	s_wait_loadcnt 0x1
	v_pk_mul_f32 v[72:73], v[120:121], v[104:105] op_sel:[1,1] op_sel_hi:[0,1]
	v_mov_b32_e32 v70, v107
	v_pk_add_f32 v[68:69], v[68:69], v[74:75]
	v_pk_fma_f32 v[76:77], v[118:119], v[102:103], v[76:77] neg_lo:[0,0,1] neg_hi:[0,0,1]
	v_mov_b32_e32 v77, v71
	v_pk_fma_f32 v[74:75], v[120:121], v[104:105], v[72:73] op_sel_hi:[1,0,1]
	v_pk_mul_f32 v[70:71], v[156:157], v[70:71] op_sel_hi:[1,0]
	v_pk_add_f32 v[68:69], v[68:69], v[78:79]
	v_pk_fma_f32 v[72:73], v[120:121], v[104:105], v[72:73] neg_lo:[0,0,1] neg_hi:[0,0,1]
	s_delay_alu instid0(VALU_DEP_4) | instskip(NEXT) | instid1(VALU_DEP_4)
	v_mov_b32_e32 v73, v75
	v_pk_fma_f32 v[74:75], v[122:123], v[106:107], v[70:71] op_sel_hi:[1,0,1]
	s_delay_alu instid0(VALU_DEP_4) | instskip(SKIP_1) | instid1(VALU_DEP_3)
	v_pk_add_f32 v[68:69], v[68:69], v[76:77]
	v_pk_fma_f32 v[70:71], v[122:123], v[106:107], v[70:71] neg_lo:[0,0,1] neg_hi:[0,0,1]
	v_mov_b32_e32 v71, v75
	s_delay_alu instid0(VALU_DEP_3) | instskip(NEXT) | instid1(VALU_DEP_1)
	v_pk_add_f32 v[68:69], v[68:69], v[72:73]
	v_pk_add_f32 v[68:69], v[68:69], v[70:71]
	s_wait_loadcnt 0x0
	s_delay_alu instid0(VALU_DEP_1)
	v_pk_add_f32 v[68:69], v[148:149], v[68:69] neg_lo:[0,1] neg_hi:[0,1]
	scratch_store_b64 off, v[68:69], off offset:96
	s_wait_xcnt 0x0
	v_cmpx_lt_u32_e32 11, v0
	s_cbranch_execz .LBB32_189
; %bb.188:
	scratch_load_b64 v[68:69], off, off offset:88
	v_mov_b64_e32 v[70:71], 0
	scratch_store_b64 off, v[70:71], off offset:88
	s_wait_loadcnt 0x0
	ds_store_b64 v1, v[68:69]
.LBB32_189:
	s_wait_xcnt 0x0
	s_or_b32 exec_lo, exec_lo, s0
	s_wait_storecnt_dscnt 0x0
	s_barrier_signal -1
	s_barrier_wait -1
	s_clause 0xb
	scratch_load_b128 v[68:71], off, off offset:96
	scratch_load_b128 v[72:75], off, off offset:112
	;; [unrolled: 1-line block ×10, first 2 shown]
	scratch_load_b64 v[148:149], off, off offset:256
	scratch_load_b64 v[150:151], off, off offset:88
	v_mov_b32_e32 v3, 0
	ds_load_b128 v[108:111], v3 offset:464
	ds_load_b128 v[112:115], v3 offset:480
	;; [unrolled: 1-line block ×10, first 2 shown]
	ds_load_b64 v[152:153], v3 offset:528
	s_mov_b32 s0, exec_lo
	s_wait_dscnt 0xa
	v_dual_mov_b32 v154, v111 :: v_dual_mov_b32 v155, v110
	s_wait_dscnt 0x7
	v_dual_mov_b32 v156, v115 :: v_dual_mov_b32 v161, v122
	v_dual_mov_b32 v157, v114 :: v_dual_mov_b32 v158, v119
	;; [unrolled: 1-line block ×3, first 2 shown]
	s_wait_loadcnt_dscnt 0xb06
	v_dual_mul_f32 v7, v124, v69 :: v_dual_mul_f32 v11, v126, v71
	s_wait_loadcnt_dscnt 0xa05
	v_mul_f32_e32 v13, v128, v73
	v_dual_mul_f32 v31, v125, v69 :: v_dual_mul_f32 v33, v127, v71
	s_wait_loadcnt_dscnt 0x803
	v_dual_fmac_f32 v7, v125, v68 :: v_dual_mul_f32 v45, v139, v83
	v_dual_mul_f32 v35, v129, v73 :: v_dual_mul_f32 v37, v131, v75
	s_delay_alu instid0(VALU_DEP_3)
	v_dual_mul_f32 v43, v137, v81 :: v_dual_fma_f32 v31, v124, v68, -v31
	v_dual_fmac_f32 v11, v127, v70 :: v_dual_fma_f32 v33, v126, v70, -v33
	s_wait_loadcnt_dscnt 0x702
	v_dual_add_f32 v7, 0, v7 :: v_dual_mul_f32 v47, v141, v85
	v_dual_mul_f32 v15, v130, v75 :: v_dual_mul_f32 v17, v132, v77
	v_dual_add_f32 v31, 0, v31 :: v_dual_fmac_f32 v13, v129, v72
	s_delay_alu instid0(VALU_DEP_3) | instskip(SKIP_1) | instid1(VALU_DEP_3)
	v_dual_fma_f32 v35, v128, v72, -v35 :: v_dual_add_f32 v7, v7, v11
	v_dual_mul_f32 v39, v133, v77 :: v_dual_mul_f32 v41, v135, v79
	v_dual_add_f32 v11, v31, v33 :: v_dual_fma_f32 v33, v130, v74, -v37
	v_dual_fmac_f32 v15, v131, v74 :: v_dual_fmac_f32 v17, v133, v76
	s_delay_alu instid0(VALU_DEP_4) | instskip(NEXT) | instid1(VALU_DEP_3)
	v_dual_add_f32 v7, v7, v13 :: v_dual_mul_f32 v19, v134, v79
	v_dual_mul_f32 v21, v136, v81 :: v_dual_add_f32 v11, v11, v35
	s_delay_alu instid0(VALU_DEP_2) | instskip(SKIP_1) | instid1(VALU_DEP_3)
	v_dual_fma_f32 v35, v132, v76, -v39 :: v_dual_add_f32 v7, v7, v15
	v_dual_mul_f32 v23, v138, v83 :: v_dual_mul_f32 v25, v140, v85
	v_dual_add_f32 v11, v11, v33 :: v_dual_fmac_f32 v21, v137, v80
	v_fmac_f32_e32 v19, v135, v78
	s_delay_alu instid0(VALU_DEP_4) | instskip(SKIP_3) | instid1(VALU_DEP_3)
	v_add_f32_e32 v7, v7, v17
	s_wait_loadcnt_dscnt 0x601
	v_dual_mul_f32 v31, v143, v87 :: v_dual_mul_f32 v13, v145, v89
	v_dual_fma_f32 v33, v134, v78, -v41 :: v_dual_add_f32 v11, v11, v35
	v_dual_fmac_f32 v25, v141, v84 :: v_dual_add_f32 v7, v7, v19
	v_dual_mul_f32 v27, v142, v87 :: v_dual_mul_f32 v29, v144, v89
	v_dual_mul_f32 v15, v147, v91 :: v_dual_fma_f32 v35, v136, v80, -v43
	s_wait_loadcnt 0x4
	v_dual_mov_b32 v68, v95 :: v_dual_mov_b32 v72, v99
	s_delay_alu instid0(VALU_DEP_2) | instskip(SKIP_4) | instid1(VALU_DEP_4)
	v_dual_add_f32 v7, v7, v21 :: v_dual_fma_f32 v162, v146, v90, -v15
	v_dual_fma_f32 v21, v140, v84, -v47 :: v_dual_add_f32 v11, v11, v33
	v_dual_fmac_f32 v29, v145, v88 :: v_dual_mul_f32 v163, v146, v91
	v_dual_mul_f32 v165, v108, v93 :: v_dual_fmac_f32 v23, v139, v82
	v_fma_f32 v13, v144, v88, -v13
	v_dual_fma_f32 v19, v138, v82, -v45 :: v_dual_add_f32 v11, v11, v35
	s_delay_alu instid0(VALU_DEP_3) | instskip(SKIP_4) | instid1(VALU_DEP_4)
	v_fmac_f32_e32 v165, v109, v92
	v_pk_mul_f32 v[68:69], v[154:155], v[68:69] op_sel_hi:[1,0]
	v_dual_mul_f32 v17, v109, v93 :: v_dual_add_f32 v7, v7, v23
	v_fmac_f32_e32 v27, v143, v86
	v_fmac_f32_e32 v163, v147, v90
	v_pk_fma_f32 v[80:81], v[110:111], v[94:95], v[68:69] op_sel_hi:[1,0,1]
	v_add_f32_e32 v11, v11, v19
	v_pk_fma_f32 v[68:69], v[110:111], v[94:95], v[68:69] neg_lo:[0,0,1] neg_hi:[0,0,1]
	v_dual_fma_f32 v19, v142, v86, -v31 :: v_dual_fma_f32 v164, v108, v92, -v17
	s_delay_alu instid0(VALU_DEP_4) | instskip(NEXT) | instid1(VALU_DEP_4)
	v_dual_add_f32 v7, v7, v25 :: v_dual_mov_b32 v69, v81
	v_add_f32_e32 v11, v11, v21
	v_pk_mul_f32 v[70:71], v[112:113], v[96:97] op_sel:[1,1] op_sel_hi:[0,1]
	v_pk_mul_f32 v[72:73], v[156:157], v[72:73] op_sel_hi:[1,0]
	s_delay_alu instid0(VALU_DEP_4)
	v_add_f32_e32 v7, v7, v27
	s_wait_loadcnt 0x3
	v_pk_mul_f32 v[74:75], v[116:117], v[100:101] op_sel:[1,1] op_sel_hi:[0,1]
	v_add_f32_e32 v11, v11, v19
	v_pk_fma_f32 v[82:83], v[112:113], v[96:97], v[70:71] op_sel_hi:[1,0,1]
	v_pk_fma_f32 v[70:71], v[112:113], v[96:97], v[70:71] neg_lo:[0,0,1] neg_hi:[0,0,1]
	v_add_f32_e32 v77, v7, v29
	v_mov_b32_e32 v78, v103
	v_add_f32_e32 v76, v11, v13
	v_mov_b32_e32 v71, v83
	v_pk_fma_f32 v[82:83], v[114:115], v[98:99], v[72:73] op_sel_hi:[1,0,1]
	v_pk_fma_f32 v[72:73], v[114:115], v[98:99], v[72:73] neg_lo:[0,0,1] neg_hi:[0,0,1]
	v_pk_mul_f32 v[78:79], v[158:159], v[78:79] op_sel_hi:[1,0]
	v_pk_add_f32 v[76:77], v[76:77], v[162:163]
	s_wait_loadcnt 0x2
	v_pk_mul_f32 v[80:81], v[120:121], v[104:105] op_sel:[1,1] op_sel_hi:[0,1]
	v_mov_b32_e32 v73, v83
	s_delay_alu instid0(VALU_DEP_3) | instskip(NEXT) | instid1(VALU_DEP_1)
	v_pk_add_f32 v[76:77], v[76:77], v[164:165]
	v_pk_add_f32 v[68:69], v[76:77], v[68:69]
	v_pk_fma_f32 v[76:77], v[116:117], v[100:101], v[74:75] op_sel_hi:[1,0,1]
	v_pk_fma_f32 v[74:75], v[116:117], v[100:101], v[74:75] neg_lo:[0,0,1] neg_hi:[0,0,1]
	s_delay_alu instid0(VALU_DEP_3) | instskip(NEXT) | instid1(VALU_DEP_3)
	v_pk_add_f32 v[68:69], v[68:69], v[70:71]
	v_dual_mov_b32 v70, v107 :: v_dual_mov_b32 v75, v77
	v_pk_fma_f32 v[76:77], v[118:119], v[102:103], v[78:79] op_sel_hi:[1,0,1]
	v_pk_fma_f32 v[78:79], v[118:119], v[102:103], v[78:79] neg_lo:[0,0,1] neg_hi:[0,0,1]
	s_delay_alu instid0(VALU_DEP_4)
	v_pk_add_f32 v[68:69], v[68:69], v[72:73]
	v_pk_fma_f32 v[72:73], v[120:121], v[104:105], v[80:81] op_sel_hi:[1,0,1]
	v_pk_mul_f32 v[70:71], v[160:161], v[70:71] op_sel_hi:[1,0]
	v_mov_b32_e32 v79, v77
	s_wait_loadcnt_dscnt 0x100
	v_pk_mul_f32 v[76:77], v[152:153], v[148:149] op_sel:[1,1] op_sel_hi:[0,1]
	v_pk_add_f32 v[68:69], v[68:69], v[74:75]
	v_pk_fma_f32 v[74:75], v[120:121], v[104:105], v[80:81] neg_lo:[0,0,1] neg_hi:[0,0,1]
	v_mov_b32_e32 v75, v73
	v_pk_fma_f32 v[72:73], v[122:123], v[106:107], v[70:71] op_sel_hi:[1,0,1]
	v_pk_fma_f32 v[70:71], v[122:123], v[106:107], v[70:71] neg_lo:[0,0,1] neg_hi:[0,0,1]
	v_pk_add_f32 v[68:69], v[68:69], v[78:79]
	s_delay_alu instid0(VALU_DEP_3) | instskip(SKIP_1) | instid1(VALU_DEP_3)
	v_mov_b32_e32 v71, v73
	v_pk_fma_f32 v[72:73], v[152:153], v[148:149], v[76:77] op_sel_hi:[1,0,1]
	v_pk_add_f32 v[68:69], v[68:69], v[74:75]
	v_pk_fma_f32 v[74:75], v[152:153], v[148:149], v[76:77] neg_lo:[0,0,1] neg_hi:[0,0,1]
	s_delay_alu instid0(VALU_DEP_3) | instskip(NEXT) | instid1(VALU_DEP_3)
	v_mov_b32_e32 v75, v73
	v_pk_add_f32 v[68:69], v[68:69], v[70:71]
	s_delay_alu instid0(VALU_DEP_1) | instskip(SKIP_1) | instid1(VALU_DEP_1)
	v_pk_add_f32 v[68:69], v[68:69], v[74:75]
	s_wait_loadcnt 0x0
	v_pk_add_f32 v[68:69], v[150:151], v[68:69] neg_lo:[0,1] neg_hi:[0,1]
	scratch_store_b64 off, v[68:69], off offset:88
	s_wait_xcnt 0x0
	v_cmpx_lt_u32_e32 10, v0
	s_cbranch_execz .LBB32_191
; %bb.190:
	scratch_load_b64 v[68:69], off, off offset:80
	v_mov_b64_e32 v[70:71], 0
	scratch_store_b64 off, v[70:71], off offset:80
	s_wait_loadcnt 0x0
	ds_store_b64 v1, v[68:69]
.LBB32_191:
	s_wait_xcnt 0x0
	s_or_b32 exec_lo, exec_lo, s0
	s_wait_storecnt_dscnt 0x0
	s_barrier_signal -1
	s_barrier_wait -1
	s_clause 0xb
	scratch_load_b128 v[68:71], off, off offset:88
	scratch_load_b128 v[72:75], off, off offset:104
	;; [unrolled: 1-line block ×11, first 2 shown]
	scratch_load_b64 v[156:157], off, off offset:80
	ds_load_2addr_b64 v[112:115], v3 offset0:59 offset1:60
	ds_load_2addr_b64 v[116:119], v3 offset0:61 offset1:62
	;; [unrolled: 1-line block ×11, first 2 shown]
	s_mov_b32 s0, exec_lo
	s_wait_dscnt 0xa
	v_dual_mov_b32 v158, v115 :: v_dual_mov_b32 v159, v114
	s_wait_dscnt 0x9
	v_dual_mov_b32 v160, v119 :: v_dual_mov_b32 v161, v118
	;; [unrolled: 2-line block ×4, first 2 shown]
	s_wait_loadcnt_dscnt 0xb06
	v_dual_mul_f32 v3, v128, v69 :: v_dual_mul_f32 v7, v130, v71
	v_dual_mul_f32 v31, v129, v69 :: v_dual_mul_f32 v33, v131, v71
	s_wait_loadcnt_dscnt 0xa05
	v_dual_mul_f32 v11, v132, v73 :: v_dual_mul_f32 v13, v134, v75
	s_delay_alu instid0(VALU_DEP_3)
	v_fmac_f32_e32 v3, v129, v68
	s_wait_loadcnt_dscnt 0x803
	v_dual_fma_f32 v31, v128, v68, -v31 :: v_dual_mul_f32 v43, v141, v81
	v_dual_mul_f32 v35, v133, v73 :: v_dual_mul_f32 v37, v135, v75
	v_dual_fma_f32 v33, v130, v70, -v33 :: v_dual_fmac_f32 v7, v131, v70
	v_add_f32_e32 v3, 0, v3
	s_delay_alu instid0(VALU_DEP_4) | instskip(NEXT) | instid1(VALU_DEP_4)
	v_dual_add_f32 v31, 0, v31 :: v_dual_fmac_f32 v11, v133, v72
	v_dual_mul_f32 v45, v143, v83 :: v_dual_fma_f32 v35, v132, v72, -v35
	s_delay_alu instid0(VALU_DEP_3) | instskip(NEXT) | instid1(VALU_DEP_3)
	v_add_f32_e32 v3, v3, v7
	v_dual_add_f32 v7, v31, v33 :: v_dual_fma_f32 v33, v134, v74, -v37
	v_dual_mul_f32 v15, v136, v77 :: v_dual_mul_f32 v17, v138, v79
	v_dual_mul_f32 v39, v137, v77 :: v_dual_mul_f32 v41, v139, v79
	s_wait_loadcnt_dscnt 0x702
	v_dual_mul_f32 v31, v145, v85 :: v_dual_fmac_f32 v13, v135, v74
	s_delay_alu instid0(VALU_DEP_3) | instskip(SKIP_2) | instid1(VALU_DEP_3)
	v_dual_fmac_f32 v15, v137, v76 :: v_dual_add_f32 v3, v3, v11
	v_dual_add_f32 v7, v7, v35 :: v_dual_mul_f32 v19, v140, v81
	v_dual_mul_f32 v21, v142, v83 :: v_dual_fma_f32 v35, v136, v76, -v39
	v_add_f32_e32 v3, v3, v13
	s_wait_loadcnt_dscnt 0x601
	v_mul_f32_e32 v13, v149, v89
	v_add_f32_e32 v7, v7, v33
	v_dual_mul_f32 v23, v144, v85 :: v_dual_mul_f32 v25, v146, v87
	v_dual_mul_f32 v11, v147, v87 :: v_dual_fma_f32 v33, v138, v78, -v41
	s_delay_alu instid0(VALU_DEP_2) | instskip(NEXT) | instid1(VALU_DEP_4)
	v_dual_fmac_f32 v17, v139, v78 :: v_dual_fmac_f32 v23, v145, v84
	v_dual_add_f32 v7, v7, v35 :: v_dual_fmac_f32 v19, v141, v80
	v_dual_add_f32 v3, v3, v15 :: v_dual_mul_f32 v27, v148, v89
	v_dual_mul_f32 v29, v150, v91 :: v_dual_fma_f32 v35, v140, v80, -v43
	s_delay_alu instid0(VALU_DEP_3) | instskip(NEXT) | instid1(VALU_DEP_3)
	v_add_f32_e32 v7, v7, v33
	v_dual_add_f32 v3, v3, v17 :: v_dual_fma_f32 v11, v146, v86, -v11
	s_wait_loadcnt_dscnt 0x500
	v_dual_mul_f32 v167, v152, v93 :: v_dual_mul_f32 v169, v154, v95
	v_dual_mul_f32 v15, v151, v91 :: v_dual_fma_f32 v31, v144, v84, -v31
	v_dual_mul_f32 v17, v153, v93 :: v_dual_fmac_f32 v21, v143, v82
	s_delay_alu instid0(VALU_DEP_3) | instskip(SKIP_2) | instid1(VALU_DEP_4)
	v_dual_fmac_f32 v167, v153, v92 :: v_dual_fma_f32 v33, v142, v82, -v45
	v_dual_add_f32 v3, v3, v19 :: v_dual_fma_f32 v13, v148, v88, -v13
	v_dual_fmac_f32 v27, v149, v88 :: v_dual_add_f32 v7, v7, v35
	v_dual_mul_f32 v19, v155, v95 :: v_dual_fma_f32 v166, v152, v92, -v17
	s_delay_alu instid0(VALU_DEP_3) | instskip(SKIP_1) | instid1(VALU_DEP_3)
	v_add_f32_e32 v3, v3, v21
	v_fmac_f32_e32 v25, v147, v86
	v_dual_add_f32 v7, v7, v33 :: v_dual_fma_f32 v168, v154, v94, -v19
	v_fmac_f32_e32 v29, v151, v90
	s_delay_alu instid0(VALU_DEP_4)
	v_add_f32_e32 v3, v3, v23
	s_wait_loadcnt 0x4
	v_pk_mul_f32 v[68:69], v[112:113], v[96:97] op_sel:[1,1] op_sel_hi:[0,1]
	v_add_f32_e32 v7, v7, v31
	s_wait_loadcnt 0x3
	v_dual_mov_b32 v70, v99 :: v_dual_mov_b32 v74, v103
	v_add_f32_e32 v3, v3, v25
	v_fmac_f32_e32 v169, v155, v94
	v_dual_add_f32 v7, v7, v11 :: v_dual_fma_f32 v11, v150, v90, -v15
	v_pk_fma_f32 v[78:79], v[112:113], v[96:97], v[68:69] op_sel_hi:[1,0,1]
	s_delay_alu instid0(VALU_DEP_4) | instskip(SKIP_1) | instid1(VALU_DEP_4)
	v_add_f32_e32 v3, v3, v27
	v_pk_mul_f32 v[70:71], v[158:159], v[70:71] op_sel_hi:[1,0]
	v_add_f32_e32 v7, v7, v13
	v_pk_fma_f32 v[68:69], v[112:113], v[96:97], v[68:69] neg_lo:[0,0,1] neg_hi:[0,0,1]
	v_pk_mul_f32 v[72:73], v[116:117], v[100:101] op_sel:[1,1] op_sel_hi:[0,1]
	v_add_f32_e32 v77, v3, v29
	v_mov_b32_e32 v69, v79
	v_add_f32_e32 v76, v7, v11
	v_pk_fma_f32 v[78:79], v[114:115], v[98:99], v[70:71] op_sel_hi:[1,0,1]
	v_pk_fma_f32 v[70:71], v[114:115], v[98:99], v[70:71] neg_lo:[0,0,1] neg_hi:[0,0,1]
	v_pk_fma_f32 v[82:83], v[116:117], v[100:101], v[72:73] op_sel_hi:[1,0,1]
	v_pk_mul_f32 v[74:75], v[160:161], v[74:75] op_sel_hi:[1,0]
	v_pk_add_f32 v[76:77], v[76:77], v[166:167]
	v_mov_b32_e32 v71, v79
	s_wait_loadcnt 0x2
	v_pk_mul_f32 v[80:81], v[120:121], v[104:105] op_sel:[1,1] op_sel_hi:[0,1]
	v_pk_fma_f32 v[72:73], v[116:117], v[100:101], v[72:73] neg_lo:[0,0,1] neg_hi:[0,0,1]
	v_mov_b32_e32 v73, v83
	v_pk_add_f32 v[76:77], v[76:77], v[168:169]
	v_pk_fma_f32 v[78:79], v[118:119], v[102:103], v[74:75] op_sel_hi:[1,0,1]
	v_pk_fma_f32 v[74:75], v[118:119], v[102:103], v[74:75] neg_lo:[0,0,1] neg_hi:[0,0,1]
	s_delay_alu instid0(VALU_DEP_3) | instskip(SKIP_1) | instid1(VALU_DEP_2)
	v_pk_add_f32 v[68:69], v[76:77], v[68:69]
	v_mov_b32_e32 v76, v107
	v_pk_add_f32 v[68:69], v[68:69], v[70:71]
	v_pk_fma_f32 v[70:71], v[120:121], v[104:105], v[80:81] op_sel_hi:[1,0,1]
	s_delay_alu instid0(VALU_DEP_3)
	v_pk_mul_f32 v[76:77], v[162:163], v[76:77] op_sel_hi:[1,0]
	v_mov_b32_e32 v75, v79
	v_pk_fma_f32 v[78:79], v[120:121], v[104:105], v[80:81] neg_lo:[0,0,1] neg_hi:[0,0,1]
	v_pk_add_f32 v[68:69], v[68:69], v[72:73]
	v_mov_b32_e32 v79, v71
	v_pk_fma_f32 v[70:71], v[122:123], v[106:107], v[76:77] op_sel_hi:[1,0,1]
	s_wait_loadcnt 0x1
	v_pk_mul_f32 v[72:73], v[124:125], v[108:109] op_sel:[1,1] op_sel_hi:[0,1]
	v_mov_b32_e32 v70, v111
	v_pk_add_f32 v[68:69], v[68:69], v[74:75]
	v_pk_fma_f32 v[76:77], v[122:123], v[106:107], v[76:77] neg_lo:[0,0,1] neg_hi:[0,0,1]
	v_mov_b32_e32 v77, v71
	v_pk_fma_f32 v[74:75], v[124:125], v[108:109], v[72:73] op_sel_hi:[1,0,1]
	v_pk_mul_f32 v[70:71], v[164:165], v[70:71] op_sel_hi:[1,0]
	v_pk_add_f32 v[68:69], v[68:69], v[78:79]
	v_pk_fma_f32 v[72:73], v[124:125], v[108:109], v[72:73] neg_lo:[0,0,1] neg_hi:[0,0,1]
	s_delay_alu instid0(VALU_DEP_4) | instskip(NEXT) | instid1(VALU_DEP_4)
	v_mov_b32_e32 v73, v75
	v_pk_fma_f32 v[74:75], v[126:127], v[110:111], v[70:71] op_sel_hi:[1,0,1]
	s_delay_alu instid0(VALU_DEP_4) | instskip(SKIP_1) | instid1(VALU_DEP_3)
	v_pk_add_f32 v[68:69], v[68:69], v[76:77]
	v_pk_fma_f32 v[70:71], v[126:127], v[110:111], v[70:71] neg_lo:[0,0,1] neg_hi:[0,0,1]
	v_mov_b32_e32 v71, v75
	s_delay_alu instid0(VALU_DEP_3) | instskip(NEXT) | instid1(VALU_DEP_1)
	v_pk_add_f32 v[68:69], v[68:69], v[72:73]
	v_pk_add_f32 v[68:69], v[68:69], v[70:71]
	s_wait_loadcnt 0x0
	s_delay_alu instid0(VALU_DEP_1)
	v_pk_add_f32 v[68:69], v[156:157], v[68:69] neg_lo:[0,1] neg_hi:[0,1]
	scratch_store_b64 off, v[68:69], off offset:80
	s_wait_xcnt 0x0
	v_cmpx_lt_u32_e32 9, v0
	s_cbranch_execz .LBB32_193
; %bb.192:
	scratch_load_b64 v[68:69], off, off offset:72
	v_mov_b64_e32 v[70:71], 0
	scratch_store_b64 off, v[70:71], off offset:72
	s_wait_loadcnt 0x0
	ds_store_b64 v1, v[68:69]
.LBB32_193:
	s_wait_xcnt 0x0
	s_or_b32 exec_lo, exec_lo, s0
	s_wait_storecnt_dscnt 0x0
	s_barrier_signal -1
	s_barrier_wait -1
	s_clause 0xc
	scratch_load_b128 v[68:71], off, off offset:80
	scratch_load_b128 v[72:75], off, off offset:96
	;; [unrolled: 1-line block ×11, first 2 shown]
	scratch_load_b64 v[156:157], off, off offset:256
	scratch_load_b64 v[158:159], off, off offset:72
	v_mov_b32_e32 v3, 0
	ds_load_b128 v[112:115], v3 offset:464
	ds_load_b128 v[116:119], v3 offset:480
	;; [unrolled: 1-line block ×11, first 2 shown]
	ds_load_b64 v[160:161], v3 offset:528
	s_mov_b32 s0, exec_lo
	s_wait_dscnt 0xb
	v_dual_mov_b32 v162, v115 :: v_dual_mov_b32 v163, v114
	s_wait_dscnt 0x8
	v_dual_mov_b32 v164, v119 :: v_dual_mov_b32 v169, v126
	v_dual_mov_b32 v165, v118 :: v_dual_mov_b32 v166, v123
	;; [unrolled: 1-line block ×3, first 2 shown]
	s_wait_loadcnt_dscnt 0xc07
	v_dual_mul_f32 v7, v128, v69 :: v_dual_mul_f32 v35, v129, v69
	v_dual_mul_f32 v37, v131, v71 :: v_dual_mul_f32 v11, v130, v71
	s_wait_loadcnt_dscnt 0xb06
	v_mul_f32_e32 v13, v132, v73
	s_wait_loadcnt_dscnt 0x904
	v_dual_mul_f32 v47, v141, v81 :: v_dual_fma_f32 v35, v128, v68, -v35
	v_dual_fmac_f32 v7, v129, v68 :: v_dual_mul_f32 v49, v143, v83
	v_dual_mul_f32 v39, v133, v73 :: v_dual_mul_f32 v41, v135, v75
	v_dual_fmac_f32 v11, v131, v70 :: v_dual_fma_f32 v37, v130, v70, -v37
	s_wait_loadcnt_dscnt 0x803
	s_delay_alu instid0(VALU_DEP_3) | instskip(SKIP_1) | instid1(VALU_DEP_2)
	v_dual_add_f32 v7, 0, v7 :: v_dual_mul_f32 v51, v145, v85
	v_dual_add_f32 v35, 0, v35 :: v_dual_fmac_f32 v13, v133, v72
	v_dual_fma_f32 v39, v132, v72, -v39 :: v_dual_add_f32 v7, v7, v11
	v_dual_mul_f32 v15, v134, v75 :: v_dual_mul_f32 v17, v136, v77
	s_delay_alu instid0(VALU_DEP_3) | instskip(SKIP_2) | instid1(VALU_DEP_3)
	v_dual_add_f32 v11, v35, v37 :: v_dual_fma_f32 v37, v134, v74, -v41
	v_dual_mul_f32 v43, v137, v77 :: v_dual_mul_f32 v45, v139, v79
	v_dual_mul_f32 v19, v138, v79 :: v_dual_mul_f32 v21, v140, v81
	v_add_f32_e32 v11, v11, v39
	v_dual_fmac_f32 v15, v135, v74 :: v_dual_fmac_f32 v17, v137, v76
	s_delay_alu instid0(VALU_DEP_4) | instskip(NEXT) | instid1(VALU_DEP_3)
	v_dual_add_f32 v7, v7, v13 :: v_dual_fma_f32 v39, v136, v76, -v43
	v_dual_add_f32 v11, v11, v37 :: v_dual_fmac_f32 v21, v141, v80
	v_dual_mul_f32 v23, v142, v83 :: v_dual_mul_f32 v25, v144, v85
	s_delay_alu instid0(VALU_DEP_3) | instskip(NEXT) | instid1(VALU_DEP_3)
	v_dual_add_f32 v7, v7, v15 :: v_dual_fma_f32 v37, v138, v78, -v45
	v_add_f32_e32 v11, v11, v39
	s_wait_loadcnt_dscnt 0x701
	v_dual_mul_f32 v35, v147, v87 :: v_dual_mul_f32 v13, v153, v89
	v_dual_mul_f32 v15, v155, v91 :: v_dual_fma_f32 v39, v140, v80, -v47
	v_fmac_f32_e32 v19, v139, v78
	v_dual_add_f32 v7, v7, v17 :: v_dual_fmac_f32 v25, v145, v84
	v_dual_add_f32 v11, v11, v37 :: v_dual_mul_f32 v27, v146, v87
	v_dual_mul_f32 v29, v152, v89 :: v_dual_mul_f32 v31, v154, v91
	s_wait_loadcnt 0x6
	v_dual_mul_f32 v33, v148, v93 :: v_dual_fma_f32 v37, v142, v82, -v49
	v_add_f32_e32 v7, v7, v19
	v_add_f32_e32 v11, v11, v39
	s_wait_loadcnt 0x4
	v_dual_mov_b32 v68, v99 :: v_dual_mov_b32 v72, v103
	v_dual_mul_f32 v19, v151, v95 :: v_dual_fmac_f32 v29, v153, v88
	v_dual_fmac_f32 v23, v143, v82 :: v_dual_fma_f32 v13, v152, v88, -v13
	v_dual_fma_f32 v39, v144, v84, -v51 :: v_dual_add_f32 v7, v7, v21
	v_dual_fma_f32 v15, v154, v90, -v15 :: v_dual_fmac_f32 v33, v149, v92
	s_delay_alu instid0(VALU_DEP_4) | instskip(SKIP_1) | instid1(VALU_DEP_4)
	v_dual_add_f32 v11, v11, v37 :: v_dual_fma_f32 v170, v150, v94, -v19
	v_pk_mul_f32 v[68:69], v[162:163], v[68:69] op_sel_hi:[1,0]
	v_dual_mul_f32 v17, v149, v93 :: v_dual_add_f32 v7, v7, v23
	v_fma_f32 v23, v146, v86, -v35
	v_dual_mul_f32 v171, v150, v95 :: v_dual_mul_f32 v173, v112, v97
	s_delay_alu instid0(VALU_DEP_4) | instskip(SKIP_4) | instid1(VALU_DEP_4)
	v_pk_fma_f32 v[80:81], v[114:115], v[98:99], v[68:69] op_sel_hi:[1,0,1]
	v_add_f32_e32 v11, v11, v39
	v_pk_fma_f32 v[68:69], v[114:115], v[98:99], v[68:69] neg_lo:[0,0,1] neg_hi:[0,0,1]
	v_dual_mul_f32 v21, v113, v97 :: v_dual_fmac_f32 v27, v147, v86
	v_fmac_f32_e32 v173, v113, v96
	v_dual_mov_b32 v69, v81 :: v_dual_add_f32 v11, v11, v23
	s_delay_alu instid0(VALU_DEP_3) | instskip(SKIP_2) | instid1(VALU_DEP_4)
	v_dual_fma_f32 v172, v112, v96, -v21 :: v_dual_fmac_f32 v31, v155, v90
	v_fmac_f32_e32 v171, v151, v94
	v_pk_mul_f32 v[70:71], v[116:117], v[100:101] op_sel:[1,1] op_sel_hi:[0,1]
	v_dual_add_f32 v11, v11, v13 :: v_dual_fma_f32 v13, v148, v92, -v17
	v_add_f32_e32 v7, v7, v25
	v_pk_mul_f32 v[72:73], v[164:165], v[72:73] op_sel_hi:[1,0]
	s_delay_alu instid0(VALU_DEP_4) | instskip(NEXT) | instid1(VALU_DEP_4)
	v_pk_fma_f32 v[82:83], v[116:117], v[100:101], v[70:71] op_sel_hi:[1,0,1]
	v_add_f32_e32 v11, v11, v15
	v_pk_fma_f32 v[70:71], v[116:117], v[100:101], v[70:71] neg_lo:[0,0,1] neg_hi:[0,0,1]
	v_add_f32_e32 v7, v7, v27
	s_wait_loadcnt 0x3
	v_pk_mul_f32 v[74:75], v[120:121], v[104:105] op_sel:[1,1] op_sel_hi:[0,1]
	v_dual_mov_b32 v78, v107 :: v_dual_mov_b32 v71, v83
	v_add_f32_e32 v76, v11, v13
	v_add_f32_e32 v7, v7, v29
	v_pk_fma_f32 v[82:83], v[118:119], v[102:103], v[72:73] op_sel_hi:[1,0,1]
	v_pk_fma_f32 v[72:73], v[118:119], v[102:103], v[72:73] neg_lo:[0,0,1] neg_hi:[0,0,1]
	v_pk_mul_f32 v[78:79], v[166:167], v[78:79] op_sel_hi:[1,0]
	s_wait_loadcnt 0x2
	v_pk_mul_f32 v[80:81], v[124:125], v[108:109] op_sel:[1,1] op_sel_hi:[0,1]
	v_add_f32_e32 v7, v7, v31
	v_mov_b32_e32 v73, v83
	s_delay_alu instid0(VALU_DEP_2) | instskip(NEXT) | instid1(VALU_DEP_1)
	v_add_f32_e32 v77, v7, v33
	v_pk_add_f32 v[76:77], v[76:77], v[170:171]
	s_delay_alu instid0(VALU_DEP_1) | instskip(NEXT) | instid1(VALU_DEP_1)
	v_pk_add_f32 v[76:77], v[76:77], v[172:173]
	v_pk_add_f32 v[68:69], v[76:77], v[68:69]
	v_pk_fma_f32 v[76:77], v[120:121], v[104:105], v[74:75] op_sel_hi:[1,0,1]
	v_pk_fma_f32 v[74:75], v[120:121], v[104:105], v[74:75] neg_lo:[0,0,1] neg_hi:[0,0,1]
	s_delay_alu instid0(VALU_DEP_3) | instskip(NEXT) | instid1(VALU_DEP_3)
	v_pk_add_f32 v[68:69], v[68:69], v[70:71]
	v_dual_mov_b32 v70, v111 :: v_dual_mov_b32 v75, v77
	v_pk_fma_f32 v[76:77], v[122:123], v[106:107], v[78:79] op_sel_hi:[1,0,1]
	v_pk_fma_f32 v[78:79], v[122:123], v[106:107], v[78:79] neg_lo:[0,0,1] neg_hi:[0,0,1]
	s_delay_alu instid0(VALU_DEP_4)
	v_pk_add_f32 v[68:69], v[68:69], v[72:73]
	v_pk_fma_f32 v[72:73], v[124:125], v[108:109], v[80:81] op_sel_hi:[1,0,1]
	v_pk_mul_f32 v[70:71], v[168:169], v[70:71] op_sel_hi:[1,0]
	v_mov_b32_e32 v79, v77
	s_wait_loadcnt_dscnt 0x100
	v_pk_mul_f32 v[76:77], v[160:161], v[156:157] op_sel:[1,1] op_sel_hi:[0,1]
	v_pk_add_f32 v[68:69], v[68:69], v[74:75]
	v_pk_fma_f32 v[74:75], v[124:125], v[108:109], v[80:81] neg_lo:[0,0,1] neg_hi:[0,0,1]
	v_mov_b32_e32 v75, v73
	v_pk_fma_f32 v[72:73], v[126:127], v[110:111], v[70:71] op_sel_hi:[1,0,1]
	v_pk_fma_f32 v[70:71], v[126:127], v[110:111], v[70:71] neg_lo:[0,0,1] neg_hi:[0,0,1]
	v_pk_add_f32 v[68:69], v[68:69], v[78:79]
	s_delay_alu instid0(VALU_DEP_3) | instskip(SKIP_1) | instid1(VALU_DEP_3)
	v_mov_b32_e32 v71, v73
	v_pk_fma_f32 v[72:73], v[160:161], v[156:157], v[76:77] op_sel_hi:[1,0,1]
	v_pk_add_f32 v[68:69], v[68:69], v[74:75]
	v_pk_fma_f32 v[74:75], v[160:161], v[156:157], v[76:77] neg_lo:[0,0,1] neg_hi:[0,0,1]
	s_delay_alu instid0(VALU_DEP_3) | instskip(NEXT) | instid1(VALU_DEP_3)
	v_mov_b32_e32 v75, v73
	v_pk_add_f32 v[68:69], v[68:69], v[70:71]
	s_delay_alu instid0(VALU_DEP_1) | instskip(SKIP_1) | instid1(VALU_DEP_1)
	v_pk_add_f32 v[68:69], v[68:69], v[74:75]
	s_wait_loadcnt 0x0
	v_pk_add_f32 v[68:69], v[158:159], v[68:69] neg_lo:[0,1] neg_hi:[0,1]
	scratch_store_b64 off, v[68:69], off offset:72
	s_wait_xcnt 0x0
	v_cmpx_lt_u32_e32 8, v0
	s_cbranch_execz .LBB32_195
; %bb.194:
	scratch_load_b64 v[68:69], off, off offset:64
	v_mov_b64_e32 v[70:71], 0
	scratch_store_b64 off, v[70:71], off offset:64
	s_wait_loadcnt 0x0
	ds_store_b64 v1, v[68:69]
.LBB32_195:
	s_wait_xcnt 0x0
	s_or_b32 exec_lo, exec_lo, s0
	s_wait_storecnt_dscnt 0x0
	s_barrier_signal -1
	s_barrier_wait -1
	s_clause 0xc
	scratch_load_b128 v[68:71], off, off offset:72
	scratch_load_b128 v[72:75], off, off offset:88
	;; [unrolled: 1-line block ×12, first 2 shown]
	scratch_load_b64 v[164:165], off, off offset:64
	ds_load_2addr_b64 v[116:119], v3 offset0:59 offset1:60
	ds_load_2addr_b64 v[120:123], v3 offset0:61 offset1:62
	ds_load_2addr_b64 v[124:127], v3 offset0:63 offset1:64
	ds_load_2addr_b64 v[128:131], v3 offset0:65 offset1:66
	ds_load_2addr_b64 v[132:135], v3 offset0:43 offset1:44
	ds_load_2addr_b64 v[136:139], v3 offset0:45 offset1:46
	ds_load_2addr_b64 v[140:143], v3 offset0:47 offset1:48
	ds_load_2addr_b64 v[144:147], v3 offset0:49 offset1:50
	ds_load_2addr_b64 v[148:151], v3 offset0:51 offset1:52
	ds_load_2addr_b64 v[152:155], v3 offset0:53 offset1:54
	ds_load_2addr_b64 v[156:159], v3 offset0:55 offset1:56
	ds_load_2addr_b64 v[160:163], v3 offset0:57 offset1:58
	s_mov_b32 s0, exec_lo
	s_wait_dscnt 0xb
	v_dual_mov_b32 v166, v119 :: v_dual_mov_b32 v167, v118
	s_wait_dscnt 0xa
	v_dual_mov_b32 v168, v123 :: v_dual_mov_b32 v169, v122
	;; [unrolled: 2-line block ×4, first 2 shown]
	s_wait_loadcnt_dscnt 0xc07
	v_dual_mul_f32 v3, v132, v69 :: v_dual_mul_f32 v7, v134, v71
	v_dual_mul_f32 v35, v133, v69 :: v_dual_mul_f32 v37, v135, v71
	s_wait_loadcnt_dscnt 0xb06
	v_dual_mul_f32 v11, v136, v73 :: v_dual_mul_f32 v13, v138, v75
	s_delay_alu instid0(VALU_DEP_3)
	v_fmac_f32_e32 v3, v133, v68
	s_wait_loadcnt_dscnt 0x904
	v_dual_fma_f32 v35, v132, v68, -v35 :: v_dual_mul_f32 v47, v145, v81
	v_dual_mul_f32 v39, v137, v73 :: v_dual_mul_f32 v41, v139, v75
	v_dual_fma_f32 v37, v134, v70, -v37 :: v_dual_fmac_f32 v7, v135, v70
	v_add_f32_e32 v3, 0, v3
	s_delay_alu instid0(VALU_DEP_4) | instskip(NEXT) | instid1(VALU_DEP_4)
	v_dual_add_f32 v35, 0, v35 :: v_dual_fmac_f32 v11, v137, v72
	v_dual_mul_f32 v49, v147, v83 :: v_dual_fma_f32 v39, v136, v72, -v39
	s_delay_alu instid0(VALU_DEP_3) | instskip(NEXT) | instid1(VALU_DEP_3)
	v_add_f32_e32 v3, v3, v7
	v_dual_add_f32 v7, v35, v37 :: v_dual_fma_f32 v37, v138, v74, -v41
	v_dual_mul_f32 v15, v140, v77 :: v_dual_mul_f32 v17, v142, v79
	v_dual_mul_f32 v43, v141, v77 :: v_dual_mul_f32 v45, v143, v79
	s_wait_loadcnt_dscnt 0x803
	v_dual_mul_f32 v35, v149, v85 :: v_dual_fmac_f32 v13, v139, v74
	s_delay_alu instid0(VALU_DEP_3) | instskip(SKIP_2) | instid1(VALU_DEP_3)
	v_dual_fmac_f32 v15, v141, v76 :: v_dual_add_f32 v3, v3, v11
	v_dual_add_f32 v7, v7, v39 :: v_dual_mul_f32 v19, v144, v81
	v_dual_mul_f32 v21, v146, v83 :: v_dual_fma_f32 v39, v140, v76, -v43
	v_add_f32_e32 v3, v3, v13
	s_wait_loadcnt_dscnt 0x702
	v_mul_f32_e32 v13, v153, v89
	v_add_f32_e32 v7, v7, v37
	v_dual_mul_f32 v11, v151, v87 :: v_dual_fma_f32 v37, v142, v78, -v45
	v_dual_mul_f32 v23, v148, v85 :: v_dual_mul_f32 v25, v150, v87
	s_delay_alu instid0(VALU_DEP_3) | instskip(SKIP_1) | instid1(VALU_DEP_3)
	v_dual_add_f32 v7, v7, v39 :: v_dual_mul_f32 v27, v152, v89
	v_dual_mul_f32 v29, v154, v91 :: v_dual_fmac_f32 v17, v143, v78
	v_fmac_f32_e32 v23, v149, v84
	v_dual_fmac_f32 v19, v145, v80 :: v_dual_add_f32 v3, v3, v15
	s_delay_alu instid0(VALU_DEP_4) | instskip(SKIP_1) | instid1(VALU_DEP_3)
	v_dual_fma_f32 v39, v144, v80, -v47 :: v_dual_add_f32 v7, v7, v37
	v_dual_fmac_f32 v27, v153, v88 :: v_dual_fma_f32 v37, v146, v82, -v49
	v_dual_add_f32 v3, v3, v17 :: v_dual_fma_f32 v11, v150, v86, -v11
	s_delay_alu instid0(VALU_DEP_3) | instskip(SKIP_1) | instid1(VALU_DEP_3)
	v_dual_add_f32 v7, v7, v39 :: v_dual_fma_f32 v13, v152, v88, -v13
	v_dual_mul_f32 v15, v155, v91 :: v_dual_fma_f32 v35, v148, v84, -v35
	v_add_f32_e32 v3, v3, v19
	s_wait_loadcnt_dscnt 0x601
	v_mul_f32_e32 v19, v159, v95
	v_add_f32_e32 v7, v7, v37
	v_dual_mul_f32 v31, v156, v93 :: v_dual_mul_f32 v33, v158, v95
	v_dual_fmac_f32 v21, v147, v82 :: v_dual_mul_f32 v17, v157, v93
	s_delay_alu instid0(VALU_DEP_2) | instskip(SKIP_2) | instid1(VALU_DEP_3)
	v_dual_add_f32 v7, v7, v35 :: v_dual_fmac_f32 v31, v157, v92
	s_wait_loadcnt_dscnt 0x500
	v_dual_mul_f32 v175, v160, v97 :: v_dual_mul_f32 v177, v162, v99
	v_add_f32_e32 v3, v3, v21
	s_delay_alu instid0(VALU_DEP_3) | instskip(NEXT) | instid1(VALU_DEP_3)
	v_dual_add_f32 v7, v7, v11 :: v_dual_mul_f32 v21, v161, v97
	v_dual_fmac_f32 v25, v151, v86 :: v_dual_fmac_f32 v175, v161, v96
	v_fmac_f32_e32 v29, v155, v90
	s_delay_alu instid0(VALU_DEP_3) | instskip(NEXT) | instid1(VALU_DEP_4)
	v_dual_add_f32 v7, v7, v13 :: v_dual_fma_f32 v13, v156, v92, -v17
	v_dual_add_f32 v3, v3, v23 :: v_dual_fma_f32 v174, v160, v96, -v21
	v_fma_f32 v11, v154, v90, -v15
	v_fmac_f32_e32 v33, v159, v94
	v_dual_mul_f32 v23, v163, v99 :: v_dual_fmac_f32 v177, v163, v98
	s_delay_alu instid0(VALU_DEP_4) | instskip(NEXT) | instid1(VALU_DEP_4)
	v_add_f32_e32 v3, v3, v25
	v_dual_add_f32 v7, v7, v11 :: v_dual_fma_f32 v11, v158, v94, -v19
	s_wait_loadcnt 0x4
	v_pk_mul_f32 v[68:69], v[116:117], v[100:101] op_sel:[1,1] op_sel_hi:[0,1]
	s_wait_loadcnt 0x3
	v_dual_mov_b32 v70, v103 :: v_dual_mov_b32 v74, v107
	v_add_f32_e32 v3, v3, v27
	v_dual_add_f32 v7, v7, v13 :: v_dual_fma_f32 v176, v162, v98, -v23
	v_pk_fma_f32 v[78:79], v[116:117], v[100:101], v[68:69] op_sel_hi:[1,0,1]
	s_delay_alu instid0(VALU_DEP_4) | instskip(NEXT) | instid1(VALU_DEP_4)
	v_pk_mul_f32 v[70:71], v[166:167], v[70:71] op_sel_hi:[1,0]
	v_add_f32_e32 v3, v3, v29
	s_delay_alu instid0(VALU_DEP_4)
	v_add_f32_e32 v76, v7, v11
	v_pk_fma_f32 v[68:69], v[116:117], v[100:101], v[68:69] neg_lo:[0,0,1] neg_hi:[0,0,1]
	v_pk_mul_f32 v[72:73], v[120:121], v[104:105] op_sel:[1,1] op_sel_hi:[0,1]
	v_mov_b32_e32 v69, v79
	v_add_f32_e32 v3, v3, v31
	v_pk_fma_f32 v[78:79], v[118:119], v[102:103], v[70:71] op_sel_hi:[1,0,1]
	v_pk_fma_f32 v[70:71], v[118:119], v[102:103], v[70:71] neg_lo:[0,0,1] neg_hi:[0,0,1]
	v_pk_fma_f32 v[82:83], v[120:121], v[104:105], v[72:73] op_sel_hi:[1,0,1]
	v_pk_mul_f32 v[74:75], v[168:169], v[74:75] op_sel_hi:[1,0]
	v_add_f32_e32 v77, v3, v33
	v_mov_b32_e32 v71, v79
	s_wait_loadcnt 0x2
	v_pk_mul_f32 v[80:81], v[124:125], v[108:109] op_sel:[1,1] op_sel_hi:[0,1]
	v_pk_fma_f32 v[72:73], v[120:121], v[104:105], v[72:73] neg_lo:[0,0,1] neg_hi:[0,0,1]
	v_mov_b32_e32 v73, v83
	v_pk_add_f32 v[76:77], v[76:77], v[174:175]
	v_pk_fma_f32 v[78:79], v[122:123], v[106:107], v[74:75] op_sel_hi:[1,0,1]
	v_pk_fma_f32 v[74:75], v[122:123], v[106:107], v[74:75] neg_lo:[0,0,1] neg_hi:[0,0,1]
	s_delay_alu instid0(VALU_DEP_3) | instskip(NEXT) | instid1(VALU_DEP_1)
	v_pk_add_f32 v[76:77], v[76:77], v[176:177]
	v_pk_add_f32 v[68:69], v[76:77], v[68:69]
	v_mov_b32_e32 v76, v111
	s_delay_alu instid0(VALU_DEP_2) | instskip(SKIP_1) | instid1(VALU_DEP_3)
	v_pk_add_f32 v[68:69], v[68:69], v[70:71]
	v_pk_fma_f32 v[70:71], v[124:125], v[108:109], v[80:81] op_sel_hi:[1,0,1]
	v_pk_mul_f32 v[76:77], v[170:171], v[76:77] op_sel_hi:[1,0]
	v_mov_b32_e32 v75, v79
	v_pk_fma_f32 v[78:79], v[124:125], v[108:109], v[80:81] neg_lo:[0,0,1] neg_hi:[0,0,1]
	v_pk_add_f32 v[68:69], v[68:69], v[72:73]
	v_mov_b32_e32 v79, v71
	v_pk_fma_f32 v[70:71], v[126:127], v[110:111], v[76:77] op_sel_hi:[1,0,1]
	s_wait_loadcnt 0x1
	v_pk_mul_f32 v[72:73], v[128:129], v[112:113] op_sel:[1,1] op_sel_hi:[0,1]
	v_mov_b32_e32 v70, v115
	v_pk_add_f32 v[68:69], v[68:69], v[74:75]
	v_pk_fma_f32 v[76:77], v[126:127], v[110:111], v[76:77] neg_lo:[0,0,1] neg_hi:[0,0,1]
	v_mov_b32_e32 v77, v71
	v_pk_fma_f32 v[74:75], v[128:129], v[112:113], v[72:73] op_sel_hi:[1,0,1]
	v_pk_mul_f32 v[70:71], v[172:173], v[70:71] op_sel_hi:[1,0]
	v_pk_add_f32 v[68:69], v[68:69], v[78:79]
	v_pk_fma_f32 v[72:73], v[128:129], v[112:113], v[72:73] neg_lo:[0,0,1] neg_hi:[0,0,1]
	s_delay_alu instid0(VALU_DEP_4) | instskip(NEXT) | instid1(VALU_DEP_4)
	v_mov_b32_e32 v73, v75
	v_pk_fma_f32 v[74:75], v[130:131], v[114:115], v[70:71] op_sel_hi:[1,0,1]
	s_delay_alu instid0(VALU_DEP_4) | instskip(SKIP_1) | instid1(VALU_DEP_3)
	v_pk_add_f32 v[68:69], v[68:69], v[76:77]
	v_pk_fma_f32 v[70:71], v[130:131], v[114:115], v[70:71] neg_lo:[0,0,1] neg_hi:[0,0,1]
	v_mov_b32_e32 v71, v75
	s_delay_alu instid0(VALU_DEP_3) | instskip(NEXT) | instid1(VALU_DEP_1)
	v_pk_add_f32 v[68:69], v[68:69], v[72:73]
	v_pk_add_f32 v[68:69], v[68:69], v[70:71]
	s_wait_loadcnt 0x0
	s_delay_alu instid0(VALU_DEP_1)
	v_pk_add_f32 v[68:69], v[164:165], v[68:69] neg_lo:[0,1] neg_hi:[0,1]
	scratch_store_b64 off, v[68:69], off offset:64
	s_wait_xcnt 0x0
	v_cmpx_lt_u32_e32 7, v0
	s_cbranch_execz .LBB32_197
; %bb.196:
	scratch_load_b64 v[68:69], off, off offset:56
	v_mov_b64_e32 v[70:71], 0
	scratch_store_b64 off, v[70:71], off offset:56
	s_wait_loadcnt 0x0
	ds_store_b64 v1, v[68:69]
.LBB32_197:
	s_wait_xcnt 0x0
	s_or_b32 exec_lo, exec_lo, s0
	s_wait_storecnt_dscnt 0x0
	s_barrier_signal -1
	s_barrier_wait -1
	s_clause 0xd
	scratch_load_b128 v[68:71], off, off offset:64
	scratch_load_b128 v[72:75], off, off offset:80
	;; [unrolled: 1-line block ×12, first 2 shown]
	scratch_load_b64 v[164:165], off, off offset:256
	scratch_load_b64 v[166:167], off, off offset:56
	v_mov_b32_e32 v3, 0
	ds_load_b128 v[116:119], v3 offset:464
	ds_load_b128 v[120:123], v3 offset:480
	;; [unrolled: 1-line block ×12, first 2 shown]
	ds_load_b64 v[168:169], v3 offset:528
	s_mov_b32 s0, exec_lo
	s_wait_dscnt 0xc
	v_dual_mov_b32 v170, v119 :: v_dual_mov_b32 v171, v118
	s_wait_dscnt 0x9
	v_dual_mov_b32 v172, v123 :: v_dual_mov_b32 v177, v130
	v_dual_mov_b32 v173, v122 :: v_dual_mov_b32 v174, v127
	;; [unrolled: 1-line block ×3, first 2 shown]
	s_wait_loadcnt_dscnt 0xd08
	v_dual_mul_f32 v7, v132, v69 :: v_dual_mul_f32 v39, v133, v69
	v_dual_mul_f32 v41, v135, v71 :: v_dual_mul_f32 v11, v134, v71
	s_wait_loadcnt_dscnt 0xc07
	v_mul_f32_e32 v13, v136, v73
	s_wait_loadcnt_dscnt 0xa05
	v_dual_mul_f32 v51, v145, v81 :: v_dual_fma_f32 v39, v132, v68, -v39
	v_dual_fmac_f32 v7, v133, v68 :: v_dual_mul_f32 v53, v147, v83
	v_dual_mul_f32 v43, v137, v73 :: v_dual_mul_f32 v45, v139, v75
	v_dual_fmac_f32 v11, v135, v70 :: v_dual_fma_f32 v41, v134, v70, -v41
	s_wait_loadcnt_dscnt 0x904
	s_delay_alu instid0(VALU_DEP_3) | instskip(SKIP_2) | instid1(VALU_DEP_3)
	v_dual_add_f32 v7, 0, v7 :: v_dual_mul_f32 v55, v149, v85
	v_dual_add_f32 v39, 0, v39 :: v_dual_fmac_f32 v13, v137, v72
	v_dual_mul_f32 v15, v138, v75 :: v_dual_mul_f32 v17, v140, v77
	v_dual_fma_f32 v43, v136, v72, -v43 :: v_dual_add_f32 v7, v7, v11
	s_delay_alu instid0(VALU_DEP_3) | instskip(SKIP_1) | instid1(VALU_DEP_4)
	v_dual_add_f32 v11, v39, v41 :: v_dual_fma_f32 v41, v138, v74, -v45
	v_dual_mul_f32 v47, v141, v77 :: v_dual_mul_f32 v49, v143, v79
	v_dual_fmac_f32 v15, v139, v74 :: v_dual_fmac_f32 v17, v141, v76
	s_delay_alu instid0(VALU_DEP_4) | instskip(NEXT) | instid1(VALU_DEP_4)
	v_add_f32_e32 v7, v7, v13
	v_add_f32_e32 v11, v11, v43
	v_dual_mul_f32 v19, v142, v79 :: v_dual_mul_f32 v21, v144, v81
	s_delay_alu instid0(VALU_DEP_3) | instskip(NEXT) | instid1(VALU_DEP_3)
	v_dual_fma_f32 v43, v140, v76, -v47 :: v_dual_add_f32 v7, v7, v15
	v_dual_add_f32 v11, v11, v41 :: v_dual_mul_f32 v23, v146, v83
	s_delay_alu instid0(VALU_DEP_3) | instskip(NEXT) | instid1(VALU_DEP_3)
	v_dual_mul_f32 v25, v148, v85 :: v_dual_fmac_f32 v19, v143, v78
	v_dual_fma_f32 v41, v142, v78, -v49 :: v_dual_add_f32 v7, v7, v17
	s_delay_alu instid0(VALU_DEP_3) | instskip(NEXT) | instid1(VALU_DEP_3)
	v_dual_fmac_f32 v21, v145, v80 :: v_dual_add_f32 v11, v11, v43
	v_dual_fmac_f32 v25, v149, v84 :: v_dual_mul_f32 v39, v151, v87
	s_wait_loadcnt_dscnt 0x803
	v_dual_mul_f32 v13, v153, v89 :: v_dual_mul_f32 v15, v155, v91
	s_delay_alu instid0(VALU_DEP_3) | instskip(NEXT) | instid1(VALU_DEP_3)
	v_dual_fma_f32 v43, v144, v80, -v51 :: v_dual_add_f32 v11, v11, v41
	v_fma_f32 v39, v150, v86, -v39
	v_dual_fma_f32 v41, v146, v82, -v53 :: v_dual_add_f32 v7, v7, v19
	v_dual_mul_f32 v27, v150, v87 :: v_dual_mul_f32 v29, v152, v89
	v_fmac_f32_e32 v23, v147, v82
	v_dual_add_f32 v11, v11, v43 :: v_dual_fma_f32 v15, v154, v90, -v15
	s_delay_alu instid0(VALU_DEP_4) | instskip(SKIP_4) | instid1(VALU_DEP_2)
	v_dual_fma_f32 v43, v148, v84, -v55 :: v_dual_add_f32 v7, v7, v21
	v_dual_fma_f32 v13, v152, v88, -v13 :: v_dual_mul_f32 v31, v154, v91
	s_wait_loadcnt_dscnt 0x702
	v_dual_mul_f32 v33, v156, v93 :: v_dual_mul_f32 v17, v157, v93
	v_dual_add_f32 v11, v11, v41 :: v_dual_fmac_f32 v29, v153, v88
	v_dual_add_f32 v7, v7, v23 :: v_dual_fmac_f32 v33, v157, v92
	s_wait_loadcnt_dscnt 0x601
	v_dual_mul_f32 v19, v159, v95 :: v_dual_mul_f32 v21, v161, v97
	v_dual_mul_f32 v35, v158, v95 :: v_dual_mul_f32 v37, v160, v97
	s_delay_alu instid0(VALU_DEP_3) | instskip(SKIP_4) | instid1(VALU_DEP_3)
	v_add_f32_e32 v7, v7, v25
	s_wait_loadcnt 0x5
	v_dual_mul_f32 v25, v117, v101 :: v_dual_mul_f32 v23, v163, v99
	v_add_f32_e32 v11, v11, v43
	v_dual_fmac_f32 v27, v151, v86 :: v_dual_fmac_f32 v37, v161, v96
	v_dual_fma_f32 v180, v116, v100, -v25 :: v_dual_mov_b32 v68, v103
	s_wait_loadcnt 0x4
	v_mov_b32_e32 v72, v107
	v_add_f32_e32 v11, v11, v39
	v_dual_mul_f32 v179, v162, v99 :: v_dual_mul_f32 v181, v116, v101
	v_pk_mul_f32 v[68:69], v[170:171], v[68:69] op_sel_hi:[1,0]
	v_fmac_f32_e32 v35, v159, v94
	s_delay_alu instid0(VALU_DEP_4) | instskip(NEXT) | instid1(VALU_DEP_4)
	v_dual_add_f32 v11, v11, v13 :: v_dual_fma_f32 v13, v156, v92, -v17
	v_fmac_f32_e32 v181, v117, v100
	s_delay_alu instid0(VALU_DEP_4) | instskip(SKIP_1) | instid1(VALU_DEP_4)
	v_pk_fma_f32 v[80:81], v[118:119], v[102:103], v[68:69] op_sel_hi:[1,0,1]
	v_fmac_f32_e32 v31, v155, v90
	v_add_f32_e32 v11, v11, v15
	v_pk_fma_f32 v[68:69], v[118:119], v[102:103], v[68:69] neg_lo:[0,0,1] neg_hi:[0,0,1]
	s_delay_alu instid0(VALU_DEP_4) | instskip(SKIP_1) | instid1(VALU_DEP_4)
	v_dual_fma_f32 v15, v158, v94, -v19 :: v_dual_mov_b32 v69, v81
	v_fmac_f32_e32 v179, v163, v98
	v_dual_add_f32 v11, v11, v13 :: v_dual_fma_f32 v13, v160, v96, -v21
	v_dual_add_f32 v7, v7, v27 :: v_dual_fma_f32 v178, v162, v98, -v23
	v_pk_mul_f32 v[70:71], v[120:121], v[104:105] op_sel:[1,1] op_sel_hi:[0,1]
	s_delay_alu instid0(VALU_DEP_3) | instskip(SKIP_1) | instid1(VALU_DEP_4)
	v_add_f32_e32 v11, v11, v15
	v_pk_mul_f32 v[72:73], v[172:173], v[72:73] op_sel_hi:[1,0]
	v_add_f32_e32 v7, v7, v29
	s_wait_loadcnt 0x3
	v_pk_mul_f32 v[74:75], v[124:125], v[108:109] op_sel:[1,1] op_sel_hi:[0,1]
	v_pk_fma_f32 v[82:83], v[120:121], v[104:105], v[70:71] op_sel_hi:[1,0,1]
	v_add_f32_e32 v76, v11, v13
	v_pk_fma_f32 v[70:71], v[120:121], v[104:105], v[70:71] neg_lo:[0,0,1] neg_hi:[0,0,1]
	v_add_f32_e32 v7, v7, v31
	s_delay_alu instid0(VALU_DEP_4) | instskip(SKIP_2) | instid1(VALU_DEP_4)
	v_dual_mov_b32 v78, v111 :: v_dual_mov_b32 v71, v83
	v_pk_fma_f32 v[82:83], v[122:123], v[106:107], v[72:73] op_sel_hi:[1,0,1]
	v_pk_fma_f32 v[72:73], v[122:123], v[106:107], v[72:73] neg_lo:[0,0,1] neg_hi:[0,0,1]
	v_add_f32_e32 v7, v7, v33
	s_delay_alu instid0(VALU_DEP_4) | instskip(SKIP_4) | instid1(VALU_DEP_1)
	v_pk_mul_f32 v[78:79], v[174:175], v[78:79] op_sel_hi:[1,0]
	s_wait_loadcnt 0x2
	v_pk_mul_f32 v[80:81], v[128:129], v[112:113] op_sel:[1,1] op_sel_hi:[0,1]
	v_mov_b32_e32 v73, v83
	v_add_f32_e32 v7, v7, v35
	v_add_f32_e32 v77, v7, v37
	s_delay_alu instid0(VALU_DEP_1) | instskip(NEXT) | instid1(VALU_DEP_1)
	v_pk_add_f32 v[76:77], v[76:77], v[178:179]
	v_pk_add_f32 v[76:77], v[76:77], v[180:181]
	s_delay_alu instid0(VALU_DEP_1) | instskip(SKIP_2) | instid1(VALU_DEP_3)
	v_pk_add_f32 v[68:69], v[76:77], v[68:69]
	v_pk_fma_f32 v[76:77], v[124:125], v[108:109], v[74:75] op_sel_hi:[1,0,1]
	v_pk_fma_f32 v[74:75], v[124:125], v[108:109], v[74:75] neg_lo:[0,0,1] neg_hi:[0,0,1]
	v_pk_add_f32 v[68:69], v[68:69], v[70:71]
	s_delay_alu instid0(VALU_DEP_3) | instskip(SKIP_2) | instid1(VALU_DEP_4)
	v_dual_mov_b32 v70, v115 :: v_dual_mov_b32 v75, v77
	v_pk_fma_f32 v[76:77], v[126:127], v[110:111], v[78:79] op_sel_hi:[1,0,1]
	v_pk_fma_f32 v[78:79], v[126:127], v[110:111], v[78:79] neg_lo:[0,0,1] neg_hi:[0,0,1]
	v_pk_add_f32 v[68:69], v[68:69], v[72:73]
	v_pk_fma_f32 v[72:73], v[128:129], v[112:113], v[80:81] op_sel_hi:[1,0,1]
	v_pk_mul_f32 v[70:71], v[176:177], v[70:71] op_sel_hi:[1,0]
	v_mov_b32_e32 v79, v77
	s_wait_loadcnt_dscnt 0x100
	v_pk_mul_f32 v[76:77], v[168:169], v[164:165] op_sel:[1,1] op_sel_hi:[0,1]
	v_pk_add_f32 v[68:69], v[68:69], v[74:75]
	v_pk_fma_f32 v[74:75], v[128:129], v[112:113], v[80:81] neg_lo:[0,0,1] neg_hi:[0,0,1]
	v_mov_b32_e32 v75, v73
	v_pk_fma_f32 v[72:73], v[130:131], v[114:115], v[70:71] op_sel_hi:[1,0,1]
	v_pk_fma_f32 v[70:71], v[130:131], v[114:115], v[70:71] neg_lo:[0,0,1] neg_hi:[0,0,1]
	v_pk_add_f32 v[68:69], v[68:69], v[78:79]
	s_delay_alu instid0(VALU_DEP_3) | instskip(SKIP_1) | instid1(VALU_DEP_3)
	v_mov_b32_e32 v71, v73
	v_pk_fma_f32 v[72:73], v[168:169], v[164:165], v[76:77] op_sel_hi:[1,0,1]
	v_pk_add_f32 v[68:69], v[68:69], v[74:75]
	v_pk_fma_f32 v[74:75], v[168:169], v[164:165], v[76:77] neg_lo:[0,0,1] neg_hi:[0,0,1]
	s_delay_alu instid0(VALU_DEP_3) | instskip(NEXT) | instid1(VALU_DEP_3)
	v_mov_b32_e32 v75, v73
	v_pk_add_f32 v[68:69], v[68:69], v[70:71]
	s_delay_alu instid0(VALU_DEP_1) | instskip(SKIP_1) | instid1(VALU_DEP_1)
	v_pk_add_f32 v[68:69], v[68:69], v[74:75]
	s_wait_loadcnt 0x0
	v_pk_add_f32 v[68:69], v[166:167], v[68:69] neg_lo:[0,1] neg_hi:[0,1]
	scratch_store_b64 off, v[68:69], off offset:56
	s_wait_xcnt 0x0
	v_cmpx_lt_u32_e32 6, v0
	s_cbranch_execz .LBB32_199
; %bb.198:
	scratch_load_b64 v[68:69], off, off offset:48
	v_mov_b64_e32 v[70:71], 0
	scratch_store_b64 off, v[70:71], off offset:48
	s_wait_loadcnt 0x0
	ds_store_b64 v1, v[68:69]
.LBB32_199:
	s_wait_xcnt 0x0
	s_or_b32 exec_lo, exec_lo, s0
	s_wait_storecnt_dscnt 0x0
	s_barrier_signal -1
	s_barrier_wait -1
	s_clause 0xd
	scratch_load_b128 v[68:71], off, off offset:56
	scratch_load_b128 v[72:75], off, off offset:72
	;; [unrolled: 1-line block ×13, first 2 shown]
	scratch_load_b64 v[172:173], off, off offset:48
	ds_load_2addr_b64 v[120:123], v3 offset0:59 offset1:60
	ds_load_2addr_b64 v[124:127], v3 offset0:61 offset1:62
	;; [unrolled: 1-line block ×13, first 2 shown]
	s_mov_b32 s0, exec_lo
	s_wait_dscnt 0xc
	v_dual_mov_b32 v174, v123 :: v_dual_mov_b32 v175, v122
	s_wait_dscnt 0xb
	v_dual_mov_b32 v176, v127 :: v_dual_mov_b32 v177, v126
	;; [unrolled: 2-line block ×4, first 2 shown]
	s_wait_loadcnt_dscnt 0xd08
	v_dual_mul_f32 v3, v136, v69 :: v_dual_mul_f32 v7, v138, v71
	v_dual_mul_f32 v39, v137, v69 :: v_dual_mul_f32 v41, v139, v71
	s_wait_loadcnt_dscnt 0xc07
	v_dual_mul_f32 v11, v140, v73 :: v_dual_mul_f32 v13, v142, v75
	s_delay_alu instid0(VALU_DEP_3)
	v_fmac_f32_e32 v3, v137, v68
	s_wait_loadcnt_dscnt 0xa05
	v_dual_fma_f32 v39, v136, v68, -v39 :: v_dual_mul_f32 v51, v149, v81
	v_dual_mul_f32 v43, v141, v73 :: v_dual_mul_f32 v45, v143, v75
	v_dual_fma_f32 v41, v138, v70, -v41 :: v_dual_fmac_f32 v7, v139, v70
	v_add_f32_e32 v3, 0, v3
	s_delay_alu instid0(VALU_DEP_4) | instskip(NEXT) | instid1(VALU_DEP_4)
	v_dual_add_f32 v39, 0, v39 :: v_dual_fmac_f32 v11, v141, v72
	v_dual_mul_f32 v53, v151, v83 :: v_dual_fma_f32 v43, v140, v72, -v43
	s_delay_alu instid0(VALU_DEP_3) | instskip(NEXT) | instid1(VALU_DEP_3)
	v_add_f32_e32 v3, v3, v7
	v_dual_add_f32 v7, v39, v41 :: v_dual_fma_f32 v41, v142, v74, -v45
	v_dual_mul_f32 v15, v144, v77 :: v_dual_mul_f32 v17, v146, v79
	v_dual_mul_f32 v47, v145, v77 :: v_dual_mul_f32 v49, v147, v79
	s_wait_loadcnt_dscnt 0x903
	v_dual_mul_f32 v39, v157, v85 :: v_dual_fmac_f32 v13, v143, v74
	s_delay_alu instid0(VALU_DEP_3) | instskip(SKIP_2) | instid1(VALU_DEP_3)
	v_dual_fmac_f32 v15, v145, v76 :: v_dual_add_f32 v3, v3, v11
	v_dual_add_f32 v7, v7, v43 :: v_dual_mul_f32 v19, v148, v81
	v_dual_mul_f32 v21, v150, v83 :: v_dual_fma_f32 v43, v144, v76, -v47
	v_add_f32_e32 v3, v3, v13
	s_wait_loadcnt_dscnt 0x802
	v_mul_f32_e32 v13, v161, v89
	v_add_f32_e32 v7, v7, v41
	v_dual_mul_f32 v11, v159, v87 :: v_dual_fma_f32 v41, v146, v78, -v49
	v_dual_mul_f32 v27, v160, v89 :: v_dual_mul_f32 v29, v162, v91
	s_delay_alu instid0(VALU_DEP_3) | instskip(SKIP_2) | instid1(VALU_DEP_3)
	v_dual_add_f32 v7, v7, v43 :: v_dual_fma_f32 v43, v148, v80, -v51
	v_dual_mul_f32 v23, v156, v85 :: v_dual_mul_f32 v25, v158, v87
	v_fmac_f32_e32 v17, v147, v78
	v_dual_add_f32 v7, v7, v41 :: v_dual_fmac_f32 v27, v161, v88
	v_dual_fmac_f32 v19, v149, v80 :: v_dual_add_f32 v3, v3, v15
	s_delay_alu instid0(VALU_DEP_2) | instskip(SKIP_2) | instid1(VALU_DEP_4)
	v_dual_fma_f32 v41, v150, v82, -v53 :: v_dual_add_f32 v7, v7, v43
	v_dual_fma_f32 v13, v160, v88, -v13 :: v_dual_mul_f32 v15, v163, v91
	v_fma_f32 v39, v156, v84, -v39
	v_dual_fmac_f32 v23, v157, v84 :: v_dual_add_f32 v3, v3, v17
	s_wait_loadcnt_dscnt 0x701
	v_dual_fma_f32 v11, v158, v86, -v11 :: v_dual_mul_f32 v17, v165, v93
	v_add_f32_e32 v7, v7, v41
	s_wait_loadcnt 0x5
	v_dual_mul_f32 v183, v152, v101 :: v_dual_mul_f32 v185, v154, v103
	v_fmac_f32_e32 v21, v151, v82
	s_delay_alu instid0(VALU_DEP_3) | instskip(SKIP_2) | instid1(VALU_DEP_3)
	v_dual_fma_f32 v17, v164, v92, -v17 :: v_dual_add_f32 v7, v7, v39
	v_dual_add_f32 v3, v3, v19 :: v_dual_mul_f32 v31, v164, v93
	v_dual_mul_f32 v33, v166, v95 :: v_dual_mul_f32 v19, v167, v95
	v_dual_fma_f32 v15, v162, v90, -v15 :: v_dual_add_f32 v7, v7, v11
	v_dual_fmac_f32 v183, v153, v100 :: v_dual_mul_f32 v11, v153, v101
	s_delay_alu instid0(VALU_DEP_4) | instskip(NEXT) | instid1(VALU_DEP_3)
	v_dual_add_f32 v3, v3, v21 :: v_dual_fmac_f32 v31, v165, v92
	v_add_f32_e32 v7, v7, v13
	s_wait_dscnt 0x0
	v_dual_mul_f32 v35, v168, v97 :: v_dual_mul_f32 v37, v170, v99
	v_fmac_f32_e32 v25, v159, v86
	v_add_f32_e32 v3, v3, v23
	v_add_f32_e32 v7, v7, v15
	s_delay_alu instid0(VALU_DEP_4) | instskip(SKIP_1) | instid1(VALU_DEP_4)
	v_dual_mul_f32 v23, v171, v99 :: v_dual_fmac_f32 v37, v171, v98
	v_fma_f32 v15, v166, v94, -v19
	v_dual_fmac_f32 v35, v169, v96 :: v_dual_add_f32 v3, v3, v25
	s_delay_alu instid0(VALU_DEP_4) | instskip(SKIP_2) | instid1(VALU_DEP_3)
	v_add_f32_e32 v7, v7, v17
	v_dual_fmac_f32 v29, v163, v90 :: v_dual_fma_f32 v182, v152, v100, -v11
	v_dual_mul_f32 v13, v155, v103 :: v_dual_fmac_f32 v185, v155, v102
	v_dual_add_f32 v7, v7, v15 :: v_dual_fma_f32 v15, v170, v98, -v23
	s_delay_alu instid0(VALU_DEP_2) | instskip(SKIP_3) | instid1(VALU_DEP_3)
	v_dual_add_f32 v3, v3, v27 :: v_dual_fma_f32 v184, v154, v102, -v13
	v_dual_mul_f32 v21, v169, v97 :: v_dual_fmac_f32 v33, v167, v94
	s_wait_loadcnt 0x4
	v_pk_mul_f32 v[68:69], v[120:121], v[104:105] op_sel:[1,1] op_sel_hi:[0,1]
	v_add_f32_e32 v3, v3, v29
	s_wait_loadcnt 0x3
	v_dual_mov_b32 v70, v107 :: v_dual_mov_b32 v74, v111
	v_fma_f32 v17, v168, v96, -v21
	v_pk_fma_f32 v[78:79], v[120:121], v[104:105], v[68:69] op_sel_hi:[1,0,1]
	v_add_f32_e32 v3, v3, v31
	s_delay_alu instid0(VALU_DEP_4)
	v_pk_mul_f32 v[70:71], v[174:175], v[70:71] op_sel_hi:[1,0]
	v_pk_fma_f32 v[68:69], v[120:121], v[104:105], v[68:69] neg_lo:[0,0,1] neg_hi:[0,0,1]
	v_add_f32_e32 v7, v7, v17
	v_pk_mul_f32 v[72:73], v[124:125], v[108:109] op_sel:[1,1] op_sel_hi:[0,1]
	v_add_f32_e32 v3, v3, v33
	v_mov_b32_e32 v69, v79
	v_pk_fma_f32 v[78:79], v[122:123], v[106:107], v[70:71] op_sel_hi:[1,0,1]
	v_add_f32_e32 v76, v7, v15
	v_pk_fma_f32 v[70:71], v[122:123], v[106:107], v[70:71] neg_lo:[0,0,1] neg_hi:[0,0,1]
	v_add_f32_e32 v3, v3, v35
	v_pk_fma_f32 v[82:83], v[124:125], v[108:109], v[72:73] op_sel_hi:[1,0,1]
	v_pk_mul_f32 v[74:75], v[176:177], v[74:75] op_sel_hi:[1,0]
	v_mov_b32_e32 v71, v79
	s_wait_loadcnt 0x2
	v_pk_mul_f32 v[80:81], v[128:129], v[112:113] op_sel:[1,1] op_sel_hi:[0,1]
	v_add_f32_e32 v77, v3, v37
	v_pk_fma_f32 v[72:73], v[124:125], v[108:109], v[72:73] neg_lo:[0,0,1] neg_hi:[0,0,1]
	v_mov_b32_e32 v73, v83
	v_pk_fma_f32 v[78:79], v[126:127], v[110:111], v[74:75] op_sel_hi:[1,0,1]
	v_pk_fma_f32 v[74:75], v[126:127], v[110:111], v[74:75] neg_lo:[0,0,1] neg_hi:[0,0,1]
	v_pk_add_f32 v[76:77], v[76:77], v[182:183]
	s_delay_alu instid0(VALU_DEP_1) | instskip(NEXT) | instid1(VALU_DEP_1)
	v_pk_add_f32 v[76:77], v[76:77], v[184:185]
	v_pk_add_f32 v[68:69], v[76:77], v[68:69]
	v_mov_b32_e32 v76, v115
	s_delay_alu instid0(VALU_DEP_2) | instskip(SKIP_1) | instid1(VALU_DEP_3)
	v_pk_add_f32 v[68:69], v[68:69], v[70:71]
	v_pk_fma_f32 v[70:71], v[128:129], v[112:113], v[80:81] op_sel_hi:[1,0,1]
	v_pk_mul_f32 v[76:77], v[178:179], v[76:77] op_sel_hi:[1,0]
	v_mov_b32_e32 v75, v79
	v_pk_fma_f32 v[78:79], v[128:129], v[112:113], v[80:81] neg_lo:[0,0,1] neg_hi:[0,0,1]
	v_pk_add_f32 v[68:69], v[68:69], v[72:73]
	v_mov_b32_e32 v79, v71
	v_pk_fma_f32 v[70:71], v[130:131], v[114:115], v[76:77] op_sel_hi:[1,0,1]
	s_wait_loadcnt 0x1
	v_pk_mul_f32 v[72:73], v[132:133], v[116:117] op_sel:[1,1] op_sel_hi:[0,1]
	v_mov_b32_e32 v70, v119
	v_pk_add_f32 v[68:69], v[68:69], v[74:75]
	v_pk_fma_f32 v[76:77], v[130:131], v[114:115], v[76:77] neg_lo:[0,0,1] neg_hi:[0,0,1]
	v_mov_b32_e32 v77, v71
	v_pk_fma_f32 v[74:75], v[132:133], v[116:117], v[72:73] op_sel_hi:[1,0,1]
	v_pk_mul_f32 v[70:71], v[180:181], v[70:71] op_sel_hi:[1,0]
	v_pk_add_f32 v[68:69], v[68:69], v[78:79]
	v_pk_fma_f32 v[72:73], v[132:133], v[116:117], v[72:73] neg_lo:[0,0,1] neg_hi:[0,0,1]
	s_delay_alu instid0(VALU_DEP_4) | instskip(NEXT) | instid1(VALU_DEP_4)
	v_mov_b32_e32 v73, v75
	v_pk_fma_f32 v[74:75], v[134:135], v[118:119], v[70:71] op_sel_hi:[1,0,1]
	s_delay_alu instid0(VALU_DEP_4) | instskip(SKIP_1) | instid1(VALU_DEP_3)
	v_pk_add_f32 v[68:69], v[68:69], v[76:77]
	v_pk_fma_f32 v[70:71], v[134:135], v[118:119], v[70:71] neg_lo:[0,0,1] neg_hi:[0,0,1]
	v_mov_b32_e32 v71, v75
	s_delay_alu instid0(VALU_DEP_3) | instskip(NEXT) | instid1(VALU_DEP_1)
	v_pk_add_f32 v[68:69], v[68:69], v[72:73]
	v_pk_add_f32 v[68:69], v[68:69], v[70:71]
	s_wait_loadcnt 0x0
	s_delay_alu instid0(VALU_DEP_1)
	v_pk_add_f32 v[68:69], v[172:173], v[68:69] neg_lo:[0,1] neg_hi:[0,1]
	scratch_store_b64 off, v[68:69], off offset:48
	s_wait_xcnt 0x0
	v_cmpx_lt_u32_e32 5, v0
	s_cbranch_execz .LBB32_201
; %bb.200:
	scratch_load_b64 v[68:69], off, off offset:40
	v_mov_b64_e32 v[70:71], 0
	scratch_store_b64 off, v[70:71], off offset:40
	s_wait_loadcnt 0x0
	ds_store_b64 v1, v[68:69]
.LBB32_201:
	s_wait_xcnt 0x0
	s_or_b32 exec_lo, exec_lo, s0
	s_wait_storecnt_dscnt 0x0
	s_barrier_signal -1
	s_barrier_wait -1
	s_clause 0xe
	scratch_load_b128 v[68:71], off, off offset:48
	scratch_load_b128 v[72:75], off, off offset:64
	scratch_load_b128 v[76:79], off, off offset:80
	scratch_load_b128 v[80:83], off, off offset:96
	scratch_load_b128 v[84:87], off, off offset:112
	scratch_load_b128 v[88:91], off, off offset:128
	scratch_load_b128 v[92:95], off, off offset:144
	scratch_load_b128 v[96:99], off, off offset:160
	scratch_load_b128 v[100:103], off, off offset:176
	scratch_load_b128 v[104:107], off, off offset:192
	scratch_load_b128 v[108:111], off, off offset:208
	scratch_load_b128 v[112:115], off, off offset:224
	scratch_load_b128 v[116:119], off, off offset:240
	scratch_load_b64 v[172:173], off, off offset:256
	scratch_load_b64 v[174:175], off, off offset:40
	v_mov_b32_e32 v3, 0
	ds_load_b128 v[120:123], v3 offset:464
	ds_load_b128 v[124:127], v3 offset:480
	;; [unrolled: 1-line block ×13, first 2 shown]
	ds_load_b64 v[176:177], v3 offset:528
	s_mov_b32 s0, exec_lo
	s_wait_dscnt 0xd
	v_dual_mov_b32 v178, v123 :: v_dual_mov_b32 v179, v122
	s_wait_dscnt 0xa
	v_dual_mov_b32 v180, v127 :: v_dual_mov_b32 v185, v134
	v_dual_mov_b32 v181, v126 :: v_dual_mov_b32 v182, v131
	v_dual_mov_b32 v183, v130 :: v_dual_mov_b32 v184, v135
	s_wait_loadcnt_dscnt 0xe09
	v_dual_mul_f32 v7, v136, v69 :: v_dual_mul_f32 v43, v137, v69
	v_dual_mul_f32 v45, v139, v71 :: v_dual_mul_f32 v11, v138, v71
	s_wait_loadcnt_dscnt 0xd08
	v_mul_f32_e32 v13, v140, v73
	s_wait_loadcnt_dscnt 0xb05
	v_dual_mul_f32 v55, v153, v81 :: v_dual_fma_f32 v43, v136, v68, -v43
	v_dual_fmac_f32 v7, v137, v68 :: v_dual_mul_f32 v57, v155, v83
	v_dual_mul_f32 v47, v141, v73 :: v_dual_mul_f32 v49, v143, v75
	v_dual_fmac_f32 v11, v139, v70 :: v_dual_fma_f32 v45, v138, v70, -v45
	s_wait_loadcnt_dscnt 0xa04
	s_delay_alu instid0(VALU_DEP_3) | instskip(SKIP_1) | instid1(VALU_DEP_2)
	v_dual_add_f32 v7, 0, v7 :: v_dual_mul_f32 v59, v157, v85
	v_dual_add_f32 v43, 0, v43 :: v_dual_fmac_f32 v13, v141, v72
	v_dual_fma_f32 v47, v140, v72, -v47 :: v_dual_add_f32 v7, v7, v11
	v_dual_mul_f32 v51, v145, v77 :: v_dual_mul_f32 v53, v147, v79
	s_delay_alu instid0(VALU_DEP_3) | instskip(SKIP_2) | instid1(VALU_DEP_3)
	v_dual_add_f32 v11, v43, v45 :: v_dual_fma_f32 v45, v142, v74, -v49
	v_dual_mul_f32 v15, v142, v75 :: v_dual_mul_f32 v17, v144, v77
	v_dual_mul_f32 v19, v146, v79 :: v_dual_mul_f32 v21, v152, v81
	v_add_f32_e32 v11, v11, v47
	v_dual_add_f32 v7, v7, v13 :: v_dual_fma_f32 v47, v144, v76, -v51
	v_dual_mul_f32 v23, v154, v83 :: v_dual_mul_f32 v25, v156, v85
	s_delay_alu instid0(VALU_DEP_3) | instskip(SKIP_1) | instid1(VALU_DEP_2)
	v_dual_add_f32 v11, v11, v45 :: v_dual_fmac_f32 v21, v153, v80
	v_dual_fmac_f32 v15, v143, v74 :: v_dual_fmac_f32 v17, v145, v76
	v_dual_fma_f32 v45, v146, v78, -v53 :: v_dual_add_f32 v11, v11, v47
	s_delay_alu instid0(VALU_DEP_4) | instskip(SKIP_1) | instid1(VALU_DEP_3)
	v_dual_fmac_f32 v25, v157, v84 :: v_dual_mul_f32 v43, v159, v87
	s_wait_loadcnt_dscnt 0x903
	v_dual_mul_f32 v13, v161, v89 :: v_dual_add_f32 v7, v7, v15
	v_dual_mul_f32 v15, v163, v91 :: v_dual_fma_f32 v47, v152, v80, -v55
	s_delay_alu instid0(VALU_DEP_3) | instskip(SKIP_1) | instid1(VALU_DEP_4)
	v_dual_add_f32 v11, v11, v45 :: v_dual_fma_f32 v43, v158, v86, -v43
	v_fmac_f32_e32 v19, v147, v78
	v_dual_add_f32 v7, v7, v17 :: v_dual_fma_f32 v45, v154, v82, -v57
	s_delay_alu instid0(VALU_DEP_3) | instskip(SKIP_2) | instid1(VALU_DEP_3)
	v_dual_add_f32 v11, v11, v47 :: v_dual_fma_f32 v15, v162, v90, -v15
	s_wait_loadcnt_dscnt 0x802
	v_dual_mul_f32 v31, v162, v91 :: v_dual_mul_f32 v33, v164, v93
	v_dual_add_f32 v7, v7, v19 :: v_dual_fma_f32 v47, v156, v84, -v59
	s_delay_alu instid0(VALU_DEP_3) | instskip(SKIP_1) | instid1(VALU_DEP_3)
	v_dual_add_f32 v11, v11, v45 :: v_dual_mul_f32 v27, v158, v87
	v_mul_f32_e32 v29, v160, v89
	v_dual_add_f32 v7, v7, v21 :: v_dual_fma_f32 v13, v160, v88, -v13
	s_wait_loadcnt_dscnt 0x701
	v_mul_f32_e32 v21, v169, v97
	v_dual_fmac_f32 v33, v165, v92 :: v_dual_add_f32 v11, v11, v47
	s_wait_loadcnt 0x6
	v_dual_mul_f32 v39, v170, v99 :: v_dual_mul_f32 v41, v148, v101
	v_dual_fmac_f32 v23, v155, v82 :: v_dual_fmac_f32 v29, v161, v88
	s_delay_alu instid0(VALU_DEP_3) | instskip(NEXT) | instid1(VALU_DEP_2)
	v_dual_add_f32 v11, v11, v43 :: v_dual_mul_f32 v17, v165, v93
	v_dual_fmac_f32 v41, v149, v100 :: v_dual_add_f32 v7, v7, v23
	v_mul_f32_e32 v19, v167, v95
	s_delay_alu instid0(VALU_DEP_3) | instskip(SKIP_4) | instid1(VALU_DEP_3)
	v_add_f32_e32 v11, v11, v13
	s_wait_loadcnt 0x5
	v_dual_mul_f32 v13, v121, v105 :: v_dual_mul_f32 v23, v171, v99
	v_dual_fma_f32 v17, v164, v92, -v17 :: v_dual_mul_f32 v35, v166, v95
	v_mul_f32_e32 v37, v168, v97
	v_dual_fma_f32 v188, v120, v104, -v13 :: v_dual_add_f32 v11, v11, v15
	v_fmac_f32_e32 v27, v159, v86
	v_add_f32_e32 v7, v7, v25
	v_dual_mul_f32 v25, v149, v101 :: v_dual_fma_f32 v15, v166, v94, -v19
	s_delay_alu instid0(VALU_DEP_4) | instskip(SKIP_3) | instid1(VALU_DEP_3)
	v_add_f32_e32 v11, v11, v17
	s_wait_loadcnt 0x4
	v_dual_mov_b32 v68, v107 :: v_dual_mov_b32 v72, v111
	v_dual_fmac_f32 v37, v169, v96 :: v_dual_add_f32 v7, v7, v27
	v_dual_fma_f32 v17, v168, v96, -v21 :: v_dual_add_f32 v11, v11, v15
	v_dual_mul_f32 v187, v150, v103 :: v_dual_mul_f32 v189, v120, v105
	v_mul_f32_e32 v27, v151, v103
	v_fmac_f32_e32 v31, v163, v90
	s_delay_alu instid0(VALU_DEP_4) | instskip(SKIP_1) | instid1(VALU_DEP_4)
	v_dual_fma_f32 v15, v170, v98, -v23 :: v_dual_add_f32 v11, v11, v17
	v_dual_fma_f32 v17, v148, v100, -v25 :: v_dual_add_f32 v7, v7, v29
	v_fma_f32 v186, v150, v102, -v27
	v_pk_mul_f32 v[68:69], v[178:179], v[68:69] op_sel_hi:[1,0]
	v_dual_fmac_f32 v189, v121, v104 :: v_dual_fmac_f32 v35, v167, v94
	v_fmac_f32_e32 v39, v171, v98
	v_add_f32_e32 v11, v11, v15
	s_delay_alu instid0(VALU_DEP_4) | instskip(SKIP_3) | instid1(VALU_DEP_4)
	v_pk_fma_f32 v[80:81], v[122:123], v[106:107], v[68:69] op_sel_hi:[1,0,1]
	v_add_f32_e32 v7, v7, v31
	v_pk_fma_f32 v[68:69], v[122:123], v[106:107], v[68:69] neg_lo:[0,0,1] neg_hi:[0,0,1]
	v_fmac_f32_e32 v187, v151, v102
	v_dual_add_f32 v76, v11, v17 :: v_dual_mov_b32 v69, v81
	s_delay_alu instid0(VALU_DEP_4)
	v_add_f32_e32 v7, v7, v33
	v_pk_mul_f32 v[70:71], v[124:125], v[108:109] op_sel:[1,1] op_sel_hi:[0,1]
	v_pk_mul_f32 v[72:73], v[180:181], v[72:73] op_sel_hi:[1,0]
	s_wait_loadcnt 0x3
	v_pk_mul_f32 v[74:75], v[128:129], v[112:113] op_sel:[1,1] op_sel_hi:[0,1]
	s_wait_loadcnt 0x2
	v_pk_mul_f32 v[80:81], v[132:133], v[116:117] op_sel:[1,1] op_sel_hi:[0,1]
	v_add_f32_e32 v7, v7, v35
	v_pk_fma_f32 v[82:83], v[124:125], v[108:109], v[70:71] op_sel_hi:[1,0,1]
	v_pk_fma_f32 v[70:71], v[124:125], v[108:109], v[70:71] neg_lo:[0,0,1] neg_hi:[0,0,1]
	v_mov_b32_e32 v78, v115
	s_delay_alu instid0(VALU_DEP_4) | instskip(NEXT) | instid1(VALU_DEP_4)
	v_add_f32_e32 v7, v7, v37
	v_mov_b32_e32 v71, v83
	v_pk_fma_f32 v[82:83], v[126:127], v[110:111], v[72:73] op_sel_hi:[1,0,1]
	v_pk_fma_f32 v[72:73], v[126:127], v[110:111], v[72:73] neg_lo:[0,0,1] neg_hi:[0,0,1]
	v_pk_mul_f32 v[78:79], v[182:183], v[78:79] op_sel_hi:[1,0]
	v_add_f32_e32 v7, v7, v39
	s_delay_alu instid0(VALU_DEP_4) | instskip(NEXT) | instid1(VALU_DEP_2)
	v_mov_b32_e32 v73, v83
	v_add_f32_e32 v77, v7, v41
	s_delay_alu instid0(VALU_DEP_1) | instskip(NEXT) | instid1(VALU_DEP_1)
	v_pk_add_f32 v[76:77], v[76:77], v[186:187]
	v_pk_add_f32 v[76:77], v[76:77], v[188:189]
	s_delay_alu instid0(VALU_DEP_1) | instskip(SKIP_2) | instid1(VALU_DEP_3)
	v_pk_add_f32 v[68:69], v[76:77], v[68:69]
	v_pk_fma_f32 v[76:77], v[128:129], v[112:113], v[74:75] op_sel_hi:[1,0,1]
	v_pk_fma_f32 v[74:75], v[128:129], v[112:113], v[74:75] neg_lo:[0,0,1] neg_hi:[0,0,1]
	v_pk_add_f32 v[68:69], v[68:69], v[70:71]
	s_delay_alu instid0(VALU_DEP_3) | instskip(SKIP_2) | instid1(VALU_DEP_4)
	v_dual_mov_b32 v70, v119 :: v_dual_mov_b32 v75, v77
	v_pk_fma_f32 v[76:77], v[130:131], v[114:115], v[78:79] op_sel_hi:[1,0,1]
	v_pk_fma_f32 v[78:79], v[130:131], v[114:115], v[78:79] neg_lo:[0,0,1] neg_hi:[0,0,1]
	v_pk_add_f32 v[68:69], v[68:69], v[72:73]
	v_pk_fma_f32 v[72:73], v[132:133], v[116:117], v[80:81] op_sel_hi:[1,0,1]
	v_pk_mul_f32 v[70:71], v[184:185], v[70:71] op_sel_hi:[1,0]
	v_mov_b32_e32 v79, v77
	s_wait_loadcnt_dscnt 0x100
	v_pk_mul_f32 v[76:77], v[176:177], v[172:173] op_sel:[1,1] op_sel_hi:[0,1]
	v_pk_add_f32 v[68:69], v[68:69], v[74:75]
	v_pk_fma_f32 v[74:75], v[132:133], v[116:117], v[80:81] neg_lo:[0,0,1] neg_hi:[0,0,1]
	v_mov_b32_e32 v75, v73
	v_pk_fma_f32 v[72:73], v[134:135], v[118:119], v[70:71] op_sel_hi:[1,0,1]
	v_pk_fma_f32 v[70:71], v[134:135], v[118:119], v[70:71] neg_lo:[0,0,1] neg_hi:[0,0,1]
	v_pk_add_f32 v[68:69], v[68:69], v[78:79]
	s_delay_alu instid0(VALU_DEP_3) | instskip(SKIP_1) | instid1(VALU_DEP_3)
	v_mov_b32_e32 v71, v73
	v_pk_fma_f32 v[72:73], v[176:177], v[172:173], v[76:77] op_sel_hi:[1,0,1]
	v_pk_add_f32 v[68:69], v[68:69], v[74:75]
	v_pk_fma_f32 v[74:75], v[176:177], v[172:173], v[76:77] neg_lo:[0,0,1] neg_hi:[0,0,1]
	s_delay_alu instid0(VALU_DEP_3) | instskip(NEXT) | instid1(VALU_DEP_3)
	v_mov_b32_e32 v75, v73
	v_pk_add_f32 v[68:69], v[68:69], v[70:71]
	s_delay_alu instid0(VALU_DEP_1) | instskip(SKIP_1) | instid1(VALU_DEP_1)
	v_pk_add_f32 v[68:69], v[68:69], v[74:75]
	s_wait_loadcnt 0x0
	v_pk_add_f32 v[68:69], v[174:175], v[68:69] neg_lo:[0,1] neg_hi:[0,1]
	scratch_store_b64 off, v[68:69], off offset:40
	s_wait_xcnt 0x0
	v_cmpx_lt_u32_e32 4, v0
	s_cbranch_execz .LBB32_203
; %bb.202:
	scratch_load_b64 v[68:69], off, off offset:32
	v_mov_b64_e32 v[70:71], 0
	scratch_store_b64 off, v[70:71], off offset:32
	s_wait_loadcnt 0x0
	ds_store_b64 v1, v[68:69]
.LBB32_203:
	s_wait_xcnt 0x0
	s_or_b32 exec_lo, exec_lo, s0
	s_wait_storecnt_dscnt 0x0
	s_barrier_signal -1
	s_barrier_wait -1
	s_clause 0xe
	scratch_load_b128 v[68:71], off, off offset:40
	scratch_load_b128 v[72:75], off, off offset:56
	;; [unrolled: 1-line block ×14, first 2 shown]
	scratch_load_b64 v[180:181], off, off offset:32
	ds_load_2addr_b64 v[124:127], v3 offset0:59 offset1:60
	ds_load_2addr_b64 v[128:131], v3 offset0:61 offset1:62
	;; [unrolled: 1-line block ×14, first 2 shown]
	s_mov_b32 s0, exec_lo
	s_wait_dscnt 0xd
	v_dual_mov_b32 v182, v127 :: v_dual_mov_b32 v183, v126
	s_wait_dscnt 0xc
	v_dual_mov_b32 v184, v131 :: v_dual_mov_b32 v185, v130
	;; [unrolled: 2-line block ×4, first 2 shown]
	s_wait_loadcnt_dscnt 0xe09
	v_dual_mul_f32 v3, v140, v69 :: v_dual_mul_f32 v7, v142, v71
	v_dual_mul_f32 v43, v141, v69 :: v_dual_mul_f32 v45, v143, v71
	s_wait_loadcnt_dscnt 0xd08
	v_dual_mul_f32 v11, v144, v73 :: v_dual_mul_f32 v13, v146, v75
	s_delay_alu instid0(VALU_DEP_3)
	v_fmac_f32_e32 v3, v141, v68
	s_wait_loadcnt_dscnt 0xb06
	v_dual_fma_f32 v43, v140, v68, -v43 :: v_dual_mul_f32 v55, v153, v81
	v_dual_mul_f32 v47, v145, v73 :: v_dual_mul_f32 v49, v147, v75
	v_dual_fma_f32 v45, v142, v70, -v45 :: v_dual_fmac_f32 v7, v143, v70
	v_add_f32_e32 v3, 0, v3
	s_delay_alu instid0(VALU_DEP_4) | instskip(NEXT) | instid1(VALU_DEP_4)
	v_dual_add_f32 v43, 0, v43 :: v_dual_fmac_f32 v11, v145, v72
	v_dual_mul_f32 v57, v155, v83 :: v_dual_fma_f32 v47, v144, v72, -v47
	s_delay_alu instid0(VALU_DEP_3) | instskip(NEXT) | instid1(VALU_DEP_3)
	v_add_f32_e32 v3, v3, v7
	v_dual_add_f32 v7, v43, v45 :: v_dual_fma_f32 v45, v146, v74, -v49
	v_dual_mul_f32 v15, v148, v77 :: v_dual_mul_f32 v17, v150, v79
	v_dual_mul_f32 v51, v149, v77 :: v_dual_mul_f32 v53, v151, v79
	s_wait_loadcnt_dscnt 0xa05
	v_dual_mul_f32 v43, v157, v85 :: v_dual_fmac_f32 v13, v147, v74
	s_delay_alu instid0(VALU_DEP_3) | instskip(SKIP_2) | instid1(VALU_DEP_3)
	v_dual_fmac_f32 v15, v149, v76 :: v_dual_add_f32 v3, v3, v11
	v_dual_add_f32 v7, v7, v47 :: v_dual_mul_f32 v19, v152, v81
	v_dual_mul_f32 v21, v154, v83 :: v_dual_fma_f32 v47, v148, v76, -v51
	v_add_f32_e32 v3, v3, v13
	s_wait_loadcnt_dscnt 0x904
	v_mul_f32_e32 v13, v161, v89
	v_add_f32_e32 v7, v7, v45
	v_dual_mul_f32 v11, v159, v87 :: v_dual_fma_f32 v45, v150, v78, -v53
	v_dual_mul_f32 v27, v160, v89 :: v_dual_mul_f32 v29, v162, v91
	s_delay_alu instid0(VALU_DEP_3) | instskip(SKIP_2) | instid1(VALU_DEP_3)
	v_dual_add_f32 v7, v7, v47 :: v_dual_fma_f32 v47, v152, v80, -v55
	v_dual_mul_f32 v23, v156, v85 :: v_dual_mul_f32 v25, v158, v87
	v_fmac_f32_e32 v17, v151, v78
	v_dual_add_f32 v7, v7, v45 :: v_dual_fmac_f32 v27, v161, v88
	v_dual_fmac_f32 v19, v153, v80 :: v_dual_add_f32 v3, v3, v15
	s_delay_alu instid0(VALU_DEP_2) | instskip(SKIP_2) | instid1(VALU_DEP_4)
	v_dual_fma_f32 v45, v154, v82, -v57 :: v_dual_add_f32 v7, v7, v47
	v_dual_fma_f32 v13, v160, v88, -v13 :: v_dual_mul_f32 v15, v163, v91
	v_fma_f32 v43, v156, v84, -v43
	v_dual_fmac_f32 v23, v157, v84 :: v_dual_add_f32 v3, v3, v17
	s_wait_loadcnt_dscnt 0x803
	v_dual_fma_f32 v11, v158, v86, -v11 :: v_dual_mul_f32 v17, v165, v93
	v_add_f32_e32 v7, v7, v45
	s_wait_loadcnt_dscnt 0x702
	v_dual_mul_f32 v35, v168, v97 :: v_dual_mul_f32 v37, v170, v99
	s_wait_loadcnt_dscnt 0x601
	v_dual_mul_f32 v39, v172, v101 :: v_dual_mul_f32 v41, v174, v103
	v_dual_fma_f32 v17, v164, v92, -v17 :: v_dual_add_f32 v7, v7, v43
	s_delay_alu instid0(VALU_DEP_3) | instskip(SKIP_2) | instid1(VALU_DEP_4)
	v_dual_fmac_f32 v35, v169, v96 :: v_dual_fmac_f32 v21, v155, v82
	v_dual_add_f32 v3, v3, v19 :: v_dual_mul_f32 v31, v164, v93
	v_mul_f32_e32 v33, v166, v95
	v_dual_add_f32 v7, v7, v11 :: v_dual_fmac_f32 v39, v173, v100
	s_wait_loadcnt_dscnt 0x500
	v_dual_mul_f32 v191, v176, v105 :: v_dual_mul_f32 v193, v178, v107
	v_dual_mul_f32 v19, v167, v95 :: v_dual_fma_f32 v15, v162, v90, -v15
	v_mul_f32_e32 v11, v173, v101
	v_dual_add_f32 v3, v3, v21 :: v_dual_fmac_f32 v31, v165, v92
	s_delay_alu instid0(VALU_DEP_4) | instskip(SKIP_1) | instid1(VALU_DEP_3)
	v_dual_add_f32 v7, v7, v13 :: v_dual_fmac_f32 v191, v177, v104
	v_dual_mul_f32 v21, v169, v97 :: v_dual_fmac_f32 v25, v159, v86
	v_dual_add_f32 v3, v3, v23 :: v_dual_fma_f32 v19, v166, v94, -v19
	s_delay_alu instid0(VALU_DEP_3) | instskip(NEXT) | instid1(VALU_DEP_3)
	v_add_f32_e32 v7, v7, v15
	v_dual_mul_f32 v23, v171, v99 :: v_dual_fma_f32 v21, v168, v96, -v21
	v_mul_f32_e32 v15, v177, v105
	s_delay_alu instid0(VALU_DEP_4) | instskip(NEXT) | instid1(VALU_DEP_4)
	v_add_f32_e32 v3, v3, v25
	v_add_f32_e32 v7, v7, v17
	v_dual_fmac_f32 v29, v163, v90 :: v_dual_fma_f32 v11, v172, v100, -v11
	v_dual_mul_f32 v13, v175, v103 :: v_dual_fmac_f32 v41, v175, v102
	s_delay_alu instid0(VALU_DEP_3) | instskip(NEXT) | instid1(VALU_DEP_2)
	v_dual_add_f32 v7, v7, v19 :: v_dual_fma_f32 v19, v170, v98, -v23
	v_dual_add_f32 v3, v3, v27 :: v_dual_fma_f32 v13, v174, v102, -v13
	v_dual_fmac_f32 v33, v167, v94 :: v_dual_fma_f32 v190, v176, v104, -v15
	v_fmac_f32_e32 v37, v171, v98
	s_delay_alu instid0(VALU_DEP_3)
	v_add_f32_e32 v3, v3, v29
	v_add_f32_e32 v7, v7, v21
	v_dual_mul_f32 v17, v179, v107 :: v_dual_fmac_f32 v193, v179, v106
	s_wait_loadcnt 0x4
	v_pk_mul_f32 v[68:69], v[124:125], v[108:109] op_sel:[1,1] op_sel_hi:[0,1]
	v_add_f32_e32 v3, v3, v31
	v_add_f32_e32 v7, v7, v19
	s_wait_loadcnt 0x3
	v_dual_mov_b32 v70, v111 :: v_dual_mov_b32 v74, v115
	s_delay_alu instid0(VALU_DEP_3) | instskip(NEXT) | instid1(VALU_DEP_3)
	v_dual_fma_f32 v192, v178, v106, -v17 :: v_dual_add_f32 v3, v3, v33
	v_add_f32_e32 v7, v7, v11
	v_pk_fma_f32 v[78:79], v[124:125], v[108:109], v[68:69] op_sel_hi:[1,0,1]
	s_delay_alu instid0(VALU_DEP_4)
	v_pk_mul_f32 v[70:71], v[182:183], v[70:71] op_sel_hi:[1,0]
	v_pk_fma_f32 v[68:69], v[124:125], v[108:109], v[68:69] neg_lo:[0,0,1] neg_hi:[0,0,1]
	v_add_f32_e32 v3, v3, v35
	v_add_f32_e32 v76, v7, v13
	v_pk_mul_f32 v[72:73], v[128:129], v[112:113] op_sel:[1,1] op_sel_hi:[0,1]
	v_mov_b32_e32 v69, v79
	v_pk_fma_f32 v[78:79], v[126:127], v[110:111], v[70:71] op_sel_hi:[1,0,1]
	v_add_f32_e32 v3, v3, v37
	v_pk_fma_f32 v[70:71], v[126:127], v[110:111], v[70:71] neg_lo:[0,0,1] neg_hi:[0,0,1]
	v_pk_fma_f32 v[82:83], v[128:129], v[112:113], v[72:73] op_sel_hi:[1,0,1]
	v_pk_mul_f32 v[74:75], v[184:185], v[74:75] op_sel_hi:[1,0]
	v_mov_b32_e32 v71, v79
	v_add_f32_e32 v3, v3, v39
	s_wait_loadcnt 0x2
	v_pk_mul_f32 v[80:81], v[132:133], v[116:117] op_sel:[1,1] op_sel_hi:[0,1]
	v_pk_fma_f32 v[72:73], v[128:129], v[112:113], v[72:73] neg_lo:[0,0,1] neg_hi:[0,0,1]
	v_mov_b32_e32 v73, v83
	v_pk_fma_f32 v[78:79], v[130:131], v[114:115], v[74:75] op_sel_hi:[1,0,1]
	v_add_f32_e32 v77, v3, v41
	v_pk_fma_f32 v[74:75], v[130:131], v[114:115], v[74:75] neg_lo:[0,0,1] neg_hi:[0,0,1]
	s_delay_alu instid0(VALU_DEP_2) | instskip(NEXT) | instid1(VALU_DEP_1)
	v_pk_add_f32 v[76:77], v[76:77], v[190:191]
	v_pk_add_f32 v[76:77], v[76:77], v[192:193]
	s_delay_alu instid0(VALU_DEP_1) | instskip(SKIP_1) | instid1(VALU_DEP_2)
	v_pk_add_f32 v[68:69], v[76:77], v[68:69]
	v_mov_b32_e32 v76, v119
	v_pk_add_f32 v[68:69], v[68:69], v[70:71]
	v_pk_fma_f32 v[70:71], v[132:133], v[116:117], v[80:81] op_sel_hi:[1,0,1]
	s_delay_alu instid0(VALU_DEP_3)
	v_pk_mul_f32 v[76:77], v[186:187], v[76:77] op_sel_hi:[1,0]
	v_mov_b32_e32 v75, v79
	v_pk_fma_f32 v[78:79], v[132:133], v[116:117], v[80:81] neg_lo:[0,0,1] neg_hi:[0,0,1]
	v_pk_add_f32 v[68:69], v[68:69], v[72:73]
	v_mov_b32_e32 v79, v71
	v_pk_fma_f32 v[70:71], v[134:135], v[118:119], v[76:77] op_sel_hi:[1,0,1]
	s_wait_loadcnt 0x1
	v_pk_mul_f32 v[72:73], v[136:137], v[120:121] op_sel:[1,1] op_sel_hi:[0,1]
	v_mov_b32_e32 v70, v123
	v_pk_add_f32 v[68:69], v[68:69], v[74:75]
	v_pk_fma_f32 v[76:77], v[134:135], v[118:119], v[76:77] neg_lo:[0,0,1] neg_hi:[0,0,1]
	v_mov_b32_e32 v77, v71
	v_pk_fma_f32 v[74:75], v[136:137], v[120:121], v[72:73] op_sel_hi:[1,0,1]
	v_pk_mul_f32 v[70:71], v[188:189], v[70:71] op_sel_hi:[1,0]
	v_pk_add_f32 v[68:69], v[68:69], v[78:79]
	v_pk_fma_f32 v[72:73], v[136:137], v[120:121], v[72:73] neg_lo:[0,0,1] neg_hi:[0,0,1]
	s_delay_alu instid0(VALU_DEP_4) | instskip(NEXT) | instid1(VALU_DEP_4)
	v_mov_b32_e32 v73, v75
	v_pk_fma_f32 v[74:75], v[138:139], v[122:123], v[70:71] op_sel_hi:[1,0,1]
	s_delay_alu instid0(VALU_DEP_4) | instskip(SKIP_1) | instid1(VALU_DEP_3)
	v_pk_add_f32 v[68:69], v[68:69], v[76:77]
	v_pk_fma_f32 v[70:71], v[138:139], v[122:123], v[70:71] neg_lo:[0,0,1] neg_hi:[0,0,1]
	v_mov_b32_e32 v71, v75
	s_delay_alu instid0(VALU_DEP_3) | instskip(NEXT) | instid1(VALU_DEP_1)
	v_pk_add_f32 v[68:69], v[68:69], v[72:73]
	v_pk_add_f32 v[68:69], v[68:69], v[70:71]
	s_wait_loadcnt 0x0
	s_delay_alu instid0(VALU_DEP_1)
	v_pk_add_f32 v[68:69], v[180:181], v[68:69] neg_lo:[0,1] neg_hi:[0,1]
	scratch_store_b64 off, v[68:69], off offset:32
	s_wait_xcnt 0x0
	v_cmpx_lt_u32_e32 3, v0
	s_cbranch_execz .LBB32_205
; %bb.204:
	scratch_load_b64 v[68:69], off, off offset:24
	v_mov_b64_e32 v[70:71], 0
	scratch_store_b64 off, v[70:71], off offset:24
	s_wait_loadcnt 0x0
	ds_store_b64 v1, v[68:69]
.LBB32_205:
	s_wait_xcnt 0x0
	s_or_b32 exec_lo, exec_lo, s0
	s_wait_storecnt_dscnt 0x0
	s_barrier_signal -1
	s_barrier_wait -1
	s_clause 0xf
	scratch_load_b128 v[68:71], off, off offset:32
	scratch_load_b128 v[72:75], off, off offset:48
	scratch_load_b128 v[76:79], off, off offset:64
	scratch_load_b128 v[80:83], off, off offset:80
	scratch_load_b128 v[84:87], off, off offset:96
	scratch_load_b128 v[88:91], off, off offset:112
	scratch_load_b128 v[92:95], off, off offset:128
	scratch_load_b128 v[96:99], off, off offset:144
	scratch_load_b128 v[100:103], off, off offset:160
	scratch_load_b128 v[104:107], off, off offset:176
	scratch_load_b128 v[108:111], off, off offset:192
	scratch_load_b128 v[112:115], off, off offset:208
	scratch_load_b128 v[116:119], off, off offset:224
	scratch_load_b128 v[120:123], off, off offset:240
	scratch_load_b64 v[180:181], off, off offset:256
	scratch_load_b64 v[182:183], off, off offset:24
	v_mov_b32_e32 v3, 0
	ds_load_b128 v[124:127], v3 offset:464
	ds_load_b128 v[128:131], v3 offset:480
	;; [unrolled: 1-line block ×14, first 2 shown]
	ds_load_b64 v[184:185], v3 offset:528
	s_mov_b32 s0, exec_lo
	s_wait_dscnt 0xe
	v_dual_mov_b32 v186, v127 :: v_dual_mov_b32 v187, v126
	s_wait_dscnt 0xb
	v_dual_mov_b32 v188, v131 :: v_dual_mov_b32 v193, v138
	v_dual_mov_b32 v189, v130 :: v_dual_mov_b32 v190, v135
	;; [unrolled: 1-line block ×3, first 2 shown]
	s_wait_loadcnt_dscnt 0xf0a
	v_dual_mul_f32 v7, v140, v69 :: v_dual_mul_f32 v47, v141, v69
	v_dual_mul_f32 v49, v143, v71 :: v_dual_mul_f32 v11, v142, v71
	s_wait_loadcnt_dscnt 0xe09
	v_mul_f32_e32 v13, v144, v73
	s_wait_loadcnt_dscnt 0xc07
	v_dual_mul_f32 v59, v153, v81 :: v_dual_fma_f32 v47, v140, v68, -v47
	v_dual_fmac_f32 v7, v141, v68 :: v_dual_mul_f32 v61, v155, v83
	v_dual_mul_f32 v51, v145, v73 :: v_dual_mul_f32 v53, v147, v75
	v_dual_fmac_f32 v11, v143, v70 :: v_dual_fma_f32 v49, v142, v70, -v49
	s_wait_loadcnt_dscnt 0xb06
	s_delay_alu instid0(VALU_DEP_3) | instskip(SKIP_1) | instid1(VALU_DEP_2)
	v_dual_add_f32 v7, 0, v7 :: v_dual_mul_f32 v63, v157, v85
	v_dual_add_f32 v47, 0, v47 :: v_dual_fmac_f32 v13, v145, v72
	v_dual_fma_f32 v51, v144, v72, -v51 :: v_dual_add_f32 v7, v7, v11
	v_dual_mul_f32 v55, v149, v77 :: v_dual_mul_f32 v57, v151, v79
	s_delay_alu instid0(VALU_DEP_3) | instskip(SKIP_2) | instid1(VALU_DEP_3)
	v_dual_add_f32 v11, v47, v49 :: v_dual_fma_f32 v49, v146, v74, -v53
	v_dual_mul_f32 v15, v146, v75 :: v_dual_mul_f32 v17, v148, v77
	v_dual_mul_f32 v19, v150, v79 :: v_dual_mul_f32 v21, v152, v81
	v_add_f32_e32 v11, v11, v51
	v_dual_add_f32 v7, v7, v13 :: v_dual_fma_f32 v51, v148, v76, -v55
	v_dual_mul_f32 v23, v154, v83 :: v_dual_mul_f32 v25, v156, v85
	s_delay_alu instid0(VALU_DEP_3) | instskip(SKIP_1) | instid1(VALU_DEP_2)
	v_dual_add_f32 v11, v11, v49 :: v_dual_fmac_f32 v21, v153, v80
	v_dual_fmac_f32 v15, v147, v74 :: v_dual_fmac_f32 v17, v149, v76
	v_dual_fma_f32 v49, v150, v78, -v57 :: v_dual_add_f32 v11, v11, v51
	s_delay_alu instid0(VALU_DEP_4) | instskip(SKIP_1) | instid1(VALU_DEP_3)
	v_dual_fmac_f32 v25, v157, v84 :: v_dual_mul_f32 v47, v159, v87
	s_wait_loadcnt_dscnt 0xa05
	v_dual_mul_f32 v13, v161, v89 :: v_dual_add_f32 v7, v7, v15
	v_dual_mul_f32 v15, v163, v91 :: v_dual_fma_f32 v51, v152, v80, -v59
	s_delay_alu instid0(VALU_DEP_3) | instskip(SKIP_1) | instid1(VALU_DEP_4)
	v_dual_add_f32 v11, v11, v49 :: v_dual_fma_f32 v47, v158, v86, -v47
	v_fmac_f32_e32 v19, v151, v78
	v_dual_add_f32 v7, v7, v17 :: v_dual_fma_f32 v49, v154, v82, -v61
	s_delay_alu instid0(VALU_DEP_3) | instskip(SKIP_2) | instid1(VALU_DEP_3)
	v_dual_add_f32 v11, v11, v51 :: v_dual_fma_f32 v15, v162, v90, -v15
	s_wait_loadcnt_dscnt 0x904
	v_dual_mul_f32 v31, v162, v91 :: v_dual_mul_f32 v33, v164, v93
	v_dual_add_f32 v7, v7, v19 :: v_dual_fma_f32 v51, v156, v84, -v63
	s_delay_alu instid0(VALU_DEP_3) | instskip(SKIP_4) | instid1(VALU_DEP_3)
	v_dual_add_f32 v11, v11, v49 :: v_dual_mul_f32 v27, v158, v87
	v_dual_mul_f32 v29, v160, v89 :: v_dual_mul_f32 v35, v166, v95
	s_wait_loadcnt_dscnt 0x803
	v_mul_f32_e32 v37, v168, v97
	v_dual_mul_f32 v17, v165, v93 :: v_dual_fmac_f32 v23, v155, v82
	v_dual_fmac_f32 v29, v161, v88 :: v_dual_add_f32 v7, v7, v21
	v_fma_f32 v13, v160, v88, -v13
	v_dual_fmac_f32 v33, v165, v92 :: v_dual_add_f32 v11, v11, v51
	s_delay_alu instid0(VALU_DEP_3) | instskip(SKIP_1) | instid1(VALU_DEP_3)
	v_dual_fmac_f32 v37, v169, v96 :: v_dual_add_f32 v7, v7, v23
	v_dual_mul_f32 v23, v171, v99 :: v_dual_fma_f32 v17, v164, v92, -v17
	v_add_f32_e32 v11, v11, v47
	s_wait_loadcnt_dscnt 0x601
	v_dual_mul_f32 v43, v174, v103 :: v_dual_mul_f32 v45, v176, v105
	s_wait_loadcnt 0x4
	v_dual_mov_b32 v68, v111 :: v_dual_mov_b32 v72, v115
	v_dual_add_f32 v11, v11, v13 :: v_dual_mul_f32 v195, v178, v107
	v_dual_mul_f32 v197, v124, v109 :: v_dual_mul_f32 v19, v167, v95
	s_delay_alu instid0(VALU_DEP_2) | instskip(NEXT) | instid1(VALU_DEP_3)
	v_dual_fmac_f32 v45, v177, v104 :: v_dual_add_f32 v11, v11, v15
	v_dual_mul_f32 v15, v179, v107 :: v_dual_fmac_f32 v195, v179, v106
	v_pk_mul_f32 v[68:69], v[186:187], v[68:69] op_sel_hi:[1,0]
	v_dual_mul_f32 v21, v169, v97 :: v_dual_fmac_f32 v27, v159, v86
	v_mul_f32_e32 v13, v177, v105
	v_add_f32_e32 v7, v7, v25
	v_dual_mul_f32 v25, v173, v101 :: v_dual_fma_f32 v19, v166, v94, -v19
	v_fma_f32 v194, v178, v106, -v15
	v_pk_fma_f32 v[80:81], v[126:127], v[110:111], v[68:69] op_sel_hi:[1,0,1]
	v_add_f32_e32 v11, v11, v17
	v_pk_fma_f32 v[68:69], v[126:127], v[110:111], v[68:69] neg_lo:[0,0,1] neg_hi:[0,0,1]
	v_dual_mul_f32 v39, v170, v99 :: v_dual_mul_f32 v41, v172, v101
	v_dual_mul_f32 v17, v125, v109 :: v_dual_add_f32 v7, v7, v27
	v_dual_fma_f32 v21, v168, v96, -v21 :: v_dual_mov_b32 v69, v81
	v_add_f32_e32 v11, v11, v19
	s_delay_alu instid0(VALU_DEP_4) | instskip(SKIP_2) | instid1(VALU_DEP_4)
	v_dual_mul_f32 v27, v175, v103 :: v_dual_fmac_f32 v41, v173, v100
	v_fmac_f32_e32 v31, v163, v90
	v_dual_add_f32 v7, v7, v29 :: v_dual_fma_f32 v19, v170, v98, -v23
	v_dual_add_f32 v11, v11, v21 :: v_dual_fma_f32 v21, v172, v100, -v25
	v_dual_fmac_f32 v35, v167, v94 :: v_dual_fmac_f32 v197, v125, v108
	s_delay_alu instid0(VALU_DEP_2) | instskip(NEXT) | instid1(VALU_DEP_4)
	v_dual_fma_f32 v13, v176, v104, -v13 :: v_dual_add_f32 v11, v11, v19
	v_dual_fma_f32 v19, v174, v102, -v27 :: v_dual_add_f32 v7, v7, v31
	v_dual_fma_f32 v196, v124, v108, -v17 :: v_dual_fmac_f32 v39, v171, v98
	v_fmac_f32_e32 v43, v175, v102
	s_delay_alu instid0(VALU_DEP_4) | instskip(NEXT) | instid1(VALU_DEP_4)
	v_add_f32_e32 v11, v11, v21
	v_add_f32_e32 v7, v7, v33
	v_pk_mul_f32 v[70:71], v[128:129], v[112:113] op_sel:[1,1] op_sel_hi:[0,1]
	v_pk_mul_f32 v[72:73], v[188:189], v[72:73] op_sel_hi:[1,0]
	s_wait_loadcnt 0x3
	v_pk_mul_f32 v[74:75], v[132:133], v[116:117] op_sel:[1,1] op_sel_hi:[0,1]
	v_add_f32_e32 v11, v11, v19
	v_add_f32_e32 v7, v7, v35
	v_pk_fma_f32 v[82:83], v[128:129], v[112:113], v[70:71] op_sel_hi:[1,0,1]
	v_pk_fma_f32 v[70:71], v[128:129], v[112:113], v[70:71] neg_lo:[0,0,1] neg_hi:[0,0,1]
	v_mov_b32_e32 v78, v119
	v_add_f32_e32 v76, v11, v13
	v_add_f32_e32 v7, v7, v37
	v_mov_b32_e32 v71, v83
	v_pk_fma_f32 v[82:83], v[130:131], v[114:115], v[72:73] op_sel_hi:[1,0,1]
	v_pk_fma_f32 v[72:73], v[130:131], v[114:115], v[72:73] neg_lo:[0,0,1] neg_hi:[0,0,1]
	v_pk_mul_f32 v[78:79], v[190:191], v[78:79] op_sel_hi:[1,0]
	v_add_f32_e32 v7, v7, v39
	s_wait_loadcnt 0x2
	v_pk_mul_f32 v[80:81], v[136:137], v[120:121] op_sel:[1,1] op_sel_hi:[0,1]
	v_mov_b32_e32 v73, v83
	s_delay_alu instid0(VALU_DEP_3) | instskip(NEXT) | instid1(VALU_DEP_1)
	v_add_f32_e32 v7, v7, v41
	v_add_f32_e32 v7, v7, v43
	s_delay_alu instid0(VALU_DEP_1) | instskip(NEXT) | instid1(VALU_DEP_1)
	v_add_f32_e32 v77, v7, v45
	v_pk_add_f32 v[76:77], v[76:77], v[194:195]
	s_delay_alu instid0(VALU_DEP_1) | instskip(NEXT) | instid1(VALU_DEP_1)
	v_pk_add_f32 v[76:77], v[76:77], v[196:197]
	v_pk_add_f32 v[68:69], v[76:77], v[68:69]
	v_pk_fma_f32 v[76:77], v[132:133], v[116:117], v[74:75] op_sel_hi:[1,0,1]
	v_pk_fma_f32 v[74:75], v[132:133], v[116:117], v[74:75] neg_lo:[0,0,1] neg_hi:[0,0,1]
	s_delay_alu instid0(VALU_DEP_3) | instskip(NEXT) | instid1(VALU_DEP_3)
	v_pk_add_f32 v[68:69], v[68:69], v[70:71]
	v_dual_mov_b32 v70, v123 :: v_dual_mov_b32 v75, v77
	v_pk_fma_f32 v[76:77], v[134:135], v[118:119], v[78:79] op_sel_hi:[1,0,1]
	v_pk_fma_f32 v[78:79], v[134:135], v[118:119], v[78:79] neg_lo:[0,0,1] neg_hi:[0,0,1]
	s_delay_alu instid0(VALU_DEP_4)
	v_pk_add_f32 v[68:69], v[68:69], v[72:73]
	v_pk_fma_f32 v[72:73], v[136:137], v[120:121], v[80:81] op_sel_hi:[1,0,1]
	v_pk_mul_f32 v[70:71], v[192:193], v[70:71] op_sel_hi:[1,0]
	v_mov_b32_e32 v79, v77
	s_wait_loadcnt_dscnt 0x100
	v_pk_mul_f32 v[76:77], v[184:185], v[180:181] op_sel:[1,1] op_sel_hi:[0,1]
	v_pk_add_f32 v[68:69], v[68:69], v[74:75]
	v_pk_fma_f32 v[74:75], v[136:137], v[120:121], v[80:81] neg_lo:[0,0,1] neg_hi:[0,0,1]
	v_mov_b32_e32 v75, v73
	v_pk_fma_f32 v[72:73], v[138:139], v[122:123], v[70:71] op_sel_hi:[1,0,1]
	v_pk_fma_f32 v[70:71], v[138:139], v[122:123], v[70:71] neg_lo:[0,0,1] neg_hi:[0,0,1]
	v_pk_add_f32 v[68:69], v[68:69], v[78:79]
	s_delay_alu instid0(VALU_DEP_3) | instskip(SKIP_1) | instid1(VALU_DEP_3)
	v_mov_b32_e32 v71, v73
	v_pk_fma_f32 v[72:73], v[184:185], v[180:181], v[76:77] op_sel_hi:[1,0,1]
	v_pk_add_f32 v[68:69], v[68:69], v[74:75]
	v_pk_fma_f32 v[74:75], v[184:185], v[180:181], v[76:77] neg_lo:[0,0,1] neg_hi:[0,0,1]
	s_delay_alu instid0(VALU_DEP_3) | instskip(NEXT) | instid1(VALU_DEP_3)
	v_mov_b32_e32 v75, v73
	v_pk_add_f32 v[68:69], v[68:69], v[70:71]
	s_delay_alu instid0(VALU_DEP_1) | instskip(SKIP_1) | instid1(VALU_DEP_1)
	v_pk_add_f32 v[68:69], v[68:69], v[74:75]
	s_wait_loadcnt 0x0
	v_pk_add_f32 v[68:69], v[182:183], v[68:69] neg_lo:[0,1] neg_hi:[0,1]
	scratch_store_b64 off, v[68:69], off offset:24
	s_wait_xcnt 0x0
	v_cmpx_lt_u32_e32 2, v0
	s_cbranch_execz .LBB32_207
; %bb.206:
	scratch_load_b64 v[68:69], off, off offset:16
	v_mov_b64_e32 v[70:71], 0
	scratch_store_b64 off, v[70:71], off offset:16
	s_wait_loadcnt 0x0
	ds_store_b64 v1, v[68:69]
.LBB32_207:
	s_wait_xcnt 0x0
	s_or_b32 exec_lo, exec_lo, s0
	s_wait_storecnt_dscnt 0x0
	s_barrier_signal -1
	s_barrier_wait -1
	s_clause 0xf
	scratch_load_b128 v[68:71], off, off offset:24
	scratch_load_b128 v[72:75], off, off offset:40
	scratch_load_b128 v[76:79], off, off offset:56
	scratch_load_b128 v[80:83], off, off offset:72
	scratch_load_b128 v[84:87], off, off offset:88
	scratch_load_b128 v[88:91], off, off offset:104
	scratch_load_b128 v[92:95], off, off offset:120
	scratch_load_b128 v[96:99], off, off offset:136
	scratch_load_b128 v[100:103], off, off offset:152
	scratch_load_b128 v[104:107], off, off offset:168
	scratch_load_b128 v[108:111], off, off offset:184
	scratch_load_b128 v[112:115], off, off offset:200
	scratch_load_b128 v[116:119], off, off offset:216
	scratch_load_b128 v[120:123], off, off offset:232
	scratch_load_b128 v[124:127], off, off offset:248
	scratch_load_b64 v[188:189], off, off offset:16
	ds_load_2addr_b64 v[128:131], v3 offset0:59 offset1:60
	ds_load_2addr_b64 v[132:135], v3 offset0:61 offset1:62
	;; [unrolled: 1-line block ×15, first 2 shown]
	s_mov_b32 s0, exec_lo
	s_wait_dscnt 0xe
	v_dual_mov_b32 v190, v131 :: v_dual_mov_b32 v191, v130
	s_wait_dscnt 0xd
	v_dual_mov_b32 v192, v135 :: v_dual_mov_b32 v193, v134
	;; [unrolled: 2-line block ×4, first 2 shown]
	s_wait_loadcnt_dscnt 0xf0a
	v_dual_mul_f32 v3, v144, v69 :: v_dual_mul_f32 v7, v146, v71
	v_dual_mul_f32 v47, v145, v69 :: v_dual_mul_f32 v49, v147, v71
	s_wait_loadcnt_dscnt 0xe09
	v_dual_mul_f32 v11, v148, v73 :: v_dual_mul_f32 v13, v150, v75
	s_delay_alu instid0(VALU_DEP_3)
	v_fmac_f32_e32 v3, v145, v68
	s_wait_loadcnt_dscnt 0xc06
	v_dual_fma_f32 v47, v144, v68, -v47 :: v_dual_mul_f32 v59, v161, v81
	v_dual_mul_f32 v51, v149, v73 :: v_dual_mul_f32 v53, v151, v75
	v_dual_fma_f32 v49, v146, v70, -v49 :: v_dual_fmac_f32 v7, v147, v70
	v_add_f32_e32 v3, 0, v3
	s_delay_alu instid0(VALU_DEP_4) | instskip(NEXT) | instid1(VALU_DEP_4)
	v_dual_add_f32 v47, 0, v47 :: v_dual_fmac_f32 v11, v149, v72
	v_dual_mul_f32 v61, v163, v83 :: v_dual_fma_f32 v51, v148, v72, -v51
	s_delay_alu instid0(VALU_DEP_3) | instskip(NEXT) | instid1(VALU_DEP_3)
	v_add_f32_e32 v3, v3, v7
	v_dual_add_f32 v7, v47, v49 :: v_dual_fma_f32 v49, v150, v74, -v53
	v_dual_mul_f32 v15, v156, v77 :: v_dual_mul_f32 v17, v158, v79
	v_dual_mul_f32 v55, v157, v77 :: v_dual_mul_f32 v57, v159, v79
	s_wait_loadcnt_dscnt 0xb05
	v_dual_mul_f32 v47, v165, v85 :: v_dual_fmac_f32 v13, v151, v74
	s_delay_alu instid0(VALU_DEP_3) | instskip(SKIP_2) | instid1(VALU_DEP_3)
	v_dual_fmac_f32 v15, v157, v76 :: v_dual_add_f32 v3, v3, v11
	v_dual_add_f32 v7, v7, v51 :: v_dual_mul_f32 v19, v160, v81
	v_dual_mul_f32 v21, v162, v83 :: v_dual_fma_f32 v51, v156, v76, -v55
	v_add_f32_e32 v3, v3, v13
	s_wait_loadcnt_dscnt 0xa04
	v_mul_f32_e32 v13, v169, v89
	v_add_f32_e32 v7, v7, v49
	v_dual_mul_f32 v11, v167, v87 :: v_dual_fma_f32 v49, v158, v78, -v57
	v_dual_mul_f32 v27, v168, v89 :: v_dual_mul_f32 v29, v170, v91
	s_delay_alu instid0(VALU_DEP_3) | instskip(SKIP_2) | instid1(VALU_DEP_3)
	v_dual_add_f32 v7, v7, v51 :: v_dual_fma_f32 v51, v160, v80, -v59
	v_dual_mul_f32 v23, v164, v85 :: v_dual_mul_f32 v25, v166, v87
	v_fmac_f32_e32 v17, v159, v78
	v_dual_add_f32 v7, v7, v49 :: v_dual_fmac_f32 v27, v169, v88
	v_dual_fmac_f32 v19, v161, v80 :: v_dual_add_f32 v3, v3, v15
	s_delay_alu instid0(VALU_DEP_2) | instskip(SKIP_2) | instid1(VALU_DEP_4)
	v_dual_fma_f32 v49, v162, v82, -v61 :: v_dual_add_f32 v7, v7, v51
	v_dual_fma_f32 v13, v168, v88, -v13 :: v_dual_mul_f32 v15, v171, v91
	v_fma_f32 v47, v164, v84, -v47
	v_dual_fmac_f32 v23, v165, v84 :: v_dual_add_f32 v3, v3, v17
	s_wait_loadcnt_dscnt 0x903
	v_dual_fma_f32 v11, v166, v86, -v11 :: v_dual_mul_f32 v17, v173, v93
	v_add_f32_e32 v7, v7, v49
	s_wait_loadcnt_dscnt 0x802
	v_dual_mul_f32 v35, v176, v97 :: v_dual_mul_f32 v37, v178, v99
	s_wait_loadcnt_dscnt 0x701
	v_dual_mul_f32 v39, v180, v101 :: v_dual_mul_f32 v41, v182, v103
	v_dual_fma_f32 v17, v172, v92, -v17 :: v_dual_add_f32 v7, v7, v47
	s_delay_alu instid0(VALU_DEP_3) | instskip(SKIP_2) | instid1(VALU_DEP_4)
	v_dual_fmac_f32 v35, v177, v96 :: v_dual_fmac_f32 v21, v163, v82
	v_add_f32_e32 v3, v3, v19
	v_dual_mul_f32 v19, v175, v95 :: v_dual_fma_f32 v15, v170, v90, -v15
	v_dual_add_f32 v7, v7, v11 :: v_dual_mul_f32 v31, v172, v93
	v_dual_mul_f32 v33, v174, v95 :: v_dual_mul_f32 v11, v181, v101
	s_delay_alu instid0(VALU_DEP_4) | instskip(NEXT) | instid1(VALU_DEP_3)
	v_add_f32_e32 v3, v3, v21
	v_add_f32_e32 v7, v7, v13
	v_dual_mul_f32 v13, v183, v103 :: v_dual_fmac_f32 v41, v183, v102
	v_dual_mul_f32 v21, v177, v97 :: v_dual_fmac_f32 v25, v167, v86
	s_delay_alu instid0(VALU_DEP_2) | instskip(NEXT) | instid1(VALU_DEP_4)
	v_dual_fmac_f32 v31, v173, v92 :: v_dual_fma_f32 v13, v182, v102, -v13
	v_add_f32_e32 v7, v7, v15
	v_dual_add_f32 v3, v3, v23 :: v_dual_fma_f32 v19, v174, v94, -v19
	s_delay_alu instid0(VALU_DEP_4) | instskip(NEXT) | instid1(VALU_DEP_3)
	v_dual_mul_f32 v23, v179, v99 :: v_dual_fma_f32 v21, v176, v96, -v21
	v_add_f32_e32 v7, v7, v17
	s_wait_loadcnt_dscnt 0x600
	v_mul_f32_e32 v15, v185, v105
	s_delay_alu instid0(VALU_DEP_3) | instskip(SKIP_2) | instid1(VALU_DEP_3)
	v_dual_add_f32 v3, v3, v25 :: v_dual_fma_f32 v23, v178, v98, -v23
	v_dual_fmac_f32 v29, v171, v90 :: v_dual_fmac_f32 v39, v181, v100
	v_add_f32_e32 v7, v7, v19
	v_dual_add_f32 v3, v3, v27 :: v_dual_fma_f32 v11, v180, v100, -v11
	v_dual_mul_f32 v43, v184, v105 :: v_dual_mul_f32 v45, v186, v107
	s_delay_alu instid0(VALU_DEP_3) | instskip(NEXT) | instid1(VALU_DEP_3)
	v_add_f32_e32 v7, v7, v21
	v_add_f32_e32 v3, v3, v29
	s_wait_loadcnt 0x5
	v_dual_mul_f32 v199, v152, v109 :: v_dual_mul_f32 v201, v154, v111
	v_fmac_f32_e32 v33, v175, v94
	v_add_f32_e32 v7, v7, v23
	v_dual_mul_f32 v17, v187, v107 :: v_dual_fmac_f32 v45, v187, v106
	v_dual_fmac_f32 v43, v185, v104 :: v_dual_add_f32 v3, v3, v31
	s_delay_alu instid0(VALU_DEP_3) | instskip(SKIP_2) | instid1(VALU_DEP_3)
	v_add_f32_e32 v7, v7, v11
	v_dual_mul_f32 v21, v155, v111 :: v_dual_fmac_f32 v201, v155, v110
	v_dual_fmac_f32 v199, v153, v108 :: v_dual_fmac_f32 v37, v179, v98
	v_dual_add_f32 v7, v7, v13 :: v_dual_fma_f32 v13, v186, v106, -v17
	s_delay_alu instid0(VALU_DEP_3) | instskip(SKIP_3) | instid1(VALU_DEP_3)
	v_dual_add_f32 v3, v3, v33 :: v_dual_fma_f32 v200, v154, v110, -v21
	v_dual_fma_f32 v11, v184, v104, -v15 :: v_dual_mul_f32 v19, v153, v109
	s_wait_loadcnt 0x4
	v_pk_mul_f32 v[68:69], v[128:129], v[112:113] op_sel:[1,1] op_sel_hi:[0,1]
	v_add_f32_e32 v3, v3, v35
	s_wait_loadcnt 0x3
	v_dual_mov_b32 v70, v115 :: v_dual_mov_b32 v74, v119
	v_dual_add_f32 v7, v7, v11 :: v_dual_fma_f32 v198, v152, v108, -v19
	s_delay_alu instid0(VALU_DEP_3) | instskip(SKIP_1) | instid1(VALU_DEP_4)
	v_add_f32_e32 v3, v3, v37
	v_pk_fma_f32 v[78:79], v[128:129], v[112:113], v[68:69] op_sel_hi:[1,0,1]
	v_pk_mul_f32 v[70:71], v[190:191], v[70:71] op_sel_hi:[1,0]
	s_delay_alu instid0(VALU_DEP_4)
	v_add_f32_e32 v76, v7, v13
	v_pk_fma_f32 v[68:69], v[128:129], v[112:113], v[68:69] neg_lo:[0,0,1] neg_hi:[0,0,1]
	v_add_f32_e32 v3, v3, v39
	v_pk_mul_f32 v[72:73], v[132:133], v[116:117] op_sel:[1,1] op_sel_hi:[0,1]
	v_mov_b32_e32 v69, v79
	v_pk_fma_f32 v[78:79], v[130:131], v[114:115], v[70:71] op_sel_hi:[1,0,1]
	v_pk_fma_f32 v[70:71], v[130:131], v[114:115], v[70:71] neg_lo:[0,0,1] neg_hi:[0,0,1]
	v_add_f32_e32 v3, v3, v41
	v_pk_fma_f32 v[82:83], v[132:133], v[116:117], v[72:73] op_sel_hi:[1,0,1]
	v_pk_mul_f32 v[74:75], v[192:193], v[74:75] op_sel_hi:[1,0]
	v_mov_b32_e32 v71, v79
	s_wait_loadcnt 0x2
	v_pk_mul_f32 v[80:81], v[136:137], v[120:121] op_sel:[1,1] op_sel_hi:[0,1]
	v_add_f32_e32 v3, v3, v43
	v_pk_fma_f32 v[72:73], v[132:133], v[116:117], v[72:73] neg_lo:[0,0,1] neg_hi:[0,0,1]
	v_mov_b32_e32 v73, v83
	v_pk_fma_f32 v[78:79], v[134:135], v[118:119], v[74:75] op_sel_hi:[1,0,1]
	v_pk_fma_f32 v[74:75], v[134:135], v[118:119], v[74:75] neg_lo:[0,0,1] neg_hi:[0,0,1]
	v_add_f32_e32 v77, v3, v45
	s_delay_alu instid0(VALU_DEP_1) | instskip(NEXT) | instid1(VALU_DEP_1)
	v_pk_add_f32 v[76:77], v[76:77], v[198:199]
	v_pk_add_f32 v[76:77], v[76:77], v[200:201]
	s_delay_alu instid0(VALU_DEP_1) | instskip(SKIP_1) | instid1(VALU_DEP_2)
	v_pk_add_f32 v[68:69], v[76:77], v[68:69]
	v_mov_b32_e32 v76, v123
	v_pk_add_f32 v[68:69], v[68:69], v[70:71]
	v_pk_fma_f32 v[70:71], v[136:137], v[120:121], v[80:81] op_sel_hi:[1,0,1]
	s_delay_alu instid0(VALU_DEP_3)
	v_pk_mul_f32 v[76:77], v[194:195], v[76:77] op_sel_hi:[1,0]
	v_mov_b32_e32 v75, v79
	v_pk_fma_f32 v[78:79], v[136:137], v[120:121], v[80:81] neg_lo:[0,0,1] neg_hi:[0,0,1]
	v_pk_add_f32 v[68:69], v[68:69], v[72:73]
	v_mov_b32_e32 v79, v71
	v_pk_fma_f32 v[70:71], v[138:139], v[122:123], v[76:77] op_sel_hi:[1,0,1]
	s_wait_loadcnt 0x1
	v_pk_mul_f32 v[72:73], v[140:141], v[124:125] op_sel:[1,1] op_sel_hi:[0,1]
	v_mov_b32_e32 v70, v127
	v_pk_add_f32 v[68:69], v[68:69], v[74:75]
	v_pk_fma_f32 v[76:77], v[138:139], v[122:123], v[76:77] neg_lo:[0,0,1] neg_hi:[0,0,1]
	v_mov_b32_e32 v77, v71
	v_pk_fma_f32 v[74:75], v[140:141], v[124:125], v[72:73] op_sel_hi:[1,0,1]
	v_pk_mul_f32 v[70:71], v[196:197], v[70:71] op_sel_hi:[1,0]
	v_pk_add_f32 v[68:69], v[68:69], v[78:79]
	v_pk_fma_f32 v[72:73], v[140:141], v[124:125], v[72:73] neg_lo:[0,0,1] neg_hi:[0,0,1]
	s_delay_alu instid0(VALU_DEP_4) | instskip(NEXT) | instid1(VALU_DEP_4)
	v_mov_b32_e32 v73, v75
	v_pk_fma_f32 v[74:75], v[142:143], v[126:127], v[70:71] op_sel_hi:[1,0,1]
	s_delay_alu instid0(VALU_DEP_4) | instskip(SKIP_1) | instid1(VALU_DEP_3)
	v_pk_add_f32 v[68:69], v[68:69], v[76:77]
	v_pk_fma_f32 v[70:71], v[142:143], v[126:127], v[70:71] neg_lo:[0,0,1] neg_hi:[0,0,1]
	v_mov_b32_e32 v71, v75
	s_delay_alu instid0(VALU_DEP_3) | instskip(NEXT) | instid1(VALU_DEP_1)
	v_pk_add_f32 v[68:69], v[68:69], v[72:73]
	v_pk_add_f32 v[68:69], v[68:69], v[70:71]
	s_wait_loadcnt 0x0
	s_delay_alu instid0(VALU_DEP_1)
	v_pk_add_f32 v[68:69], v[188:189], v[68:69] neg_lo:[0,1] neg_hi:[0,1]
	scratch_store_b64 off, v[68:69], off offset:16
	s_wait_xcnt 0x0
	v_cmpx_lt_u32_e32 1, v0
	s_cbranch_execz .LBB32_209
; %bb.208:
	scratch_load_b64 v[68:69], off, off offset:8
	v_mov_b64_e32 v[70:71], 0
	scratch_store_b64 off, v[70:71], off offset:8
	s_wait_loadcnt 0x0
	ds_store_b64 v1, v[68:69]
.LBB32_209:
	s_wait_xcnt 0x0
	s_or_b32 exec_lo, exec_lo, s0
	s_wait_storecnt_dscnt 0x0
	s_barrier_signal -1
	s_barrier_wait -1
	s_clause 0x10
	scratch_load_b128 v[70:73], off, off offset:16
	scratch_load_b128 v[74:77], off, off offset:32
	;; [unrolled: 1-line block ×15, first 2 shown]
	scratch_load_b64 v[190:191], off, off offset:256
	scratch_load_b64 v[192:193], off, off offset:8
	v_dual_mov_b32 v68, 0 :: v_dual_ashrrev_i32 v11, 31, v10
	ds_load_b128 v[130:133], v68 offset:448
	ds_load_b128 v[134:137], v68 offset:464
	;; [unrolled: 1-line block ×15, first 2 shown]
	ds_load_b64 v[194:195], v68 offset:528
	v_ashrrev_i32_e32 v39, 31, v38
	v_ashrrev_i32_e32 v43, 31, v42
	v_dual_ashrrev_i32 v3, 31, v2 :: v_dual_ashrrev_i32 v13, 31, v12
	v_dual_ashrrev_i32 v7, 31, v6 :: v_dual_ashrrev_i32 v17, 31, v16
	;; [unrolled: 1-line block ×6, first 2 shown]
	s_wait_dscnt 0xe
	v_dual_mov_b32 v196, v137 :: v_dual_mov_b32 v197, v136
	s_wait_dscnt 0xd
	v_dual_mov_b32 v198, v141 :: v_dual_mov_b32 v199, v140
	;; [unrolled: 2-line block ×4, first 2 shown]
	v_dual_ashrrev_i32 v31, 31, v30 :: v_dual_ashrrev_i32 v37, 31, v36
	v_dual_ashrrev_i32 v35, 31, v34 :: v_dual_ashrrev_i32 v41, 31, v40
	s_mov_b32 s0, exec_lo
	s_wait_loadcnt 0x10
	v_dual_mul_f32 v45, v150, v71 :: v_dual_mul_f32 v47, v152, v73
	v_dual_mul_f32 v53, v151, v71 :: v_dual_mul_f32 v55, v153, v73
	s_wait_loadcnt_dscnt 0xe08
	v_dual_mul_f32 v61, v158, v79 :: v_dual_mul_f32 v63, v160, v81
	v_dual_mul_f32 v65, v159, v79 :: v_dual_mul_f32 v67, v161, v81
	s_wait_loadcnt_dscnt 0xc06
	v_dual_mul_f32 v81, v166, v87 :: v_dual_mul_f32 v87, v167, v87
	v_fma_f32 v53, v150, v70, -v53
	s_wait_loadcnt 0x6
	v_dual_mul_f32 v213, v130, v111 :: v_dual_fmac_f32 v45, v151, v70
	v_dual_mul_f32 v49, v154, v75 :: v_dual_mul_f32 v51, v156, v77
	v_dual_mul_f32 v57, v155, v75 :: v_dual_mul_f32 v59, v157, v77
	v_dual_mul_f32 v70, v169, v89 :: v_dual_fma_f32 v55, v152, v72, -v55
	s_delay_alu instid0(VALU_DEP_4) | instskip(NEXT) | instid1(VALU_DEP_4)
	v_dual_fmac_f32 v47, v153, v72 :: v_dual_add_f32 v45, 0, v45
	v_dual_add_f32 v53, 0, v53 :: v_dual_fmac_f32 v49, v155, v74
	s_delay_alu instid0(VALU_DEP_4) | instskip(NEXT) | instid1(VALU_DEP_3)
	v_dual_mul_f32 v71, v132, v113 :: v_dual_fma_f32 v57, v154, v74, -v57
	v_add_f32_e32 v45, v45, v47
	s_delay_alu instid0(VALU_DEP_3) | instskip(SKIP_2) | instid1(VALU_DEP_3)
	v_dual_add_f32 v47, v53, v55 :: v_dual_fmac_f32 v61, v159, v78
	s_wait_loadcnt 0x5
	v_dual_mul_f32 v73, v134, v115 :: v_dual_fmac_f32 v51, v157, v76
	v_dual_fma_f32 v53, v156, v76, -v59 :: v_dual_add_f32 v45, v45, v49
	s_wait_dscnt 0x5
	v_mul_f32_e32 v49, v171, v91
	v_dual_add_f32 v47, v47, v57 :: v_dual_fma_f32 v55, v158, v78, -v65
	v_dual_mul_f32 v69, v162, v83 :: v_dual_mul_f32 v75, v164, v85
	s_delay_alu instid0(VALU_DEP_2) | instskip(SKIP_2) | instid1(VALU_DEP_3)
	v_dual_add_f32 v45, v45, v51 :: v_dual_add_f32 v47, v47, v53
	v_dual_mul_f32 v77, v163, v83 :: v_dual_mul_f32 v79, v165, v85
	v_dual_mul_f32 v51, v173, v93 :: v_dual_fma_f32 v53, v160, v80, -v67
	v_dual_fmac_f32 v63, v161, v80 :: v_dual_add_f32 v47, v47, v55
	s_wait_dscnt 0x4
	v_dual_add_f32 v45, v45, v61 :: v_dual_mul_f32 v55, v175, v95
	v_fmac_f32_e32 v69, v163, v82
	s_delay_alu instid0(VALU_DEP_3) | instskip(NEXT) | instid1(VALU_DEP_3)
	v_dual_fma_f32 v57, v162, v82, -v77 :: v_dual_add_f32 v47, v47, v53
	v_add_f32_e32 v45, v45, v63
	v_dual_mul_f32 v53, v177, v97 :: v_dual_fma_f32 v59, v164, v84, -v79
	s_delay_alu instid0(VALU_DEP_3) | instskip(SKIP_1) | instid1(VALU_DEP_3)
	v_dual_fmac_f32 v75, v165, v84 :: v_dual_add_f32 v47, v47, v57
	s_wait_dscnt 0x3
	v_dual_add_f32 v45, v45, v69 :: v_dual_mul_f32 v57, v179, v99
	v_dual_mul_f32 v83, v168, v89 :: v_dual_fmac_f32 v81, v167, v86
	s_delay_alu instid0(VALU_DEP_2) | instskip(SKIP_2) | instid1(VALU_DEP_4)
	v_dual_fma_f32 v61, v166, v86, -v87 :: v_dual_add_f32 v45, v45, v75
	v_dual_fma_f32 v63, v168, v88, -v70 :: v_dual_add_f32 v47, v47, v59
	v_dual_mul_f32 v59, v181, v101 :: v_dual_mul_f32 v85, v170, v91
	v_dual_mul_f32 v204, v172, v93 :: v_dual_fmac_f32 v83, v169, v88
	s_delay_alu instid0(VALU_DEP_3) | instskip(SKIP_3) | instid1(VALU_DEP_3)
	v_add_f32_e32 v47, v47, v61
	s_wait_dscnt 0x2
	v_dual_add_f32 v45, v45, v81 :: v_dual_mul_f32 v61, v183, v103
	v_fmac_f32_e32 v85, v171, v90
	v_dual_fma_f32 v49, v170, v90, -v49 :: v_dual_add_f32 v47, v47, v63
	s_delay_alu instid0(VALU_DEP_3) | instskip(SKIP_2) | instid1(VALU_DEP_4)
	v_add_f32_e32 v45, v45, v83
	v_dual_mul_f32 v205, v174, v95 :: v_dual_mul_f32 v206, v176, v97
	v_dual_mul_f32 v63, v185, v105 :: v_dual_fma_f32 v51, v172, v92, -v51
	v_dual_fmac_f32 v204, v173, v92 :: v_dual_add_f32 v47, v47, v49
	s_wait_dscnt 0x1
	v_dual_add_f32 v45, v45, v85 :: v_dual_mul_f32 v49, v187, v107
	v_dual_fmac_f32 v205, v175, v94 :: v_dual_fma_f32 v55, v174, v94, -v55
	s_delay_alu instid0(VALU_DEP_2) | instskip(SKIP_2) | instid1(VALU_DEP_3)
	v_dual_add_f32 v47, v47, v51 :: v_dual_add_f32 v45, v45, v204
	v_dual_mul_f32 v207, v178, v99 :: v_dual_mul_f32 v208, v180, v101
	v_dual_mul_f32 v51, v189, v109 :: v_dual_fma_f32 v53, v176, v96, -v53
	v_dual_fmac_f32 v206, v177, v96 :: v_dual_add_f32 v47, v47, v55
	s_delay_alu instid0(VALU_DEP_4) | instskip(NEXT) | instid1(VALU_DEP_4)
	v_dual_add_f32 v45, v45, v205 :: v_dual_mul_f32 v55, v131, v111
	v_dual_fmac_f32 v207, v179, v98 :: v_dual_fma_f32 v57, v178, v98, -v57
	s_delay_alu instid0(VALU_DEP_2) | instskip(SKIP_2) | instid1(VALU_DEP_3)
	v_dual_add_f32 v47, v47, v53 :: v_dual_add_f32 v45, v45, v206
	v_dual_mul_f32 v209, v182, v103 :: v_dual_mul_f32 v210, v184, v105
	v_dual_mul_f32 v53, v133, v113 :: v_dual_fma_f32 v59, v180, v100, -v59
	v_dual_fmac_f32 v208, v181, v100 :: v_dual_add_f32 v47, v47, v57
	s_delay_alu instid0(VALU_DEP_3) | instskip(SKIP_1) | instid1(VALU_DEP_2)
	v_dual_add_f32 v45, v45, v207 :: v_dual_fmac_f32 v209, v183, v102
	v_dual_mul_f32 v57, v135, v115 :: v_dual_fma_f32 v61, v182, v102, -v61
	v_dual_add_f32 v47, v47, v59 :: v_dual_add_f32 v45, v45, v208
	v_dual_mul_f32 v211, v186, v107 :: v_dual_mul_f32 v212, v188, v109
	v_dual_mov_b32 v72, v117 :: v_dual_fma_f32 v59, v184, v104, -v63
	s_delay_alu instid0(VALU_DEP_3) | instskip(NEXT) | instid1(VALU_DEP_3)
	v_dual_fmac_f32 v210, v185, v104 :: v_dual_add_f32 v47, v47, v61
	v_dual_add_f32 v45, v45, v209 :: v_dual_fmac_f32 v211, v187, v106
	s_delay_alu instid0(VALU_DEP_4) | instskip(SKIP_1) | instid1(VALU_DEP_3)
	v_dual_fma_f32 v49, v186, v106, -v49 :: v_dual_fmac_f32 v212, v189, v108
	v_fmac_f32_e32 v213, v131, v110
	v_dual_add_f32 v45, v45, v210 :: v_dual_fma_f32 v51, v188, v108, -v51
	s_wait_loadcnt 0x4
	v_dual_add_f32 v47, v47, v59 :: v_dual_mov_b32 v76, v121
	v_dual_fmac_f32 v71, v133, v112 :: v_dual_fma_f32 v70, v132, v112, -v53
	s_delay_alu instid0(VALU_DEP_2) | instskip(SKIP_3) | instid1(VALU_DEP_4)
	v_dual_add_f32 v45, v45, v211 :: v_dual_add_f32 v47, v47, v49
	v_fma_f32 v49, v130, v110, -v55
	v_pk_mul_f32 v[80:81], v[196:197], v[72:73] op_sel_hi:[1,0]
	v_pk_mul_f32 v[74:75], v[138:139], v[118:119] op_sel:[1,1] op_sel_hi:[0,1]
	v_dual_add_f32 v45, v45, v212 :: v_dual_add_f32 v47, v47, v51
	s_wait_loadcnt 0x3
	v_dual_mov_b32 v84, v125 :: v_dual_fmac_f32 v73, v135, v114
	v_pk_fma_f32 v[86:87], v[136:137], v[116:117], v[80:81] op_sel_hi:[1,0,1]
	s_delay_alu instid0(VALU_DEP_3) | instskip(SKIP_4) | instid1(VALU_DEP_4)
	v_add_f32_e32 v83, v45, v213
	v_dual_add_f32 v82, v47, v49 :: v_dual_fma_f32 v72, v134, v114, -v57
	v_pk_fma_f32 v[80:81], v[136:137], v[116:117], v[80:81] neg_lo:[0,0,1] neg_hi:[0,0,1]
	v_pk_mul_f32 v[76:77], v[198:199], v[76:77] op_sel_hi:[1,0]
	v_mov_b32_e32 v81, v87
	v_pk_add_f32 v[70:71], v[82:83], v[70:71]
	v_pk_fma_f32 v[82:83], v[138:139], v[118:119], v[74:75] op_sel_hi:[1,0,1]
	v_pk_fma_f32 v[74:75], v[138:139], v[118:119], v[74:75] neg_lo:[0,0,1] neg_hi:[0,0,1]
	v_pk_mul_f32 v[78:79], v[142:143], v[122:123] op_sel:[1,1] op_sel_hi:[0,1]
	v_pk_mul_f32 v[84:85], v[200:201], v[84:85] op_sel_hi:[1,0]
	v_pk_add_f32 v[70:71], v[70:71], v[72:73]
	v_mov_b32_e32 v75, v83
	v_pk_fma_f32 v[82:83], v[140:141], v[120:121], v[76:77] op_sel_hi:[1,0,1]
	v_pk_fma_f32 v[76:77], v[140:141], v[120:121], v[76:77] neg_lo:[0,0,1] neg_hi:[0,0,1]
	s_wait_loadcnt 0x2
	v_pk_mul_f32 v[72:73], v[146:147], v[126:127] op_sel:[1,1] op_sel_hi:[0,1]
	v_pk_add_f32 v[70:71], v[70:71], v[80:81]
	v_pk_fma_f32 v[80:81], v[142:143], v[122:123], v[78:79] op_sel_hi:[1,0,1]
	v_mov_b32_e32 v77, v83
	v_pk_fma_f32 v[78:79], v[142:143], v[122:123], v[78:79] neg_lo:[0,0,1] neg_hi:[0,0,1]
	v_pk_fma_f32 v[82:83], v[144:145], v[124:125], v[84:85] neg_lo:[0,0,1] neg_hi:[0,0,1]
	v_pk_add_f32 v[70:71], v[70:71], v[74:75]
	v_dual_mov_b32 v74, v129 :: v_dual_mov_b32 v79, v81
	v_pk_fma_f32 v[80:81], v[144:145], v[124:125], v[84:85] op_sel_hi:[1,0,1]
	v_ashrrev_i32_e32 v45, 31, v44
	s_delay_alu instid0(VALU_DEP_4)
	v_pk_add_f32 v[70:71], v[70:71], v[76:77]
	v_pk_fma_f32 v[76:77], v[146:147], v[126:127], v[72:73] op_sel_hi:[1,0,1]
	v_pk_mul_f32 v[74:75], v[202:203], v[74:75] op_sel_hi:[1,0]
	v_mov_b32_e32 v83, v81
	v_pk_fma_f32 v[72:73], v[146:147], v[126:127], v[72:73] neg_lo:[0,0,1] neg_hi:[0,0,1]
	v_pk_add_f32 v[70:71], v[70:71], v[78:79]
	v_dual_mov_b32 v73, v77 :: v_dual_ashrrev_i32 v47, 31, v46
	v_pk_fma_f32 v[76:77], v[148:149], v[128:129], v[74:75] op_sel_hi:[1,0,1]
	s_wait_loadcnt_dscnt 0x100
	v_pk_mul_f32 v[78:79], v[194:195], v[190:191] op_sel:[1,1] op_sel_hi:[0,1]
	v_pk_add_f32 v[70:71], v[70:71], v[82:83]
	v_pk_fma_f32 v[74:75], v[148:149], v[128:129], v[74:75] neg_lo:[0,0,1] neg_hi:[0,0,1]
	v_dual_ashrrev_i32 v49, 31, v48 :: v_dual_mov_b32 v75, v77
	s_delay_alu instid0(VALU_DEP_4) | instskip(NEXT) | instid1(VALU_DEP_4)
	v_pk_fma_f32 v[76:77], v[194:195], v[190:191], v[78:79] neg_lo:[0,0,1] neg_hi:[0,0,1]
	v_pk_add_f32 v[70:71], v[70:71], v[72:73]
	v_pk_fma_f32 v[72:73], v[194:195], v[190:191], v[78:79] op_sel_hi:[1,0,1]
	v_dual_ashrrev_i32 v51, 31, v50 :: v_dual_ashrrev_i32 v53, 31, v52
	v_ashrrev_i32_e32 v55, 31, v54
	s_delay_alu instid0(VALU_DEP_4) | instskip(NEXT) | instid1(VALU_DEP_4)
	v_pk_add_f32 v[70:71], v[70:71], v[74:75]
	v_dual_mov_b32 v77, v73 :: v_dual_ashrrev_i32 v57, 31, v56
	v_dual_ashrrev_i32 v59, 31, v58 :: v_dual_ashrrev_i32 v61, 31, v60
	v_ashrrev_i32_e32 v63, 31, v62
	s_delay_alu instid0(VALU_DEP_3) | instskip(SKIP_2) | instid1(VALU_DEP_2)
	v_pk_add_f32 v[70:71], v[70:71], v[76:77]
	v_dual_ashrrev_i32 v65, 31, v64 :: v_dual_ashrrev_i32 v67, 31, v66
	s_wait_loadcnt 0x0
	v_pk_add_f32 v[70:71], v[192:193], v[70:71] neg_lo:[0,1] neg_hi:[0,1]
	scratch_store_b64 off, v[70:71], off offset:8
	s_wait_xcnt 0x0
	v_cmpx_ne_u32_e32 0, v0
	s_cbranch_execz .LBB32_211
; %bb.210:
	scratch_load_b64 v[70:71], off, off
	v_mov_b64_e32 v[72:73], 0
	scratch_store_b64 off, v[72:73], off
	s_wait_loadcnt 0x0
	ds_store_b64 v1, v[70:71]
.LBB32_211:
	s_wait_xcnt 0x0
	s_or_b32 exec_lo, exec_lo, s0
	s_wait_storecnt_dscnt 0x0
	s_barrier_signal -1
	s_barrier_wait -1
	s_clause 0x10
	scratch_load_b128 v[70:73], off, off offset:8
	scratch_load_b128 v[74:77], off, off offset:24
	;; [unrolled: 1-line block ×16, first 2 shown]
	scratch_load_b64 v[0:1], off, off
	ds_load_2addr_b64 v[134:137], v68 offset0:59 offset1:60
	ds_load_2addr_b64 v[138:141], v68 offset0:61 offset1:62
	;; [unrolled: 1-line block ×16, first 2 shown]
	s_and_b32 vcc_lo, exec_lo, s18
	s_wait_dscnt 0xf
	v_dual_mov_b32 v68, v137 :: v_dual_mov_b32 v69, v136
	s_wait_dscnt 0xe
	v_dual_mov_b32 v198, v141 :: v_dual_mov_b32 v199, v140
	;; [unrolled: 2-line block ×4, first 2 shown]
	s_wait_loadcnt_dscnt 0x100b
	v_dual_mul_f32 v204, v150, v71 :: v_dual_mul_f32 v206, v152, v73
	v_dual_mul_f32 v71, v151, v71 :: v_dual_mul_f32 v73, v153, v73
	s_wait_loadcnt_dscnt 0xd08
	v_dual_mul_f32 v212, v162, v83 :: v_dual_mul_f32 v213, v164, v85
	v_mul_f32_e32 v83, v163, v83
	s_delay_alu instid0(VALU_DEP_3)
	v_dual_fmac_f32 v204, v151, v70 :: v_dual_fma_f32 v70, v150, v70, -v71
	v_dual_mul_f32 v208, v154, v75 :: v_dual_mul_f32 v209, v156, v77
	v_dual_mul_f32 v75, v155, v75 :: v_dual_mul_f32 v77, v157, v77
	v_mul_f32_e32 v71, v165, v85
	v_dual_fmac_f32 v206, v153, v72 :: v_dual_fma_f32 v72, v152, v72, -v73
	v_dual_add_f32 v73, 0, v204 :: v_dual_add_f32 v70, 0, v70
	s_wait_loadcnt_dscnt 0xc07
	v_mul_f32_e32 v85, v167, v87
	v_dual_fmac_f32 v208, v155, v74 :: v_dual_fma_f32 v74, v154, v74, -v75
	s_delay_alu instid0(VALU_DEP_3) | instskip(SKIP_3) | instid1(VALU_DEP_3)
	v_dual_add_f32 v73, v73, v206 :: v_dual_fma_f32 v75, v156, v76, -v77
	v_add_f32_e32 v70, v70, v72
	v_dual_mul_f32 v210, v158, v79 :: v_dual_mul_f32 v211, v160, v81
	v_dual_mul_f32 v79, v159, v79 :: v_dual_mul_f32 v81, v161, v81
	v_dual_mul_f32 v72, v169, v89 :: v_dual_add_f32 v70, v70, v74
	s_wait_loadcnt_dscnt 0xb06
	v_dual_fmac_f32 v209, v157, v76 :: v_dual_mul_f32 v74, v171, v91
	v_dual_add_f32 v73, v73, v208 :: v_dual_fmac_f32 v210, v159, v78
	v_fma_f32 v76, v158, v78, -v79
	v_dual_add_f32 v70, v70, v75 :: v_dual_mul_f32 v75, v173, v93
	s_delay_alu instid0(VALU_DEP_3) | instskip(SKIP_2) | instid1(VALU_DEP_3)
	v_add_f32_e32 v73, v73, v209
	v_dual_fmac_f32 v211, v161, v80 :: v_dual_fma_f32 v77, v160, v80, -v81
	s_wait_loadcnt_dscnt 0xa05
	v_dual_add_f32 v70, v70, v76 :: v_dual_mul_f32 v76, v175, v95
	v_fma_f32 v78, v162, v82, -v83
	v_add_f32_e32 v73, v73, v210
	s_delay_alu instid0(VALU_DEP_3) | instskip(SKIP_1) | instid1(VALU_DEP_3)
	v_dual_fmac_f32 v212, v163, v82 :: v_dual_add_f32 v70, v70, v77
	v_dual_fmac_f32 v213, v165, v84 :: v_dual_mul_f32 v214, v166, v87
	v_dual_mul_f32 v215, v168, v89 :: v_dual_add_f32 v73, v73, v211
	v_dual_mul_f32 v77, v177, v97 :: v_dual_fma_f32 v71, v164, v84, -v71
	s_wait_loadcnt_dscnt 0x904
	v_dual_add_f32 v70, v70, v78 :: v_dual_mul_f32 v78, v179, v99
	s_delay_alu instid0(VALU_DEP_3) | instskip(NEXT) | instid1(VALU_DEP_2)
	v_dual_fma_f32 v79, v166, v86, -v85 :: v_dual_add_f32 v73, v73, v212
	v_dual_fmac_f32 v214, v167, v86 :: v_dual_add_f32 v70, v70, v71
	v_dual_mul_f32 v71, v181, v101 :: v_dual_mul_f32 v216, v170, v91
	v_mul_f32_e32 v217, v172, v93
	s_delay_alu instid0(VALU_DEP_4)
	v_add_f32_e32 v73, v73, v213
	v_dual_fmac_f32 v215, v169, v88 :: v_dual_fma_f32 v72, v168, v88, -v72
	v_add_f32_e32 v70, v70, v79
	s_wait_loadcnt_dscnt 0x803
	v_dual_mul_f32 v79, v183, v103 :: v_dual_fma_f32 v74, v170, v90, -v74
	v_add_f32_e32 v73, v73, v214
	s_delay_alu instid0(VALU_DEP_3) | instskip(SKIP_1) | instid1(VALU_DEP_3)
	v_dual_fmac_f32 v216, v171, v90 :: v_dual_add_f32 v70, v70, v72
	v_dual_mul_f32 v72, v185, v105 :: v_dual_mul_f32 v218, v174, v95
	v_dual_mul_f32 v219, v176, v97 :: v_dual_add_f32 v73, v73, v215
	v_dual_fmac_f32 v217, v173, v92 :: v_dual_fma_f32 v75, v172, v92, -v75
	s_wait_loadcnt_dscnt 0x702
	v_dual_add_f32 v70, v70, v74 :: v_dual_mul_f32 v74, v187, v107
	s_delay_alu instid0(VALU_DEP_3) | instskip(NEXT) | instid1(VALU_DEP_2)
	v_dual_fma_f32 v76, v174, v94, -v76 :: v_dual_add_f32 v73, v73, v216
	v_dual_fmac_f32 v218, v175, v94 :: v_dual_add_f32 v70, v70, v75
	v_dual_mul_f32 v75, v189, v109 :: v_dual_mul_f32 v220, v178, v99
	v_mul_f32_e32 v221, v180, v101
	s_delay_alu instid0(VALU_DEP_4)
	v_add_f32_e32 v73, v73, v217
	v_dual_fmac_f32 v219, v177, v96 :: v_dual_fma_f32 v77, v176, v96, -v77
	s_wait_loadcnt_dscnt 0x601
	v_dual_add_f32 v70, v70, v76 :: v_dual_mul_f32 v76, v191, v111
	v_fma_f32 v78, v178, v98, -v78
	v_add_f32_e32 v73, v73, v218
	s_delay_alu instid0(VALU_DEP_3) | instskip(SKIP_1) | instid1(VALU_DEP_3)
	v_dual_fmac_f32 v220, v179, v98 :: v_dual_add_f32 v70, v70, v77
	v_dual_fmac_f32 v221, v181, v100 :: v_dual_mul_f32 v222, v182, v103
	v_dual_mul_f32 v223, v184, v105 :: v_dual_add_f32 v73, v73, v219
	v_dual_mul_f32 v77, v193, v113 :: v_dual_fma_f32 v71, v180, v100, -v71
	s_wait_loadcnt_dscnt 0x500
	v_dual_add_f32 v70, v70, v78 :: v_dual_mul_f32 v80, v195, v115
	s_delay_alu instid0(VALU_DEP_3) | instskip(NEXT) | instid1(VALU_DEP_2)
	v_dual_fma_f32 v78, v182, v102, -v79 :: v_dual_add_f32 v73, v73, v220
	v_dual_fmac_f32 v222, v183, v102 :: v_dual_add_f32 v70, v70, v71
	v_dual_mul_f32 v82, v197, v117 :: v_dual_mul_f32 v224, v186, v107
	v_mul_f32_e32 v225, v188, v109
	s_delay_alu instid0(VALU_DEP_4) | instskip(SKIP_3) | instid1(VALU_DEP_4)
	v_add_f32_e32 v73, v73, v221
	v_dual_fmac_f32 v223, v185, v104 :: v_dual_fma_f32 v72, v184, v104, -v72
	v_add_f32_e32 v78, v70, v78
	v_dual_fmac_f32 v224, v187, v106 :: v_dual_fma_f32 v74, v186, v106, -v74
	v_dual_add_f32 v73, v73, v222 :: v_dual_mul_f32 v226, v190, v111
	s_delay_alu instid0(VALU_DEP_3) | instskip(SKIP_2) | instid1(VALU_DEP_3)
	v_dual_mul_f32 v227, v192, v113 :: v_dual_add_f32 v78, v78, v72
	s_wait_loadcnt 0x4
	v_dual_mov_b32 v72, v121 :: v_dual_fma_f32 v79, v188, v108, -v75
	v_add_f32_e32 v73, v73, v223
	s_delay_alu instid0(VALU_DEP_3) | instskip(SKIP_1) | instid1(VALU_DEP_3)
	v_dual_fmac_f32 v225, v189, v108 :: v_dual_add_f32 v78, v78, v74
	v_dual_fmac_f32 v226, v191, v110 :: v_dual_mul_f32 v205, v194, v115
	v_dual_mul_f32 v207, v196, v117 :: v_dual_add_f32 v73, v73, v224
	v_fma_f32 v81, v190, v110, -v76
	s_wait_loadcnt 0x3
	v_dual_add_f32 v78, v78, v79 :: v_dual_mov_b32 v76, v125
	v_dual_fmac_f32 v227, v193, v112 :: v_dual_fma_f32 v77, v192, v112, -v77
	v_add_f32_e32 v73, v73, v225
	s_delay_alu instid0(VALU_DEP_3) | instskip(SKIP_2) | instid1(VALU_DEP_3)
	v_add_f32_e32 v83, v78, v81
	v_pk_mul_f32 v[70:71], v[134:135], v[118:119] op_sel:[1,1] op_sel_hi:[0,1]
	v_dual_fmac_f32 v205, v195, v114 :: v_dual_fma_f32 v204, v194, v114, -v80
	v_dual_add_f32 v73, v73, v226 :: v_dual_add_f32 v80, v83, v77
	v_dual_fmac_f32 v207, v197, v116 :: v_dual_fma_f32 v206, v196, v116, -v82
	s_delay_alu instid0(VALU_DEP_4) | instskip(NEXT) | instid1(VALU_DEP_3)
	v_pk_fma_f32 v[82:83], v[134:135], v[118:119], v[70:71] op_sel_hi:[1,0,1]
	v_add_f32_e32 v81, v73, v227
	v_pk_mul_f32 v[68:69], v[68:69], v[72:73] op_sel_hi:[1,0]
	v_pk_fma_f32 v[70:71], v[134:135], v[118:119], v[70:71] neg_lo:[0,0,1] neg_hi:[0,0,1]
	v_pk_mul_f32 v[74:75], v[138:139], v[122:123] op_sel:[1,1] op_sel_hi:[0,1]
	v_mov_b32_e32 v71, v83
	v_pk_add_f32 v[72:73], v[80:81], v[204:205]
	s_wait_loadcnt 0x2
	v_mov_b32_e32 v80, v129
	v_pk_fma_f32 v[82:83], v[136:137], v[120:121], v[68:69] op_sel_hi:[1,0,1]
	v_pk_fma_f32 v[68:69], v[136:137], v[120:121], v[68:69] neg_lo:[0,0,1] neg_hi:[0,0,1]
	v_pk_fma_f32 v[84:85], v[138:139], v[122:123], v[74:75] op_sel_hi:[1,0,1]
	v_pk_add_f32 v[72:73], v[72:73], v[206:207]
	v_pk_mul_f32 v[76:77], v[198:199], v[76:77] op_sel_hi:[1,0]
	v_mov_b32_e32 v69, v83
	v_pk_fma_f32 v[74:75], v[138:139], v[122:123], v[74:75] neg_lo:[0,0,1] neg_hi:[0,0,1]
	v_pk_mul_f32 v[78:79], v[142:143], v[126:127] op_sel:[1,1] op_sel_hi:[0,1]
	v_pk_add_f32 v[70:71], v[72:73], v[70:71]
	v_mov_b32_e32 v75, v85
	v_pk_fma_f32 v[82:83], v[140:141], v[124:125], v[76:77] op_sel_hi:[1,0,1]
	v_pk_fma_f32 v[76:77], v[140:141], v[124:125], v[76:77] neg_lo:[0,0,1] neg_hi:[0,0,1]
	v_pk_mul_f32 v[80:81], v[200:201], v[80:81] op_sel_hi:[1,0]
	v_pk_add_f32 v[68:69], v[70:71], v[68:69]
	v_pk_fma_f32 v[70:71], v[142:143], v[126:127], v[78:79] op_sel_hi:[1,0,1]
	s_wait_loadcnt 0x1
	v_dual_mov_b32 v77, v83 :: v_dual_mov_b32 v70, v133
	v_pk_mul_f32 v[72:73], v[146:147], v[130:131] op_sel:[1,1] op_sel_hi:[0,1]
	v_pk_add_f32 v[68:69], v[68:69], v[74:75]
	v_pk_fma_f32 v[74:75], v[142:143], v[126:127], v[78:79] neg_lo:[0,0,1] neg_hi:[0,0,1]
	v_pk_fma_f32 v[78:79], v[144:145], v[128:129], v[80:81] op_sel_hi:[1,0,1]
	v_mov_b32_e32 v75, v71
	v_pk_fma_f32 v[80:81], v[144:145], v[128:129], v[80:81] neg_lo:[0,0,1] neg_hi:[0,0,1]
	v_pk_add_f32 v[68:69], v[68:69], v[76:77]
	v_pk_fma_f32 v[76:77], v[146:147], v[130:131], v[72:73] op_sel_hi:[1,0,1]
	v_pk_mul_f32 v[70:71], v[202:203], v[70:71] op_sel_hi:[1,0]
	v_mov_b32_e32 v81, v79
	v_pk_fma_f32 v[72:73], v[146:147], v[130:131], v[72:73] neg_lo:[0,0,1] neg_hi:[0,0,1]
	v_pk_add_f32 v[68:69], v[68:69], v[74:75]
	s_delay_alu instid0(VALU_DEP_4) | instskip(SKIP_2) | instid1(VALU_DEP_4)
	v_pk_fma_f32 v[74:75], v[148:149], v[132:133], v[70:71] op_sel_hi:[1,0,1]
	v_mov_b32_e32 v73, v77
	v_pk_fma_f32 v[70:71], v[148:149], v[132:133], v[70:71] neg_lo:[0,0,1] neg_hi:[0,0,1]
	v_pk_add_f32 v[68:69], v[68:69], v[80:81]
	s_delay_alu instid0(VALU_DEP_4) | instskip(NEXT) | instid1(VALU_DEP_2)
	v_mov_b32_e32 v71, v75
	v_pk_add_f32 v[68:69], v[68:69], v[72:73]
	s_delay_alu instid0(VALU_DEP_1) | instskip(SKIP_1) | instid1(VALU_DEP_1)
	v_pk_add_f32 v[68:69], v[68:69], v[70:71]
	s_wait_loadcnt 0x0
	v_pk_add_f32 v[0:1], v[0:1], v[68:69] neg_lo:[0,1] neg_hi:[0,1]
	scratch_store_b64 off, v[0:1], off
	s_cbranch_vccz .LBB32_276
; %bb.212:
	s_wait_xcnt 0x0
	v_mov_b32_e32 v0, 0
	global_load_b32 v1, v0, s[2:3] offset:124
	s_wait_loadcnt 0x0
	v_cmp_ne_u32_e32 vcc_lo, 32, v1
	s_cbranch_vccz .LBB32_214
; %bb.213:
	v_lshlrev_b32_e32 v1, 3, v1
	scratch_load_b64 v[68:69], v1, off offset:-8
	scratch_load_b64 v[70:71], off, off offset:248
	s_wait_loadcnt 0x1
	scratch_store_b64 off, v[68:69], off offset:248
	s_wait_loadcnt 0x0
	scratch_store_b64 v1, v[70:71], off offset:-8
.LBB32_214:
	global_load_b32 v0, v0, s[2:3] offset:120
	s_wait_loadcnt 0x0
	v_cmp_eq_u32_e32 vcc_lo, 31, v0
	s_cbranch_vccnz .LBB32_216
; %bb.215:
	s_wait_xcnt 0x0
	v_lshlrev_b32_e32 v0, 3, v0
	s_delay_alu instid0(VALU_DEP_1)
	v_mov_b32_e32 v70, v0
	scratch_load_b64 v[0:1], v70, off offset:-8
	scratch_load_b64 v[68:69], off, off offset:240
	s_wait_loadcnt 0x1
	scratch_store_b64 off, v[0:1], off offset:240
	s_wait_loadcnt 0x0
	scratch_store_b64 v70, v[68:69], off offset:-8
.LBB32_216:
	s_wait_xcnt 0x0
	v_mov_b32_e32 v0, 0
	global_load_b32 v1, v0, s[2:3] offset:116
	s_wait_loadcnt 0x0
	v_cmp_eq_u32_e32 vcc_lo, 30, v1
	s_cbranch_vccnz .LBB32_218
; %bb.217:
	v_lshlrev_b32_e32 v1, 3, v1
	scratch_load_b64 v[68:69], v1, off offset:-8
	scratch_load_b64 v[70:71], off, off offset:232
	s_wait_loadcnt 0x1
	scratch_store_b64 off, v[68:69], off offset:232
	s_wait_loadcnt 0x0
	scratch_store_b64 v1, v[70:71], off offset:-8
.LBB32_218:
	global_load_b32 v0, v0, s[2:3] offset:112
	s_wait_loadcnt 0x0
	v_cmp_eq_u32_e32 vcc_lo, 29, v0
	s_cbranch_vccnz .LBB32_220
; %bb.219:
	s_wait_xcnt 0x0
	v_lshlrev_b32_e32 v0, 3, v0
	s_delay_alu instid0(VALU_DEP_1)
	v_mov_b32_e32 v70, v0
	scratch_load_b64 v[0:1], v70, off offset:-8
	scratch_load_b64 v[68:69], off, off offset:224
	s_wait_loadcnt 0x1
	scratch_store_b64 off, v[0:1], off offset:224
	s_wait_loadcnt 0x0
	scratch_store_b64 v70, v[68:69], off offset:-8
.LBB32_220:
	s_wait_xcnt 0x0
	v_mov_b32_e32 v0, 0
	global_load_b32 v1, v0, s[2:3] offset:108
	s_wait_loadcnt 0x0
	v_cmp_eq_u32_e32 vcc_lo, 28, v1
	s_cbranch_vccnz .LBB32_222
; %bb.221:
	v_lshlrev_b32_e32 v1, 3, v1
	scratch_load_b64 v[68:69], v1, off offset:-8
	scratch_load_b64 v[70:71], off, off offset:216
	s_wait_loadcnt 0x1
	scratch_store_b64 off, v[68:69], off offset:216
	s_wait_loadcnt 0x0
	scratch_store_b64 v1, v[70:71], off offset:-8
.LBB32_222:
	;; [unrolled: 31-line block ×15, first 2 shown]
	global_load_b32 v68, v0, s[2:3]
	scratch_load_b64 v[0:1], off, off
	s_wait_loadcnt 0x1
	v_cmp_eq_u32_e32 vcc_lo, 1, v68
	s_cbranch_vccnz .LBB32_276
; %bb.275:
	v_lshlrev_b32_e32 v68, 3, v68
	s_delay_alu instid0(VALU_DEP_1)
	v_mov_b32_e32 v70, v68
	scratch_load_b64 v[68:69], v70, off offset:-8
	s_wait_loadcnt 0x0
	scratch_store_b64 off, v[68:69], off
	scratch_store_b64 v70, v[0:1], off offset:-8
	scratch_load_b64 v[0:1], off, off
.LBB32_276:
	v_lshl_add_u64 v[68:69], v[2:3], 3, s[4:5]
	v_lshl_add_u64 v[70:71], v[6:7], 3, s[4:5]
	;; [unrolled: 1-line block ×4, first 2 shown]
	s_clause 0xf
	scratch_load_b128 v[64:67], off, off offset:8
	scratch_load_b128 v[72:75], off, off offset:24
	;; [unrolled: 1-line block ×16, first 2 shown]
	v_lshl_add_u64 v[10:11], v[10:11], 3, s[4:5]
	v_lshl_add_u64 v[12:13], v[12:13], 3, s[4:5]
	;; [unrolled: 1-line block ×27, first 2 shown]
	s_wait_loadcnt 0x10
	global_store_b64 v[4:5], v[0:1], off
	s_wait_loadcnt 0xf
	s_clause 0x1
	global_store_b64 v[8:9], v[64:65], off
	global_store_b64 v[68:69], v[66:67], off
	s_wait_loadcnt 0xe
	s_clause 0x1
	global_store_b64 v[70:71], v[72:73], off
	;; [unrolled: 4-line block ×16, first 2 shown]
	global_store_b64 v[6:7], v[130:131], off
	s_sendmsg sendmsg(MSG_DEALLOC_VGPRS)
	s_endpgm
	.section	.rodata,"a",@progbits
	.p2align	6, 0x0
	.amdhsa_kernel _ZN9rocsolver6v33100L18getri_kernel_smallILi33E19rocblas_complex_numIfEPS3_EEvT1_iilPiilS6_bb
		.amdhsa_group_segment_fixed_size 536
		.amdhsa_private_segment_fixed_size 272
		.amdhsa_kernarg_size 60
		.amdhsa_user_sgpr_count 2
		.amdhsa_user_sgpr_dispatch_ptr 0
		.amdhsa_user_sgpr_queue_ptr 0
		.amdhsa_user_sgpr_kernarg_segment_ptr 1
		.amdhsa_user_sgpr_dispatch_id 0
		.amdhsa_user_sgpr_kernarg_preload_length 0
		.amdhsa_user_sgpr_kernarg_preload_offset 0
		.amdhsa_user_sgpr_private_segment_size 0
		.amdhsa_wavefront_size32 1
		.amdhsa_uses_dynamic_stack 0
		.amdhsa_enable_private_segment 1
		.amdhsa_system_sgpr_workgroup_id_x 1
		.amdhsa_system_sgpr_workgroup_id_y 0
		.amdhsa_system_sgpr_workgroup_id_z 0
		.amdhsa_system_sgpr_workgroup_info 0
		.amdhsa_system_vgpr_workitem_id 0
		.amdhsa_next_free_vgpr 228
		.amdhsa_next_free_sgpr 19
		.amdhsa_named_barrier_count 0
		.amdhsa_reserve_vcc 1
		.amdhsa_float_round_mode_32 0
		.amdhsa_float_round_mode_16_64 0
		.amdhsa_float_denorm_mode_32 3
		.amdhsa_float_denorm_mode_16_64 3
		.amdhsa_fp16_overflow 0
		.amdhsa_memory_ordered 1
		.amdhsa_forward_progress 1
		.amdhsa_inst_pref_size 255
		.amdhsa_round_robin_scheduling 0
		.amdhsa_exception_fp_ieee_invalid_op 0
		.amdhsa_exception_fp_denorm_src 0
		.amdhsa_exception_fp_ieee_div_zero 0
		.amdhsa_exception_fp_ieee_overflow 0
		.amdhsa_exception_fp_ieee_underflow 0
		.amdhsa_exception_fp_ieee_inexact 0
		.amdhsa_exception_int_div_zero 0
	.end_amdhsa_kernel
	.section	.text._ZN9rocsolver6v33100L18getri_kernel_smallILi33E19rocblas_complex_numIfEPS3_EEvT1_iilPiilS6_bb,"axG",@progbits,_ZN9rocsolver6v33100L18getri_kernel_smallILi33E19rocblas_complex_numIfEPS3_EEvT1_iilPiilS6_bb,comdat
.Lfunc_end32:
	.size	_ZN9rocsolver6v33100L18getri_kernel_smallILi33E19rocblas_complex_numIfEPS3_EEvT1_iilPiilS6_bb, .Lfunc_end32-_ZN9rocsolver6v33100L18getri_kernel_smallILi33E19rocblas_complex_numIfEPS3_EEvT1_iilPiilS6_bb
                                        ; -- End function
	.set _ZN9rocsolver6v33100L18getri_kernel_smallILi33E19rocblas_complex_numIfEPS3_EEvT1_iilPiilS6_bb.num_vgpr, 228
	.set _ZN9rocsolver6v33100L18getri_kernel_smallILi33E19rocblas_complex_numIfEPS3_EEvT1_iilPiilS6_bb.num_agpr, 0
	.set _ZN9rocsolver6v33100L18getri_kernel_smallILi33E19rocblas_complex_numIfEPS3_EEvT1_iilPiilS6_bb.numbered_sgpr, 19
	.set _ZN9rocsolver6v33100L18getri_kernel_smallILi33E19rocblas_complex_numIfEPS3_EEvT1_iilPiilS6_bb.num_named_barrier, 0
	.set _ZN9rocsolver6v33100L18getri_kernel_smallILi33E19rocblas_complex_numIfEPS3_EEvT1_iilPiilS6_bb.private_seg_size, 272
	.set _ZN9rocsolver6v33100L18getri_kernel_smallILi33E19rocblas_complex_numIfEPS3_EEvT1_iilPiilS6_bb.uses_vcc, 1
	.set _ZN9rocsolver6v33100L18getri_kernel_smallILi33E19rocblas_complex_numIfEPS3_EEvT1_iilPiilS6_bb.uses_flat_scratch, 1
	.set _ZN9rocsolver6v33100L18getri_kernel_smallILi33E19rocblas_complex_numIfEPS3_EEvT1_iilPiilS6_bb.has_dyn_sized_stack, 0
	.set _ZN9rocsolver6v33100L18getri_kernel_smallILi33E19rocblas_complex_numIfEPS3_EEvT1_iilPiilS6_bb.has_recursion, 0
	.set _ZN9rocsolver6v33100L18getri_kernel_smallILi33E19rocblas_complex_numIfEPS3_EEvT1_iilPiilS6_bb.has_indirect_call, 0
	.section	.AMDGPU.csdata,"",@progbits
; Kernel info:
; codeLenInByte = 46496
; TotalNumSgprs: 21
; NumVgprs: 228
; ScratchSize: 272
; MemoryBound: 0
; FloatMode: 240
; IeeeMode: 1
; LDSByteSize: 536 bytes/workgroup (compile time only)
; SGPRBlocks: 0
; VGPRBlocks: 14
; NumSGPRsForWavesPerEU: 21
; NumVGPRsForWavesPerEU: 228
; NamedBarCnt: 0
; Occupancy: 4
; WaveLimiterHint : 1
; COMPUTE_PGM_RSRC2:SCRATCH_EN: 1
; COMPUTE_PGM_RSRC2:USER_SGPR: 2
; COMPUTE_PGM_RSRC2:TRAP_HANDLER: 0
; COMPUTE_PGM_RSRC2:TGID_X_EN: 1
; COMPUTE_PGM_RSRC2:TGID_Y_EN: 0
; COMPUTE_PGM_RSRC2:TGID_Z_EN: 0
; COMPUTE_PGM_RSRC2:TIDIG_COMP_CNT: 0
	.section	.text._ZN9rocsolver6v33100L18getri_kernel_smallILi34E19rocblas_complex_numIfEPS3_EEvT1_iilPiilS6_bb,"axG",@progbits,_ZN9rocsolver6v33100L18getri_kernel_smallILi34E19rocblas_complex_numIfEPS3_EEvT1_iilPiilS6_bb,comdat
	.globl	_ZN9rocsolver6v33100L18getri_kernel_smallILi34E19rocblas_complex_numIfEPS3_EEvT1_iilPiilS6_bb ; -- Begin function _ZN9rocsolver6v33100L18getri_kernel_smallILi34E19rocblas_complex_numIfEPS3_EEvT1_iilPiilS6_bb
	.p2align	8
	.type	_ZN9rocsolver6v33100L18getri_kernel_smallILi34E19rocblas_complex_numIfEPS3_EEvT1_iilPiilS6_bb,@function
_ZN9rocsolver6v33100L18getri_kernel_smallILi34E19rocblas_complex_numIfEPS3_EEvT1_iilPiilS6_bb: ; @_ZN9rocsolver6v33100L18getri_kernel_smallILi34E19rocblas_complex_numIfEPS3_EEvT1_iilPiilS6_bb
; %bb.0:
	s_mov_b32 s2, exec_lo
	v_cmpx_gt_u32_e32 34, v0
	s_cbranch_execz .LBB33_150
; %bb.1:
	s_clause 0x2
	s_load_b32 s2, s[0:1], 0x38
	s_load_b128 s[12:15], s[0:1], 0x10
	s_load_b128 s[4:7], s[0:1], 0x28
	s_getreg_b32 s9, hwreg(HW_REG_IB_STS2, 6, 4)
	s_wait_kmcnt 0x0
	s_bitcmp1_b32 s2, 8
	s_cselect_b32 s18, -1, 0
	s_bfe_u32 s3, ttmp6, 0x4000c
	s_and_b32 s8, ttmp6, 15
	s_add_co_i32 s3, s3, 1
	s_delay_alu instid0(SALU_CYCLE_1) | instskip(NEXT) | instid1(SALU_CYCLE_1)
	s_mul_i32 s3, ttmp9, s3
	s_add_co_i32 s8, s8, s3
	s_cmp_eq_u32 s9, 0
	s_cselect_b32 s16, ttmp9, s8
	s_bfe_u32 s2, s2, 0x10008
	s_ashr_i32 s17, s16, 31
	s_cmp_eq_u32 s2, 0
                                        ; implicit-def: $sgpr2_sgpr3
	s_cbranch_scc1 .LBB33_3
; %bb.2:
	s_load_b32 s2, s[0:1], 0x20
	s_mul_u64 s[4:5], s[4:5], s[16:17]
	s_delay_alu instid0(SALU_CYCLE_1) | instskip(NEXT) | instid1(SALU_CYCLE_1)
	s_lshl_b64 s[4:5], s[4:5], 2
	s_add_nc_u64 s[4:5], s[14:15], s[4:5]
	s_wait_kmcnt 0x0
	s_ashr_i32 s3, s2, 31
	s_delay_alu instid0(SALU_CYCLE_1) | instskip(NEXT) | instid1(SALU_CYCLE_1)
	s_lshl_b64 s[2:3], s[2:3], 2
	s_add_nc_u64 s[2:3], s[4:5], s[2:3]
.LBB33_3:
	s_clause 0x1
	s_load_b128 s[8:11], s[0:1], 0x0
	s_load_b32 s14, s[0:1], 0x38
	s_wait_xcnt 0x0
	s_mul_u64 s[0:1], s[12:13], s[16:17]
	v_lshlrev_b32_e32 v70, 3, v0
	s_lshl_b64 s[0:1], s[0:1], 3
	v_mov_b32_e32 v71, 0
	s_wait_kmcnt 0x0
	v_add3_u32 v4, s11, s11, v0
	s_ashr_i32 s5, s10, 31
	s_mov_b32 s4, s10
	s_add_nc_u64 s[0:1], s[8:9], s[0:1]
	s_lshl_b64 s[4:5], s[4:5], 3
	v_add_nc_u32_e32 v6, s11, v4
	s_add_nc_u64 s[4:5], s[0:1], s[4:5]
	s_ashr_i32 s1, s11, 31
	s_mov_b32 s0, s11
	s_bitcmp0_b32 s14, 0
	v_add_nc_u32_e32 v10, s11, v6
	v_add_nc_u64_e32 v[2:3], s[4:5], v[70:71]
	s_delay_alu instid0(VALU_DEP_2) | instskip(NEXT) | instid1(VALU_DEP_2)
	v_add_nc_u32_e32 v12, s11, v10
	v_lshl_add_u64 v[8:9], s[0:1], 3, v[2:3]
	s_mov_b32 s1, -1
	s_delay_alu instid0(VALU_DEP_2)
	v_add_nc_u32_e32 v14, s11, v12
	s_clause 0x5
	global_load_b64 v[72:73], v0, s[4:5] scale_offset
	global_load_b64 v[74:75], v[8:9], off
	global_load_b64 v[76:77], v4, s[4:5] scale_offset
	global_load_b64 v[78:79], v6, s[4:5] scale_offset
	;; [unrolled: 1-line block ×4, first 2 shown]
	v_add_nc_u32_e32 v16, s11, v14
	s_delay_alu instid0(VALU_DEP_1) | instskip(NEXT) | instid1(VALU_DEP_1)
	v_add_nc_u32_e32 v18, s11, v16
	v_add_nc_u32_e32 v20, s11, v18
	s_delay_alu instid0(VALU_DEP_1) | instskip(NEXT) | instid1(VALU_DEP_1)
	v_add_nc_u32_e32 v22, s11, v20
	v_add_nc_u32_e32 v24, s11, v22
	s_delay_alu instid0(VALU_DEP_1)
	v_add_nc_u32_e32 v26, s11, v24
	s_clause 0x3
	global_load_b64 v[84:85], v14, s[4:5] scale_offset
	global_load_b64 v[86:87], v16, s[4:5] scale_offset
	;; [unrolled: 1-line block ×4, first 2 shown]
	v_add_nc_u32_e32 v28, s11, v26
	s_delay_alu instid0(VALU_DEP_1) | instskip(NEXT) | instid1(VALU_DEP_1)
	v_add_nc_u32_e32 v30, s11, v28
	v_add_nc_u32_e32 v32, s11, v30
	s_delay_alu instid0(VALU_DEP_1)
	v_add_nc_u32_e32 v34, s11, v32
	s_clause 0x3
	global_load_b64 v[92:93], v22, s[4:5] scale_offset
	global_load_b64 v[94:95], v24, s[4:5] scale_offset
	;; [unrolled: 1-line block ×4, first 2 shown]
	v_add_nc_u32_e32 v36, s11, v34
	s_delay_alu instid0(VALU_DEP_1)
	v_add_nc_u32_e32 v38, s11, v36
	s_clause 0x3
	global_load_b64 v[100:101], v30, s[4:5] scale_offset
	global_load_b64 v[102:103], v32, s[4:5] scale_offset
	;; [unrolled: 1-line block ×4, first 2 shown]
	v_add_nc_u32_e32 v40, s11, v38
	s_delay_alu instid0(VALU_DEP_1) | instskip(NEXT) | instid1(VALU_DEP_1)
	v_add_nc_u32_e32 v42, s11, v40
	v_add_nc_u32_e32 v44, s11, v42
	s_delay_alu instid0(VALU_DEP_1) | instskip(NEXT) | instid1(VALU_DEP_1)
	v_add_nc_u32_e32 v46, s11, v44
	v_add_nc_u32_e32 v48, s11, v46
	s_delay_alu instid0(VALU_DEP_1)
	v_add_nc_u32_e32 v50, s11, v48
	s_clause 0x3
	global_load_b64 v[108:109], v38, s[4:5] scale_offset
	global_load_b64 v[110:111], v40, s[4:5] scale_offset
	;; [unrolled: 1-line block ×4, first 2 shown]
	v_add_nc_u32_e32 v52, s11, v50
	s_delay_alu instid0(VALU_DEP_1)
	v_add_nc_u32_e32 v54, s11, v52
	s_clause 0x3
	global_load_b64 v[116:117], v46, s[4:5] scale_offset
	global_load_b64 v[118:119], v48, s[4:5] scale_offset
	;; [unrolled: 1-line block ×4, first 2 shown]
	v_add_nc_u32_e32 v56, s11, v54
	s_delay_alu instid0(VALU_DEP_1) | instskip(NEXT) | instid1(VALU_DEP_1)
	v_add_nc_u32_e32 v58, s11, v56
	v_add_nc_u32_e32 v60, s11, v58
	s_delay_alu instid0(VALU_DEP_1) | instskip(NEXT) | instid1(VALU_DEP_1)
	v_add_nc_u32_e32 v62, s11, v60
	v_add_nc_u32_e32 v64, s11, v62
	s_delay_alu instid0(VALU_DEP_1)
	v_add_nc_u32_e32 v66, s11, v64
	s_clause 0x3
	global_load_b64 v[124:125], v54, s[4:5] scale_offset
	global_load_b64 v[126:127], v56, s[4:5] scale_offset
	global_load_b64 v[128:129], v58, s[4:5] scale_offset
	global_load_b64 v[130:131], v60, s[4:5] scale_offset
	v_add_nc_u32_e32 v68, s11, v66
	s_clause 0x3
	global_load_b64 v[132:133], v62, s[4:5] scale_offset
	global_load_b64 v[134:135], v64, s[4:5] scale_offset
	global_load_b64 v[136:137], v66, s[4:5] scale_offset
	global_load_b64 v[138:139], v68, s[4:5] scale_offset
	s_wait_loadcnt 0x20
	scratch_store_b128 off, v[72:75], off
	s_wait_loadcnt 0x1e
	scratch_store_b128 off, v[76:79], off offset:16
	s_wait_loadcnt 0x1c
	scratch_store_b128 off, v[80:83], off offset:32
	;; [unrolled: 2-line block ×16, first 2 shown]
	s_cbranch_scc1 .LBB33_148
; %bb.4:
	v_cmp_eq_u32_e64 s0, 0, v0
	s_wait_xcnt 0x0
	s_and_saveexec_b32 s1, s0
; %bb.5:
	v_mov_b32_e32 v1, 0
	ds_store_b32 v1, v1 offset:544
; %bb.6:
	s_or_b32 exec_lo, exec_lo, s1
	s_wait_storecnt_dscnt 0x0
	s_barrier_signal -1
	s_barrier_wait -1
	scratch_load_b64 v[72:73], v0, off scale_offset
	s_wait_loadcnt 0x0
	v_cmp_eq_f32_e32 vcc_lo, 0, v72
	v_cmp_eq_f32_e64 s1, 0, v73
	s_and_b32 s1, vcc_lo, s1
	s_delay_alu instid0(SALU_CYCLE_1)
	s_and_saveexec_b32 s8, s1
	s_cbranch_execz .LBB33_10
; %bb.7:
	v_mov_b32_e32 v1, 0
	s_mov_b32 s9, 0
	ds_load_b32 v5, v1 offset:544
	s_wait_dscnt 0x0
	v_readfirstlane_b32 s1, v5
	v_add_nc_u32_e32 v5, 1, v0
	s_cmp_eq_u32 s1, 0
	s_delay_alu instid0(VALU_DEP_1) | instskip(SKIP_1) | instid1(SALU_CYCLE_1)
	v_cmp_gt_i32_e32 vcc_lo, s1, v5
	s_cselect_b32 s10, -1, 0
	s_or_b32 s10, s10, vcc_lo
	s_delay_alu instid0(SALU_CYCLE_1)
	s_and_b32 exec_lo, exec_lo, s10
	s_cbranch_execz .LBB33_10
; %bb.8:
	v_mov_b32_e32 v7, s1
.LBB33_9:                               ; =>This Inner Loop Header: Depth=1
	ds_cmpstore_rtn_b32 v7, v1, v5, v7 offset:544
	s_wait_dscnt 0x0
	v_cmp_ne_u32_e32 vcc_lo, 0, v7
	v_cmp_le_i32_e64 s1, v7, v5
	s_and_b32 s1, vcc_lo, s1
	s_delay_alu instid0(SALU_CYCLE_1) | instskip(NEXT) | instid1(SALU_CYCLE_1)
	s_and_b32 s1, exec_lo, s1
	s_or_b32 s9, s1, s9
	s_delay_alu instid0(SALU_CYCLE_1)
	s_and_not1_b32 exec_lo, exec_lo, s9
	s_cbranch_execnz .LBB33_9
.LBB33_10:
	s_or_b32 exec_lo, exec_lo, s8
	v_mov_b32_e32 v1, 0
	s_barrier_signal -1
	s_barrier_wait -1
	ds_load_b32 v5, v1 offset:544
	s_and_saveexec_b32 s1, s0
	s_cbranch_execz .LBB33_12
; %bb.11:
	s_lshl_b64 s[8:9], s[16:17], 2
	s_delay_alu instid0(SALU_CYCLE_1)
	s_add_nc_u64 s[8:9], s[6:7], s[8:9]
	s_wait_dscnt 0x0
	global_store_b32 v1, v5, s[8:9]
.LBB33_12:
	s_wait_xcnt 0x0
	s_or_b32 exec_lo, exec_lo, s1
	s_wait_dscnt 0x0
	v_cmp_ne_u32_e32 vcc_lo, 0, v5
	s_mov_b32 s1, 0
	s_cbranch_vccnz .LBB33_148
; %bb.13:
	v_lshl_add_u32 v5, v0, 3, 0
                                        ; implicit-def: $vgpr75
                                        ; implicit-def: $vgpr76
	scratch_load_b64 v[72:73], v5, off
	s_wait_loadcnt 0x0
	v_cmp_ngt_f32_e64 s1, |v72|, |v73|
	s_wait_xcnt 0x0
	s_and_saveexec_b32 s8, s1
	s_delay_alu instid0(SALU_CYCLE_1)
	s_xor_b32 s1, exec_lo, s8
	s_cbranch_execz .LBB33_15
; %bb.14:
	v_div_scale_f32 v1, null, v73, v73, v72
	v_div_scale_f32 v13, vcc_lo, v72, v73, v72
	s_delay_alu instid0(VALU_DEP_2) | instskip(SKIP_1) | instid1(TRANS32_DEP_1)
	v_rcp_f32_e32 v7, v1
	v_nop
	v_fma_f32 v11, -v1, v7, 1.0
	s_delay_alu instid0(VALU_DEP_1) | instskip(NEXT) | instid1(VALU_DEP_1)
	v_fmac_f32_e32 v7, v11, v7
	v_mul_f32_e32 v11, v13, v7
	s_delay_alu instid0(VALU_DEP_1) | instskip(NEXT) | instid1(VALU_DEP_1)
	v_fma_f32 v15, -v1, v11, v13
	v_fmac_f32_e32 v11, v15, v7
	s_delay_alu instid0(VALU_DEP_1) | instskip(NEXT) | instid1(VALU_DEP_1)
	v_fma_f32 v1, -v1, v11, v13
	v_div_fmas_f32 v1, v1, v7, v11
	s_delay_alu instid0(VALU_DEP_1) | instskip(NEXT) | instid1(VALU_DEP_1)
	v_div_fixup_f32 v1, v1, v73, v72
	v_fmac_f32_e32 v73, v72, v1
	s_delay_alu instid0(VALU_DEP_1) | instskip(NEXT) | instid1(VALU_DEP_1)
	v_div_scale_f32 v7, null, v73, v73, -1.0
	v_rcp_f32_e32 v11, v7
	v_nop
	s_delay_alu instid0(TRANS32_DEP_1) | instskip(NEXT) | instid1(VALU_DEP_1)
	v_fma_f32 v13, -v7, v11, 1.0
	v_fmac_f32_e32 v11, v13, v11
	v_div_scale_f32 v13, vcc_lo, -1.0, v73, -1.0
	s_delay_alu instid0(VALU_DEP_1) | instskip(NEXT) | instid1(VALU_DEP_1)
	v_mul_f32_e32 v15, v13, v11
	v_fma_f32 v17, -v7, v15, v13
	s_delay_alu instid0(VALU_DEP_1) | instskip(NEXT) | instid1(VALU_DEP_1)
	v_fmac_f32_e32 v15, v17, v11
	v_fma_f32 v7, -v7, v15, v13
	s_delay_alu instid0(VALU_DEP_1) | instskip(NEXT) | instid1(VALU_DEP_1)
	v_div_fmas_f32 v7, v7, v11, v15
	v_div_fixup_f32 v75, v7, v73, -1.0
                                        ; implicit-def: $vgpr72_vgpr73
	s_delay_alu instid0(VALU_DEP_1) | instskip(NEXT) | instid1(VALU_DEP_1)
	v_mul_f32_e32 v76, v1, v75
	v_xor_b32_e32 v74, 0x80000000, v76
.LBB33_15:
	s_and_not1_saveexec_b32 s1, s1
	s_cbranch_execz .LBB33_17
; %bb.16:
	v_div_scale_f32 v1, null, v72, v72, v73
	v_div_scale_f32 v13, vcc_lo, v73, v72, v73
	s_delay_alu instid0(VALU_DEP_2) | instskip(SKIP_1) | instid1(TRANS32_DEP_1)
	v_rcp_f32_e32 v7, v1
	v_nop
	v_fma_f32 v11, -v1, v7, 1.0
	s_delay_alu instid0(VALU_DEP_1) | instskip(NEXT) | instid1(VALU_DEP_1)
	v_fmac_f32_e32 v7, v11, v7
	v_mul_f32_e32 v11, v13, v7
	s_delay_alu instid0(VALU_DEP_1) | instskip(NEXT) | instid1(VALU_DEP_1)
	v_fma_f32 v15, -v1, v11, v13
	v_fmac_f32_e32 v11, v15, v7
	s_delay_alu instid0(VALU_DEP_1) | instskip(NEXT) | instid1(VALU_DEP_1)
	v_fma_f32 v1, -v1, v11, v13
	v_div_fmas_f32 v1, v1, v7, v11
	s_delay_alu instid0(VALU_DEP_1) | instskip(NEXT) | instid1(VALU_DEP_1)
	v_div_fixup_f32 v1, v1, v72, v73
	v_fmac_f32_e32 v72, v73, v1
	s_delay_alu instid0(VALU_DEP_1) | instskip(SKIP_1) | instid1(VALU_DEP_2)
	v_div_scale_f32 v7, null, v72, v72, 1.0
	v_div_scale_f32 v15, vcc_lo, 1.0, v72, 1.0
	v_rcp_f32_e32 v11, v7
	v_nop
	s_delay_alu instid0(TRANS32_DEP_1) | instskip(NEXT) | instid1(VALU_DEP_1)
	v_fma_f32 v13, -v7, v11, 1.0
	v_fmac_f32_e32 v11, v13, v11
	s_delay_alu instid0(VALU_DEP_1) | instskip(NEXT) | instid1(VALU_DEP_1)
	v_mul_f32_e32 v13, v15, v11
	v_fma_f32 v17, -v7, v13, v15
	s_delay_alu instid0(VALU_DEP_1) | instskip(NEXT) | instid1(VALU_DEP_1)
	v_fmac_f32_e32 v13, v17, v11
	v_fma_f32 v7, -v7, v13, v15
	s_delay_alu instid0(VALU_DEP_1) | instskip(NEXT) | instid1(VALU_DEP_1)
	v_div_fmas_f32 v7, v7, v11, v13
	v_div_fixup_f32 v74, v7, v72, 1.0
	s_delay_alu instid0(VALU_DEP_1)
	v_xor_b32_e32 v76, 0x80000000, v74
	v_mul_f32_e64 v75, v1, -v74
.LBB33_17:
	s_or_b32 exec_lo, exec_lo, s1
	scratch_store_b64 v5, v[74:75], off
	scratch_load_b64 v[72:73], off, off offset:8
	v_xor_b32_e32 v77, 0x80000000, v75
	v_add_nc_u32_e32 v1, 0x110, v70
	s_wait_loadcnt 0x0
	ds_store_2addr_b64 v70, v[76:77], v[72:73] offset1:34
	s_wait_storecnt_dscnt 0x0
	s_barrier_signal -1
	s_barrier_wait -1
	s_wait_xcnt 0x0
	s_and_saveexec_b32 s1, s0
	s_cbranch_execz .LBB33_19
; %bb.18:
	scratch_load_b64 v[72:73], v5, off
	ds_load_b64 v[74:75], v1
	s_wait_loadcnt_dscnt 0x0
	v_pk_mul_f32 v[78:79], v[74:75], v[72:73] op_sel:[1,1] op_sel_hi:[0,1]
	s_delay_alu instid0(VALU_DEP_1) | instskip(SKIP_2) | instid1(VALU_DEP_3)
	v_pk_fma_f32 v[80:81], v[74:75], v[72:73], v[78:79] op_sel_hi:[1,0,1]
	v_mov_b32_e32 v7, 0
	v_pk_fma_f32 v[72:73], v[74:75], v[72:73], v[78:79] neg_lo:[0,0,1] neg_hi:[0,0,1]
	v_mov_b32_e32 v73, v81
	ds_load_b64 v[76:77], v7 offset:8
	v_pk_add_f32 v[72:73], v[72:73], 0 op_sel_hi:[1,0]
	s_wait_dscnt 0x0
	s_delay_alu instid0(VALU_DEP_1) | instskip(NEXT) | instid1(VALU_DEP_1)
	v_pk_mul_f32 v[74:75], v[72:73], v[76:77] op_sel:[1,1] op_sel_hi:[0,1]
	v_pk_fma_f32 v[78:79], v[72:73], v[76:77], v[74:75] op_sel_hi:[1,0,1]
	v_pk_fma_f32 v[72:73], v[72:73], v[76:77], v[74:75] neg_lo:[0,0,1] neg_hi:[0,0,1]
	s_delay_alu instid0(VALU_DEP_2)
	v_mov_b32_e32 v73, v79
	scratch_store_b64 off, v[72:73], off offset:8
.LBB33_19:
	s_wait_xcnt 0x0
	s_or_b32 exec_lo, exec_lo, s1
	s_wait_storecnt 0x0
	s_barrier_signal -1
	s_barrier_wait -1
	scratch_load_b64 v[72:73], off, off offset:16
	s_mov_b32 s1, exec_lo
	s_wait_loadcnt 0x0
	ds_store_b64 v1, v[72:73]
	s_wait_dscnt 0x0
	s_barrier_signal -1
	s_barrier_wait -1
	v_cmpx_gt_u32_e32 2, v0
	s_cbranch_execz .LBB33_23
; %bb.20:
	scratch_load_b64 v[72:73], v5, off
	ds_load_b64 v[74:75], v1
	s_wait_loadcnt_dscnt 0x0
	v_pk_mul_f32 v[76:77], v[74:75], v[72:73] op_sel:[1,1] op_sel_hi:[0,1]
	s_delay_alu instid0(VALU_DEP_1) | instskip(SKIP_1) | instid1(VALU_DEP_2)
	v_pk_fma_f32 v[78:79], v[74:75], v[72:73], v[76:77] op_sel_hi:[1,0,1]
	v_pk_fma_f32 v[72:73], v[74:75], v[72:73], v[76:77] neg_lo:[0,0,1] neg_hi:[0,0,1]
	v_mov_b32_e32 v73, v79
	s_delay_alu instid0(VALU_DEP_1)
	v_pk_add_f32 v[72:73], v[72:73], 0 op_sel_hi:[1,0]
	s_and_saveexec_b32 s8, s0
	s_cbranch_execz .LBB33_22
; %bb.21:
	scratch_load_b64 v[74:75], off, off offset:8
	v_mov_b32_e32 v5, 0
	ds_load_b64 v[76:77], v5 offset:280
	s_wait_loadcnt_dscnt 0x0
	v_pk_mul_f32 v[78:79], v[76:77], v[74:75] op_sel:[1,1] op_sel_hi:[0,1]
	s_delay_alu instid0(VALU_DEP_1) | instskip(SKIP_1) | instid1(VALU_DEP_2)
	v_pk_fma_f32 v[80:81], v[76:77], v[74:75], v[78:79] op_sel_hi:[1,0,1]
	v_pk_fma_f32 v[74:75], v[76:77], v[74:75], v[78:79] neg_lo:[0,0,1] neg_hi:[0,0,1]
	v_mov_b32_e32 v75, v81
	s_delay_alu instid0(VALU_DEP_1)
	v_pk_add_f32 v[72:73], v[72:73], v[74:75]
.LBB33_22:
	s_or_b32 exec_lo, exec_lo, s8
	v_mov_b32_e32 v5, 0
	ds_load_b64 v[74:75], v5 offset:16
	s_wait_dscnt 0x0
	v_pk_mul_f32 v[76:77], v[72:73], v[74:75] op_sel:[1,1] op_sel_hi:[0,1]
	s_delay_alu instid0(VALU_DEP_1) | instskip(SKIP_1) | instid1(VALU_DEP_2)
	v_pk_fma_f32 v[78:79], v[72:73], v[74:75], v[76:77] op_sel_hi:[1,0,1]
	v_pk_fma_f32 v[72:73], v[72:73], v[74:75], v[76:77] neg_lo:[0,0,1] neg_hi:[0,0,1]
	v_mov_b32_e32 v73, v79
	scratch_store_b64 off, v[72:73], off offset:16
.LBB33_23:
	s_wait_xcnt 0x0
	s_or_b32 exec_lo, exec_lo, s1
	s_wait_storecnt 0x0
	s_barrier_signal -1
	s_barrier_wait -1
	scratch_load_b64 v[72:73], off, off offset:24
	v_add_nc_u32_e32 v5, -1, v0
	s_mov_b32 s0, exec_lo
	s_wait_loadcnt 0x0
	ds_store_b64 v1, v[72:73]
	s_wait_dscnt 0x0
	s_barrier_signal -1
	s_barrier_wait -1
	v_cmpx_gt_u32_e32 3, v0
	s_cbranch_execz .LBB33_27
; %bb.24:
	v_dual_mov_b32 v72, 0 :: v_dual_add_nc_u32 v7, -1, v0
	v_add_nc_u32_e32 v11, 0x110, v70
	v_mov_b32_e32 v13, v70
	s_mov_b32 s1, 0
	s_delay_alu instid0(VALU_DEP_3)
	v_mov_b32_e32 v73, v72
.LBB33_25:                              ; =>This Inner Loop Header: Depth=1
	scratch_load_b64 v[74:75], v13, off
	ds_load_b64 v[76:77], v11
	s_wait_xcnt 0x0
	v_dual_add_nc_u32 v11, 8, v11 :: v_dual_add_nc_u32 v13, 8, v13
	s_wait_loadcnt_dscnt 0x0
	v_pk_mul_f32 v[78:79], v[76:77], v[74:75] op_sel:[1,1] op_sel_hi:[0,1]
	s_delay_alu instid0(VALU_DEP_1) | instskip(SKIP_2) | instid1(VALU_DEP_3)
	v_pk_fma_f32 v[80:81], v[76:77], v[74:75], v[78:79] op_sel_hi:[1,0,1]
	v_add_nc_u32_e32 v7, 1, v7
	v_pk_fma_f32 v[74:75], v[76:77], v[74:75], v[78:79] neg_lo:[0,0,1] neg_hi:[0,0,1]
	v_mov_b32_e32 v75, v81
	s_delay_alu instid0(VALU_DEP_3) | instskip(NEXT) | instid1(VALU_DEP_2)
	v_cmp_lt_u32_e32 vcc_lo, 1, v7
	v_pk_add_f32 v[72:73], v[72:73], v[74:75]
	s_or_b32 s1, vcc_lo, s1
	s_delay_alu instid0(SALU_CYCLE_1)
	s_and_not1_b32 exec_lo, exec_lo, s1
	s_cbranch_execnz .LBB33_25
; %bb.26:
	s_or_b32 exec_lo, exec_lo, s1
	v_mov_b32_e32 v7, 0
	ds_load_b64 v[74:75], v7 offset:24
	s_wait_dscnt 0x0
	v_pk_mul_f32 v[76:77], v[72:73], v[74:75] op_sel:[1,1] op_sel_hi:[0,1]
	s_delay_alu instid0(VALU_DEP_1) | instskip(SKIP_1) | instid1(VALU_DEP_2)
	v_pk_fma_f32 v[78:79], v[72:73], v[74:75], v[76:77] op_sel_hi:[1,0,1]
	v_pk_fma_f32 v[72:73], v[72:73], v[74:75], v[76:77] neg_lo:[0,0,1] neg_hi:[0,0,1]
	v_mov_b32_e32 v73, v79
	scratch_store_b64 off, v[72:73], off offset:24
.LBB33_27:
	s_wait_xcnt 0x0
	s_or_b32 exec_lo, exec_lo, s0
	s_wait_storecnt 0x0
	s_barrier_signal -1
	s_barrier_wait -1
	scratch_load_b64 v[72:73], off, off offset:32
	s_mov_b32 s0, exec_lo
	s_wait_loadcnt 0x0
	ds_store_b64 v1, v[72:73]
	s_wait_dscnt 0x0
	s_barrier_signal -1
	s_barrier_wait -1
	v_cmpx_gt_u32_e32 4, v0
	s_cbranch_execz .LBB33_31
; %bb.28:
	v_dual_mov_b32 v72, 0 :: v_dual_add_nc_u32 v7, -1, v0
	v_add_nc_u32_e32 v11, 0x110, v70
	v_mov_b32_e32 v13, v70
	s_mov_b32 s1, 0
	s_delay_alu instid0(VALU_DEP_3)
	v_mov_b32_e32 v73, v72
.LBB33_29:                              ; =>This Inner Loop Header: Depth=1
	scratch_load_b64 v[74:75], v13, off
	ds_load_b64 v[76:77], v11
	s_wait_xcnt 0x0
	v_dual_add_nc_u32 v11, 8, v11 :: v_dual_add_nc_u32 v13, 8, v13
	s_wait_loadcnt_dscnt 0x0
	v_pk_mul_f32 v[78:79], v[76:77], v[74:75] op_sel:[1,1] op_sel_hi:[0,1]
	s_delay_alu instid0(VALU_DEP_1) | instskip(SKIP_2) | instid1(VALU_DEP_3)
	v_pk_fma_f32 v[80:81], v[76:77], v[74:75], v[78:79] op_sel_hi:[1,0,1]
	v_add_nc_u32_e32 v7, 1, v7
	v_pk_fma_f32 v[74:75], v[76:77], v[74:75], v[78:79] neg_lo:[0,0,1] neg_hi:[0,0,1]
	v_mov_b32_e32 v75, v81
	s_delay_alu instid0(VALU_DEP_3) | instskip(NEXT) | instid1(VALU_DEP_2)
	v_cmp_lt_u32_e32 vcc_lo, 2, v7
	v_pk_add_f32 v[72:73], v[72:73], v[74:75]
	s_or_b32 s1, vcc_lo, s1
	s_delay_alu instid0(SALU_CYCLE_1)
	s_and_not1_b32 exec_lo, exec_lo, s1
	s_cbranch_execnz .LBB33_29
; %bb.30:
	s_or_b32 exec_lo, exec_lo, s1
	v_mov_b32_e32 v7, 0
	ds_load_b64 v[74:75], v7 offset:32
	s_wait_dscnt 0x0
	v_pk_mul_f32 v[76:77], v[72:73], v[74:75] op_sel:[1,1] op_sel_hi:[0,1]
	s_delay_alu instid0(VALU_DEP_1) | instskip(SKIP_1) | instid1(VALU_DEP_2)
	v_pk_fma_f32 v[78:79], v[72:73], v[74:75], v[76:77] op_sel_hi:[1,0,1]
	v_pk_fma_f32 v[72:73], v[72:73], v[74:75], v[76:77] neg_lo:[0,0,1] neg_hi:[0,0,1]
	v_mov_b32_e32 v73, v79
	scratch_store_b64 off, v[72:73], off offset:32
.LBB33_31:
	s_wait_xcnt 0x0
	s_or_b32 exec_lo, exec_lo, s0
	s_wait_storecnt 0x0
	s_barrier_signal -1
	s_barrier_wait -1
	scratch_load_b64 v[72:73], off, off offset:40
	;; [unrolled: 52-line block ×19, first 2 shown]
	s_mov_b32 s0, exec_lo
	s_wait_loadcnt 0x0
	ds_store_b64 v1, v[72:73]
	s_wait_dscnt 0x0
	s_barrier_signal -1
	s_barrier_wait -1
	v_cmpx_gt_u32_e32 22, v0
	s_cbranch_execz .LBB33_103
; %bb.100:
	v_dual_mov_b32 v72, 0 :: v_dual_add_nc_u32 v7, -1, v0
	v_add_nc_u32_e32 v11, 0x110, v70
	v_mov_b32_e32 v13, v70
	s_mov_b32 s1, 0
	s_delay_alu instid0(VALU_DEP_3)
	v_mov_b32_e32 v73, v72
.LBB33_101:                             ; =>This Inner Loop Header: Depth=1
	scratch_load_b64 v[74:75], v13, off
	ds_load_b64 v[76:77], v11
	s_wait_xcnt 0x0
	v_dual_add_nc_u32 v11, 8, v11 :: v_dual_add_nc_u32 v13, 8, v13
	s_wait_loadcnt_dscnt 0x0
	v_pk_mul_f32 v[78:79], v[76:77], v[74:75] op_sel:[1,1] op_sel_hi:[0,1]
	s_delay_alu instid0(VALU_DEP_1) | instskip(SKIP_2) | instid1(VALU_DEP_3)
	v_pk_fma_f32 v[80:81], v[76:77], v[74:75], v[78:79] op_sel_hi:[1,0,1]
	v_add_nc_u32_e32 v7, 1, v7
	v_pk_fma_f32 v[74:75], v[76:77], v[74:75], v[78:79] neg_lo:[0,0,1] neg_hi:[0,0,1]
	v_mov_b32_e32 v75, v81
	s_delay_alu instid0(VALU_DEP_3) | instskip(NEXT) | instid1(VALU_DEP_2)
	v_cmp_lt_u32_e32 vcc_lo, 20, v7
	v_pk_add_f32 v[72:73], v[72:73], v[74:75]
	s_or_b32 s1, vcc_lo, s1
	s_delay_alu instid0(SALU_CYCLE_1)
	s_and_not1_b32 exec_lo, exec_lo, s1
	s_cbranch_execnz .LBB33_101
; %bb.102:
	s_or_b32 exec_lo, exec_lo, s1
	v_mov_b32_e32 v7, 0
	ds_load_b64 v[74:75], v7 offset:176
	s_wait_dscnt 0x0
	v_pk_mul_f32 v[76:77], v[72:73], v[74:75] op_sel:[1,1] op_sel_hi:[0,1]
	s_delay_alu instid0(VALU_DEP_1) | instskip(SKIP_1) | instid1(VALU_DEP_2)
	v_pk_fma_f32 v[78:79], v[72:73], v[74:75], v[76:77] op_sel_hi:[1,0,1]
	v_pk_fma_f32 v[72:73], v[72:73], v[74:75], v[76:77] neg_lo:[0,0,1] neg_hi:[0,0,1]
	v_mov_b32_e32 v73, v79
	scratch_store_b64 off, v[72:73], off offset:176
.LBB33_103:
	s_wait_xcnt 0x0
	s_or_b32 exec_lo, exec_lo, s0
	s_wait_storecnt 0x0
	s_barrier_signal -1
	s_barrier_wait -1
	scratch_load_b64 v[72:73], off, off offset:184
	s_mov_b32 s0, exec_lo
	s_wait_loadcnt 0x0
	ds_store_b64 v1, v[72:73]
	s_wait_dscnt 0x0
	s_barrier_signal -1
	s_barrier_wait -1
	v_cmpx_gt_u32_e32 23, v0
	s_cbranch_execz .LBB33_107
; %bb.104:
	v_dual_mov_b32 v72, 0 :: v_dual_add_nc_u32 v7, -1, v0
	v_add_nc_u32_e32 v11, 0x110, v70
	v_mov_b32_e32 v13, v70
	s_mov_b32 s1, 0
	s_delay_alu instid0(VALU_DEP_3)
	v_mov_b32_e32 v73, v72
.LBB33_105:                             ; =>This Inner Loop Header: Depth=1
	scratch_load_b64 v[74:75], v13, off
	ds_load_b64 v[76:77], v11
	s_wait_xcnt 0x0
	v_dual_add_nc_u32 v11, 8, v11 :: v_dual_add_nc_u32 v13, 8, v13
	s_wait_loadcnt_dscnt 0x0
	v_pk_mul_f32 v[78:79], v[76:77], v[74:75] op_sel:[1,1] op_sel_hi:[0,1]
	s_delay_alu instid0(VALU_DEP_1) | instskip(SKIP_2) | instid1(VALU_DEP_3)
	v_pk_fma_f32 v[80:81], v[76:77], v[74:75], v[78:79] op_sel_hi:[1,0,1]
	v_add_nc_u32_e32 v7, 1, v7
	v_pk_fma_f32 v[74:75], v[76:77], v[74:75], v[78:79] neg_lo:[0,0,1] neg_hi:[0,0,1]
	v_mov_b32_e32 v75, v81
	s_delay_alu instid0(VALU_DEP_3) | instskip(NEXT) | instid1(VALU_DEP_2)
	v_cmp_lt_u32_e32 vcc_lo, 21, v7
	v_pk_add_f32 v[72:73], v[72:73], v[74:75]
	s_or_b32 s1, vcc_lo, s1
	s_delay_alu instid0(SALU_CYCLE_1)
	s_and_not1_b32 exec_lo, exec_lo, s1
	s_cbranch_execnz .LBB33_105
; %bb.106:
	s_or_b32 exec_lo, exec_lo, s1
	v_mov_b32_e32 v7, 0
	ds_load_b64 v[74:75], v7 offset:184
	s_wait_dscnt 0x0
	v_pk_mul_f32 v[76:77], v[72:73], v[74:75] op_sel:[1,1] op_sel_hi:[0,1]
	s_delay_alu instid0(VALU_DEP_1) | instskip(SKIP_1) | instid1(VALU_DEP_2)
	v_pk_fma_f32 v[78:79], v[72:73], v[74:75], v[76:77] op_sel_hi:[1,0,1]
	v_pk_fma_f32 v[72:73], v[72:73], v[74:75], v[76:77] neg_lo:[0,0,1] neg_hi:[0,0,1]
	v_mov_b32_e32 v73, v79
	scratch_store_b64 off, v[72:73], off offset:184
.LBB33_107:
	s_wait_xcnt 0x0
	s_or_b32 exec_lo, exec_lo, s0
	s_wait_storecnt 0x0
	s_barrier_signal -1
	s_barrier_wait -1
	scratch_load_b64 v[72:73], off, off offset:192
	;; [unrolled: 52-line block ×11, first 2 shown]
	s_mov_b32 s0, exec_lo
	s_wait_loadcnt 0x0
	ds_store_b64 v1, v[72:73]
	s_wait_dscnt 0x0
	s_barrier_signal -1
	s_barrier_wait -1
	v_cmpx_ne_u32_e32 33, v0
	s_cbranch_execz .LBB33_147
; %bb.144:
	v_dual_mov_b32 v72, 0 :: v_dual_mov_b32 v7, v70
	s_mov_b32 s1, 0
	s_delay_alu instid0(VALU_DEP_1)
	v_mov_b32_e32 v73, v72
.LBB33_145:                             ; =>This Inner Loop Header: Depth=1
	scratch_load_b64 v[70:71], v7, off
	ds_load_b64 v[74:75], v1
	s_wait_xcnt 0x0
	v_dual_add_nc_u32 v1, 8, v1 :: v_dual_add_nc_u32 v7, 8, v7
	s_wait_loadcnt_dscnt 0x0
	v_pk_mul_f32 v[76:77], v[74:75], v[70:71] op_sel:[1,1] op_sel_hi:[0,1]
	s_delay_alu instid0(VALU_DEP_1) | instskip(SKIP_2) | instid1(VALU_DEP_3)
	v_pk_fma_f32 v[78:79], v[74:75], v[70:71], v[76:77] op_sel_hi:[1,0,1]
	v_add_nc_u32_e32 v5, 1, v5
	v_pk_fma_f32 v[70:71], v[74:75], v[70:71], v[76:77] neg_lo:[0,0,1] neg_hi:[0,0,1]
	v_mov_b32_e32 v71, v79
	s_delay_alu instid0(VALU_DEP_3) | instskip(NEXT) | instid1(VALU_DEP_2)
	v_cmp_lt_u32_e32 vcc_lo, 31, v5
	v_pk_add_f32 v[72:73], v[72:73], v[70:71]
	s_or_b32 s1, vcc_lo, s1
	s_delay_alu instid0(SALU_CYCLE_1)
	s_and_not1_b32 exec_lo, exec_lo, s1
	s_cbranch_execnz .LBB33_145
; %bb.146:
	s_or_b32 exec_lo, exec_lo, s1
	v_mov_b32_e32 v1, 0
	ds_load_b64 v[70:71], v1 offset:264
	s_wait_dscnt 0x0
	v_pk_mul_f32 v[74:75], v[72:73], v[70:71] op_sel:[1,1] op_sel_hi:[0,1]
	s_delay_alu instid0(VALU_DEP_1) | instskip(SKIP_1) | instid1(VALU_DEP_2)
	v_pk_fma_f32 v[76:77], v[72:73], v[70:71], v[74:75] op_sel_hi:[1,0,1]
	v_pk_fma_f32 v[70:71], v[72:73], v[70:71], v[74:75] neg_lo:[0,0,1] neg_hi:[0,0,1]
	v_mov_b32_e32 v71, v77
	scratch_store_b64 off, v[70:71], off offset:264
.LBB33_147:
	s_wait_xcnt 0x0
	s_or_b32 exec_lo, exec_lo, s0
	s_mov_b32 s1, -1
	s_wait_storecnt 0x0
	s_barrier_signal -1
	s_barrier_wait -1
.LBB33_148:
	s_and_b32 vcc_lo, exec_lo, s1
	s_cbranch_vccz .LBB33_150
; %bb.149:
	v_mov_b32_e32 v1, 0
	s_lshl_b64 s[0:1], s[16:17], 2
	s_delay_alu instid0(SALU_CYCLE_1)
	s_add_nc_u64 s[0:1], s[6:7], s[0:1]
	global_load_b32 v1, v1, s[0:1]
	s_wait_loadcnt 0x0
	v_cmp_ne_u32_e32 vcc_lo, 0, v1
	s_cbranch_vccz .LBB33_151
.LBB33_150:
	s_sendmsg sendmsg(MSG_DEALLOC_VGPRS)
	s_endpgm
.LBB33_151:
	s_wait_xcnt 0x0
	v_lshl_add_u32 v1, v0, 3, 0x110
	s_mov_b32 s0, exec_lo
	v_cmpx_eq_u32_e32 33, v0
	s_cbranch_execz .LBB33_153
; %bb.152:
	scratch_load_b64 v[70:71], off, off offset:256
	v_mov_b64_e32 v[72:73], 0
	scratch_store_b64 off, v[72:73], off offset:256
	s_wait_loadcnt 0x0
	ds_store_b64 v1, v[70:71]
.LBB33_153:
	s_wait_xcnt 0x0
	s_or_b32 exec_lo, exec_lo, s0
	s_wait_storecnt_dscnt 0x0
	s_barrier_signal -1
	s_barrier_wait -1
	s_clause 0x1
	scratch_load_b64 v[70:71], off, off offset:264
	scratch_load_b64 v[72:73], off, off offset:256
	v_mov_b32_e32 v5, 0
	s_mov_b32 s0, exec_lo
	ds_load_b64 v[74:75], v5 offset:536
	s_wait_loadcnt_dscnt 0x100
	v_pk_mul_f32 v[76:77], v[74:75], v[70:71] op_sel:[1,1] op_sel_hi:[0,1]
	s_delay_alu instid0(VALU_DEP_1) | instskip(SKIP_1) | instid1(VALU_DEP_2)
	v_pk_fma_f32 v[78:79], v[74:75], v[70:71], v[76:77] op_sel_hi:[1,0,1]
	v_pk_fma_f32 v[70:71], v[74:75], v[70:71], v[76:77] neg_lo:[0,0,1] neg_hi:[0,0,1]
	v_mov_b32_e32 v71, v79
	s_delay_alu instid0(VALU_DEP_1) | instskip(SKIP_1) | instid1(VALU_DEP_1)
	v_pk_add_f32 v[70:71], v[70:71], 0 op_sel_hi:[1,0]
	s_wait_loadcnt 0x0
	v_pk_add_f32 v[70:71], v[72:73], v[70:71] neg_lo:[0,1] neg_hi:[0,1]
	scratch_store_b64 off, v[70:71], off offset:256
	s_wait_xcnt 0x0
	v_cmpx_lt_u32_e32 31, v0
	s_cbranch_execz .LBB33_155
; %bb.154:
	scratch_load_b64 v[70:71], off, off offset:248
	v_mov_b64_e32 v[72:73], 0
	scratch_store_b64 off, v[72:73], off offset:248
	s_wait_loadcnt 0x0
	ds_store_b64 v1, v[70:71]
.LBB33_155:
	s_wait_xcnt 0x0
	s_or_b32 exec_lo, exec_lo, s0
	s_wait_storecnt_dscnt 0x0
	s_barrier_signal -1
	s_barrier_wait -1
	s_clause 0x1
	scratch_load_b128 v[70:73], off, off offset:256
	scratch_load_b64 v[78:79], off, off offset:248
	ds_load_b128 v[74:77], v5 offset:528
	s_mov_b32 s0, exec_lo
	s_wait_dscnt 0x0
	v_dual_mov_b32 v80, v77 :: v_dual_mov_b32 v81, v76
	s_wait_loadcnt 0x1
	v_pk_mul_f32 v[82:83], v[74:75], v[70:71] op_sel:[1,1] op_sel_hi:[0,1]
	s_delay_alu instid0(VALU_DEP_1) | instskip(SKIP_2) | instid1(VALU_DEP_3)
	v_pk_fma_f32 v[86:87], v[74:75], v[70:71], v[82:83] op_sel_hi:[1,0,1]
	v_mov_b32_e32 v84, v73
	v_pk_fma_f32 v[70:71], v[74:75], v[70:71], v[82:83] neg_lo:[0,0,1] neg_hi:[0,0,1]
	v_mov_b32_e32 v71, v87
	s_delay_alu instid0(VALU_DEP_3) | instskip(NEXT) | instid1(VALU_DEP_2)
	v_pk_mul_f32 v[80:81], v[80:81], v[84:85] op_sel_hi:[1,0]
	v_pk_add_f32 v[70:71], v[70:71], 0 op_sel_hi:[1,0]
	s_delay_alu instid0(VALU_DEP_2) | instskip(SKIP_1) | instid1(VALU_DEP_2)
	v_pk_fma_f32 v[74:75], v[76:77], v[72:73], v[80:81] op_sel_hi:[1,0,1]
	v_pk_fma_f32 v[72:73], v[76:77], v[72:73], v[80:81] neg_lo:[0,0,1] neg_hi:[0,0,1]
	v_mov_b32_e32 v73, v75
	s_delay_alu instid0(VALU_DEP_1) | instskip(SKIP_1) | instid1(VALU_DEP_1)
	v_pk_add_f32 v[70:71], v[70:71], v[72:73]
	s_wait_loadcnt 0x0
	v_pk_add_f32 v[70:71], v[78:79], v[70:71] neg_lo:[0,1] neg_hi:[0,1]
	scratch_store_b64 off, v[70:71], off offset:248
	s_wait_xcnt 0x0
	v_cmpx_lt_u32_e32 30, v0
	s_cbranch_execz .LBB33_157
; %bb.156:
	scratch_load_b64 v[70:71], off, off offset:240
	v_mov_b64_e32 v[72:73], 0
	scratch_store_b64 off, v[72:73], off offset:240
	s_wait_loadcnt 0x0
	ds_store_b64 v1, v[70:71]
.LBB33_157:
	s_wait_xcnt 0x0
	s_or_b32 exec_lo, exec_lo, s0
	s_wait_storecnt_dscnt 0x0
	s_barrier_signal -1
	s_barrier_wait -1
	s_clause 0x2
	scratch_load_b128 v[70:73], off, off offset:248
	scratch_load_b64 v[78:79], off, off offset:264
	scratch_load_b64 v[80:81], off, off offset:240
	v_mov_b32_e32 v5, 0
	ds_load_2addr_b64 v[74:77], v5 offset0:65 offset1:66
	ds_load_b64 v[82:83], v5 offset:536
	s_mov_b32 s0, exec_lo
	s_wait_dscnt 0x1
	v_dual_mov_b32 v84, v77 :: v_dual_mov_b32 v85, v76
	s_wait_loadcnt 0x2
	v_mov_b32_e32 v88, v73
	v_pk_mul_f32 v[86:87], v[74:75], v[70:71] op_sel:[1,1] op_sel_hi:[0,1]
	s_delay_alu instid0(VALU_DEP_2) | instskip(NEXT) | instid1(VALU_DEP_2)
	v_pk_mul_f32 v[84:85], v[84:85], v[88:89] op_sel_hi:[1,0]
	v_pk_fma_f32 v[90:91], v[74:75], v[70:71], v[86:87] op_sel_hi:[1,0,1]
	v_pk_fma_f32 v[70:71], v[74:75], v[70:71], v[86:87] neg_lo:[0,0,1] neg_hi:[0,0,1]
	s_wait_loadcnt_dscnt 0x100
	v_pk_mul_f32 v[86:87], v[82:83], v[78:79] op_sel:[1,1] op_sel_hi:[0,1]
	v_pk_fma_f32 v[74:75], v[76:77], v[72:73], v[84:85] op_sel_hi:[1,0,1]
	v_mov_b32_e32 v71, v91
	v_pk_fma_f32 v[72:73], v[76:77], v[72:73], v[84:85] neg_lo:[0,0,1] neg_hi:[0,0,1]
	s_delay_alu instid0(VALU_DEP_4) | instskip(NEXT) | instid1(VALU_DEP_4)
	v_pk_fma_f32 v[76:77], v[82:83], v[78:79], v[86:87] neg_lo:[0,0,1] neg_hi:[0,0,1]
	v_mov_b32_e32 v73, v75
	s_delay_alu instid0(VALU_DEP_4) | instskip(SKIP_1) | instid1(VALU_DEP_2)
	v_pk_add_f32 v[70:71], v[70:71], 0 op_sel_hi:[1,0]
	v_pk_fma_f32 v[74:75], v[82:83], v[78:79], v[86:87] op_sel_hi:[1,0,1]
	v_pk_add_f32 v[70:71], v[70:71], v[72:73]
	s_delay_alu instid0(VALU_DEP_2) | instskip(NEXT) | instid1(VALU_DEP_1)
	v_mov_b32_e32 v77, v75
	v_pk_add_f32 v[70:71], v[70:71], v[76:77]
	s_wait_loadcnt 0x0
	s_delay_alu instid0(VALU_DEP_1)
	v_pk_add_f32 v[70:71], v[80:81], v[70:71] neg_lo:[0,1] neg_hi:[0,1]
	scratch_store_b64 off, v[70:71], off offset:240
	s_wait_xcnt 0x0
	v_cmpx_lt_u32_e32 29, v0
	s_cbranch_execz .LBB33_159
; %bb.158:
	scratch_load_b64 v[70:71], off, off offset:232
	v_mov_b64_e32 v[72:73], 0
	scratch_store_b64 off, v[72:73], off offset:232
	s_wait_loadcnt 0x0
	ds_store_b64 v1, v[70:71]
.LBB33_159:
	s_wait_xcnt 0x0
	s_or_b32 exec_lo, exec_lo, s0
	s_wait_storecnt_dscnt 0x0
	s_barrier_signal -1
	s_barrier_wait -1
	s_clause 0x2
	scratch_load_b128 v[70:73], off, off offset:240
	scratch_load_b128 v[74:77], off, off offset:256
	scratch_load_b64 v[86:87], off, off offset:232
	ds_load_b128 v[78:81], v5 offset:512
	ds_load_b128 v[82:85], v5 offset:528
	s_mov_b32 s0, exec_lo
	s_wait_dscnt 0x1
	v_dual_mov_b32 v88, v81 :: v_dual_mov_b32 v89, v80
	s_wait_loadcnt_dscnt 0x200
	v_dual_mov_b32 v94, v85 :: v_dual_mov_b32 v92, v73
	v_pk_mul_f32 v[90:91], v[78:79], v[70:71] op_sel:[1,1] op_sel_hi:[0,1]
	s_delay_alu instid0(VALU_DEP_2) | instskip(NEXT) | instid1(VALU_DEP_2)
	v_pk_mul_f32 v[88:89], v[88:89], v[92:93] op_sel_hi:[1,0]
	v_pk_fma_f32 v[96:97], v[78:79], v[70:71], v[90:91] op_sel_hi:[1,0,1]
	v_pk_fma_f32 v[70:71], v[78:79], v[70:71], v[90:91] neg_lo:[0,0,1] neg_hi:[0,0,1]
	v_mov_b32_e32 v95, v84
	s_wait_loadcnt 0x1
	v_pk_mul_f32 v[92:93], v[82:83], v[74:75] op_sel:[1,1] op_sel_hi:[0,1]
	v_pk_fma_f32 v[78:79], v[80:81], v[72:73], v[88:89] op_sel_hi:[1,0,1]
	v_dual_mov_b32 v71, v97 :: v_dual_mov_b32 v78, v77
	v_pk_fma_f32 v[72:73], v[80:81], v[72:73], v[88:89] neg_lo:[0,0,1] neg_hi:[0,0,1]
	s_delay_alu instid0(VALU_DEP_4) | instskip(NEXT) | instid1(VALU_DEP_4)
	v_pk_fma_f32 v[90:91], v[82:83], v[74:75], v[92:93] op_sel_hi:[1,0,1]
	v_mov_b32_e32 v73, v79
	s_delay_alu instid0(VALU_DEP_4) | instskip(SKIP_2) | instid1(VALU_DEP_3)
	v_pk_add_f32 v[70:71], v[70:71], 0 op_sel_hi:[1,0]
	v_pk_mul_f32 v[78:79], v[94:95], v[78:79] op_sel_hi:[1,0]
	v_pk_fma_f32 v[74:75], v[82:83], v[74:75], v[92:93] neg_lo:[0,0,1] neg_hi:[0,0,1]
	v_pk_add_f32 v[70:71], v[70:71], v[72:73]
	s_delay_alu instid0(VALU_DEP_3) | instskip(SKIP_2) | instid1(VALU_DEP_3)
	v_pk_fma_f32 v[72:73], v[84:85], v[76:77], v[78:79] op_sel_hi:[1,0,1]
	v_mov_b32_e32 v75, v91
	v_pk_fma_f32 v[76:77], v[84:85], v[76:77], v[78:79] neg_lo:[0,0,1] neg_hi:[0,0,1]
	v_mov_b32_e32 v77, v73
	s_delay_alu instid0(VALU_DEP_3) | instskip(NEXT) | instid1(VALU_DEP_1)
	v_pk_add_f32 v[70:71], v[70:71], v[74:75]
	v_pk_add_f32 v[70:71], v[70:71], v[76:77]
	s_wait_loadcnt 0x0
	s_delay_alu instid0(VALU_DEP_1)
	v_pk_add_f32 v[70:71], v[86:87], v[70:71] neg_lo:[0,1] neg_hi:[0,1]
	scratch_store_b64 off, v[70:71], off offset:232
	s_wait_xcnt 0x0
	v_cmpx_lt_u32_e32 28, v0
	s_cbranch_execz .LBB33_161
; %bb.160:
	scratch_load_b64 v[70:71], off, off offset:224
	v_mov_b64_e32 v[72:73], 0
	scratch_store_b64 off, v[72:73], off offset:224
	s_wait_loadcnt 0x0
	ds_store_b64 v1, v[70:71]
.LBB33_161:
	s_wait_xcnt 0x0
	s_or_b32 exec_lo, exec_lo, s0
	s_wait_storecnt_dscnt 0x0
	s_barrier_signal -1
	s_barrier_wait -1
	s_clause 0x3
	scratch_load_b128 v[70:73], off, off offset:232
	scratch_load_b128 v[74:77], off, off offset:248
	scratch_load_b64 v[86:87], off, off offset:264
	scratch_load_b64 v[88:89], off, off offset:224
	v_mov_b32_e32 v5, 0
	ds_load_2addr_b64 v[78:81], v5 offset0:63 offset1:64
	ds_load_2addr_b64 v[82:85], v5 offset0:65 offset1:66
	s_mov_b32 s0, exec_lo
	s_wait_dscnt 0x1
	v_dual_mov_b32 v90, v81 :: v_dual_mov_b32 v91, v80
	ds_load_b64 v[96:97], v5 offset:536
	s_wait_dscnt 0x1
	v_dual_mov_b32 v98, v85 :: v_dual_mov_b32 v99, v84
	s_wait_loadcnt 0x3
	v_pk_mul_f32 v[92:93], v[78:79], v[70:71] op_sel:[1,1] op_sel_hi:[0,1]
	v_mov_b32_e32 v94, v73
	s_delay_alu instid0(VALU_DEP_2) | instskip(NEXT) | instid1(VALU_DEP_2)
	v_pk_fma_f32 v[100:101], v[78:79], v[70:71], v[92:93] op_sel_hi:[1,0,1]
	v_pk_mul_f32 v[90:91], v[90:91], v[94:95] op_sel_hi:[1,0]
	v_pk_fma_f32 v[70:71], v[78:79], v[70:71], v[92:93] neg_lo:[0,0,1] neg_hi:[0,0,1]
	s_wait_loadcnt 0x2
	v_pk_mul_f32 v[94:95], v[82:83], v[74:75] op_sel:[1,1] op_sel_hi:[0,1]
	v_dual_mov_b32 v100, v77 :: v_dual_mov_b32 v71, v101
	v_pk_fma_f32 v[78:79], v[80:81], v[72:73], v[90:91] op_sel_hi:[1,0,1]
	v_pk_fma_f32 v[72:73], v[80:81], v[72:73], v[90:91] neg_lo:[0,0,1] neg_hi:[0,0,1]
	s_delay_alu instid0(VALU_DEP_4) | instskip(NEXT) | instid1(VALU_DEP_4)
	v_pk_fma_f32 v[92:93], v[82:83], v[74:75], v[94:95] op_sel_hi:[1,0,1]
	v_pk_mul_f32 v[98:99], v[98:99], v[100:101] op_sel_hi:[1,0]
	v_pk_add_f32 v[70:71], v[70:71], 0 op_sel_hi:[1,0]
	v_mov_b32_e32 v73, v79
	v_pk_fma_f32 v[74:75], v[82:83], v[74:75], v[94:95] neg_lo:[0,0,1] neg_hi:[0,0,1]
	v_mov_b32_e32 v75, v93
	v_pk_fma_f32 v[78:79], v[84:85], v[76:77], v[98:99] op_sel_hi:[1,0,1]
	v_pk_fma_f32 v[76:77], v[84:85], v[76:77], v[98:99] neg_lo:[0,0,1] neg_hi:[0,0,1]
	v_pk_add_f32 v[70:71], v[70:71], v[72:73]
	s_wait_loadcnt_dscnt 0x100
	v_pk_mul_f32 v[72:73], v[96:97], v[86:87] op_sel:[1,1] op_sel_hi:[0,1]
	s_delay_alu instid0(VALU_DEP_2) | instskip(NEXT) | instid1(VALU_DEP_2)
	v_pk_add_f32 v[70:71], v[70:71], v[74:75]
	v_pk_fma_f32 v[74:75], v[96:97], v[86:87], v[72:73] op_sel_hi:[1,0,1]
	v_mov_b32_e32 v77, v79
	v_pk_fma_f32 v[72:73], v[96:97], v[86:87], v[72:73] neg_lo:[0,0,1] neg_hi:[0,0,1]
	s_delay_alu instid0(VALU_DEP_3) | instskip(NEXT) | instid1(VALU_DEP_3)
	v_mov_b32_e32 v73, v75
	v_pk_add_f32 v[70:71], v[70:71], v[76:77]
	s_delay_alu instid0(VALU_DEP_1) | instskip(SKIP_1) | instid1(VALU_DEP_1)
	v_pk_add_f32 v[70:71], v[70:71], v[72:73]
	s_wait_loadcnt 0x0
	v_pk_add_f32 v[70:71], v[88:89], v[70:71] neg_lo:[0,1] neg_hi:[0,1]
	scratch_store_b64 off, v[70:71], off offset:224
	s_wait_xcnt 0x0
	v_cmpx_lt_u32_e32 27, v0
	s_cbranch_execz .LBB33_163
; %bb.162:
	scratch_load_b64 v[70:71], off, off offset:216
	v_mov_b64_e32 v[72:73], 0
	scratch_store_b64 off, v[72:73], off offset:216
	s_wait_loadcnt 0x0
	ds_store_b64 v1, v[70:71]
.LBB33_163:
	s_wait_xcnt 0x0
	s_or_b32 exec_lo, exec_lo, s0
	s_wait_storecnt_dscnt 0x0
	s_barrier_signal -1
	s_barrier_wait -1
	s_clause 0x3
	scratch_load_b128 v[70:73], off, off offset:224
	scratch_load_b128 v[74:77], off, off offset:240
	;; [unrolled: 1-line block ×3, first 2 shown]
	scratch_load_b64 v[94:95], off, off offset:216
	ds_load_b128 v[82:85], v5 offset:496
	ds_load_b128 v[86:89], v5 offset:512
	;; [unrolled: 1-line block ×3, first 2 shown]
	s_mov_b32 s0, exec_lo
	s_wait_dscnt 0x2
	v_dual_mov_b32 v96, v85 :: v_dual_mov_b32 v97, v84
	s_wait_dscnt 0x1
	v_dual_mov_b32 v98, v89 :: v_dual_mov_b32 v99, v88
	;; [unrolled: 2-line block ×3, first 2 shown]
	s_wait_loadcnt 0x3
	v_pk_mul_f32 v[100:101], v[82:83], v[70:71] op_sel:[1,1] op_sel_hi:[0,1]
	v_mov_b32_e32 v102, v73
	s_delay_alu instid0(VALU_DEP_2) | instskip(NEXT) | instid1(VALU_DEP_2)
	v_pk_fma_f32 v[106:107], v[82:83], v[70:71], v[100:101] op_sel_hi:[1,0,1]
	v_pk_mul_f32 v[96:97], v[96:97], v[102:103] op_sel_hi:[1,0]
	v_pk_fma_f32 v[70:71], v[82:83], v[70:71], v[100:101] neg_lo:[0,0,1] neg_hi:[0,0,1]
	s_wait_loadcnt 0x2
	v_pk_mul_f32 v[102:103], v[86:87], v[74:75] op_sel:[1,1] op_sel_hi:[0,1]
	v_mov_b32_e32 v106, v77
	v_pk_fma_f32 v[82:83], v[84:85], v[72:73], v[96:97] op_sel_hi:[1,0,1]
	v_mov_b32_e32 v71, v107
	v_pk_fma_f32 v[72:73], v[84:85], v[72:73], v[96:97] neg_lo:[0,0,1] neg_hi:[0,0,1]
	v_pk_fma_f32 v[100:101], v[86:87], v[74:75], v[102:103] op_sel_hi:[1,0,1]
	v_pk_mul_f32 v[98:99], v[98:99], v[106:107] op_sel_hi:[1,0]
	v_mov_b32_e32 v73, v83
	v_pk_add_f32 v[70:71], v[70:71], 0 op_sel_hi:[1,0]
	v_pk_fma_f32 v[74:75], v[86:87], v[74:75], v[102:103] neg_lo:[0,0,1] neg_hi:[0,0,1]
	s_wait_loadcnt 0x1
	v_pk_mul_f32 v[82:83], v[90:91], v[78:79] op_sel:[1,1] op_sel_hi:[0,1]
	v_mov_b32_e32 v75, v101
	v_pk_fma_f32 v[84:85], v[88:89], v[76:77], v[98:99] op_sel_hi:[1,0,1]
	v_pk_add_f32 v[70:71], v[70:71], v[72:73]
	v_mov_b32_e32 v72, v81
	v_pk_fma_f32 v[76:77], v[88:89], v[76:77], v[98:99] neg_lo:[0,0,1] neg_hi:[0,0,1]
	v_pk_fma_f32 v[86:87], v[90:91], v[78:79], v[82:83] op_sel_hi:[1,0,1]
	v_mov_b32_e32 v77, v85
	v_pk_add_f32 v[70:71], v[70:71], v[74:75]
	v_pk_mul_f32 v[72:73], v[104:105], v[72:73] op_sel_hi:[1,0]
	v_pk_fma_f32 v[74:75], v[90:91], v[78:79], v[82:83] neg_lo:[0,0,1] neg_hi:[0,0,1]
	v_mov_b32_e32 v75, v87
	s_delay_alu instid0(VALU_DEP_4) | instskip(NEXT) | instid1(VALU_DEP_4)
	v_pk_add_f32 v[70:71], v[70:71], v[76:77]
	v_pk_fma_f32 v[76:77], v[92:93], v[80:81], v[72:73] op_sel_hi:[1,0,1]
	v_pk_fma_f32 v[72:73], v[92:93], v[80:81], v[72:73] neg_lo:[0,0,1] neg_hi:[0,0,1]
	s_delay_alu instid0(VALU_DEP_3) | instskip(NEXT) | instid1(VALU_DEP_3)
	v_pk_add_f32 v[70:71], v[70:71], v[74:75]
	v_mov_b32_e32 v73, v77
	s_delay_alu instid0(VALU_DEP_1) | instskip(SKIP_1) | instid1(VALU_DEP_1)
	v_pk_add_f32 v[70:71], v[70:71], v[72:73]
	s_wait_loadcnt 0x0
	v_pk_add_f32 v[70:71], v[94:95], v[70:71] neg_lo:[0,1] neg_hi:[0,1]
	scratch_store_b64 off, v[70:71], off offset:216
	s_wait_xcnt 0x0
	v_cmpx_lt_u32_e32 26, v0
	s_cbranch_execz .LBB33_165
; %bb.164:
	scratch_load_b64 v[70:71], off, off offset:208
	v_mov_b64_e32 v[72:73], 0
	scratch_store_b64 off, v[72:73], off offset:208
	s_wait_loadcnt 0x0
	ds_store_b64 v1, v[70:71]
.LBB33_165:
	s_wait_xcnt 0x0
	s_or_b32 exec_lo, exec_lo, s0
	s_wait_storecnt_dscnt 0x0
	s_barrier_signal -1
	s_barrier_wait -1
	s_clause 0x4
	scratch_load_b128 v[70:73], off, off offset:216
	scratch_load_b128 v[74:77], off, off offset:232
	;; [unrolled: 1-line block ×3, first 2 shown]
	scratch_load_b64 v[94:95], off, off offset:264
	scratch_load_b64 v[96:97], off, off offset:208
	v_mov_b32_e32 v5, 0
	ds_load_2addr_b64 v[82:85], v5 offset0:61 offset1:62
	ds_load_2addr_b64 v[86:89], v5 offset0:63 offset1:64
	;; [unrolled: 1-line block ×3, first 2 shown]
	ds_load_b64 v[98:99], v5 offset:536
	s_mov_b32 s0, exec_lo
	s_wait_dscnt 0x3
	v_dual_mov_b32 v100, v85 :: v_dual_mov_b32 v101, v84
	s_wait_dscnt 0x2
	v_dual_mov_b32 v102, v89 :: v_dual_mov_b32 v103, v88
	;; [unrolled: 2-line block ×3, first 2 shown]
	s_wait_loadcnt 0x4
	v_pk_mul_f32 v[104:105], v[82:83], v[70:71] op_sel:[1,1] op_sel_hi:[0,1]
	v_mov_b32_e32 v106, v73
	s_wait_loadcnt 0x3
	v_pk_mul_f32 v[110:111], v[86:87], v[74:75] op_sel:[1,1] op_sel_hi:[0,1]
	s_wait_loadcnt 0x2
	v_pk_mul_f32 v[114:115], v[90:91], v[78:79] op_sel:[1,1] op_sel_hi:[0,1]
	v_pk_fma_f32 v[112:113], v[82:83], v[70:71], v[104:105] op_sel_hi:[1,0,1]
	v_pk_mul_f32 v[100:101], v[100:101], v[106:107] op_sel_hi:[1,0]
	v_pk_fma_f32 v[70:71], v[82:83], v[70:71], v[104:105] neg_lo:[0,0,1] neg_hi:[0,0,1]
	v_mov_b32_e32 v106, v77
	v_pk_fma_f32 v[104:105], v[86:87], v[74:75], v[110:111] op_sel_hi:[1,0,1]
	v_mov_b32_e32 v71, v113
	v_pk_fma_f32 v[82:83], v[84:85], v[72:73], v[100:101] op_sel_hi:[1,0,1]
	v_pk_fma_f32 v[72:73], v[84:85], v[72:73], v[100:101] neg_lo:[0,0,1] neg_hi:[0,0,1]
	v_pk_mul_f32 v[102:103], v[102:103], v[106:107] op_sel_hi:[1,0]
	v_pk_fma_f32 v[74:75], v[86:87], v[74:75], v[110:111] neg_lo:[0,0,1] neg_hi:[0,0,1]
	v_pk_add_f32 v[70:71], v[70:71], 0 op_sel_hi:[1,0]
	v_dual_mov_b32 v73, v83 :: v_dual_mov_b32 v82, v81
	s_delay_alu instid0(VALU_DEP_4) | instskip(SKIP_2) | instid1(VALU_DEP_4)
	v_pk_fma_f32 v[84:85], v[88:89], v[76:77], v[102:103] op_sel_hi:[1,0,1]
	v_mov_b32_e32 v75, v105
	v_pk_fma_f32 v[76:77], v[88:89], v[76:77], v[102:103] neg_lo:[0,0,1] neg_hi:[0,0,1]
	v_pk_add_f32 v[70:71], v[70:71], v[72:73]
	v_pk_fma_f32 v[72:73], v[90:91], v[78:79], v[114:115] op_sel_hi:[1,0,1]
	v_pk_mul_f32 v[82:83], v[108:109], v[82:83] op_sel_hi:[1,0]
	v_mov_b32_e32 v77, v85
	s_delay_alu instid0(VALU_DEP_4)
	v_pk_add_f32 v[70:71], v[70:71], v[74:75]
	v_pk_fma_f32 v[74:75], v[90:91], v[78:79], v[114:115] neg_lo:[0,0,1] neg_hi:[0,0,1]
	v_mov_b32_e32 v75, v73
	v_pk_fma_f32 v[72:73], v[92:93], v[80:81], v[82:83] op_sel_hi:[1,0,1]
	v_pk_fma_f32 v[78:79], v[92:93], v[80:81], v[82:83] neg_lo:[0,0,1] neg_hi:[0,0,1]
	v_pk_add_f32 v[70:71], v[70:71], v[76:77]
	s_wait_loadcnt_dscnt 0x100
	v_pk_mul_f32 v[76:77], v[98:99], v[94:95] op_sel:[1,1] op_sel_hi:[0,1]
	v_mov_b32_e32 v79, v73
	s_delay_alu instid0(VALU_DEP_3) | instskip(NEXT) | instid1(VALU_DEP_3)
	v_pk_add_f32 v[70:71], v[70:71], v[74:75]
	v_pk_fma_f32 v[72:73], v[98:99], v[94:95], v[76:77] op_sel_hi:[1,0,1]
	v_pk_fma_f32 v[74:75], v[98:99], v[94:95], v[76:77] neg_lo:[0,0,1] neg_hi:[0,0,1]
	s_delay_alu instid0(VALU_DEP_3) | instskip(NEXT) | instid1(VALU_DEP_3)
	v_pk_add_f32 v[70:71], v[70:71], v[78:79]
	v_mov_b32_e32 v75, v73
	s_delay_alu instid0(VALU_DEP_1) | instskip(SKIP_1) | instid1(VALU_DEP_1)
	v_pk_add_f32 v[70:71], v[70:71], v[74:75]
	s_wait_loadcnt 0x0
	v_pk_add_f32 v[70:71], v[96:97], v[70:71] neg_lo:[0,1] neg_hi:[0,1]
	scratch_store_b64 off, v[70:71], off offset:208
	s_wait_xcnt 0x0
	v_cmpx_lt_u32_e32 25, v0
	s_cbranch_execz .LBB33_167
; %bb.166:
	scratch_load_b64 v[70:71], off, off offset:200
	v_mov_b64_e32 v[72:73], 0
	scratch_store_b64 off, v[72:73], off offset:200
	s_wait_loadcnt 0x0
	ds_store_b64 v1, v[70:71]
.LBB33_167:
	s_wait_xcnt 0x0
	s_or_b32 exec_lo, exec_lo, s0
	s_wait_storecnt_dscnt 0x0
	s_barrier_signal -1
	s_barrier_wait -1
	s_clause 0x4
	scratch_load_b128 v[70:73], off, off offset:208
	scratch_load_b128 v[74:77], off, off offset:224
	;; [unrolled: 1-line block ×4, first 2 shown]
	scratch_load_b64 v[102:103], off, off offset:200
	ds_load_b128 v[86:89], v5 offset:480
	ds_load_b128 v[90:93], v5 offset:496
	;; [unrolled: 1-line block ×4, first 2 shown]
	s_mov_b32 s0, exec_lo
	s_wait_dscnt 0x3
	v_dual_mov_b32 v104, v89 :: v_dual_mov_b32 v105, v88
	s_wait_dscnt 0x2
	v_dual_mov_b32 v106, v93 :: v_dual_mov_b32 v107, v92
	;; [unrolled: 2-line block ×3, first 2 shown]
	v_dual_mov_b32 v109, v96 :: v_dual_mov_b32 v114, v101
	s_wait_loadcnt 0x4
	v_mov_b32_e32 v112, v73
	v_pk_mul_f32 v[110:111], v[86:87], v[70:71] op_sel:[1,1] op_sel_hi:[0,1]
	s_wait_loadcnt 0x3
	v_pk_mul_f32 v[116:117], v[90:91], v[74:75] op_sel:[1,1] op_sel_hi:[0,1]
	s_wait_loadcnt 0x2
	v_pk_mul_f32 v[120:121], v[94:95], v[78:79] op_sel:[1,1] op_sel_hi:[0,1]
	v_pk_mul_f32 v[104:105], v[104:105], v[112:113] op_sel_hi:[1,0]
	v_pk_fma_f32 v[118:119], v[86:87], v[70:71], v[110:111] op_sel_hi:[1,0,1]
	v_pk_fma_f32 v[70:71], v[86:87], v[70:71], v[110:111] neg_lo:[0,0,1] neg_hi:[0,0,1]
	v_mov_b32_e32 v112, v77
	v_pk_fma_f32 v[110:111], v[90:91], v[74:75], v[116:117] op_sel_hi:[1,0,1]
	v_pk_fma_f32 v[86:87], v[88:89], v[72:73], v[104:105] op_sel_hi:[1,0,1]
	v_mov_b32_e32 v71, v119
	v_pk_fma_f32 v[72:73], v[88:89], v[72:73], v[104:105] neg_lo:[0,0,1] neg_hi:[0,0,1]
	v_pk_mul_f32 v[106:107], v[106:107], v[112:113] op_sel_hi:[1,0]
	s_delay_alu instid0(VALU_DEP_4) | instskip(NEXT) | instid1(VALU_DEP_4)
	v_dual_mov_b32 v86, v81 :: v_dual_mov_b32 v73, v87
	v_pk_add_f32 v[70:71], v[70:71], 0 op_sel_hi:[1,0]
	v_pk_fma_f32 v[74:75], v[90:91], v[74:75], v[116:117] neg_lo:[0,0,1] neg_hi:[0,0,1]
	v_mov_b32_e32 v75, v111
	v_pk_fma_f32 v[88:89], v[92:93], v[76:77], v[106:107] op_sel_hi:[1,0,1]
	v_pk_mul_f32 v[86:87], v[108:109], v[86:87] op_sel_hi:[1,0]
	v_pk_add_f32 v[70:71], v[70:71], v[72:73]
	v_pk_fma_f32 v[72:73], v[94:95], v[78:79], v[120:121] op_sel_hi:[1,0,1]
	v_pk_fma_f32 v[76:77], v[92:93], v[76:77], v[106:107] neg_lo:[0,0,1] neg_hi:[0,0,1]
	v_mov_b32_e32 v77, v89
	v_pk_fma_f32 v[78:79], v[94:95], v[78:79], v[120:121] neg_lo:[0,0,1] neg_hi:[0,0,1]
	v_pk_add_f32 v[70:71], v[70:71], v[74:75]
	v_mov_b32_e32 v79, v73
	v_pk_fma_f32 v[72:73], v[96:97], v[80:81], v[86:87] op_sel_hi:[1,0,1]
	s_wait_loadcnt 0x1
	v_pk_mul_f32 v[74:75], v[98:99], v[82:83] op_sel:[1,1] op_sel_hi:[0,1]
	v_mov_b32_e32 v72, v85
	v_pk_add_f32 v[70:71], v[70:71], v[76:77]
	v_pk_fma_f32 v[80:81], v[96:97], v[80:81], v[86:87] neg_lo:[0,0,1] neg_hi:[0,0,1]
	v_mov_b32_e32 v81, v73
	v_pk_fma_f32 v[76:77], v[98:99], v[82:83], v[74:75] op_sel_hi:[1,0,1]
	v_pk_mul_f32 v[72:73], v[114:115], v[72:73] op_sel_hi:[1,0]
	v_pk_add_f32 v[70:71], v[70:71], v[78:79]
	v_pk_fma_f32 v[74:75], v[98:99], v[82:83], v[74:75] neg_lo:[0,0,1] neg_hi:[0,0,1]
	s_delay_alu instid0(VALU_DEP_4) | instskip(NEXT) | instid1(VALU_DEP_4)
	v_mov_b32_e32 v75, v77
	v_pk_fma_f32 v[76:77], v[100:101], v[84:85], v[72:73] op_sel_hi:[1,0,1]
	s_delay_alu instid0(VALU_DEP_4) | instskip(SKIP_1) | instid1(VALU_DEP_3)
	v_pk_add_f32 v[70:71], v[70:71], v[80:81]
	v_pk_fma_f32 v[72:73], v[100:101], v[84:85], v[72:73] neg_lo:[0,0,1] neg_hi:[0,0,1]
	v_mov_b32_e32 v73, v77
	s_delay_alu instid0(VALU_DEP_3) | instskip(NEXT) | instid1(VALU_DEP_1)
	v_pk_add_f32 v[70:71], v[70:71], v[74:75]
	v_pk_add_f32 v[70:71], v[70:71], v[72:73]
	s_wait_loadcnt 0x0
	s_delay_alu instid0(VALU_DEP_1)
	v_pk_add_f32 v[70:71], v[102:103], v[70:71] neg_lo:[0,1] neg_hi:[0,1]
	scratch_store_b64 off, v[70:71], off offset:200
	s_wait_xcnt 0x0
	v_cmpx_lt_u32_e32 24, v0
	s_cbranch_execz .LBB33_169
; %bb.168:
	scratch_load_b64 v[70:71], off, off offset:192
	v_mov_b64_e32 v[72:73], 0
	scratch_store_b64 off, v[72:73], off offset:192
	s_wait_loadcnt 0x0
	ds_store_b64 v1, v[70:71]
.LBB33_169:
	s_wait_xcnt 0x0
	s_or_b32 exec_lo, exec_lo, s0
	s_wait_storecnt_dscnt 0x0
	s_barrier_signal -1
	s_barrier_wait -1
	s_clause 0x5
	scratch_load_b128 v[70:73], off, off offset:200
	scratch_load_b128 v[74:77], off, off offset:216
	scratch_load_b128 v[78:81], off, off offset:232
	scratch_load_b128 v[82:85], off, off offset:248
	scratch_load_b64 v[102:103], off, off offset:264
	scratch_load_b64 v[104:105], off, off offset:192
	v_mov_b32_e32 v5, 0
	ds_load_2addr_b64 v[86:89], v5 offset0:59 offset1:60
	ds_load_2addr_b64 v[90:93], v5 offset0:61 offset1:62
	;; [unrolled: 1-line block ×4, first 2 shown]
	ds_load_b64 v[106:107], v5 offset:536
	s_mov_b32 s0, exec_lo
	s_wait_dscnt 0x4
	v_dual_mov_b32 v108, v89 :: v_dual_mov_b32 v109, v88
	s_wait_dscnt 0x1
	v_dual_mov_b32 v110, v93 :: v_dual_mov_b32 v115, v100
	v_dual_mov_b32 v111, v92 :: v_dual_mov_b32 v112, v97
	;; [unrolled: 1-line block ×3, first 2 shown]
	s_wait_loadcnt 0x5
	v_dual_mov_b32 v116, v73 :: v_dual_mul_f32 v117, v86, v71
	v_mul_f32_e32 v7, v87, v71
	s_wait_loadcnt 0x4
	v_pk_mul_f32 v[118:119], v[90:91], v[74:75] op_sel:[1,1] op_sel_hi:[0,1]
	v_mov_b32_e32 v120, v77
	s_wait_loadcnt 0x3
	v_pk_mul_f32 v[122:123], v[94:95], v[78:79] op_sel:[1,1] op_sel_hi:[0,1]
	v_pk_mul_f32 v[108:109], v[108:109], v[116:117] op_sel_hi:[1,0]
	v_dual_fmac_f32 v117, v87, v70 :: v_dual_fma_f32 v116, v86, v70, -v7
	v_mov_b32_e32 v70, v81
	v_pk_fma_f32 v[124:125], v[90:91], v[74:75], v[118:119] op_sel_hi:[1,0,1]
	s_delay_alu instid0(VALU_DEP_4)
	v_pk_fma_f32 v[86:87], v[88:89], v[72:73], v[108:109] op_sel_hi:[1,0,1]
	v_pk_fma_f32 v[72:73], v[88:89], v[72:73], v[108:109] neg_lo:[0,0,1] neg_hi:[0,0,1]
	v_pk_mul_f32 v[110:111], v[110:111], v[120:121] op_sel_hi:[1,0]
	v_pk_add_f32 v[116:117], v[116:117], 0 op_sel_hi:[1,0]
	v_pk_fma_f32 v[74:75], v[90:91], v[74:75], v[118:119] neg_lo:[0,0,1] neg_hi:[0,0,1]
	v_dual_mov_b32 v73, v87 :: v_dual_mov_b32 v75, v125
	s_delay_alu instid0(VALU_DEP_4) | instskip(SKIP_2) | instid1(VALU_DEP_4)
	v_pk_fma_f32 v[88:89], v[92:93], v[76:77], v[110:111] op_sel_hi:[1,0,1]
	v_pk_fma_f32 v[76:77], v[92:93], v[76:77], v[110:111] neg_lo:[0,0,1] neg_hi:[0,0,1]
	v_pk_fma_f32 v[90:91], v[94:95], v[78:79], v[122:123] op_sel_hi:[1,0,1]
	v_pk_add_f32 v[72:73], v[116:117], v[72:73]
	v_pk_mul_f32 v[70:71], v[112:113], v[70:71] op_sel_hi:[1,0]
	v_mov_b32_e32 v77, v89
	v_pk_fma_f32 v[78:79], v[94:95], v[78:79], v[122:123] neg_lo:[0,0,1] neg_hi:[0,0,1]
	s_wait_loadcnt 0x2
	v_pk_mul_f32 v[86:87], v[98:99], v[82:83] op_sel:[1,1] op_sel_hi:[0,1]
	v_pk_add_f32 v[72:73], v[72:73], v[74:75]
	v_mov_b32_e32 v74, v85
	v_pk_fma_f32 v[88:89], v[96:97], v[80:81], v[70:71] op_sel_hi:[1,0,1]
	v_mov_b32_e32 v79, v91
	v_pk_fma_f32 v[70:71], v[96:97], v[80:81], v[70:71] neg_lo:[0,0,1] neg_hi:[0,0,1]
	v_pk_add_f32 v[72:73], v[72:73], v[76:77]
	v_pk_fma_f32 v[76:77], v[98:99], v[82:83], v[86:87] op_sel_hi:[1,0,1]
	v_pk_mul_f32 v[74:75], v[114:115], v[74:75] op_sel_hi:[1,0]
	v_mov_b32_e32 v71, v89
	s_delay_alu instid0(VALU_DEP_4)
	v_pk_add_f32 v[72:73], v[72:73], v[78:79]
	v_pk_fma_f32 v[78:79], v[98:99], v[82:83], v[86:87] neg_lo:[0,0,1] neg_hi:[0,0,1]
	v_mov_b32_e32 v79, v77
	v_pk_fma_f32 v[76:77], v[100:101], v[84:85], v[74:75] op_sel_hi:[1,0,1]
	v_pk_fma_f32 v[74:75], v[100:101], v[84:85], v[74:75] neg_lo:[0,0,1] neg_hi:[0,0,1]
	v_pk_add_f32 v[70:71], v[72:73], v[70:71]
	s_wait_loadcnt_dscnt 0x100
	v_pk_mul_f32 v[72:73], v[106:107], v[102:103] op_sel:[1,1] op_sel_hi:[0,1]
	v_mov_b32_e32 v75, v77
	s_delay_alu instid0(VALU_DEP_3) | instskip(NEXT) | instid1(VALU_DEP_3)
	v_pk_add_f32 v[70:71], v[70:71], v[78:79]
	v_pk_fma_f32 v[76:77], v[106:107], v[102:103], v[72:73] op_sel_hi:[1,0,1]
	v_pk_fma_f32 v[72:73], v[106:107], v[102:103], v[72:73] neg_lo:[0,0,1] neg_hi:[0,0,1]
	s_delay_alu instid0(VALU_DEP_3) | instskip(NEXT) | instid1(VALU_DEP_3)
	v_pk_add_f32 v[70:71], v[70:71], v[74:75]
	v_mov_b32_e32 v73, v77
	s_delay_alu instid0(VALU_DEP_1) | instskip(SKIP_1) | instid1(VALU_DEP_1)
	v_pk_add_f32 v[70:71], v[70:71], v[72:73]
	s_wait_loadcnt 0x0
	v_pk_add_f32 v[70:71], v[104:105], v[70:71] neg_lo:[0,1] neg_hi:[0,1]
	scratch_store_b64 off, v[70:71], off offset:192
	s_wait_xcnt 0x0
	v_cmpx_lt_u32_e32 23, v0
	s_cbranch_execz .LBB33_171
; %bb.170:
	scratch_load_b64 v[70:71], off, off offset:184
	v_mov_b64_e32 v[72:73], 0
	scratch_store_b64 off, v[72:73], off offset:184
	s_wait_loadcnt 0x0
	ds_store_b64 v1, v[70:71]
.LBB33_171:
	s_wait_xcnt 0x0
	s_or_b32 exec_lo, exec_lo, s0
	s_wait_storecnt_dscnt 0x0
	s_barrier_signal -1
	s_barrier_wait -1
	s_clause 0x5
	scratch_load_b128 v[70:73], off, off offset:192
	scratch_load_b128 v[74:77], off, off offset:208
	;; [unrolled: 1-line block ×5, first 2 shown]
	scratch_load_b64 v[110:111], off, off offset:184
	ds_load_b128 v[90:93], v5 offset:480
	ds_load_b128 v[94:97], v5 offset:496
	;; [unrolled: 1-line block ×5, first 2 shown]
	s_mov_b32 s0, exec_lo
	s_wait_dscnt 0x4
	v_dual_mov_b32 v112, v93 :: v_dual_mov_b32 v113, v92
	s_wait_dscnt 0x3
	v_dual_mov_b32 v114, v97 :: v_dual_mov_b32 v115, v96
	;; [unrolled: 2-line block ×4, first 2 shown]
	s_wait_loadcnt_dscnt 0x500
	v_dual_mul_f32 v121, v106, v71 :: v_dual_mul_f32 v123, v108, v73
	v_dual_mul_f32 v5, v107, v71 :: v_dual_mul_f32 v7, v109, v73
	s_wait_loadcnt 0x4
	v_pk_mul_f32 v[124:125], v[90:91], v[74:75] op_sel:[1,1] op_sel_hi:[0,1]
	s_wait_loadcnt 0x3
	v_dual_mov_b32 v126, v77 :: v_dual_mov_b32 v130, v81
	v_dual_fmac_f32 v121, v107, v70 :: v_dual_fmac_f32 v123, v109, v72
	v_dual_fma_f32 v120, v106, v70, -v5 :: v_dual_fma_f32 v122, v108, v72, -v7
	v_pk_fma_f32 v[70:71], v[90:91], v[74:75], v[124:125] op_sel_hi:[1,0,1]
	s_delay_alu instid0(VALU_DEP_4) | instskip(SKIP_1) | instid1(VALU_DEP_4)
	v_pk_mul_f32 v[72:73], v[112:113], v[126:127] op_sel_hi:[1,0]
	v_pk_fma_f32 v[74:75], v[90:91], v[74:75], v[124:125] neg_lo:[0,0,1] neg_hi:[0,0,1]
	v_pk_add_f32 v[106:107], v[120:121], 0 op_sel_hi:[1,0]
	v_pk_mul_f32 v[128:129], v[94:95], v[78:79] op_sel:[1,1] op_sel_hi:[0,1]
	v_mov_b32_e32 v75, v71
	v_pk_fma_f32 v[70:71], v[92:93], v[76:77], v[72:73] op_sel_hi:[1,0,1]
	v_pk_fma_f32 v[72:73], v[92:93], v[76:77], v[72:73] neg_lo:[0,0,1] neg_hi:[0,0,1]
	v_pk_add_f32 v[90:91], v[106:107], v[122:123]
	v_pk_fma_f32 v[106:107], v[94:95], v[78:79], v[128:129] op_sel_hi:[1,0,1]
	v_pk_mul_f32 v[112:113], v[114:115], v[130:131] op_sel_hi:[1,0]
	v_mov_b32_e32 v73, v71
	s_wait_loadcnt 0x2
	v_pk_mul_f32 v[108:109], v[98:99], v[82:83] op_sel:[1,1] op_sel_hi:[0,1]
	v_pk_add_f32 v[70:71], v[90:91], v[74:75]
	v_mov_b32_e32 v74, v85
	v_pk_fma_f32 v[76:77], v[94:95], v[78:79], v[128:129] neg_lo:[0,0,1] neg_hi:[0,0,1]
	v_mov_b32_e32 v77, v107
	v_pk_fma_f32 v[78:79], v[96:97], v[80:81], v[112:113] op_sel_hi:[1,0,1]
	v_pk_add_f32 v[70:71], v[70:71], v[72:73]
	v_pk_fma_f32 v[72:73], v[98:99], v[82:83], v[108:109] op_sel_hi:[1,0,1]
	v_pk_mul_f32 v[74:75], v[116:117], v[74:75] op_sel_hi:[1,0]
	v_pk_fma_f32 v[80:81], v[96:97], v[80:81], v[112:113] neg_lo:[0,0,1] neg_hi:[0,0,1]
	v_mov_b32_e32 v81, v79
	v_pk_add_f32 v[70:71], v[70:71], v[76:77]
	v_pk_fma_f32 v[78:79], v[98:99], v[82:83], v[108:109] neg_lo:[0,0,1] neg_hi:[0,0,1]
	v_mov_b32_e32 v79, v73
	v_pk_fma_f32 v[72:73], v[100:101], v[84:85], v[74:75] op_sel_hi:[1,0,1]
	s_wait_loadcnt 0x1
	v_pk_mul_f32 v[76:77], v[102:103], v[86:87] op_sel:[1,1] op_sel_hi:[0,1]
	v_pk_add_f32 v[70:71], v[70:71], v[80:81]
	v_mov_b32_e32 v72, v89
	v_pk_fma_f32 v[74:75], v[100:101], v[84:85], v[74:75] neg_lo:[0,0,1] neg_hi:[0,0,1]
	v_mov_b32_e32 v75, v73
	v_pk_fma_f32 v[80:81], v[102:103], v[86:87], v[76:77] op_sel_hi:[1,0,1]
	v_pk_add_f32 v[70:71], v[70:71], v[78:79]
	v_pk_mul_f32 v[72:73], v[118:119], v[72:73] op_sel_hi:[1,0]
	v_pk_fma_f32 v[76:77], v[102:103], v[86:87], v[76:77] neg_lo:[0,0,1] neg_hi:[0,0,1]
	s_delay_alu instid0(VALU_DEP_3) | instskip(NEXT) | instid1(VALU_DEP_3)
	v_pk_add_f32 v[70:71], v[70:71], v[74:75]
	v_pk_fma_f32 v[74:75], v[104:105], v[88:89], v[72:73] op_sel_hi:[1,0,1]
	v_mov_b32_e32 v77, v81
	v_pk_fma_f32 v[72:73], v[104:105], v[88:89], v[72:73] neg_lo:[0,0,1] neg_hi:[0,0,1]
	s_delay_alu instid0(VALU_DEP_3) | instskip(NEXT) | instid1(VALU_DEP_3)
	v_mov_b32_e32 v73, v75
	v_pk_add_f32 v[70:71], v[70:71], v[76:77]
	s_delay_alu instid0(VALU_DEP_1) | instskip(SKIP_1) | instid1(VALU_DEP_1)
	v_pk_add_f32 v[70:71], v[70:71], v[72:73]
	s_wait_loadcnt 0x0
	v_pk_add_f32 v[70:71], v[110:111], v[70:71] neg_lo:[0,1] neg_hi:[0,1]
	scratch_store_b64 off, v[70:71], off offset:184
	s_wait_xcnt 0x0
	v_cmpx_lt_u32_e32 22, v0
	s_cbranch_execz .LBB33_173
; %bb.172:
	scratch_load_b64 v[70:71], off, off offset:176
	v_mov_b64_e32 v[72:73], 0
	scratch_store_b64 off, v[72:73], off offset:176
	s_wait_loadcnt 0x0
	ds_store_b64 v1, v[70:71]
.LBB33_173:
	s_wait_xcnt 0x0
	s_or_b32 exec_lo, exec_lo, s0
	s_wait_storecnt_dscnt 0x0
	s_barrier_signal -1
	s_barrier_wait -1
	s_clause 0x6
	scratch_load_b128 v[70:73], off, off offset:184
	scratch_load_b128 v[74:77], off, off offset:200
	;; [unrolled: 1-line block ×5, first 2 shown]
	scratch_load_b64 v[110:111], off, off offset:264
	scratch_load_b64 v[112:113], off, off offset:176
	v_mov_b32_e32 v5, 0
	ds_load_2addr_b64 v[90:93], v5 offset0:59 offset1:60
	ds_load_2addr_b64 v[94:97], v5 offset0:61 offset1:62
	;; [unrolled: 1-line block ×5, first 2 shown]
	ds_load_b64 v[114:115], v5 offset:536
	s_mov_b32 s0, exec_lo
	s_wait_dscnt 0x5
	v_dual_mov_b32 v116, v93 :: v_dual_mov_b32 v117, v92
	s_wait_dscnt 0x2
	v_dual_mov_b32 v118, v97 :: v_dual_mov_b32 v123, v104
	v_dual_mov_b32 v119, v96 :: v_dual_mov_b32 v120, v101
	;; [unrolled: 1-line block ×3, first 2 shown]
	s_wait_loadcnt_dscnt 0x601
	v_dual_mul_f32 v7, v106, v71 :: v_dual_mul_f32 v11, v107, v71
	v_dual_mul_f32 v13, v109, v73 :: v_dual_mul_f32 v125, v108, v73
	s_wait_loadcnt 0x5
	v_dual_mul_f32 v127, v90, v75 :: v_dual_mul_f32 v15, v91, v75
	s_wait_loadcnt 0x4
	v_dual_mov_b32 v126, v77 :: v_dual_mov_b32 v130, v81
	v_fmac_f32_e32 v7, v107, v70
	v_dual_fma_f32 v11, v106, v70, -v11 :: v_dual_fmac_f32 v125, v109, v72
	v_pk_mul_f32 v[128:129], v[94:95], v[78:79] op_sel:[1,1] op_sel_hi:[0,1]
	s_delay_alu instid0(VALU_DEP_3)
	v_dual_fma_f32 v124, v108, v72, -v13 :: v_dual_add_f32 v73, 0, v7
	v_pk_mul_f32 v[70:71], v[116:117], v[126:127] op_sel_hi:[1,0]
	s_wait_loadcnt 0x3
	v_dual_add_f32 v72, 0, v11 :: v_dual_mov_b32 v106, v85
	v_fmac_f32_e32 v127, v91, v74
	v_fma_f32 v126, v90, v74, -v15
	v_pk_fma_f32 v[74:75], v[92:93], v[76:77], v[70:71] op_sel_hi:[1,0,1]
	s_delay_alu instid0(VALU_DEP_4) | instskip(SKIP_4) | instid1(VALU_DEP_4)
	v_pk_add_f32 v[72:73], v[72:73], v[124:125]
	v_pk_fma_f32 v[90:91], v[94:95], v[78:79], v[128:129] op_sel_hi:[1,0,1]
	v_pk_fma_f32 v[70:71], v[92:93], v[76:77], v[70:71] neg_lo:[0,0,1] neg_hi:[0,0,1]
	v_pk_fma_f32 v[76:77], v[94:95], v[78:79], v[128:129] neg_lo:[0,0,1] neg_hi:[0,0,1]
	v_pk_mul_f32 v[108:109], v[118:119], v[130:131] op_sel_hi:[1,0]
	v_dual_mov_b32 v71, v75 :: v_dual_mov_b32 v77, v91
	v_pk_add_f32 v[72:73], v[72:73], v[126:127]
	v_pk_mul_f32 v[132:133], v[98:99], v[82:83] op_sel:[1,1] op_sel_hi:[0,1]
	s_delay_alu instid0(VALU_DEP_4)
	v_pk_fma_f32 v[78:79], v[96:97], v[80:81], v[108:109] op_sel_hi:[1,0,1]
	v_pk_fma_f32 v[80:81], v[96:97], v[80:81], v[108:109] neg_lo:[0,0,1] neg_hi:[0,0,1]
	v_pk_mul_f32 v[90:91], v[120:121], v[106:107] op_sel_hi:[1,0]
	v_pk_add_f32 v[70:71], v[72:73], v[70:71]
	v_pk_fma_f32 v[72:73], v[98:99], v[82:83], v[132:133] op_sel_hi:[1,0,1]
	s_wait_loadcnt 0x2
	v_dual_mov_b32 v81, v79 :: v_dual_mov_b32 v72, v89
	v_pk_mul_f32 v[74:75], v[102:103], v[86:87] op_sel:[1,1] op_sel_hi:[0,1]
	v_pk_add_f32 v[70:71], v[70:71], v[76:77]
	v_pk_fma_f32 v[76:77], v[98:99], v[82:83], v[132:133] neg_lo:[0,0,1] neg_hi:[0,0,1]
	v_pk_fma_f32 v[78:79], v[100:101], v[84:85], v[90:91] op_sel_hi:[1,0,1]
	v_mov_b32_e32 v77, v73
	v_pk_fma_f32 v[82:83], v[100:101], v[84:85], v[90:91] neg_lo:[0,0,1] neg_hi:[0,0,1]
	v_pk_add_f32 v[70:71], v[70:71], v[80:81]
	v_pk_fma_f32 v[80:81], v[102:103], v[86:87], v[74:75] op_sel_hi:[1,0,1]
	v_pk_mul_f32 v[72:73], v[122:123], v[72:73] op_sel_hi:[1,0]
	v_mov_b32_e32 v83, v79
	v_pk_fma_f32 v[74:75], v[102:103], v[86:87], v[74:75] neg_lo:[0,0,1] neg_hi:[0,0,1]
	v_pk_add_f32 v[70:71], v[70:71], v[76:77]
	s_wait_loadcnt_dscnt 0x100
	v_pk_mul_f32 v[78:79], v[114:115], v[110:111] op_sel:[1,1] op_sel_hi:[0,1]
	v_pk_fma_f32 v[76:77], v[104:105], v[88:89], v[72:73] op_sel_hi:[1,0,1]
	v_mov_b32_e32 v75, v81
	v_pk_fma_f32 v[72:73], v[104:105], v[88:89], v[72:73] neg_lo:[0,0,1] neg_hi:[0,0,1]
	v_pk_add_f32 v[70:71], v[70:71], v[82:83]
	s_delay_alu instid0(VALU_DEP_4) | instskip(SKIP_1) | instid1(VALU_DEP_3)
	v_mov_b32_e32 v73, v77
	v_pk_fma_f32 v[76:77], v[114:115], v[110:111], v[78:79] neg_lo:[0,0,1] neg_hi:[0,0,1]
	v_pk_add_f32 v[70:71], v[70:71], v[74:75]
	v_pk_fma_f32 v[74:75], v[114:115], v[110:111], v[78:79] op_sel_hi:[1,0,1]
	s_delay_alu instid0(VALU_DEP_2) | instskip(NEXT) | instid1(VALU_DEP_2)
	v_pk_add_f32 v[70:71], v[70:71], v[72:73]
	v_mov_b32_e32 v77, v75
	s_delay_alu instid0(VALU_DEP_1) | instskip(SKIP_1) | instid1(VALU_DEP_1)
	v_pk_add_f32 v[70:71], v[70:71], v[76:77]
	s_wait_loadcnt 0x0
	v_pk_add_f32 v[70:71], v[112:113], v[70:71] neg_lo:[0,1] neg_hi:[0,1]
	scratch_store_b64 off, v[70:71], off offset:176
	s_wait_xcnt 0x0
	v_cmpx_lt_u32_e32 21, v0
	s_cbranch_execz .LBB33_175
; %bb.174:
	scratch_load_b64 v[70:71], off, off offset:168
	v_mov_b64_e32 v[72:73], 0
	scratch_store_b64 off, v[72:73], off offset:168
	s_wait_loadcnt 0x0
	ds_store_b64 v1, v[70:71]
.LBB33_175:
	s_wait_xcnt 0x0
	s_or_b32 exec_lo, exec_lo, s0
	s_wait_storecnt_dscnt 0x0
	s_barrier_signal -1
	s_barrier_wait -1
	s_clause 0x6
	scratch_load_b128 v[70:73], off, off offset:176
	scratch_load_b128 v[74:77], off, off offset:192
	;; [unrolled: 1-line block ×6, first 2 shown]
	scratch_load_b64 v[118:119], off, off offset:168
	ds_load_b128 v[94:97], v5 offset:480
	ds_load_b128 v[98:101], v5 offset:496
	;; [unrolled: 1-line block ×6, first 2 shown]
	s_mov_b32 s0, exec_lo
	s_wait_dscnt 0x5
	v_dual_mov_b32 v120, v97 :: v_dual_mov_b32 v121, v96
	s_wait_dscnt 0x4
	v_dual_mov_b32 v122, v101 :: v_dual_mov_b32 v123, v100
	;; [unrolled: 2-line block ×4, first 2 shown]
	s_wait_loadcnt_dscnt 0x601
	v_dual_mul_f32 v5, v110, v71 :: v_dual_mul_f32 v7, v112, v73
	v_dual_mul_f32 v11, v111, v71 :: v_dual_mul_f32 v13, v113, v73
	s_wait_loadcnt 0x4
	s_delay_alu instid0(VALU_DEP_2)
	v_dual_mov_b32 v134, v81 :: v_dual_fmac_f32 v5, v111, v70
	s_wait_dscnt 0x0
	v_dual_mul_f32 v129, v114, v75 :: v_dual_mul_f32 v131, v116, v77
	v_dual_fma_f32 v11, v110, v70, -v11 :: v_dual_fma_f32 v13, v112, v72, -v13
	v_dual_mul_f32 v15, v115, v75 :: v_dual_mul_f32 v17, v117, v77
	v_dual_fmac_f32 v7, v113, v72 :: v_dual_add_f32 v5, 0, v5
	s_wait_loadcnt 0x3
	s_delay_alu instid0(VALU_DEP_3) | instskip(SKIP_2) | instid1(VALU_DEP_3)
	v_dual_add_f32 v11, 0, v11 :: v_dual_mov_b32 v72, v85
	v_pk_mul_f32 v[132:133], v[94:95], v[78:79] op_sel:[1,1] op_sel_hi:[0,1]
	v_dual_fmac_f32 v129, v115, v74 :: v_dual_fma_f32 v128, v114, v74, -v15
	v_dual_add_f32 v75, v5, v7 :: v_dual_add_f32 v74, v11, v13
	v_dual_fmac_f32 v131, v117, v76 :: v_dual_fma_f32 v130, v116, v76, -v17
	s_delay_alu instid0(VALU_DEP_4) | instskip(SKIP_1) | instid1(VALU_DEP_4)
	v_pk_fma_f32 v[76:77], v[94:95], v[78:79], v[132:133] op_sel_hi:[1,0,1]
	v_pk_mul_f32 v[110:111], v[120:121], v[134:135] op_sel_hi:[1,0]
	v_pk_add_f32 v[74:75], v[74:75], v[128:129]
	v_pk_fma_f32 v[78:79], v[94:95], v[78:79], v[132:133] neg_lo:[0,0,1] neg_hi:[0,0,1]
	v_pk_mul_f32 v[70:71], v[98:99], v[82:83] op_sel:[1,1] op_sel_hi:[0,1]
	v_mov_b32_e32 v79, v77
	v_pk_fma_f32 v[76:77], v[96:97], v[80:81], v[110:111] op_sel_hi:[1,0,1]
	v_pk_add_f32 v[74:75], v[74:75], v[130:131]
	v_pk_fma_f32 v[80:81], v[96:97], v[80:81], v[110:111] neg_lo:[0,0,1] neg_hi:[0,0,1]
	v_pk_fma_f32 v[94:95], v[98:99], v[82:83], v[70:71] op_sel_hi:[1,0,1]
	v_pk_mul_f32 v[72:73], v[122:123], v[72:73] op_sel_hi:[1,0]
	v_mov_b32_e32 v81, v77
	v_pk_add_f32 v[74:75], v[74:75], v[78:79]
	v_pk_fma_f32 v[70:71], v[98:99], v[82:83], v[70:71] neg_lo:[0,0,1] neg_hi:[0,0,1]
	s_wait_loadcnt 0x2
	v_pk_mul_f32 v[112:113], v[102:103], v[86:87] op_sel:[1,1] op_sel_hi:[0,1]
	v_dual_mov_b32 v76, v89 :: v_dual_mov_b32 v71, v95
	v_pk_fma_f32 v[78:79], v[100:101], v[84:85], v[72:73] op_sel_hi:[1,0,1]
	v_pk_add_f32 v[74:75], v[74:75], v[80:81]
	v_pk_fma_f32 v[72:73], v[100:101], v[84:85], v[72:73] neg_lo:[0,0,1] neg_hi:[0,0,1]
	v_pk_fma_f32 v[80:81], v[102:103], v[86:87], v[112:113] op_sel_hi:[1,0,1]
	v_pk_mul_f32 v[76:77], v[124:125], v[76:77] op_sel_hi:[1,0]
	v_mov_b32_e32 v73, v79
	v_pk_add_f32 v[70:71], v[74:75], v[70:71]
	v_pk_fma_f32 v[78:79], v[102:103], v[86:87], v[112:113] neg_lo:[0,0,1] neg_hi:[0,0,1]
	s_wait_loadcnt 0x1
	v_pk_mul_f32 v[74:75], v[106:107], v[90:91] op_sel:[1,1] op_sel_hi:[0,1]
	v_mov_b32_e32 v79, v81
	v_pk_fma_f32 v[80:81], v[104:105], v[88:89], v[76:77] op_sel_hi:[1,0,1]
	v_pk_add_f32 v[70:71], v[70:71], v[72:73]
	v_mov_b32_e32 v72, v93
	v_pk_fma_f32 v[76:77], v[104:105], v[88:89], v[76:77] neg_lo:[0,0,1] neg_hi:[0,0,1]
	v_pk_fma_f32 v[82:83], v[106:107], v[90:91], v[74:75] op_sel_hi:[1,0,1]
	v_mov_b32_e32 v77, v81
	v_pk_add_f32 v[70:71], v[70:71], v[78:79]
	v_pk_mul_f32 v[72:73], v[126:127], v[72:73] op_sel_hi:[1,0]
	v_pk_fma_f32 v[74:75], v[106:107], v[90:91], v[74:75] neg_lo:[0,0,1] neg_hi:[0,0,1]
	s_delay_alu instid0(VALU_DEP_3) | instskip(NEXT) | instid1(VALU_DEP_3)
	v_pk_add_f32 v[70:71], v[70:71], v[76:77]
	v_pk_fma_f32 v[76:77], v[108:109], v[92:93], v[72:73] op_sel_hi:[1,0,1]
	v_mov_b32_e32 v75, v83
	v_pk_fma_f32 v[72:73], v[108:109], v[92:93], v[72:73] neg_lo:[0,0,1] neg_hi:[0,0,1]
	s_delay_alu instid0(VALU_DEP_3) | instskip(NEXT) | instid1(VALU_DEP_3)
	v_mov_b32_e32 v73, v77
	v_pk_add_f32 v[70:71], v[70:71], v[74:75]
	s_delay_alu instid0(VALU_DEP_1) | instskip(SKIP_1) | instid1(VALU_DEP_1)
	v_pk_add_f32 v[70:71], v[70:71], v[72:73]
	s_wait_loadcnt 0x0
	v_pk_add_f32 v[70:71], v[118:119], v[70:71] neg_lo:[0,1] neg_hi:[0,1]
	scratch_store_b64 off, v[70:71], off offset:168
	s_wait_xcnt 0x0
	v_cmpx_lt_u32_e32 20, v0
	s_cbranch_execz .LBB33_177
; %bb.176:
	scratch_load_b64 v[70:71], off, off offset:160
	v_mov_b64_e32 v[72:73], 0
	scratch_store_b64 off, v[72:73], off offset:160
	s_wait_loadcnt 0x0
	ds_store_b64 v1, v[70:71]
.LBB33_177:
	s_wait_xcnt 0x0
	s_or_b32 exec_lo, exec_lo, s0
	s_wait_storecnt_dscnt 0x0
	s_barrier_signal -1
	s_barrier_wait -1
	s_clause 0x7
	scratch_load_b128 v[70:73], off, off offset:168
	scratch_load_b128 v[74:77], off, off offset:184
	;; [unrolled: 1-line block ×6, first 2 shown]
	scratch_load_b64 v[118:119], off, off offset:264
	scratch_load_b64 v[120:121], off, off offset:160
	v_mov_b32_e32 v5, 0
	ds_load_2addr_b64 v[94:97], v5 offset0:59 offset1:60
	ds_load_2addr_b64 v[98:101], v5 offset0:61 offset1:62
	;; [unrolled: 1-line block ×6, first 2 shown]
	ds_load_b64 v[122:123], v5 offset:536
	s_mov_b32 s0, exec_lo
	s_wait_dscnt 0x6
	v_dual_mov_b32 v124, v97 :: v_dual_mov_b32 v125, v96
	s_wait_dscnt 0x3
	v_dual_mov_b32 v126, v101 :: v_dual_mov_b32 v131, v108
	v_dual_mov_b32 v127, v100 :: v_dual_mov_b32 v128, v105
	;; [unrolled: 1-line block ×3, first 2 shown]
	s_wait_loadcnt_dscnt 0x702
	v_dual_mul_f32 v7, v110, v71 :: v_dual_mul_f32 v15, v111, v71
	v_dual_mul_f32 v17, v113, v73 :: v_dual_mul_f32 v11, v112, v73
	s_wait_loadcnt_dscnt 0x601
	s_delay_alu instid0(VALU_DEP_2) | instskip(NEXT) | instid1(VALU_DEP_2)
	v_dual_mul_f32 v13, v114, v75 :: v_dual_fmac_f32 v7, v111, v70
	v_dual_fma_f32 v15, v110, v70, -v15 :: v_dual_fma_f32 v17, v112, v72, -v17
	v_dual_mul_f32 v19, v115, v75 :: v_dual_mul_f32 v21, v117, v77
	s_wait_loadcnt 0x4
	v_mov_b32_e32 v70, v85
	v_dual_fmac_f32 v11, v113, v72 :: v_dual_add_f32 v7, 0, v7
	v_dual_add_f32 v15, 0, v15 :: v_dual_fmac_f32 v13, v115, v74
	v_dual_mul_f32 v133, v116, v77 :: v_dual_mul_f32 v135, v94, v79
	v_dual_mul_f32 v23, v95, v79 :: v_dual_mov_b32 v134, v81
	s_delay_alu instid0(VALU_DEP_4) | instskip(NEXT) | instid1(VALU_DEP_3)
	v_dual_fma_f32 v19, v114, v74, -v19 :: v_dual_add_f32 v7, v7, v11
	v_dual_add_f32 v11, v15, v17 :: v_dual_fmac_f32 v133, v117, v76
	v_pk_mul_f32 v[136:137], v[98:99], v[82:83] op_sel:[1,1] op_sel_hi:[0,1]
	s_delay_alu instid0(VALU_DEP_3)
	v_dual_fma_f32 v132, v116, v76, -v21 :: v_dual_add_f32 v77, v7, v13
	v_pk_mul_f32 v[74:75], v[124:125], v[134:135] op_sel_hi:[1,0]
	s_wait_loadcnt 0x3
	v_dual_add_f32 v76, v11, v19 :: v_dual_mov_b32 v110, v89
	v_fmac_f32_e32 v135, v95, v78
	v_fma_f32 v134, v94, v78, -v23
	v_pk_fma_f32 v[78:79], v[96:97], v[80:81], v[74:75] op_sel_hi:[1,0,1]
	s_delay_alu instid0(VALU_DEP_4) | instskip(SKIP_4) | instid1(VALU_DEP_4)
	v_pk_add_f32 v[76:77], v[76:77], v[132:133]
	v_pk_fma_f32 v[94:95], v[98:99], v[82:83], v[136:137] op_sel_hi:[1,0,1]
	v_pk_fma_f32 v[74:75], v[96:97], v[80:81], v[74:75] neg_lo:[0,0,1] neg_hi:[0,0,1]
	v_pk_fma_f32 v[80:81], v[98:99], v[82:83], v[136:137] neg_lo:[0,0,1] neg_hi:[0,0,1]
	v_pk_mul_f32 v[70:71], v[126:127], v[70:71] op_sel_hi:[1,0]
	v_dual_mov_b32 v75, v79 :: v_dual_mov_b32 v81, v95
	v_pk_add_f32 v[76:77], v[76:77], v[134:135]
	v_pk_mul_f32 v[72:73], v[102:103], v[86:87] op_sel:[1,1] op_sel_hi:[0,1]
	s_delay_alu instid0(VALU_DEP_4)
	v_pk_fma_f32 v[82:83], v[100:101], v[84:85], v[70:71] op_sel_hi:[1,0,1]
	v_pk_fma_f32 v[70:71], v[100:101], v[84:85], v[70:71] neg_lo:[0,0,1] neg_hi:[0,0,1]
	v_pk_mul_f32 v[94:95], v[128:129], v[110:111] op_sel_hi:[1,0]
	v_pk_add_f32 v[74:75], v[76:77], v[74:75]
	v_pk_fma_f32 v[76:77], v[102:103], v[86:87], v[72:73] op_sel_hi:[1,0,1]
	s_wait_loadcnt 0x2
	v_dual_mov_b32 v71, v83 :: v_dual_mov_b32 v76, v93
	v_pk_fma_f32 v[72:73], v[102:103], v[86:87], v[72:73] neg_lo:[0,0,1] neg_hi:[0,0,1]
	v_pk_add_f32 v[74:75], v[74:75], v[80:81]
	v_pk_mul_f32 v[78:79], v[106:107], v[90:91] op_sel:[1,1] op_sel_hi:[0,1]
	v_pk_fma_f32 v[80:81], v[104:105], v[88:89], v[94:95] op_sel_hi:[1,0,1]
	v_mov_b32_e32 v73, v77
	v_pk_fma_f32 v[82:83], v[104:105], v[88:89], v[94:95] neg_lo:[0,0,1] neg_hi:[0,0,1]
	v_pk_add_f32 v[70:71], v[74:75], v[70:71]
	v_pk_fma_f32 v[74:75], v[106:107], v[90:91], v[78:79] op_sel_hi:[1,0,1]
	v_pk_mul_f32 v[76:77], v[130:131], v[76:77] op_sel_hi:[1,0]
	v_mov_b32_e32 v83, v81
	s_delay_alu instid0(VALU_DEP_4)
	v_pk_add_f32 v[70:71], v[70:71], v[72:73]
	v_pk_fma_f32 v[72:73], v[106:107], v[90:91], v[78:79] neg_lo:[0,0,1] neg_hi:[0,0,1]
	v_mov_b32_e32 v73, v75
	v_pk_fma_f32 v[74:75], v[108:109], v[92:93], v[76:77] op_sel_hi:[1,0,1]
	s_wait_loadcnt_dscnt 0x100
	v_pk_mul_f32 v[78:79], v[122:123], v[118:119] op_sel:[1,1] op_sel_hi:[0,1]
	v_pk_add_f32 v[70:71], v[70:71], v[82:83]
	v_pk_fma_f32 v[76:77], v[108:109], v[92:93], v[76:77] neg_lo:[0,0,1] neg_hi:[0,0,1]
	v_mov_b32_e32 v77, v75
	s_delay_alu instid0(VALU_DEP_4) | instskip(NEXT) | instid1(VALU_DEP_4)
	v_pk_fma_f32 v[74:75], v[122:123], v[118:119], v[78:79] neg_lo:[0,0,1] neg_hi:[0,0,1]
	v_pk_add_f32 v[70:71], v[70:71], v[72:73]
	v_pk_fma_f32 v[72:73], v[122:123], v[118:119], v[78:79] op_sel_hi:[1,0,1]
	s_delay_alu instid0(VALU_DEP_2) | instskip(NEXT) | instid1(VALU_DEP_2)
	v_pk_add_f32 v[70:71], v[70:71], v[76:77]
	v_mov_b32_e32 v75, v73
	s_delay_alu instid0(VALU_DEP_1) | instskip(SKIP_1) | instid1(VALU_DEP_1)
	v_pk_add_f32 v[70:71], v[70:71], v[74:75]
	s_wait_loadcnt 0x0
	v_pk_add_f32 v[70:71], v[120:121], v[70:71] neg_lo:[0,1] neg_hi:[0,1]
	scratch_store_b64 off, v[70:71], off offset:160
	s_wait_xcnt 0x0
	v_cmpx_lt_u32_e32 19, v0
	s_cbranch_execz .LBB33_179
; %bb.178:
	scratch_load_b64 v[70:71], off, off offset:152
	v_mov_b64_e32 v[72:73], 0
	scratch_store_b64 off, v[72:73], off offset:152
	s_wait_loadcnt 0x0
	ds_store_b64 v1, v[70:71]
.LBB33_179:
	s_wait_xcnt 0x0
	s_or_b32 exec_lo, exec_lo, s0
	s_wait_storecnt_dscnt 0x0
	s_barrier_signal -1
	s_barrier_wait -1
	s_clause 0x7
	scratch_load_b128 v[70:73], off, off offset:160
	scratch_load_b128 v[74:77], off, off offset:176
	;; [unrolled: 1-line block ×7, first 2 shown]
	scratch_load_b64 v[126:127], off, off offset:152
	ds_load_b128 v[98:101], v5 offset:480
	ds_load_b128 v[102:105], v5 offset:496
	;; [unrolled: 1-line block ×7, first 2 shown]
	s_mov_b32 s0, exec_lo
	s_wait_dscnt 0x6
	v_dual_mov_b32 v128, v101 :: v_dual_mov_b32 v129, v100
	s_wait_dscnt 0x5
	v_dual_mov_b32 v130, v105 :: v_dual_mov_b32 v131, v104
	;; [unrolled: 2-line block ×4, first 2 shown]
	s_wait_loadcnt_dscnt 0x702
	v_dual_mul_f32 v5, v114, v71 :: v_dual_mul_f32 v7, v116, v73
	v_dual_mul_f32 v15, v115, v71 :: v_dual_mul_f32 v17, v117, v73
	s_wait_loadcnt_dscnt 0x601
	v_dual_mul_f32 v11, v118, v75 :: v_dual_mul_f32 v13, v120, v77
	s_delay_alu instid0(VALU_DEP_2) | instskip(SKIP_2) | instid1(VALU_DEP_3)
	v_dual_fmac_f32 v5, v115, v70 :: v_dual_fma_f32 v15, v114, v70, -v15
	v_dual_mul_f32 v19, v119, v75 :: v_dual_mul_f32 v21, v121, v77
	v_dual_fmac_f32 v7, v117, v72 :: v_dual_fma_f32 v17, v116, v72, -v17
	v_dual_add_f32 v5, 0, v5 :: v_dual_add_f32 v15, 0, v15
	s_wait_loadcnt 0x4
	v_dual_mov_b32 v72, v85 :: v_dual_fmac_f32 v11, v119, v74
	s_delay_alu instid0(VALU_DEP_2) | instskip(NEXT) | instid1(VALU_DEP_3)
	v_dual_fma_f32 v19, v118, v74, -v19 :: v_dual_add_f32 v5, v5, v7
	v_dual_add_f32 v7, v15, v17 :: v_dual_fmac_f32 v13, v121, v76
	s_wait_dscnt 0x0
	v_dual_mul_f32 v137, v122, v79 :: v_dual_mul_f32 v139, v124, v81
	v_dual_mul_f32 v23, v123, v79 :: v_dual_mul_f32 v25, v125, v81
	v_dual_fma_f32 v15, v120, v76, -v21 :: v_dual_add_f32 v5, v5, v11
	s_wait_loadcnt 0x3
	v_dual_add_f32 v7, v7, v19 :: v_dual_mov_b32 v76, v89
	v_pk_mul_f32 v[70:71], v[98:99], v[82:83] op_sel:[1,1] op_sel_hi:[0,1]
	v_dual_fmac_f32 v137, v123, v78 :: v_dual_fma_f32 v136, v122, v78, -v23
	s_delay_alu instid0(VALU_DEP_3) | instskip(SKIP_1) | instid1(VALU_DEP_4)
	v_dual_add_f32 v79, v5, v13 :: v_dual_add_f32 v78, v7, v15
	v_dual_fmac_f32 v139, v125, v80 :: v_dual_fma_f32 v138, v124, v80, -v25
	v_pk_fma_f32 v[80:81], v[98:99], v[82:83], v[70:71] op_sel_hi:[1,0,1]
	v_pk_mul_f32 v[72:73], v[128:129], v[72:73] op_sel_hi:[1,0]
	s_delay_alu instid0(VALU_DEP_4)
	v_pk_add_f32 v[78:79], v[78:79], v[136:137]
	v_pk_fma_f32 v[70:71], v[98:99], v[82:83], v[70:71] neg_lo:[0,0,1] neg_hi:[0,0,1]
	v_pk_mul_f32 v[74:75], v[102:103], v[86:87] op_sel:[1,1] op_sel_hi:[0,1]
	v_mov_b32_e32 v71, v81
	v_pk_fma_f32 v[80:81], v[100:101], v[84:85], v[72:73] op_sel_hi:[1,0,1]
	v_pk_add_f32 v[78:79], v[78:79], v[138:139]
	v_pk_fma_f32 v[72:73], v[100:101], v[84:85], v[72:73] neg_lo:[0,0,1] neg_hi:[0,0,1]
	v_pk_fma_f32 v[82:83], v[102:103], v[86:87], v[74:75] op_sel_hi:[1,0,1]
	v_pk_mul_f32 v[76:77], v[130:131], v[76:77] op_sel_hi:[1,0]
	v_mov_b32_e32 v73, v81
	v_pk_add_f32 v[70:71], v[78:79], v[70:71]
	s_wait_loadcnt 0x2
	v_pk_mul_f32 v[114:115], v[106:107], v[90:91] op_sel:[1,1] op_sel_hi:[0,1]
	v_mov_b32_e32 v78, v93
	v_pk_fma_f32 v[74:75], v[102:103], v[86:87], v[74:75] neg_lo:[0,0,1] neg_hi:[0,0,1]
	v_mov_b32_e32 v75, v83
	v_pk_fma_f32 v[80:81], v[104:105], v[88:89], v[76:77] op_sel_hi:[1,0,1]
	v_pk_add_f32 v[70:71], v[70:71], v[72:73]
	v_pk_fma_f32 v[72:73], v[106:107], v[90:91], v[114:115] op_sel_hi:[1,0,1]
	v_pk_mul_f32 v[78:79], v[132:133], v[78:79] op_sel_hi:[1,0]
	v_pk_fma_f32 v[76:77], v[104:105], v[88:89], v[76:77] neg_lo:[0,0,1] neg_hi:[0,0,1]
	v_mov_b32_e32 v77, v81
	v_pk_add_f32 v[70:71], v[70:71], v[74:75]
	v_pk_fma_f32 v[80:81], v[106:107], v[90:91], v[114:115] neg_lo:[0,0,1] neg_hi:[0,0,1]
	v_mov_b32_e32 v81, v73
	v_pk_fma_f32 v[72:73], v[108:109], v[92:93], v[78:79] op_sel_hi:[1,0,1]
	s_wait_loadcnt 0x1
	v_pk_mul_f32 v[74:75], v[110:111], v[94:95] op_sel:[1,1] op_sel_hi:[0,1]
	v_pk_add_f32 v[70:71], v[70:71], v[76:77]
	v_mov_b32_e32 v72, v97
	v_pk_fma_f32 v[78:79], v[108:109], v[92:93], v[78:79] neg_lo:[0,0,1] neg_hi:[0,0,1]
	v_mov_b32_e32 v79, v73
	v_pk_fma_f32 v[76:77], v[110:111], v[94:95], v[74:75] op_sel_hi:[1,0,1]
	v_pk_add_f32 v[70:71], v[70:71], v[80:81]
	v_pk_mul_f32 v[72:73], v[134:135], v[72:73] op_sel_hi:[1,0]
	v_pk_fma_f32 v[74:75], v[110:111], v[94:95], v[74:75] neg_lo:[0,0,1] neg_hi:[0,0,1]
	s_delay_alu instid0(VALU_DEP_4) | instskip(NEXT) | instid1(VALU_DEP_4)
	v_mov_b32_e32 v75, v77
	v_pk_add_f32 v[70:71], v[70:71], v[78:79]
	s_delay_alu instid0(VALU_DEP_4) | instskip(SKIP_1) | instid1(VALU_DEP_2)
	v_pk_fma_f32 v[76:77], v[112:113], v[96:97], v[72:73] op_sel_hi:[1,0,1]
	v_pk_fma_f32 v[72:73], v[112:113], v[96:97], v[72:73] neg_lo:[0,0,1] neg_hi:[0,0,1]
	v_mov_b32_e32 v73, v77
	s_delay_alu instid0(VALU_DEP_4) | instskip(NEXT) | instid1(VALU_DEP_1)
	v_pk_add_f32 v[70:71], v[70:71], v[74:75]
	v_pk_add_f32 v[70:71], v[70:71], v[72:73]
	s_wait_loadcnt 0x0
	s_delay_alu instid0(VALU_DEP_1)
	v_pk_add_f32 v[70:71], v[126:127], v[70:71] neg_lo:[0,1] neg_hi:[0,1]
	scratch_store_b64 off, v[70:71], off offset:152
	s_wait_xcnt 0x0
	v_cmpx_lt_u32_e32 18, v0
	s_cbranch_execz .LBB33_181
; %bb.180:
	scratch_load_b64 v[70:71], off, off offset:144
	v_mov_b64_e32 v[72:73], 0
	scratch_store_b64 off, v[72:73], off offset:144
	s_wait_loadcnt 0x0
	ds_store_b64 v1, v[70:71]
.LBB33_181:
	s_wait_xcnt 0x0
	s_or_b32 exec_lo, exec_lo, s0
	s_wait_storecnt_dscnt 0x0
	s_barrier_signal -1
	s_barrier_wait -1
	s_clause 0x8
	scratch_load_b128 v[70:73], off, off offset:152
	scratch_load_b128 v[74:77], off, off offset:168
	;; [unrolled: 1-line block ×7, first 2 shown]
	scratch_load_b64 v[126:127], off, off offset:264
	scratch_load_b64 v[128:129], off, off offset:144
	v_mov_b32_e32 v5, 0
	ds_load_2addr_b64 v[98:101], v5 offset0:59 offset1:60
	ds_load_2addr_b64 v[102:105], v5 offset0:61 offset1:62
	;; [unrolled: 1-line block ×7, first 2 shown]
	ds_load_b64 v[130:131], v5 offset:536
	s_mov_b32 s0, exec_lo
	s_wait_dscnt 0x7
	v_dual_mov_b32 v132, v101 :: v_dual_mov_b32 v133, v100
	s_wait_dscnt 0x4
	v_dual_mov_b32 v134, v105 :: v_dual_mov_b32 v139, v112
	v_dual_mov_b32 v135, v104 :: v_dual_mov_b32 v136, v109
	;; [unrolled: 1-line block ×3, first 2 shown]
	s_wait_loadcnt_dscnt 0x803
	v_dual_mul_f32 v7, v114, v71 :: v_dual_mul_f32 v19, v115, v71
	v_dual_mul_f32 v21, v117, v73 :: v_dual_mul_f32 v11, v116, v73
	s_wait_loadcnt_dscnt 0x702
	v_mul_f32_e32 v13, v118, v75
	s_wait_loadcnt 0x5
	v_dual_mul_f32 v31, v99, v83 :: v_dual_fma_f32 v19, v114, v70, -v19
	v_dual_fmac_f32 v7, v115, v70 :: v_dual_mov_b32 v70, v85
	v_dual_mul_f32 v23, v119, v75 :: v_dual_mul_f32 v25, v121, v77
	v_dual_fmac_f32 v11, v117, v72 :: v_dual_fma_f32 v21, v116, v72, -v21
	s_delay_alu instid0(VALU_DEP_3) | instskip(NEXT) | instid1(VALU_DEP_3)
	v_dual_add_f32 v7, 0, v7 :: v_dual_fmac_f32 v13, v119, v74
	v_dual_add_f32 v19, 0, v19 :: v_dual_fma_f32 v23, v118, v74, -v23
	s_wait_dscnt 0x1
	v_dual_mul_f32 v15, v120, v77 :: v_dual_mul_f32 v17, v122, v79
	s_wait_loadcnt 0x4
	v_dual_add_f32 v7, v7, v11 :: v_dual_mov_b32 v74, v89
	s_delay_alu instid0(VALU_DEP_2) | instskip(SKIP_1) | instid1(VALU_DEP_3)
	v_dual_add_f32 v11, v19, v21 :: v_dual_fmac_f32 v15, v121, v76
	v_dual_mul_f32 v27, v123, v79 :: v_dual_mul_f32 v29, v125, v81
	v_dual_fma_f32 v19, v120, v76, -v25 :: v_dual_add_f32 v7, v7, v13
	s_delay_alu instid0(VALU_DEP_2) | instskip(SKIP_2) | instid1(VALU_DEP_4)
	v_dual_add_f32 v11, v11, v23 :: v_dual_fma_f32 v13, v122, v78, -v27
	v_dual_mul_f32 v141, v124, v81 :: v_dual_mul_f32 v143, v98, v83
	v_fmac_f32_e32 v17, v123, v78
	v_add_f32_e32 v7, v7, v15
	s_delay_alu instid0(VALU_DEP_4)
	v_dual_add_f32 v11, v11, v19 :: v_dual_fma_f32 v140, v124, v80, -v29
	v_pk_mul_f32 v[70:71], v[132:133], v[70:71] op_sel_hi:[1,0]
	v_pk_mul_f32 v[74:75], v[134:135], v[74:75] op_sel_hi:[1,0]
	v_pk_mul_f32 v[72:73], v[102:103], v[86:87] op_sel:[1,1] op_sel_hi:[0,1]
	v_fmac_f32_e32 v141, v125, v80
	s_wait_loadcnt 0x3
	v_dual_mov_b32 v80, v93 :: v_dual_add_f32 v79, v7, v17
	v_fma_f32 v142, v98, v82, -v31
	v_fmac_f32_e32 v143, v99, v82
	v_pk_fma_f32 v[82:83], v[100:101], v[84:85], v[70:71] op_sel_hi:[1,0,1]
	v_pk_fma_f32 v[70:71], v[100:101], v[84:85], v[70:71] neg_lo:[0,0,1] neg_hi:[0,0,1]
	v_pk_fma_f32 v[84:85], v[104:105], v[88:89], v[74:75] op_sel_hi:[1,0,1]
	v_add_f32_e32 v78, v11, v13
	v_pk_fma_f32 v[74:75], v[104:105], v[88:89], v[74:75] neg_lo:[0,0,1] neg_hi:[0,0,1]
	v_pk_fma_f32 v[98:99], v[102:103], v[86:87], v[72:73] op_sel_hi:[1,0,1]
	v_pk_fma_f32 v[72:73], v[102:103], v[86:87], v[72:73] neg_lo:[0,0,1] neg_hi:[0,0,1]
	v_mov_b32_e32 v75, v85
	v_pk_add_f32 v[78:79], v[78:79], v[140:141]
	s_delay_alu instid0(VALU_DEP_4) | instskip(SKIP_2) | instid1(VALU_DEP_4)
	v_dual_mov_b32 v71, v83 :: v_dual_mov_b32 v73, v99
	v_pk_mul_f32 v[76:77], v[106:107], v[90:91] op_sel:[1,1] op_sel_hi:[0,1]
	v_pk_mul_f32 v[80:81], v[136:137], v[80:81] op_sel_hi:[1,0]
	v_pk_add_f32 v[78:79], v[78:79], v[142:143]
	s_wait_loadcnt 0x2
	v_pk_mul_f32 v[82:83], v[110:111], v[94:95] op_sel:[1,1] op_sel_hi:[0,1]
	s_delay_alu instid0(VALU_DEP_2) | instskip(SKIP_2) | instid1(VALU_DEP_3)
	v_pk_add_f32 v[70:71], v[78:79], v[70:71]
	v_pk_fma_f32 v[78:79], v[106:107], v[90:91], v[76:77] op_sel_hi:[1,0,1]
	v_pk_fma_f32 v[76:77], v[106:107], v[90:91], v[76:77] neg_lo:[0,0,1] neg_hi:[0,0,1]
	v_pk_add_f32 v[70:71], v[70:71], v[72:73]
	s_delay_alu instid0(VALU_DEP_3) | instskip(SKIP_2) | instid1(VALU_DEP_4)
	v_dual_mov_b32 v72, v97 :: v_dual_mov_b32 v77, v79
	v_pk_fma_f32 v[78:79], v[108:109], v[92:93], v[80:81] op_sel_hi:[1,0,1]
	v_pk_fma_f32 v[80:81], v[108:109], v[92:93], v[80:81] neg_lo:[0,0,1] neg_hi:[0,0,1]
	v_pk_add_f32 v[70:71], v[70:71], v[74:75]
	v_pk_fma_f32 v[74:75], v[110:111], v[94:95], v[82:83] op_sel_hi:[1,0,1]
	v_pk_mul_f32 v[72:73], v[138:139], v[72:73] op_sel_hi:[1,0]
	v_mov_b32_e32 v81, v79
	s_wait_loadcnt_dscnt 0x100
	v_pk_mul_f32 v[78:79], v[130:131], v[126:127] op_sel:[1,1] op_sel_hi:[0,1]
	v_pk_add_f32 v[70:71], v[70:71], v[76:77]
	v_pk_fma_f32 v[76:77], v[110:111], v[94:95], v[82:83] neg_lo:[0,0,1] neg_hi:[0,0,1]
	v_mov_b32_e32 v77, v75
	v_pk_fma_f32 v[74:75], v[112:113], v[96:97], v[72:73] op_sel_hi:[1,0,1]
	v_pk_fma_f32 v[72:73], v[112:113], v[96:97], v[72:73] neg_lo:[0,0,1] neg_hi:[0,0,1]
	v_pk_add_f32 v[70:71], v[70:71], v[80:81]
	s_delay_alu instid0(VALU_DEP_3) | instskip(SKIP_1) | instid1(VALU_DEP_3)
	v_mov_b32_e32 v73, v75
	v_pk_fma_f32 v[74:75], v[130:131], v[126:127], v[78:79] op_sel_hi:[1,0,1]
	v_pk_add_f32 v[70:71], v[70:71], v[76:77]
	v_pk_fma_f32 v[76:77], v[130:131], v[126:127], v[78:79] neg_lo:[0,0,1] neg_hi:[0,0,1]
	s_delay_alu instid0(VALU_DEP_3) | instskip(NEXT) | instid1(VALU_DEP_3)
	v_mov_b32_e32 v77, v75
	v_pk_add_f32 v[70:71], v[70:71], v[72:73]
	s_delay_alu instid0(VALU_DEP_1) | instskip(SKIP_1) | instid1(VALU_DEP_1)
	v_pk_add_f32 v[70:71], v[70:71], v[76:77]
	s_wait_loadcnt 0x0
	v_pk_add_f32 v[70:71], v[128:129], v[70:71] neg_lo:[0,1] neg_hi:[0,1]
	scratch_store_b64 off, v[70:71], off offset:144
	s_wait_xcnt 0x0
	v_cmpx_lt_u32_e32 17, v0
	s_cbranch_execz .LBB33_183
; %bb.182:
	scratch_load_b64 v[70:71], off, off offset:136
	v_mov_b64_e32 v[72:73], 0
	scratch_store_b64 off, v[72:73], off offset:136
	s_wait_loadcnt 0x0
	ds_store_b64 v1, v[70:71]
.LBB33_183:
	s_wait_xcnt 0x0
	s_or_b32 exec_lo, exec_lo, s0
	s_wait_storecnt_dscnt 0x0
	s_barrier_signal -1
	s_barrier_wait -1
	s_clause 0x8
	scratch_load_b128 v[70:73], off, off offset:144
	scratch_load_b128 v[74:77], off, off offset:160
	;; [unrolled: 1-line block ×8, first 2 shown]
	scratch_load_b64 v[134:135], off, off offset:136
	ds_load_b128 v[102:105], v5 offset:480
	ds_load_b128 v[106:109], v5 offset:496
	;; [unrolled: 1-line block ×8, first 2 shown]
	s_mov_b32 s0, exec_lo
	s_wait_dscnt 0x7
	v_dual_mov_b32 v136, v105 :: v_dual_mov_b32 v137, v104
	s_wait_dscnt 0x6
	v_dual_mov_b32 v138, v109 :: v_dual_mov_b32 v139, v108
	;; [unrolled: 2-line block ×4, first 2 shown]
	s_wait_loadcnt_dscnt 0x803
	v_dual_mul_f32 v5, v118, v71 :: v_dual_mul_f32 v7, v120, v73
	v_dual_mul_f32 v19, v119, v71 :: v_dual_mul_f32 v21, v121, v73
	s_wait_loadcnt_dscnt 0x702
	v_dual_mul_f32 v11, v122, v75 :: v_dual_mul_f32 v13, v124, v77
	s_delay_alu instid0(VALU_DEP_2) | instskip(SKIP_3) | instid1(VALU_DEP_3)
	v_dual_fmac_f32 v5, v119, v70 :: v_dual_fma_f32 v19, v118, v70, -v19
	v_dual_mul_f32 v23, v123, v75 :: v_dual_mul_f32 v25, v125, v77
	s_wait_loadcnt_dscnt 0x500
	v_dual_mul_f32 v31, v131, v83 :: v_dual_fmac_f32 v7, v121, v72
	v_dual_fma_f32 v21, v120, v72, -v21 :: v_dual_add_f32 v5, 0, v5
	v_dual_add_f32 v19, 0, v19 :: v_dual_mul_f32 v33, v133, v85
	v_fmac_f32_e32 v11, v123, v74
	s_delay_alu instid0(VALU_DEP_3) | instskip(NEXT) | instid1(VALU_DEP_3)
	v_dual_fma_f32 v23, v122, v74, -v23 :: v_dual_add_f32 v5, v5, v7
	v_dual_add_f32 v7, v19, v21 :: v_dual_mul_f32 v15, v126, v79
	v_dual_mul_f32 v17, v128, v81 :: v_dual_mul_f32 v27, v127, v79
	v_mul_f32_e32 v29, v129, v81
	s_delay_alu instid0(VALU_DEP_3) | instskip(SKIP_3) | instid1(VALU_DEP_2)
	v_dual_fmac_f32 v13, v125, v76 :: v_dual_add_f32 v7, v7, v23
	v_dual_fma_f32 v19, v124, v76, -v25 :: v_dual_add_f32 v5, v5, v11
	s_wait_loadcnt 0x4
	v_dual_mov_b32 v72, v89 :: v_dual_fmac_f32 v15, v127, v78
	v_dual_fma_f32 v11, v126, v78, -v27 :: v_dual_add_f32 v7, v7, v19
	v_fmac_f32_e32 v17, v129, v80
	v_dual_add_f32 v5, v5, v13 :: v_dual_mul_f32 v145, v130, v83
	v_mul_f32_e32 v147, v132, v85
	s_delay_alu instid0(VALU_DEP_4)
	v_dual_fma_f32 v13, v128, v80, -v29 :: v_dual_add_f32 v7, v7, v11
	s_wait_loadcnt 0x3
	v_mov_b32_e32 v76, v93
	v_add_f32_e32 v5, v5, v15
	v_pk_mul_f32 v[70:71], v[102:103], v[86:87] op_sel:[1,1] op_sel_hi:[0,1]
	v_dual_fmac_f32 v145, v131, v82 :: v_dual_fma_f32 v144, v130, v82, -v31
	v_dual_add_f32 v78, v7, v13 :: v_dual_fmac_f32 v147, v133, v84
	s_delay_alu instid0(VALU_DEP_4) | instskip(NEXT) | instid1(VALU_DEP_4)
	v_dual_add_f32 v79, v5, v17 :: v_dual_fma_f32 v146, v132, v84, -v33
	v_pk_fma_f32 v[80:81], v[102:103], v[86:87], v[70:71] op_sel_hi:[1,0,1]
	v_pk_mul_f32 v[72:73], v[136:137], v[72:73] op_sel_hi:[1,0]
	v_pk_fma_f32 v[70:71], v[102:103], v[86:87], v[70:71] neg_lo:[0,0,1] neg_hi:[0,0,1]
	s_delay_alu instid0(VALU_DEP_4)
	v_pk_add_f32 v[78:79], v[78:79], v[144:145]
	v_pk_mul_f32 v[74:75], v[106:107], v[90:91] op_sel:[1,1] op_sel_hi:[0,1]
	v_mov_b32_e32 v71, v81
	v_pk_fma_f32 v[80:81], v[104:105], v[88:89], v[72:73] op_sel_hi:[1,0,1]
	v_pk_fma_f32 v[72:73], v[104:105], v[88:89], v[72:73] neg_lo:[0,0,1] neg_hi:[0,0,1]
	v_pk_add_f32 v[78:79], v[78:79], v[146:147]
	v_pk_fma_f32 v[84:85], v[106:107], v[90:91], v[74:75] op_sel_hi:[1,0,1]
	v_pk_mul_f32 v[76:77], v[138:139], v[76:77] op_sel_hi:[1,0]
	v_mov_b32_e32 v73, v81
	s_wait_loadcnt 0x2
	v_pk_mul_f32 v[82:83], v[110:111], v[94:95] op_sel:[1,1] op_sel_hi:[0,1]
	v_pk_add_f32 v[70:71], v[78:79], v[70:71]
	v_mov_b32_e32 v78, v97
	v_pk_fma_f32 v[74:75], v[106:107], v[90:91], v[74:75] neg_lo:[0,0,1] neg_hi:[0,0,1]
	v_mov_b32_e32 v75, v85
	v_pk_fma_f32 v[80:81], v[108:109], v[92:93], v[76:77] op_sel_hi:[1,0,1]
	v_pk_add_f32 v[70:71], v[70:71], v[72:73]
	v_pk_fma_f32 v[72:73], v[110:111], v[94:95], v[82:83] op_sel_hi:[1,0,1]
	v_pk_mul_f32 v[78:79], v[140:141], v[78:79] op_sel_hi:[1,0]
	v_pk_fma_f32 v[76:77], v[108:109], v[92:93], v[76:77] neg_lo:[0,0,1] neg_hi:[0,0,1]
	v_mov_b32_e32 v77, v81
	v_pk_add_f32 v[70:71], v[70:71], v[74:75]
	v_pk_fma_f32 v[80:81], v[110:111], v[94:95], v[82:83] neg_lo:[0,0,1] neg_hi:[0,0,1]
	v_mov_b32_e32 v81, v73
	v_pk_fma_f32 v[72:73], v[112:113], v[96:97], v[78:79] op_sel_hi:[1,0,1]
	s_wait_loadcnt 0x1
	v_pk_mul_f32 v[74:75], v[114:115], v[98:99] op_sel:[1,1] op_sel_hi:[0,1]
	v_pk_add_f32 v[70:71], v[70:71], v[76:77]
	v_mov_b32_e32 v72, v101
	v_pk_fma_f32 v[78:79], v[112:113], v[96:97], v[78:79] neg_lo:[0,0,1] neg_hi:[0,0,1]
	v_mov_b32_e32 v79, v73
	v_pk_fma_f32 v[76:77], v[114:115], v[98:99], v[74:75] op_sel_hi:[1,0,1]
	v_pk_add_f32 v[70:71], v[70:71], v[80:81]
	v_pk_mul_f32 v[72:73], v[142:143], v[72:73] op_sel_hi:[1,0]
	v_pk_fma_f32 v[74:75], v[114:115], v[98:99], v[74:75] neg_lo:[0,0,1] neg_hi:[0,0,1]
	s_delay_alu instid0(VALU_DEP_4) | instskip(NEXT) | instid1(VALU_DEP_4)
	v_mov_b32_e32 v75, v77
	v_pk_add_f32 v[70:71], v[70:71], v[78:79]
	s_delay_alu instid0(VALU_DEP_4) | instskip(SKIP_1) | instid1(VALU_DEP_2)
	v_pk_fma_f32 v[76:77], v[116:117], v[100:101], v[72:73] op_sel_hi:[1,0,1]
	v_pk_fma_f32 v[72:73], v[116:117], v[100:101], v[72:73] neg_lo:[0,0,1] neg_hi:[0,0,1]
	v_mov_b32_e32 v73, v77
	s_delay_alu instid0(VALU_DEP_4) | instskip(NEXT) | instid1(VALU_DEP_1)
	v_pk_add_f32 v[70:71], v[70:71], v[74:75]
	v_pk_add_f32 v[70:71], v[70:71], v[72:73]
	s_wait_loadcnt 0x0
	s_delay_alu instid0(VALU_DEP_1)
	v_pk_add_f32 v[70:71], v[134:135], v[70:71] neg_lo:[0,1] neg_hi:[0,1]
	scratch_store_b64 off, v[70:71], off offset:136
	s_wait_xcnt 0x0
	v_cmpx_lt_u32_e32 16, v0
	s_cbranch_execz .LBB33_185
; %bb.184:
	scratch_load_b64 v[70:71], off, off offset:128
	v_mov_b64_e32 v[72:73], 0
	scratch_store_b64 off, v[72:73], off offset:128
	s_wait_loadcnt 0x0
	ds_store_b64 v1, v[70:71]
.LBB33_185:
	s_wait_xcnt 0x0
	s_or_b32 exec_lo, exec_lo, s0
	s_wait_storecnt_dscnt 0x0
	s_barrier_signal -1
	s_barrier_wait -1
	s_clause 0x9
	scratch_load_b128 v[70:73], off, off offset:136
	scratch_load_b128 v[74:77], off, off offset:152
	;; [unrolled: 1-line block ×8, first 2 shown]
	scratch_load_b64 v[134:135], off, off offset:264
	scratch_load_b64 v[136:137], off, off offset:128
	v_mov_b32_e32 v5, 0
	ds_load_2addr_b64 v[102:105], v5 offset0:59 offset1:60
	ds_load_2addr_b64 v[106:109], v5 offset0:61 offset1:62
	;; [unrolled: 1-line block ×8, first 2 shown]
	ds_load_b64 v[138:139], v5 offset:536
	s_mov_b32 s0, exec_lo
	s_wait_dscnt 0x7
	v_dual_mov_b32 v141, v104 :: v_dual_mov_b32 v142, v109
	s_wait_dscnt 0x6
	v_dual_mov_b32 v143, v108 :: v_dual_mov_b32 v144, v113
	;; [unrolled: 2-line block ×3, first 2 shown]
	v_dual_mov_b32 v145, v112 :: v_dual_mov_b32 v146, v117
	s_wait_loadcnt_dscnt 0x904
	v_dual_mul_f32 v7, v118, v71 :: v_dual_mul_f32 v23, v119, v71
	v_dual_mul_f32 v25, v121, v73 :: v_dual_mul_f32 v11, v120, v73
	s_wait_loadcnt_dscnt 0x803
	v_mul_f32_e32 v13, v122, v75
	s_wait_loadcnt_dscnt 0x601
	v_dual_mul_f32 v35, v131, v83 :: v_dual_fma_f32 v23, v118, v70, -v23
	v_dual_fmac_f32 v7, v119, v70 :: v_dual_mul_f32 v37, v133, v85
	v_dual_mul_f32 v27, v123, v75 :: v_dual_mul_f32 v29, v125, v77
	v_dual_fmac_f32 v11, v121, v72 :: v_dual_fma_f32 v25, v120, v72, -v25
	s_delay_alu instid0(VALU_DEP_3) | instskip(NEXT) | instid1(VALU_DEP_3)
	v_dual_add_f32 v7, 0, v7 :: v_dual_fmac_f32 v13, v123, v74
	v_dual_add_f32 v23, 0, v23 :: v_dual_fma_f32 v27, v122, v74, -v27
	v_dual_mul_f32 v15, v124, v77 :: v_dual_mul_f32 v17, v126, v79
	s_delay_alu instid0(VALU_DEP_3) | instskip(NEXT) | instid1(VALU_DEP_3)
	v_add_f32_e32 v7, v7, v11
	v_dual_add_f32 v11, v23, v25 :: v_dual_fma_f32 v23, v124, v76, -v29
	v_dual_mul_f32 v31, v127, v79 :: v_dual_mul_f32 v33, v129, v81
	s_delay_alu instid0(VALU_DEP_3) | instskip(SKIP_1) | instid1(VALU_DEP_3)
	v_dual_fmac_f32 v15, v125, v76 :: v_dual_add_f32 v7, v7, v13
	s_wait_loadcnt 0x4
	v_dual_add_f32 v11, v11, v27 :: v_dual_mov_b32 v74, v93
	v_dual_mul_f32 v19, v128, v81 :: v_dual_mul_f32 v21, v130, v83
	v_dual_fmac_f32 v17, v127, v78 :: v_dual_fma_f32 v13, v126, v78, -v31
	v_dual_add_f32 v7, v7, v15 :: v_dual_fma_f32 v15, v128, v80, -v33
	s_delay_alu instid0(VALU_DEP_4) | instskip(SKIP_2) | instid1(VALU_DEP_4)
	v_dual_add_f32 v11, v11, v23 :: v_dual_mul_f32 v149, v132, v85
	v_mul_f32_e32 v151, v102, v87
	v_pk_mul_f32 v[72:73], v[106:107], v[90:91] op_sel:[1,1] op_sel_hi:[0,1]
	v_dual_fmac_f32 v19, v129, v80 :: v_dual_add_f32 v7, v7, v17
	s_delay_alu instid0(VALU_DEP_4) | instskip(SKIP_4) | instid1(VALU_DEP_3)
	v_dual_fmac_f32 v149, v133, v84 :: v_dual_add_f32 v11, v11, v13
	v_dual_fma_f32 v148, v132, v84, -v37 :: v_dual_mul_f32 v39, v103, v87
	v_dual_mov_b32 v70, v89 :: v_dual_fmac_f32 v21, v131, v82
	s_wait_loadcnt 0x3
	v_dual_mov_b32 v80, v97 :: v_dual_fma_f32 v13, v130, v82, -v35
	v_dual_add_f32 v7, v7, v19 :: v_dual_fma_f32 v150, v102, v86, -v39
	v_pk_fma_f32 v[84:85], v[106:107], v[90:91], v[72:73] op_sel_hi:[1,0,1]
	v_add_f32_e32 v11, v11, v15
	v_pk_mul_f32 v[74:75], v[142:143], v[74:75] op_sel_hi:[1,0]
	v_pk_fma_f32 v[72:73], v[106:107], v[90:91], v[72:73] neg_lo:[0,0,1] neg_hi:[0,0,1]
	v_pk_mul_f32 v[70:71], v[140:141], v[70:71] op_sel_hi:[1,0]
	s_delay_alu instid0(VALU_DEP_4) | instskip(NEXT) | instid1(VALU_DEP_4)
	v_dual_mov_b32 v73, v85 :: v_dual_add_f32 v78, v11, v13
	v_pk_fma_f32 v[84:85], v[108:109], v[92:93], v[74:75] op_sel_hi:[1,0,1]
	v_add_f32_e32 v79, v7, v21
	v_pk_fma_f32 v[74:75], v[108:109], v[92:93], v[74:75] neg_lo:[0,0,1] neg_hi:[0,0,1]
	v_fmac_f32_e32 v151, v103, v86
	v_pk_fma_f32 v[82:83], v[104:105], v[88:89], v[70:71] op_sel_hi:[1,0,1]
	v_mov_b32_e32 v75, v85
	v_pk_add_f32 v[78:79], v[78:79], v[148:149]
	v_pk_fma_f32 v[70:71], v[104:105], v[88:89], v[70:71] neg_lo:[0,0,1] neg_hi:[0,0,1]
	v_pk_mul_f32 v[76:77], v[110:111], v[94:95] op_sel:[1,1] op_sel_hi:[0,1]
	v_mov_b32_e32 v71, v83
	v_pk_mul_f32 v[80:81], v[144:145], v[80:81] op_sel_hi:[1,0]
	v_pk_add_f32 v[78:79], v[78:79], v[150:151]
	s_wait_loadcnt 0x2
	v_pk_mul_f32 v[82:83], v[114:115], v[98:99] op_sel:[1,1] op_sel_hi:[0,1]
	s_delay_alu instid0(VALU_DEP_2) | instskip(SKIP_2) | instid1(VALU_DEP_3)
	v_pk_add_f32 v[70:71], v[78:79], v[70:71]
	v_pk_fma_f32 v[78:79], v[110:111], v[94:95], v[76:77] op_sel_hi:[1,0,1]
	v_pk_fma_f32 v[76:77], v[110:111], v[94:95], v[76:77] neg_lo:[0,0,1] neg_hi:[0,0,1]
	v_pk_add_f32 v[70:71], v[70:71], v[72:73]
	s_delay_alu instid0(VALU_DEP_3) | instskip(SKIP_2) | instid1(VALU_DEP_4)
	v_dual_mov_b32 v72, v101 :: v_dual_mov_b32 v77, v79
	v_pk_fma_f32 v[78:79], v[112:113], v[96:97], v[80:81] op_sel_hi:[1,0,1]
	v_pk_fma_f32 v[80:81], v[112:113], v[96:97], v[80:81] neg_lo:[0,0,1] neg_hi:[0,0,1]
	v_pk_add_f32 v[70:71], v[70:71], v[74:75]
	v_pk_fma_f32 v[74:75], v[114:115], v[98:99], v[82:83] op_sel_hi:[1,0,1]
	v_pk_mul_f32 v[72:73], v[146:147], v[72:73] op_sel_hi:[1,0]
	v_mov_b32_e32 v81, v79
	s_wait_loadcnt_dscnt 0x100
	v_pk_mul_f32 v[78:79], v[138:139], v[134:135] op_sel:[1,1] op_sel_hi:[0,1]
	v_pk_add_f32 v[70:71], v[70:71], v[76:77]
	v_pk_fma_f32 v[76:77], v[114:115], v[98:99], v[82:83] neg_lo:[0,0,1] neg_hi:[0,0,1]
	v_mov_b32_e32 v77, v75
	v_pk_fma_f32 v[74:75], v[116:117], v[100:101], v[72:73] op_sel_hi:[1,0,1]
	v_pk_fma_f32 v[72:73], v[116:117], v[100:101], v[72:73] neg_lo:[0,0,1] neg_hi:[0,0,1]
	v_pk_add_f32 v[70:71], v[70:71], v[80:81]
	s_delay_alu instid0(VALU_DEP_3) | instskip(SKIP_1) | instid1(VALU_DEP_3)
	v_mov_b32_e32 v73, v75
	v_pk_fma_f32 v[74:75], v[138:139], v[134:135], v[78:79] op_sel_hi:[1,0,1]
	v_pk_add_f32 v[70:71], v[70:71], v[76:77]
	v_pk_fma_f32 v[76:77], v[138:139], v[134:135], v[78:79] neg_lo:[0,0,1] neg_hi:[0,0,1]
	s_delay_alu instid0(VALU_DEP_3) | instskip(NEXT) | instid1(VALU_DEP_3)
	v_mov_b32_e32 v77, v75
	v_pk_add_f32 v[70:71], v[70:71], v[72:73]
	s_delay_alu instid0(VALU_DEP_1) | instskip(SKIP_1) | instid1(VALU_DEP_1)
	v_pk_add_f32 v[70:71], v[70:71], v[76:77]
	s_wait_loadcnt 0x0
	v_pk_add_f32 v[70:71], v[136:137], v[70:71] neg_lo:[0,1] neg_hi:[0,1]
	scratch_store_b64 off, v[70:71], off offset:128
	s_wait_xcnt 0x0
	v_cmpx_lt_u32_e32 15, v0
	s_cbranch_execz .LBB33_187
; %bb.186:
	scratch_load_b64 v[70:71], off, off offset:120
	v_mov_b64_e32 v[72:73], 0
	scratch_store_b64 off, v[72:73], off offset:120
	s_wait_loadcnt 0x0
	ds_store_b64 v1, v[70:71]
.LBB33_187:
	s_wait_xcnt 0x0
	s_or_b32 exec_lo, exec_lo, s0
	s_wait_storecnt_dscnt 0x0
	s_barrier_signal -1
	s_barrier_wait -1
	s_clause 0x9
	scratch_load_b128 v[70:73], off, off offset:128
	scratch_load_b128 v[74:77], off, off offset:144
	;; [unrolled: 1-line block ×9, first 2 shown]
	scratch_load_b64 v[142:143], off, off offset:120
	ds_load_b128 v[106:109], v5 offset:480
	ds_load_b128 v[110:113], v5 offset:496
	ds_load_b128 v[114:117], v5 offset:512
	ds_load_b128 v[118:121], v5 offset:528
	ds_load_b128 v[122:125], v5 offset:400
	ds_load_b128 v[126:129], v5 offset:416
	ds_load_b128 v[130:133], v5 offset:432
	ds_load_b128 v[134:137], v5 offset:448
	ds_load_b128 v[138:141], v5 offset:464
	s_mov_b32 s0, exec_lo
	s_wait_dscnt 0x8
	v_dual_mov_b32 v144, v109 :: v_dual_mov_b32 v145, v108
	s_wait_dscnt 0x7
	v_dual_mov_b32 v146, v113 :: v_dual_mov_b32 v147, v112
	;; [unrolled: 2-line block ×4, first 2 shown]
	s_wait_loadcnt_dscnt 0x904
	v_dual_mul_f32 v5, v122, v71 :: v_dual_mul_f32 v7, v124, v73
	v_dual_mul_f32 v23, v123, v71 :: v_dual_mul_f32 v25, v125, v73
	s_wait_loadcnt_dscnt 0x803
	v_dual_mul_f32 v11, v126, v75 :: v_dual_mul_f32 v13, v128, v77
	s_delay_alu instid0(VALU_DEP_2) | instskip(SKIP_3) | instid1(VALU_DEP_3)
	v_dual_fmac_f32 v5, v123, v70 :: v_dual_fma_f32 v23, v122, v70, -v23
	v_dual_mul_f32 v27, v127, v75 :: v_dual_mul_f32 v29, v129, v77
	s_wait_loadcnt_dscnt 0x601
	v_dual_mul_f32 v35, v135, v83 :: v_dual_fmac_f32 v7, v125, v72
	v_dual_fma_f32 v25, v124, v72, -v25 :: v_dual_add_f32 v5, 0, v5
	v_dual_add_f32 v23, 0, v23 :: v_dual_mul_f32 v37, v137, v85
	v_fmac_f32_e32 v11, v127, v74
	s_delay_alu instid0(VALU_DEP_3) | instskip(NEXT) | instid1(VALU_DEP_3)
	v_dual_fma_f32 v27, v126, v74, -v27 :: v_dual_add_f32 v5, v5, v7
	v_dual_add_f32 v7, v23, v25 :: v_dual_mul_f32 v15, v130, v79
	v_dual_mul_f32 v17, v132, v81 :: v_dual_mul_f32 v31, v131, v79
	s_wait_loadcnt_dscnt 0x500
	v_dual_mul_f32 v33, v133, v81 :: v_dual_mul_f32 v23, v139, v87
	v_fmac_f32_e32 v13, v129, v76
	v_dual_fma_f32 v25, v128, v76, -v29 :: v_dual_add_f32 v5, v5, v11
	v_dual_add_f32 v7, v7, v27 :: v_dual_mul_f32 v11, v141, v89
	v_fmac_f32_e32 v15, v131, v78
	s_delay_alu instid0(VALU_DEP_3) | instskip(NEXT) | instid1(VALU_DEP_3)
	v_dual_fma_f32 v27, v130, v78, -v31 :: v_dual_add_f32 v5, v5, v13
	v_dual_add_f32 v7, v7, v25 :: v_dual_mul_f32 v19, v134, v83
	v_dual_mul_f32 v21, v136, v85 :: v_dual_fmac_f32 v17, v133, v80
	s_delay_alu instid0(VALU_DEP_3) | instskip(SKIP_1) | instid1(VALU_DEP_3)
	v_dual_fma_f32 v13, v132, v80, -v33 :: v_dual_add_f32 v5, v5, v15
	s_wait_loadcnt 0x4
	v_dual_add_f32 v7, v7, v27 :: v_dual_mov_b32 v72, v93
	v_fmac_f32_e32 v19, v135, v82
	s_delay_alu instid0(VALU_DEP_3) | instskip(NEXT) | instid1(VALU_DEP_3)
	v_dual_fma_f32 v15, v134, v82, -v35 :: v_dual_add_f32 v5, v5, v17
	v_dual_add_f32 v7, v7, v13 :: v_dual_fmac_f32 v21, v137, v84
	v_dual_mul_f32 v153, v138, v87 :: v_dual_mul_f32 v155, v140, v89
	s_delay_alu instid0(VALU_DEP_3) | instskip(SKIP_1) | instid1(VALU_DEP_3)
	v_dual_fma_f32 v13, v136, v84, -v37 :: v_dual_add_f32 v5, v5, v19
	s_wait_loadcnt 0x3
	v_dual_add_f32 v7, v7, v15 :: v_dual_mov_b32 v76, v97
	v_pk_mul_f32 v[70:71], v[106:107], v[90:91] op_sel:[1,1] op_sel_hi:[0,1]
	v_dual_fmac_f32 v153, v139, v86 :: v_dual_fma_f32 v152, v138, v86, -v23
	v_dual_add_f32 v79, v5, v21 :: v_dual_fma_f32 v154, v140, v88, -v11
	s_delay_alu instid0(VALU_DEP_4) | instskip(NEXT) | instid1(VALU_DEP_4)
	v_dual_add_f32 v78, v7, v13 :: v_dual_fmac_f32 v155, v141, v88
	v_pk_fma_f32 v[80:81], v[106:107], v[90:91], v[70:71] op_sel_hi:[1,0,1]
	v_pk_mul_f32 v[72:73], v[144:145], v[72:73] op_sel_hi:[1,0]
	v_pk_fma_f32 v[70:71], v[106:107], v[90:91], v[70:71] neg_lo:[0,0,1] neg_hi:[0,0,1]
	s_delay_alu instid0(VALU_DEP_4)
	v_pk_add_f32 v[78:79], v[78:79], v[152:153]
	v_pk_mul_f32 v[74:75], v[110:111], v[94:95] op_sel:[1,1] op_sel_hi:[0,1]
	v_mov_b32_e32 v71, v81
	v_pk_fma_f32 v[80:81], v[108:109], v[92:93], v[72:73] op_sel_hi:[1,0,1]
	v_pk_fma_f32 v[72:73], v[108:109], v[92:93], v[72:73] neg_lo:[0,0,1] neg_hi:[0,0,1]
	v_pk_add_f32 v[78:79], v[78:79], v[154:155]
	v_pk_fma_f32 v[84:85], v[110:111], v[94:95], v[74:75] op_sel_hi:[1,0,1]
	v_pk_mul_f32 v[76:77], v[146:147], v[76:77] op_sel_hi:[1,0]
	v_mov_b32_e32 v73, v81
	s_wait_loadcnt 0x2
	v_pk_mul_f32 v[82:83], v[114:115], v[98:99] op_sel:[1,1] op_sel_hi:[0,1]
	v_pk_add_f32 v[70:71], v[78:79], v[70:71]
	v_mov_b32_e32 v78, v101
	v_pk_fma_f32 v[74:75], v[110:111], v[94:95], v[74:75] neg_lo:[0,0,1] neg_hi:[0,0,1]
	v_mov_b32_e32 v75, v85
	v_pk_fma_f32 v[80:81], v[112:113], v[96:97], v[76:77] op_sel_hi:[1,0,1]
	v_pk_add_f32 v[70:71], v[70:71], v[72:73]
	v_pk_fma_f32 v[72:73], v[114:115], v[98:99], v[82:83] op_sel_hi:[1,0,1]
	v_pk_mul_f32 v[78:79], v[148:149], v[78:79] op_sel_hi:[1,0]
	v_pk_fma_f32 v[76:77], v[112:113], v[96:97], v[76:77] neg_lo:[0,0,1] neg_hi:[0,0,1]
	v_mov_b32_e32 v77, v81
	v_pk_add_f32 v[70:71], v[70:71], v[74:75]
	v_pk_fma_f32 v[80:81], v[114:115], v[98:99], v[82:83] neg_lo:[0,0,1] neg_hi:[0,0,1]
	v_mov_b32_e32 v81, v73
	v_pk_fma_f32 v[72:73], v[116:117], v[100:101], v[78:79] op_sel_hi:[1,0,1]
	s_wait_loadcnt 0x1
	v_pk_mul_f32 v[74:75], v[118:119], v[102:103] op_sel:[1,1] op_sel_hi:[0,1]
	v_pk_add_f32 v[70:71], v[70:71], v[76:77]
	v_mov_b32_e32 v72, v105
	v_pk_fma_f32 v[78:79], v[116:117], v[100:101], v[78:79] neg_lo:[0,0,1] neg_hi:[0,0,1]
	v_mov_b32_e32 v79, v73
	v_pk_fma_f32 v[76:77], v[118:119], v[102:103], v[74:75] op_sel_hi:[1,0,1]
	v_pk_add_f32 v[70:71], v[70:71], v[80:81]
	v_pk_mul_f32 v[72:73], v[150:151], v[72:73] op_sel_hi:[1,0]
	v_pk_fma_f32 v[74:75], v[118:119], v[102:103], v[74:75] neg_lo:[0,0,1] neg_hi:[0,0,1]
	s_delay_alu instid0(VALU_DEP_4) | instskip(NEXT) | instid1(VALU_DEP_4)
	v_mov_b32_e32 v75, v77
	v_pk_add_f32 v[70:71], v[70:71], v[78:79]
	s_delay_alu instid0(VALU_DEP_4) | instskip(SKIP_1) | instid1(VALU_DEP_2)
	v_pk_fma_f32 v[76:77], v[120:121], v[104:105], v[72:73] op_sel_hi:[1,0,1]
	v_pk_fma_f32 v[72:73], v[120:121], v[104:105], v[72:73] neg_lo:[0,0,1] neg_hi:[0,0,1]
	v_mov_b32_e32 v73, v77
	s_delay_alu instid0(VALU_DEP_4) | instskip(NEXT) | instid1(VALU_DEP_1)
	v_pk_add_f32 v[70:71], v[70:71], v[74:75]
	v_pk_add_f32 v[70:71], v[70:71], v[72:73]
	s_wait_loadcnt 0x0
	s_delay_alu instid0(VALU_DEP_1)
	v_pk_add_f32 v[70:71], v[142:143], v[70:71] neg_lo:[0,1] neg_hi:[0,1]
	scratch_store_b64 off, v[70:71], off offset:120
	s_wait_xcnt 0x0
	v_cmpx_lt_u32_e32 14, v0
	s_cbranch_execz .LBB33_189
; %bb.188:
	scratch_load_b64 v[70:71], off, off offset:112
	v_mov_b64_e32 v[72:73], 0
	scratch_store_b64 off, v[72:73], off offset:112
	s_wait_loadcnt 0x0
	ds_store_b64 v1, v[70:71]
.LBB33_189:
	s_wait_xcnt 0x0
	s_or_b32 exec_lo, exec_lo, s0
	s_wait_storecnt_dscnt 0x0
	s_barrier_signal -1
	s_barrier_wait -1
	s_clause 0xa
	scratch_load_b128 v[70:73], off, off offset:120
	scratch_load_b128 v[74:77], off, off offset:136
	;; [unrolled: 1-line block ×9, first 2 shown]
	scratch_load_b64 v[142:143], off, off offset:264
	scratch_load_b64 v[144:145], off, off offset:112
	v_mov_b32_e32 v5, 0
	ds_load_2addr_b64 v[106:109], v5 offset0:59 offset1:60
	ds_load_2addr_b64 v[110:113], v5 offset0:61 offset1:62
	;; [unrolled: 1-line block ×9, first 2 shown]
	ds_load_b64 v[146:147], v5 offset:536
	s_mov_b32 s0, exec_lo
	s_wait_dscnt 0x8
	v_dual_mov_b32 v149, v108 :: v_dual_mov_b32 v150, v113
	s_wait_dscnt 0x7
	v_dual_mov_b32 v151, v112 :: v_dual_mov_b32 v152, v117
	;; [unrolled: 2-line block ×3, first 2 shown]
	v_dual_mov_b32 v153, v116 :: v_dual_mov_b32 v154, v121
	s_wait_loadcnt_dscnt 0xa05
	v_dual_mul_f32 v7, v122, v71 :: v_dual_mul_f32 v27, v123, v71
	v_dual_mul_f32 v29, v125, v73 :: v_dual_mul_f32 v11, v124, v73
	s_wait_loadcnt_dscnt 0x904
	v_mul_f32_e32 v13, v126, v75
	s_wait_loadcnt_dscnt 0x702
	v_dual_mul_f32 v39, v135, v83 :: v_dual_fma_f32 v27, v122, v70, -v27
	v_dual_fmac_f32 v7, v123, v70 :: v_dual_mul_f32 v41, v137, v85
	v_dual_mul_f32 v31, v127, v75 :: v_dual_mul_f32 v33, v129, v77
	v_dual_fmac_f32 v11, v125, v72 :: v_dual_fma_f32 v29, v124, v72, -v29
	s_delay_alu instid0(VALU_DEP_3) | instskip(NEXT) | instid1(VALU_DEP_3)
	v_dual_add_f32 v7, 0, v7 :: v_dual_fmac_f32 v13, v127, v74
	v_dual_add_f32 v27, 0, v27 :: v_dual_fma_f32 v31, v126, v74, -v31
	v_dual_mul_f32 v15, v128, v77 :: v_dual_mul_f32 v17, v130, v79
	s_delay_alu instid0(VALU_DEP_3) | instskip(NEXT) | instid1(VALU_DEP_3)
	v_add_f32_e32 v7, v7, v11
	v_dual_add_f32 v11, v27, v29 :: v_dual_fma_f32 v29, v128, v76, -v33
	v_dual_mul_f32 v35, v131, v79 :: v_dual_mul_f32 v37, v133, v81
	s_delay_alu instid0(VALU_DEP_3) | instskip(SKIP_1) | instid1(VALU_DEP_3)
	v_dual_fmac_f32 v15, v129, v76 :: v_dual_add_f32 v7, v7, v13
	s_wait_loadcnt 0x5
	v_dual_add_f32 v11, v11, v31 :: v_dual_mov_b32 v70, v93
	v_dual_mul_f32 v19, v132, v81 :: v_dual_mul_f32 v21, v134, v83
	s_wait_loadcnt 0x4
	v_dual_fmac_f32 v17, v131, v78 :: v_dual_mov_b32 v74, v97
	v_dual_fma_f32 v31, v130, v78, -v35 :: v_dual_add_f32 v7, v7, v15
	v_dual_fma_f32 v15, v132, v80, -v37 :: v_dual_add_f32 v11, v11, v29
	s_wait_dscnt 0x1
	v_dual_mul_f32 v23, v136, v85 :: v_dual_mul_f32 v25, v138, v87
	v_dual_mul_f32 v13, v107, v91 :: v_dual_fmac_f32 v19, v133, v80
	s_delay_alu instid0(VALU_DEP_2)
	v_dual_add_f32 v7, v7, v17 :: v_dual_fmac_f32 v23, v137, v84
	v_dual_fma_f32 v17, v134, v82, -v39 :: v_dual_add_f32 v11, v11, v31
	v_dual_mul_f32 v157, v140, v89 :: v_dual_mul_f32 v159, v106, v91
	v_dual_mul_f32 v43, v139, v87 :: v_dual_mul_f32 v27, v141, v89
	v_pk_mul_f32 v[72:73], v[110:111], v[94:95] op_sel:[1,1] op_sel_hi:[0,1]
	v_fmac_f32_e32 v21, v135, v82
	v_add_f32_e32 v7, v7, v19
	v_dual_add_f32 v11, v11, v15 :: v_dual_fmac_f32 v157, v141, v88
	v_fma_f32 v15, v136, v84, -v41
	v_fma_f32 v156, v140, v88, -v27
	v_pk_fma_f32 v[84:85], v[110:111], v[94:95], v[72:73] op_sel_hi:[1,0,1]
	s_delay_alu instid0(VALU_DEP_4)
	v_dual_add_f32 v11, v11, v17 :: v_dual_fma_f32 v158, v106, v90, -v13
	v_dual_fma_f32 v17, v138, v86, -v43 :: v_dual_add_f32 v7, v7, v21
	s_wait_loadcnt 0x3
	v_mov_b32_e32 v80, v101
	v_pk_mul_f32 v[74:75], v[150:151], v[74:75] op_sel_hi:[1,0]
	v_pk_fma_f32 v[72:73], v[110:111], v[94:95], v[72:73] neg_lo:[0,0,1] neg_hi:[0,0,1]
	v_dual_fmac_f32 v25, v139, v86 :: v_dual_mov_b32 v73, v85
	v_add_f32_e32 v11, v11, v15
	s_delay_alu instid0(VALU_DEP_4) | instskip(SKIP_3) | instid1(VALU_DEP_4)
	v_pk_fma_f32 v[84:85], v[112:113], v[96:97], v[74:75] op_sel_hi:[1,0,1]
	v_add_f32_e32 v7, v7, v23
	v_pk_fma_f32 v[74:75], v[112:113], v[96:97], v[74:75] neg_lo:[0,0,1] neg_hi:[0,0,1]
	v_pk_mul_f32 v[70:71], v[148:149], v[70:71] op_sel_hi:[1,0]
	v_dual_add_f32 v78, v11, v17 :: v_dual_mov_b32 v75, v85
	s_delay_alu instid0(VALU_DEP_4) | instskip(SKIP_1) | instid1(VALU_DEP_4)
	v_add_f32_e32 v79, v7, v25
	v_fmac_f32_e32 v159, v107, v90
	v_pk_fma_f32 v[82:83], v[108:109], v[92:93], v[70:71] op_sel_hi:[1,0,1]
	v_pk_fma_f32 v[70:71], v[108:109], v[92:93], v[70:71] neg_lo:[0,0,1] neg_hi:[0,0,1]
	v_pk_mul_f32 v[76:77], v[114:115], v[98:99] op_sel:[1,1] op_sel_hi:[0,1]
	v_pk_add_f32 v[78:79], v[78:79], v[156:157]
	v_pk_mul_f32 v[80:81], v[152:153], v[80:81] op_sel_hi:[1,0]
	v_mov_b32_e32 v71, v83
	s_wait_loadcnt 0x2
	v_pk_mul_f32 v[82:83], v[118:119], v[102:103] op_sel:[1,1] op_sel_hi:[0,1]
	v_pk_add_f32 v[78:79], v[78:79], v[158:159]
	s_delay_alu instid0(VALU_DEP_1) | instskip(SKIP_2) | instid1(VALU_DEP_3)
	v_pk_add_f32 v[70:71], v[78:79], v[70:71]
	v_pk_fma_f32 v[78:79], v[114:115], v[98:99], v[76:77] op_sel_hi:[1,0,1]
	v_pk_fma_f32 v[76:77], v[114:115], v[98:99], v[76:77] neg_lo:[0,0,1] neg_hi:[0,0,1]
	v_pk_add_f32 v[70:71], v[70:71], v[72:73]
	s_delay_alu instid0(VALU_DEP_3) | instskip(SKIP_2) | instid1(VALU_DEP_4)
	v_dual_mov_b32 v72, v105 :: v_dual_mov_b32 v77, v79
	v_pk_fma_f32 v[78:79], v[116:117], v[100:101], v[80:81] op_sel_hi:[1,0,1]
	v_pk_fma_f32 v[80:81], v[116:117], v[100:101], v[80:81] neg_lo:[0,0,1] neg_hi:[0,0,1]
	v_pk_add_f32 v[70:71], v[70:71], v[74:75]
	v_pk_fma_f32 v[74:75], v[118:119], v[102:103], v[82:83] op_sel_hi:[1,0,1]
	v_pk_mul_f32 v[72:73], v[154:155], v[72:73] op_sel_hi:[1,0]
	v_mov_b32_e32 v81, v79
	s_wait_loadcnt_dscnt 0x100
	v_pk_mul_f32 v[78:79], v[146:147], v[142:143] op_sel:[1,1] op_sel_hi:[0,1]
	v_pk_add_f32 v[70:71], v[70:71], v[76:77]
	v_pk_fma_f32 v[76:77], v[118:119], v[102:103], v[82:83] neg_lo:[0,0,1] neg_hi:[0,0,1]
	v_mov_b32_e32 v77, v75
	v_pk_fma_f32 v[74:75], v[120:121], v[104:105], v[72:73] op_sel_hi:[1,0,1]
	v_pk_fma_f32 v[72:73], v[120:121], v[104:105], v[72:73] neg_lo:[0,0,1] neg_hi:[0,0,1]
	v_pk_add_f32 v[70:71], v[70:71], v[80:81]
	s_delay_alu instid0(VALU_DEP_3) | instskip(SKIP_1) | instid1(VALU_DEP_3)
	v_mov_b32_e32 v73, v75
	v_pk_fma_f32 v[74:75], v[146:147], v[142:143], v[78:79] op_sel_hi:[1,0,1]
	v_pk_add_f32 v[70:71], v[70:71], v[76:77]
	v_pk_fma_f32 v[76:77], v[146:147], v[142:143], v[78:79] neg_lo:[0,0,1] neg_hi:[0,0,1]
	s_delay_alu instid0(VALU_DEP_3) | instskip(NEXT) | instid1(VALU_DEP_3)
	v_mov_b32_e32 v77, v75
	v_pk_add_f32 v[70:71], v[70:71], v[72:73]
	s_delay_alu instid0(VALU_DEP_1) | instskip(SKIP_1) | instid1(VALU_DEP_1)
	v_pk_add_f32 v[70:71], v[70:71], v[76:77]
	s_wait_loadcnt 0x0
	v_pk_add_f32 v[70:71], v[144:145], v[70:71] neg_lo:[0,1] neg_hi:[0,1]
	scratch_store_b64 off, v[70:71], off offset:112
	s_wait_xcnt 0x0
	v_cmpx_lt_u32_e32 13, v0
	s_cbranch_execz .LBB33_191
; %bb.190:
	scratch_load_b64 v[70:71], off, off offset:104
	v_mov_b64_e32 v[72:73], 0
	scratch_store_b64 off, v[72:73], off offset:104
	s_wait_loadcnt 0x0
	ds_store_b64 v1, v[70:71]
.LBB33_191:
	s_wait_xcnt 0x0
	s_or_b32 exec_lo, exec_lo, s0
	s_wait_storecnt_dscnt 0x0
	s_barrier_signal -1
	s_barrier_wait -1
	s_clause 0xa
	scratch_load_b128 v[70:73], off, off offset:112
	scratch_load_b128 v[74:77], off, off offset:128
	;; [unrolled: 1-line block ×10, first 2 shown]
	scratch_load_b64 v[150:151], off, off offset:104
	ds_load_b128 v[110:113], v5 offset:480
	ds_load_b128 v[114:117], v5 offset:496
	;; [unrolled: 1-line block ×10, first 2 shown]
	s_mov_b32 s0, exec_lo
	s_wait_dscnt 0x9
	v_dual_mov_b32 v152, v113 :: v_dual_mov_b32 v153, v112
	s_wait_dscnt 0x8
	v_dual_mov_b32 v154, v117 :: v_dual_mov_b32 v155, v116
	;; [unrolled: 2-line block ×4, first 2 shown]
	s_wait_loadcnt_dscnt 0xa05
	v_dual_mul_f32 v5, v126, v71 :: v_dual_mul_f32 v7, v128, v73
	v_dual_mul_f32 v27, v127, v71 :: v_dual_mul_f32 v29, v129, v73
	s_wait_loadcnt_dscnt 0x904
	v_dual_mul_f32 v11, v130, v75 :: v_dual_mul_f32 v13, v132, v77
	s_delay_alu instid0(VALU_DEP_2) | instskip(SKIP_3) | instid1(VALU_DEP_3)
	v_dual_fmac_f32 v5, v127, v70 :: v_dual_fma_f32 v27, v126, v70, -v27
	v_dual_mul_f32 v31, v131, v75 :: v_dual_mul_f32 v33, v133, v77
	s_wait_loadcnt_dscnt 0x702
	v_dual_mul_f32 v39, v139, v83 :: v_dual_fmac_f32 v7, v129, v72
	v_dual_fma_f32 v29, v128, v72, -v29 :: v_dual_add_f32 v5, 0, v5
	v_dual_add_f32 v27, 0, v27 :: v_dual_mul_f32 v41, v141, v85
	v_fmac_f32_e32 v11, v131, v74
	s_delay_alu instid0(VALU_DEP_3) | instskip(NEXT) | instid1(VALU_DEP_3)
	v_dual_fma_f32 v31, v130, v74, -v31 :: v_dual_add_f32 v5, v5, v7
	v_dual_add_f32 v7, v27, v29 :: v_dual_mul_f32 v15, v134, v79
	v_dual_mul_f32 v17, v136, v81 :: v_dual_mul_f32 v35, v135, v79
	s_wait_loadcnt_dscnt 0x601
	v_dual_mul_f32 v37, v137, v81 :: v_dual_mul_f32 v27, v143, v87
	v_fmac_f32_e32 v13, v133, v76
	v_dual_fma_f32 v29, v132, v76, -v33 :: v_dual_add_f32 v5, v5, v11
	v_dual_add_f32 v7, v7, v31 :: v_dual_mul_f32 v11, v145, v89
	v_fmac_f32_e32 v15, v135, v78
	s_delay_alu instid0(VALU_DEP_3) | instskip(NEXT) | instid1(VALU_DEP_3)
	v_dual_fma_f32 v31, v134, v78, -v35 :: v_dual_add_f32 v5, v5, v13
	v_dual_add_f32 v7, v7, v29 :: v_dual_mul_f32 v19, v138, v83
	s_wait_loadcnt_dscnt 0x500
	v_dual_mul_f32 v21, v140, v85 :: v_dual_mul_f32 v13, v147, v91
	v_fmac_f32_e32 v17, v137, v80
	v_dual_fma_f32 v29, v136, v80, -v37 :: v_dual_add_f32 v5, v5, v15
	v_dual_add_f32 v7, v7, v31 :: v_dual_mul_f32 v15, v149, v93
	v_fmac_f32_e32 v19, v139, v82
	s_delay_alu instid0(VALU_DEP_3) | instskip(NEXT) | instid1(VALU_DEP_3)
	v_dual_fma_f32 v31, v138, v82, -v39 :: v_dual_add_f32 v5, v5, v17
	v_dual_add_f32 v7, v7, v29 :: v_dual_mul_f32 v23, v142, v87
	v_dual_mul_f32 v25, v144, v89 :: v_dual_fmac_f32 v21, v141, v84
	s_delay_alu instid0(VALU_DEP_3) | instskip(SKIP_1) | instid1(VALU_DEP_3)
	v_dual_fma_f32 v17, v140, v84, -v41 :: v_dual_add_f32 v5, v5, v19
	s_wait_loadcnt 0x4
	v_dual_add_f32 v7, v7, v31 :: v_dual_mov_b32 v72, v97
	v_fmac_f32_e32 v23, v143, v86
	s_delay_alu instid0(VALU_DEP_3) | instskip(NEXT) | instid1(VALU_DEP_3)
	v_dual_fma_f32 v19, v142, v86, -v27 :: v_dual_add_f32 v5, v5, v21
	v_dual_add_f32 v7, v7, v17 :: v_dual_fmac_f32 v25, v145, v88
	v_dual_mul_f32 v161, v146, v91 :: v_dual_mul_f32 v163, v148, v93
	s_delay_alu instid0(VALU_DEP_3) | instskip(SKIP_1) | instid1(VALU_DEP_3)
	v_dual_fma_f32 v11, v144, v88, -v11 :: v_dual_add_f32 v5, v5, v23
	s_wait_loadcnt 0x3
	v_dual_add_f32 v7, v7, v19 :: v_dual_mov_b32 v76, v101
	v_pk_mul_f32 v[70:71], v[110:111], v[94:95] op_sel:[1,1] op_sel_hi:[0,1]
	s_delay_alu instid0(VALU_DEP_3) | instskip(NEXT) | instid1(VALU_DEP_3)
	v_dual_fmac_f32 v161, v147, v90 :: v_dual_add_f32 v79, v5, v25
	v_dual_fma_f32 v160, v146, v90, -v13 :: v_dual_add_f32 v78, v7, v11
	v_fmac_f32_e32 v163, v149, v92
	s_delay_alu instid0(VALU_DEP_4)
	v_pk_fma_f32 v[80:81], v[110:111], v[94:95], v[70:71] op_sel_hi:[1,0,1]
	v_fma_f32 v162, v148, v92, -v15
	v_pk_mul_f32 v[72:73], v[152:153], v[72:73] op_sel_hi:[1,0]
	v_pk_add_f32 v[78:79], v[78:79], v[160:161]
	v_pk_fma_f32 v[70:71], v[110:111], v[94:95], v[70:71] neg_lo:[0,0,1] neg_hi:[0,0,1]
	v_pk_mul_f32 v[74:75], v[114:115], v[98:99] op_sel:[1,1] op_sel_hi:[0,1]
	v_mov_b32_e32 v71, v81
	v_pk_fma_f32 v[80:81], v[112:113], v[96:97], v[72:73] op_sel_hi:[1,0,1]
	v_pk_add_f32 v[78:79], v[78:79], v[162:163]
	v_pk_fma_f32 v[72:73], v[112:113], v[96:97], v[72:73] neg_lo:[0,0,1] neg_hi:[0,0,1]
	v_pk_fma_f32 v[84:85], v[114:115], v[98:99], v[74:75] op_sel_hi:[1,0,1]
	v_pk_mul_f32 v[76:77], v[154:155], v[76:77] op_sel_hi:[1,0]
	v_mov_b32_e32 v73, v81
	v_pk_add_f32 v[70:71], v[78:79], v[70:71]
	s_wait_loadcnt 0x2
	v_pk_mul_f32 v[82:83], v[118:119], v[102:103] op_sel:[1,1] op_sel_hi:[0,1]
	v_mov_b32_e32 v78, v105
	v_pk_fma_f32 v[74:75], v[114:115], v[98:99], v[74:75] neg_lo:[0,0,1] neg_hi:[0,0,1]
	v_pk_fma_f32 v[80:81], v[116:117], v[100:101], v[76:77] op_sel_hi:[1,0,1]
	v_mov_b32_e32 v75, v85
	v_pk_add_f32 v[70:71], v[70:71], v[72:73]
	v_pk_fma_f32 v[72:73], v[118:119], v[102:103], v[82:83] op_sel_hi:[1,0,1]
	v_pk_mul_f32 v[78:79], v[156:157], v[78:79] op_sel_hi:[1,0]
	v_pk_fma_f32 v[76:77], v[116:117], v[100:101], v[76:77] neg_lo:[0,0,1] neg_hi:[0,0,1]
	v_mov_b32_e32 v77, v81
	v_pk_add_f32 v[70:71], v[70:71], v[74:75]
	v_pk_fma_f32 v[80:81], v[118:119], v[102:103], v[82:83] neg_lo:[0,0,1] neg_hi:[0,0,1]
	v_mov_b32_e32 v81, v73
	v_pk_fma_f32 v[72:73], v[120:121], v[104:105], v[78:79] op_sel_hi:[1,0,1]
	s_wait_loadcnt 0x1
	v_pk_mul_f32 v[74:75], v[122:123], v[106:107] op_sel:[1,1] op_sel_hi:[0,1]
	v_pk_add_f32 v[70:71], v[70:71], v[76:77]
	v_mov_b32_e32 v72, v109
	v_pk_fma_f32 v[78:79], v[120:121], v[104:105], v[78:79] neg_lo:[0,0,1] neg_hi:[0,0,1]
	s_delay_alu instid0(VALU_DEP_4)
	v_pk_fma_f32 v[76:77], v[122:123], v[106:107], v[74:75] op_sel_hi:[1,0,1]
	v_mov_b32_e32 v79, v73
	v_pk_add_f32 v[70:71], v[70:71], v[80:81]
	v_pk_mul_f32 v[72:73], v[158:159], v[72:73] op_sel_hi:[1,0]
	v_pk_fma_f32 v[74:75], v[122:123], v[106:107], v[74:75] neg_lo:[0,0,1] neg_hi:[0,0,1]
	v_mov_b32_e32 v75, v77
	s_delay_alu instid0(VALU_DEP_4) | instskip(NEXT) | instid1(VALU_DEP_4)
	v_pk_add_f32 v[70:71], v[70:71], v[78:79]
	v_pk_fma_f32 v[76:77], v[124:125], v[108:109], v[72:73] op_sel_hi:[1,0,1]
	v_pk_fma_f32 v[72:73], v[124:125], v[108:109], v[72:73] neg_lo:[0,0,1] neg_hi:[0,0,1]
	s_delay_alu instid0(VALU_DEP_3) | instskip(NEXT) | instid1(VALU_DEP_3)
	v_pk_add_f32 v[70:71], v[70:71], v[74:75]
	v_mov_b32_e32 v73, v77
	s_delay_alu instid0(VALU_DEP_1) | instskip(SKIP_1) | instid1(VALU_DEP_1)
	v_pk_add_f32 v[70:71], v[70:71], v[72:73]
	s_wait_loadcnt 0x0
	v_pk_add_f32 v[70:71], v[150:151], v[70:71] neg_lo:[0,1] neg_hi:[0,1]
	scratch_store_b64 off, v[70:71], off offset:104
	s_wait_xcnt 0x0
	v_cmpx_lt_u32_e32 12, v0
	s_cbranch_execz .LBB33_193
; %bb.192:
	scratch_load_b64 v[70:71], off, off offset:96
	v_mov_b64_e32 v[72:73], 0
	scratch_store_b64 off, v[72:73], off offset:96
	s_wait_loadcnt 0x0
	ds_store_b64 v1, v[70:71]
.LBB33_193:
	s_wait_xcnt 0x0
	s_or_b32 exec_lo, exec_lo, s0
	s_wait_storecnt_dscnt 0x0
	s_barrier_signal -1
	s_barrier_wait -1
	s_clause 0xb
	scratch_load_b128 v[70:73], off, off offset:104
	scratch_load_b128 v[74:77], off, off offset:120
	;; [unrolled: 1-line block ×10, first 2 shown]
	scratch_load_b64 v[150:151], off, off offset:264
	scratch_load_b64 v[152:153], off, off offset:96
	v_mov_b32_e32 v5, 0
	ds_load_2addr_b64 v[110:113], v5 offset0:59 offset1:60
	ds_load_2addr_b64 v[114:117], v5 offset0:61 offset1:62
	;; [unrolled: 1-line block ×10, first 2 shown]
	ds_load_b64 v[154:155], v5 offset:536
	s_mov_b32 s0, exec_lo
	s_wait_dscnt 0x9
	v_dual_mov_b32 v157, v112 :: v_dual_mov_b32 v158, v117
	s_wait_dscnt 0x8
	v_dual_mov_b32 v159, v116 :: v_dual_mov_b32 v160, v121
	;; [unrolled: 2-line block ×3, first 2 shown]
	v_dual_mov_b32 v161, v120 :: v_dual_mov_b32 v162, v125
	s_wait_loadcnt_dscnt 0xb06
	v_dual_mul_f32 v7, v126, v71 :: v_dual_mul_f32 v31, v127, v71
	v_dual_mul_f32 v33, v129, v73 :: v_dual_mul_f32 v11, v128, v73
	s_wait_loadcnt_dscnt 0xa05
	v_mul_f32_e32 v13, v130, v75
	s_wait_loadcnt_dscnt 0x803
	v_dual_mul_f32 v43, v139, v83 :: v_dual_fma_f32 v31, v126, v70, -v31
	v_dual_fmac_f32 v7, v127, v70 :: v_dual_mul_f32 v45, v141, v85
	v_dual_mul_f32 v35, v131, v75 :: v_dual_mul_f32 v37, v133, v77
	v_dual_fmac_f32 v11, v129, v72 :: v_dual_fma_f32 v33, v128, v72, -v33
	s_delay_alu instid0(VALU_DEP_3) | instskip(NEXT) | instid1(VALU_DEP_3)
	v_dual_add_f32 v7, 0, v7 :: v_dual_fmac_f32 v13, v131, v74
	v_dual_add_f32 v31, 0, v31 :: v_dual_fma_f32 v35, v130, v74, -v35
	v_dual_mul_f32 v15, v132, v77 :: v_dual_mul_f32 v17, v134, v79
	s_delay_alu instid0(VALU_DEP_3) | instskip(NEXT) | instid1(VALU_DEP_3)
	v_add_f32_e32 v7, v7, v11
	v_dual_add_f32 v11, v31, v33 :: v_dual_fma_f32 v33, v132, v76, -v37
	v_dual_mul_f32 v39, v135, v79 :: v_dual_mul_f32 v41, v137, v81
	s_delay_alu instid0(VALU_DEP_3) | instskip(NEXT) | instid1(VALU_DEP_3)
	v_dual_fmac_f32 v15, v133, v76 :: v_dual_add_f32 v7, v7, v13
	v_dual_add_f32 v11, v11, v35 :: v_dual_mul_f32 v19, v136, v81
	v_dual_mul_f32 v21, v138, v83 :: v_dual_fmac_f32 v17, v135, v78
	s_wait_loadcnt 0x5
	v_dual_mov_b32 v70, v97 :: v_dual_fma_f32 v35, v134, v78, -v39
	s_wait_dscnt 0x1
	v_dual_add_f32 v7, v7, v15 :: v_dual_mul_f32 v15, v149, v93
	v_add_f32_e32 v11, v11, v33
	v_dual_mul_f32 v23, v140, v85 :: v_dual_mul_f32 v25, v142, v87
	v_dual_mul_f32 v13, v147, v91 :: v_dual_fmac_f32 v19, v137, v80
	s_delay_alu instid0(VALU_DEP_4) | instskip(NEXT) | instid1(VALU_DEP_3)
	v_dual_fma_f32 v33, v136, v80, -v41 :: v_dual_add_f32 v7, v7, v17
	v_dual_fmac_f32 v23, v141, v84 :: v_dual_add_f32 v11, v11, v35
	v_dual_mul_f32 v27, v144, v89 :: v_dual_mul_f32 v29, v146, v91
	v_dual_mul_f32 v47, v143, v87 :: v_dual_mul_f32 v31, v145, v89
	s_wait_loadcnt 0x4
	v_dual_fmac_f32 v21, v139, v82 :: v_dual_mov_b32 v74, v101
	v_dual_fma_f32 v35, v138, v82, -v43 :: v_dual_add_f32 v7, v7, v19
	v_fmac_f32_e32 v27, v145, v88
	v_dual_fma_f32 v19, v140, v84, -v45 :: v_dual_add_f32 v11, v11, v33
	v_dual_mul_f32 v165, v148, v93 :: v_dual_mul_f32 v167, v110, v95
	s_delay_alu instid0(VALU_DEP_4) | instskip(NEXT) | instid1(VALU_DEP_2)
	v_dual_add_f32 v7, v7, v21 :: v_dual_fma_f32 v13, v146, v90, -v13
	v_dual_add_f32 v11, v11, v35 :: v_dual_fmac_f32 v165, v149, v92
	v_pk_mul_f32 v[72:73], v[114:115], v[98:99] op_sel:[1,1] op_sel_hi:[0,1]
	v_dual_mul_f32 v17, v111, v95 :: v_dual_fma_f32 v21, v142, v86, -v47
	v_dual_fmac_f32 v25, v143, v86 :: v_dual_fma_f32 v164, v148, v92, -v15
	s_wait_loadcnt 0x3
	v_dual_add_f32 v7, v7, v23 :: v_dual_mov_b32 v80, v105
	s_delay_alu instid0(VALU_DEP_3) | instskip(SKIP_4) | instid1(VALU_DEP_4)
	v_dual_add_f32 v11, v11, v19 :: v_dual_fma_f32 v166, v110, v94, -v17
	v_pk_fma_f32 v[84:85], v[114:115], v[98:99], v[72:73] op_sel_hi:[1,0,1]
	v_pk_mul_f32 v[74:75], v[158:159], v[74:75] op_sel_hi:[1,0]
	v_pk_fma_f32 v[72:73], v[114:115], v[98:99], v[72:73] neg_lo:[0,0,1] neg_hi:[0,0,1]
	v_dual_fma_f32 v19, v144, v88, -v31 :: v_dual_add_f32 v7, v7, v25
	v_mov_b32_e32 v73, v85
	s_delay_alu instid0(VALU_DEP_4) | instskip(SKIP_3) | instid1(VALU_DEP_4)
	v_pk_fma_f32 v[84:85], v[116:117], v[100:101], v[74:75] op_sel_hi:[1,0,1]
	v_add_f32_e32 v11, v11, v21
	v_pk_fma_f32 v[74:75], v[116:117], v[100:101], v[74:75] neg_lo:[0,0,1] neg_hi:[0,0,1]
	v_fmac_f32_e32 v29, v147, v90
	v_dual_add_f32 v7, v7, v27 :: v_dual_mov_b32 v75, v85
	s_delay_alu instid0(VALU_DEP_4) | instskip(SKIP_2) | instid1(VALU_DEP_4)
	v_add_f32_e32 v11, v11, v19
	v_pk_mul_f32 v[70:71], v[156:157], v[70:71] op_sel_hi:[1,0]
	v_fmac_f32_e32 v167, v111, v94
	v_add_f32_e32 v79, v7, v29
	v_pk_mul_f32 v[76:77], v[118:119], v[102:103] op_sel:[1,1] op_sel_hi:[0,1]
	v_add_f32_e32 v78, v11, v13
	v_pk_fma_f32 v[82:83], v[112:113], v[96:97], v[70:71] op_sel_hi:[1,0,1]
	v_pk_fma_f32 v[70:71], v[112:113], v[96:97], v[70:71] neg_lo:[0,0,1] neg_hi:[0,0,1]
	v_pk_mul_f32 v[80:81], v[160:161], v[80:81] op_sel_hi:[1,0]
	s_delay_alu instid0(VALU_DEP_4) | instskip(NEXT) | instid1(VALU_DEP_4)
	v_pk_add_f32 v[78:79], v[78:79], v[164:165]
	v_mov_b32_e32 v71, v83
	s_wait_loadcnt 0x2
	v_pk_mul_f32 v[82:83], v[122:123], v[106:107] op_sel:[1,1] op_sel_hi:[0,1]
	s_delay_alu instid0(VALU_DEP_3) | instskip(NEXT) | instid1(VALU_DEP_1)
	v_pk_add_f32 v[78:79], v[78:79], v[166:167]
	v_pk_add_f32 v[70:71], v[78:79], v[70:71]
	v_pk_fma_f32 v[78:79], v[118:119], v[102:103], v[76:77] op_sel_hi:[1,0,1]
	v_pk_fma_f32 v[76:77], v[118:119], v[102:103], v[76:77] neg_lo:[0,0,1] neg_hi:[0,0,1]
	s_delay_alu instid0(VALU_DEP_3) | instskip(NEXT) | instid1(VALU_DEP_3)
	v_pk_add_f32 v[70:71], v[70:71], v[72:73]
	v_dual_mov_b32 v72, v109 :: v_dual_mov_b32 v77, v79
	v_pk_fma_f32 v[78:79], v[120:121], v[104:105], v[80:81] op_sel_hi:[1,0,1]
	v_pk_fma_f32 v[80:81], v[120:121], v[104:105], v[80:81] neg_lo:[0,0,1] neg_hi:[0,0,1]
	s_delay_alu instid0(VALU_DEP_4)
	v_pk_add_f32 v[70:71], v[70:71], v[74:75]
	v_pk_fma_f32 v[74:75], v[122:123], v[106:107], v[82:83] op_sel_hi:[1,0,1]
	v_pk_mul_f32 v[72:73], v[162:163], v[72:73] op_sel_hi:[1,0]
	v_mov_b32_e32 v81, v79
	s_wait_loadcnt_dscnt 0x100
	v_pk_mul_f32 v[78:79], v[154:155], v[150:151] op_sel:[1,1] op_sel_hi:[0,1]
	v_pk_add_f32 v[70:71], v[70:71], v[76:77]
	v_pk_fma_f32 v[76:77], v[122:123], v[106:107], v[82:83] neg_lo:[0,0,1] neg_hi:[0,0,1]
	v_mov_b32_e32 v77, v75
	v_pk_fma_f32 v[74:75], v[124:125], v[108:109], v[72:73] op_sel_hi:[1,0,1]
	v_pk_fma_f32 v[72:73], v[124:125], v[108:109], v[72:73] neg_lo:[0,0,1] neg_hi:[0,0,1]
	v_pk_add_f32 v[70:71], v[70:71], v[80:81]
	s_delay_alu instid0(VALU_DEP_3) | instskip(SKIP_1) | instid1(VALU_DEP_3)
	v_mov_b32_e32 v73, v75
	v_pk_fma_f32 v[74:75], v[154:155], v[150:151], v[78:79] op_sel_hi:[1,0,1]
	v_pk_add_f32 v[70:71], v[70:71], v[76:77]
	v_pk_fma_f32 v[76:77], v[154:155], v[150:151], v[78:79] neg_lo:[0,0,1] neg_hi:[0,0,1]
	s_delay_alu instid0(VALU_DEP_3) | instskip(NEXT) | instid1(VALU_DEP_3)
	v_mov_b32_e32 v77, v75
	v_pk_add_f32 v[70:71], v[70:71], v[72:73]
	s_delay_alu instid0(VALU_DEP_1) | instskip(SKIP_1) | instid1(VALU_DEP_1)
	v_pk_add_f32 v[70:71], v[70:71], v[76:77]
	s_wait_loadcnt 0x0
	v_pk_add_f32 v[70:71], v[152:153], v[70:71] neg_lo:[0,1] neg_hi:[0,1]
	scratch_store_b64 off, v[70:71], off offset:96
	s_wait_xcnt 0x0
	v_cmpx_lt_u32_e32 11, v0
	s_cbranch_execz .LBB33_195
; %bb.194:
	scratch_load_b64 v[70:71], off, off offset:88
	v_mov_b64_e32 v[72:73], 0
	scratch_store_b64 off, v[72:73], off offset:88
	s_wait_loadcnt 0x0
	ds_store_b64 v1, v[70:71]
.LBB33_195:
	s_wait_xcnt 0x0
	s_or_b32 exec_lo, exec_lo, s0
	s_wait_storecnt_dscnt 0x0
	s_barrier_signal -1
	s_barrier_wait -1
	s_clause 0xb
	scratch_load_b128 v[70:73], off, off offset:96
	scratch_load_b128 v[74:77], off, off offset:112
	;; [unrolled: 1-line block ×11, first 2 shown]
	scratch_load_b64 v[158:159], off, off offset:88
	ds_load_b128 v[114:117], v5 offset:480
	ds_load_b128 v[118:121], v5 offset:496
	;; [unrolled: 1-line block ×11, first 2 shown]
	s_mov_b32 s0, exec_lo
	s_wait_dscnt 0xa
	v_dual_mov_b32 v160, v117 :: v_dual_mov_b32 v161, v116
	s_wait_dscnt 0x9
	v_dual_mov_b32 v162, v121 :: v_dual_mov_b32 v163, v120
	;; [unrolled: 2-line block ×4, first 2 shown]
	s_wait_loadcnt_dscnt 0xb06
	v_dual_mul_f32 v5, v130, v71 :: v_dual_mul_f32 v7, v132, v73
	v_dual_mul_f32 v31, v131, v71 :: v_dual_mul_f32 v33, v133, v73
	s_wait_loadcnt_dscnt 0xa05
	v_dual_mul_f32 v11, v134, v75 :: v_dual_mul_f32 v13, v136, v77
	s_delay_alu instid0(VALU_DEP_2) | instskip(SKIP_3) | instid1(VALU_DEP_3)
	v_dual_fmac_f32 v5, v131, v70 :: v_dual_fma_f32 v31, v130, v70, -v31
	v_dual_mul_f32 v35, v135, v75 :: v_dual_mul_f32 v37, v137, v77
	s_wait_loadcnt_dscnt 0x803
	v_dual_mul_f32 v43, v143, v83 :: v_dual_fmac_f32 v7, v133, v72
	v_dual_fma_f32 v33, v132, v72, -v33 :: v_dual_add_f32 v5, 0, v5
	v_dual_add_f32 v31, 0, v31 :: v_dual_mul_f32 v45, v145, v85
	v_fmac_f32_e32 v11, v135, v74
	s_delay_alu instid0(VALU_DEP_3) | instskip(NEXT) | instid1(VALU_DEP_3)
	v_dual_fma_f32 v35, v134, v74, -v35 :: v_dual_add_f32 v5, v5, v7
	v_dual_add_f32 v7, v31, v33 :: v_dual_mul_f32 v15, v138, v79
	v_dual_mul_f32 v17, v140, v81 :: v_dual_mul_f32 v39, v139, v79
	s_wait_loadcnt_dscnt 0x702
	v_dual_mul_f32 v41, v141, v81 :: v_dual_mul_f32 v31, v147, v87
	v_fmac_f32_e32 v13, v137, v76
	v_dual_fma_f32 v33, v136, v76, -v37 :: v_dual_add_f32 v5, v5, v11
	v_dual_add_f32 v7, v7, v35 :: v_dual_mul_f32 v11, v149, v89
	v_fmac_f32_e32 v15, v139, v78
	s_delay_alu instid0(VALU_DEP_3) | instskip(NEXT) | instid1(VALU_DEP_3)
	v_dual_fma_f32 v35, v138, v78, -v39 :: v_dual_add_f32 v5, v5, v13
	v_dual_add_f32 v7, v7, v33 :: v_dual_mul_f32 v19, v142, v83
	s_wait_loadcnt_dscnt 0x601
	v_dual_mul_f32 v21, v144, v85 :: v_dual_mul_f32 v13, v151, v91
	v_fmac_f32_e32 v17, v141, v80
	v_dual_fma_f32 v33, v140, v80, -v41 :: v_dual_add_f32 v5, v5, v15
	v_dual_add_f32 v7, v7, v35 :: v_dual_mul_f32 v15, v153, v93
	v_fmac_f32_e32 v19, v143, v82
	s_delay_alu instid0(VALU_DEP_3) | instskip(NEXT) | instid1(VALU_DEP_3)
	v_dual_fma_f32 v35, v142, v82, -v43 :: v_dual_add_f32 v5, v5, v17
	v_dual_add_f32 v7, v7, v33 :: v_dual_mul_f32 v23, v146, v87
	;; [unrolled: 9-line block ×3, first 2 shown]
	v_dual_mul_f32 v29, v152, v93 :: v_dual_fmac_f32 v25, v149, v88
	s_delay_alu instid0(VALU_DEP_3) | instskip(NEXT) | instid1(VALU_DEP_3)
	v_dual_fma_f32 v11, v148, v88, -v11 :: v_dual_add_f32 v5, v5, v23
	v_fmac_f32_e32 v27, v151, v90
	s_wait_loadcnt 0x4
	v_dual_add_f32 v7, v7, v31 :: v_dual_mov_b32 v72, v101
	s_delay_alu instid0(VALU_DEP_3) | instskip(SKIP_1) | instid1(VALU_DEP_3)
	v_dual_fma_f32 v13, v150, v90, -v13 :: v_dual_add_f32 v5, v5, v25
	v_dual_mul_f32 v169, v154, v95 :: v_dual_mul_f32 v171, v156, v97
	v_dual_add_f32 v7, v7, v11 :: v_dual_fmac_f32 v29, v153, v92
	s_delay_alu instid0(VALU_DEP_3) | instskip(SKIP_2) | instid1(VALU_DEP_3)
	v_dual_fma_f32 v11, v152, v92, -v15 :: v_dual_add_f32 v5, v5, v27
	v_pk_mul_f32 v[70:71], v[114:115], v[98:99] op_sel:[1,1] op_sel_hi:[0,1]
	s_wait_loadcnt 0x3
	v_dual_add_f32 v7, v7, v13 :: v_dual_mov_b32 v76, v105
	s_delay_alu instid0(VALU_DEP_3) | instskip(NEXT) | instid1(VALU_DEP_2)
	v_dual_fmac_f32 v169, v155, v94 :: v_dual_add_f32 v79, v5, v29
	v_dual_fma_f32 v168, v154, v94, -v17 :: v_dual_add_f32 v78, v7, v11
	v_fmac_f32_e32 v171, v157, v96
	v_pk_fma_f32 v[80:81], v[114:115], v[98:99], v[70:71] op_sel_hi:[1,0,1]
	v_fma_f32 v170, v156, v96, -v19
	v_pk_mul_f32 v[72:73], v[160:161], v[72:73] op_sel_hi:[1,0]
	v_pk_add_f32 v[78:79], v[78:79], v[168:169]
	v_pk_fma_f32 v[70:71], v[114:115], v[98:99], v[70:71] neg_lo:[0,0,1] neg_hi:[0,0,1]
	v_pk_mul_f32 v[74:75], v[118:119], v[102:103] op_sel:[1,1] op_sel_hi:[0,1]
	v_mov_b32_e32 v71, v81
	v_pk_fma_f32 v[80:81], v[116:117], v[100:101], v[72:73] op_sel_hi:[1,0,1]
	v_pk_add_f32 v[78:79], v[78:79], v[170:171]
	v_pk_fma_f32 v[72:73], v[116:117], v[100:101], v[72:73] neg_lo:[0,0,1] neg_hi:[0,0,1]
	v_pk_fma_f32 v[84:85], v[118:119], v[102:103], v[74:75] op_sel_hi:[1,0,1]
	v_pk_mul_f32 v[76:77], v[162:163], v[76:77] op_sel_hi:[1,0]
	v_mov_b32_e32 v73, v81
	v_pk_add_f32 v[70:71], v[78:79], v[70:71]
	s_wait_loadcnt 0x2
	v_pk_mul_f32 v[82:83], v[122:123], v[106:107] op_sel:[1,1] op_sel_hi:[0,1]
	v_mov_b32_e32 v78, v109
	v_pk_fma_f32 v[74:75], v[118:119], v[102:103], v[74:75] neg_lo:[0,0,1] neg_hi:[0,0,1]
	v_pk_fma_f32 v[80:81], v[120:121], v[104:105], v[76:77] op_sel_hi:[1,0,1]
	v_mov_b32_e32 v75, v85
	v_pk_add_f32 v[70:71], v[70:71], v[72:73]
	v_pk_fma_f32 v[72:73], v[122:123], v[106:107], v[82:83] op_sel_hi:[1,0,1]
	v_pk_mul_f32 v[78:79], v[164:165], v[78:79] op_sel_hi:[1,0]
	v_pk_fma_f32 v[76:77], v[120:121], v[104:105], v[76:77] neg_lo:[0,0,1] neg_hi:[0,0,1]
	v_mov_b32_e32 v77, v81
	v_pk_add_f32 v[70:71], v[70:71], v[74:75]
	v_pk_fma_f32 v[80:81], v[122:123], v[106:107], v[82:83] neg_lo:[0,0,1] neg_hi:[0,0,1]
	v_mov_b32_e32 v81, v73
	v_pk_fma_f32 v[72:73], v[124:125], v[108:109], v[78:79] op_sel_hi:[1,0,1]
	s_wait_loadcnt 0x1
	v_pk_mul_f32 v[74:75], v[126:127], v[110:111] op_sel:[1,1] op_sel_hi:[0,1]
	v_pk_add_f32 v[70:71], v[70:71], v[76:77]
	v_mov_b32_e32 v72, v113
	v_pk_fma_f32 v[78:79], v[124:125], v[108:109], v[78:79] neg_lo:[0,0,1] neg_hi:[0,0,1]
	s_delay_alu instid0(VALU_DEP_4)
	v_pk_fma_f32 v[76:77], v[126:127], v[110:111], v[74:75] op_sel_hi:[1,0,1]
	v_mov_b32_e32 v79, v73
	v_pk_add_f32 v[70:71], v[70:71], v[80:81]
	v_pk_mul_f32 v[72:73], v[166:167], v[72:73] op_sel_hi:[1,0]
	v_pk_fma_f32 v[74:75], v[126:127], v[110:111], v[74:75] neg_lo:[0,0,1] neg_hi:[0,0,1]
	v_mov_b32_e32 v75, v77
	s_delay_alu instid0(VALU_DEP_4) | instskip(NEXT) | instid1(VALU_DEP_4)
	v_pk_add_f32 v[70:71], v[70:71], v[78:79]
	v_pk_fma_f32 v[76:77], v[128:129], v[112:113], v[72:73] op_sel_hi:[1,0,1]
	v_pk_fma_f32 v[72:73], v[128:129], v[112:113], v[72:73] neg_lo:[0,0,1] neg_hi:[0,0,1]
	s_delay_alu instid0(VALU_DEP_3) | instskip(NEXT) | instid1(VALU_DEP_3)
	v_pk_add_f32 v[70:71], v[70:71], v[74:75]
	v_mov_b32_e32 v73, v77
	s_delay_alu instid0(VALU_DEP_1) | instskip(SKIP_1) | instid1(VALU_DEP_1)
	v_pk_add_f32 v[70:71], v[70:71], v[72:73]
	s_wait_loadcnt 0x0
	v_pk_add_f32 v[70:71], v[158:159], v[70:71] neg_lo:[0,1] neg_hi:[0,1]
	scratch_store_b64 off, v[70:71], off offset:88
	s_wait_xcnt 0x0
	v_cmpx_lt_u32_e32 10, v0
	s_cbranch_execz .LBB33_197
; %bb.196:
	scratch_load_b64 v[70:71], off, off offset:80
	v_mov_b64_e32 v[72:73], 0
	scratch_store_b64 off, v[72:73], off offset:80
	s_wait_loadcnt 0x0
	ds_store_b64 v1, v[70:71]
.LBB33_197:
	s_wait_xcnt 0x0
	s_or_b32 exec_lo, exec_lo, s0
	s_wait_storecnt_dscnt 0x0
	s_barrier_signal -1
	s_barrier_wait -1
	s_clause 0xc
	scratch_load_b128 v[70:73], off, off offset:88
	scratch_load_b128 v[74:77], off, off offset:104
	;; [unrolled: 1-line block ×11, first 2 shown]
	scratch_load_b64 v[158:159], off, off offset:264
	scratch_load_b64 v[160:161], off, off offset:80
	v_mov_b32_e32 v5, 0
	ds_load_2addr_b64 v[114:117], v5 offset0:59 offset1:60
	ds_load_2addr_b64 v[118:121], v5 offset0:61 offset1:62
	;; [unrolled: 1-line block ×11, first 2 shown]
	ds_load_b64 v[162:163], v5 offset:536
	s_mov_b32 s0, exec_lo
	s_wait_dscnt 0xa
	v_dual_mov_b32 v165, v116 :: v_dual_mov_b32 v166, v121
	s_wait_dscnt 0x9
	v_dual_mov_b32 v167, v120 :: v_dual_mov_b32 v168, v125
	;; [unrolled: 2-line block ×3, first 2 shown]
	v_dual_mov_b32 v169, v124 :: v_dual_mov_b32 v170, v129
	s_wait_loadcnt_dscnt 0xc07
	v_dual_mul_f32 v7, v130, v71 :: v_dual_mul_f32 v11, v132, v73
	s_wait_loadcnt_dscnt 0xb06
	v_mul_f32_e32 v13, v134, v75
	v_dual_mul_f32 v35, v131, v71 :: v_dual_mul_f32 v37, v133, v73
	s_wait_loadcnt_dscnt 0x904
	v_dual_fmac_f32 v7, v131, v70 :: v_dual_mul_f32 v49, v145, v85
	s_delay_alu instid0(VALU_DEP_2) | instskip(NEXT) | instid1(VALU_DEP_3)
	v_dual_mul_f32 v47, v143, v83 :: v_dual_fma_f32 v35, v130, v70, -v35
	v_dual_fmac_f32 v11, v133, v72 :: v_dual_fma_f32 v37, v132, v72, -v37
	s_delay_alu instid0(VALU_DEP_3) | instskip(SKIP_3) | instid1(VALU_DEP_3)
	v_dual_add_f32 v7, 0, v7 :: v_dual_fmac_f32 v13, v135, v74
	v_dual_mul_f32 v15, v136, v77 :: v_dual_mul_f32 v17, v138, v79
	v_dual_mul_f32 v39, v135, v75 :: v_dual_mul_f32 v41, v137, v77
	v_add_f32_e32 v35, 0, v35
	v_dual_add_f32 v7, v7, v11 :: v_dual_fmac_f32 v15, v137, v76
	v_dual_mul_f32 v43, v139, v79 :: v_dual_mul_f32 v45, v141, v81
	s_delay_alu instid0(VALU_DEP_3) | instskip(NEXT) | instid1(VALU_DEP_3)
	v_dual_fma_f32 v39, v134, v74, -v39 :: v_dual_add_f32 v11, v35, v37
	v_dual_fma_f32 v37, v136, v76, -v41 :: v_dual_add_f32 v7, v7, v13
	v_dual_mul_f32 v19, v140, v81 :: v_dual_mul_f32 v21, v142, v83
	s_delay_alu instid0(VALU_DEP_3) | instskip(SKIP_1) | instid1(VALU_DEP_4)
	v_add_f32_e32 v11, v11, v39
	v_dual_fmac_f32 v17, v139, v78 :: v_dual_fma_f32 v39, v138, v78, -v43
	v_dual_add_f32 v7, v7, v15 :: v_dual_mul_f32 v23, v144, v85
	s_wait_loadcnt_dscnt 0x803
	v_mul_f32_e32 v25, v146, v87
	s_wait_loadcnt_dscnt 0x701
	v_dual_mul_f32 v13, v155, v91 :: v_dual_fmac_f32 v19, v141, v80
	v_mul_f32_e32 v15, v157, v93
	v_dual_add_f32 v11, v11, v37 :: v_dual_fma_f32 v37, v140, v80, -v45
	v_dual_add_f32 v7, v7, v17 :: v_dual_fmac_f32 v23, v145, v84
	v_dual_mul_f32 v27, v148, v89 :: v_dual_mul_f32 v29, v154, v91
	s_delay_alu instid0(VALU_DEP_3) | instskip(SKIP_2) | instid1(VALU_DEP_3)
	v_add_f32_e32 v11, v11, v39
	s_wait_loadcnt 0x5
	v_dual_fmac_f32 v21, v143, v82 :: v_dual_mov_b32 v70, v101
	v_dual_add_f32 v7, v7, v19 :: v_dual_fmac_f32 v27, v149, v88
	v_dual_mul_f32 v51, v147, v87 :: v_dual_mul_f32 v35, v149, v89
	v_dual_fma_f32 v39, v142, v82, -v47 :: v_dual_add_f32 v11, v11, v37
	s_delay_alu instid0(VALU_DEP_3) | instskip(SKIP_2) | instid1(VALU_DEP_3)
	v_dual_add_f32 v7, v7, v21 :: v_dual_fma_f32 v13, v154, v90, -v13
	v_dual_mul_f32 v17, v151, v95 :: v_dual_fma_f32 v37, v144, v84, -v49
	v_dual_mul_f32 v173, v152, v97 :: v_dual_mul_f32 v175, v114, v99
	v_dual_add_f32 v7, v7, v23 :: v_dual_fma_f32 v23, v148, v88, -v35
	s_wait_loadcnt 0x4
	v_dual_add_f32 v11, v11, v39 :: v_dual_mov_b32 v74, v105
	v_fma_f32 v39, v146, v86, -v51
	v_pk_mul_f32 v[72:73], v[118:119], v[102:103] op_sel:[1,1] op_sel_hi:[0,1]
	s_delay_alu instid0(VALU_DEP_3) | instskip(NEXT) | instid1(VALU_DEP_4)
	v_dual_fmac_f32 v173, v153, v96 :: v_dual_add_f32 v11, v11, v37
	v_pk_mul_f32 v[74:75], v[166:167], v[74:75] op_sel_hi:[1,0]
	v_dual_fmac_f32 v25, v147, v86 :: v_dual_fma_f32 v15, v156, v92, -v15
	s_delay_alu instid0(VALU_DEP_4) | instskip(SKIP_3) | instid1(VALU_DEP_3)
	v_pk_fma_f32 v[84:85], v[118:119], v[102:103], v[72:73] op_sel_hi:[1,0,1]
	s_wait_loadcnt 0x3
	v_dual_add_f32 v11, v11, v39 :: v_dual_mov_b32 v80, v109
	v_pk_fma_f32 v[72:73], v[118:119], v[102:103], v[72:73] neg_lo:[0,0,1] neg_hi:[0,0,1]
	v_dual_fmac_f32 v29, v155, v90 :: v_dual_mov_b32 v73, v85
	v_pk_fma_f32 v[84:85], v[120:121], v[104:105], v[74:75] op_sel_hi:[1,0,1]
	s_delay_alu instid0(VALU_DEP_4) | instskip(SKIP_3) | instid1(VALU_DEP_4)
	v_add_f32_e32 v11, v11, v23
	v_pk_fma_f32 v[74:75], v[120:121], v[104:105], v[74:75] neg_lo:[0,0,1] neg_hi:[0,0,1]
	v_dual_mul_f32 v31, v156, v93 :: v_dual_mul_f32 v33, v150, v95
	v_mul_f32_e32 v19, v153, v97
	v_dual_mov_b32 v75, v85 :: v_dual_add_f32 v11, v11, v13
	v_dual_fma_f32 v13, v150, v94, -v17 :: v_dual_add_f32 v7, v7, v25
	s_delay_alu instid0(VALU_DEP_3) | instskip(SKIP_1) | instid1(VALU_DEP_3)
	v_dual_fma_f32 v172, v152, v96, -v19 :: v_dual_mul_f32 v21, v115, v99
	v_dual_fmac_f32 v31, v157, v92 :: v_dual_fmac_f32 v33, v151, v94
	v_add_f32_e32 v7, v7, v27
	s_delay_alu instid0(VALU_DEP_3) | instskip(SKIP_2) | instid1(VALU_DEP_4)
	v_dual_add_f32 v11, v11, v15 :: v_dual_fma_f32 v174, v114, v98, -v21
	v_pk_mul_f32 v[70:71], v[164:165], v[70:71] op_sel_hi:[1,0]
	v_fmac_f32_e32 v175, v115, v98
	v_add_f32_e32 v7, v7, v29
	s_delay_alu instid0(VALU_DEP_4)
	v_add_f32_e32 v78, v11, v13
	v_pk_mul_f32 v[76:77], v[122:123], v[106:107] op_sel:[1,1] op_sel_hi:[0,1]
	v_pk_fma_f32 v[82:83], v[116:117], v[100:101], v[70:71] op_sel_hi:[1,0,1]
	v_pk_fma_f32 v[70:71], v[116:117], v[100:101], v[70:71] neg_lo:[0,0,1] neg_hi:[0,0,1]
	v_add_f32_e32 v7, v7, v31
	v_pk_mul_f32 v[80:81], v[168:169], v[80:81] op_sel_hi:[1,0]
	s_delay_alu instid0(VALU_DEP_4) | instskip(SKIP_3) | instid1(VALU_DEP_1)
	v_mov_b32_e32 v71, v83
	s_wait_loadcnt 0x2
	v_pk_mul_f32 v[82:83], v[126:127], v[110:111] op_sel:[1,1] op_sel_hi:[0,1]
	v_add_f32_e32 v79, v7, v33
	v_pk_add_f32 v[78:79], v[78:79], v[172:173]
	s_delay_alu instid0(VALU_DEP_1) | instskip(NEXT) | instid1(VALU_DEP_1)
	v_pk_add_f32 v[78:79], v[78:79], v[174:175]
	v_pk_add_f32 v[70:71], v[78:79], v[70:71]
	v_pk_fma_f32 v[78:79], v[122:123], v[106:107], v[76:77] op_sel_hi:[1,0,1]
	v_pk_fma_f32 v[76:77], v[122:123], v[106:107], v[76:77] neg_lo:[0,0,1] neg_hi:[0,0,1]
	s_delay_alu instid0(VALU_DEP_3) | instskip(NEXT) | instid1(VALU_DEP_3)
	v_pk_add_f32 v[70:71], v[70:71], v[72:73]
	v_dual_mov_b32 v72, v113 :: v_dual_mov_b32 v77, v79
	v_pk_fma_f32 v[78:79], v[124:125], v[108:109], v[80:81] op_sel_hi:[1,0,1]
	v_pk_fma_f32 v[80:81], v[124:125], v[108:109], v[80:81] neg_lo:[0,0,1] neg_hi:[0,0,1]
	s_delay_alu instid0(VALU_DEP_4)
	v_pk_add_f32 v[70:71], v[70:71], v[74:75]
	v_pk_fma_f32 v[74:75], v[126:127], v[110:111], v[82:83] op_sel_hi:[1,0,1]
	v_pk_mul_f32 v[72:73], v[170:171], v[72:73] op_sel_hi:[1,0]
	v_mov_b32_e32 v81, v79
	s_wait_loadcnt_dscnt 0x100
	v_pk_mul_f32 v[78:79], v[162:163], v[158:159] op_sel:[1,1] op_sel_hi:[0,1]
	v_pk_add_f32 v[70:71], v[70:71], v[76:77]
	v_pk_fma_f32 v[76:77], v[126:127], v[110:111], v[82:83] neg_lo:[0,0,1] neg_hi:[0,0,1]
	v_mov_b32_e32 v77, v75
	v_pk_fma_f32 v[74:75], v[128:129], v[112:113], v[72:73] op_sel_hi:[1,0,1]
	v_pk_fma_f32 v[72:73], v[128:129], v[112:113], v[72:73] neg_lo:[0,0,1] neg_hi:[0,0,1]
	v_pk_add_f32 v[70:71], v[70:71], v[80:81]
	s_delay_alu instid0(VALU_DEP_3) | instskip(SKIP_1) | instid1(VALU_DEP_3)
	v_mov_b32_e32 v73, v75
	v_pk_fma_f32 v[74:75], v[162:163], v[158:159], v[78:79] op_sel_hi:[1,0,1]
	v_pk_add_f32 v[70:71], v[70:71], v[76:77]
	v_pk_fma_f32 v[76:77], v[162:163], v[158:159], v[78:79] neg_lo:[0,0,1] neg_hi:[0,0,1]
	s_delay_alu instid0(VALU_DEP_3) | instskip(NEXT) | instid1(VALU_DEP_3)
	v_mov_b32_e32 v77, v75
	v_pk_add_f32 v[70:71], v[70:71], v[72:73]
	s_delay_alu instid0(VALU_DEP_1) | instskip(SKIP_1) | instid1(VALU_DEP_1)
	v_pk_add_f32 v[70:71], v[70:71], v[76:77]
	s_wait_loadcnt 0x0
	v_pk_add_f32 v[70:71], v[160:161], v[70:71] neg_lo:[0,1] neg_hi:[0,1]
	scratch_store_b64 off, v[70:71], off offset:80
	s_wait_xcnt 0x0
	v_cmpx_lt_u32_e32 9, v0
	s_cbranch_execz .LBB33_199
; %bb.198:
	scratch_load_b64 v[70:71], off, off offset:72
	v_mov_b64_e32 v[72:73], 0
	scratch_store_b64 off, v[72:73], off offset:72
	s_wait_loadcnt 0x0
	ds_store_b64 v1, v[70:71]
.LBB33_199:
	s_wait_xcnt 0x0
	s_or_b32 exec_lo, exec_lo, s0
	s_wait_storecnt_dscnt 0x0
	s_barrier_signal -1
	s_barrier_wait -1
	s_clause 0xc
	scratch_load_b128 v[70:73], off, off offset:80
	scratch_load_b128 v[74:77], off, off offset:96
	;; [unrolled: 1-line block ×12, first 2 shown]
	scratch_load_b64 v[166:167], off, off offset:72
	ds_load_b128 v[118:121], v5 offset:480
	ds_load_b128 v[122:125], v5 offset:496
	;; [unrolled: 1-line block ×12, first 2 shown]
	s_mov_b32 s0, exec_lo
	s_wait_dscnt 0xb
	v_dual_mov_b32 v168, v121 :: v_dual_mov_b32 v169, v120
	s_wait_dscnt 0xa
	v_dual_mov_b32 v170, v125 :: v_dual_mov_b32 v171, v124
	;; [unrolled: 2-line block ×4, first 2 shown]
	s_wait_loadcnt_dscnt 0xc07
	v_dual_mul_f32 v5, v134, v71 :: v_dual_mul_f32 v7, v136, v73
	v_dual_mul_f32 v35, v135, v71 :: v_dual_mul_f32 v37, v137, v73
	s_wait_loadcnt_dscnt 0xb06
	v_dual_mul_f32 v11, v138, v75 :: v_dual_mul_f32 v13, v140, v77
	s_delay_alu instid0(VALU_DEP_2) | instskip(SKIP_3) | instid1(VALU_DEP_3)
	v_dual_fmac_f32 v5, v135, v70 :: v_dual_fma_f32 v35, v134, v70, -v35
	v_dual_mul_f32 v39, v139, v75 :: v_dual_mul_f32 v41, v141, v77
	s_wait_loadcnt_dscnt 0x904
	v_dual_mul_f32 v47, v147, v83 :: v_dual_fmac_f32 v7, v137, v72
	v_dual_fma_f32 v37, v136, v72, -v37 :: v_dual_add_f32 v5, 0, v5
	v_dual_add_f32 v35, 0, v35 :: v_dual_mul_f32 v49, v149, v85
	v_fmac_f32_e32 v11, v139, v74
	s_delay_alu instid0(VALU_DEP_3) | instskip(NEXT) | instid1(VALU_DEP_3)
	v_dual_fma_f32 v39, v138, v74, -v39 :: v_dual_add_f32 v5, v5, v7
	v_dual_add_f32 v7, v35, v37 :: v_dual_mul_f32 v15, v142, v79
	v_dual_mul_f32 v17, v144, v81 :: v_dual_mul_f32 v43, v143, v79
	s_wait_loadcnt_dscnt 0x803
	v_dual_mul_f32 v45, v145, v81 :: v_dual_mul_f32 v35, v151, v87
	v_fmac_f32_e32 v13, v141, v76
	v_dual_fma_f32 v37, v140, v76, -v41 :: v_dual_add_f32 v5, v5, v11
	v_dual_add_f32 v7, v7, v39 :: v_dual_mul_f32 v11, v153, v89
	v_fmac_f32_e32 v15, v143, v78
	s_delay_alu instid0(VALU_DEP_3) | instskip(NEXT) | instid1(VALU_DEP_3)
	v_dual_fma_f32 v39, v142, v78, -v43 :: v_dual_add_f32 v5, v5, v13
	v_dual_add_f32 v7, v7, v37 :: v_dual_mul_f32 v19, v146, v83
	s_wait_loadcnt_dscnt 0x702
	v_dual_mul_f32 v21, v148, v85 :: v_dual_mul_f32 v13, v155, v91
	v_fmac_f32_e32 v17, v145, v80
	v_dual_fma_f32 v37, v144, v80, -v45 :: v_dual_add_f32 v5, v5, v15
	v_dual_add_f32 v7, v7, v39 :: v_dual_mul_f32 v15, v157, v93
	v_fmac_f32_e32 v19, v147, v82
	s_delay_alu instid0(VALU_DEP_3) | instskip(NEXT) | instid1(VALU_DEP_3)
	v_dual_fma_f32 v39, v146, v82, -v47 :: v_dual_add_f32 v5, v5, v17
	v_dual_add_f32 v7, v7, v37 :: v_dual_mul_f32 v23, v150, v87
	;; [unrolled: 9-line block ×3, first 2 shown]
	s_wait_loadcnt_dscnt 0x500
	v_dual_mul_f32 v29, v156, v93 :: v_dual_mul_f32 v21, v163, v99
	v_dual_fmac_f32 v25, v153, v88 :: v_dual_fma_f32 v11, v152, v88, -v11
	v_add_f32_e32 v5, v5, v23
	v_dual_add_f32 v7, v7, v35 :: v_dual_mul_f32 v23, v165, v101
	v_dual_fmac_f32 v27, v155, v90 :: v_dual_fma_f32 v13, v154, v90, -v13
	s_delay_alu instid0(VALU_DEP_2) | instskip(SKIP_2) | instid1(VALU_DEP_3)
	v_dual_add_f32 v5, v5, v25 :: v_dual_add_f32 v7, v7, v11
	v_dual_mul_f32 v31, v158, v95 :: v_dual_mul_f32 v33, v160, v97
	v_dual_fmac_f32 v29, v157, v92 :: v_dual_fma_f32 v11, v156, v92, -v15
	v_dual_add_f32 v5, v5, v27 :: v_dual_add_f32 v7, v7, v13
	s_wait_loadcnt 0x4
	s_delay_alu instid0(VALU_DEP_3) | instskip(NEXT) | instid1(VALU_DEP_2)
	v_dual_mov_b32 v72, v105 :: v_dual_fmac_f32 v31, v159, v94
	v_dual_fma_f32 v13, v158, v94, -v17 :: v_dual_add_f32 v5, v5, v29
	s_delay_alu instid0(VALU_DEP_3) | instskip(SKIP_1) | instid1(VALU_DEP_3)
	v_dual_add_f32 v7, v7, v11 :: v_dual_fmac_f32 v33, v161, v96
	v_dual_mul_f32 v177, v162, v99 :: v_dual_mul_f32 v179, v164, v101
	v_dual_fma_f32 v11, v160, v96, -v19 :: v_dual_add_f32 v5, v5, v31
	s_wait_loadcnt 0x3
	s_delay_alu instid0(VALU_DEP_3) | instskip(SKIP_1) | instid1(VALU_DEP_3)
	v_dual_add_f32 v7, v7, v13 :: v_dual_mov_b32 v76, v109
	v_pk_mul_f32 v[70:71], v[118:119], v[102:103] op_sel:[1,1] op_sel_hi:[0,1]
	v_dual_fmac_f32 v177, v163, v98 :: v_dual_add_f32 v79, v5, v33
	s_delay_alu instid0(VALU_DEP_3) | instskip(SKIP_1) | instid1(VALU_DEP_4)
	v_dual_fma_f32 v176, v162, v98, -v21 :: v_dual_add_f32 v78, v7, v11
	v_fmac_f32_e32 v179, v165, v100
	v_pk_fma_f32 v[80:81], v[118:119], v[102:103], v[70:71] op_sel_hi:[1,0,1]
	v_fma_f32 v178, v164, v100, -v23
	v_pk_mul_f32 v[72:73], v[168:169], v[72:73] op_sel_hi:[1,0]
	v_pk_add_f32 v[78:79], v[78:79], v[176:177]
	v_pk_fma_f32 v[70:71], v[118:119], v[102:103], v[70:71] neg_lo:[0,0,1] neg_hi:[0,0,1]
	v_pk_mul_f32 v[74:75], v[122:123], v[106:107] op_sel:[1,1] op_sel_hi:[0,1]
	v_mov_b32_e32 v71, v81
	v_pk_fma_f32 v[80:81], v[120:121], v[104:105], v[72:73] op_sel_hi:[1,0,1]
	v_pk_add_f32 v[78:79], v[78:79], v[178:179]
	v_pk_fma_f32 v[72:73], v[120:121], v[104:105], v[72:73] neg_lo:[0,0,1] neg_hi:[0,0,1]
	v_pk_fma_f32 v[84:85], v[122:123], v[106:107], v[74:75] op_sel_hi:[1,0,1]
	v_pk_mul_f32 v[76:77], v[170:171], v[76:77] op_sel_hi:[1,0]
	v_mov_b32_e32 v73, v81
	v_pk_add_f32 v[70:71], v[78:79], v[70:71]
	s_wait_loadcnt 0x2
	v_pk_mul_f32 v[82:83], v[126:127], v[110:111] op_sel:[1,1] op_sel_hi:[0,1]
	v_mov_b32_e32 v78, v113
	v_pk_fma_f32 v[74:75], v[122:123], v[106:107], v[74:75] neg_lo:[0,0,1] neg_hi:[0,0,1]
	v_pk_fma_f32 v[80:81], v[124:125], v[108:109], v[76:77] op_sel_hi:[1,0,1]
	v_mov_b32_e32 v75, v85
	v_pk_add_f32 v[70:71], v[70:71], v[72:73]
	v_pk_fma_f32 v[72:73], v[126:127], v[110:111], v[82:83] op_sel_hi:[1,0,1]
	v_pk_mul_f32 v[78:79], v[172:173], v[78:79] op_sel_hi:[1,0]
	v_pk_fma_f32 v[76:77], v[124:125], v[108:109], v[76:77] neg_lo:[0,0,1] neg_hi:[0,0,1]
	v_mov_b32_e32 v77, v81
	v_pk_add_f32 v[70:71], v[70:71], v[74:75]
	v_pk_fma_f32 v[80:81], v[126:127], v[110:111], v[82:83] neg_lo:[0,0,1] neg_hi:[0,0,1]
	v_mov_b32_e32 v81, v73
	v_pk_fma_f32 v[72:73], v[128:129], v[112:113], v[78:79] op_sel_hi:[1,0,1]
	s_wait_loadcnt 0x1
	v_pk_mul_f32 v[74:75], v[130:131], v[114:115] op_sel:[1,1] op_sel_hi:[0,1]
	v_pk_add_f32 v[70:71], v[70:71], v[76:77]
	v_mov_b32_e32 v72, v117
	v_pk_fma_f32 v[78:79], v[128:129], v[112:113], v[78:79] neg_lo:[0,0,1] neg_hi:[0,0,1]
	s_delay_alu instid0(VALU_DEP_4)
	v_pk_fma_f32 v[76:77], v[130:131], v[114:115], v[74:75] op_sel_hi:[1,0,1]
	v_mov_b32_e32 v79, v73
	v_pk_add_f32 v[70:71], v[70:71], v[80:81]
	v_pk_mul_f32 v[72:73], v[174:175], v[72:73] op_sel_hi:[1,0]
	v_pk_fma_f32 v[74:75], v[130:131], v[114:115], v[74:75] neg_lo:[0,0,1] neg_hi:[0,0,1]
	v_mov_b32_e32 v75, v77
	s_delay_alu instid0(VALU_DEP_4) | instskip(NEXT) | instid1(VALU_DEP_4)
	v_pk_add_f32 v[70:71], v[70:71], v[78:79]
	v_pk_fma_f32 v[76:77], v[132:133], v[116:117], v[72:73] op_sel_hi:[1,0,1]
	v_pk_fma_f32 v[72:73], v[132:133], v[116:117], v[72:73] neg_lo:[0,0,1] neg_hi:[0,0,1]
	s_delay_alu instid0(VALU_DEP_3) | instskip(NEXT) | instid1(VALU_DEP_3)
	v_pk_add_f32 v[70:71], v[70:71], v[74:75]
	v_mov_b32_e32 v73, v77
	s_delay_alu instid0(VALU_DEP_1) | instskip(SKIP_1) | instid1(VALU_DEP_1)
	v_pk_add_f32 v[70:71], v[70:71], v[72:73]
	s_wait_loadcnt 0x0
	v_pk_add_f32 v[70:71], v[166:167], v[70:71] neg_lo:[0,1] neg_hi:[0,1]
	scratch_store_b64 off, v[70:71], off offset:72
	s_wait_xcnt 0x0
	v_cmpx_lt_u32_e32 8, v0
	s_cbranch_execz .LBB33_201
; %bb.200:
	scratch_load_b64 v[70:71], off, off offset:64
	v_mov_b64_e32 v[72:73], 0
	scratch_store_b64 off, v[72:73], off offset:64
	s_wait_loadcnt 0x0
	ds_store_b64 v1, v[70:71]
.LBB33_201:
	s_wait_xcnt 0x0
	s_or_b32 exec_lo, exec_lo, s0
	s_wait_storecnt_dscnt 0x0
	s_barrier_signal -1
	s_barrier_wait -1
	s_clause 0xd
	scratch_load_b128 v[70:73], off, off offset:72
	scratch_load_b128 v[74:77], off, off offset:88
	;; [unrolled: 1-line block ×12, first 2 shown]
	scratch_load_b64 v[166:167], off, off offset:264
	scratch_load_b64 v[168:169], off, off offset:64
	v_mov_b32_e32 v5, 0
	ds_load_2addr_b64 v[118:121], v5 offset0:59 offset1:60
	ds_load_2addr_b64 v[122:125], v5 offset0:61 offset1:62
	;; [unrolled: 1-line block ×12, first 2 shown]
	ds_load_b64 v[170:171], v5 offset:536
	s_mov_b32 s0, exec_lo
	s_wait_dscnt 0xb
	v_dual_mov_b32 v173, v120 :: v_dual_mov_b32 v174, v125
	s_wait_dscnt 0xa
	v_dual_mov_b32 v175, v124 :: v_dual_mov_b32 v176, v129
	;; [unrolled: 2-line block ×3, first 2 shown]
	v_dual_mov_b32 v177, v128 :: v_dual_mov_b32 v178, v133
	s_wait_loadcnt_dscnt 0xd08
	v_dual_mul_f32 v7, v134, v71 :: v_dual_mul_f32 v39, v135, v71
	v_dual_mul_f32 v41, v137, v73 :: v_dual_mul_f32 v11, v136, v73
	s_wait_loadcnt_dscnt 0xc07
	v_mul_f32_e32 v13, v138, v75
	s_wait_loadcnt_dscnt 0xa05
	v_dual_mul_f32 v51, v147, v83 :: v_dual_fma_f32 v39, v134, v70, -v39
	v_dual_fmac_f32 v7, v135, v70 :: v_dual_mul_f32 v53, v149, v85
	v_dual_mul_f32 v43, v139, v75 :: v_dual_mul_f32 v45, v141, v77
	v_dual_fmac_f32 v11, v137, v72 :: v_dual_fma_f32 v41, v136, v72, -v41
	s_delay_alu instid0(VALU_DEP_3) | instskip(NEXT) | instid1(VALU_DEP_3)
	v_dual_add_f32 v7, 0, v7 :: v_dual_fmac_f32 v13, v139, v74
	v_dual_add_f32 v39, 0, v39 :: v_dual_fma_f32 v43, v138, v74, -v43
	v_dual_mul_f32 v15, v140, v77 :: v_dual_mul_f32 v17, v142, v79
	s_delay_alu instid0(VALU_DEP_3) | instskip(NEXT) | instid1(VALU_DEP_3)
	v_add_f32_e32 v7, v7, v11
	v_dual_add_f32 v11, v39, v41 :: v_dual_fma_f32 v41, v140, v76, -v45
	v_dual_mul_f32 v47, v143, v79 :: v_dual_mul_f32 v49, v145, v81
	s_delay_alu instid0(VALU_DEP_3) | instskip(NEXT) | instid1(VALU_DEP_2)
	v_dual_fmac_f32 v15, v141, v76 :: v_dual_add_f32 v7, v7, v13
	v_dual_add_f32 v11, v11, v43 :: v_dual_fma_f32 v43, v142, v78, -v47
	v_dual_mul_f32 v19, v144, v81 :: v_dual_mul_f32 v21, v146, v83
	s_wait_loadcnt_dscnt 0x803
	s_delay_alu instid0(VALU_DEP_3) | instskip(NEXT) | instid1(VALU_DEP_3)
	v_dual_add_f32 v7, v7, v15 :: v_dual_mul_f32 v15, v157, v93
	v_dual_add_f32 v11, v11, v41 :: v_dual_fma_f32 v41, v144, v80, -v49
	v_dual_mul_f32 v55, v151, v87 :: v_dual_mul_f32 v39, v153, v89
	v_fmac_f32_e32 v17, v143, v78
	s_delay_alu instid0(VALU_DEP_3) | instskip(SKIP_2) | instid1(VALU_DEP_3)
	v_dual_add_f32 v11, v11, v43 :: v_dual_fma_f32 v43, v146, v82, -v51
	v_dual_mul_f32 v23, v148, v85 :: v_dual_mul_f32 v25, v150, v87
	v_dual_mul_f32 v13, v155, v91 :: v_dual_fmac_f32 v19, v145, v80
	v_dual_add_f32 v11, v11, v41 :: v_dual_fma_f32 v39, v152, v88, -v39
	s_delay_alu instid0(VALU_DEP_3) | instskip(NEXT) | instid1(VALU_DEP_2)
	v_dual_add_f32 v7, v7, v17 :: v_dual_fmac_f32 v23, v149, v84
	v_dual_fma_f32 v41, v148, v84, -v53 :: v_dual_add_f32 v11, v11, v43
	s_wait_loadcnt 0x5
	v_dual_mov_b32 v70, v105 :: v_dual_mul_f32 v27, v152, v89
	v_mul_f32_e32 v29, v154, v91
	s_wait_dscnt 0x2
	v_dual_mul_f32 v17, v159, v95 :: v_dual_fma_f32 v43, v150, v86, -v55
	v_fmac_f32_e32 v21, v147, v82
	v_dual_add_f32 v7, v7, v19 :: v_dual_fmac_f32 v27, v153, v88
	s_wait_loadcnt 0x4
	v_dual_add_f32 v11, v11, v41 :: v_dual_mov_b32 v74, v109
	v_mul_f32_e32 v19, v161, v97
	s_delay_alu instid0(VALU_DEP_3) | instskip(NEXT) | instid1(VALU_DEP_3)
	v_dual_add_f32 v7, v7, v21 :: v_dual_fma_f32 v13, v154, v90, -v13
	v_add_f32_e32 v11, v11, v43
	v_dual_fmac_f32 v25, v151, v86 :: v_dual_fma_f32 v15, v156, v92, -v15
	s_delay_alu instid0(VALU_DEP_3)
	v_add_f32_e32 v7, v7, v23
	v_pk_mul_f32 v[72:73], v[122:123], v[106:107] op_sel:[1,1] op_sel_hi:[0,1]
	s_wait_loadcnt 0x3
	v_dual_add_f32 v11, v11, v39 :: v_dual_mov_b32 v80, v113
	s_wait_dscnt 0x1
	v_dual_mul_f32 v35, v160, v97 :: v_dual_mul_f32 v37, v162, v99
	v_pk_fma_f32 v[84:85], v[122:123], v[106:107], v[72:73] op_sel_hi:[1,0,1]
	s_delay_alu instid0(VALU_DEP_3) | instskip(NEXT) | instid1(VALU_DEP_3)
	v_dual_add_f32 v11, v11, v13 :: v_dual_fma_f32 v13, v158, v94, -v17
	v_dual_add_f32 v7, v7, v25 :: v_dual_fmac_f32 v35, v161, v96
	v_pk_fma_f32 v[72:73], v[122:123], v[106:107], v[72:73] neg_lo:[0,0,1] neg_hi:[0,0,1]
	v_dual_mul_f32 v31, v156, v93 :: v_dual_mul_f32 v33, v158, v95
	v_dual_mul_f32 v181, v164, v101 :: v_dual_mul_f32 v183, v118, v103
	s_delay_alu instid0(VALU_DEP_2) | instskip(SKIP_1) | instid1(VALU_DEP_3)
	v_dual_mul_f32 v21, v163, v99 :: v_dual_fmac_f32 v31, v157, v92
	v_dual_mul_f32 v23, v165, v101 :: v_dual_fmac_f32 v29, v155, v90
	v_dual_add_f32 v7, v7, v27 :: v_dual_fmac_f32 v181, v165, v100
	v_dual_mov_b32 v73, v85 :: v_dual_add_f32 v11, v11, v15
	s_delay_alu instid0(VALU_DEP_3) | instskip(SKIP_1) | instid1(VALU_DEP_3)
	v_dual_mul_f32 v25, v119, v103 :: v_dual_fma_f32 v180, v164, v100, -v23
	v_pk_mul_f32 v[74:75], v[174:175], v[74:75] op_sel_hi:[1,0]
	v_dual_fma_f32 v15, v160, v96, -v19 :: v_dual_add_f32 v11, v11, v13
	v_dual_fma_f32 v13, v162, v98, -v21 :: v_dual_add_f32 v7, v7, v29
	s_delay_alu instid0(VALU_DEP_4) | instskip(NEXT) | instid1(VALU_DEP_4)
	v_fma_f32 v182, v118, v102, -v25
	v_pk_fma_f32 v[84:85], v[124:125], v[108:109], v[74:75] op_sel_hi:[1,0,1]
	v_fmac_f32_e32 v33, v159, v94
	v_pk_fma_f32 v[74:75], v[124:125], v[108:109], v[74:75] neg_lo:[0,0,1] neg_hi:[0,0,1]
	v_add_f32_e32 v7, v7, v31
	s_delay_alu instid0(VALU_DEP_4) | instskip(SKIP_2) | instid1(VALU_DEP_4)
	v_dual_fmac_f32 v37, v163, v98 :: v_dual_mov_b32 v75, v85
	v_add_f32_e32 v11, v11, v15
	v_pk_mul_f32 v[70:71], v[172:173], v[70:71] op_sel_hi:[1,0]
	v_add_f32_e32 v7, v7, v33
	v_fmac_f32_e32 v183, v119, v102
	v_pk_mul_f32 v[76:77], v[126:127], v[110:111] op_sel:[1,1] op_sel_hi:[0,1]
	v_add_f32_e32 v78, v11, v13
	v_pk_fma_f32 v[82:83], v[120:121], v[104:105], v[70:71] op_sel_hi:[1,0,1]
	v_add_f32_e32 v7, v7, v35
	v_pk_fma_f32 v[70:71], v[120:121], v[104:105], v[70:71] neg_lo:[0,0,1] neg_hi:[0,0,1]
	v_pk_mul_f32 v[80:81], v[176:177], v[80:81] op_sel_hi:[1,0]
	s_delay_alu instid0(VALU_DEP_4) | instskip(NEXT) | instid1(VALU_DEP_4)
	v_mov_b32_e32 v71, v83
	v_add_f32_e32 v79, v7, v37
	s_wait_loadcnt 0x2
	v_pk_mul_f32 v[82:83], v[130:131], v[114:115] op_sel:[1,1] op_sel_hi:[0,1]
	s_delay_alu instid0(VALU_DEP_2) | instskip(NEXT) | instid1(VALU_DEP_1)
	v_pk_add_f32 v[78:79], v[78:79], v[180:181]
	v_pk_add_f32 v[78:79], v[78:79], v[182:183]
	s_delay_alu instid0(VALU_DEP_1) | instskip(SKIP_2) | instid1(VALU_DEP_3)
	v_pk_add_f32 v[70:71], v[78:79], v[70:71]
	v_pk_fma_f32 v[78:79], v[126:127], v[110:111], v[76:77] op_sel_hi:[1,0,1]
	v_pk_fma_f32 v[76:77], v[126:127], v[110:111], v[76:77] neg_lo:[0,0,1] neg_hi:[0,0,1]
	v_pk_add_f32 v[70:71], v[70:71], v[72:73]
	s_delay_alu instid0(VALU_DEP_3) | instskip(SKIP_2) | instid1(VALU_DEP_4)
	v_dual_mov_b32 v72, v117 :: v_dual_mov_b32 v77, v79
	v_pk_fma_f32 v[78:79], v[128:129], v[112:113], v[80:81] op_sel_hi:[1,0,1]
	v_pk_fma_f32 v[80:81], v[128:129], v[112:113], v[80:81] neg_lo:[0,0,1] neg_hi:[0,0,1]
	v_pk_add_f32 v[70:71], v[70:71], v[74:75]
	v_pk_fma_f32 v[74:75], v[130:131], v[114:115], v[82:83] op_sel_hi:[1,0,1]
	v_pk_mul_f32 v[72:73], v[178:179], v[72:73] op_sel_hi:[1,0]
	v_mov_b32_e32 v81, v79
	s_wait_loadcnt_dscnt 0x100
	v_pk_mul_f32 v[78:79], v[170:171], v[166:167] op_sel:[1,1] op_sel_hi:[0,1]
	v_pk_add_f32 v[70:71], v[70:71], v[76:77]
	v_pk_fma_f32 v[76:77], v[130:131], v[114:115], v[82:83] neg_lo:[0,0,1] neg_hi:[0,0,1]
	v_mov_b32_e32 v77, v75
	v_pk_fma_f32 v[74:75], v[132:133], v[116:117], v[72:73] op_sel_hi:[1,0,1]
	v_pk_fma_f32 v[72:73], v[132:133], v[116:117], v[72:73] neg_lo:[0,0,1] neg_hi:[0,0,1]
	v_pk_add_f32 v[70:71], v[70:71], v[80:81]
	s_delay_alu instid0(VALU_DEP_3) | instskip(SKIP_1) | instid1(VALU_DEP_3)
	v_mov_b32_e32 v73, v75
	v_pk_fma_f32 v[74:75], v[170:171], v[166:167], v[78:79] op_sel_hi:[1,0,1]
	v_pk_add_f32 v[70:71], v[70:71], v[76:77]
	v_pk_fma_f32 v[76:77], v[170:171], v[166:167], v[78:79] neg_lo:[0,0,1] neg_hi:[0,0,1]
	s_delay_alu instid0(VALU_DEP_3) | instskip(NEXT) | instid1(VALU_DEP_3)
	v_mov_b32_e32 v77, v75
	v_pk_add_f32 v[70:71], v[70:71], v[72:73]
	s_delay_alu instid0(VALU_DEP_1) | instskip(SKIP_1) | instid1(VALU_DEP_1)
	v_pk_add_f32 v[70:71], v[70:71], v[76:77]
	s_wait_loadcnt 0x0
	v_pk_add_f32 v[70:71], v[168:169], v[70:71] neg_lo:[0,1] neg_hi:[0,1]
	scratch_store_b64 off, v[70:71], off offset:64
	s_wait_xcnt 0x0
	v_cmpx_lt_u32_e32 7, v0
	s_cbranch_execz .LBB33_203
; %bb.202:
	scratch_load_b64 v[70:71], off, off offset:56
	v_mov_b64_e32 v[72:73], 0
	scratch_store_b64 off, v[72:73], off offset:56
	s_wait_loadcnt 0x0
	ds_store_b64 v1, v[70:71]
.LBB33_203:
	s_wait_xcnt 0x0
	s_or_b32 exec_lo, exec_lo, s0
	s_wait_storecnt_dscnt 0x0
	s_barrier_signal -1
	s_barrier_wait -1
	s_clause 0xd
	scratch_load_b128 v[70:73], off, off offset:64
	scratch_load_b128 v[74:77], off, off offset:80
	;; [unrolled: 1-line block ×13, first 2 shown]
	scratch_load_b64 v[174:175], off, off offset:56
	ds_load_b128 v[122:125], v5 offset:480
	ds_load_b128 v[126:129], v5 offset:496
	;; [unrolled: 1-line block ×13, first 2 shown]
	s_mov_b32 s0, exec_lo
	s_wait_dscnt 0xc
	v_dual_mov_b32 v176, v125 :: v_dual_mov_b32 v177, v124
	s_wait_dscnt 0xb
	v_dual_mov_b32 v178, v129 :: v_dual_mov_b32 v179, v128
	;; [unrolled: 2-line block ×4, first 2 shown]
	s_wait_loadcnt_dscnt 0xd08
	v_dual_mul_f32 v5, v138, v71 :: v_dual_mul_f32 v7, v140, v73
	v_dual_mul_f32 v39, v139, v71 :: v_dual_mul_f32 v41, v141, v73
	s_wait_loadcnt_dscnt 0xc07
	v_dual_mul_f32 v11, v142, v75 :: v_dual_mul_f32 v13, v144, v77
	s_delay_alu instid0(VALU_DEP_2) | instskip(SKIP_3) | instid1(VALU_DEP_3)
	v_dual_fmac_f32 v5, v139, v70 :: v_dual_fma_f32 v39, v138, v70, -v39
	v_dual_mul_f32 v43, v143, v75 :: v_dual_mul_f32 v45, v145, v77
	s_wait_loadcnt_dscnt 0xa05
	v_dual_mul_f32 v51, v151, v83 :: v_dual_fmac_f32 v7, v141, v72
	v_dual_fma_f32 v41, v140, v72, -v41 :: v_dual_add_f32 v5, 0, v5
	v_dual_add_f32 v39, 0, v39 :: v_dual_mul_f32 v53, v153, v85
	v_fmac_f32_e32 v11, v143, v74
	s_delay_alu instid0(VALU_DEP_3) | instskip(NEXT) | instid1(VALU_DEP_3)
	v_dual_fma_f32 v43, v142, v74, -v43 :: v_dual_add_f32 v5, v5, v7
	v_dual_add_f32 v7, v39, v41 :: v_dual_mul_f32 v15, v146, v79
	v_dual_mul_f32 v17, v148, v81 :: v_dual_mul_f32 v47, v147, v79
	s_wait_loadcnt_dscnt 0x903
	v_dual_mul_f32 v49, v149, v81 :: v_dual_mul_f32 v39, v159, v87
	v_fmac_f32_e32 v13, v145, v76
	v_dual_fma_f32 v41, v144, v76, -v45 :: v_dual_add_f32 v5, v5, v11
	v_dual_add_f32 v7, v7, v43 :: v_dual_mul_f32 v11, v161, v89
	v_fmac_f32_e32 v15, v147, v78
	s_delay_alu instid0(VALU_DEP_3) | instskip(NEXT) | instid1(VALU_DEP_3)
	v_dual_fma_f32 v43, v146, v78, -v47 :: v_dual_add_f32 v5, v5, v13
	v_dual_add_f32 v7, v7, v41 :: v_dual_mul_f32 v19, v150, v83
	s_wait_loadcnt_dscnt 0x802
	v_dual_mul_f32 v21, v152, v85 :: v_dual_mul_f32 v13, v163, v91
	v_fmac_f32_e32 v17, v149, v80
	v_dual_fma_f32 v41, v148, v80, -v49 :: v_dual_add_f32 v5, v5, v15
	v_dual_add_f32 v7, v7, v43 :: v_dual_mul_f32 v15, v165, v93
	v_fmac_f32_e32 v19, v151, v82
	s_delay_alu instid0(VALU_DEP_3) | instskip(NEXT) | instid1(VALU_DEP_3)
	v_dual_fma_f32 v43, v150, v82, -v51 :: v_dual_add_f32 v5, v5, v17
	v_dual_add_f32 v7, v7, v41 :: v_dual_mul_f32 v23, v158, v87
	;; [unrolled: 9-line block ×3, first 2 shown]
	s_wait_loadcnt_dscnt 0x600
	v_dual_mul_f32 v29, v164, v93 :: v_dual_mul_f32 v21, v171, v99
	v_dual_fmac_f32 v25, v161, v88 :: v_dual_fma_f32 v11, v160, v88, -v11
	v_add_f32_e32 v5, v5, v23
	v_dual_add_f32 v7, v7, v39 :: v_dual_mul_f32 v23, v173, v101
	v_dual_fmac_f32 v27, v163, v90 :: v_dual_fma_f32 v13, v162, v90, -v13
	s_delay_alu instid0(VALU_DEP_2) | instskip(SKIP_3) | instid1(VALU_DEP_3)
	v_dual_add_f32 v5, v5, v25 :: v_dual_add_f32 v7, v7, v11
	v_dual_mul_f32 v31, v166, v95 :: v_dual_mul_f32 v33, v168, v97
	s_wait_loadcnt 0x5
	v_dual_mul_f32 v11, v155, v103 :: v_dual_fmac_f32 v29, v165, v92
	v_dual_fma_f32 v15, v164, v92, -v15 :: v_dual_add_f32 v5, v5, v27
	v_dual_add_f32 v7, v7, v13 :: v_dual_fma_f32 v17, v166, v94, -v17
	v_dual_mul_f32 v13, v157, v105 :: v_dual_fmac_f32 v31, v167, v94
	s_delay_alu instid0(VALU_DEP_2) | instskip(SKIP_2) | instid1(VALU_DEP_3)
	v_dual_add_f32 v5, v5, v29 :: v_dual_add_f32 v7, v7, v15
	v_dual_mul_f32 v35, v170, v99 :: v_dual_mul_f32 v37, v172, v101
	v_dual_fmac_f32 v33, v169, v96 :: v_dual_fma_f32 v15, v168, v96, -v19
	v_dual_add_f32 v5, v5, v31 :: v_dual_add_f32 v7, v7, v17
	s_wait_loadcnt 0x4
	s_delay_alu instid0(VALU_DEP_3) | instskip(NEXT) | instid1(VALU_DEP_2)
	v_dual_mov_b32 v72, v109 :: v_dual_fmac_f32 v35, v171, v98
	v_dual_fma_f32 v17, v170, v98, -v21 :: v_dual_add_f32 v5, v5, v33
	s_delay_alu instid0(VALU_DEP_3) | instskip(SKIP_1) | instid1(VALU_DEP_3)
	v_dual_add_f32 v7, v7, v15 :: v_dual_fmac_f32 v37, v173, v100
	v_dual_mul_f32 v185, v154, v103 :: v_dual_mul_f32 v187, v156, v105
	v_dual_fma_f32 v15, v172, v100, -v23 :: v_dual_add_f32 v5, v5, v35
	s_wait_loadcnt 0x3
	s_delay_alu instid0(VALU_DEP_3) | instskip(SKIP_2) | instid1(VALU_DEP_3)
	v_dual_add_f32 v7, v7, v17 :: v_dual_mov_b32 v76, v113
	v_pk_mul_f32 v[70:71], v[122:123], v[106:107] op_sel:[1,1] op_sel_hi:[0,1]
	v_dual_fmac_f32 v185, v155, v102 :: v_dual_fma_f32 v184, v154, v102, -v11
	v_dual_add_f32 v79, v5, v37 :: v_dual_add_f32 v78, v7, v15
	v_dual_fmac_f32 v187, v157, v104 :: v_dual_fma_f32 v186, v156, v104, -v13
	s_delay_alu instid0(VALU_DEP_4) | instskip(SKIP_1) | instid1(VALU_DEP_4)
	v_pk_fma_f32 v[80:81], v[122:123], v[106:107], v[70:71] op_sel_hi:[1,0,1]
	v_pk_mul_f32 v[72:73], v[176:177], v[72:73] op_sel_hi:[1,0]
	v_pk_add_f32 v[78:79], v[78:79], v[184:185]
	v_pk_fma_f32 v[70:71], v[122:123], v[106:107], v[70:71] neg_lo:[0,0,1] neg_hi:[0,0,1]
	v_pk_mul_f32 v[74:75], v[126:127], v[110:111] op_sel:[1,1] op_sel_hi:[0,1]
	v_mov_b32_e32 v71, v81
	v_pk_fma_f32 v[80:81], v[124:125], v[108:109], v[72:73] op_sel_hi:[1,0,1]
	v_pk_add_f32 v[78:79], v[78:79], v[186:187]
	v_pk_fma_f32 v[72:73], v[124:125], v[108:109], v[72:73] neg_lo:[0,0,1] neg_hi:[0,0,1]
	v_pk_fma_f32 v[84:85], v[126:127], v[110:111], v[74:75] op_sel_hi:[1,0,1]
	v_pk_mul_f32 v[76:77], v[178:179], v[76:77] op_sel_hi:[1,0]
	v_mov_b32_e32 v73, v81
	v_pk_add_f32 v[70:71], v[78:79], v[70:71]
	s_wait_loadcnt 0x2
	v_pk_mul_f32 v[82:83], v[130:131], v[114:115] op_sel:[1,1] op_sel_hi:[0,1]
	v_mov_b32_e32 v78, v117
	v_pk_fma_f32 v[74:75], v[126:127], v[110:111], v[74:75] neg_lo:[0,0,1] neg_hi:[0,0,1]
	v_mov_b32_e32 v75, v85
	v_pk_fma_f32 v[80:81], v[128:129], v[112:113], v[76:77] op_sel_hi:[1,0,1]
	v_pk_add_f32 v[70:71], v[70:71], v[72:73]
	v_pk_fma_f32 v[72:73], v[130:131], v[114:115], v[82:83] op_sel_hi:[1,0,1]
	v_pk_mul_f32 v[78:79], v[180:181], v[78:79] op_sel_hi:[1,0]
	v_pk_fma_f32 v[76:77], v[128:129], v[112:113], v[76:77] neg_lo:[0,0,1] neg_hi:[0,0,1]
	v_mov_b32_e32 v77, v81
	v_pk_add_f32 v[70:71], v[70:71], v[74:75]
	v_pk_fma_f32 v[80:81], v[130:131], v[114:115], v[82:83] neg_lo:[0,0,1] neg_hi:[0,0,1]
	v_mov_b32_e32 v81, v73
	v_pk_fma_f32 v[72:73], v[132:133], v[116:117], v[78:79] op_sel_hi:[1,0,1]
	s_wait_loadcnt 0x1
	v_pk_mul_f32 v[74:75], v[134:135], v[118:119] op_sel:[1,1] op_sel_hi:[0,1]
	v_pk_add_f32 v[70:71], v[70:71], v[76:77]
	v_mov_b32_e32 v72, v121
	v_pk_fma_f32 v[78:79], v[132:133], v[116:117], v[78:79] neg_lo:[0,0,1] neg_hi:[0,0,1]
	v_mov_b32_e32 v79, v73
	v_pk_fma_f32 v[76:77], v[134:135], v[118:119], v[74:75] op_sel_hi:[1,0,1]
	v_pk_add_f32 v[70:71], v[70:71], v[80:81]
	v_pk_mul_f32 v[72:73], v[182:183], v[72:73] op_sel_hi:[1,0]
	v_pk_fma_f32 v[74:75], v[134:135], v[118:119], v[74:75] neg_lo:[0,0,1] neg_hi:[0,0,1]
	s_delay_alu instid0(VALU_DEP_4) | instskip(NEXT) | instid1(VALU_DEP_4)
	v_mov_b32_e32 v75, v77
	v_pk_add_f32 v[70:71], v[70:71], v[78:79]
	s_delay_alu instid0(VALU_DEP_4) | instskip(SKIP_1) | instid1(VALU_DEP_2)
	v_pk_fma_f32 v[76:77], v[136:137], v[120:121], v[72:73] op_sel_hi:[1,0,1]
	v_pk_fma_f32 v[72:73], v[136:137], v[120:121], v[72:73] neg_lo:[0,0,1] neg_hi:[0,0,1]
	v_mov_b32_e32 v73, v77
	s_delay_alu instid0(VALU_DEP_4) | instskip(NEXT) | instid1(VALU_DEP_1)
	v_pk_add_f32 v[70:71], v[70:71], v[74:75]
	v_pk_add_f32 v[70:71], v[70:71], v[72:73]
	s_wait_loadcnt 0x0
	s_delay_alu instid0(VALU_DEP_1)
	v_pk_add_f32 v[70:71], v[174:175], v[70:71] neg_lo:[0,1] neg_hi:[0,1]
	scratch_store_b64 off, v[70:71], off offset:56
	s_wait_xcnt 0x0
	v_cmpx_lt_u32_e32 6, v0
	s_cbranch_execz .LBB33_205
; %bb.204:
	scratch_load_b64 v[70:71], off, off offset:48
	v_mov_b64_e32 v[72:73], 0
	scratch_store_b64 off, v[72:73], off offset:48
	s_wait_loadcnt 0x0
	ds_store_b64 v1, v[70:71]
.LBB33_205:
	s_wait_xcnt 0x0
	s_or_b32 exec_lo, exec_lo, s0
	s_wait_storecnt_dscnt 0x0
	s_barrier_signal -1
	s_barrier_wait -1
	s_clause 0xe
	scratch_load_b128 v[70:73], off, off offset:56
	scratch_load_b128 v[74:77], off, off offset:72
	;; [unrolled: 1-line block ×13, first 2 shown]
	scratch_load_b64 v[174:175], off, off offset:264
	scratch_load_b64 v[176:177], off, off offset:48
	v_mov_b32_e32 v5, 0
	ds_load_2addr_b64 v[122:125], v5 offset0:59 offset1:60
	ds_load_2addr_b64 v[126:129], v5 offset0:61 offset1:62
	;; [unrolled: 1-line block ×13, first 2 shown]
	ds_load_b64 v[178:179], v5 offset:536
	s_mov_b32 s0, exec_lo
	s_wait_dscnt 0xc
	v_dual_mov_b32 v181, v124 :: v_dual_mov_b32 v182, v129
	s_wait_dscnt 0xb
	v_dual_mov_b32 v183, v128 :: v_dual_mov_b32 v184, v133
	s_wait_dscnt 0xa
	v_dual_mov_b32 v187, v136 :: v_dual_mov_b32 v180, v125
	v_dual_mov_b32 v185, v132 :: v_dual_mov_b32 v186, v137
	s_wait_loadcnt_dscnt 0xe09
	v_dual_mul_f32 v7, v138, v71 :: v_dual_mul_f32 v11, v140, v73
	s_wait_loadcnt_dscnt 0xd08
	v_mul_f32_e32 v13, v142, v75
	v_dual_mul_f32 v43, v139, v71 :: v_dual_mul_f32 v45, v141, v73
	s_wait_loadcnt_dscnt 0xb05
	v_dual_fmac_f32 v7, v139, v70 :: v_dual_mul_f32 v57, v157, v85
	s_delay_alu instid0(VALU_DEP_2) | instskip(NEXT) | instid1(VALU_DEP_3)
	v_dual_mul_f32 v55, v155, v83 :: v_dual_fma_f32 v43, v138, v70, -v43
	v_dual_fmac_f32 v11, v141, v72 :: v_dual_fma_f32 v45, v140, v72, -v45
	s_delay_alu instid0(VALU_DEP_3) | instskip(SKIP_3) | instid1(VALU_DEP_3)
	v_dual_add_f32 v7, 0, v7 :: v_dual_fmac_f32 v13, v143, v74
	v_dual_mul_f32 v15, v144, v77 :: v_dual_mul_f32 v17, v146, v79
	v_dual_mul_f32 v47, v143, v75 :: v_dual_mul_f32 v49, v145, v77
	v_add_f32_e32 v43, 0, v43
	v_dual_add_f32 v7, v7, v11 :: v_dual_fmac_f32 v15, v145, v76
	v_dual_mul_f32 v51, v147, v79 :: v_dual_mul_f32 v53, v149, v81
	s_delay_alu instid0(VALU_DEP_3) | instskip(NEXT) | instid1(VALU_DEP_3)
	v_dual_fma_f32 v47, v142, v74, -v47 :: v_dual_add_f32 v11, v43, v45
	v_dual_fma_f32 v45, v144, v76, -v49 :: v_dual_add_f32 v7, v7, v13
	v_dual_mul_f32 v19, v148, v81 :: v_dual_mul_f32 v21, v154, v83
	s_delay_alu instid0(VALU_DEP_3) | instskip(SKIP_1) | instid1(VALU_DEP_4)
	v_add_f32_e32 v11, v11, v47
	v_dual_fmac_f32 v17, v147, v78 :: v_dual_fma_f32 v47, v146, v78, -v51
	v_dual_add_f32 v7, v7, v15 :: v_dual_mul_f32 v23, v156, v85
	s_wait_loadcnt_dscnt 0xa04
	v_mul_f32_e32 v25, v158, v87
	s_wait_loadcnt_dscnt 0x903
	v_dual_mul_f32 v13, v163, v91 :: v_dual_fmac_f32 v19, v149, v80
	v_mul_f32_e32 v15, v165, v93
	v_dual_add_f32 v11, v11, v45 :: v_dual_fma_f32 v45, v148, v80, -v53
	v_dual_add_f32 v7, v7, v17 :: v_dual_fmac_f32 v23, v157, v84
	v_dual_mul_f32 v27, v160, v89 :: v_dual_mul_f32 v29, v162, v91
	s_delay_alu instid0(VALU_DEP_3) | instskip(SKIP_1) | instid1(VALU_DEP_3)
	v_add_f32_e32 v11, v11, v47
	v_fmac_f32_e32 v21, v155, v82
	v_dual_add_f32 v7, v7, v19 :: v_dual_fmac_f32 v27, v161, v88
	v_dual_mul_f32 v59, v159, v87 :: v_dual_mul_f32 v43, v161, v89
	s_delay_alu instid0(VALU_DEP_4) | instskip(NEXT) | instid1(VALU_DEP_3)
	v_dual_fma_f32 v47, v154, v82, -v55 :: v_dual_add_f32 v11, v11, v45
	v_dual_add_f32 v7, v7, v21 :: v_dual_fma_f32 v13, v162, v90, -v13
	s_wait_loadcnt_dscnt 0x802
	v_mul_f32_e32 v17, v167, v95
	v_dual_fmac_f32 v25, v159, v86 :: v_dual_fma_f32 v15, v164, v92, -v15
	v_dual_fma_f32 v43, v160, v88, -v43 :: v_dual_add_f32 v11, v11, v47
	v_dual_fma_f32 v47, v158, v86, -v59 :: v_dual_add_f32 v7, v7, v23
	s_delay_alu instid0(VALU_DEP_4) | instskip(SKIP_2) | instid1(VALU_DEP_3)
	v_dual_fma_f32 v17, v166, v94, -v17 :: v_dual_mul_f32 v35, v168, v97
	s_wait_loadcnt_dscnt 0x701
	v_dual_mul_f32 v37, v170, v99 :: v_dual_fma_f32 v45, v156, v84, -v57
	v_add_f32_e32 v7, v7, v25
	s_wait_loadcnt 0x6
	v_dual_mul_f32 v39, v172, v101 :: v_dual_mul_f32 v41, v150, v103
	v_dual_fmac_f32 v35, v169, v96 :: v_dual_mul_f32 v19, v169, v97
	s_delay_alu instid0(VALU_DEP_2)
	v_dual_add_f32 v7, v7, v27 :: v_dual_fmac_f32 v39, v173, v100
	v_mul_f32_e32 v27, v153, v105
	s_wait_loadcnt 0x5
	v_dual_add_f32 v11, v11, v45 :: v_dual_mov_b32 v70, v109
	v_mul_f32_e32 v23, v173, v101
	v_dual_mul_f32 v189, v152, v105 :: v_dual_mul_f32 v191, v122, v107
	s_delay_alu instid0(VALU_DEP_3) | instskip(SKIP_3) | instid1(VALU_DEP_3)
	v_add_f32_e32 v11, v11, v47
	s_wait_loadcnt 0x4
	v_pk_mul_f32 v[72:73], v[126:127], v[110:111] op_sel:[1,1] op_sel_hi:[0,1]
	v_dual_mul_f32 v31, v164, v93 :: v_dual_mul_f32 v33, v166, v95
	v_dual_fmac_f32 v189, v153, v104 :: v_dual_add_f32 v11, v11, v43
	s_delay_alu instid0(VALU_DEP_3) | instskip(SKIP_1) | instid1(VALU_DEP_4)
	v_pk_fma_f32 v[84:85], v[126:127], v[110:111], v[72:73] op_sel_hi:[1,0,1]
	v_pk_fma_f32 v[72:73], v[126:127], v[110:111], v[72:73] neg_lo:[0,0,1] neg_hi:[0,0,1]
	v_dual_mul_f32 v21, v171, v99 :: v_dual_fmac_f32 v31, v165, v92
	s_delay_alu instid0(VALU_DEP_4) | instskip(SKIP_2) | instid1(VALU_DEP_3)
	v_add_f32_e32 v11, v11, v13
	v_dual_fmac_f32 v29, v163, v90 :: v_dual_mov_b32 v74, v113
	v_dual_mov_b32 v73, v85 :: v_dual_mul_f32 v25, v151, v103
	v_dual_add_f32 v11, v11, v15 :: v_dual_fma_f32 v15, v168, v96, -v19
	s_delay_alu instid0(VALU_DEP_3) | instskip(SKIP_1) | instid1(VALU_DEP_3)
	v_add_f32_e32 v7, v7, v29
	v_dual_mul_f32 v13, v123, v107 :: v_dual_fma_f32 v188, v152, v104, -v27
	v_dual_add_f32 v11, v11, v17 :: v_dual_fma_f32 v17, v170, v98, -v21
	s_wait_loadcnt 0x3
	v_dual_fmac_f32 v33, v167, v94 :: v_dual_mov_b32 v80, v117
	v_pk_mul_f32 v[74:75], v[182:183], v[74:75] op_sel_hi:[1,0]
	s_delay_alu instid0(VALU_DEP_3) | instskip(SKIP_1) | instid1(VALU_DEP_3)
	v_dual_add_f32 v11, v11, v15 :: v_dual_fma_f32 v190, v122, v106, -v13
	v_dual_fmac_f32 v37, v171, v98 :: v_dual_fma_f32 v15, v172, v100, -v23
	v_pk_fma_f32 v[84:85], v[128:129], v[112:113], v[74:75] op_sel_hi:[1,0,1]
	s_delay_alu instid0(VALU_DEP_3) | instskip(SKIP_2) | instid1(VALU_DEP_4)
	v_dual_add_f32 v11, v11, v17 :: v_dual_fma_f32 v17, v150, v102, -v25
	v_add_f32_e32 v7, v7, v31
	v_pk_fma_f32 v[74:75], v[128:129], v[112:113], v[74:75] neg_lo:[0,0,1] neg_hi:[0,0,1]
	v_dual_mov_b32 v75, v85 :: v_dual_fmac_f32 v41, v151, v102
	s_delay_alu instid0(VALU_DEP_4) | instskip(NEXT) | instid1(VALU_DEP_4)
	v_add_f32_e32 v11, v11, v15
	v_add_f32_e32 v7, v7, v33
	v_pk_mul_f32 v[70:71], v[180:181], v[70:71] op_sel_hi:[1,0]
	v_fmac_f32_e32 v191, v123, v106
	v_pk_mul_f32 v[76:77], v[130:131], v[114:115] op_sel:[1,1] op_sel_hi:[0,1]
	v_add_f32_e32 v78, v11, v17
	v_add_f32_e32 v7, v7, v35
	v_pk_fma_f32 v[82:83], v[124:125], v[108:109], v[70:71] op_sel_hi:[1,0,1]
	v_pk_fma_f32 v[70:71], v[124:125], v[108:109], v[70:71] neg_lo:[0,0,1] neg_hi:[0,0,1]
	v_pk_mul_f32 v[80:81], v[184:185], v[80:81] op_sel_hi:[1,0]
	s_delay_alu instid0(VALU_DEP_4) | instskip(NEXT) | instid1(VALU_DEP_4)
	v_add_f32_e32 v7, v7, v37
	v_mov_b32_e32 v71, v83
	s_wait_loadcnt 0x2
	v_pk_mul_f32 v[82:83], v[134:135], v[118:119] op_sel:[1,1] op_sel_hi:[0,1]
	s_delay_alu instid0(VALU_DEP_3) | instskip(NEXT) | instid1(VALU_DEP_1)
	v_add_f32_e32 v7, v7, v39
	v_add_f32_e32 v79, v7, v41
	s_delay_alu instid0(VALU_DEP_1) | instskip(NEXT) | instid1(VALU_DEP_1)
	v_pk_add_f32 v[78:79], v[78:79], v[188:189]
	v_pk_add_f32 v[78:79], v[78:79], v[190:191]
	s_delay_alu instid0(VALU_DEP_1) | instskip(SKIP_2) | instid1(VALU_DEP_3)
	v_pk_add_f32 v[70:71], v[78:79], v[70:71]
	v_pk_fma_f32 v[78:79], v[130:131], v[114:115], v[76:77] op_sel_hi:[1,0,1]
	v_pk_fma_f32 v[76:77], v[130:131], v[114:115], v[76:77] neg_lo:[0,0,1] neg_hi:[0,0,1]
	v_pk_add_f32 v[70:71], v[70:71], v[72:73]
	s_delay_alu instid0(VALU_DEP_3) | instskip(SKIP_2) | instid1(VALU_DEP_4)
	v_dual_mov_b32 v72, v121 :: v_dual_mov_b32 v77, v79
	v_pk_fma_f32 v[78:79], v[132:133], v[116:117], v[80:81] op_sel_hi:[1,0,1]
	v_pk_fma_f32 v[80:81], v[132:133], v[116:117], v[80:81] neg_lo:[0,0,1] neg_hi:[0,0,1]
	v_pk_add_f32 v[70:71], v[70:71], v[74:75]
	v_pk_fma_f32 v[74:75], v[134:135], v[118:119], v[82:83] op_sel_hi:[1,0,1]
	v_pk_mul_f32 v[72:73], v[186:187], v[72:73] op_sel_hi:[1,0]
	v_mov_b32_e32 v81, v79
	s_wait_loadcnt_dscnt 0x100
	v_pk_mul_f32 v[78:79], v[178:179], v[174:175] op_sel:[1,1] op_sel_hi:[0,1]
	v_pk_add_f32 v[70:71], v[70:71], v[76:77]
	v_pk_fma_f32 v[76:77], v[134:135], v[118:119], v[82:83] neg_lo:[0,0,1] neg_hi:[0,0,1]
	v_mov_b32_e32 v77, v75
	v_pk_fma_f32 v[74:75], v[136:137], v[120:121], v[72:73] op_sel_hi:[1,0,1]
	v_pk_fma_f32 v[72:73], v[136:137], v[120:121], v[72:73] neg_lo:[0,0,1] neg_hi:[0,0,1]
	v_pk_add_f32 v[70:71], v[70:71], v[80:81]
	s_delay_alu instid0(VALU_DEP_3) | instskip(SKIP_1) | instid1(VALU_DEP_3)
	v_mov_b32_e32 v73, v75
	v_pk_fma_f32 v[74:75], v[178:179], v[174:175], v[78:79] op_sel_hi:[1,0,1]
	v_pk_add_f32 v[70:71], v[70:71], v[76:77]
	v_pk_fma_f32 v[76:77], v[178:179], v[174:175], v[78:79] neg_lo:[0,0,1] neg_hi:[0,0,1]
	s_delay_alu instid0(VALU_DEP_3) | instskip(NEXT) | instid1(VALU_DEP_3)
	v_mov_b32_e32 v77, v75
	v_pk_add_f32 v[70:71], v[70:71], v[72:73]
	s_delay_alu instid0(VALU_DEP_1) | instskip(SKIP_1) | instid1(VALU_DEP_1)
	v_pk_add_f32 v[70:71], v[70:71], v[76:77]
	s_wait_loadcnt 0x0
	v_pk_add_f32 v[70:71], v[176:177], v[70:71] neg_lo:[0,1] neg_hi:[0,1]
	scratch_store_b64 off, v[70:71], off offset:48
	s_wait_xcnt 0x0
	v_cmpx_lt_u32_e32 5, v0
	s_cbranch_execz .LBB33_207
; %bb.206:
	scratch_load_b64 v[70:71], off, off offset:40
	v_mov_b64_e32 v[72:73], 0
	scratch_store_b64 off, v[72:73], off offset:40
	s_wait_loadcnt 0x0
	ds_store_b64 v1, v[70:71]
.LBB33_207:
	s_wait_xcnt 0x0
	s_or_b32 exec_lo, exec_lo, s0
	s_wait_storecnt_dscnt 0x0
	s_barrier_signal -1
	s_barrier_wait -1
	s_clause 0xe
	scratch_load_b128 v[70:73], off, off offset:48
	scratch_load_b128 v[74:77], off, off offset:64
	;; [unrolled: 1-line block ×14, first 2 shown]
	scratch_load_b64 v[182:183], off, off offset:40
	ds_load_b128 v[126:129], v5 offset:480
	ds_load_b128 v[130:133], v5 offset:496
	;; [unrolled: 1-line block ×14, first 2 shown]
	s_mov_b32 s0, exec_lo
	s_wait_dscnt 0xd
	v_dual_mov_b32 v184, v129 :: v_dual_mov_b32 v185, v128
	s_wait_dscnt 0xc
	v_dual_mov_b32 v186, v133 :: v_dual_mov_b32 v187, v132
	;; [unrolled: 2-line block ×4, first 2 shown]
	s_wait_loadcnt_dscnt 0xe09
	v_dual_mul_f32 v5, v142, v71 :: v_dual_mul_f32 v7, v144, v73
	v_dual_mul_f32 v43, v143, v71 :: v_dual_mul_f32 v45, v145, v73
	s_wait_loadcnt_dscnt 0xd08
	v_dual_mul_f32 v11, v146, v75 :: v_dual_mul_f32 v13, v148, v77
	s_delay_alu instid0(VALU_DEP_2) | instskip(SKIP_3) | instid1(VALU_DEP_3)
	v_dual_fmac_f32 v5, v143, v70 :: v_dual_fma_f32 v43, v142, v70, -v43
	v_dual_mul_f32 v47, v147, v75 :: v_dual_mul_f32 v49, v149, v77
	s_wait_loadcnt_dscnt 0xb06
	v_dual_mul_f32 v55, v155, v83 :: v_dual_fmac_f32 v7, v145, v72
	v_dual_fma_f32 v45, v144, v72, -v45 :: v_dual_add_f32 v5, 0, v5
	v_dual_add_f32 v43, 0, v43 :: v_dual_mul_f32 v57, v157, v85
	v_fmac_f32_e32 v11, v147, v74
	s_delay_alu instid0(VALU_DEP_3) | instskip(NEXT) | instid1(VALU_DEP_3)
	v_dual_fma_f32 v47, v146, v74, -v47 :: v_dual_add_f32 v5, v5, v7
	v_dual_add_f32 v7, v43, v45 :: v_dual_mul_f32 v15, v150, v79
	v_dual_mul_f32 v17, v152, v81 :: v_dual_mul_f32 v51, v151, v79
	s_wait_loadcnt_dscnt 0xa05
	v_dual_mul_f32 v53, v153, v81 :: v_dual_mul_f32 v43, v159, v87
	v_fmac_f32_e32 v13, v149, v76
	v_dual_fma_f32 v45, v148, v76, -v49 :: v_dual_add_f32 v5, v5, v11
	v_dual_add_f32 v7, v7, v47 :: v_dual_mul_f32 v11, v161, v89
	v_fmac_f32_e32 v15, v151, v78
	s_delay_alu instid0(VALU_DEP_3) | instskip(NEXT) | instid1(VALU_DEP_3)
	v_dual_fma_f32 v47, v150, v78, -v51 :: v_dual_add_f32 v5, v5, v13
	v_dual_add_f32 v7, v7, v45 :: v_dual_mul_f32 v19, v154, v83
	s_wait_loadcnt_dscnt 0x904
	v_dual_mul_f32 v21, v156, v85 :: v_dual_mul_f32 v13, v163, v91
	v_fmac_f32_e32 v17, v153, v80
	v_dual_fma_f32 v45, v152, v80, -v53 :: v_dual_add_f32 v5, v5, v15
	v_dual_add_f32 v7, v7, v47 :: v_dual_mul_f32 v15, v165, v93
	v_fmac_f32_e32 v19, v155, v82
	s_delay_alu instid0(VALU_DEP_3) | instskip(NEXT) | instid1(VALU_DEP_3)
	v_dual_fma_f32 v47, v154, v82, -v55 :: v_dual_add_f32 v5, v5, v17
	v_dual_add_f32 v7, v7, v45 :: v_dual_mul_f32 v23, v158, v87
	;; [unrolled: 9-line block ×3, first 2 shown]
	s_wait_loadcnt_dscnt 0x702
	v_dual_mul_f32 v29, v164, v93 :: v_dual_mul_f32 v21, v171, v99
	v_dual_fmac_f32 v25, v161, v88 :: v_dual_fma_f32 v11, v160, v88, -v11
	v_add_f32_e32 v5, v5, v23
	v_dual_add_f32 v7, v7, v43 :: v_dual_mul_f32 v23, v173, v101
	v_dual_fmac_f32 v27, v163, v90 :: v_dual_fma_f32 v13, v162, v90, -v13
	s_delay_alu instid0(VALU_DEP_2) | instskip(SKIP_3) | instid1(VALU_DEP_3)
	v_dual_add_f32 v5, v5, v25 :: v_dual_add_f32 v7, v7, v11
	v_dual_mul_f32 v31, v166, v95 :: v_dual_mul_f32 v33, v168, v97
	s_wait_loadcnt_dscnt 0x601
	v_dual_mul_f32 v11, v175, v103 :: v_dual_fmac_f32 v29, v165, v92
	v_dual_fma_f32 v15, v164, v92, -v15 :: v_dual_add_f32 v5, v5, v27
	v_dual_add_f32 v7, v7, v13 :: v_dual_fma_f32 v17, v166, v94, -v17
	v_dual_mul_f32 v13, v177, v105 :: v_dual_fmac_f32 v31, v167, v94
	s_delay_alu instid0(VALU_DEP_2) | instskip(SKIP_3) | instid1(VALU_DEP_3)
	v_dual_add_f32 v5, v5, v29 :: v_dual_add_f32 v7, v7, v15
	v_dual_mul_f32 v35, v170, v99 :: v_dual_mul_f32 v37, v172, v101
	s_wait_loadcnt_dscnt 0x500
	v_dual_mul_f32 v15, v179, v107 :: v_dual_fmac_f32 v33, v169, v96
	v_dual_fma_f32 v19, v168, v96, -v19 :: v_dual_add_f32 v5, v5, v31
	v_dual_add_f32 v7, v7, v17 :: v_dual_fma_f32 v21, v170, v98, -v21
	v_dual_mul_f32 v17, v181, v109 :: v_dual_fmac_f32 v35, v171, v98
	s_delay_alu instid0(VALU_DEP_2) | instskip(SKIP_2) | instid1(VALU_DEP_3)
	v_dual_add_f32 v5, v5, v33 :: v_dual_add_f32 v7, v7, v19
	v_dual_mul_f32 v39, v174, v103 :: v_dual_mul_f32 v41, v176, v105
	v_dual_fmac_f32 v37, v173, v100 :: v_dual_fma_f32 v19, v172, v100, -v23
	v_dual_add_f32 v5, v5, v35 :: v_dual_add_f32 v7, v7, v21
	s_wait_loadcnt 0x4
	s_delay_alu instid0(VALU_DEP_3) | instskip(NEXT) | instid1(VALU_DEP_2)
	v_dual_mov_b32 v72, v113 :: v_dual_fmac_f32 v39, v175, v102
	v_dual_fma_f32 v11, v174, v102, -v11 :: v_dual_add_f32 v5, v5, v37
	s_delay_alu instid0(VALU_DEP_3) | instskip(SKIP_1) | instid1(VALU_DEP_3)
	v_dual_add_f32 v7, v7, v19 :: v_dual_fmac_f32 v41, v177, v104
	v_dual_mul_f32 v193, v178, v107 :: v_dual_mul_f32 v195, v180, v109
	v_dual_fma_f32 v13, v176, v104, -v13 :: v_dual_add_f32 v5, v5, v39
	s_wait_loadcnt 0x3
	s_delay_alu instid0(VALU_DEP_3) | instskip(SKIP_3) | instid1(VALU_DEP_4)
	v_dual_add_f32 v7, v7, v11 :: v_dual_mov_b32 v76, v117
	v_pk_mul_f32 v[70:71], v[126:127], v[110:111] op_sel:[1,1] op_sel_hi:[0,1]
	v_dual_fmac_f32 v193, v179, v106 :: v_dual_fma_f32 v192, v178, v106, -v15
	v_dual_add_f32 v79, v5, v41 :: v_dual_fma_f32 v194, v180, v108, -v17
	v_dual_add_f32 v78, v7, v13 :: v_dual_fmac_f32 v195, v181, v108
	s_delay_alu instid0(VALU_DEP_4) | instskip(SKIP_2) | instid1(VALU_DEP_4)
	v_pk_fma_f32 v[80:81], v[126:127], v[110:111], v[70:71] op_sel_hi:[1,0,1]
	v_pk_mul_f32 v[72:73], v[184:185], v[72:73] op_sel_hi:[1,0]
	v_pk_fma_f32 v[70:71], v[126:127], v[110:111], v[70:71] neg_lo:[0,0,1] neg_hi:[0,0,1]
	v_pk_add_f32 v[78:79], v[78:79], v[192:193]
	v_pk_mul_f32 v[74:75], v[130:131], v[114:115] op_sel:[1,1] op_sel_hi:[0,1]
	v_mov_b32_e32 v71, v81
	v_pk_fma_f32 v[80:81], v[128:129], v[112:113], v[72:73] op_sel_hi:[1,0,1]
	v_pk_fma_f32 v[72:73], v[128:129], v[112:113], v[72:73] neg_lo:[0,0,1] neg_hi:[0,0,1]
	v_pk_add_f32 v[78:79], v[78:79], v[194:195]
	v_pk_fma_f32 v[84:85], v[130:131], v[114:115], v[74:75] op_sel_hi:[1,0,1]
	v_pk_mul_f32 v[76:77], v[186:187], v[76:77] op_sel_hi:[1,0]
	v_mov_b32_e32 v73, v81
	s_wait_loadcnt 0x2
	v_pk_mul_f32 v[82:83], v[134:135], v[118:119] op_sel:[1,1] op_sel_hi:[0,1]
	v_pk_add_f32 v[70:71], v[78:79], v[70:71]
	v_mov_b32_e32 v78, v121
	v_pk_fma_f32 v[74:75], v[130:131], v[114:115], v[74:75] neg_lo:[0,0,1] neg_hi:[0,0,1]
	v_mov_b32_e32 v75, v85
	v_pk_fma_f32 v[80:81], v[132:133], v[116:117], v[76:77] op_sel_hi:[1,0,1]
	v_pk_add_f32 v[70:71], v[70:71], v[72:73]
	v_pk_fma_f32 v[72:73], v[134:135], v[118:119], v[82:83] op_sel_hi:[1,0,1]
	v_pk_mul_f32 v[78:79], v[188:189], v[78:79] op_sel_hi:[1,0]
	v_pk_fma_f32 v[76:77], v[132:133], v[116:117], v[76:77] neg_lo:[0,0,1] neg_hi:[0,0,1]
	v_mov_b32_e32 v77, v81
	v_pk_add_f32 v[70:71], v[70:71], v[74:75]
	v_pk_fma_f32 v[80:81], v[134:135], v[118:119], v[82:83] neg_lo:[0,0,1] neg_hi:[0,0,1]
	v_mov_b32_e32 v81, v73
	v_pk_fma_f32 v[72:73], v[136:137], v[120:121], v[78:79] op_sel_hi:[1,0,1]
	s_wait_loadcnt 0x1
	v_pk_mul_f32 v[74:75], v[138:139], v[122:123] op_sel:[1,1] op_sel_hi:[0,1]
	v_pk_add_f32 v[70:71], v[70:71], v[76:77]
	v_mov_b32_e32 v72, v125
	v_pk_fma_f32 v[78:79], v[136:137], v[120:121], v[78:79] neg_lo:[0,0,1] neg_hi:[0,0,1]
	v_mov_b32_e32 v79, v73
	v_pk_fma_f32 v[76:77], v[138:139], v[122:123], v[74:75] op_sel_hi:[1,0,1]
	v_pk_add_f32 v[70:71], v[70:71], v[80:81]
	v_pk_mul_f32 v[72:73], v[190:191], v[72:73] op_sel_hi:[1,0]
	v_pk_fma_f32 v[74:75], v[138:139], v[122:123], v[74:75] neg_lo:[0,0,1] neg_hi:[0,0,1]
	s_delay_alu instid0(VALU_DEP_4) | instskip(NEXT) | instid1(VALU_DEP_4)
	v_mov_b32_e32 v75, v77
	v_pk_add_f32 v[70:71], v[70:71], v[78:79]
	s_delay_alu instid0(VALU_DEP_4) | instskip(SKIP_1) | instid1(VALU_DEP_2)
	v_pk_fma_f32 v[76:77], v[140:141], v[124:125], v[72:73] op_sel_hi:[1,0,1]
	v_pk_fma_f32 v[72:73], v[140:141], v[124:125], v[72:73] neg_lo:[0,0,1] neg_hi:[0,0,1]
	v_mov_b32_e32 v73, v77
	s_delay_alu instid0(VALU_DEP_4) | instskip(NEXT) | instid1(VALU_DEP_1)
	v_pk_add_f32 v[70:71], v[70:71], v[74:75]
	v_pk_add_f32 v[70:71], v[70:71], v[72:73]
	s_wait_loadcnt 0x0
	s_delay_alu instid0(VALU_DEP_1)
	v_pk_add_f32 v[70:71], v[182:183], v[70:71] neg_lo:[0,1] neg_hi:[0,1]
	scratch_store_b64 off, v[70:71], off offset:40
	s_wait_xcnt 0x0
	v_cmpx_lt_u32_e32 4, v0
	s_cbranch_execz .LBB33_209
; %bb.208:
	scratch_load_b64 v[70:71], off, off offset:32
	v_mov_b64_e32 v[72:73], 0
	scratch_store_b64 off, v[72:73], off offset:32
	s_wait_loadcnt 0x0
	ds_store_b64 v1, v[70:71]
.LBB33_209:
	s_wait_xcnt 0x0
	s_or_b32 exec_lo, exec_lo, s0
	s_wait_storecnt_dscnt 0x0
	s_barrier_signal -1
	s_barrier_wait -1
	s_clause 0xf
	scratch_load_b128 v[70:73], off, off offset:40
	scratch_load_b128 v[74:77], off, off offset:56
	;; [unrolled: 1-line block ×14, first 2 shown]
	scratch_load_b64 v[182:183], off, off offset:264
	scratch_load_b64 v[184:185], off, off offset:32
	v_mov_b32_e32 v5, 0
	ds_load_2addr_b64 v[126:129], v5 offset0:59 offset1:60
	ds_load_2addr_b64 v[130:133], v5 offset0:61 offset1:62
	;; [unrolled: 1-line block ×14, first 2 shown]
	ds_load_b64 v[186:187], v5 offset:536
	s_mov_b32 s0, exec_lo
	s_wait_dscnt 0xd
	v_dual_mov_b32 v189, v128 :: v_dual_mov_b32 v190, v133
	s_wait_dscnt 0xc
	v_dual_mov_b32 v191, v132 :: v_dual_mov_b32 v192, v137
	s_wait_dscnt 0xb
	v_dual_mov_b32 v195, v140 :: v_dual_mov_b32 v188, v129
	v_dual_mov_b32 v193, v136 :: v_dual_mov_b32 v194, v141
	s_wait_loadcnt_dscnt 0xf0a
	v_dual_mul_f32 v7, v142, v71 :: v_dual_mul_f32 v11, v144, v73
	s_wait_loadcnt_dscnt 0xe09
	v_mul_f32_e32 v13, v146, v75
	v_dual_mul_f32 v47, v143, v71 :: v_dual_mul_f32 v49, v145, v73
	s_wait_loadcnt_dscnt 0xc07
	v_dual_fmac_f32 v7, v143, v70 :: v_dual_mul_f32 v61, v157, v85
	s_delay_alu instid0(VALU_DEP_2) | instskip(NEXT) | instid1(VALU_DEP_3)
	v_dual_mul_f32 v59, v155, v83 :: v_dual_fma_f32 v47, v142, v70, -v47
	v_dual_fmac_f32 v11, v145, v72 :: v_dual_fma_f32 v49, v144, v72, -v49
	s_delay_alu instid0(VALU_DEP_3) | instskip(SKIP_3) | instid1(VALU_DEP_3)
	v_dual_add_f32 v7, 0, v7 :: v_dual_fmac_f32 v13, v147, v74
	v_dual_mul_f32 v15, v148, v77 :: v_dual_mul_f32 v17, v150, v79
	v_dual_mul_f32 v51, v147, v75 :: v_dual_mul_f32 v53, v149, v77
	v_add_f32_e32 v47, 0, v47
	v_dual_add_f32 v7, v7, v11 :: v_dual_fmac_f32 v15, v149, v76
	v_dual_mul_f32 v55, v151, v79 :: v_dual_mul_f32 v57, v153, v81
	s_delay_alu instid0(VALU_DEP_3) | instskip(NEXT) | instid1(VALU_DEP_3)
	v_dual_fma_f32 v51, v146, v74, -v51 :: v_dual_add_f32 v11, v47, v49
	v_dual_fma_f32 v49, v148, v76, -v53 :: v_dual_add_f32 v7, v7, v13
	v_dual_mul_f32 v19, v152, v81 :: v_dual_mul_f32 v21, v154, v83
	s_delay_alu instid0(VALU_DEP_3) | instskip(SKIP_1) | instid1(VALU_DEP_4)
	v_add_f32_e32 v11, v11, v51
	v_dual_fmac_f32 v17, v151, v78 :: v_dual_fma_f32 v51, v150, v78, -v55
	v_dual_add_f32 v7, v7, v15 :: v_dual_mul_f32 v23, v156, v85
	s_wait_loadcnt_dscnt 0xb06
	v_mul_f32_e32 v25, v158, v87
	s_wait_loadcnt_dscnt 0xa05
	v_dual_mul_f32 v13, v163, v91 :: v_dual_fmac_f32 v19, v153, v80
	v_mul_f32_e32 v15, v165, v93
	v_dual_add_f32 v11, v11, v49 :: v_dual_fma_f32 v49, v152, v80, -v57
	v_dual_add_f32 v7, v7, v17 :: v_dual_fmac_f32 v23, v157, v84
	v_dual_mul_f32 v27, v160, v89 :: v_dual_mul_f32 v29, v162, v91
	s_delay_alu instid0(VALU_DEP_3) | instskip(SKIP_1) | instid1(VALU_DEP_3)
	v_add_f32_e32 v11, v11, v51
	v_fmac_f32_e32 v21, v155, v82
	v_dual_add_f32 v7, v7, v19 :: v_dual_fmac_f32 v27, v161, v88
	v_dual_mul_f32 v63, v159, v87 :: v_dual_mul_f32 v47, v161, v89
	s_delay_alu instid0(VALU_DEP_4) | instskip(NEXT) | instid1(VALU_DEP_3)
	v_dual_fma_f32 v51, v154, v82, -v59 :: v_dual_add_f32 v11, v11, v49
	v_dual_add_f32 v7, v7, v21 :: v_dual_fma_f32 v13, v162, v90, -v13
	s_wait_loadcnt_dscnt 0x904
	v_mul_f32_e32 v17, v167, v95
	v_dual_fmac_f32 v25, v159, v86 :: v_dual_fma_f32 v15, v164, v92, -v15
	v_dual_fma_f32 v47, v160, v88, -v47 :: v_dual_add_f32 v11, v11, v51
	v_dual_fma_f32 v51, v158, v86, -v63 :: v_dual_add_f32 v7, v7, v23
	s_delay_alu instid0(VALU_DEP_4) | instskip(SKIP_3) | instid1(VALU_DEP_3)
	v_dual_fma_f32 v17, v166, v94, -v17 :: v_dual_mul_f32 v19, v169, v97
	v_fma_f32 v49, v156, v84, -v61
	s_wait_loadcnt_dscnt 0x803
	v_dual_mul_f32 v35, v168, v97 :: v_dual_mul_f32 v37, v170, v99
	v_dual_add_f32 v7, v7, v25 :: v_dual_fma_f32 v19, v168, v96, -v19
	s_wait_loadcnt_dscnt 0x702
	v_dual_mul_f32 v39, v172, v101 :: v_dual_mul_f32 v41, v174, v103
	s_delay_alu instid0(VALU_DEP_2)
	v_dual_fmac_f32 v35, v169, v96 :: v_dual_add_f32 v7, v7, v27
	v_mul_f32_e32 v27, v177, v105
	v_add_f32_e32 v11, v11, v49
	v_mul_f32_e32 v23, v173, v101
	s_wait_loadcnt_dscnt 0x501
	v_dual_mul_f32 v197, v180, v109 :: v_dual_mul_f32 v199, v126, v111
	s_wait_loadcnt 0x4
	v_pk_mul_f32 v[72:73], v[130:131], v[114:115] op_sel:[1,1] op_sel_hi:[0,1]
	v_dual_add_f32 v11, v11, v51 :: v_dual_mov_b32 v74, v117
	v_dual_mul_f32 v31, v164, v93 :: v_dual_mul_f32 v33, v166, v95
	v_mul_f32_e32 v21, v171, v99
	s_delay_alu instid0(VALU_DEP_3) | instskip(SKIP_3) | instid1(VALU_DEP_4)
	v_add_f32_e32 v11, v11, v47
	v_dual_fmac_f32 v29, v163, v90 :: v_dual_mov_b32 v70, v113
	v_fmac_f32_e32 v197, v181, v108
	v_pk_fma_f32 v[84:85], v[130:131], v[114:115], v[72:73] op_sel_hi:[1,0,1]
	v_add_f32_e32 v11, v11, v13
	v_pk_mul_f32 v[74:75], v[190:191], v[74:75] op_sel_hi:[1,0]
	v_pk_fma_f32 v[72:73], v[130:131], v[114:115], v[72:73] neg_lo:[0,0,1] neg_hi:[0,0,1]
	v_dual_mul_f32 v43, v176, v105 :: v_dual_mul_f32 v45, v178, v107
	s_delay_alu instid0(VALU_DEP_4) | instskip(SKIP_3) | instid1(VALU_DEP_3)
	v_dual_add_f32 v11, v11, v15 :: v_dual_fmac_f32 v31, v165, v92
	v_dual_mul_f32 v25, v175, v103 :: v_dual_fma_f32 v21, v170, v98, -v21
	v_dual_fmac_f32 v37, v171, v98 :: v_dual_mov_b32 v73, v85
	s_wait_loadcnt 0x3
	v_dual_add_f32 v11, v11, v17 :: v_dual_mov_b32 v80, v121
	v_dual_fmac_f32 v39, v173, v100 :: v_dual_add_f32 v7, v7, v29
	v_pk_fma_f32 v[84:85], v[132:133], v[116:117], v[74:75] op_sel_hi:[1,0,1]
	s_delay_alu instid0(VALU_DEP_3) | instskip(SKIP_3) | instid1(VALU_DEP_4)
	v_add_f32_e32 v11, v11, v19
	v_pk_fma_f32 v[74:75], v[132:133], v[116:117], v[74:75] neg_lo:[0,0,1] neg_hi:[0,0,1]
	v_dual_mul_f32 v13, v179, v107 :: v_dual_fmac_f32 v43, v177, v104
	v_dual_fmac_f32 v33, v167, v94 :: v_dual_fma_f32 v19, v172, v100, -v23
	v_dual_mov_b32 v75, v85 :: v_dual_add_f32 v11, v11, v21
	v_dual_fma_f32 v21, v174, v102, -v25 :: v_dual_add_f32 v7, v7, v31
	s_delay_alu instid0(VALU_DEP_4) | instskip(NEXT) | instid1(VALU_DEP_3)
	v_dual_fma_f32 v13, v178, v106, -v13 :: v_dual_mul_f32 v15, v181, v109
	v_dual_add_f32 v11, v11, v19 :: v_dual_fma_f32 v19, v176, v104, -v27
	s_delay_alu instid0(VALU_DEP_3) | instskip(SKIP_1) | instid1(VALU_DEP_4)
	v_add_f32_e32 v7, v7, v33
	v_dual_mul_f32 v17, v127, v111 :: v_dual_fmac_f32 v199, v127, v110
	v_dual_fma_f32 v196, v180, v108, -v15 :: v_dual_fmac_f32 v41, v175, v102
	s_delay_alu instid0(VALU_DEP_2) | instskip(SKIP_3) | instid1(VALU_DEP_4)
	v_dual_add_f32 v7, v7, v35 :: v_dual_fma_f32 v198, v126, v110, -v17
	v_add_f32_e32 v11, v11, v21
	v_fmac_f32_e32 v45, v179, v106
	v_pk_mul_f32 v[70:71], v[188:189], v[70:71] op_sel_hi:[1,0]
	v_add_f32_e32 v7, v7, v37
	v_pk_mul_f32 v[76:77], v[134:135], v[118:119] op_sel:[1,1] op_sel_hi:[0,1]
	v_add_f32_e32 v11, v11, v19
	v_pk_mul_f32 v[80:81], v[192:193], v[80:81] op_sel_hi:[1,0]
	v_pk_fma_f32 v[82:83], v[128:129], v[112:113], v[70:71] op_sel_hi:[1,0,1]
	v_add_f32_e32 v7, v7, v39
	v_pk_fma_f32 v[70:71], v[128:129], v[112:113], v[70:71] neg_lo:[0,0,1] neg_hi:[0,0,1]
	v_add_f32_e32 v78, v11, v13
	s_delay_alu instid0(VALU_DEP_4) | instskip(NEXT) | instid1(VALU_DEP_4)
	v_mov_b32_e32 v71, v83
	v_add_f32_e32 v7, v7, v41
	s_wait_loadcnt 0x2
	v_pk_mul_f32 v[82:83], v[138:139], v[122:123] op_sel:[1,1] op_sel_hi:[0,1]
	s_delay_alu instid0(VALU_DEP_2) | instskip(NEXT) | instid1(VALU_DEP_1)
	v_add_f32_e32 v7, v7, v43
	v_add_f32_e32 v79, v7, v45
	s_delay_alu instid0(VALU_DEP_1) | instskip(NEXT) | instid1(VALU_DEP_1)
	v_pk_add_f32 v[78:79], v[78:79], v[196:197]
	v_pk_add_f32 v[78:79], v[78:79], v[198:199]
	s_delay_alu instid0(VALU_DEP_1) | instskip(SKIP_2) | instid1(VALU_DEP_3)
	v_pk_add_f32 v[70:71], v[78:79], v[70:71]
	v_pk_fma_f32 v[78:79], v[134:135], v[118:119], v[76:77] op_sel_hi:[1,0,1]
	v_pk_fma_f32 v[76:77], v[134:135], v[118:119], v[76:77] neg_lo:[0,0,1] neg_hi:[0,0,1]
	v_pk_add_f32 v[70:71], v[70:71], v[72:73]
	s_delay_alu instid0(VALU_DEP_3) | instskip(SKIP_2) | instid1(VALU_DEP_4)
	v_dual_mov_b32 v72, v125 :: v_dual_mov_b32 v77, v79
	v_pk_fma_f32 v[78:79], v[136:137], v[120:121], v[80:81] op_sel_hi:[1,0,1]
	v_pk_fma_f32 v[80:81], v[136:137], v[120:121], v[80:81] neg_lo:[0,0,1] neg_hi:[0,0,1]
	v_pk_add_f32 v[70:71], v[70:71], v[74:75]
	v_pk_fma_f32 v[74:75], v[138:139], v[122:123], v[82:83] op_sel_hi:[1,0,1]
	v_pk_mul_f32 v[72:73], v[194:195], v[72:73] op_sel_hi:[1,0]
	v_mov_b32_e32 v81, v79
	s_wait_loadcnt_dscnt 0x100
	v_pk_mul_f32 v[78:79], v[186:187], v[182:183] op_sel:[1,1] op_sel_hi:[0,1]
	v_pk_add_f32 v[70:71], v[70:71], v[76:77]
	v_pk_fma_f32 v[76:77], v[138:139], v[122:123], v[82:83] neg_lo:[0,0,1] neg_hi:[0,0,1]
	v_mov_b32_e32 v77, v75
	v_pk_fma_f32 v[74:75], v[140:141], v[124:125], v[72:73] op_sel_hi:[1,0,1]
	v_pk_fma_f32 v[72:73], v[140:141], v[124:125], v[72:73] neg_lo:[0,0,1] neg_hi:[0,0,1]
	v_pk_add_f32 v[70:71], v[70:71], v[80:81]
	s_delay_alu instid0(VALU_DEP_3) | instskip(SKIP_1) | instid1(VALU_DEP_3)
	v_mov_b32_e32 v73, v75
	v_pk_fma_f32 v[74:75], v[186:187], v[182:183], v[78:79] op_sel_hi:[1,0,1]
	v_pk_add_f32 v[70:71], v[70:71], v[76:77]
	v_pk_fma_f32 v[76:77], v[186:187], v[182:183], v[78:79] neg_lo:[0,0,1] neg_hi:[0,0,1]
	s_delay_alu instid0(VALU_DEP_3) | instskip(NEXT) | instid1(VALU_DEP_3)
	v_mov_b32_e32 v77, v75
	v_pk_add_f32 v[70:71], v[70:71], v[72:73]
	s_delay_alu instid0(VALU_DEP_1) | instskip(SKIP_1) | instid1(VALU_DEP_1)
	v_pk_add_f32 v[70:71], v[70:71], v[76:77]
	s_wait_loadcnt 0x0
	v_pk_add_f32 v[70:71], v[184:185], v[70:71] neg_lo:[0,1] neg_hi:[0,1]
	scratch_store_b64 off, v[70:71], off offset:32
	s_wait_xcnt 0x0
	v_cmpx_lt_u32_e32 3, v0
	s_cbranch_execz .LBB33_211
; %bb.210:
	scratch_load_b64 v[70:71], off, off offset:24
	v_mov_b64_e32 v[72:73], 0
	scratch_store_b64 off, v[72:73], off offset:24
	s_wait_loadcnt 0x0
	ds_store_b64 v1, v[70:71]
.LBB33_211:
	s_wait_xcnt 0x0
	s_or_b32 exec_lo, exec_lo, s0
	s_wait_storecnt_dscnt 0x0
	s_barrier_signal -1
	s_barrier_wait -1
	s_clause 0xf
	scratch_load_b128 v[70:73], off, off offset:32
	scratch_load_b128 v[74:77], off, off offset:48
	scratch_load_b128 v[78:81], off, off offset:64
	scratch_load_b128 v[82:85], off, off offset:80
	scratch_load_b128 v[86:89], off, off offset:96
	scratch_load_b128 v[90:93], off, off offset:112
	scratch_load_b128 v[94:97], off, off offset:128
	scratch_load_b128 v[98:101], off, off offset:144
	scratch_load_b128 v[102:105], off, off offset:160
	scratch_load_b128 v[106:109], off, off offset:176
	scratch_load_b128 v[110:113], off, off offset:192
	scratch_load_b128 v[114:117], off, off offset:208
	scratch_load_b128 v[118:121], off, off offset:224
	scratch_load_b128 v[122:125], off, off offset:240
	scratch_load_b128 v[126:129], off, off offset:256
	scratch_load_b64 v[190:191], off, off offset:24
	ds_load_b128 v[130:133], v5 offset:480
	ds_load_b128 v[134:137], v5 offset:496
	;; [unrolled: 1-line block ×15, first 2 shown]
	s_mov_b32 s0, exec_lo
	s_wait_dscnt 0xe
	v_dual_mov_b32 v192, v133 :: v_dual_mov_b32 v193, v132
	s_wait_dscnt 0xd
	v_dual_mov_b32 v194, v137 :: v_dual_mov_b32 v195, v136
	;; [unrolled: 2-line block ×4, first 2 shown]
	s_wait_loadcnt_dscnt 0xf0a
	v_dual_mul_f32 v5, v146, v71 :: v_dual_mul_f32 v7, v148, v73
	v_dual_mul_f32 v47, v147, v71 :: v_dual_mul_f32 v49, v149, v73
	s_wait_loadcnt_dscnt 0xe09
	v_dual_mul_f32 v11, v150, v75 :: v_dual_mul_f32 v13, v152, v77
	s_delay_alu instid0(VALU_DEP_2) | instskip(SKIP_3) | instid1(VALU_DEP_3)
	v_dual_fmac_f32 v5, v147, v70 :: v_dual_fma_f32 v47, v146, v70, -v47
	v_dual_mul_f32 v51, v151, v75 :: v_dual_mul_f32 v53, v153, v77
	s_wait_loadcnt_dscnt 0xc06
	v_dual_mul_f32 v59, v163, v83 :: v_dual_fmac_f32 v7, v149, v72
	v_dual_fma_f32 v49, v148, v72, -v49 :: v_dual_add_f32 v5, 0, v5
	v_dual_add_f32 v47, 0, v47 :: v_dual_mul_f32 v61, v165, v85
	v_fmac_f32_e32 v11, v151, v74
	s_delay_alu instid0(VALU_DEP_3) | instskip(NEXT) | instid1(VALU_DEP_3)
	v_dual_fma_f32 v51, v150, v74, -v51 :: v_dual_add_f32 v5, v5, v7
	v_dual_add_f32 v7, v47, v49 :: v_dual_mul_f32 v15, v158, v79
	v_dual_mul_f32 v17, v160, v81 :: v_dual_mul_f32 v55, v159, v79
	s_wait_loadcnt_dscnt 0xb05
	v_dual_mul_f32 v57, v161, v81 :: v_dual_mul_f32 v47, v167, v87
	v_fmac_f32_e32 v13, v153, v76
	v_dual_fma_f32 v49, v152, v76, -v53 :: v_dual_add_f32 v5, v5, v11
	v_dual_add_f32 v7, v7, v51 :: v_dual_mul_f32 v11, v169, v89
	v_fmac_f32_e32 v15, v159, v78
	s_delay_alu instid0(VALU_DEP_3) | instskip(NEXT) | instid1(VALU_DEP_3)
	v_dual_fma_f32 v51, v158, v78, -v55 :: v_dual_add_f32 v5, v5, v13
	v_dual_add_f32 v7, v7, v49 :: v_dual_mul_f32 v19, v162, v83
	s_wait_loadcnt_dscnt 0xa04
	v_dual_mul_f32 v21, v164, v85 :: v_dual_mul_f32 v13, v171, v91
	v_fmac_f32_e32 v17, v161, v80
	v_dual_fma_f32 v49, v160, v80, -v57 :: v_dual_add_f32 v5, v5, v15
	v_dual_add_f32 v7, v7, v51 :: v_dual_mul_f32 v15, v173, v93
	v_fmac_f32_e32 v19, v163, v82
	s_delay_alu instid0(VALU_DEP_3) | instskip(NEXT) | instid1(VALU_DEP_3)
	v_dual_fma_f32 v51, v162, v82, -v59 :: v_dual_add_f32 v5, v5, v17
	v_dual_add_f32 v7, v7, v49 :: v_dual_mul_f32 v23, v166, v87
	;; [unrolled: 9-line block ×3, first 2 shown]
	s_wait_loadcnt_dscnt 0x802
	v_dual_mul_f32 v29, v172, v93 :: v_dual_mul_f32 v21, v179, v99
	v_dual_fmac_f32 v25, v169, v88 :: v_dual_fma_f32 v11, v168, v88, -v11
	v_add_f32_e32 v5, v5, v23
	v_dual_add_f32 v7, v7, v47 :: v_dual_mul_f32 v23, v181, v101
	v_dual_fmac_f32 v27, v171, v90 :: v_dual_fma_f32 v13, v170, v90, -v13
	s_delay_alu instid0(VALU_DEP_2) | instskip(SKIP_3) | instid1(VALU_DEP_3)
	v_dual_add_f32 v5, v5, v25 :: v_dual_add_f32 v7, v7, v11
	v_dual_mul_f32 v31, v174, v95 :: v_dual_mul_f32 v33, v176, v97
	s_wait_loadcnt_dscnt 0x701
	v_dual_mul_f32 v11, v183, v103 :: v_dual_fmac_f32 v29, v173, v92
	v_dual_fma_f32 v15, v172, v92, -v15 :: v_dual_add_f32 v5, v5, v27
	v_dual_add_f32 v7, v7, v13 :: v_dual_fma_f32 v17, v174, v94, -v17
	v_dual_mul_f32 v13, v185, v105 :: v_dual_fmac_f32 v31, v175, v94
	s_delay_alu instid0(VALU_DEP_2) | instskip(SKIP_3) | instid1(VALU_DEP_3)
	v_dual_add_f32 v5, v5, v29 :: v_dual_add_f32 v7, v7, v15
	v_dual_mul_f32 v35, v178, v99 :: v_dual_mul_f32 v37, v180, v101
	s_wait_loadcnt_dscnt 0x600
	v_dual_mul_f32 v15, v187, v107 :: v_dual_fmac_f32 v33, v177, v96
	v_dual_fma_f32 v19, v176, v96, -v19 :: v_dual_add_f32 v5, v5, v31
	v_dual_add_f32 v7, v7, v17 :: v_dual_fma_f32 v21, v178, v98, -v21
	v_dual_mul_f32 v17, v189, v109 :: v_dual_fmac_f32 v35, v179, v98
	s_delay_alu instid0(VALU_DEP_2) | instskip(SKIP_3) | instid1(VALU_DEP_3)
	v_dual_add_f32 v5, v5, v33 :: v_dual_add_f32 v7, v7, v19
	v_dual_mul_f32 v39, v182, v103 :: v_dual_mul_f32 v41, v184, v105
	s_wait_loadcnt 0x5
	v_dual_mul_f32 v19, v155, v111 :: v_dual_fmac_f32 v37, v181, v100
	v_dual_fma_f32 v23, v180, v100, -v23 :: v_dual_add_f32 v5, v5, v35
	v_dual_add_f32 v7, v7, v21 :: v_dual_fma_f32 v11, v182, v102, -v11
	v_dual_mul_f32 v21, v157, v113 :: v_dual_fmac_f32 v39, v183, v102
	s_delay_alu instid0(VALU_DEP_2) | instskip(SKIP_2) | instid1(VALU_DEP_3)
	v_dual_add_f32 v5, v5, v37 :: v_dual_add_f32 v7, v7, v23
	v_dual_mul_f32 v43, v186, v107 :: v_dual_mul_f32 v45, v188, v109
	v_fmac_f32_e32 v41, v185, v104
	v_dual_fma_f32 v13, v184, v104, -v13 :: v_dual_add_f32 v5, v5, v39
	s_wait_loadcnt 0x4
	v_dual_add_f32 v7, v7, v11 :: v_dual_mov_b32 v72, v117
	v_fmac_f32_e32 v43, v187, v106
	s_delay_alu instid0(VALU_DEP_3) | instskip(NEXT) | instid1(VALU_DEP_3)
	v_dual_fma_f32 v11, v186, v106, -v15 :: v_dual_add_f32 v5, v5, v41
	v_dual_add_f32 v7, v7, v13 :: v_dual_fmac_f32 v45, v189, v108
	v_dual_mul_f32 v201, v154, v111 :: v_dual_mul_f32 v203, v156, v113
	s_delay_alu instid0(VALU_DEP_3) | instskip(SKIP_1) | instid1(VALU_DEP_3)
	v_dual_fma_f32 v13, v188, v108, -v17 :: v_dual_add_f32 v5, v5, v43
	s_wait_loadcnt 0x3
	v_dual_add_f32 v7, v7, v11 :: v_dual_mov_b32 v76, v121
	v_pk_mul_f32 v[70:71], v[130:131], v[114:115] op_sel:[1,1] op_sel_hi:[0,1]
	v_dual_fmac_f32 v201, v155, v110 :: v_dual_fma_f32 v200, v154, v110, -v19
	v_dual_add_f32 v79, v5, v45 :: v_dual_fma_f32 v202, v156, v112, -v21
	s_delay_alu instid0(VALU_DEP_4) | instskip(NEXT) | instid1(VALU_DEP_4)
	v_dual_add_f32 v78, v7, v13 :: v_dual_fmac_f32 v203, v157, v112
	v_pk_fma_f32 v[80:81], v[130:131], v[114:115], v[70:71] op_sel_hi:[1,0,1]
	v_pk_mul_f32 v[72:73], v[192:193], v[72:73] op_sel_hi:[1,0]
	v_pk_fma_f32 v[70:71], v[130:131], v[114:115], v[70:71] neg_lo:[0,0,1] neg_hi:[0,0,1]
	s_delay_alu instid0(VALU_DEP_4)
	v_pk_add_f32 v[78:79], v[78:79], v[200:201]
	v_pk_mul_f32 v[74:75], v[134:135], v[118:119] op_sel:[1,1] op_sel_hi:[0,1]
	v_mov_b32_e32 v71, v81
	v_pk_fma_f32 v[80:81], v[132:133], v[116:117], v[72:73] op_sel_hi:[1,0,1]
	v_pk_fma_f32 v[72:73], v[132:133], v[116:117], v[72:73] neg_lo:[0,0,1] neg_hi:[0,0,1]
	v_pk_add_f32 v[78:79], v[78:79], v[202:203]
	v_pk_fma_f32 v[84:85], v[134:135], v[118:119], v[74:75] op_sel_hi:[1,0,1]
	v_pk_mul_f32 v[76:77], v[194:195], v[76:77] op_sel_hi:[1,0]
	v_mov_b32_e32 v73, v81
	s_wait_loadcnt 0x2
	v_pk_mul_f32 v[82:83], v[138:139], v[122:123] op_sel:[1,1] op_sel_hi:[0,1]
	v_pk_add_f32 v[70:71], v[78:79], v[70:71]
	v_mov_b32_e32 v78, v125
	v_pk_fma_f32 v[74:75], v[134:135], v[118:119], v[74:75] neg_lo:[0,0,1] neg_hi:[0,0,1]
	v_mov_b32_e32 v75, v85
	v_pk_fma_f32 v[80:81], v[136:137], v[120:121], v[76:77] op_sel_hi:[1,0,1]
	v_pk_add_f32 v[70:71], v[70:71], v[72:73]
	v_pk_fma_f32 v[72:73], v[138:139], v[122:123], v[82:83] op_sel_hi:[1,0,1]
	v_pk_mul_f32 v[78:79], v[196:197], v[78:79] op_sel_hi:[1,0]
	v_pk_fma_f32 v[76:77], v[136:137], v[120:121], v[76:77] neg_lo:[0,0,1] neg_hi:[0,0,1]
	v_mov_b32_e32 v77, v81
	v_pk_add_f32 v[70:71], v[70:71], v[74:75]
	v_pk_fma_f32 v[80:81], v[138:139], v[122:123], v[82:83] neg_lo:[0,0,1] neg_hi:[0,0,1]
	v_mov_b32_e32 v81, v73
	v_pk_fma_f32 v[72:73], v[140:141], v[124:125], v[78:79] op_sel_hi:[1,0,1]
	s_wait_loadcnt 0x1
	v_pk_mul_f32 v[74:75], v[142:143], v[126:127] op_sel:[1,1] op_sel_hi:[0,1]
	v_pk_add_f32 v[70:71], v[70:71], v[76:77]
	v_mov_b32_e32 v72, v129
	v_pk_fma_f32 v[78:79], v[140:141], v[124:125], v[78:79] neg_lo:[0,0,1] neg_hi:[0,0,1]
	v_mov_b32_e32 v79, v73
	v_pk_fma_f32 v[76:77], v[142:143], v[126:127], v[74:75] op_sel_hi:[1,0,1]
	v_pk_add_f32 v[70:71], v[70:71], v[80:81]
	v_pk_mul_f32 v[72:73], v[198:199], v[72:73] op_sel_hi:[1,0]
	v_pk_fma_f32 v[74:75], v[142:143], v[126:127], v[74:75] neg_lo:[0,0,1] neg_hi:[0,0,1]
	s_delay_alu instid0(VALU_DEP_4) | instskip(NEXT) | instid1(VALU_DEP_4)
	v_mov_b32_e32 v75, v77
	v_pk_add_f32 v[70:71], v[70:71], v[78:79]
	s_delay_alu instid0(VALU_DEP_4) | instskip(SKIP_1) | instid1(VALU_DEP_2)
	v_pk_fma_f32 v[76:77], v[144:145], v[128:129], v[72:73] op_sel_hi:[1,0,1]
	v_pk_fma_f32 v[72:73], v[144:145], v[128:129], v[72:73] neg_lo:[0,0,1] neg_hi:[0,0,1]
	v_mov_b32_e32 v73, v77
	s_delay_alu instid0(VALU_DEP_4) | instskip(NEXT) | instid1(VALU_DEP_1)
	v_pk_add_f32 v[70:71], v[70:71], v[74:75]
	v_pk_add_f32 v[70:71], v[70:71], v[72:73]
	s_wait_loadcnt 0x0
	s_delay_alu instid0(VALU_DEP_1)
	v_pk_add_f32 v[70:71], v[190:191], v[70:71] neg_lo:[0,1] neg_hi:[0,1]
	scratch_store_b64 off, v[70:71], off offset:24
	s_wait_xcnt 0x0
	v_cmpx_lt_u32_e32 2, v0
	s_cbranch_execz .LBB33_213
; %bb.212:
	scratch_load_b64 v[70:71], off, off offset:16
	v_mov_b64_e32 v[72:73], 0
	scratch_store_b64 off, v[72:73], off offset:16
	s_wait_loadcnt 0x0
	ds_store_b64 v1, v[70:71]
.LBB33_213:
	s_wait_xcnt 0x0
	s_or_b32 exec_lo, exec_lo, s0
	s_wait_storecnt_dscnt 0x0
	s_barrier_signal -1
	s_barrier_wait -1
	s_clause 0x10
	scratch_load_b128 v[70:73], off, off offset:24
	scratch_load_b128 v[74:77], off, off offset:40
	;; [unrolled: 1-line block ×15, first 2 shown]
	scratch_load_b64 v[190:191], off, off offset:264
	scratch_load_b64 v[192:193], off, off offset:16
	v_mov_b32_e32 v49, 0
	ds_load_2addr_b64 v[130:133], v49 offset0:59 offset1:60
	ds_load_2addr_b64 v[134:137], v49 offset0:61 offset1:62
	;; [unrolled: 1-line block ×15, first 2 shown]
	ds_load_b64 v[194:195], v49 offset:536
	s_mov_b32 s0, exec_lo
	s_wait_dscnt 0xf
	v_dual_mov_b32 v196, v133 :: v_dual_mov_b32 v197, v132
	s_wait_dscnt 0xc
	v_dual_mov_b32 v198, v137 :: v_dual_mov_b32 v203, v144
	v_dual_mov_b32 v199, v136 :: v_dual_mov_b32 v200, v141
	;; [unrolled: 1-line block ×3, first 2 shown]
	s_wait_loadcnt_dscnt 0x100b
	v_dual_mul_f32 v5, v146, v71 :: v_dual_mul_f32 v51, v147, v71
	v_dual_mul_f32 v53, v149, v73 :: v_dual_mul_f32 v7, v148, v73
	s_wait_loadcnt_dscnt 0xf09
	v_mul_f32_e32 v11, v154, v75
	s_wait_loadcnt_dscnt 0xd07
	v_dual_mul_f32 v63, v163, v83 :: v_dual_fma_f32 v51, v146, v70, -v51
	v_dual_fmac_f32 v5, v147, v70 :: v_dual_mul_f32 v65, v165, v85
	v_dual_mul_f32 v55, v155, v75 :: v_dual_mul_f32 v57, v157, v77
	v_dual_fmac_f32 v7, v149, v72 :: v_dual_fma_f32 v53, v148, v72, -v53
	s_delay_alu instid0(VALU_DEP_3) | instskip(SKIP_3) | instid1(VALU_DEP_3)
	v_dual_add_f32 v5, 0, v5 :: v_dual_add_f32 v51, 0, v51
	v_dual_mul_f32 v13, v156, v77 :: v_dual_mul_f32 v15, v158, v79
	s_wait_loadcnt_dscnt 0xc06
	v_dual_mul_f32 v67, v167, v87 :: v_dual_fma_f32 v55, v154, v74, -v55
	v_dual_fmac_f32 v11, v155, v74 :: v_dual_add_f32 v5, v5, v7
	s_delay_alu instid0(VALU_DEP_3) | instskip(SKIP_2) | instid1(VALU_DEP_4)
	v_dual_add_f32 v7, v51, v53 :: v_dual_fmac_f32 v13, v157, v76
	v_dual_mul_f32 v59, v159, v79 :: v_dual_mul_f32 v61, v161, v81
	v_dual_mul_f32 v51, v169, v89 :: v_dual_fma_f32 v53, v156, v76, -v57
	v_dual_add_f32 v5, v5, v11 :: v_dual_fmac_f32 v15, v159, v78
	s_delay_alu instid0(VALU_DEP_3) | instskip(SKIP_2) | instid1(VALU_DEP_3)
	v_dual_add_f32 v7, v7, v55 :: v_dual_fma_f32 v55, v158, v78, -v59
	v_dual_mul_f32 v17, v160, v81 :: v_dual_mul_f32 v19, v162, v83
	s_wait_loadcnt_dscnt 0xb05
	v_dual_mul_f32 v11, v171, v91 :: v_dual_add_f32 v5, v5, v13
	s_delay_alu instid0(VALU_DEP_2) | instskip(SKIP_1) | instid1(VALU_DEP_3)
	v_dual_add_f32 v7, v7, v53 :: v_dual_fmac_f32 v17, v161, v80
	v_dual_mul_f32 v13, v173, v93 :: v_dual_fma_f32 v53, v160, v80, -v61
	v_dual_add_f32 v5, v5, v15 :: v_dual_fmac_f32 v19, v163, v82
	s_delay_alu instid0(VALU_DEP_3) | instskip(SKIP_2) | instid1(VALU_DEP_3)
	v_dual_add_f32 v7, v7, v55 :: v_dual_fma_f32 v55, v162, v82, -v63
	v_dual_mul_f32 v21, v164, v85 :: v_dual_mul_f32 v23, v166, v87
	s_wait_loadcnt_dscnt 0xa04
	v_dual_mul_f32 v15, v175, v95 :: v_dual_add_f32 v5, v5, v17
	s_delay_alu instid0(VALU_DEP_2) | instskip(SKIP_1) | instid1(VALU_DEP_3)
	v_dual_add_f32 v7, v7, v53 :: v_dual_fmac_f32 v21, v165, v84
	;; [unrolled: 9-line block ×3, first 2 shown]
	v_dual_mul_f32 v21, v181, v101 :: v_dual_fma_f32 v51, v168, v88, -v51
	v_dual_add_f32 v5, v5, v23 :: v_dual_fmac_f32 v27, v171, v90
	s_delay_alu instid0(VALU_DEP_3) | instskip(SKIP_2) | instid1(VALU_DEP_3)
	v_dual_add_f32 v7, v7, v55 :: v_dual_fma_f32 v11, v170, v90, -v11
	v_dual_mul_f32 v29, v172, v93 :: v_dual_mul_f32 v31, v174, v95
	s_wait_loadcnt_dscnt 0x802
	v_dual_mul_f32 v23, v183, v103 :: v_dual_add_f32 v5, v5, v25
	s_delay_alu instid0(VALU_DEP_3) | instskip(NEXT) | instid1(VALU_DEP_3)
	v_dual_add_f32 v7, v7, v51 :: v_dual_mul_f32 v25, v185, v105
	v_fmac_f32_e32 v29, v173, v92
	s_delay_alu instid0(VALU_DEP_3) | instskip(NEXT) | instid1(VALU_DEP_3)
	v_dual_fma_f32 v13, v172, v92, -v13 :: v_dual_add_f32 v5, v5, v27
	v_dual_add_f32 v7, v7, v11 :: v_dual_mul_f32 v33, v176, v97
	v_mul_f32_e32 v35, v178, v99
	s_wait_loadcnt_dscnt 0x701
	v_dual_mul_f32 v11, v187, v107 :: v_dual_fma_f32 v15, v174, v94, -v15
	v_dual_fmac_f32 v31, v175, v94 :: v_dual_add_f32 v5, v5, v29
	v_dual_add_f32 v7, v7, v13 :: v_dual_fmac_f32 v33, v177, v96
	v_dual_mul_f32 v13, v189, v109 :: v_dual_fma_f32 v17, v176, v96, -v17
	s_delay_alu instid0(VALU_DEP_3) | instskip(NEXT) | instid1(VALU_DEP_3)
	v_dual_add_f32 v5, v5, v31 :: v_dual_fmac_f32 v35, v179, v98
	v_dual_add_f32 v7, v7, v15 :: v_dual_fma_f32 v19, v178, v98, -v19
	v_dual_mul_f32 v37, v180, v101 :: v_dual_mul_f32 v39, v182, v103
	s_wait_loadcnt 0x6
	s_delay_alu instid0(VALU_DEP_3) | instskip(NEXT) | instid1(VALU_DEP_2)
	v_dual_mul_f32 v15, v151, v111 :: v_dual_add_f32 v5, v5, v33
	v_dual_add_f32 v7, v7, v17 :: v_dual_fmac_f32 v37, v181, v100
	v_dual_mul_f32 v17, v153, v113 :: v_dual_fma_f32 v21, v180, v100, -v21
	s_delay_alu instid0(VALU_DEP_3) | instskip(NEXT) | instid1(VALU_DEP_3)
	v_dual_add_f32 v5, v5, v35 :: v_dual_fmac_f32 v39, v183, v102
	v_dual_add_f32 v7, v7, v19 :: v_dual_fma_f32 v23, v182, v102, -v23
	v_dual_mul_f32 v41, v184, v105 :: v_dual_mul_f32 v43, v186, v107
	s_wait_loadcnt 0x5
	s_delay_alu instid0(VALU_DEP_3) | instskip(NEXT) | instid1(VALU_DEP_3)
	v_dual_mul_f32 v19, v131, v115 :: v_dual_add_f32 v5, v5, v37
	v_dual_add_f32 v7, v7, v21 :: v_dual_mov_b32 v70, v117
	s_delay_alu instid0(VALU_DEP_3) | instskip(NEXT) | instid1(VALU_DEP_3)
	v_fmac_f32_e32 v41, v185, v104
	v_dual_fma_f32 v21, v184, v104, -v25 :: v_dual_add_f32 v5, v5, v39
	s_delay_alu instid0(VALU_DEP_3) | instskip(SKIP_1) | instid1(VALU_DEP_3)
	v_dual_add_f32 v7, v7, v23 :: v_dual_mul_f32 v45, v188, v109
	v_dual_mul_f32 v47, v150, v111 :: v_dual_fmac_f32 v43, v187, v106
	v_dual_add_f32 v5, v5, v41 :: v_dual_fma_f32 v11, v186, v106, -v11
	s_wait_loadcnt 0x4
	s_delay_alu instid0(VALU_DEP_3) | instskip(SKIP_3) | instid1(VALU_DEP_4)
	v_dual_add_f32 v7, v7, v21 :: v_dual_mov_b32 v74, v121
	v_fma_f32 v13, v188, v108, -v13
	v_fmac_f32_e32 v45, v189, v108
	v_dual_add_f32 v5, v5, v43 :: v_dual_fmac_f32 v47, v151, v110
	v_dual_add_f32 v7, v7, v11 :: v_dual_mul_f32 v205, v152, v113
	v_mul_f32_e32 v207, v130, v115
	s_delay_alu instid0(VALU_DEP_3) | instskip(NEXT) | instid1(VALU_DEP_3)
	v_dual_fma_f32 v11, v150, v110, -v15 :: v_dual_add_f32 v5, v5, v45
	v_dual_add_f32 v7, v7, v13 :: v_dual_fmac_f32 v205, v153, v112
	v_pk_mul_f32 v[72:73], v[134:135], v[118:119] op_sel:[1,1] op_sel_hi:[0,1]
	s_delay_alu instid0(VALU_DEP_3)
	v_dual_fma_f32 v204, v152, v112, -v17 :: v_dual_add_f32 v79, v5, v47
	v_pk_mul_f32 v[70:71], v[196:197], v[70:71] op_sel_hi:[1,0]
	s_wait_loadcnt 0x3
	v_dual_add_f32 v78, v7, v11 :: v_dual_mov_b32 v80, v125
	v_pk_fma_f32 v[84:85], v[134:135], v[118:119], v[72:73] op_sel_hi:[1,0,1]
	v_fmac_f32_e32 v207, v131, v114
	v_pk_fma_f32 v[82:83], v[132:133], v[116:117], v[70:71] op_sel_hi:[1,0,1]
	v_fma_f32 v206, v130, v114, -v19
	v_pk_add_f32 v[78:79], v[78:79], v[204:205]
	v_pk_fma_f32 v[70:71], v[132:133], v[116:117], v[70:71] neg_lo:[0,0,1] neg_hi:[0,0,1]
	v_pk_fma_f32 v[72:73], v[134:135], v[118:119], v[72:73] neg_lo:[0,0,1] neg_hi:[0,0,1]
	v_pk_mul_f32 v[74:75], v[198:199], v[74:75] op_sel_hi:[1,0]
	v_dual_mov_b32 v71, v83 :: v_dual_mov_b32 v73, v85
	v_pk_add_f32 v[78:79], v[78:79], v[206:207]
	v_pk_mul_f32 v[76:77], v[138:139], v[122:123] op_sel:[1,1] op_sel_hi:[0,1]
	s_delay_alu instid0(VALU_DEP_4)
	v_pk_fma_f32 v[84:85], v[136:137], v[120:121], v[74:75] op_sel_hi:[1,0,1]
	v_pk_fma_f32 v[74:75], v[136:137], v[120:121], v[74:75] neg_lo:[0,0,1] neg_hi:[0,0,1]
	v_pk_mul_f32 v[80:81], v[200:201], v[80:81] op_sel_hi:[1,0]
	v_pk_add_f32 v[70:71], v[78:79], v[70:71]
	v_pk_fma_f32 v[78:79], v[138:139], v[122:123], v[76:77] op_sel_hi:[1,0,1]
	v_mov_b32_e32 v75, v85
	v_pk_fma_f32 v[76:77], v[138:139], v[122:123], v[76:77] neg_lo:[0,0,1] neg_hi:[0,0,1]
	s_wait_loadcnt 0x2
	v_pk_mul_f32 v[82:83], v[142:143], v[126:127] op_sel:[1,1] op_sel_hi:[0,1]
	v_pk_add_f32 v[70:71], v[70:71], v[72:73]
	v_dual_mov_b32 v72, v129 :: v_dual_mov_b32 v77, v79
	v_pk_fma_f32 v[78:79], v[140:141], v[124:125], v[80:81] op_sel_hi:[1,0,1]
	v_pk_fma_f32 v[80:81], v[140:141], v[124:125], v[80:81] neg_lo:[0,0,1] neg_hi:[0,0,1]
	s_delay_alu instid0(VALU_DEP_4)
	v_pk_add_f32 v[70:71], v[70:71], v[74:75]
	v_pk_fma_f32 v[74:75], v[142:143], v[126:127], v[82:83] op_sel_hi:[1,0,1]
	v_pk_mul_f32 v[72:73], v[202:203], v[72:73] op_sel_hi:[1,0]
	v_mov_b32_e32 v81, v79
	s_wait_loadcnt_dscnt 0x100
	v_pk_mul_f32 v[78:79], v[194:195], v[190:191] op_sel:[1,1] op_sel_hi:[0,1]
	v_pk_add_f32 v[70:71], v[70:71], v[76:77]
	v_pk_fma_f32 v[76:77], v[142:143], v[126:127], v[82:83] neg_lo:[0,0,1] neg_hi:[0,0,1]
	v_mov_b32_e32 v77, v75
	v_pk_fma_f32 v[74:75], v[144:145], v[128:129], v[72:73] op_sel_hi:[1,0,1]
	v_pk_fma_f32 v[72:73], v[144:145], v[128:129], v[72:73] neg_lo:[0,0,1] neg_hi:[0,0,1]
	v_pk_add_f32 v[70:71], v[70:71], v[80:81]
	s_delay_alu instid0(VALU_DEP_3) | instskip(SKIP_1) | instid1(VALU_DEP_3)
	v_mov_b32_e32 v73, v75
	v_pk_fma_f32 v[74:75], v[194:195], v[190:191], v[78:79] op_sel_hi:[1,0,1]
	v_pk_add_f32 v[70:71], v[70:71], v[76:77]
	v_pk_fma_f32 v[76:77], v[194:195], v[190:191], v[78:79] neg_lo:[0,0,1] neg_hi:[0,0,1]
	s_delay_alu instid0(VALU_DEP_3) | instskip(NEXT) | instid1(VALU_DEP_3)
	v_mov_b32_e32 v77, v75
	v_pk_add_f32 v[70:71], v[70:71], v[72:73]
	s_delay_alu instid0(VALU_DEP_1) | instskip(SKIP_1) | instid1(VALU_DEP_1)
	v_pk_add_f32 v[70:71], v[70:71], v[76:77]
	s_wait_loadcnt 0x0
	v_pk_add_f32 v[70:71], v[192:193], v[70:71] neg_lo:[0,1] neg_hi:[0,1]
	scratch_store_b64 off, v[70:71], off offset:16
	s_wait_xcnt 0x0
	v_cmpx_lt_u32_e32 1, v0
	s_cbranch_execz .LBB33_215
; %bb.214:
	scratch_load_b64 v[70:71], off, off offset:8
	v_mov_b64_e32 v[72:73], 0
	scratch_store_b64 off, v[72:73], off offset:8
	s_wait_loadcnt 0x0
	ds_store_b64 v1, v[70:71]
.LBB33_215:
	s_wait_xcnt 0x0
	s_or_b32 exec_lo, exec_lo, s0
	s_wait_storecnt_dscnt 0x0
	s_barrier_signal -1
	s_barrier_wait -1
	s_clause 0x10
	scratch_load_b128 v[70:73], off, off offset:16
	scratch_load_b128 v[74:77], off, off offset:32
	;; [unrolled: 1-line block ×16, first 2 shown]
	scratch_load_b64 v[198:199], off, off offset:8
	ds_load_b128 v[134:137], v49 offset:480
	ds_load_b128 v[138:141], v49 offset:496
	ds_load_b128 v[142:145], v49 offset:512
	ds_load_b128 v[146:149], v49 offset:528
	ds_load_b128 v[150:153], v49 offset:288
	ds_load_b128 v[154:157], v49 offset:304
	ds_load_b128 v[158:161], v49 offset:320
	ds_load_b128 v[162:165], v49 offset:336
	ds_load_b128 v[166:169], v49 offset:352
	ds_load_b128 v[170:173], v49 offset:368
	ds_load_b128 v[174:177], v49 offset:384
	ds_load_b128 v[178:181], v49 offset:400
	ds_load_b128 v[182:185], v49 offset:416
	ds_load_b128 v[186:189], v49 offset:432
	ds_load_b128 v[190:193], v49 offset:448
	ds_load_b128 v[194:197], v49 offset:464
	v_dual_ashrrev_i32 v47, 31, v46 :: v_dual_ashrrev_i32 v5, 31, v4
	v_ashrrev_i32_e32 v7, 31, v6
	v_dual_ashrrev_i32 v11, 31, v10 :: v_dual_ashrrev_i32 v13, 31, v12
	v_dual_ashrrev_i32 v15, 31, v14 :: v_dual_ashrrev_i32 v17, 31, v16
	;; [unrolled: 1-line block ×6, first 2 shown]
	s_wait_dscnt 0xf
	v_dual_mov_b32 v200, v137 :: v_dual_mov_b32 v201, v136
	s_wait_dscnt 0xc
	v_dual_mov_b32 v202, v141 :: v_dual_mov_b32 v207, v148
	v_dual_mov_b32 v203, v140 :: v_dual_mov_b32 v204, v145
	v_dual_mov_b32 v205, v144 :: v_dual_mov_b32 v206, v149
	v_dual_ashrrev_i32 v35, 31, v34 :: v_dual_ashrrev_i32 v37, 31, v36
	v_dual_ashrrev_i32 v39, 31, v38 :: v_dual_ashrrev_i32 v41, 31, v40
	;; [unrolled: 1-line block ×3, first 2 shown]
	s_mov_b32 s0, exec_lo
	s_wait_loadcnt_dscnt 0x100b
	v_dual_mul_f32 v49, v150, v71 :: v_dual_mul_f32 v51, v152, v73
	s_wait_loadcnt_dscnt 0xe09
	v_dual_mul_f32 v53, v154, v75 :: v_dual_mul_f32 v59, v160, v81
	s_wait_loadcnt_dscnt 0xd08
	v_dual_mul_f32 v61, v162, v83 :: v_dual_mul_f32 v73, v153, v73
	v_mul_f32_e32 v75, v155, v75
	v_dual_mul_f32 v71, v151, v71 :: v_dual_mul_f32 v81, v161, v81
	v_dual_fmac_f32 v49, v151, v70 :: v_dual_fmac_f32 v51, v153, v72
	s_delay_alu instid0(VALU_DEP_4) | instskip(SKIP_1) | instid1(VALU_DEP_3)
	v_fma_f32 v72, v152, v72, -v73
	s_wait_loadcnt_dscnt 0x500
	v_dual_mul_f32 v211, v196, v117 :: v_dual_fma_f32 v70, v150, v70, -v71
	s_delay_alu instid0(VALU_DEP_3) | instskip(SKIP_1) | instid1(VALU_DEP_3)
	v_dual_mul_f32 v71, v163, v83 :: v_dual_add_f32 v49, 0, v49
	v_dual_mul_f32 v55, v156, v77 :: v_dual_mul_f32 v57, v158, v79
	v_dual_add_f32 v70, 0, v70 :: v_dual_mul_f32 v77, v157, v77
	v_dual_mul_f32 v79, v159, v79 :: v_dual_mul_f32 v73, v165, v85
	v_dual_fmac_f32 v53, v155, v74 :: v_dual_fma_f32 v74, v154, v74, -v75
	s_delay_alu instid0(VALU_DEP_3) | instskip(SKIP_1) | instid1(VALU_DEP_2)
	v_dual_add_f32 v49, v49, v51 :: v_dual_add_f32 v51, v70, v72
	v_dual_mul_f32 v70, v167, v87 :: v_dual_fmac_f32 v55, v157, v76
	v_dual_fma_f32 v72, v156, v76, -v77 :: v_dual_add_f32 v49, v49, v53
	s_delay_alu instid0(VALU_DEP_3) | instskip(SKIP_1) | instid1(VALU_DEP_2)
	v_dual_add_f32 v51, v51, v74 :: v_dual_mul_f32 v53, v169, v89
	v_dual_fmac_f32 v57, v159, v78 :: v_dual_fma_f32 v74, v158, v78, -v79
	v_dual_add_f32 v49, v49, v55 :: v_dual_add_f32 v51, v51, v72
	v_dual_mul_f32 v55, v171, v91 :: v_dual_fmac_f32 v59, v161, v80
	v_dual_mul_f32 v63, v164, v85 :: v_dual_mul_f32 v65, v166, v87
	s_delay_alu instid0(VALU_DEP_3) | instskip(NEXT) | instid1(VALU_DEP_4)
	v_dual_add_f32 v49, v49, v57 :: v_dual_fma_f32 v72, v160, v80, -v81
	v_dual_add_f32 v51, v51, v74 :: v_dual_mul_f32 v57, v173, v93
	v_dual_fmac_f32 v61, v163, v82 :: v_dual_fma_f32 v71, v162, v82, -v71
	s_delay_alu instid0(VALU_DEP_2) | instskip(SKIP_2) | instid1(VALU_DEP_3)
	v_dual_add_f32 v49, v49, v59 :: v_dual_add_f32 v51, v51, v72
	v_dual_mul_f32 v59, v175, v95 :: v_dual_fmac_f32 v63, v165, v84
	v_dual_mul_f32 v67, v168, v89 :: v_dual_mul_f32 v69, v170, v91
	v_dual_add_f32 v49, v49, v61 :: v_dual_fma_f32 v72, v164, v84, -v73
	s_delay_alu instid0(VALU_DEP_4) | instskip(SKIP_1) | instid1(VALU_DEP_2)
	v_dual_add_f32 v51, v51, v71 :: v_dual_mul_f32 v61, v177, v97
	v_dual_fmac_f32 v65, v167, v86 :: v_dual_fma_f32 v70, v166, v86, -v70
	v_dual_add_f32 v49, v49, v63 :: v_dual_add_f32 v51, v51, v72
	v_dual_mul_f32 v63, v179, v99 :: v_dual_fmac_f32 v67, v169, v88
	v_dual_mul_f32 v208, v172, v93 :: v_dual_mul_f32 v210, v174, v95
	s_delay_alu instid0(VALU_DEP_3) | instskip(NEXT) | instid1(VALU_DEP_4)
	v_dual_add_f32 v49, v49, v65 :: v_dual_fma_f32 v53, v168, v88, -v53
	v_dual_add_f32 v51, v51, v70 :: v_dual_mul_f32 v65, v181, v101
	v_dual_fmac_f32 v69, v171, v90 :: v_dual_fma_f32 v55, v170, v90, -v55
	s_delay_alu instid0(VALU_DEP_2) | instskip(SKIP_1) | instid1(VALU_DEP_2)
	v_dual_add_f32 v49, v49, v67 :: v_dual_add_f32 v51, v51, v53
	v_dual_fmac_f32 v208, v173, v92 :: v_dual_mul_f32 v53, v183, v103
	v_dual_fma_f32 v57, v172, v92, -v57 :: v_dual_add_f32 v49, v49, v69
	s_delay_alu instid0(VALU_DEP_3) | instskip(SKIP_2) | instid1(VALU_DEP_3)
	v_dual_add_f32 v51, v51, v55 :: v_dual_mul_f32 v212, v176, v97
	v_dual_mul_f32 v213, v178, v99 :: v_dual_mul_f32 v55, v185, v105
	v_dual_fmac_f32 v210, v175, v94 :: v_dual_fma_f32 v59, v174, v94, -v59
	v_dual_add_f32 v49, v49, v208 :: v_dual_add_f32 v51, v51, v57
	s_delay_alu instid0(VALU_DEP_4) | instskip(NEXT) | instid1(VALU_DEP_2)
	v_dual_fmac_f32 v212, v177, v96 :: v_dual_mul_f32 v57, v187, v107
	v_dual_fma_f32 v61, v176, v96, -v61 :: v_dual_add_f32 v49, v49, v210
	s_delay_alu instid0(VALU_DEP_3) | instskip(SKIP_2) | instid1(VALU_DEP_3)
	v_dual_add_f32 v51, v51, v59 :: v_dual_mul_f32 v214, v180, v101
	v_dual_mul_f32 v215, v182, v103 :: v_dual_mul_f32 v59, v189, v109
	v_dual_fmac_f32 v213, v179, v98 :: v_dual_fma_f32 v63, v178, v98, -v63
	v_dual_add_f32 v49, v49, v212 :: v_dual_add_f32 v51, v51, v61
	s_delay_alu instid0(VALU_DEP_4) | instskip(NEXT) | instid1(VALU_DEP_2)
	;; [unrolled: 8-line block ×3, first 2 shown]
	v_dual_mul_f32 v65, v195, v115 :: v_dual_fmac_f32 v216, v185, v104
	v_dual_fma_f32 v55, v184, v104, -v55 :: v_dual_add_f32 v51, v51, v53
	s_delay_alu instid0(VALU_DEP_3) | instskip(SKIP_2) | instid1(VALU_DEP_3)
	v_dual_add_f32 v49, v49, v215 :: v_dual_mul_f32 v218, v188, v109
	v_dual_mul_f32 v219, v190, v111 :: v_dual_mul_f32 v53, v197, v117
	v_fmac_f32_e32 v217, v187, v106
	v_dual_fma_f32 v57, v186, v106, -v57 :: v_dual_add_f32 v49, v49, v216
	s_delay_alu instid0(VALU_DEP_4) | instskip(SKIP_2) | instid1(VALU_DEP_4)
	v_dual_add_f32 v51, v51, v55 :: v_dual_fmac_f32 v218, v189, v108
	v_fma_f32 v55, v188, v108, -v59
	v_dual_mul_f32 v220, v192, v113 :: v_dual_mul_f32 v209, v194, v115
	v_add_f32_e32 v49, v49, v217
	s_wait_loadcnt 0x4
	v_dual_add_f32 v51, v51, v57 :: v_dual_mov_b32 v72, v121
	v_dual_fmac_f32 v219, v191, v110 :: v_dual_fma_f32 v57, v190, v110, -v61
	s_delay_alu instid0(VALU_DEP_2) | instskip(SKIP_2) | instid1(VALU_DEP_3)
	v_dual_add_f32 v49, v49, v218 :: v_dual_add_f32 v51, v51, v55
	v_dual_fmac_f32 v220, v193, v112 :: v_dual_fma_f32 v55, v192, v112, -v63
	v_pk_mul_f32 v[70:71], v[134:135], v[118:119] op_sel:[1,1] op_sel_hi:[0,1]
	v_dual_add_f32 v49, v49, v219 :: v_dual_add_f32 v51, v51, v57
	s_wait_loadcnt 0x3
	v_dual_mov_b32 v76, v125 :: v_dual_fmac_f32 v209, v195, v114
	s_delay_alu instid0(VALU_DEP_2) | instskip(NEXT) | instid1(VALU_DEP_3)
	v_dual_fma_f32 v208, v194, v114, -v65 :: v_dual_add_f32 v79, v49, v220
	v_dual_add_f32 v78, v51, v55 :: v_dual_fmac_f32 v211, v197, v116
	v_pk_fma_f32 v[80:81], v[134:135], v[118:119], v[70:71] op_sel_hi:[1,0,1]
	v_fma_f32 v210, v196, v116, -v53
	v_pk_mul_f32 v[72:73], v[200:201], v[72:73] op_sel_hi:[1,0]
	s_delay_alu instid0(VALU_DEP_4)
	v_pk_add_f32 v[78:79], v[78:79], v[208:209]
	v_pk_fma_f32 v[70:71], v[134:135], v[118:119], v[70:71] neg_lo:[0,0,1] neg_hi:[0,0,1]
	v_pk_mul_f32 v[74:75], v[138:139], v[122:123] op_sel:[1,1] op_sel_hi:[0,1]
	v_mov_b32_e32 v71, v81
	v_pk_fma_f32 v[80:81], v[136:137], v[120:121], v[72:73] op_sel_hi:[1,0,1]
	v_pk_add_f32 v[78:79], v[78:79], v[210:211]
	v_pk_fma_f32 v[72:73], v[136:137], v[120:121], v[72:73] neg_lo:[0,0,1] neg_hi:[0,0,1]
	v_pk_fma_f32 v[84:85], v[138:139], v[122:123], v[74:75] op_sel_hi:[1,0,1]
	v_pk_mul_f32 v[76:77], v[202:203], v[76:77] op_sel_hi:[1,0]
	v_mov_b32_e32 v73, v81
	v_pk_add_f32 v[70:71], v[78:79], v[70:71]
	s_wait_loadcnt 0x2
	v_pk_mul_f32 v[82:83], v[142:143], v[126:127] op_sel:[1,1] op_sel_hi:[0,1]
	v_mov_b32_e32 v78, v129
	v_pk_fma_f32 v[74:75], v[138:139], v[122:123], v[74:75] neg_lo:[0,0,1] neg_hi:[0,0,1]
	v_pk_fma_f32 v[80:81], v[140:141], v[124:125], v[76:77] op_sel_hi:[1,0,1]
	v_mov_b32_e32 v75, v85
	v_pk_add_f32 v[70:71], v[70:71], v[72:73]
	v_pk_fma_f32 v[72:73], v[142:143], v[126:127], v[82:83] op_sel_hi:[1,0,1]
	v_pk_mul_f32 v[78:79], v[204:205], v[78:79] op_sel_hi:[1,0]
	v_pk_fma_f32 v[76:77], v[140:141], v[124:125], v[76:77] neg_lo:[0,0,1] neg_hi:[0,0,1]
	v_mov_b32_e32 v77, v81
	v_pk_add_f32 v[70:71], v[70:71], v[74:75]
	v_pk_fma_f32 v[80:81], v[142:143], v[126:127], v[82:83] neg_lo:[0,0,1] neg_hi:[0,0,1]
	v_mov_b32_e32 v81, v73
	v_pk_fma_f32 v[72:73], v[144:145], v[128:129], v[78:79] op_sel_hi:[1,0,1]
	s_wait_loadcnt 0x1
	v_pk_mul_f32 v[74:75], v[146:147], v[130:131] op_sel:[1,1] op_sel_hi:[0,1]
	v_pk_add_f32 v[70:71], v[70:71], v[76:77]
	v_mov_b32_e32 v72, v133
	v_pk_fma_f32 v[78:79], v[144:145], v[128:129], v[78:79] neg_lo:[0,0,1] neg_hi:[0,0,1]
	v_dual_mov_b32 v79, v73 :: v_dual_ashrrev_i32 v49, 31, v48
	v_pk_fma_f32 v[76:77], v[146:147], v[130:131], v[74:75] op_sel_hi:[1,0,1]
	v_pk_add_f32 v[70:71], v[70:71], v[80:81]
	v_pk_mul_f32 v[72:73], v[206:207], v[72:73] op_sel_hi:[1,0]
	v_pk_fma_f32 v[74:75], v[146:147], v[130:131], v[74:75] neg_lo:[0,0,1] neg_hi:[0,0,1]
	s_delay_alu instid0(VALU_DEP_4) | instskip(NEXT) | instid1(VALU_DEP_4)
	v_dual_ashrrev_i32 v51, 31, v50 :: v_dual_mov_b32 v75, v77
	v_pk_add_f32 v[70:71], v[70:71], v[78:79]
	s_delay_alu instid0(VALU_DEP_4)
	v_pk_fma_f32 v[76:77], v[148:149], v[132:133], v[72:73] op_sel_hi:[1,0,1]
	v_pk_fma_f32 v[72:73], v[148:149], v[132:133], v[72:73] neg_lo:[0,0,1] neg_hi:[0,0,1]
	v_dual_ashrrev_i32 v53, 31, v52 :: v_dual_ashrrev_i32 v55, 31, v54
	v_ashrrev_i32_e32 v57, 31, v56
	v_pk_add_f32 v[70:71], v[70:71], v[74:75]
	v_dual_mov_b32 v73, v77 :: v_dual_ashrrev_i32 v59, 31, v58
	v_dual_ashrrev_i32 v61, 31, v60 :: v_dual_ashrrev_i32 v63, 31, v62
	v_ashrrev_i32_e32 v65, 31, v64
	s_delay_alu instid0(VALU_DEP_3) | instskip(SKIP_2) | instid1(VALU_DEP_2)
	v_pk_add_f32 v[70:71], v[70:71], v[72:73]
	v_dual_ashrrev_i32 v67, 31, v66 :: v_dual_ashrrev_i32 v69, 31, v68
	s_wait_loadcnt 0x0
	v_pk_add_f32 v[70:71], v[198:199], v[70:71] neg_lo:[0,1] neg_hi:[0,1]
	scratch_store_b64 off, v[70:71], off offset:8
	s_wait_xcnt 0x0
	v_cmpx_ne_u32_e32 0, v0
	s_cbranch_execz .LBB33_217
; %bb.216:
	scratch_load_b64 v[70:71], off, off
	v_mov_b64_e32 v[72:73], 0
	scratch_store_b64 off, v[72:73], off
	s_wait_loadcnt 0x0
	ds_store_b64 v1, v[70:71]
.LBB33_217:
	s_wait_xcnt 0x0
	s_or_b32 exec_lo, exec_lo, s0
	s_wait_storecnt_dscnt 0x0
	s_barrier_signal -1
	s_barrier_wait -1
	s_clause 0x11
	scratch_load_b128 v[72:75], off, off offset:8
	scratch_load_b128 v[76:79], off, off offset:24
	;; [unrolled: 1-line block ×16, first 2 shown]
	scratch_load_b64 v[0:1], off, off offset:264
	scratch_load_b64 v[200:201], off, off
	v_mov_b32_e32 v70, 0
	ds_load_2addr_b64 v[136:139], v70 offset0:59 offset1:60
	ds_load_2addr_b64 v[140:143], v70 offset0:61 offset1:62
	;; [unrolled: 1-line block ×16, first 2 shown]
	ds_load_b64 v[202:203], v70 offset:536
	s_and_b32 vcc_lo, exec_lo, s18
	s_wait_dscnt 0x10
	v_dual_mov_b32 v204, v139 :: v_dual_mov_b32 v205, v138
	s_wait_dscnt 0xd
	v_dual_mov_b32 v206, v143 :: v_dual_mov_b32 v211, v150
	v_dual_mov_b32 v207, v142 :: v_dual_mov_b32 v208, v147
	;; [unrolled: 1-line block ×3, first 2 shown]
	s_wait_loadcnt_dscnt 0x110c
	v_dual_mul_f32 v71, v152, v73 :: v_dual_mul_f32 v73, v153, v73
	s_wait_loadcnt_dscnt 0x100b
	v_dual_mul_f32 v212, v154, v75 :: v_dual_mul_f32 v214, v156, v77
	;; [unrolled: 2-line block ×3, first 2 shown]
	v_dual_mul_f32 v75, v155, v75 :: v_dual_mul_f32 v85, v165, v85
	v_dual_fmac_f32 v71, v153, v72 :: v_dual_fma_f32 v72, v152, v72, -v73
	v_dual_mul_f32 v77, v157, v77 :: v_dual_mul_f32 v73, v167, v87
	s_delay_alu instid0(VALU_DEP_3) | instskip(NEXT) | instid1(VALU_DEP_3)
	v_dual_fmac_f32 v212, v155, v74 :: v_dual_fma_f32 v74, v154, v74, -v75
	v_dual_add_f32 v71, 0, v71 :: v_dual_add_f32 v72, 0, v72
	v_dual_mul_f32 v216, v158, v79 :: v_dual_mul_f32 v217, v160, v81
	s_wait_loadcnt_dscnt 0xd08
	v_dual_mul_f32 v79, v159, v79 :: v_dual_mul_f32 v75, v169, v89
	s_delay_alu instid0(VALU_DEP_3) | instskip(SKIP_1) | instid1(VALU_DEP_3)
	v_dual_fmac_f32 v214, v157, v76 :: v_dual_add_f32 v72, v72, v74
	v_fma_f32 v76, v156, v76, -v77
	v_dual_add_f32 v71, v71, v212 :: v_dual_fma_f32 v77, v158, v78, -v79
	v_dual_mul_f32 v81, v161, v81 :: v_dual_mul_f32 v83, v163, v83
	s_delay_alu instid0(VALU_DEP_3)
	v_dual_mul_f32 v74, v171, v91 :: v_dual_add_f32 v72, v72, v76
	s_wait_loadcnt_dscnt 0xc07
	v_dual_fmac_f32 v216, v159, v78 :: v_dual_mul_f32 v76, v173, v93
	v_dual_add_f32 v71, v71, v214 :: v_dual_fmac_f32 v217, v161, v80
	v_fma_f32 v78, v160, v80, -v81
	v_dual_add_f32 v72, v72, v77 :: v_dual_mul_f32 v77, v175, v95
	s_delay_alu instid0(VALU_DEP_3) | instskip(SKIP_1) | instid1(VALU_DEP_3)
	v_add_f32_e32 v71, v71, v216
	v_dual_fmac_f32 v218, v163, v82 :: v_dual_fma_f32 v79, v162, v82, -v83
	v_dual_add_f32 v72, v72, v78 :: v_dual_mul_f32 v220, v166, v87
	v_mul_f32_e32 v221, v168, v89
	s_delay_alu instid0(VALU_DEP_4)
	v_add_f32_e32 v71, v71, v217
	s_wait_loadcnt_dscnt 0xb06
	v_dual_mul_f32 v78, v177, v97 :: v_dual_fma_f32 v80, v164, v84, -v85
	v_dual_fmac_f32 v219, v165, v84 :: v_dual_add_f32 v72, v72, v79
	v_fmac_f32_e32 v220, v167, v86
	v_add_f32_e32 v71, v71, v218
	v_dual_mul_f32 v79, v179, v99 :: v_dual_fma_f32 v73, v166, v86, -v73
	s_delay_alu instid0(VALU_DEP_4) | instskip(NEXT) | instid1(VALU_DEP_3)
	v_dual_add_f32 v72, v72, v80 :: v_dual_mul_f32 v222, v170, v91
	v_dual_mul_f32 v223, v172, v93 :: v_dual_add_f32 v71, v71, v219
	s_wait_loadcnt_dscnt 0xa05
	v_dual_mul_f32 v80, v181, v101 :: v_dual_fma_f32 v75, v168, v88, -v75
	s_delay_alu instid0(VALU_DEP_3) | instskip(NEXT) | instid1(VALU_DEP_3)
	v_dual_fmac_f32 v221, v169, v88 :: v_dual_add_f32 v72, v72, v73
	v_dual_add_f32 v71, v71, v220 :: v_dual_fma_f32 v74, v170, v90, -v74
	v_dual_fmac_f32 v222, v171, v90 :: v_dual_mul_f32 v224, v174, v95
	v_mul_f32_e32 v225, v176, v97
	s_delay_alu instid0(VALU_DEP_3) | instskip(SKIP_3) | instid1(VALU_DEP_4)
	v_dual_add_f32 v71, v71, v221 :: v_dual_fmac_f32 v223, v173, v92
	v_add_f32_e32 v72, v72, v75
	v_fma_f32 v76, v172, v92, -v76
	v_dual_fmac_f32 v224, v175, v94 :: v_dual_fma_f32 v77, v174, v94, -v77
	v_add_f32_e32 v71, v71, v222
	s_wait_loadcnt_dscnt 0x904
	v_dual_add_f32 v72, v72, v74 :: v_dual_mul_f32 v74, v187, v107
	v_dual_mul_f32 v226, v178, v99 :: v_dual_mul_f32 v227, v180, v101
	s_delay_alu instid0(VALU_DEP_2) | instskip(SKIP_3) | instid1(VALU_DEP_3)
	v_dual_add_f32 v71, v71, v223 :: v_dual_add_f32 v72, v72, v76
	s_wait_loadcnt_dscnt 0x803
	v_dual_mul_f32 v76, v189, v109 :: v_dual_fma_f32 v78, v176, v96, -v78
	v_fmac_f32_e32 v225, v177, v96
	v_dual_add_f32 v71, v71, v224 :: v_dual_fma_f32 v79, v178, v98, -v79
	v_dual_add_f32 v72, v72, v77 :: v_dual_mul_f32 v77, v191, v111
	v_fmac_f32_e32 v226, v179, v98
	s_delay_alu instid0(VALU_DEP_3) | instskip(NEXT) | instid1(VALU_DEP_3)
	v_dual_add_f32 v71, v71, v225 :: v_dual_fmac_f32 v227, v181, v100
	v_dual_add_f32 v72, v72, v78 :: v_dual_mul_f32 v228, v182, v103
	v_dual_mul_f32 v229, v184, v105 :: v_dual_mul_f32 v73, v183, v103
	v_mul_f32_e32 v75, v185, v105
	s_wait_loadcnt_dscnt 0x702
	v_dual_mul_f32 v78, v193, v113 :: v_dual_fma_f32 v80, v180, v100, -v80
	v_dual_add_f32 v71, v71, v226 :: v_dual_add_f32 v72, v72, v79
	v_fmac_f32_e32 v228, v183, v102
	v_dual_mul_f32 v79, v195, v115 :: v_dual_fma_f32 v73, v182, v102, -v73
	s_delay_alu instid0(VALU_DEP_3) | instskip(SKIP_3) | instid1(VALU_DEP_3)
	v_dual_add_f32 v71, v71, v227 :: v_dual_add_f32 v72, v72, v80
	v_dual_mul_f32 v230, v186, v107 :: v_dual_mul_f32 v231, v188, v109
	s_wait_loadcnt_dscnt 0x601
	v_dual_mul_f32 v80, v197, v117 :: v_dual_fma_f32 v75, v184, v104, -v75
	v_dual_fmac_f32 v229, v185, v104 :: v_dual_add_f32 v72, v72, v73
	v_dual_add_f32 v71, v71, v228 :: v_dual_fma_f32 v74, v186, v106, -v74
	v_dual_fmac_f32 v230, v187, v106 :: v_dual_mul_f32 v232, v190, v111
	v_mul_f32_e32 v233, v192, v113
	s_delay_alu instid0(VALU_DEP_3) | instskip(SKIP_3) | instid1(VALU_DEP_4)
	v_dual_add_f32 v71, v71, v229 :: v_dual_fmac_f32 v231, v189, v108
	v_add_f32_e32 v72, v72, v75
	v_fma_f32 v75, v188, v108, -v76
	v_dual_fmac_f32 v232, v191, v110 :: v_dual_fma_f32 v76, v190, v110, -v77
	v_add_f32_e32 v71, v71, v230
	s_wait_loadcnt 0x5
	v_dual_add_f32 v74, v72, v74 :: v_dual_mov_b32 v72, v123
	v_dual_mul_f32 v234, v194, v115 :: v_dual_mul_f32 v235, v196, v117
	s_delay_alu instid0(VALU_DEP_3) | instskip(NEXT) | instid1(VALU_DEP_3)
	v_dual_add_f32 v71, v71, v231 :: v_dual_fmac_f32 v233, v193, v112
	v_dual_add_f32 v77, v74, v75 :: v_dual_fma_f32 v78, v192, v112, -v78
	s_delay_alu instid0(VALU_DEP_3) | instskip(NEXT) | instid1(VALU_DEP_3)
	v_dual_fmac_f32 v234, v195, v114 :: v_dual_fmac_f32 v235, v197, v116
	v_dual_add_f32 v71, v71, v232 :: v_dual_fma_f32 v81, v194, v114, -v79
	s_wait_loadcnt 0x4
	s_delay_alu instid0(VALU_DEP_3) | instskip(SKIP_1) | instid1(VALU_DEP_2)
	v_dual_add_f32 v77, v77, v76 :: v_dual_mov_b32 v76, v127
	v_dual_mul_f32 v213, v198, v119 :: v_dual_mul_f32 v215, v136, v121
	v_dual_add_f32 v71, v71, v233 :: v_dual_add_f32 v77, v77, v78
	v_dual_mul_f32 v73, v199, v119 :: v_dual_mul_f32 v83, v137, v121
	s_delay_alu instid0(VALU_DEP_2) | instskip(NEXT) | instid1(VALU_DEP_3)
	v_dual_fma_f32 v80, v196, v116, -v80 :: v_dual_add_f32 v71, v71, v234
	v_dual_add_f32 v77, v77, v81 :: v_dual_fmac_f32 v213, v199, v118
	v_pk_mul_f32 v[74:75], v[140:141], v[124:125] op_sel:[1,1] op_sel_hi:[0,1]
	s_delay_alu instid0(VALU_DEP_3)
	v_dual_fma_f32 v212, v198, v118, -v73 :: v_dual_add_f32 v81, v71, v235
	v_pk_mul_f32 v[72:73], v[204:205], v[72:73] op_sel_hi:[1,0]
	s_wait_loadcnt 0x3
	v_dual_add_f32 v80, v77, v80 :: v_dual_mov_b32 v82, v131
	v_pk_fma_f32 v[86:87], v[140:141], v[124:125], v[74:75] op_sel_hi:[1,0,1]
	v_fmac_f32_e32 v215, v137, v120
	v_pk_fma_f32 v[84:85], v[138:139], v[122:123], v[72:73] op_sel_hi:[1,0,1]
	v_fma_f32 v214, v136, v120, -v83
	v_pk_add_f32 v[80:81], v[80:81], v[212:213]
	v_pk_fma_f32 v[72:73], v[138:139], v[122:123], v[72:73] neg_lo:[0,0,1] neg_hi:[0,0,1]
	v_pk_fma_f32 v[74:75], v[140:141], v[124:125], v[74:75] neg_lo:[0,0,1] neg_hi:[0,0,1]
	v_pk_mul_f32 v[76:77], v[206:207], v[76:77] op_sel_hi:[1,0]
	v_dual_mov_b32 v73, v85 :: v_dual_mov_b32 v75, v87
	v_pk_add_f32 v[80:81], v[80:81], v[214:215]
	v_pk_mul_f32 v[78:79], v[144:145], v[128:129] op_sel:[1,1] op_sel_hi:[0,1]
	s_delay_alu instid0(VALU_DEP_4)
	v_pk_fma_f32 v[86:87], v[142:143], v[126:127], v[76:77] op_sel_hi:[1,0,1]
	v_pk_fma_f32 v[76:77], v[142:143], v[126:127], v[76:77] neg_lo:[0,0,1] neg_hi:[0,0,1]
	v_pk_mul_f32 v[82:83], v[208:209], v[82:83] op_sel_hi:[1,0]
	v_pk_add_f32 v[72:73], v[80:81], v[72:73]
	v_pk_fma_f32 v[80:81], v[144:145], v[128:129], v[78:79] op_sel_hi:[1,0,1]
	v_mov_b32_e32 v77, v87
	v_pk_fma_f32 v[78:79], v[144:145], v[128:129], v[78:79] neg_lo:[0,0,1] neg_hi:[0,0,1]
	s_wait_loadcnt 0x2
	v_pk_mul_f32 v[84:85], v[148:149], v[132:133] op_sel:[1,1] op_sel_hi:[0,1]
	v_pk_add_f32 v[72:73], v[72:73], v[74:75]
	v_dual_mov_b32 v74, v135 :: v_dual_mov_b32 v79, v81
	v_pk_fma_f32 v[80:81], v[146:147], v[130:131], v[82:83] op_sel_hi:[1,0,1]
	v_pk_fma_f32 v[82:83], v[146:147], v[130:131], v[82:83] neg_lo:[0,0,1] neg_hi:[0,0,1]
	s_delay_alu instid0(VALU_DEP_4)
	v_pk_add_f32 v[72:73], v[72:73], v[76:77]
	v_pk_fma_f32 v[76:77], v[148:149], v[132:133], v[84:85] op_sel_hi:[1,0,1]
	v_pk_mul_f32 v[74:75], v[210:211], v[74:75] op_sel_hi:[1,0]
	v_mov_b32_e32 v83, v81
	v_pk_fma_f32 v[80:81], v[148:149], v[132:133], v[84:85] neg_lo:[0,0,1] neg_hi:[0,0,1]
	v_pk_add_f32 v[72:73], v[72:73], v[78:79]
	s_wait_loadcnt_dscnt 0x100
	v_pk_mul_f32 v[78:79], v[202:203], v[0:1] op_sel:[1,1] op_sel_hi:[0,1]
	v_mov_b32_e32 v81, v77
	v_pk_fma_f32 v[76:77], v[150:151], v[134:135], v[74:75] op_sel_hi:[1,0,1]
	v_pk_fma_f32 v[74:75], v[150:151], v[134:135], v[74:75] neg_lo:[0,0,1] neg_hi:[0,0,1]
	v_pk_add_f32 v[72:73], v[72:73], v[82:83]
	v_pk_fma_f32 v[82:83], v[202:203], v[0:1], v[78:79] op_sel_hi:[1,0,1]
	v_pk_fma_f32 v[0:1], v[202:203], v[0:1], v[78:79] neg_lo:[0,0,1] neg_hi:[0,0,1]
	v_mov_b32_e32 v75, v77
	s_delay_alu instid0(VALU_DEP_4) | instskip(NEXT) | instid1(VALU_DEP_4)
	v_pk_add_f32 v[72:73], v[72:73], v[80:81]
	v_mov_b32_e32 v1, v83
	s_delay_alu instid0(VALU_DEP_2) | instskip(NEXT) | instid1(VALU_DEP_1)
	v_pk_add_f32 v[72:73], v[72:73], v[74:75]
	v_pk_add_f32 v[0:1], v[72:73], v[0:1]
	s_wait_loadcnt 0x0
	s_delay_alu instid0(VALU_DEP_1)
	v_pk_add_f32 v[0:1], v[200:201], v[0:1] neg_lo:[0,1] neg_hi:[0,1]
	scratch_store_b64 off, v[0:1], off
	s_cbranch_vccz .LBB33_284
; %bb.218:
	global_load_b32 v0, v70, s[2:3] offset:128
	s_wait_loadcnt 0x0
	v_cmp_ne_u32_e32 vcc_lo, 33, v0
	s_cbranch_vccz .LBB33_220
; %bb.219:
	v_lshlrev_b32_e32 v0, 3, v0
	s_delay_alu instid0(VALU_DEP_1)
	v_mov_b32_e32 v72, v0
	scratch_load_b64 v[0:1], v72, off offset:-8
	scratch_load_b64 v[70:71], off, off offset:256
	s_wait_loadcnt 0x1
	scratch_store_b64 off, v[0:1], off offset:256
	s_wait_loadcnt 0x0
	scratch_store_b64 v72, v[70:71], off offset:-8
.LBB33_220:
	s_wait_xcnt 0x1
	v_mov_b32_e32 v0, 0
	global_load_b32 v1, v0, s[2:3] offset:124
	s_wait_loadcnt 0x0
	v_cmp_eq_u32_e32 vcc_lo, 32, v1
	s_cbranch_vccnz .LBB33_222
; %bb.221:
	v_lshlrev_b32_e32 v1, 3, v1
	scratch_load_b64 v[70:71], v1, off offset:-8
	scratch_load_b64 v[72:73], off, off offset:248
	s_wait_loadcnt 0x1
	scratch_store_b64 off, v[70:71], off offset:248
	s_wait_loadcnt 0x0
	scratch_store_b64 v1, v[72:73], off offset:-8
.LBB33_222:
	global_load_b32 v0, v0, s[2:3] offset:120
	s_wait_loadcnt 0x0
	v_cmp_eq_u32_e32 vcc_lo, 31, v0
	s_cbranch_vccnz .LBB33_224
; %bb.223:
	s_wait_xcnt 0x0
	v_lshlrev_b32_e32 v0, 3, v0
	s_delay_alu instid0(VALU_DEP_1)
	v_mov_b32_e32 v72, v0
	scratch_load_b64 v[0:1], v72, off offset:-8
	scratch_load_b64 v[70:71], off, off offset:240
	s_wait_loadcnt 0x1
	scratch_store_b64 off, v[0:1], off offset:240
	s_wait_loadcnt 0x0
	scratch_store_b64 v72, v[70:71], off offset:-8
.LBB33_224:
	s_wait_xcnt 0x0
	v_mov_b32_e32 v0, 0
	global_load_b32 v1, v0, s[2:3] offset:116
	s_wait_loadcnt 0x0
	v_cmp_eq_u32_e32 vcc_lo, 30, v1
	s_cbranch_vccnz .LBB33_226
; %bb.225:
	v_lshlrev_b32_e32 v1, 3, v1
	scratch_load_b64 v[70:71], v1, off offset:-8
	scratch_load_b64 v[72:73], off, off offset:232
	s_wait_loadcnt 0x1
	scratch_store_b64 off, v[70:71], off offset:232
	s_wait_loadcnt 0x0
	scratch_store_b64 v1, v[72:73], off offset:-8
.LBB33_226:
	global_load_b32 v0, v0, s[2:3] offset:112
	s_wait_loadcnt 0x0
	v_cmp_eq_u32_e32 vcc_lo, 29, v0
	s_cbranch_vccnz .LBB33_228
; %bb.227:
	s_wait_xcnt 0x0
	v_lshlrev_b32_e32 v0, 3, v0
	s_delay_alu instid0(VALU_DEP_1)
	v_mov_b32_e32 v72, v0
	scratch_load_b64 v[0:1], v72, off offset:-8
	scratch_load_b64 v[70:71], off, off offset:224
	s_wait_loadcnt 0x1
	scratch_store_b64 off, v[0:1], off offset:224
	s_wait_loadcnt 0x0
	scratch_store_b64 v72, v[70:71], off offset:-8
.LBB33_228:
	s_wait_xcnt 0x0
	v_mov_b32_e32 v0, 0
	global_load_b32 v1, v0, s[2:3] offset:108
	s_wait_loadcnt 0x0
	v_cmp_eq_u32_e32 vcc_lo, 28, v1
	s_cbranch_vccnz .LBB33_230
; %bb.229:
	v_lshlrev_b32_e32 v1, 3, v1
	scratch_load_b64 v[70:71], v1, off offset:-8
	scratch_load_b64 v[72:73], off, off offset:216
	s_wait_loadcnt 0x1
	scratch_store_b64 off, v[70:71], off offset:216
	s_wait_loadcnt 0x0
	scratch_store_b64 v1, v[72:73], off offset:-8
.LBB33_230:
	global_load_b32 v0, v0, s[2:3] offset:104
	s_wait_loadcnt 0x0
	v_cmp_eq_u32_e32 vcc_lo, 27, v0
	s_cbranch_vccnz .LBB33_232
; %bb.231:
	s_wait_xcnt 0x0
	v_lshlrev_b32_e32 v0, 3, v0
	s_delay_alu instid0(VALU_DEP_1)
	v_mov_b32_e32 v72, v0
	scratch_load_b64 v[0:1], v72, off offset:-8
	scratch_load_b64 v[70:71], off, off offset:208
	s_wait_loadcnt 0x1
	scratch_store_b64 off, v[0:1], off offset:208
	s_wait_loadcnt 0x0
	scratch_store_b64 v72, v[70:71], off offset:-8
.LBB33_232:
	s_wait_xcnt 0x0
	v_mov_b32_e32 v0, 0
	global_load_b32 v1, v0, s[2:3] offset:100
	s_wait_loadcnt 0x0
	v_cmp_eq_u32_e32 vcc_lo, 26, v1
	s_cbranch_vccnz .LBB33_234
; %bb.233:
	v_lshlrev_b32_e32 v1, 3, v1
	scratch_load_b64 v[70:71], v1, off offset:-8
	scratch_load_b64 v[72:73], off, off offset:200
	s_wait_loadcnt 0x1
	scratch_store_b64 off, v[70:71], off offset:200
	s_wait_loadcnt 0x0
	scratch_store_b64 v1, v[72:73], off offset:-8
.LBB33_234:
	global_load_b32 v0, v0, s[2:3] offset:96
	s_wait_loadcnt 0x0
	v_cmp_eq_u32_e32 vcc_lo, 25, v0
	s_cbranch_vccnz .LBB33_236
; %bb.235:
	s_wait_xcnt 0x0
	v_lshlrev_b32_e32 v0, 3, v0
	s_delay_alu instid0(VALU_DEP_1)
	v_mov_b32_e32 v72, v0
	scratch_load_b64 v[0:1], v72, off offset:-8
	scratch_load_b64 v[70:71], off, off offset:192
	s_wait_loadcnt 0x1
	scratch_store_b64 off, v[0:1], off offset:192
	s_wait_loadcnt 0x0
	scratch_store_b64 v72, v[70:71], off offset:-8
.LBB33_236:
	s_wait_xcnt 0x0
	v_mov_b32_e32 v0, 0
	global_load_b32 v1, v0, s[2:3] offset:92
	s_wait_loadcnt 0x0
	v_cmp_eq_u32_e32 vcc_lo, 24, v1
	s_cbranch_vccnz .LBB33_238
; %bb.237:
	v_lshlrev_b32_e32 v1, 3, v1
	scratch_load_b64 v[70:71], v1, off offset:-8
	scratch_load_b64 v[72:73], off, off offset:184
	s_wait_loadcnt 0x1
	scratch_store_b64 off, v[70:71], off offset:184
	s_wait_loadcnt 0x0
	scratch_store_b64 v1, v[72:73], off offset:-8
.LBB33_238:
	global_load_b32 v0, v0, s[2:3] offset:88
	s_wait_loadcnt 0x0
	v_cmp_eq_u32_e32 vcc_lo, 23, v0
	s_cbranch_vccnz .LBB33_240
; %bb.239:
	s_wait_xcnt 0x0
	v_lshlrev_b32_e32 v0, 3, v0
	s_delay_alu instid0(VALU_DEP_1)
	v_mov_b32_e32 v72, v0
	scratch_load_b64 v[0:1], v72, off offset:-8
	scratch_load_b64 v[70:71], off, off offset:176
	s_wait_loadcnt 0x1
	scratch_store_b64 off, v[0:1], off offset:176
	s_wait_loadcnt 0x0
	scratch_store_b64 v72, v[70:71], off offset:-8
.LBB33_240:
	s_wait_xcnt 0x0
	v_mov_b32_e32 v0, 0
	global_load_b32 v1, v0, s[2:3] offset:84
	s_wait_loadcnt 0x0
	v_cmp_eq_u32_e32 vcc_lo, 22, v1
	s_cbranch_vccnz .LBB33_242
; %bb.241:
	v_lshlrev_b32_e32 v1, 3, v1
	scratch_load_b64 v[70:71], v1, off offset:-8
	scratch_load_b64 v[72:73], off, off offset:168
	s_wait_loadcnt 0x1
	scratch_store_b64 off, v[70:71], off offset:168
	s_wait_loadcnt 0x0
	scratch_store_b64 v1, v[72:73], off offset:-8
.LBB33_242:
	global_load_b32 v0, v0, s[2:3] offset:80
	s_wait_loadcnt 0x0
	v_cmp_eq_u32_e32 vcc_lo, 21, v0
	s_cbranch_vccnz .LBB33_244
; %bb.243:
	s_wait_xcnt 0x0
	v_lshlrev_b32_e32 v0, 3, v0
	s_delay_alu instid0(VALU_DEP_1)
	v_mov_b32_e32 v72, v0
	scratch_load_b64 v[0:1], v72, off offset:-8
	scratch_load_b64 v[70:71], off, off offset:160
	s_wait_loadcnt 0x1
	scratch_store_b64 off, v[0:1], off offset:160
	s_wait_loadcnt 0x0
	scratch_store_b64 v72, v[70:71], off offset:-8
.LBB33_244:
	s_wait_xcnt 0x0
	v_mov_b32_e32 v0, 0
	global_load_b32 v1, v0, s[2:3] offset:76
	s_wait_loadcnt 0x0
	v_cmp_eq_u32_e32 vcc_lo, 20, v1
	s_cbranch_vccnz .LBB33_246
; %bb.245:
	v_lshlrev_b32_e32 v1, 3, v1
	scratch_load_b64 v[70:71], v1, off offset:-8
	scratch_load_b64 v[72:73], off, off offset:152
	s_wait_loadcnt 0x1
	scratch_store_b64 off, v[70:71], off offset:152
	s_wait_loadcnt 0x0
	scratch_store_b64 v1, v[72:73], off offset:-8
.LBB33_246:
	global_load_b32 v0, v0, s[2:3] offset:72
	s_wait_loadcnt 0x0
	v_cmp_eq_u32_e32 vcc_lo, 19, v0
	s_cbranch_vccnz .LBB33_248
; %bb.247:
	s_wait_xcnt 0x0
	v_lshlrev_b32_e32 v0, 3, v0
	s_delay_alu instid0(VALU_DEP_1)
	v_mov_b32_e32 v72, v0
	scratch_load_b64 v[0:1], v72, off offset:-8
	scratch_load_b64 v[70:71], off, off offset:144
	s_wait_loadcnt 0x1
	scratch_store_b64 off, v[0:1], off offset:144
	s_wait_loadcnt 0x0
	scratch_store_b64 v72, v[70:71], off offset:-8
.LBB33_248:
	s_wait_xcnt 0x0
	v_mov_b32_e32 v0, 0
	global_load_b32 v1, v0, s[2:3] offset:68
	s_wait_loadcnt 0x0
	v_cmp_eq_u32_e32 vcc_lo, 18, v1
	s_cbranch_vccnz .LBB33_250
; %bb.249:
	v_lshlrev_b32_e32 v1, 3, v1
	scratch_load_b64 v[70:71], v1, off offset:-8
	scratch_load_b64 v[72:73], off, off offset:136
	s_wait_loadcnt 0x1
	scratch_store_b64 off, v[70:71], off offset:136
	s_wait_loadcnt 0x0
	scratch_store_b64 v1, v[72:73], off offset:-8
.LBB33_250:
	global_load_b32 v0, v0, s[2:3] offset:64
	s_wait_loadcnt 0x0
	v_cmp_eq_u32_e32 vcc_lo, 17, v0
	s_cbranch_vccnz .LBB33_252
; %bb.251:
	s_wait_xcnt 0x0
	v_lshlrev_b32_e32 v0, 3, v0
	s_delay_alu instid0(VALU_DEP_1)
	v_mov_b32_e32 v72, v0
	scratch_load_b64 v[0:1], v72, off offset:-8
	scratch_load_b64 v[70:71], off, off offset:128
	s_wait_loadcnt 0x1
	scratch_store_b64 off, v[0:1], off offset:128
	s_wait_loadcnt 0x0
	scratch_store_b64 v72, v[70:71], off offset:-8
.LBB33_252:
	s_wait_xcnt 0x0
	v_mov_b32_e32 v0, 0
	global_load_b32 v1, v0, s[2:3] offset:60
	s_wait_loadcnt 0x0
	v_cmp_eq_u32_e32 vcc_lo, 16, v1
	s_cbranch_vccnz .LBB33_254
; %bb.253:
	v_lshlrev_b32_e32 v1, 3, v1
	scratch_load_b64 v[70:71], v1, off offset:-8
	scratch_load_b64 v[72:73], off, off offset:120
	s_wait_loadcnt 0x1
	scratch_store_b64 off, v[70:71], off offset:120
	s_wait_loadcnt 0x0
	scratch_store_b64 v1, v[72:73], off offset:-8
.LBB33_254:
	global_load_b32 v0, v0, s[2:3] offset:56
	s_wait_loadcnt 0x0
	v_cmp_eq_u32_e32 vcc_lo, 15, v0
	s_cbranch_vccnz .LBB33_256
; %bb.255:
	s_wait_xcnt 0x0
	v_lshlrev_b32_e32 v0, 3, v0
	s_delay_alu instid0(VALU_DEP_1)
	v_mov_b32_e32 v72, v0
	scratch_load_b64 v[0:1], v72, off offset:-8
	scratch_load_b64 v[70:71], off, off offset:112
	s_wait_loadcnt 0x1
	scratch_store_b64 off, v[0:1], off offset:112
	s_wait_loadcnt 0x0
	scratch_store_b64 v72, v[70:71], off offset:-8
.LBB33_256:
	s_wait_xcnt 0x0
	v_mov_b32_e32 v0, 0
	global_load_b32 v1, v0, s[2:3] offset:52
	s_wait_loadcnt 0x0
	v_cmp_eq_u32_e32 vcc_lo, 14, v1
	s_cbranch_vccnz .LBB33_258
; %bb.257:
	v_lshlrev_b32_e32 v1, 3, v1
	scratch_load_b64 v[70:71], v1, off offset:-8
	scratch_load_b64 v[72:73], off, off offset:104
	s_wait_loadcnt 0x1
	scratch_store_b64 off, v[70:71], off offset:104
	s_wait_loadcnt 0x0
	scratch_store_b64 v1, v[72:73], off offset:-8
.LBB33_258:
	global_load_b32 v0, v0, s[2:3] offset:48
	s_wait_loadcnt 0x0
	v_cmp_eq_u32_e32 vcc_lo, 13, v0
	s_cbranch_vccnz .LBB33_260
; %bb.259:
	s_wait_xcnt 0x0
	v_lshlrev_b32_e32 v0, 3, v0
	s_delay_alu instid0(VALU_DEP_1)
	v_mov_b32_e32 v72, v0
	scratch_load_b64 v[0:1], v72, off offset:-8
	scratch_load_b64 v[70:71], off, off offset:96
	s_wait_loadcnt 0x1
	scratch_store_b64 off, v[0:1], off offset:96
	s_wait_loadcnt 0x0
	scratch_store_b64 v72, v[70:71], off offset:-8
.LBB33_260:
	s_wait_xcnt 0x0
	v_mov_b32_e32 v0, 0
	global_load_b32 v1, v0, s[2:3] offset:44
	s_wait_loadcnt 0x0
	v_cmp_eq_u32_e32 vcc_lo, 12, v1
	s_cbranch_vccnz .LBB33_262
; %bb.261:
	v_lshlrev_b32_e32 v1, 3, v1
	scratch_load_b64 v[70:71], v1, off offset:-8
	scratch_load_b64 v[72:73], off, off offset:88
	s_wait_loadcnt 0x1
	scratch_store_b64 off, v[70:71], off offset:88
	s_wait_loadcnt 0x0
	scratch_store_b64 v1, v[72:73], off offset:-8
.LBB33_262:
	global_load_b32 v0, v0, s[2:3] offset:40
	s_wait_loadcnt 0x0
	v_cmp_eq_u32_e32 vcc_lo, 11, v0
	s_cbranch_vccnz .LBB33_264
; %bb.263:
	s_wait_xcnt 0x0
	v_lshlrev_b32_e32 v0, 3, v0
	s_delay_alu instid0(VALU_DEP_1)
	v_mov_b32_e32 v72, v0
	scratch_load_b64 v[0:1], v72, off offset:-8
	scratch_load_b64 v[70:71], off, off offset:80
	s_wait_loadcnt 0x1
	scratch_store_b64 off, v[0:1], off offset:80
	s_wait_loadcnt 0x0
	scratch_store_b64 v72, v[70:71], off offset:-8
.LBB33_264:
	s_wait_xcnt 0x0
	v_mov_b32_e32 v0, 0
	global_load_b32 v1, v0, s[2:3] offset:36
	s_wait_loadcnt 0x0
	v_cmp_eq_u32_e32 vcc_lo, 10, v1
	s_cbranch_vccnz .LBB33_266
; %bb.265:
	v_lshlrev_b32_e32 v1, 3, v1
	scratch_load_b64 v[70:71], v1, off offset:-8
	scratch_load_b64 v[72:73], off, off offset:72
	s_wait_loadcnt 0x1
	scratch_store_b64 off, v[70:71], off offset:72
	s_wait_loadcnt 0x0
	scratch_store_b64 v1, v[72:73], off offset:-8
.LBB33_266:
	global_load_b32 v0, v0, s[2:3] offset:32
	s_wait_loadcnt 0x0
	v_cmp_eq_u32_e32 vcc_lo, 9, v0
	s_cbranch_vccnz .LBB33_268
; %bb.267:
	s_wait_xcnt 0x0
	v_lshlrev_b32_e32 v0, 3, v0
	s_delay_alu instid0(VALU_DEP_1)
	v_mov_b32_e32 v72, v0
	scratch_load_b64 v[0:1], v72, off offset:-8
	scratch_load_b64 v[70:71], off, off offset:64
	s_wait_loadcnt 0x1
	scratch_store_b64 off, v[0:1], off offset:64
	s_wait_loadcnt 0x0
	scratch_store_b64 v72, v[70:71], off offset:-8
.LBB33_268:
	s_wait_xcnt 0x0
	v_mov_b32_e32 v0, 0
	global_load_b32 v1, v0, s[2:3] offset:28
	s_wait_loadcnt 0x0
	v_cmp_eq_u32_e32 vcc_lo, 8, v1
	s_cbranch_vccnz .LBB33_270
; %bb.269:
	v_lshlrev_b32_e32 v1, 3, v1
	scratch_load_b64 v[70:71], v1, off offset:-8
	scratch_load_b64 v[72:73], off, off offset:56
	s_wait_loadcnt 0x1
	scratch_store_b64 off, v[70:71], off offset:56
	s_wait_loadcnt 0x0
	scratch_store_b64 v1, v[72:73], off offset:-8
.LBB33_270:
	global_load_b32 v0, v0, s[2:3] offset:24
	s_wait_loadcnt 0x0
	v_cmp_eq_u32_e32 vcc_lo, 7, v0
	s_cbranch_vccnz .LBB33_272
; %bb.271:
	s_wait_xcnt 0x0
	v_lshlrev_b32_e32 v0, 3, v0
	s_delay_alu instid0(VALU_DEP_1)
	v_mov_b32_e32 v72, v0
	scratch_load_b64 v[0:1], v72, off offset:-8
	scratch_load_b64 v[70:71], off, off offset:48
	s_wait_loadcnt 0x1
	scratch_store_b64 off, v[0:1], off offset:48
	s_wait_loadcnt 0x0
	scratch_store_b64 v72, v[70:71], off offset:-8
.LBB33_272:
	s_wait_xcnt 0x0
	v_mov_b32_e32 v0, 0
	global_load_b32 v1, v0, s[2:3] offset:20
	s_wait_loadcnt 0x0
	v_cmp_eq_u32_e32 vcc_lo, 6, v1
	s_cbranch_vccnz .LBB33_274
; %bb.273:
	v_lshlrev_b32_e32 v1, 3, v1
	scratch_load_b64 v[70:71], v1, off offset:-8
	scratch_load_b64 v[72:73], off, off offset:40
	s_wait_loadcnt 0x1
	scratch_store_b64 off, v[70:71], off offset:40
	s_wait_loadcnt 0x0
	scratch_store_b64 v1, v[72:73], off offset:-8
.LBB33_274:
	global_load_b32 v0, v0, s[2:3] offset:16
	s_wait_loadcnt 0x0
	v_cmp_eq_u32_e32 vcc_lo, 5, v0
	s_cbranch_vccnz .LBB33_276
; %bb.275:
	s_wait_xcnt 0x0
	v_lshlrev_b32_e32 v0, 3, v0
	s_delay_alu instid0(VALU_DEP_1)
	v_mov_b32_e32 v72, v0
	scratch_load_b64 v[0:1], v72, off offset:-8
	scratch_load_b64 v[70:71], off, off offset:32
	s_wait_loadcnt 0x1
	scratch_store_b64 off, v[0:1], off offset:32
	s_wait_loadcnt 0x0
	scratch_store_b64 v72, v[70:71], off offset:-8
.LBB33_276:
	s_wait_xcnt 0x0
	v_mov_b32_e32 v0, 0
	global_load_b32 v1, v0, s[2:3] offset:12
	s_wait_loadcnt 0x0
	v_cmp_eq_u32_e32 vcc_lo, 4, v1
	s_cbranch_vccnz .LBB33_278
; %bb.277:
	v_lshlrev_b32_e32 v1, 3, v1
	scratch_load_b64 v[70:71], v1, off offset:-8
	scratch_load_b64 v[72:73], off, off offset:24
	s_wait_loadcnt 0x1
	scratch_store_b64 off, v[70:71], off offset:24
	s_wait_loadcnt 0x0
	scratch_store_b64 v1, v[72:73], off offset:-8
.LBB33_278:
	global_load_b32 v0, v0, s[2:3] offset:8
	s_wait_loadcnt 0x0
	v_cmp_eq_u32_e32 vcc_lo, 3, v0
	s_cbranch_vccnz .LBB33_280
; %bb.279:
	s_wait_xcnt 0x0
	v_lshlrev_b32_e32 v0, 3, v0
	s_delay_alu instid0(VALU_DEP_1)
	v_mov_b32_e32 v72, v0
	scratch_load_b64 v[0:1], v72, off offset:-8
	scratch_load_b64 v[70:71], off, off offset:16
	s_wait_loadcnt 0x1
	scratch_store_b64 off, v[0:1], off offset:16
	s_wait_loadcnt 0x0
	scratch_store_b64 v72, v[70:71], off offset:-8
.LBB33_280:
	s_wait_xcnt 0x0
	v_mov_b32_e32 v0, 0
	global_load_b32 v1, v0, s[2:3] offset:4
	s_wait_loadcnt 0x0
	v_cmp_eq_u32_e32 vcc_lo, 2, v1
	s_cbranch_vccnz .LBB33_282
; %bb.281:
	v_lshlrev_b32_e32 v1, 3, v1
	scratch_load_b64 v[70:71], v1, off offset:-8
	scratch_load_b64 v[72:73], off, off offset:8
	s_wait_loadcnt 0x1
	scratch_store_b64 off, v[70:71], off offset:8
	s_wait_loadcnt 0x0
	scratch_store_b64 v1, v[72:73], off offset:-8
.LBB33_282:
	global_load_b32 v70, v0, s[2:3]
	scratch_load_b64 v[0:1], off, off
	s_wait_loadcnt 0x1
	v_cmp_eq_u32_e32 vcc_lo, 1, v70
	s_cbranch_vccnz .LBB33_284
; %bb.283:
	v_lshlrev_b32_e32 v70, 3, v70
	s_delay_alu instid0(VALU_DEP_1)
	v_mov_b32_e32 v72, v70
	scratch_load_b64 v[70:71], v72, off offset:-8
	s_wait_loadcnt 0x0
	scratch_store_b64 off, v[70:71], off
	scratch_store_b64 v72, v[0:1], off offset:-8
	scratch_load_b64 v[0:1], off, off
.LBB33_284:
	s_clause 0x10
	scratch_load_b128 v[70:73], off, off offset:8
	scratch_load_b128 v[74:77], off, off offset:24
	;; [unrolled: 1-line block ×16, first 2 shown]
	scratch_load_b64 v[134:135], off, off offset:264
	v_lshl_add_u64 v[4:5], v[4:5], 3, s[4:5]
	v_lshl_add_u64 v[6:7], v[6:7], 3, s[4:5]
	;; [unrolled: 1-line block ×32, first 2 shown]
	s_wait_loadcnt 0x11
	global_store_b64 v[2:3], v[0:1], off
	s_wait_loadcnt 0x10
	s_clause 0x1
	global_store_b64 v[8:9], v[70:71], off
	global_store_b64 v[4:5], v[72:73], off
	s_wait_loadcnt 0xf
	s_clause 0x1
	global_store_b64 v[6:7], v[74:75], off
	global_store_b64 v[10:11], v[76:77], off
	s_wait_loadcnt 0xe
	s_clause 0x1
	global_store_b64 v[12:13], v[78:79], off
	global_store_b64 v[14:15], v[80:81], off
	s_wait_loadcnt 0xd
	s_clause 0x1
	global_store_b64 v[16:17], v[82:83], off
	global_store_b64 v[18:19], v[84:85], off
	s_wait_loadcnt 0xc
	s_clause 0x1
	global_store_b64 v[20:21], v[86:87], off
	global_store_b64 v[22:23], v[88:89], off
	s_wait_loadcnt 0xb
	s_clause 0x1
	global_store_b64 v[24:25], v[90:91], off
	global_store_b64 v[26:27], v[92:93], off
	s_wait_loadcnt 0xa
	s_clause 0x1
	global_store_b64 v[28:29], v[94:95], off
	global_store_b64 v[30:31], v[96:97], off
	s_wait_loadcnt 0x9
	s_clause 0x1
	global_store_b64 v[32:33], v[98:99], off
	global_store_b64 v[34:35], v[100:101], off
	s_wait_loadcnt 0x8
	s_clause 0x1
	global_store_b64 v[36:37], v[102:103], off
	global_store_b64 v[38:39], v[104:105], off
	s_wait_loadcnt 0x7
	s_clause 0x1
	global_store_b64 v[40:41], v[106:107], off
	global_store_b64 v[42:43], v[108:109], off
	s_wait_loadcnt 0x6
	s_clause 0x1
	global_store_b64 v[44:45], v[110:111], off
	global_store_b64 v[46:47], v[112:113], off
	s_wait_loadcnt 0x5
	s_clause 0x1
	global_store_b64 v[48:49], v[114:115], off
	global_store_b64 v[50:51], v[116:117], off
	s_wait_loadcnt 0x4
	s_clause 0x1
	global_store_b64 v[52:53], v[118:119], off
	global_store_b64 v[54:55], v[120:121], off
	s_wait_loadcnt 0x3
	s_clause 0x1
	global_store_b64 v[56:57], v[122:123], off
	global_store_b64 v[58:59], v[124:125], off
	s_wait_loadcnt 0x2
	s_clause 0x1
	global_store_b64 v[60:61], v[126:127], off
	global_store_b64 v[62:63], v[128:129], off
	s_wait_loadcnt 0x1
	s_clause 0x1
	global_store_b64 v[64:65], v[130:131], off
	global_store_b64 v[66:67], v[132:133], off
	s_wait_loadcnt 0x0
	global_store_b64 v[68:69], v[134:135], off
	s_sendmsg sendmsg(MSG_DEALLOC_VGPRS)
	s_endpgm
	.section	.rodata,"a",@progbits
	.p2align	6, 0x0
	.amdhsa_kernel _ZN9rocsolver6v33100L18getri_kernel_smallILi34E19rocblas_complex_numIfEPS3_EEvT1_iilPiilS6_bb
		.amdhsa_group_segment_fixed_size 548
		.amdhsa_private_segment_fixed_size 288
		.amdhsa_kernarg_size 60
		.amdhsa_user_sgpr_count 2
		.amdhsa_user_sgpr_dispatch_ptr 0
		.amdhsa_user_sgpr_queue_ptr 0
		.amdhsa_user_sgpr_kernarg_segment_ptr 1
		.amdhsa_user_sgpr_dispatch_id 0
		.amdhsa_user_sgpr_kernarg_preload_length 0
		.amdhsa_user_sgpr_kernarg_preload_offset 0
		.amdhsa_user_sgpr_private_segment_size 0
		.amdhsa_wavefront_size32 1
		.amdhsa_uses_dynamic_stack 0
		.amdhsa_enable_private_segment 1
		.amdhsa_system_sgpr_workgroup_id_x 1
		.amdhsa_system_sgpr_workgroup_id_y 0
		.amdhsa_system_sgpr_workgroup_id_z 0
		.amdhsa_system_sgpr_workgroup_info 0
		.amdhsa_system_vgpr_workitem_id 0
		.amdhsa_next_free_vgpr 236
		.amdhsa_next_free_sgpr 19
		.amdhsa_named_barrier_count 0
		.amdhsa_reserve_vcc 1
		.amdhsa_float_round_mode_32 0
		.amdhsa_float_round_mode_16_64 0
		.amdhsa_float_denorm_mode_32 3
		.amdhsa_float_denorm_mode_16_64 3
		.amdhsa_fp16_overflow 0
		.amdhsa_memory_ordered 1
		.amdhsa_forward_progress 1
		.amdhsa_inst_pref_size 255
		.amdhsa_round_robin_scheduling 0
		.amdhsa_exception_fp_ieee_invalid_op 0
		.amdhsa_exception_fp_denorm_src 0
		.amdhsa_exception_fp_ieee_div_zero 0
		.amdhsa_exception_fp_ieee_overflow 0
		.amdhsa_exception_fp_ieee_underflow 0
		.amdhsa_exception_fp_ieee_inexact 0
		.amdhsa_exception_int_div_zero 0
	.end_amdhsa_kernel
	.section	.text._ZN9rocsolver6v33100L18getri_kernel_smallILi34E19rocblas_complex_numIfEPS3_EEvT1_iilPiilS6_bb,"axG",@progbits,_ZN9rocsolver6v33100L18getri_kernel_smallILi34E19rocblas_complex_numIfEPS3_EEvT1_iilPiilS6_bb,comdat
.Lfunc_end33:
	.size	_ZN9rocsolver6v33100L18getri_kernel_smallILi34E19rocblas_complex_numIfEPS3_EEvT1_iilPiilS6_bb, .Lfunc_end33-_ZN9rocsolver6v33100L18getri_kernel_smallILi34E19rocblas_complex_numIfEPS3_EEvT1_iilPiilS6_bb
                                        ; -- End function
	.set _ZN9rocsolver6v33100L18getri_kernel_smallILi34E19rocblas_complex_numIfEPS3_EEvT1_iilPiilS6_bb.num_vgpr, 236
	.set _ZN9rocsolver6v33100L18getri_kernel_smallILi34E19rocblas_complex_numIfEPS3_EEvT1_iilPiilS6_bb.num_agpr, 0
	.set _ZN9rocsolver6v33100L18getri_kernel_smallILi34E19rocblas_complex_numIfEPS3_EEvT1_iilPiilS6_bb.numbered_sgpr, 19
	.set _ZN9rocsolver6v33100L18getri_kernel_smallILi34E19rocblas_complex_numIfEPS3_EEvT1_iilPiilS6_bb.num_named_barrier, 0
	.set _ZN9rocsolver6v33100L18getri_kernel_smallILi34E19rocblas_complex_numIfEPS3_EEvT1_iilPiilS6_bb.private_seg_size, 288
	.set _ZN9rocsolver6v33100L18getri_kernel_smallILi34E19rocblas_complex_numIfEPS3_EEvT1_iilPiilS6_bb.uses_vcc, 1
	.set _ZN9rocsolver6v33100L18getri_kernel_smallILi34E19rocblas_complex_numIfEPS3_EEvT1_iilPiilS6_bb.uses_flat_scratch, 1
	.set _ZN9rocsolver6v33100L18getri_kernel_smallILi34E19rocblas_complex_numIfEPS3_EEvT1_iilPiilS6_bb.has_dyn_sized_stack, 0
	.set _ZN9rocsolver6v33100L18getri_kernel_smallILi34E19rocblas_complex_numIfEPS3_EEvT1_iilPiilS6_bb.has_recursion, 0
	.set _ZN9rocsolver6v33100L18getri_kernel_smallILi34E19rocblas_complex_numIfEPS3_EEvT1_iilPiilS6_bb.has_indirect_call, 0
	.section	.AMDGPU.csdata,"",@progbits
; Kernel info:
; codeLenInByte = 48752
; TotalNumSgprs: 21
; NumVgprs: 236
; ScratchSize: 288
; MemoryBound: 0
; FloatMode: 240
; IeeeMode: 1
; LDSByteSize: 548 bytes/workgroup (compile time only)
; SGPRBlocks: 0
; VGPRBlocks: 14
; NumSGPRsForWavesPerEU: 21
; NumVGPRsForWavesPerEU: 236
; NamedBarCnt: 0
; Occupancy: 4
; WaveLimiterHint : 1
; COMPUTE_PGM_RSRC2:SCRATCH_EN: 1
; COMPUTE_PGM_RSRC2:USER_SGPR: 2
; COMPUTE_PGM_RSRC2:TRAP_HANDLER: 0
; COMPUTE_PGM_RSRC2:TGID_X_EN: 1
; COMPUTE_PGM_RSRC2:TGID_Y_EN: 0
; COMPUTE_PGM_RSRC2:TGID_Z_EN: 0
; COMPUTE_PGM_RSRC2:TIDIG_COMP_CNT: 0
	.section	.text._ZN9rocsolver6v33100L18getri_kernel_smallILi35E19rocblas_complex_numIfEPS3_EEvT1_iilPiilS6_bb,"axG",@progbits,_ZN9rocsolver6v33100L18getri_kernel_smallILi35E19rocblas_complex_numIfEPS3_EEvT1_iilPiilS6_bb,comdat
	.globl	_ZN9rocsolver6v33100L18getri_kernel_smallILi35E19rocblas_complex_numIfEPS3_EEvT1_iilPiilS6_bb ; -- Begin function _ZN9rocsolver6v33100L18getri_kernel_smallILi35E19rocblas_complex_numIfEPS3_EEvT1_iilPiilS6_bb
	.p2align	8
	.type	_ZN9rocsolver6v33100L18getri_kernel_smallILi35E19rocblas_complex_numIfEPS3_EEvT1_iilPiilS6_bb,@function
_ZN9rocsolver6v33100L18getri_kernel_smallILi35E19rocblas_complex_numIfEPS3_EEvT1_iilPiilS6_bb: ; @_ZN9rocsolver6v33100L18getri_kernel_smallILi35E19rocblas_complex_numIfEPS3_EEvT1_iilPiilS6_bb
; %bb.0:
	s_mov_b32 s2, exec_lo
	v_cmpx_gt_u32_e32 35, v0
	s_cbranch_execz .LBB34_154
; %bb.1:
	s_clause 0x2
	s_load_b32 s2, s[0:1], 0x38
	s_load_b128 s[12:15], s[0:1], 0x10
	s_load_b128 s[4:7], s[0:1], 0x28
	s_getreg_b32 s9, hwreg(HW_REG_IB_STS2, 6, 4)
	s_wait_kmcnt 0x0
	s_bitcmp1_b32 s2, 8
	s_cselect_b32 s18, -1, 0
	s_bfe_u32 s3, ttmp6, 0x4000c
	s_and_b32 s8, ttmp6, 15
	s_add_co_i32 s3, s3, 1
	s_delay_alu instid0(SALU_CYCLE_1) | instskip(NEXT) | instid1(SALU_CYCLE_1)
	s_mul_i32 s3, ttmp9, s3
	s_add_co_i32 s8, s8, s3
	s_cmp_eq_u32 s9, 0
	s_cselect_b32 s16, ttmp9, s8
	s_bfe_u32 s2, s2, 0x10008
	s_ashr_i32 s17, s16, 31
	s_cmp_eq_u32 s2, 0
                                        ; implicit-def: $sgpr2_sgpr3
	s_cbranch_scc1 .LBB34_3
; %bb.2:
	s_load_b32 s2, s[0:1], 0x20
	s_mul_u64 s[4:5], s[4:5], s[16:17]
	s_delay_alu instid0(SALU_CYCLE_1) | instskip(NEXT) | instid1(SALU_CYCLE_1)
	s_lshl_b64 s[4:5], s[4:5], 2
	s_add_nc_u64 s[4:5], s[14:15], s[4:5]
	s_wait_kmcnt 0x0
	s_ashr_i32 s3, s2, 31
	s_delay_alu instid0(SALU_CYCLE_1) | instskip(NEXT) | instid1(SALU_CYCLE_1)
	s_lshl_b64 s[2:3], s[2:3], 2
	s_add_nc_u64 s[2:3], s[4:5], s[2:3]
.LBB34_3:
	s_clause 0x1
	s_load_b128 s[8:11], s[0:1], 0x0
	s_load_b32 s14, s[0:1], 0x38
	s_wait_xcnt 0x0
	s_mul_u64 s[0:1], s[12:13], s[16:17]
	v_lshlrev_b32_e32 v72, 3, v0
	s_lshl_b64 s[0:1], s[0:1], 3
	v_mov_b32_e32 v73, 0
	s_wait_kmcnt 0x0
	v_add3_u32 v2, s11, s11, v0
	s_ashr_i32 s5, s10, 31
	s_mov_b32 s4, s10
	s_add_nc_u64 s[0:1], s[8:9], s[0:1]
	s_lshl_b64 s[4:5], s[4:5], 3
	v_add_nc_u32_e32 v6, s11, v2
	s_add_nc_u64 s[4:5], s[0:1], s[4:5]
	s_ashr_i32 s1, s11, 31
	s_mov_b32 s0, s11
	s_bitcmp0_b32 s14, 0
	v_add_nc_u32_e32 v10, s11, v6
	v_add_nc_u64_e32 v[4:5], s[4:5], v[72:73]
	s_delay_alu instid0(VALU_DEP_2) | instskip(NEXT) | instid1(VALU_DEP_2)
	v_add_nc_u32_e32 v12, s11, v10
	v_lshl_add_u64 v[8:9], s[0:1], 3, v[4:5]
	s_mov_b32 s1, -1
	s_delay_alu instid0(VALU_DEP_2) | instskip(SKIP_4) | instid1(VALU_DEP_1)
	v_add_nc_u32_e32 v14, s11, v12
	s_clause 0x1
	global_load_b64 v[74:75], v0, s[4:5] scale_offset
	global_load_b64 v[76:77], v[8:9], off
	v_add_nc_u32_e32 v16, s11, v14
	v_add_nc_u32_e32 v18, s11, v16
	s_delay_alu instid0(VALU_DEP_1) | instskip(NEXT) | instid1(VALU_DEP_1)
	v_add_nc_u32_e32 v20, s11, v18
	v_add_nc_u32_e32 v22, s11, v20
	s_clause 0x3
	global_load_b64 v[78:79], v2, s[4:5] scale_offset
	global_load_b64 v[80:81], v6, s[4:5] scale_offset
	;; [unrolled: 1-line block ×4, first 2 shown]
	v_add_nc_u32_e32 v24, s11, v22
	s_delay_alu instid0(VALU_DEP_1) | instskip(NEXT) | instid1(VALU_DEP_1)
	v_add_nc_u32_e32 v26, s11, v24
	v_add_nc_u32_e32 v28, s11, v26
	s_delay_alu instid0(VALU_DEP_1)
	v_add_nc_u32_e32 v30, s11, v28
	s_clause 0x3
	global_load_b64 v[86:87], v14, s[4:5] scale_offset
	global_load_b64 v[88:89], v16, s[4:5] scale_offset
	global_load_b64 v[90:91], v18, s[4:5] scale_offset
	global_load_b64 v[92:93], v20, s[4:5] scale_offset
	v_add_nc_u32_e32 v32, s11, v30
	s_delay_alu instid0(VALU_DEP_1) | instskip(NEXT) | instid1(VALU_DEP_1)
	v_add_nc_u32_e32 v34, s11, v32
	v_add_nc_u32_e32 v36, s11, v34
	s_delay_alu instid0(VALU_DEP_1)
	v_add_nc_u32_e32 v38, s11, v36
	s_clause 0x3
	global_load_b64 v[94:95], v22, s[4:5] scale_offset
	global_load_b64 v[96:97], v24, s[4:5] scale_offset
	global_load_b64 v[98:99], v26, s[4:5] scale_offset
	global_load_b64 v[100:101], v28, s[4:5] scale_offset
	v_add_nc_u32_e32 v40, s11, v38
	s_delay_alu instid0(VALU_DEP_1)
	v_add_nc_u32_e32 v42, s11, v40
	s_clause 0x3
	global_load_b64 v[102:103], v30, s[4:5] scale_offset
	global_load_b64 v[104:105], v32, s[4:5] scale_offset
	global_load_b64 v[106:107], v34, s[4:5] scale_offset
	global_load_b64 v[108:109], v36, s[4:5] scale_offset
	;; [unrolled: 8-line block ×3, first 2 shown]
	v_add_nc_u32_e32 v48, s11, v46
	s_delay_alu instid0(VALU_DEP_1) | instskip(NEXT) | instid1(VALU_DEP_1)
	v_add_nc_u32_e32 v50, s11, v48
	v_add_nc_u32_e32 v52, s11, v50
	s_delay_alu instid0(VALU_DEP_1) | instskip(NEXT) | instid1(VALU_DEP_1)
	v_add_nc_u32_e32 v54, s11, v52
	v_add_nc_u32_e32 v56, s11, v54
	s_delay_alu instid0(VALU_DEP_1)
	v_add_nc_u32_e32 v58, s11, v56
	s_clause 0x3
	global_load_b64 v[118:119], v46, s[4:5] scale_offset
	global_load_b64 v[120:121], v48, s[4:5] scale_offset
	;; [unrolled: 1-line block ×4, first 2 shown]
	v_add_nc_u32_e32 v60, s11, v58
	s_delay_alu instid0(VALU_DEP_1) | instskip(NEXT) | instid1(VALU_DEP_1)
	v_add_nc_u32_e32 v62, s11, v60
	v_add_nc_u32_e32 v64, s11, v62
	s_delay_alu instid0(VALU_DEP_1)
	v_add_nc_u32_e32 v66, s11, v64
	s_clause 0x3
	global_load_b64 v[126:127], v54, s[4:5] scale_offset
	global_load_b64 v[128:129], v56, s[4:5] scale_offset
	;; [unrolled: 1-line block ×4, first 2 shown]
	v_add_nc_u32_e32 v68, s11, v66
	s_delay_alu instid0(VALU_DEP_1)
	v_add_nc_u32_e32 v70, s11, v68
	s_clause 0x4
	global_load_b64 v[134:135], v62, s[4:5] scale_offset
	global_load_b64 v[136:137], v64, s[4:5] scale_offset
	;; [unrolled: 1-line block ×5, first 2 shown]
	s_wait_loadcnt 0x21
	scratch_store_b128 off, v[74:77], off
	s_wait_loadcnt 0x1f
	scratch_store_b128 off, v[78:81], off offset:16
	s_wait_loadcnt 0x1d
	scratch_store_b128 off, v[82:85], off offset:32
	;; [unrolled: 2-line block ×16, first 2 shown]
	s_wait_loadcnt 0x0
	scratch_store_b64 off, v[142:143], off offset:272
	s_cbranch_scc1 .LBB34_152
; %bb.4:
	v_cmp_eq_u32_e64 s0, 0, v0
	s_wait_xcnt 0x0
	s_and_saveexec_b32 s1, s0
; %bb.5:
	v_mov_b32_e32 v1, 0
	ds_store_b32 v1, v1 offset:280
; %bb.6:
	s_or_b32 exec_lo, exec_lo, s1
	s_wait_storecnt_dscnt 0x0
	s_barrier_signal -1
	s_barrier_wait -1
	scratch_load_b64 v[74:75], v0, off scale_offset
	s_wait_loadcnt 0x0
	v_cmp_eq_f32_e32 vcc_lo, 0, v74
	v_cmp_eq_f32_e64 s1, 0, v75
	s_and_b32 s1, vcc_lo, s1
	s_delay_alu instid0(SALU_CYCLE_1)
	s_and_saveexec_b32 s8, s1
	s_cbranch_execz .LBB34_10
; %bb.7:
	v_mov_b32_e32 v1, 0
	s_mov_b32 s9, 0
	ds_load_b32 v3, v1 offset:280
	s_wait_dscnt 0x0
	v_readfirstlane_b32 s1, v3
	v_add_nc_u32_e32 v3, 1, v0
	s_cmp_eq_u32 s1, 0
	s_delay_alu instid0(VALU_DEP_1) | instskip(SKIP_1) | instid1(SALU_CYCLE_1)
	v_cmp_gt_i32_e32 vcc_lo, s1, v3
	s_cselect_b32 s10, -1, 0
	s_or_b32 s10, s10, vcc_lo
	s_delay_alu instid0(SALU_CYCLE_1)
	s_and_b32 exec_lo, exec_lo, s10
	s_cbranch_execz .LBB34_10
; %bb.8:
	v_mov_b32_e32 v7, s1
.LBB34_9:                               ; =>This Inner Loop Header: Depth=1
	ds_cmpstore_rtn_b32 v7, v1, v3, v7 offset:280
	s_wait_dscnt 0x0
	v_cmp_ne_u32_e32 vcc_lo, 0, v7
	v_cmp_le_i32_e64 s1, v7, v3
	s_and_b32 s1, vcc_lo, s1
	s_delay_alu instid0(SALU_CYCLE_1) | instskip(NEXT) | instid1(SALU_CYCLE_1)
	s_and_b32 s1, exec_lo, s1
	s_or_b32 s9, s1, s9
	s_delay_alu instid0(SALU_CYCLE_1)
	s_and_not1_b32 exec_lo, exec_lo, s9
	s_cbranch_execnz .LBB34_9
.LBB34_10:
	s_or_b32 exec_lo, exec_lo, s8
	v_mov_b32_e32 v1, 0
	s_barrier_signal -1
	s_barrier_wait -1
	ds_load_b32 v3, v1 offset:280
	s_and_saveexec_b32 s1, s0
	s_cbranch_execz .LBB34_12
; %bb.11:
	s_lshl_b64 s[8:9], s[16:17], 2
	s_delay_alu instid0(SALU_CYCLE_1)
	s_add_nc_u64 s[8:9], s[6:7], s[8:9]
	s_wait_dscnt 0x0
	global_store_b32 v1, v3, s[8:9]
.LBB34_12:
	s_wait_xcnt 0x0
	s_or_b32 exec_lo, exec_lo, s1
	s_wait_dscnt 0x0
	v_cmp_ne_u32_e32 vcc_lo, 0, v3
	s_mov_b32 s1, 0
	s_cbranch_vccnz .LBB34_152
; %bb.13:
	v_lshl_add_u32 v3, v0, 3, 0
                                        ; implicit-def: $vgpr77
                                        ; implicit-def: $vgpr78
	scratch_load_b64 v[74:75], v3, off
	s_wait_loadcnt 0x0
	v_cmp_ngt_f32_e64 s1, |v74|, |v75|
	s_wait_xcnt 0x0
	s_and_saveexec_b32 s8, s1
	s_delay_alu instid0(SALU_CYCLE_1)
	s_xor_b32 s1, exec_lo, s8
	s_cbranch_execz .LBB34_15
; %bb.14:
	v_div_scale_f32 v1, null, v75, v75, v74
	v_div_scale_f32 v13, vcc_lo, v74, v75, v74
	s_delay_alu instid0(VALU_DEP_2) | instskip(SKIP_1) | instid1(TRANS32_DEP_1)
	v_rcp_f32_e32 v7, v1
	v_nop
	v_fma_f32 v11, -v1, v7, 1.0
	s_delay_alu instid0(VALU_DEP_1) | instskip(NEXT) | instid1(VALU_DEP_1)
	v_fmac_f32_e32 v7, v11, v7
	v_mul_f32_e32 v11, v13, v7
	s_delay_alu instid0(VALU_DEP_1) | instskip(NEXT) | instid1(VALU_DEP_1)
	v_fma_f32 v15, -v1, v11, v13
	v_fmac_f32_e32 v11, v15, v7
	s_delay_alu instid0(VALU_DEP_1) | instskip(NEXT) | instid1(VALU_DEP_1)
	v_fma_f32 v1, -v1, v11, v13
	v_div_fmas_f32 v1, v1, v7, v11
	s_delay_alu instid0(VALU_DEP_1) | instskip(NEXT) | instid1(VALU_DEP_1)
	v_div_fixup_f32 v1, v1, v75, v74
	v_fmac_f32_e32 v75, v74, v1
	s_delay_alu instid0(VALU_DEP_1) | instskip(NEXT) | instid1(VALU_DEP_1)
	v_div_scale_f32 v7, null, v75, v75, -1.0
	v_rcp_f32_e32 v11, v7
	v_nop
	s_delay_alu instid0(TRANS32_DEP_1) | instskip(NEXT) | instid1(VALU_DEP_1)
	v_fma_f32 v13, -v7, v11, 1.0
	v_fmac_f32_e32 v11, v13, v11
	v_div_scale_f32 v13, vcc_lo, -1.0, v75, -1.0
	s_delay_alu instid0(VALU_DEP_1) | instskip(NEXT) | instid1(VALU_DEP_1)
	v_mul_f32_e32 v15, v13, v11
	v_fma_f32 v17, -v7, v15, v13
	s_delay_alu instid0(VALU_DEP_1) | instskip(NEXT) | instid1(VALU_DEP_1)
	v_fmac_f32_e32 v15, v17, v11
	v_fma_f32 v7, -v7, v15, v13
	s_delay_alu instid0(VALU_DEP_1) | instskip(NEXT) | instid1(VALU_DEP_1)
	v_div_fmas_f32 v7, v7, v11, v15
	v_div_fixup_f32 v77, v7, v75, -1.0
                                        ; implicit-def: $vgpr74_vgpr75
	s_delay_alu instid0(VALU_DEP_1) | instskip(NEXT) | instid1(VALU_DEP_1)
	v_mul_f32_e32 v78, v1, v77
	v_xor_b32_e32 v76, 0x80000000, v78
.LBB34_15:
	s_and_not1_saveexec_b32 s1, s1
	s_cbranch_execz .LBB34_17
; %bb.16:
	v_div_scale_f32 v1, null, v74, v74, v75
	v_div_scale_f32 v13, vcc_lo, v75, v74, v75
	s_delay_alu instid0(VALU_DEP_2) | instskip(SKIP_1) | instid1(TRANS32_DEP_1)
	v_rcp_f32_e32 v7, v1
	v_nop
	v_fma_f32 v11, -v1, v7, 1.0
	s_delay_alu instid0(VALU_DEP_1) | instskip(NEXT) | instid1(VALU_DEP_1)
	v_fmac_f32_e32 v7, v11, v7
	v_mul_f32_e32 v11, v13, v7
	s_delay_alu instid0(VALU_DEP_1) | instskip(NEXT) | instid1(VALU_DEP_1)
	v_fma_f32 v15, -v1, v11, v13
	v_fmac_f32_e32 v11, v15, v7
	s_delay_alu instid0(VALU_DEP_1) | instskip(NEXT) | instid1(VALU_DEP_1)
	v_fma_f32 v1, -v1, v11, v13
	v_div_fmas_f32 v1, v1, v7, v11
	s_delay_alu instid0(VALU_DEP_1) | instskip(NEXT) | instid1(VALU_DEP_1)
	v_div_fixup_f32 v1, v1, v74, v75
	v_fmac_f32_e32 v74, v75, v1
	s_delay_alu instid0(VALU_DEP_1) | instskip(SKIP_1) | instid1(VALU_DEP_2)
	v_div_scale_f32 v7, null, v74, v74, 1.0
	v_div_scale_f32 v15, vcc_lo, 1.0, v74, 1.0
	v_rcp_f32_e32 v11, v7
	v_nop
	s_delay_alu instid0(TRANS32_DEP_1) | instskip(NEXT) | instid1(VALU_DEP_1)
	v_fma_f32 v13, -v7, v11, 1.0
	v_fmac_f32_e32 v11, v13, v11
	s_delay_alu instid0(VALU_DEP_1) | instskip(NEXT) | instid1(VALU_DEP_1)
	v_mul_f32_e32 v13, v15, v11
	v_fma_f32 v17, -v7, v13, v15
	s_delay_alu instid0(VALU_DEP_1) | instskip(NEXT) | instid1(VALU_DEP_1)
	v_fmac_f32_e32 v13, v17, v11
	v_fma_f32 v7, -v7, v13, v15
	s_delay_alu instid0(VALU_DEP_1) | instskip(NEXT) | instid1(VALU_DEP_1)
	v_div_fmas_f32 v7, v7, v11, v13
	v_div_fixup_f32 v76, v7, v74, 1.0
	s_delay_alu instid0(VALU_DEP_1)
	v_xor_b32_e32 v78, 0x80000000, v76
	v_mul_f32_e64 v77, v1, -v76
.LBB34_17:
	s_or_b32 exec_lo, exec_lo, s1
	scratch_store_b64 v3, v[76:77], off
	scratch_load_b64 v[74:75], off, off offset:8
	v_xor_b32_e32 v79, 0x80000000, v77
	v_add_nc_u32_e32 v1, 0x120, v72
	s_wait_loadcnt 0x0
	ds_store_2addr_b64 v72, v[78:79], v[74:75] offset1:36
	s_wait_storecnt_dscnt 0x0
	s_barrier_signal -1
	s_barrier_wait -1
	s_wait_xcnt 0x0
	s_and_saveexec_b32 s1, s0
	s_cbranch_execz .LBB34_19
; %bb.18:
	scratch_load_b64 v[74:75], v3, off
	ds_load_b64 v[76:77], v1
	s_wait_loadcnt_dscnt 0x0
	v_pk_mul_f32 v[80:81], v[76:77], v[74:75] op_sel:[1,1] op_sel_hi:[0,1]
	s_delay_alu instid0(VALU_DEP_1) | instskip(SKIP_2) | instid1(VALU_DEP_3)
	v_pk_fma_f32 v[82:83], v[76:77], v[74:75], v[80:81] op_sel_hi:[1,0,1]
	v_mov_b32_e32 v7, 0
	v_pk_fma_f32 v[74:75], v[76:77], v[74:75], v[80:81] neg_lo:[0,0,1] neg_hi:[0,0,1]
	v_mov_b32_e32 v75, v83
	ds_load_b64 v[78:79], v7 offset:8
	v_pk_add_f32 v[74:75], v[74:75], 0 op_sel_hi:[1,0]
	s_wait_dscnt 0x0
	s_delay_alu instid0(VALU_DEP_1) | instskip(NEXT) | instid1(VALU_DEP_1)
	v_pk_mul_f32 v[76:77], v[74:75], v[78:79] op_sel:[1,1] op_sel_hi:[0,1]
	v_pk_fma_f32 v[80:81], v[74:75], v[78:79], v[76:77] op_sel_hi:[1,0,1]
	v_pk_fma_f32 v[74:75], v[74:75], v[78:79], v[76:77] neg_lo:[0,0,1] neg_hi:[0,0,1]
	s_delay_alu instid0(VALU_DEP_2)
	v_mov_b32_e32 v75, v81
	scratch_store_b64 off, v[74:75], off offset:8
.LBB34_19:
	s_wait_xcnt 0x0
	s_or_b32 exec_lo, exec_lo, s1
	s_wait_storecnt 0x0
	s_barrier_signal -1
	s_barrier_wait -1
	scratch_load_b64 v[74:75], off, off offset:16
	s_mov_b32 s1, exec_lo
	s_wait_loadcnt 0x0
	ds_store_b64 v1, v[74:75]
	s_wait_dscnt 0x0
	s_barrier_signal -1
	s_barrier_wait -1
	v_cmpx_gt_u32_e32 2, v0
	s_cbranch_execz .LBB34_23
; %bb.20:
	scratch_load_b64 v[74:75], v3, off
	ds_load_b64 v[76:77], v1
	s_wait_loadcnt_dscnt 0x0
	v_pk_mul_f32 v[78:79], v[76:77], v[74:75] op_sel:[1,1] op_sel_hi:[0,1]
	s_delay_alu instid0(VALU_DEP_1) | instskip(SKIP_1) | instid1(VALU_DEP_2)
	v_pk_fma_f32 v[80:81], v[76:77], v[74:75], v[78:79] op_sel_hi:[1,0,1]
	v_pk_fma_f32 v[74:75], v[76:77], v[74:75], v[78:79] neg_lo:[0,0,1] neg_hi:[0,0,1]
	v_mov_b32_e32 v75, v81
	s_delay_alu instid0(VALU_DEP_1)
	v_pk_add_f32 v[74:75], v[74:75], 0 op_sel_hi:[1,0]
	s_and_saveexec_b32 s8, s0
	s_cbranch_execz .LBB34_22
; %bb.21:
	scratch_load_b64 v[76:77], off, off offset:8
	v_mov_b32_e32 v3, 0
	ds_load_b64 v[78:79], v3 offset:296
	s_wait_loadcnt_dscnt 0x0
	v_pk_mul_f32 v[80:81], v[78:79], v[76:77] op_sel:[1,1] op_sel_hi:[0,1]
	s_delay_alu instid0(VALU_DEP_1) | instskip(SKIP_1) | instid1(VALU_DEP_2)
	v_pk_fma_f32 v[82:83], v[78:79], v[76:77], v[80:81] op_sel_hi:[1,0,1]
	v_pk_fma_f32 v[76:77], v[78:79], v[76:77], v[80:81] neg_lo:[0,0,1] neg_hi:[0,0,1]
	v_mov_b32_e32 v77, v83
	s_delay_alu instid0(VALU_DEP_1)
	v_pk_add_f32 v[74:75], v[74:75], v[76:77]
.LBB34_22:
	s_or_b32 exec_lo, exec_lo, s8
	v_mov_b32_e32 v3, 0
	ds_load_b64 v[76:77], v3 offset:16
	s_wait_dscnt 0x0
	v_pk_mul_f32 v[78:79], v[74:75], v[76:77] op_sel:[1,1] op_sel_hi:[0,1]
	s_delay_alu instid0(VALU_DEP_1) | instskip(SKIP_1) | instid1(VALU_DEP_2)
	v_pk_fma_f32 v[80:81], v[74:75], v[76:77], v[78:79] op_sel_hi:[1,0,1]
	v_pk_fma_f32 v[74:75], v[74:75], v[76:77], v[78:79] neg_lo:[0,0,1] neg_hi:[0,0,1]
	v_mov_b32_e32 v75, v81
	scratch_store_b64 off, v[74:75], off offset:16
.LBB34_23:
	s_wait_xcnt 0x0
	s_or_b32 exec_lo, exec_lo, s1
	s_wait_storecnt 0x0
	s_barrier_signal -1
	s_barrier_wait -1
	scratch_load_b64 v[74:75], off, off offset:24
	v_add_nc_u32_e32 v3, -1, v0
	s_mov_b32 s0, exec_lo
	s_wait_loadcnt 0x0
	ds_store_b64 v1, v[74:75]
	s_wait_dscnt 0x0
	s_barrier_signal -1
	s_barrier_wait -1
	v_cmpx_gt_u32_e32 3, v0
	s_cbranch_execz .LBB34_27
; %bb.24:
	v_dual_mov_b32 v74, 0 :: v_dual_add_nc_u32 v7, -1, v0
	v_add_nc_u32_e32 v11, 0x120, v72
	v_mov_b32_e32 v13, v72
	s_mov_b32 s1, 0
	s_delay_alu instid0(VALU_DEP_3)
	v_mov_b32_e32 v75, v74
.LBB34_25:                              ; =>This Inner Loop Header: Depth=1
	scratch_load_b64 v[76:77], v13, off
	ds_load_b64 v[78:79], v11
	s_wait_xcnt 0x0
	v_dual_add_nc_u32 v11, 8, v11 :: v_dual_add_nc_u32 v13, 8, v13
	s_wait_loadcnt_dscnt 0x0
	v_pk_mul_f32 v[80:81], v[78:79], v[76:77] op_sel:[1,1] op_sel_hi:[0,1]
	s_delay_alu instid0(VALU_DEP_1) | instskip(SKIP_2) | instid1(VALU_DEP_3)
	v_pk_fma_f32 v[82:83], v[78:79], v[76:77], v[80:81] op_sel_hi:[1,0,1]
	v_add_nc_u32_e32 v7, 1, v7
	v_pk_fma_f32 v[76:77], v[78:79], v[76:77], v[80:81] neg_lo:[0,0,1] neg_hi:[0,0,1]
	v_mov_b32_e32 v77, v83
	s_delay_alu instid0(VALU_DEP_3) | instskip(NEXT) | instid1(VALU_DEP_2)
	v_cmp_lt_u32_e32 vcc_lo, 1, v7
	v_pk_add_f32 v[74:75], v[74:75], v[76:77]
	s_or_b32 s1, vcc_lo, s1
	s_delay_alu instid0(SALU_CYCLE_1)
	s_and_not1_b32 exec_lo, exec_lo, s1
	s_cbranch_execnz .LBB34_25
; %bb.26:
	s_or_b32 exec_lo, exec_lo, s1
	v_mov_b32_e32 v7, 0
	ds_load_b64 v[76:77], v7 offset:24
	s_wait_dscnt 0x0
	v_pk_mul_f32 v[78:79], v[74:75], v[76:77] op_sel:[1,1] op_sel_hi:[0,1]
	s_delay_alu instid0(VALU_DEP_1) | instskip(SKIP_1) | instid1(VALU_DEP_2)
	v_pk_fma_f32 v[80:81], v[74:75], v[76:77], v[78:79] op_sel_hi:[1,0,1]
	v_pk_fma_f32 v[74:75], v[74:75], v[76:77], v[78:79] neg_lo:[0,0,1] neg_hi:[0,0,1]
	v_mov_b32_e32 v75, v81
	scratch_store_b64 off, v[74:75], off offset:24
.LBB34_27:
	s_wait_xcnt 0x0
	s_or_b32 exec_lo, exec_lo, s0
	s_wait_storecnt 0x0
	s_barrier_signal -1
	s_barrier_wait -1
	scratch_load_b64 v[74:75], off, off offset:32
	s_mov_b32 s0, exec_lo
	s_wait_loadcnt 0x0
	ds_store_b64 v1, v[74:75]
	s_wait_dscnt 0x0
	s_barrier_signal -1
	s_barrier_wait -1
	v_cmpx_gt_u32_e32 4, v0
	s_cbranch_execz .LBB34_31
; %bb.28:
	v_dual_mov_b32 v74, 0 :: v_dual_add_nc_u32 v7, -1, v0
	v_add_nc_u32_e32 v11, 0x120, v72
	v_mov_b32_e32 v13, v72
	s_mov_b32 s1, 0
	s_delay_alu instid0(VALU_DEP_3)
	v_mov_b32_e32 v75, v74
.LBB34_29:                              ; =>This Inner Loop Header: Depth=1
	scratch_load_b64 v[76:77], v13, off
	ds_load_b64 v[78:79], v11
	s_wait_xcnt 0x0
	v_dual_add_nc_u32 v11, 8, v11 :: v_dual_add_nc_u32 v13, 8, v13
	s_wait_loadcnt_dscnt 0x0
	v_pk_mul_f32 v[80:81], v[78:79], v[76:77] op_sel:[1,1] op_sel_hi:[0,1]
	s_delay_alu instid0(VALU_DEP_1) | instskip(SKIP_2) | instid1(VALU_DEP_3)
	v_pk_fma_f32 v[82:83], v[78:79], v[76:77], v[80:81] op_sel_hi:[1,0,1]
	v_add_nc_u32_e32 v7, 1, v7
	v_pk_fma_f32 v[76:77], v[78:79], v[76:77], v[80:81] neg_lo:[0,0,1] neg_hi:[0,0,1]
	v_mov_b32_e32 v77, v83
	s_delay_alu instid0(VALU_DEP_3) | instskip(NEXT) | instid1(VALU_DEP_2)
	v_cmp_lt_u32_e32 vcc_lo, 2, v7
	v_pk_add_f32 v[74:75], v[74:75], v[76:77]
	s_or_b32 s1, vcc_lo, s1
	s_delay_alu instid0(SALU_CYCLE_1)
	s_and_not1_b32 exec_lo, exec_lo, s1
	s_cbranch_execnz .LBB34_29
; %bb.30:
	s_or_b32 exec_lo, exec_lo, s1
	v_mov_b32_e32 v7, 0
	ds_load_b64 v[76:77], v7 offset:32
	s_wait_dscnt 0x0
	v_pk_mul_f32 v[78:79], v[74:75], v[76:77] op_sel:[1,1] op_sel_hi:[0,1]
	s_delay_alu instid0(VALU_DEP_1) | instskip(SKIP_1) | instid1(VALU_DEP_2)
	v_pk_fma_f32 v[80:81], v[74:75], v[76:77], v[78:79] op_sel_hi:[1,0,1]
	v_pk_fma_f32 v[74:75], v[74:75], v[76:77], v[78:79] neg_lo:[0,0,1] neg_hi:[0,0,1]
	v_mov_b32_e32 v75, v81
	scratch_store_b64 off, v[74:75], off offset:32
.LBB34_31:
	s_wait_xcnt 0x0
	s_or_b32 exec_lo, exec_lo, s0
	s_wait_storecnt 0x0
	s_barrier_signal -1
	s_barrier_wait -1
	scratch_load_b64 v[74:75], off, off offset:40
	;; [unrolled: 52-line block ×19, first 2 shown]
	s_mov_b32 s0, exec_lo
	s_wait_loadcnt 0x0
	ds_store_b64 v1, v[74:75]
	s_wait_dscnt 0x0
	s_barrier_signal -1
	s_barrier_wait -1
	v_cmpx_gt_u32_e32 22, v0
	s_cbranch_execz .LBB34_103
; %bb.100:
	v_dual_mov_b32 v74, 0 :: v_dual_add_nc_u32 v7, -1, v0
	v_add_nc_u32_e32 v11, 0x120, v72
	v_mov_b32_e32 v13, v72
	s_mov_b32 s1, 0
	s_delay_alu instid0(VALU_DEP_3)
	v_mov_b32_e32 v75, v74
.LBB34_101:                             ; =>This Inner Loop Header: Depth=1
	scratch_load_b64 v[76:77], v13, off
	ds_load_b64 v[78:79], v11
	s_wait_xcnt 0x0
	v_dual_add_nc_u32 v11, 8, v11 :: v_dual_add_nc_u32 v13, 8, v13
	s_wait_loadcnt_dscnt 0x0
	v_pk_mul_f32 v[80:81], v[78:79], v[76:77] op_sel:[1,1] op_sel_hi:[0,1]
	s_delay_alu instid0(VALU_DEP_1) | instskip(SKIP_2) | instid1(VALU_DEP_3)
	v_pk_fma_f32 v[82:83], v[78:79], v[76:77], v[80:81] op_sel_hi:[1,0,1]
	v_add_nc_u32_e32 v7, 1, v7
	v_pk_fma_f32 v[76:77], v[78:79], v[76:77], v[80:81] neg_lo:[0,0,1] neg_hi:[0,0,1]
	v_mov_b32_e32 v77, v83
	s_delay_alu instid0(VALU_DEP_3) | instskip(NEXT) | instid1(VALU_DEP_2)
	v_cmp_lt_u32_e32 vcc_lo, 20, v7
	v_pk_add_f32 v[74:75], v[74:75], v[76:77]
	s_or_b32 s1, vcc_lo, s1
	s_delay_alu instid0(SALU_CYCLE_1)
	s_and_not1_b32 exec_lo, exec_lo, s1
	s_cbranch_execnz .LBB34_101
; %bb.102:
	s_or_b32 exec_lo, exec_lo, s1
	v_mov_b32_e32 v7, 0
	ds_load_b64 v[76:77], v7 offset:176
	s_wait_dscnt 0x0
	v_pk_mul_f32 v[78:79], v[74:75], v[76:77] op_sel:[1,1] op_sel_hi:[0,1]
	s_delay_alu instid0(VALU_DEP_1) | instskip(SKIP_1) | instid1(VALU_DEP_2)
	v_pk_fma_f32 v[80:81], v[74:75], v[76:77], v[78:79] op_sel_hi:[1,0,1]
	v_pk_fma_f32 v[74:75], v[74:75], v[76:77], v[78:79] neg_lo:[0,0,1] neg_hi:[0,0,1]
	v_mov_b32_e32 v75, v81
	scratch_store_b64 off, v[74:75], off offset:176
.LBB34_103:
	s_wait_xcnt 0x0
	s_or_b32 exec_lo, exec_lo, s0
	s_wait_storecnt 0x0
	s_barrier_signal -1
	s_barrier_wait -1
	scratch_load_b64 v[74:75], off, off offset:184
	s_mov_b32 s0, exec_lo
	s_wait_loadcnt 0x0
	ds_store_b64 v1, v[74:75]
	s_wait_dscnt 0x0
	s_barrier_signal -1
	s_barrier_wait -1
	v_cmpx_gt_u32_e32 23, v0
	s_cbranch_execz .LBB34_107
; %bb.104:
	v_dual_mov_b32 v74, 0 :: v_dual_add_nc_u32 v7, -1, v0
	v_add_nc_u32_e32 v11, 0x120, v72
	v_mov_b32_e32 v13, v72
	s_mov_b32 s1, 0
	s_delay_alu instid0(VALU_DEP_3)
	v_mov_b32_e32 v75, v74
.LBB34_105:                             ; =>This Inner Loop Header: Depth=1
	scratch_load_b64 v[76:77], v13, off
	ds_load_b64 v[78:79], v11
	s_wait_xcnt 0x0
	v_dual_add_nc_u32 v11, 8, v11 :: v_dual_add_nc_u32 v13, 8, v13
	s_wait_loadcnt_dscnt 0x0
	v_pk_mul_f32 v[80:81], v[78:79], v[76:77] op_sel:[1,1] op_sel_hi:[0,1]
	s_delay_alu instid0(VALU_DEP_1) | instskip(SKIP_2) | instid1(VALU_DEP_3)
	v_pk_fma_f32 v[82:83], v[78:79], v[76:77], v[80:81] op_sel_hi:[1,0,1]
	v_add_nc_u32_e32 v7, 1, v7
	v_pk_fma_f32 v[76:77], v[78:79], v[76:77], v[80:81] neg_lo:[0,0,1] neg_hi:[0,0,1]
	v_mov_b32_e32 v77, v83
	s_delay_alu instid0(VALU_DEP_3) | instskip(NEXT) | instid1(VALU_DEP_2)
	v_cmp_lt_u32_e32 vcc_lo, 21, v7
	v_pk_add_f32 v[74:75], v[74:75], v[76:77]
	s_or_b32 s1, vcc_lo, s1
	s_delay_alu instid0(SALU_CYCLE_1)
	s_and_not1_b32 exec_lo, exec_lo, s1
	s_cbranch_execnz .LBB34_105
; %bb.106:
	s_or_b32 exec_lo, exec_lo, s1
	v_mov_b32_e32 v7, 0
	ds_load_b64 v[76:77], v7 offset:184
	s_wait_dscnt 0x0
	v_pk_mul_f32 v[78:79], v[74:75], v[76:77] op_sel:[1,1] op_sel_hi:[0,1]
	s_delay_alu instid0(VALU_DEP_1) | instskip(SKIP_1) | instid1(VALU_DEP_2)
	v_pk_fma_f32 v[80:81], v[74:75], v[76:77], v[78:79] op_sel_hi:[1,0,1]
	v_pk_fma_f32 v[74:75], v[74:75], v[76:77], v[78:79] neg_lo:[0,0,1] neg_hi:[0,0,1]
	v_mov_b32_e32 v75, v81
	scratch_store_b64 off, v[74:75], off offset:184
.LBB34_107:
	s_wait_xcnt 0x0
	s_or_b32 exec_lo, exec_lo, s0
	s_wait_storecnt 0x0
	s_barrier_signal -1
	s_barrier_wait -1
	scratch_load_b64 v[74:75], off, off offset:192
	s_mov_b32 s0, exec_lo
	s_wait_loadcnt 0x0
	ds_store_b64 v1, v[74:75]
	s_wait_dscnt 0x0
	s_barrier_signal -1
	s_barrier_wait -1
	v_cmpx_gt_u32_e32 24, v0
	s_cbranch_execz .LBB34_111
; %bb.108:
	v_dual_mov_b32 v74, 0 :: v_dual_add_nc_u32 v7, -1, v0
	v_add_nc_u32_e32 v11, 0x120, v72
	v_mov_b32_e32 v13, v72
	s_mov_b32 s1, 0
	s_delay_alu instid0(VALU_DEP_3)
	v_mov_b32_e32 v75, v74
.LBB34_109:                             ; =>This Inner Loop Header: Depth=1
	scratch_load_b64 v[76:77], v13, off
	ds_load_b64 v[78:79], v11
	s_wait_xcnt 0x0
	v_dual_add_nc_u32 v11, 8, v11 :: v_dual_add_nc_u32 v13, 8, v13
	s_wait_loadcnt_dscnt 0x0
	v_pk_mul_f32 v[80:81], v[78:79], v[76:77] op_sel:[1,1] op_sel_hi:[0,1]
	s_delay_alu instid0(VALU_DEP_1) | instskip(SKIP_2) | instid1(VALU_DEP_3)
	v_pk_fma_f32 v[82:83], v[78:79], v[76:77], v[80:81] op_sel_hi:[1,0,1]
	v_add_nc_u32_e32 v7, 1, v7
	v_pk_fma_f32 v[76:77], v[78:79], v[76:77], v[80:81] neg_lo:[0,0,1] neg_hi:[0,0,1]
	v_mov_b32_e32 v77, v83
	s_delay_alu instid0(VALU_DEP_3) | instskip(NEXT) | instid1(VALU_DEP_2)
	v_cmp_lt_u32_e32 vcc_lo, 22, v7
	v_pk_add_f32 v[74:75], v[74:75], v[76:77]
	s_or_b32 s1, vcc_lo, s1
	s_delay_alu instid0(SALU_CYCLE_1)
	s_and_not1_b32 exec_lo, exec_lo, s1
	s_cbranch_execnz .LBB34_109
; %bb.110:
	s_or_b32 exec_lo, exec_lo, s1
	v_mov_b32_e32 v7, 0
	ds_load_b64 v[76:77], v7 offset:192
	s_wait_dscnt 0x0
	v_pk_mul_f32 v[78:79], v[74:75], v[76:77] op_sel:[1,1] op_sel_hi:[0,1]
	s_delay_alu instid0(VALU_DEP_1) | instskip(SKIP_1) | instid1(VALU_DEP_2)
	v_pk_fma_f32 v[80:81], v[74:75], v[76:77], v[78:79] op_sel_hi:[1,0,1]
	v_pk_fma_f32 v[74:75], v[74:75], v[76:77], v[78:79] neg_lo:[0,0,1] neg_hi:[0,0,1]
	v_mov_b32_e32 v75, v81
	scratch_store_b64 off, v[74:75], off offset:192
.LBB34_111:
	s_wait_xcnt 0x0
	s_or_b32 exec_lo, exec_lo, s0
	s_wait_storecnt 0x0
	s_barrier_signal -1
	s_barrier_wait -1
	scratch_load_b64 v[74:75], off, off offset:200
	s_mov_b32 s0, exec_lo
	s_wait_loadcnt 0x0
	ds_store_b64 v1, v[74:75]
	s_wait_dscnt 0x0
	s_barrier_signal -1
	s_barrier_wait -1
	v_cmpx_gt_u32_e32 25, v0
	s_cbranch_execz .LBB34_115
; %bb.112:
	v_dual_mov_b32 v74, 0 :: v_dual_add_nc_u32 v7, -1, v0
	v_add_nc_u32_e32 v11, 0x120, v72
	v_mov_b32_e32 v13, v72
	s_mov_b32 s1, 0
	s_delay_alu instid0(VALU_DEP_3)
	v_mov_b32_e32 v75, v74
.LBB34_113:                             ; =>This Inner Loop Header: Depth=1
	scratch_load_b64 v[76:77], v13, off
	ds_load_b64 v[78:79], v11
	s_wait_xcnt 0x0
	v_dual_add_nc_u32 v11, 8, v11 :: v_dual_add_nc_u32 v13, 8, v13
	s_wait_loadcnt_dscnt 0x0
	v_pk_mul_f32 v[80:81], v[78:79], v[76:77] op_sel:[1,1] op_sel_hi:[0,1]
	s_delay_alu instid0(VALU_DEP_1) | instskip(SKIP_2) | instid1(VALU_DEP_3)
	v_pk_fma_f32 v[82:83], v[78:79], v[76:77], v[80:81] op_sel_hi:[1,0,1]
	v_add_nc_u32_e32 v7, 1, v7
	v_pk_fma_f32 v[76:77], v[78:79], v[76:77], v[80:81] neg_lo:[0,0,1] neg_hi:[0,0,1]
	v_mov_b32_e32 v77, v83
	s_delay_alu instid0(VALU_DEP_3) | instskip(NEXT) | instid1(VALU_DEP_2)
	v_cmp_lt_u32_e32 vcc_lo, 23, v7
	v_pk_add_f32 v[74:75], v[74:75], v[76:77]
	s_or_b32 s1, vcc_lo, s1
	s_delay_alu instid0(SALU_CYCLE_1)
	s_and_not1_b32 exec_lo, exec_lo, s1
	s_cbranch_execnz .LBB34_113
; %bb.114:
	s_or_b32 exec_lo, exec_lo, s1
	v_mov_b32_e32 v7, 0
	ds_load_b64 v[76:77], v7 offset:200
	s_wait_dscnt 0x0
	v_pk_mul_f32 v[78:79], v[74:75], v[76:77] op_sel:[1,1] op_sel_hi:[0,1]
	s_delay_alu instid0(VALU_DEP_1) | instskip(SKIP_1) | instid1(VALU_DEP_2)
	v_pk_fma_f32 v[80:81], v[74:75], v[76:77], v[78:79] op_sel_hi:[1,0,1]
	v_pk_fma_f32 v[74:75], v[74:75], v[76:77], v[78:79] neg_lo:[0,0,1] neg_hi:[0,0,1]
	v_mov_b32_e32 v75, v81
	scratch_store_b64 off, v[74:75], off offset:200
.LBB34_115:
	s_wait_xcnt 0x0
	s_or_b32 exec_lo, exec_lo, s0
	s_wait_storecnt 0x0
	s_barrier_signal -1
	s_barrier_wait -1
	scratch_load_b64 v[74:75], off, off offset:208
	s_mov_b32 s0, exec_lo
	s_wait_loadcnt 0x0
	ds_store_b64 v1, v[74:75]
	s_wait_dscnt 0x0
	s_barrier_signal -1
	s_barrier_wait -1
	v_cmpx_gt_u32_e32 26, v0
	s_cbranch_execz .LBB34_119
; %bb.116:
	v_dual_mov_b32 v74, 0 :: v_dual_add_nc_u32 v7, -1, v0
	v_add_nc_u32_e32 v11, 0x120, v72
	v_mov_b32_e32 v13, v72
	s_mov_b32 s1, 0
	s_delay_alu instid0(VALU_DEP_3)
	v_mov_b32_e32 v75, v74
.LBB34_117:                             ; =>This Inner Loop Header: Depth=1
	scratch_load_b64 v[76:77], v13, off
	ds_load_b64 v[78:79], v11
	s_wait_xcnt 0x0
	v_dual_add_nc_u32 v11, 8, v11 :: v_dual_add_nc_u32 v13, 8, v13
	s_wait_loadcnt_dscnt 0x0
	v_pk_mul_f32 v[80:81], v[78:79], v[76:77] op_sel:[1,1] op_sel_hi:[0,1]
	s_delay_alu instid0(VALU_DEP_1) | instskip(SKIP_2) | instid1(VALU_DEP_3)
	v_pk_fma_f32 v[82:83], v[78:79], v[76:77], v[80:81] op_sel_hi:[1,0,1]
	v_add_nc_u32_e32 v7, 1, v7
	v_pk_fma_f32 v[76:77], v[78:79], v[76:77], v[80:81] neg_lo:[0,0,1] neg_hi:[0,0,1]
	v_mov_b32_e32 v77, v83
	s_delay_alu instid0(VALU_DEP_3) | instskip(NEXT) | instid1(VALU_DEP_2)
	v_cmp_lt_u32_e32 vcc_lo, 24, v7
	v_pk_add_f32 v[74:75], v[74:75], v[76:77]
	s_or_b32 s1, vcc_lo, s1
	s_delay_alu instid0(SALU_CYCLE_1)
	s_and_not1_b32 exec_lo, exec_lo, s1
	s_cbranch_execnz .LBB34_117
; %bb.118:
	s_or_b32 exec_lo, exec_lo, s1
	v_mov_b32_e32 v7, 0
	ds_load_b64 v[76:77], v7 offset:208
	s_wait_dscnt 0x0
	v_pk_mul_f32 v[78:79], v[74:75], v[76:77] op_sel:[1,1] op_sel_hi:[0,1]
	s_delay_alu instid0(VALU_DEP_1) | instskip(SKIP_1) | instid1(VALU_DEP_2)
	v_pk_fma_f32 v[80:81], v[74:75], v[76:77], v[78:79] op_sel_hi:[1,0,1]
	v_pk_fma_f32 v[74:75], v[74:75], v[76:77], v[78:79] neg_lo:[0,0,1] neg_hi:[0,0,1]
	v_mov_b32_e32 v75, v81
	scratch_store_b64 off, v[74:75], off offset:208
.LBB34_119:
	s_wait_xcnt 0x0
	s_or_b32 exec_lo, exec_lo, s0
	s_wait_storecnt 0x0
	s_barrier_signal -1
	s_barrier_wait -1
	scratch_load_b64 v[74:75], off, off offset:216
	s_mov_b32 s0, exec_lo
	s_wait_loadcnt 0x0
	ds_store_b64 v1, v[74:75]
	s_wait_dscnt 0x0
	s_barrier_signal -1
	s_barrier_wait -1
	v_cmpx_gt_u32_e32 27, v0
	s_cbranch_execz .LBB34_123
; %bb.120:
	v_dual_mov_b32 v74, 0 :: v_dual_add_nc_u32 v7, -1, v0
	v_add_nc_u32_e32 v11, 0x120, v72
	v_mov_b32_e32 v13, v72
	s_mov_b32 s1, 0
	s_delay_alu instid0(VALU_DEP_3)
	v_mov_b32_e32 v75, v74
.LBB34_121:                             ; =>This Inner Loop Header: Depth=1
	scratch_load_b64 v[76:77], v13, off
	ds_load_b64 v[78:79], v11
	s_wait_xcnt 0x0
	v_dual_add_nc_u32 v11, 8, v11 :: v_dual_add_nc_u32 v13, 8, v13
	s_wait_loadcnt_dscnt 0x0
	v_pk_mul_f32 v[80:81], v[78:79], v[76:77] op_sel:[1,1] op_sel_hi:[0,1]
	s_delay_alu instid0(VALU_DEP_1) | instskip(SKIP_2) | instid1(VALU_DEP_3)
	v_pk_fma_f32 v[82:83], v[78:79], v[76:77], v[80:81] op_sel_hi:[1,0,1]
	v_add_nc_u32_e32 v7, 1, v7
	v_pk_fma_f32 v[76:77], v[78:79], v[76:77], v[80:81] neg_lo:[0,0,1] neg_hi:[0,0,1]
	v_mov_b32_e32 v77, v83
	s_delay_alu instid0(VALU_DEP_3) | instskip(NEXT) | instid1(VALU_DEP_2)
	v_cmp_lt_u32_e32 vcc_lo, 25, v7
	v_pk_add_f32 v[74:75], v[74:75], v[76:77]
	s_or_b32 s1, vcc_lo, s1
	s_delay_alu instid0(SALU_CYCLE_1)
	s_and_not1_b32 exec_lo, exec_lo, s1
	s_cbranch_execnz .LBB34_121
; %bb.122:
	s_or_b32 exec_lo, exec_lo, s1
	v_mov_b32_e32 v7, 0
	ds_load_b64 v[76:77], v7 offset:216
	s_wait_dscnt 0x0
	v_pk_mul_f32 v[78:79], v[74:75], v[76:77] op_sel:[1,1] op_sel_hi:[0,1]
	s_delay_alu instid0(VALU_DEP_1) | instskip(SKIP_1) | instid1(VALU_DEP_2)
	v_pk_fma_f32 v[80:81], v[74:75], v[76:77], v[78:79] op_sel_hi:[1,0,1]
	v_pk_fma_f32 v[74:75], v[74:75], v[76:77], v[78:79] neg_lo:[0,0,1] neg_hi:[0,0,1]
	v_mov_b32_e32 v75, v81
	scratch_store_b64 off, v[74:75], off offset:216
.LBB34_123:
	s_wait_xcnt 0x0
	s_or_b32 exec_lo, exec_lo, s0
	s_wait_storecnt 0x0
	s_barrier_signal -1
	s_barrier_wait -1
	scratch_load_b64 v[74:75], off, off offset:224
	s_mov_b32 s0, exec_lo
	s_wait_loadcnt 0x0
	ds_store_b64 v1, v[74:75]
	s_wait_dscnt 0x0
	s_barrier_signal -1
	s_barrier_wait -1
	v_cmpx_gt_u32_e32 28, v0
	s_cbranch_execz .LBB34_127
; %bb.124:
	v_dual_mov_b32 v74, 0 :: v_dual_add_nc_u32 v7, -1, v0
	v_add_nc_u32_e32 v11, 0x120, v72
	v_mov_b32_e32 v13, v72
	s_mov_b32 s1, 0
	s_delay_alu instid0(VALU_DEP_3)
	v_mov_b32_e32 v75, v74
.LBB34_125:                             ; =>This Inner Loop Header: Depth=1
	scratch_load_b64 v[76:77], v13, off
	ds_load_b64 v[78:79], v11
	s_wait_xcnt 0x0
	v_dual_add_nc_u32 v11, 8, v11 :: v_dual_add_nc_u32 v13, 8, v13
	s_wait_loadcnt_dscnt 0x0
	v_pk_mul_f32 v[80:81], v[78:79], v[76:77] op_sel:[1,1] op_sel_hi:[0,1]
	s_delay_alu instid0(VALU_DEP_1) | instskip(SKIP_2) | instid1(VALU_DEP_3)
	v_pk_fma_f32 v[82:83], v[78:79], v[76:77], v[80:81] op_sel_hi:[1,0,1]
	v_add_nc_u32_e32 v7, 1, v7
	v_pk_fma_f32 v[76:77], v[78:79], v[76:77], v[80:81] neg_lo:[0,0,1] neg_hi:[0,0,1]
	v_mov_b32_e32 v77, v83
	s_delay_alu instid0(VALU_DEP_3) | instskip(NEXT) | instid1(VALU_DEP_2)
	v_cmp_lt_u32_e32 vcc_lo, 26, v7
	v_pk_add_f32 v[74:75], v[74:75], v[76:77]
	s_or_b32 s1, vcc_lo, s1
	s_delay_alu instid0(SALU_CYCLE_1)
	s_and_not1_b32 exec_lo, exec_lo, s1
	s_cbranch_execnz .LBB34_125
; %bb.126:
	s_or_b32 exec_lo, exec_lo, s1
	v_mov_b32_e32 v7, 0
	ds_load_b64 v[76:77], v7 offset:224
	s_wait_dscnt 0x0
	v_pk_mul_f32 v[78:79], v[74:75], v[76:77] op_sel:[1,1] op_sel_hi:[0,1]
	s_delay_alu instid0(VALU_DEP_1) | instskip(SKIP_1) | instid1(VALU_DEP_2)
	v_pk_fma_f32 v[80:81], v[74:75], v[76:77], v[78:79] op_sel_hi:[1,0,1]
	v_pk_fma_f32 v[74:75], v[74:75], v[76:77], v[78:79] neg_lo:[0,0,1] neg_hi:[0,0,1]
	v_mov_b32_e32 v75, v81
	scratch_store_b64 off, v[74:75], off offset:224
.LBB34_127:
	s_wait_xcnt 0x0
	s_or_b32 exec_lo, exec_lo, s0
	s_wait_storecnt 0x0
	s_barrier_signal -1
	s_barrier_wait -1
	scratch_load_b64 v[74:75], off, off offset:232
	s_mov_b32 s0, exec_lo
	s_wait_loadcnt 0x0
	ds_store_b64 v1, v[74:75]
	s_wait_dscnt 0x0
	s_barrier_signal -1
	s_barrier_wait -1
	v_cmpx_gt_u32_e32 29, v0
	s_cbranch_execz .LBB34_131
; %bb.128:
	v_dual_mov_b32 v74, 0 :: v_dual_add_nc_u32 v7, -1, v0
	v_add_nc_u32_e32 v11, 0x120, v72
	v_mov_b32_e32 v13, v72
	s_mov_b32 s1, 0
	s_delay_alu instid0(VALU_DEP_3)
	v_mov_b32_e32 v75, v74
.LBB34_129:                             ; =>This Inner Loop Header: Depth=1
	scratch_load_b64 v[76:77], v13, off
	ds_load_b64 v[78:79], v11
	s_wait_xcnt 0x0
	v_dual_add_nc_u32 v11, 8, v11 :: v_dual_add_nc_u32 v13, 8, v13
	s_wait_loadcnt_dscnt 0x0
	v_pk_mul_f32 v[80:81], v[78:79], v[76:77] op_sel:[1,1] op_sel_hi:[0,1]
	s_delay_alu instid0(VALU_DEP_1) | instskip(SKIP_2) | instid1(VALU_DEP_3)
	v_pk_fma_f32 v[82:83], v[78:79], v[76:77], v[80:81] op_sel_hi:[1,0,1]
	v_add_nc_u32_e32 v7, 1, v7
	v_pk_fma_f32 v[76:77], v[78:79], v[76:77], v[80:81] neg_lo:[0,0,1] neg_hi:[0,0,1]
	v_mov_b32_e32 v77, v83
	s_delay_alu instid0(VALU_DEP_3) | instskip(NEXT) | instid1(VALU_DEP_2)
	v_cmp_lt_u32_e32 vcc_lo, 27, v7
	v_pk_add_f32 v[74:75], v[74:75], v[76:77]
	s_or_b32 s1, vcc_lo, s1
	s_delay_alu instid0(SALU_CYCLE_1)
	s_and_not1_b32 exec_lo, exec_lo, s1
	s_cbranch_execnz .LBB34_129
; %bb.130:
	s_or_b32 exec_lo, exec_lo, s1
	v_mov_b32_e32 v7, 0
	ds_load_b64 v[76:77], v7 offset:232
	s_wait_dscnt 0x0
	v_pk_mul_f32 v[78:79], v[74:75], v[76:77] op_sel:[1,1] op_sel_hi:[0,1]
	s_delay_alu instid0(VALU_DEP_1) | instskip(SKIP_1) | instid1(VALU_DEP_2)
	v_pk_fma_f32 v[80:81], v[74:75], v[76:77], v[78:79] op_sel_hi:[1,0,1]
	v_pk_fma_f32 v[74:75], v[74:75], v[76:77], v[78:79] neg_lo:[0,0,1] neg_hi:[0,0,1]
	v_mov_b32_e32 v75, v81
	scratch_store_b64 off, v[74:75], off offset:232
.LBB34_131:
	s_wait_xcnt 0x0
	s_or_b32 exec_lo, exec_lo, s0
	s_wait_storecnt 0x0
	s_barrier_signal -1
	s_barrier_wait -1
	scratch_load_b64 v[74:75], off, off offset:240
	s_mov_b32 s0, exec_lo
	s_wait_loadcnt 0x0
	ds_store_b64 v1, v[74:75]
	s_wait_dscnt 0x0
	s_barrier_signal -1
	s_barrier_wait -1
	v_cmpx_gt_u32_e32 30, v0
	s_cbranch_execz .LBB34_135
; %bb.132:
	v_dual_mov_b32 v74, 0 :: v_dual_add_nc_u32 v7, -1, v0
	v_add_nc_u32_e32 v11, 0x120, v72
	v_mov_b32_e32 v13, v72
	s_mov_b32 s1, 0
	s_delay_alu instid0(VALU_DEP_3)
	v_mov_b32_e32 v75, v74
.LBB34_133:                             ; =>This Inner Loop Header: Depth=1
	scratch_load_b64 v[76:77], v13, off
	ds_load_b64 v[78:79], v11
	s_wait_xcnt 0x0
	v_dual_add_nc_u32 v11, 8, v11 :: v_dual_add_nc_u32 v13, 8, v13
	s_wait_loadcnt_dscnt 0x0
	v_pk_mul_f32 v[80:81], v[78:79], v[76:77] op_sel:[1,1] op_sel_hi:[0,1]
	s_delay_alu instid0(VALU_DEP_1) | instskip(SKIP_2) | instid1(VALU_DEP_3)
	v_pk_fma_f32 v[82:83], v[78:79], v[76:77], v[80:81] op_sel_hi:[1,0,1]
	v_add_nc_u32_e32 v7, 1, v7
	v_pk_fma_f32 v[76:77], v[78:79], v[76:77], v[80:81] neg_lo:[0,0,1] neg_hi:[0,0,1]
	v_mov_b32_e32 v77, v83
	s_delay_alu instid0(VALU_DEP_3) | instskip(NEXT) | instid1(VALU_DEP_2)
	v_cmp_lt_u32_e32 vcc_lo, 28, v7
	v_pk_add_f32 v[74:75], v[74:75], v[76:77]
	s_or_b32 s1, vcc_lo, s1
	s_delay_alu instid0(SALU_CYCLE_1)
	s_and_not1_b32 exec_lo, exec_lo, s1
	s_cbranch_execnz .LBB34_133
; %bb.134:
	s_or_b32 exec_lo, exec_lo, s1
	v_mov_b32_e32 v7, 0
	ds_load_b64 v[76:77], v7 offset:240
	s_wait_dscnt 0x0
	v_pk_mul_f32 v[78:79], v[74:75], v[76:77] op_sel:[1,1] op_sel_hi:[0,1]
	s_delay_alu instid0(VALU_DEP_1) | instskip(SKIP_1) | instid1(VALU_DEP_2)
	v_pk_fma_f32 v[80:81], v[74:75], v[76:77], v[78:79] op_sel_hi:[1,0,1]
	v_pk_fma_f32 v[74:75], v[74:75], v[76:77], v[78:79] neg_lo:[0,0,1] neg_hi:[0,0,1]
	v_mov_b32_e32 v75, v81
	scratch_store_b64 off, v[74:75], off offset:240
.LBB34_135:
	s_wait_xcnt 0x0
	s_or_b32 exec_lo, exec_lo, s0
	s_wait_storecnt 0x0
	s_barrier_signal -1
	s_barrier_wait -1
	scratch_load_b64 v[74:75], off, off offset:248
	s_mov_b32 s0, exec_lo
	s_wait_loadcnt 0x0
	ds_store_b64 v1, v[74:75]
	s_wait_dscnt 0x0
	s_barrier_signal -1
	s_barrier_wait -1
	v_cmpx_gt_u32_e32 31, v0
	s_cbranch_execz .LBB34_139
; %bb.136:
	v_dual_mov_b32 v74, 0 :: v_dual_add_nc_u32 v7, -1, v0
	v_add_nc_u32_e32 v11, 0x120, v72
	v_mov_b32_e32 v13, v72
	s_mov_b32 s1, 0
	s_delay_alu instid0(VALU_DEP_3)
	v_mov_b32_e32 v75, v74
.LBB34_137:                             ; =>This Inner Loop Header: Depth=1
	scratch_load_b64 v[76:77], v13, off
	ds_load_b64 v[78:79], v11
	s_wait_xcnt 0x0
	v_dual_add_nc_u32 v11, 8, v11 :: v_dual_add_nc_u32 v13, 8, v13
	s_wait_loadcnt_dscnt 0x0
	v_pk_mul_f32 v[80:81], v[78:79], v[76:77] op_sel:[1,1] op_sel_hi:[0,1]
	s_delay_alu instid0(VALU_DEP_1) | instskip(SKIP_2) | instid1(VALU_DEP_3)
	v_pk_fma_f32 v[82:83], v[78:79], v[76:77], v[80:81] op_sel_hi:[1,0,1]
	v_add_nc_u32_e32 v7, 1, v7
	v_pk_fma_f32 v[76:77], v[78:79], v[76:77], v[80:81] neg_lo:[0,0,1] neg_hi:[0,0,1]
	v_mov_b32_e32 v77, v83
	s_delay_alu instid0(VALU_DEP_3) | instskip(NEXT) | instid1(VALU_DEP_2)
	v_cmp_lt_u32_e32 vcc_lo, 29, v7
	v_pk_add_f32 v[74:75], v[74:75], v[76:77]
	s_or_b32 s1, vcc_lo, s1
	s_delay_alu instid0(SALU_CYCLE_1)
	s_and_not1_b32 exec_lo, exec_lo, s1
	s_cbranch_execnz .LBB34_137
; %bb.138:
	s_or_b32 exec_lo, exec_lo, s1
	v_mov_b32_e32 v7, 0
	ds_load_b64 v[76:77], v7 offset:248
	s_wait_dscnt 0x0
	v_pk_mul_f32 v[78:79], v[74:75], v[76:77] op_sel:[1,1] op_sel_hi:[0,1]
	s_delay_alu instid0(VALU_DEP_1) | instskip(SKIP_1) | instid1(VALU_DEP_2)
	v_pk_fma_f32 v[80:81], v[74:75], v[76:77], v[78:79] op_sel_hi:[1,0,1]
	v_pk_fma_f32 v[74:75], v[74:75], v[76:77], v[78:79] neg_lo:[0,0,1] neg_hi:[0,0,1]
	v_mov_b32_e32 v75, v81
	scratch_store_b64 off, v[74:75], off offset:248
.LBB34_139:
	s_wait_xcnt 0x0
	s_or_b32 exec_lo, exec_lo, s0
	s_wait_storecnt 0x0
	s_barrier_signal -1
	s_barrier_wait -1
	scratch_load_b64 v[74:75], off, off offset:256
	s_mov_b32 s0, exec_lo
	s_wait_loadcnt 0x0
	ds_store_b64 v1, v[74:75]
	s_wait_dscnt 0x0
	s_barrier_signal -1
	s_barrier_wait -1
	v_cmpx_gt_u32_e32 32, v0
	s_cbranch_execz .LBB34_143
; %bb.140:
	v_dual_mov_b32 v74, 0 :: v_dual_add_nc_u32 v7, -1, v0
	v_add_nc_u32_e32 v11, 0x120, v72
	v_mov_b32_e32 v13, v72
	s_mov_b32 s1, 0
	s_delay_alu instid0(VALU_DEP_3)
	v_mov_b32_e32 v75, v74
.LBB34_141:                             ; =>This Inner Loop Header: Depth=1
	scratch_load_b64 v[76:77], v13, off
	ds_load_b64 v[78:79], v11
	s_wait_xcnt 0x0
	v_dual_add_nc_u32 v11, 8, v11 :: v_dual_add_nc_u32 v13, 8, v13
	s_wait_loadcnt_dscnt 0x0
	v_pk_mul_f32 v[80:81], v[78:79], v[76:77] op_sel:[1,1] op_sel_hi:[0,1]
	s_delay_alu instid0(VALU_DEP_1) | instskip(SKIP_2) | instid1(VALU_DEP_3)
	v_pk_fma_f32 v[82:83], v[78:79], v[76:77], v[80:81] op_sel_hi:[1,0,1]
	v_add_nc_u32_e32 v7, 1, v7
	v_pk_fma_f32 v[76:77], v[78:79], v[76:77], v[80:81] neg_lo:[0,0,1] neg_hi:[0,0,1]
	v_mov_b32_e32 v77, v83
	s_delay_alu instid0(VALU_DEP_3) | instskip(NEXT) | instid1(VALU_DEP_2)
	v_cmp_lt_u32_e32 vcc_lo, 30, v7
	v_pk_add_f32 v[74:75], v[74:75], v[76:77]
	s_or_b32 s1, vcc_lo, s1
	s_delay_alu instid0(SALU_CYCLE_1)
	s_and_not1_b32 exec_lo, exec_lo, s1
	s_cbranch_execnz .LBB34_141
; %bb.142:
	s_or_b32 exec_lo, exec_lo, s1
	v_mov_b32_e32 v7, 0
	ds_load_b64 v[76:77], v7 offset:256
	s_wait_dscnt 0x0
	v_pk_mul_f32 v[78:79], v[74:75], v[76:77] op_sel:[1,1] op_sel_hi:[0,1]
	s_delay_alu instid0(VALU_DEP_1) | instskip(SKIP_1) | instid1(VALU_DEP_2)
	v_pk_fma_f32 v[80:81], v[74:75], v[76:77], v[78:79] op_sel_hi:[1,0,1]
	v_pk_fma_f32 v[74:75], v[74:75], v[76:77], v[78:79] neg_lo:[0,0,1] neg_hi:[0,0,1]
	v_mov_b32_e32 v75, v81
	scratch_store_b64 off, v[74:75], off offset:256
.LBB34_143:
	s_wait_xcnt 0x0
	s_or_b32 exec_lo, exec_lo, s0
	s_wait_storecnt 0x0
	s_barrier_signal -1
	s_barrier_wait -1
	scratch_load_b64 v[74:75], off, off offset:264
	s_mov_b32 s0, exec_lo
	s_wait_loadcnt 0x0
	ds_store_b64 v1, v[74:75]
	s_wait_dscnt 0x0
	s_barrier_signal -1
	s_barrier_wait -1
	v_cmpx_gt_u32_e32 33, v0
	s_cbranch_execz .LBB34_147
; %bb.144:
	v_dual_mov_b32 v74, 0 :: v_dual_add_nc_u32 v7, -1, v0
	v_add_nc_u32_e32 v11, 0x120, v72
	v_mov_b32_e32 v13, v72
	s_mov_b32 s1, 0
	s_delay_alu instid0(VALU_DEP_3)
	v_mov_b32_e32 v75, v74
.LBB34_145:                             ; =>This Inner Loop Header: Depth=1
	scratch_load_b64 v[76:77], v13, off
	ds_load_b64 v[78:79], v11
	s_wait_xcnt 0x0
	v_dual_add_nc_u32 v11, 8, v11 :: v_dual_add_nc_u32 v13, 8, v13
	s_wait_loadcnt_dscnt 0x0
	v_pk_mul_f32 v[80:81], v[78:79], v[76:77] op_sel:[1,1] op_sel_hi:[0,1]
	s_delay_alu instid0(VALU_DEP_1) | instskip(SKIP_2) | instid1(VALU_DEP_3)
	v_pk_fma_f32 v[82:83], v[78:79], v[76:77], v[80:81] op_sel_hi:[1,0,1]
	v_add_nc_u32_e32 v7, 1, v7
	v_pk_fma_f32 v[76:77], v[78:79], v[76:77], v[80:81] neg_lo:[0,0,1] neg_hi:[0,0,1]
	v_mov_b32_e32 v77, v83
	s_delay_alu instid0(VALU_DEP_3) | instskip(NEXT) | instid1(VALU_DEP_2)
	v_cmp_lt_u32_e32 vcc_lo, 31, v7
	v_pk_add_f32 v[74:75], v[74:75], v[76:77]
	s_or_b32 s1, vcc_lo, s1
	s_delay_alu instid0(SALU_CYCLE_1)
	s_and_not1_b32 exec_lo, exec_lo, s1
	s_cbranch_execnz .LBB34_145
; %bb.146:
	s_or_b32 exec_lo, exec_lo, s1
	v_mov_b32_e32 v7, 0
	ds_load_b64 v[76:77], v7 offset:264
	s_wait_dscnt 0x0
	v_pk_mul_f32 v[78:79], v[74:75], v[76:77] op_sel:[1,1] op_sel_hi:[0,1]
	s_delay_alu instid0(VALU_DEP_1) | instskip(SKIP_1) | instid1(VALU_DEP_2)
	v_pk_fma_f32 v[80:81], v[74:75], v[76:77], v[78:79] op_sel_hi:[1,0,1]
	v_pk_fma_f32 v[74:75], v[74:75], v[76:77], v[78:79] neg_lo:[0,0,1] neg_hi:[0,0,1]
	v_mov_b32_e32 v75, v81
	scratch_store_b64 off, v[74:75], off offset:264
.LBB34_147:
	s_wait_xcnt 0x0
	s_or_b32 exec_lo, exec_lo, s0
	s_wait_storecnt 0x0
	s_barrier_signal -1
	s_barrier_wait -1
	scratch_load_b64 v[74:75], off, off offset:272
	s_mov_b32 s0, exec_lo
	s_wait_loadcnt 0x0
	ds_store_b64 v1, v[74:75]
	s_wait_dscnt 0x0
	s_barrier_signal -1
	s_barrier_wait -1
	v_cmpx_ne_u32_e32 34, v0
	s_cbranch_execz .LBB34_151
; %bb.148:
	v_dual_mov_b32 v74, 0 :: v_dual_mov_b32 v7, v72
	s_mov_b32 s1, 0
	s_delay_alu instid0(VALU_DEP_1)
	v_mov_b32_e32 v75, v74
.LBB34_149:                             ; =>This Inner Loop Header: Depth=1
	scratch_load_b64 v[72:73], v7, off
	ds_load_b64 v[76:77], v1
	s_wait_xcnt 0x0
	v_dual_add_nc_u32 v1, 8, v1 :: v_dual_add_nc_u32 v7, 8, v7
	s_wait_loadcnt_dscnt 0x0
	v_pk_mul_f32 v[78:79], v[76:77], v[72:73] op_sel:[1,1] op_sel_hi:[0,1]
	s_delay_alu instid0(VALU_DEP_1) | instskip(SKIP_2) | instid1(VALU_DEP_3)
	v_pk_fma_f32 v[80:81], v[76:77], v[72:73], v[78:79] op_sel_hi:[1,0,1]
	v_add_nc_u32_e32 v3, 1, v3
	v_pk_fma_f32 v[72:73], v[76:77], v[72:73], v[78:79] neg_lo:[0,0,1] neg_hi:[0,0,1]
	v_mov_b32_e32 v73, v81
	s_delay_alu instid0(VALU_DEP_3) | instskip(NEXT) | instid1(VALU_DEP_2)
	v_cmp_lt_u32_e32 vcc_lo, 32, v3
	v_pk_add_f32 v[74:75], v[74:75], v[72:73]
	s_or_b32 s1, vcc_lo, s1
	s_delay_alu instid0(SALU_CYCLE_1)
	s_and_not1_b32 exec_lo, exec_lo, s1
	s_cbranch_execnz .LBB34_149
; %bb.150:
	s_or_b32 exec_lo, exec_lo, s1
	v_mov_b32_e32 v1, 0
	ds_load_b64 v[72:73], v1 offset:272
	s_wait_dscnt 0x0
	v_pk_mul_f32 v[76:77], v[74:75], v[72:73] op_sel:[1,1] op_sel_hi:[0,1]
	s_delay_alu instid0(VALU_DEP_1) | instskip(SKIP_1) | instid1(VALU_DEP_2)
	v_pk_fma_f32 v[78:79], v[74:75], v[72:73], v[76:77] op_sel_hi:[1,0,1]
	v_pk_fma_f32 v[72:73], v[74:75], v[72:73], v[76:77] neg_lo:[0,0,1] neg_hi:[0,0,1]
	v_mov_b32_e32 v73, v79
	scratch_store_b64 off, v[72:73], off offset:272
.LBB34_151:
	s_wait_xcnt 0x0
	s_or_b32 exec_lo, exec_lo, s0
	s_mov_b32 s1, -1
	s_wait_storecnt 0x0
	s_barrier_signal -1
	s_barrier_wait -1
.LBB34_152:
	s_and_b32 vcc_lo, exec_lo, s1
	s_cbranch_vccz .LBB34_154
; %bb.153:
	v_mov_b32_e32 v1, 0
	s_lshl_b64 s[0:1], s[16:17], 2
	s_delay_alu instid0(SALU_CYCLE_1)
	s_add_nc_u64 s[0:1], s[6:7], s[0:1]
	global_load_b32 v1, v1, s[0:1]
	s_wait_loadcnt 0x0
	v_cmp_ne_u32_e32 vcc_lo, 0, v1
	s_cbranch_vccz .LBB34_155
.LBB34_154:
	s_sendmsg sendmsg(MSG_DEALLOC_VGPRS)
	s_endpgm
.LBB34_155:
	s_wait_xcnt 0x0
	v_lshl_add_u32 v1, v0, 3, 0x120
	s_mov_b32 s0, exec_lo
	v_cmpx_eq_u32_e32 34, v0
	s_cbranch_execz .LBB34_157
; %bb.156:
	scratch_load_b64 v[72:73], off, off offset:264
	v_mov_b64_e32 v[74:75], 0
	scratch_store_b64 off, v[74:75], off offset:264
	s_wait_loadcnt 0x0
	ds_store_b64 v1, v[72:73]
.LBB34_157:
	s_wait_xcnt 0x0
	s_or_b32 exec_lo, exec_lo, s0
	s_wait_storecnt_dscnt 0x0
	s_barrier_signal -1
	s_barrier_wait -1
	s_clause 0x1
	scratch_load_b64 v[72:73], off, off offset:272
	scratch_load_b64 v[74:75], off, off offset:264
	v_mov_b32_e32 v3, 0
	s_mov_b32 s0, exec_lo
	ds_load_b64 v[76:77], v3 offset:560
	s_wait_loadcnt_dscnt 0x100
	v_pk_mul_f32 v[78:79], v[76:77], v[72:73] op_sel:[1,1] op_sel_hi:[0,1]
	s_delay_alu instid0(VALU_DEP_1) | instskip(SKIP_1) | instid1(VALU_DEP_2)
	v_pk_fma_f32 v[80:81], v[76:77], v[72:73], v[78:79] op_sel_hi:[1,0,1]
	v_pk_fma_f32 v[72:73], v[76:77], v[72:73], v[78:79] neg_lo:[0,0,1] neg_hi:[0,0,1]
	v_mov_b32_e32 v73, v81
	s_delay_alu instid0(VALU_DEP_1) | instskip(SKIP_1) | instid1(VALU_DEP_1)
	v_pk_add_f32 v[72:73], v[72:73], 0 op_sel_hi:[1,0]
	s_wait_loadcnt 0x0
	v_pk_add_f32 v[72:73], v[74:75], v[72:73] neg_lo:[0,1] neg_hi:[0,1]
	scratch_store_b64 off, v[72:73], off offset:264
	s_wait_xcnt 0x0
	v_cmpx_lt_u32_e32 32, v0
	s_cbranch_execz .LBB34_159
; %bb.158:
	scratch_load_b64 v[72:73], off, off offset:256
	v_mov_b64_e32 v[74:75], 0
	scratch_store_b64 off, v[74:75], off offset:256
	s_wait_loadcnt 0x0
	ds_store_b64 v1, v[72:73]
.LBB34_159:
	s_wait_xcnt 0x0
	s_or_b32 exec_lo, exec_lo, s0
	s_wait_storecnt_dscnt 0x0
	s_barrier_signal -1
	s_barrier_wait -1
	s_clause 0x1
	scratch_load_b128 v[72:75], off, off offset:264
	scratch_load_b64 v[80:81], off, off offset:256
	ds_load_2addr_b64 v[76:79], v3 offset0:69 offset1:70
	s_mov_b32 s0, exec_lo
	s_wait_dscnt 0x0
	v_dual_mov_b32 v82, v79 :: v_dual_mov_b32 v83, v78
	s_wait_loadcnt 0x1
	v_pk_mul_f32 v[84:85], v[76:77], v[72:73] op_sel:[1,1] op_sel_hi:[0,1]
	s_delay_alu instid0(VALU_DEP_1) | instskip(SKIP_2) | instid1(VALU_DEP_3)
	v_pk_fma_f32 v[88:89], v[76:77], v[72:73], v[84:85] op_sel_hi:[1,0,1]
	v_mov_b32_e32 v86, v75
	v_pk_fma_f32 v[72:73], v[76:77], v[72:73], v[84:85] neg_lo:[0,0,1] neg_hi:[0,0,1]
	v_mov_b32_e32 v73, v89
	s_delay_alu instid0(VALU_DEP_3) | instskip(NEXT) | instid1(VALU_DEP_2)
	v_pk_mul_f32 v[82:83], v[82:83], v[86:87] op_sel_hi:[1,0]
	v_pk_add_f32 v[72:73], v[72:73], 0 op_sel_hi:[1,0]
	s_delay_alu instid0(VALU_DEP_2) | instskip(SKIP_1) | instid1(VALU_DEP_2)
	v_pk_fma_f32 v[76:77], v[78:79], v[74:75], v[82:83] op_sel_hi:[1,0,1]
	v_pk_fma_f32 v[74:75], v[78:79], v[74:75], v[82:83] neg_lo:[0,0,1] neg_hi:[0,0,1]
	v_mov_b32_e32 v75, v77
	s_delay_alu instid0(VALU_DEP_1) | instskip(SKIP_1) | instid1(VALU_DEP_1)
	v_pk_add_f32 v[72:73], v[72:73], v[74:75]
	s_wait_loadcnt 0x0
	v_pk_add_f32 v[72:73], v[80:81], v[72:73] neg_lo:[0,1] neg_hi:[0,1]
	scratch_store_b64 off, v[72:73], off offset:256
	s_wait_xcnt 0x0
	v_cmpx_lt_u32_e32 31, v0
	s_cbranch_execz .LBB34_161
; %bb.160:
	scratch_load_b64 v[72:73], off, off offset:248
	v_mov_b64_e32 v[74:75], 0
	scratch_store_b64 off, v[74:75], off offset:248
	s_wait_loadcnt 0x0
	ds_store_b64 v1, v[72:73]
.LBB34_161:
	s_wait_xcnt 0x0
	s_or_b32 exec_lo, exec_lo, s0
	s_wait_storecnt_dscnt 0x0
	s_barrier_signal -1
	s_barrier_wait -1
	s_clause 0x2
	scratch_load_b128 v[72:75], off, off offset:256
	scratch_load_b64 v[80:81], off, off offset:272
	scratch_load_b64 v[82:83], off, off offset:248
	v_mov_b32_e32 v3, 0
	ds_load_b128 v[76:79], v3 offset:544
	ds_load_b64 v[84:85], v3 offset:560
	s_mov_b32 s0, exec_lo
	s_wait_dscnt 0x1
	v_dual_mov_b32 v86, v79 :: v_dual_mov_b32 v87, v78
	s_wait_loadcnt 0x2
	v_mov_b32_e32 v90, v75
	v_pk_mul_f32 v[88:89], v[76:77], v[72:73] op_sel:[1,1] op_sel_hi:[0,1]
	s_delay_alu instid0(VALU_DEP_2) | instskip(NEXT) | instid1(VALU_DEP_2)
	v_pk_mul_f32 v[86:87], v[86:87], v[90:91] op_sel_hi:[1,0]
	v_pk_fma_f32 v[92:93], v[76:77], v[72:73], v[88:89] op_sel_hi:[1,0,1]
	v_pk_fma_f32 v[72:73], v[76:77], v[72:73], v[88:89] neg_lo:[0,0,1] neg_hi:[0,0,1]
	s_wait_loadcnt_dscnt 0x100
	v_pk_mul_f32 v[88:89], v[84:85], v[80:81] op_sel:[1,1] op_sel_hi:[0,1]
	v_pk_fma_f32 v[76:77], v[78:79], v[74:75], v[86:87] op_sel_hi:[1,0,1]
	v_mov_b32_e32 v73, v93
	v_pk_fma_f32 v[74:75], v[78:79], v[74:75], v[86:87] neg_lo:[0,0,1] neg_hi:[0,0,1]
	s_delay_alu instid0(VALU_DEP_4) | instskip(NEXT) | instid1(VALU_DEP_4)
	v_pk_fma_f32 v[78:79], v[84:85], v[80:81], v[88:89] neg_lo:[0,0,1] neg_hi:[0,0,1]
	v_mov_b32_e32 v75, v77
	s_delay_alu instid0(VALU_DEP_4) | instskip(SKIP_1) | instid1(VALU_DEP_2)
	v_pk_add_f32 v[72:73], v[72:73], 0 op_sel_hi:[1,0]
	v_pk_fma_f32 v[76:77], v[84:85], v[80:81], v[88:89] op_sel_hi:[1,0,1]
	v_pk_add_f32 v[72:73], v[72:73], v[74:75]
	s_delay_alu instid0(VALU_DEP_2) | instskip(NEXT) | instid1(VALU_DEP_1)
	v_mov_b32_e32 v79, v77
	v_pk_add_f32 v[72:73], v[72:73], v[78:79]
	s_wait_loadcnt 0x0
	s_delay_alu instid0(VALU_DEP_1)
	v_pk_add_f32 v[72:73], v[82:83], v[72:73] neg_lo:[0,1] neg_hi:[0,1]
	scratch_store_b64 off, v[72:73], off offset:248
	s_wait_xcnt 0x0
	v_cmpx_lt_u32_e32 30, v0
	s_cbranch_execz .LBB34_163
; %bb.162:
	scratch_load_b64 v[72:73], off, off offset:240
	v_mov_b64_e32 v[74:75], 0
	scratch_store_b64 off, v[74:75], off offset:240
	s_wait_loadcnt 0x0
	ds_store_b64 v1, v[72:73]
.LBB34_163:
	s_wait_xcnt 0x0
	s_or_b32 exec_lo, exec_lo, s0
	s_wait_storecnt_dscnt 0x0
	s_barrier_signal -1
	s_barrier_wait -1
	s_clause 0x2
	scratch_load_b128 v[72:75], off, off offset:248
	scratch_load_b128 v[76:79], off, off offset:264
	scratch_load_b64 v[88:89], off, off offset:240
	ds_load_2addr_b64 v[80:83], v3 offset0:67 offset1:68
	ds_load_2addr_b64 v[84:87], v3 offset0:69 offset1:70
	s_mov_b32 s0, exec_lo
	s_wait_dscnt 0x1
	v_dual_mov_b32 v90, v83 :: v_dual_mov_b32 v91, v82
	s_wait_loadcnt_dscnt 0x200
	v_dual_mov_b32 v96, v87 :: v_dual_mov_b32 v94, v75
	v_pk_mul_f32 v[92:93], v[80:81], v[72:73] op_sel:[1,1] op_sel_hi:[0,1]
	s_delay_alu instid0(VALU_DEP_2) | instskip(NEXT) | instid1(VALU_DEP_2)
	v_pk_mul_f32 v[90:91], v[90:91], v[94:95] op_sel_hi:[1,0]
	v_pk_fma_f32 v[98:99], v[80:81], v[72:73], v[92:93] op_sel_hi:[1,0,1]
	v_pk_fma_f32 v[72:73], v[80:81], v[72:73], v[92:93] neg_lo:[0,0,1] neg_hi:[0,0,1]
	v_mov_b32_e32 v97, v86
	s_wait_loadcnt 0x1
	v_pk_mul_f32 v[94:95], v[84:85], v[76:77] op_sel:[1,1] op_sel_hi:[0,1]
	v_pk_fma_f32 v[80:81], v[82:83], v[74:75], v[90:91] op_sel_hi:[1,0,1]
	v_dual_mov_b32 v73, v99 :: v_dual_mov_b32 v80, v79
	v_pk_fma_f32 v[74:75], v[82:83], v[74:75], v[90:91] neg_lo:[0,0,1] neg_hi:[0,0,1]
	s_delay_alu instid0(VALU_DEP_4) | instskip(NEXT) | instid1(VALU_DEP_4)
	v_pk_fma_f32 v[92:93], v[84:85], v[76:77], v[94:95] op_sel_hi:[1,0,1]
	v_mov_b32_e32 v75, v81
	s_delay_alu instid0(VALU_DEP_4) | instskip(SKIP_2) | instid1(VALU_DEP_3)
	v_pk_add_f32 v[72:73], v[72:73], 0 op_sel_hi:[1,0]
	v_pk_mul_f32 v[80:81], v[96:97], v[80:81] op_sel_hi:[1,0]
	v_pk_fma_f32 v[76:77], v[84:85], v[76:77], v[94:95] neg_lo:[0,0,1] neg_hi:[0,0,1]
	v_pk_add_f32 v[72:73], v[72:73], v[74:75]
	s_delay_alu instid0(VALU_DEP_3) | instskip(SKIP_2) | instid1(VALU_DEP_3)
	v_pk_fma_f32 v[74:75], v[86:87], v[78:79], v[80:81] op_sel_hi:[1,0,1]
	v_mov_b32_e32 v77, v93
	v_pk_fma_f32 v[78:79], v[86:87], v[78:79], v[80:81] neg_lo:[0,0,1] neg_hi:[0,0,1]
	v_mov_b32_e32 v79, v75
	s_delay_alu instid0(VALU_DEP_3) | instskip(NEXT) | instid1(VALU_DEP_1)
	v_pk_add_f32 v[72:73], v[72:73], v[76:77]
	v_pk_add_f32 v[72:73], v[72:73], v[78:79]
	s_wait_loadcnt 0x0
	s_delay_alu instid0(VALU_DEP_1)
	v_pk_add_f32 v[72:73], v[88:89], v[72:73] neg_lo:[0,1] neg_hi:[0,1]
	scratch_store_b64 off, v[72:73], off offset:240
	s_wait_xcnt 0x0
	v_cmpx_lt_u32_e32 29, v0
	s_cbranch_execz .LBB34_165
; %bb.164:
	scratch_load_b64 v[72:73], off, off offset:232
	v_mov_b64_e32 v[74:75], 0
	scratch_store_b64 off, v[74:75], off offset:232
	s_wait_loadcnt 0x0
	ds_store_b64 v1, v[72:73]
.LBB34_165:
	s_wait_xcnt 0x0
	s_or_b32 exec_lo, exec_lo, s0
	s_wait_storecnt_dscnt 0x0
	s_barrier_signal -1
	s_barrier_wait -1
	s_clause 0x3
	scratch_load_b128 v[72:75], off, off offset:240
	scratch_load_b128 v[76:79], off, off offset:256
	scratch_load_b64 v[88:89], off, off offset:272
	scratch_load_b64 v[90:91], off, off offset:232
	v_mov_b32_e32 v3, 0
	ds_load_b128 v[80:83], v3 offset:528
	ds_load_b128 v[84:87], v3 offset:544
	s_mov_b32 s0, exec_lo
	s_wait_dscnt 0x1
	v_dual_mov_b32 v92, v83 :: v_dual_mov_b32 v93, v82
	ds_load_b64 v[98:99], v3 offset:560
	s_wait_dscnt 0x1
	v_dual_mov_b32 v100, v87 :: v_dual_mov_b32 v101, v86
	s_wait_loadcnt 0x3
	v_pk_mul_f32 v[94:95], v[80:81], v[72:73] op_sel:[1,1] op_sel_hi:[0,1]
	v_mov_b32_e32 v96, v75
	s_delay_alu instid0(VALU_DEP_2) | instskip(NEXT) | instid1(VALU_DEP_2)
	v_pk_fma_f32 v[102:103], v[80:81], v[72:73], v[94:95] op_sel_hi:[1,0,1]
	v_pk_mul_f32 v[92:93], v[92:93], v[96:97] op_sel_hi:[1,0]
	v_pk_fma_f32 v[72:73], v[80:81], v[72:73], v[94:95] neg_lo:[0,0,1] neg_hi:[0,0,1]
	s_wait_loadcnt 0x2
	v_pk_mul_f32 v[96:97], v[84:85], v[76:77] op_sel:[1,1] op_sel_hi:[0,1]
	v_dual_mov_b32 v102, v79 :: v_dual_mov_b32 v73, v103
	v_pk_fma_f32 v[80:81], v[82:83], v[74:75], v[92:93] op_sel_hi:[1,0,1]
	v_pk_fma_f32 v[74:75], v[82:83], v[74:75], v[92:93] neg_lo:[0,0,1] neg_hi:[0,0,1]
	s_delay_alu instid0(VALU_DEP_4) | instskip(NEXT) | instid1(VALU_DEP_4)
	v_pk_fma_f32 v[94:95], v[84:85], v[76:77], v[96:97] op_sel_hi:[1,0,1]
	v_pk_mul_f32 v[100:101], v[100:101], v[102:103] op_sel_hi:[1,0]
	v_pk_add_f32 v[72:73], v[72:73], 0 op_sel_hi:[1,0]
	v_mov_b32_e32 v75, v81
	v_pk_fma_f32 v[76:77], v[84:85], v[76:77], v[96:97] neg_lo:[0,0,1] neg_hi:[0,0,1]
	v_mov_b32_e32 v77, v95
	v_pk_fma_f32 v[80:81], v[86:87], v[78:79], v[100:101] op_sel_hi:[1,0,1]
	v_pk_fma_f32 v[78:79], v[86:87], v[78:79], v[100:101] neg_lo:[0,0,1] neg_hi:[0,0,1]
	v_pk_add_f32 v[72:73], v[72:73], v[74:75]
	s_wait_loadcnt_dscnt 0x100
	v_pk_mul_f32 v[74:75], v[98:99], v[88:89] op_sel:[1,1] op_sel_hi:[0,1]
	s_delay_alu instid0(VALU_DEP_2) | instskip(NEXT) | instid1(VALU_DEP_2)
	v_pk_add_f32 v[72:73], v[72:73], v[76:77]
	v_pk_fma_f32 v[76:77], v[98:99], v[88:89], v[74:75] op_sel_hi:[1,0,1]
	v_mov_b32_e32 v79, v81
	v_pk_fma_f32 v[74:75], v[98:99], v[88:89], v[74:75] neg_lo:[0,0,1] neg_hi:[0,0,1]
	s_delay_alu instid0(VALU_DEP_3) | instskip(NEXT) | instid1(VALU_DEP_3)
	v_mov_b32_e32 v75, v77
	v_pk_add_f32 v[72:73], v[72:73], v[78:79]
	s_delay_alu instid0(VALU_DEP_1) | instskip(SKIP_1) | instid1(VALU_DEP_1)
	v_pk_add_f32 v[72:73], v[72:73], v[74:75]
	s_wait_loadcnt 0x0
	v_pk_add_f32 v[72:73], v[90:91], v[72:73] neg_lo:[0,1] neg_hi:[0,1]
	scratch_store_b64 off, v[72:73], off offset:232
	s_wait_xcnt 0x0
	v_cmpx_lt_u32_e32 28, v0
	s_cbranch_execz .LBB34_167
; %bb.166:
	scratch_load_b64 v[72:73], off, off offset:224
	v_mov_b64_e32 v[74:75], 0
	scratch_store_b64 off, v[74:75], off offset:224
	s_wait_loadcnt 0x0
	ds_store_b64 v1, v[72:73]
.LBB34_167:
	s_wait_xcnt 0x0
	s_or_b32 exec_lo, exec_lo, s0
	s_wait_storecnt_dscnt 0x0
	s_barrier_signal -1
	s_barrier_wait -1
	s_clause 0x3
	scratch_load_b128 v[72:75], off, off offset:232
	scratch_load_b128 v[76:79], off, off offset:248
	;; [unrolled: 1-line block ×3, first 2 shown]
	scratch_load_b64 v[96:97], off, off offset:224
	ds_load_2addr_b64 v[84:87], v3 offset0:65 offset1:66
	ds_load_2addr_b64 v[88:91], v3 offset0:67 offset1:68
	;; [unrolled: 1-line block ×3, first 2 shown]
	s_mov_b32 s0, exec_lo
	s_wait_dscnt 0x2
	v_dual_mov_b32 v98, v87 :: v_dual_mov_b32 v99, v86
	s_wait_dscnt 0x1
	v_dual_mov_b32 v100, v91 :: v_dual_mov_b32 v101, v90
	s_wait_dscnt 0x0
	v_dual_mov_b32 v106, v95 :: v_dual_mov_b32 v107, v94
	s_wait_loadcnt 0x3
	v_pk_mul_f32 v[102:103], v[84:85], v[72:73] op_sel:[1,1] op_sel_hi:[0,1]
	v_mov_b32_e32 v104, v75
	s_delay_alu instid0(VALU_DEP_2) | instskip(NEXT) | instid1(VALU_DEP_2)
	v_pk_fma_f32 v[108:109], v[84:85], v[72:73], v[102:103] op_sel_hi:[1,0,1]
	v_pk_mul_f32 v[98:99], v[98:99], v[104:105] op_sel_hi:[1,0]
	v_pk_fma_f32 v[72:73], v[84:85], v[72:73], v[102:103] neg_lo:[0,0,1] neg_hi:[0,0,1]
	s_wait_loadcnt 0x2
	v_pk_mul_f32 v[104:105], v[88:89], v[76:77] op_sel:[1,1] op_sel_hi:[0,1]
	v_mov_b32_e32 v108, v79
	v_pk_fma_f32 v[84:85], v[86:87], v[74:75], v[98:99] op_sel_hi:[1,0,1]
	v_mov_b32_e32 v73, v109
	v_pk_fma_f32 v[74:75], v[86:87], v[74:75], v[98:99] neg_lo:[0,0,1] neg_hi:[0,0,1]
	v_pk_fma_f32 v[102:103], v[88:89], v[76:77], v[104:105] op_sel_hi:[1,0,1]
	v_pk_mul_f32 v[100:101], v[100:101], v[108:109] op_sel_hi:[1,0]
	v_mov_b32_e32 v75, v85
	v_pk_add_f32 v[72:73], v[72:73], 0 op_sel_hi:[1,0]
	v_pk_fma_f32 v[76:77], v[88:89], v[76:77], v[104:105] neg_lo:[0,0,1] neg_hi:[0,0,1]
	s_wait_loadcnt 0x1
	v_pk_mul_f32 v[84:85], v[92:93], v[80:81] op_sel:[1,1] op_sel_hi:[0,1]
	v_mov_b32_e32 v77, v103
	v_pk_fma_f32 v[86:87], v[90:91], v[78:79], v[100:101] op_sel_hi:[1,0,1]
	v_pk_add_f32 v[72:73], v[72:73], v[74:75]
	v_mov_b32_e32 v74, v83
	v_pk_fma_f32 v[78:79], v[90:91], v[78:79], v[100:101] neg_lo:[0,0,1] neg_hi:[0,0,1]
	v_pk_fma_f32 v[88:89], v[92:93], v[80:81], v[84:85] op_sel_hi:[1,0,1]
	v_mov_b32_e32 v79, v87
	v_pk_add_f32 v[72:73], v[72:73], v[76:77]
	v_pk_mul_f32 v[74:75], v[106:107], v[74:75] op_sel_hi:[1,0]
	v_pk_fma_f32 v[76:77], v[92:93], v[80:81], v[84:85] neg_lo:[0,0,1] neg_hi:[0,0,1]
	v_mov_b32_e32 v77, v89
	s_delay_alu instid0(VALU_DEP_4) | instskip(NEXT) | instid1(VALU_DEP_4)
	v_pk_add_f32 v[72:73], v[72:73], v[78:79]
	v_pk_fma_f32 v[78:79], v[94:95], v[82:83], v[74:75] op_sel_hi:[1,0,1]
	v_pk_fma_f32 v[74:75], v[94:95], v[82:83], v[74:75] neg_lo:[0,0,1] neg_hi:[0,0,1]
	s_delay_alu instid0(VALU_DEP_3) | instskip(NEXT) | instid1(VALU_DEP_3)
	v_pk_add_f32 v[72:73], v[72:73], v[76:77]
	v_mov_b32_e32 v75, v79
	s_delay_alu instid0(VALU_DEP_1) | instskip(SKIP_1) | instid1(VALU_DEP_1)
	v_pk_add_f32 v[72:73], v[72:73], v[74:75]
	s_wait_loadcnt 0x0
	v_pk_add_f32 v[72:73], v[96:97], v[72:73] neg_lo:[0,1] neg_hi:[0,1]
	scratch_store_b64 off, v[72:73], off offset:224
	s_wait_xcnt 0x0
	v_cmpx_lt_u32_e32 27, v0
	s_cbranch_execz .LBB34_169
; %bb.168:
	scratch_load_b64 v[72:73], off, off offset:216
	v_mov_b64_e32 v[74:75], 0
	scratch_store_b64 off, v[74:75], off offset:216
	s_wait_loadcnt 0x0
	ds_store_b64 v1, v[72:73]
.LBB34_169:
	s_wait_xcnt 0x0
	s_or_b32 exec_lo, exec_lo, s0
	s_wait_storecnt_dscnt 0x0
	s_barrier_signal -1
	s_barrier_wait -1
	s_clause 0x4
	scratch_load_b128 v[72:75], off, off offset:224
	scratch_load_b128 v[76:79], off, off offset:240
	;; [unrolled: 1-line block ×3, first 2 shown]
	scratch_load_b64 v[96:97], off, off offset:272
	scratch_load_b64 v[98:99], off, off offset:216
	v_mov_b32_e32 v3, 0
	ds_load_b128 v[84:87], v3 offset:512
	ds_load_b128 v[88:91], v3 offset:528
	;; [unrolled: 1-line block ×3, first 2 shown]
	ds_load_b64 v[100:101], v3 offset:560
	s_mov_b32 s0, exec_lo
	s_wait_dscnt 0x3
	v_dual_mov_b32 v102, v87 :: v_dual_mov_b32 v103, v86
	s_wait_dscnt 0x2
	v_dual_mov_b32 v104, v91 :: v_dual_mov_b32 v105, v90
	s_wait_dscnt 0x1
	v_dual_mov_b32 v110, v95 :: v_dual_mov_b32 v111, v94
	s_wait_loadcnt 0x4
	v_pk_mul_f32 v[106:107], v[84:85], v[72:73] op_sel:[1,1] op_sel_hi:[0,1]
	v_mov_b32_e32 v108, v75
	s_wait_loadcnt 0x3
	v_pk_mul_f32 v[112:113], v[88:89], v[76:77] op_sel:[1,1] op_sel_hi:[0,1]
	s_wait_loadcnt 0x2
	v_pk_mul_f32 v[116:117], v[92:93], v[80:81] op_sel:[1,1] op_sel_hi:[0,1]
	v_pk_fma_f32 v[114:115], v[84:85], v[72:73], v[106:107] op_sel_hi:[1,0,1]
	v_pk_mul_f32 v[102:103], v[102:103], v[108:109] op_sel_hi:[1,0]
	v_pk_fma_f32 v[72:73], v[84:85], v[72:73], v[106:107] neg_lo:[0,0,1] neg_hi:[0,0,1]
	v_mov_b32_e32 v108, v79
	v_pk_fma_f32 v[106:107], v[88:89], v[76:77], v[112:113] op_sel_hi:[1,0,1]
	v_mov_b32_e32 v73, v115
	v_pk_fma_f32 v[84:85], v[86:87], v[74:75], v[102:103] op_sel_hi:[1,0,1]
	v_pk_fma_f32 v[74:75], v[86:87], v[74:75], v[102:103] neg_lo:[0,0,1] neg_hi:[0,0,1]
	v_pk_mul_f32 v[104:105], v[104:105], v[108:109] op_sel_hi:[1,0]
	v_pk_fma_f32 v[76:77], v[88:89], v[76:77], v[112:113] neg_lo:[0,0,1] neg_hi:[0,0,1]
	v_pk_add_f32 v[72:73], v[72:73], 0 op_sel_hi:[1,0]
	v_dual_mov_b32 v75, v85 :: v_dual_mov_b32 v84, v83
	s_delay_alu instid0(VALU_DEP_4) | instskip(SKIP_2) | instid1(VALU_DEP_4)
	v_pk_fma_f32 v[86:87], v[90:91], v[78:79], v[104:105] op_sel_hi:[1,0,1]
	v_mov_b32_e32 v77, v107
	v_pk_fma_f32 v[78:79], v[90:91], v[78:79], v[104:105] neg_lo:[0,0,1] neg_hi:[0,0,1]
	v_pk_add_f32 v[72:73], v[72:73], v[74:75]
	v_pk_fma_f32 v[74:75], v[92:93], v[80:81], v[116:117] op_sel_hi:[1,0,1]
	v_pk_mul_f32 v[84:85], v[110:111], v[84:85] op_sel_hi:[1,0]
	v_mov_b32_e32 v79, v87
	s_delay_alu instid0(VALU_DEP_4)
	v_pk_add_f32 v[72:73], v[72:73], v[76:77]
	v_pk_fma_f32 v[76:77], v[92:93], v[80:81], v[116:117] neg_lo:[0,0,1] neg_hi:[0,0,1]
	v_mov_b32_e32 v77, v75
	v_pk_fma_f32 v[74:75], v[94:95], v[82:83], v[84:85] op_sel_hi:[1,0,1]
	v_pk_fma_f32 v[80:81], v[94:95], v[82:83], v[84:85] neg_lo:[0,0,1] neg_hi:[0,0,1]
	v_pk_add_f32 v[72:73], v[72:73], v[78:79]
	s_wait_loadcnt_dscnt 0x100
	v_pk_mul_f32 v[78:79], v[100:101], v[96:97] op_sel:[1,1] op_sel_hi:[0,1]
	v_mov_b32_e32 v81, v75
	s_delay_alu instid0(VALU_DEP_3) | instskip(NEXT) | instid1(VALU_DEP_3)
	v_pk_add_f32 v[72:73], v[72:73], v[76:77]
	v_pk_fma_f32 v[74:75], v[100:101], v[96:97], v[78:79] op_sel_hi:[1,0,1]
	v_pk_fma_f32 v[76:77], v[100:101], v[96:97], v[78:79] neg_lo:[0,0,1] neg_hi:[0,0,1]
	s_delay_alu instid0(VALU_DEP_3) | instskip(NEXT) | instid1(VALU_DEP_3)
	v_pk_add_f32 v[72:73], v[72:73], v[80:81]
	v_mov_b32_e32 v77, v75
	s_delay_alu instid0(VALU_DEP_1) | instskip(SKIP_1) | instid1(VALU_DEP_1)
	v_pk_add_f32 v[72:73], v[72:73], v[76:77]
	s_wait_loadcnt 0x0
	v_pk_add_f32 v[72:73], v[98:99], v[72:73] neg_lo:[0,1] neg_hi:[0,1]
	scratch_store_b64 off, v[72:73], off offset:216
	s_wait_xcnt 0x0
	v_cmpx_lt_u32_e32 26, v0
	s_cbranch_execz .LBB34_171
; %bb.170:
	scratch_load_b64 v[72:73], off, off offset:208
	v_mov_b64_e32 v[74:75], 0
	scratch_store_b64 off, v[74:75], off offset:208
	s_wait_loadcnt 0x0
	ds_store_b64 v1, v[72:73]
.LBB34_171:
	s_wait_xcnt 0x0
	s_or_b32 exec_lo, exec_lo, s0
	s_wait_storecnt_dscnt 0x0
	s_barrier_signal -1
	s_barrier_wait -1
	s_clause 0x4
	scratch_load_b128 v[72:75], off, off offset:216
	scratch_load_b128 v[76:79], off, off offset:232
	;; [unrolled: 1-line block ×4, first 2 shown]
	scratch_load_b64 v[104:105], off, off offset:208
	ds_load_2addr_b64 v[88:91], v3 offset0:63 offset1:64
	ds_load_2addr_b64 v[92:95], v3 offset0:65 offset1:66
	;; [unrolled: 1-line block ×4, first 2 shown]
	s_mov_b32 s0, exec_lo
	s_wait_dscnt 0x3
	v_dual_mov_b32 v106, v91 :: v_dual_mov_b32 v107, v90
	s_wait_dscnt 0x2
	v_dual_mov_b32 v108, v95 :: v_dual_mov_b32 v109, v94
	s_wait_dscnt 0x0
	v_dual_mov_b32 v117, v102 :: v_dual_mov_b32 v110, v99
	v_dual_mov_b32 v111, v98 :: v_dual_mov_b32 v116, v103
	s_wait_loadcnt 0x4
	v_mov_b32_e32 v114, v75
	v_pk_mul_f32 v[112:113], v[88:89], v[72:73] op_sel:[1,1] op_sel_hi:[0,1]
	s_wait_loadcnt 0x3
	v_pk_mul_f32 v[118:119], v[92:93], v[76:77] op_sel:[1,1] op_sel_hi:[0,1]
	s_wait_loadcnt 0x2
	v_pk_mul_f32 v[122:123], v[96:97], v[80:81] op_sel:[1,1] op_sel_hi:[0,1]
	v_pk_mul_f32 v[106:107], v[106:107], v[114:115] op_sel_hi:[1,0]
	v_pk_fma_f32 v[120:121], v[88:89], v[72:73], v[112:113] op_sel_hi:[1,0,1]
	v_pk_fma_f32 v[72:73], v[88:89], v[72:73], v[112:113] neg_lo:[0,0,1] neg_hi:[0,0,1]
	v_mov_b32_e32 v114, v79
	v_pk_fma_f32 v[112:113], v[92:93], v[76:77], v[118:119] op_sel_hi:[1,0,1]
	v_pk_fma_f32 v[88:89], v[90:91], v[74:75], v[106:107] op_sel_hi:[1,0,1]
	v_mov_b32_e32 v73, v121
	v_pk_fma_f32 v[74:75], v[90:91], v[74:75], v[106:107] neg_lo:[0,0,1] neg_hi:[0,0,1]
	v_pk_mul_f32 v[108:109], v[108:109], v[114:115] op_sel_hi:[1,0]
	s_delay_alu instid0(VALU_DEP_4) | instskip(NEXT) | instid1(VALU_DEP_4)
	v_dual_mov_b32 v88, v83 :: v_dual_mov_b32 v75, v89
	v_pk_add_f32 v[72:73], v[72:73], 0 op_sel_hi:[1,0]
	v_pk_fma_f32 v[76:77], v[92:93], v[76:77], v[118:119] neg_lo:[0,0,1] neg_hi:[0,0,1]
	v_mov_b32_e32 v77, v113
	v_pk_fma_f32 v[90:91], v[94:95], v[78:79], v[108:109] op_sel_hi:[1,0,1]
	v_pk_mul_f32 v[88:89], v[110:111], v[88:89] op_sel_hi:[1,0]
	v_pk_add_f32 v[72:73], v[72:73], v[74:75]
	v_pk_fma_f32 v[74:75], v[96:97], v[80:81], v[122:123] op_sel_hi:[1,0,1]
	v_pk_fma_f32 v[78:79], v[94:95], v[78:79], v[108:109] neg_lo:[0,0,1] neg_hi:[0,0,1]
	v_mov_b32_e32 v79, v91
	v_pk_fma_f32 v[80:81], v[96:97], v[80:81], v[122:123] neg_lo:[0,0,1] neg_hi:[0,0,1]
	v_pk_add_f32 v[72:73], v[72:73], v[76:77]
	v_mov_b32_e32 v81, v75
	v_pk_fma_f32 v[74:75], v[98:99], v[82:83], v[88:89] op_sel_hi:[1,0,1]
	s_wait_loadcnt 0x1
	v_pk_mul_f32 v[76:77], v[100:101], v[84:85] op_sel:[1,1] op_sel_hi:[0,1]
	v_mov_b32_e32 v74, v87
	v_pk_add_f32 v[72:73], v[72:73], v[78:79]
	v_pk_fma_f32 v[82:83], v[98:99], v[82:83], v[88:89] neg_lo:[0,0,1] neg_hi:[0,0,1]
	v_mov_b32_e32 v83, v75
	v_pk_fma_f32 v[78:79], v[100:101], v[84:85], v[76:77] op_sel_hi:[1,0,1]
	v_pk_mul_f32 v[74:75], v[116:117], v[74:75] op_sel_hi:[1,0]
	v_pk_add_f32 v[72:73], v[72:73], v[80:81]
	v_pk_fma_f32 v[76:77], v[100:101], v[84:85], v[76:77] neg_lo:[0,0,1] neg_hi:[0,0,1]
	s_delay_alu instid0(VALU_DEP_4) | instskip(NEXT) | instid1(VALU_DEP_4)
	v_mov_b32_e32 v77, v79
	v_pk_fma_f32 v[78:79], v[102:103], v[86:87], v[74:75] op_sel_hi:[1,0,1]
	s_delay_alu instid0(VALU_DEP_4) | instskip(SKIP_1) | instid1(VALU_DEP_3)
	v_pk_add_f32 v[72:73], v[72:73], v[82:83]
	v_pk_fma_f32 v[74:75], v[102:103], v[86:87], v[74:75] neg_lo:[0,0,1] neg_hi:[0,0,1]
	v_mov_b32_e32 v75, v79
	s_delay_alu instid0(VALU_DEP_3) | instskip(NEXT) | instid1(VALU_DEP_1)
	v_pk_add_f32 v[72:73], v[72:73], v[76:77]
	v_pk_add_f32 v[72:73], v[72:73], v[74:75]
	s_wait_loadcnt 0x0
	s_delay_alu instid0(VALU_DEP_1)
	v_pk_add_f32 v[72:73], v[104:105], v[72:73] neg_lo:[0,1] neg_hi:[0,1]
	scratch_store_b64 off, v[72:73], off offset:208
	s_wait_xcnt 0x0
	v_cmpx_lt_u32_e32 25, v0
	s_cbranch_execz .LBB34_173
; %bb.172:
	scratch_load_b64 v[72:73], off, off offset:200
	v_mov_b64_e32 v[74:75], 0
	scratch_store_b64 off, v[74:75], off offset:200
	s_wait_loadcnt 0x0
	ds_store_b64 v1, v[72:73]
.LBB34_173:
	s_wait_xcnt 0x0
	s_or_b32 exec_lo, exec_lo, s0
	s_wait_storecnt_dscnt 0x0
	s_barrier_signal -1
	s_barrier_wait -1
	s_clause 0x5
	scratch_load_b128 v[72:75], off, off offset:208
	scratch_load_b128 v[76:79], off, off offset:224
	;; [unrolled: 1-line block ×4, first 2 shown]
	scratch_load_b64 v[104:105], off, off offset:272
	scratch_load_b64 v[106:107], off, off offset:200
	v_mov_b32_e32 v3, 0
	ds_load_b128 v[88:91], v3 offset:496
	ds_load_b128 v[92:95], v3 offset:512
	;; [unrolled: 1-line block ×4, first 2 shown]
	ds_load_b64 v[108:109], v3 offset:560
	s_mov_b32 s0, exec_lo
	s_wait_dscnt 0x4
	v_dual_mov_b32 v110, v91 :: v_dual_mov_b32 v111, v90
	s_wait_dscnt 0x1
	v_dual_mov_b32 v112, v95 :: v_dual_mov_b32 v117, v102
	v_dual_mov_b32 v113, v94 :: v_dual_mov_b32 v114, v99
	;; [unrolled: 1-line block ×3, first 2 shown]
	s_wait_loadcnt 0x5
	v_dual_mov_b32 v118, v75 :: v_dual_mul_f32 v119, v88, v73
	v_mul_f32_e32 v7, v89, v73
	s_wait_loadcnt 0x4
	v_pk_mul_f32 v[120:121], v[92:93], v[76:77] op_sel:[1,1] op_sel_hi:[0,1]
	v_mov_b32_e32 v122, v79
	s_wait_loadcnt 0x3
	v_pk_mul_f32 v[124:125], v[96:97], v[80:81] op_sel:[1,1] op_sel_hi:[0,1]
	v_pk_mul_f32 v[110:111], v[110:111], v[118:119] op_sel_hi:[1,0]
	v_fmac_f32_e32 v119, v89, v72
	v_dual_fma_f32 v118, v88, v72, -v7 :: v_dual_mov_b32 v72, v83
	v_pk_fma_f32 v[126:127], v[92:93], v[76:77], v[120:121] op_sel_hi:[1,0,1]
	s_delay_alu instid0(VALU_DEP_4)
	v_pk_fma_f32 v[88:89], v[90:91], v[74:75], v[110:111] op_sel_hi:[1,0,1]
	v_pk_fma_f32 v[74:75], v[90:91], v[74:75], v[110:111] neg_lo:[0,0,1] neg_hi:[0,0,1]
	v_pk_mul_f32 v[112:113], v[112:113], v[122:123] op_sel_hi:[1,0]
	v_pk_add_f32 v[118:119], v[118:119], 0 op_sel_hi:[1,0]
	v_pk_fma_f32 v[76:77], v[92:93], v[76:77], v[120:121] neg_lo:[0,0,1] neg_hi:[0,0,1]
	v_dual_mov_b32 v75, v89 :: v_dual_mov_b32 v77, v127
	s_delay_alu instid0(VALU_DEP_4) | instskip(SKIP_2) | instid1(VALU_DEP_4)
	v_pk_fma_f32 v[90:91], v[94:95], v[78:79], v[112:113] op_sel_hi:[1,0,1]
	v_pk_fma_f32 v[78:79], v[94:95], v[78:79], v[112:113] neg_lo:[0,0,1] neg_hi:[0,0,1]
	v_pk_fma_f32 v[92:93], v[96:97], v[80:81], v[124:125] op_sel_hi:[1,0,1]
	v_pk_add_f32 v[74:75], v[118:119], v[74:75]
	v_pk_mul_f32 v[72:73], v[114:115], v[72:73] op_sel_hi:[1,0]
	v_mov_b32_e32 v79, v91
	v_pk_fma_f32 v[80:81], v[96:97], v[80:81], v[124:125] neg_lo:[0,0,1] neg_hi:[0,0,1]
	s_wait_loadcnt 0x2
	v_pk_mul_f32 v[88:89], v[100:101], v[84:85] op_sel:[1,1] op_sel_hi:[0,1]
	v_pk_add_f32 v[74:75], v[74:75], v[76:77]
	v_mov_b32_e32 v76, v87
	v_pk_fma_f32 v[90:91], v[98:99], v[82:83], v[72:73] op_sel_hi:[1,0,1]
	v_mov_b32_e32 v81, v93
	v_pk_fma_f32 v[72:73], v[98:99], v[82:83], v[72:73] neg_lo:[0,0,1] neg_hi:[0,0,1]
	v_pk_add_f32 v[74:75], v[74:75], v[78:79]
	v_pk_fma_f32 v[78:79], v[100:101], v[84:85], v[88:89] op_sel_hi:[1,0,1]
	v_pk_mul_f32 v[76:77], v[116:117], v[76:77] op_sel_hi:[1,0]
	v_mov_b32_e32 v73, v91
	s_delay_alu instid0(VALU_DEP_4)
	v_pk_add_f32 v[74:75], v[74:75], v[80:81]
	v_pk_fma_f32 v[80:81], v[100:101], v[84:85], v[88:89] neg_lo:[0,0,1] neg_hi:[0,0,1]
	v_mov_b32_e32 v81, v79
	v_pk_fma_f32 v[78:79], v[102:103], v[86:87], v[76:77] op_sel_hi:[1,0,1]
	v_pk_fma_f32 v[76:77], v[102:103], v[86:87], v[76:77] neg_lo:[0,0,1] neg_hi:[0,0,1]
	v_pk_add_f32 v[72:73], v[74:75], v[72:73]
	s_wait_loadcnt_dscnt 0x100
	v_pk_mul_f32 v[74:75], v[108:109], v[104:105] op_sel:[1,1] op_sel_hi:[0,1]
	v_mov_b32_e32 v77, v79
	s_delay_alu instid0(VALU_DEP_3) | instskip(NEXT) | instid1(VALU_DEP_3)
	v_pk_add_f32 v[72:73], v[72:73], v[80:81]
	v_pk_fma_f32 v[78:79], v[108:109], v[104:105], v[74:75] op_sel_hi:[1,0,1]
	v_pk_fma_f32 v[74:75], v[108:109], v[104:105], v[74:75] neg_lo:[0,0,1] neg_hi:[0,0,1]
	s_delay_alu instid0(VALU_DEP_3) | instskip(NEXT) | instid1(VALU_DEP_3)
	v_pk_add_f32 v[72:73], v[72:73], v[76:77]
	v_mov_b32_e32 v75, v79
	s_delay_alu instid0(VALU_DEP_1) | instskip(SKIP_1) | instid1(VALU_DEP_1)
	v_pk_add_f32 v[72:73], v[72:73], v[74:75]
	s_wait_loadcnt 0x0
	v_pk_add_f32 v[72:73], v[106:107], v[72:73] neg_lo:[0,1] neg_hi:[0,1]
	scratch_store_b64 off, v[72:73], off offset:200
	s_wait_xcnt 0x0
	v_cmpx_lt_u32_e32 24, v0
	s_cbranch_execz .LBB34_175
; %bb.174:
	scratch_load_b64 v[72:73], off, off offset:192
	v_mov_b64_e32 v[74:75], 0
	scratch_store_b64 off, v[74:75], off offset:192
	s_wait_loadcnt 0x0
	ds_store_b64 v1, v[72:73]
.LBB34_175:
	s_wait_xcnt 0x0
	s_or_b32 exec_lo, exec_lo, s0
	s_wait_storecnt_dscnt 0x0
	s_barrier_signal -1
	s_barrier_wait -1
	s_clause 0x5
	scratch_load_b128 v[72:75], off, off offset:200
	scratch_load_b128 v[76:79], off, off offset:216
	;; [unrolled: 1-line block ×5, first 2 shown]
	scratch_load_b64 v[112:113], off, off offset:192
	ds_load_2addr_b64 v[92:95], v3 offset0:63 offset1:64
	ds_load_2addr_b64 v[96:99], v3 offset0:65 offset1:66
	;; [unrolled: 1-line block ×5, first 2 shown]
	s_mov_b32 s0, exec_lo
	s_wait_dscnt 0x4
	v_dual_mov_b32 v114, v95 :: v_dual_mov_b32 v115, v94
	s_wait_dscnt 0x3
	v_dual_mov_b32 v116, v99 :: v_dual_mov_b32 v117, v98
	;; [unrolled: 2-line block ×4, first 2 shown]
	s_wait_loadcnt_dscnt 0x500
	v_dual_mul_f32 v123, v108, v73 :: v_dual_mul_f32 v125, v110, v75
	v_dual_mul_f32 v3, v109, v73 :: v_dual_mul_f32 v7, v111, v75
	s_wait_loadcnt 0x4
	v_pk_mul_f32 v[126:127], v[92:93], v[76:77] op_sel:[1,1] op_sel_hi:[0,1]
	s_wait_loadcnt 0x3
	v_dual_mov_b32 v128, v79 :: v_dual_mov_b32 v132, v83
	v_dual_fmac_f32 v123, v109, v72 :: v_dual_fmac_f32 v125, v111, v74
	v_fma_f32 v122, v108, v72, -v3
	v_fma_f32 v124, v110, v74, -v7
	v_pk_fma_f32 v[72:73], v[92:93], v[76:77], v[126:127] op_sel_hi:[1,0,1]
	v_pk_mul_f32 v[74:75], v[114:115], v[128:129] op_sel_hi:[1,0]
	v_pk_fma_f32 v[76:77], v[92:93], v[76:77], v[126:127] neg_lo:[0,0,1] neg_hi:[0,0,1]
	v_pk_mul_f32 v[130:131], v[96:97], v[80:81] op_sel:[1,1] op_sel_hi:[0,1]
	v_pk_mul_f32 v[114:115], v[116:117], v[132:133] op_sel_hi:[1,0]
	v_mov_b32_e32 v77, v73
	v_pk_add_f32 v[108:109], v[122:123], 0 op_sel_hi:[1,0]
	v_pk_fma_f32 v[72:73], v[94:95], v[78:79], v[74:75] op_sel_hi:[1,0,1]
	v_pk_fma_f32 v[74:75], v[94:95], v[78:79], v[74:75] neg_lo:[0,0,1] neg_hi:[0,0,1]
	s_wait_loadcnt 0x2
	v_pk_mul_f32 v[110:111], v[100:101], v[84:85] op_sel:[1,1] op_sel_hi:[0,1]
	v_pk_fma_f32 v[78:79], v[96:97], v[80:81], v[130:131] neg_lo:[0,0,1] neg_hi:[0,0,1]
	v_mov_b32_e32 v75, v73
	v_pk_add_f32 v[92:93], v[108:109], v[124:125]
	v_pk_fma_f32 v[108:109], v[96:97], v[80:81], v[130:131] op_sel_hi:[1,0,1]
	v_pk_fma_f32 v[80:81], v[98:99], v[82:83], v[114:115] op_sel_hi:[1,0,1]
	v_pk_fma_f32 v[82:83], v[98:99], v[82:83], v[114:115] neg_lo:[0,0,1] neg_hi:[0,0,1]
	s_delay_alu instid0(VALU_DEP_4) | instskip(NEXT) | instid1(VALU_DEP_4)
	v_pk_add_f32 v[72:73], v[92:93], v[76:77]
	v_dual_mov_b32 v76, v87 :: v_dual_mov_b32 v79, v109
	s_delay_alu instid0(VALU_DEP_2) | instskip(SKIP_1) | instid1(VALU_DEP_3)
	v_pk_add_f32 v[72:73], v[72:73], v[74:75]
	v_pk_fma_f32 v[74:75], v[100:101], v[84:85], v[110:111] op_sel_hi:[1,0,1]
	v_pk_mul_f32 v[76:77], v[118:119], v[76:77] op_sel_hi:[1,0]
	v_mov_b32_e32 v83, v81
	v_pk_fma_f32 v[80:81], v[100:101], v[84:85], v[110:111] neg_lo:[0,0,1] neg_hi:[0,0,1]
	v_pk_add_f32 v[72:73], v[72:73], v[78:79]
	v_mov_b32_e32 v81, v75
	v_pk_fma_f32 v[74:75], v[102:103], v[86:87], v[76:77] op_sel_hi:[1,0,1]
	s_wait_loadcnt 0x1
	v_pk_mul_f32 v[78:79], v[104:105], v[88:89] op_sel:[1,1] op_sel_hi:[0,1]
	v_mov_b32_e32 v74, v91
	v_pk_add_f32 v[72:73], v[72:73], v[82:83]
	v_pk_fma_f32 v[76:77], v[102:103], v[86:87], v[76:77] neg_lo:[0,0,1] neg_hi:[0,0,1]
	v_mov_b32_e32 v77, v75
	v_pk_fma_f32 v[82:83], v[104:105], v[88:89], v[78:79] op_sel_hi:[1,0,1]
	v_pk_mul_f32 v[74:75], v[120:121], v[74:75] op_sel_hi:[1,0]
	v_pk_add_f32 v[72:73], v[72:73], v[80:81]
	v_pk_fma_f32 v[78:79], v[104:105], v[88:89], v[78:79] neg_lo:[0,0,1] neg_hi:[0,0,1]
	s_delay_alu instid0(VALU_DEP_2) | instskip(NEXT) | instid1(VALU_DEP_4)
	v_pk_add_f32 v[72:73], v[72:73], v[76:77]
	v_pk_fma_f32 v[76:77], v[106:107], v[90:91], v[74:75] op_sel_hi:[1,0,1]
	v_mov_b32_e32 v79, v83
	v_pk_fma_f32 v[74:75], v[106:107], v[90:91], v[74:75] neg_lo:[0,0,1] neg_hi:[0,0,1]
	s_delay_alu instid0(VALU_DEP_3) | instskip(NEXT) | instid1(VALU_DEP_3)
	v_mov_b32_e32 v75, v77
	v_pk_add_f32 v[72:73], v[72:73], v[78:79]
	s_delay_alu instid0(VALU_DEP_1) | instskip(SKIP_1) | instid1(VALU_DEP_1)
	v_pk_add_f32 v[72:73], v[72:73], v[74:75]
	s_wait_loadcnt 0x0
	v_pk_add_f32 v[72:73], v[112:113], v[72:73] neg_lo:[0,1] neg_hi:[0,1]
	scratch_store_b64 off, v[72:73], off offset:192
	s_wait_xcnt 0x0
	v_cmpx_lt_u32_e32 23, v0
	s_cbranch_execz .LBB34_177
; %bb.176:
	scratch_load_b64 v[72:73], off, off offset:184
	v_mov_b64_e32 v[74:75], 0
	scratch_store_b64 off, v[74:75], off offset:184
	s_wait_loadcnt 0x0
	ds_store_b64 v1, v[72:73]
.LBB34_177:
	s_wait_xcnt 0x0
	s_or_b32 exec_lo, exec_lo, s0
	s_wait_storecnt_dscnt 0x0
	s_barrier_signal -1
	s_barrier_wait -1
	s_clause 0x6
	scratch_load_b128 v[72:75], off, off offset:192
	scratch_load_b128 v[76:79], off, off offset:208
	;; [unrolled: 1-line block ×5, first 2 shown]
	scratch_load_b64 v[112:113], off, off offset:272
	scratch_load_b64 v[114:115], off, off offset:184
	v_mov_b32_e32 v3, 0
	ds_load_b128 v[92:95], v3 offset:496
	ds_load_b128 v[96:99], v3 offset:512
	;; [unrolled: 1-line block ×5, first 2 shown]
	ds_load_b64 v[116:117], v3 offset:560
	s_mov_b32 s0, exec_lo
	s_wait_dscnt 0x5
	v_dual_mov_b32 v118, v95 :: v_dual_mov_b32 v119, v94
	s_wait_dscnt 0x2
	v_dual_mov_b32 v120, v99 :: v_dual_mov_b32 v125, v106
	v_dual_mov_b32 v121, v98 :: v_dual_mov_b32 v122, v103
	;; [unrolled: 1-line block ×3, first 2 shown]
	s_wait_loadcnt_dscnt 0x601
	v_dual_mul_f32 v7, v108, v73 :: v_dual_mul_f32 v11, v109, v73
	v_dual_mul_f32 v13, v111, v75 :: v_dual_mul_f32 v127, v110, v75
	s_wait_loadcnt 0x5
	v_dual_mul_f32 v129, v92, v77 :: v_dual_mul_f32 v15, v93, v77
	s_wait_loadcnt 0x4
	v_dual_mov_b32 v128, v79 :: v_dual_mov_b32 v132, v83
	v_fmac_f32_e32 v7, v109, v72
	v_dual_fma_f32 v11, v108, v72, -v11 :: v_dual_fma_f32 v126, v110, v74, -v13
	v_fmac_f32_e32 v127, v111, v74
	s_delay_alu instid0(VALU_DEP_4) | instskip(NEXT) | instid1(VALU_DEP_4)
	v_pk_mul_f32 v[72:73], v[118:119], v[128:129] op_sel_hi:[1,0]
	v_add_f32_e32 v75, 0, v7
	s_wait_loadcnt 0x3
	v_dual_add_f32 v74, 0, v11 :: v_dual_mov_b32 v108, v87
	v_pk_mul_f32 v[130:131], v[96:97], v[80:81] op_sel:[1,1] op_sel_hi:[0,1]
	v_dual_fmac_f32 v129, v93, v76 :: v_dual_fma_f32 v128, v92, v76, -v15
	v_pk_fma_f32 v[76:77], v[94:95], v[78:79], v[72:73] op_sel_hi:[1,0,1]
	s_delay_alu instid0(VALU_DEP_4)
	v_pk_add_f32 v[74:75], v[74:75], v[126:127]
	v_pk_fma_f32 v[72:73], v[94:95], v[78:79], v[72:73] neg_lo:[0,0,1] neg_hi:[0,0,1]
	v_pk_fma_f32 v[92:93], v[96:97], v[80:81], v[130:131] op_sel_hi:[1,0,1]
	v_pk_mul_f32 v[110:111], v[120:121], v[132:133] op_sel_hi:[1,0]
	v_mov_b32_e32 v73, v77
	v_pk_add_f32 v[74:75], v[74:75], v[128:129]
	v_pk_fma_f32 v[78:79], v[96:97], v[80:81], v[130:131] neg_lo:[0,0,1] neg_hi:[0,0,1]
	v_pk_mul_f32 v[134:135], v[100:101], v[84:85] op_sel:[1,1] op_sel_hi:[0,1]
	v_mov_b32_e32 v79, v93
	v_pk_fma_f32 v[80:81], v[98:99], v[82:83], v[110:111] op_sel_hi:[1,0,1]
	v_pk_add_f32 v[72:73], v[74:75], v[72:73]
	v_pk_fma_f32 v[82:83], v[98:99], v[82:83], v[110:111] neg_lo:[0,0,1] neg_hi:[0,0,1]
	v_pk_fma_f32 v[74:75], v[100:101], v[84:85], v[134:135] op_sel_hi:[1,0,1]
	v_pk_mul_f32 v[92:93], v[122:123], v[108:109] op_sel_hi:[1,0]
	s_wait_loadcnt 0x2
	v_dual_mov_b32 v83, v81 :: v_dual_mov_b32 v74, v91
	v_pk_add_f32 v[72:73], v[72:73], v[78:79]
	v_pk_fma_f32 v[78:79], v[100:101], v[84:85], v[134:135] neg_lo:[0,0,1] neg_hi:[0,0,1]
	v_pk_mul_f32 v[76:77], v[104:105], v[88:89] op_sel:[1,1] op_sel_hi:[0,1]
	v_pk_fma_f32 v[80:81], v[102:103], v[86:87], v[92:93] op_sel_hi:[1,0,1]
	v_mov_b32_e32 v79, v75
	v_pk_add_f32 v[72:73], v[72:73], v[82:83]
	v_pk_fma_f32 v[84:85], v[102:103], v[86:87], v[92:93] neg_lo:[0,0,1] neg_hi:[0,0,1]
	v_pk_fma_f32 v[82:83], v[104:105], v[88:89], v[76:77] op_sel_hi:[1,0,1]
	v_pk_mul_f32 v[74:75], v[124:125], v[74:75] op_sel_hi:[1,0]
	v_mov_b32_e32 v85, v81
	v_pk_add_f32 v[72:73], v[72:73], v[78:79]
	v_pk_fma_f32 v[76:77], v[104:105], v[88:89], v[76:77] neg_lo:[0,0,1] neg_hi:[0,0,1]
	s_wait_loadcnt_dscnt 0x100
	v_pk_mul_f32 v[80:81], v[116:117], v[112:113] op_sel:[1,1] op_sel_hi:[0,1]
	v_pk_fma_f32 v[78:79], v[106:107], v[90:91], v[74:75] op_sel_hi:[1,0,1]
	v_mov_b32_e32 v77, v83
	v_pk_add_f32 v[72:73], v[72:73], v[84:85]
	v_pk_fma_f32 v[74:75], v[106:107], v[90:91], v[74:75] neg_lo:[0,0,1] neg_hi:[0,0,1]
	s_delay_alu instid0(VALU_DEP_4) | instskip(SKIP_1) | instid1(VALU_DEP_4)
	v_mov_b32_e32 v75, v79
	v_pk_fma_f32 v[78:79], v[116:117], v[112:113], v[80:81] neg_lo:[0,0,1] neg_hi:[0,0,1]
	v_pk_add_f32 v[72:73], v[72:73], v[76:77]
	v_pk_fma_f32 v[76:77], v[116:117], v[112:113], v[80:81] op_sel_hi:[1,0,1]
	s_delay_alu instid0(VALU_DEP_2) | instskip(NEXT) | instid1(VALU_DEP_2)
	v_pk_add_f32 v[72:73], v[72:73], v[74:75]
	v_mov_b32_e32 v79, v77
	s_delay_alu instid0(VALU_DEP_1) | instskip(SKIP_1) | instid1(VALU_DEP_1)
	v_pk_add_f32 v[72:73], v[72:73], v[78:79]
	s_wait_loadcnt 0x0
	v_pk_add_f32 v[72:73], v[114:115], v[72:73] neg_lo:[0,1] neg_hi:[0,1]
	scratch_store_b64 off, v[72:73], off offset:184
	s_wait_xcnt 0x0
	v_cmpx_lt_u32_e32 22, v0
	s_cbranch_execz .LBB34_179
; %bb.178:
	scratch_load_b64 v[72:73], off, off offset:176
	v_mov_b64_e32 v[74:75], 0
	scratch_store_b64 off, v[74:75], off offset:176
	s_wait_loadcnt 0x0
	ds_store_b64 v1, v[72:73]
.LBB34_179:
	s_wait_xcnt 0x0
	s_or_b32 exec_lo, exec_lo, s0
	s_wait_storecnt_dscnt 0x0
	s_barrier_signal -1
	s_barrier_wait -1
	s_clause 0x6
	scratch_load_b128 v[72:75], off, off offset:184
	scratch_load_b128 v[76:79], off, off offset:200
	;; [unrolled: 1-line block ×6, first 2 shown]
	scratch_load_b64 v[120:121], off, off offset:176
	ds_load_2addr_b64 v[96:99], v3 offset0:63 offset1:64
	ds_load_2addr_b64 v[100:103], v3 offset0:65 offset1:66
	;; [unrolled: 1-line block ×6, first 2 shown]
	s_mov_b32 s0, exec_lo
	s_wait_dscnt 0x5
	v_dual_mov_b32 v122, v99 :: v_dual_mov_b32 v123, v98
	s_wait_dscnt 0x4
	v_dual_mov_b32 v124, v103 :: v_dual_mov_b32 v125, v102
	;; [unrolled: 2-line block ×4, first 2 shown]
	s_wait_loadcnt_dscnt 0x601
	v_dual_mul_f32 v3, v112, v73 :: v_dual_mul_f32 v7, v114, v75
	v_dual_mul_f32 v11, v113, v73 :: v_dual_mul_f32 v13, v115, v75
	s_wait_loadcnt 0x4
	s_delay_alu instid0(VALU_DEP_2)
	v_dual_mov_b32 v136, v83 :: v_dual_fmac_f32 v3, v113, v72
	s_wait_dscnt 0x0
	v_dual_mul_f32 v131, v116, v77 :: v_dual_mul_f32 v133, v118, v79
	v_dual_fma_f32 v11, v112, v72, -v11 :: v_dual_fma_f32 v13, v114, v74, -v13
	v_dual_mul_f32 v15, v117, v77 :: v_dual_mul_f32 v17, v119, v79
	v_dual_fmac_f32 v7, v115, v74 :: v_dual_add_f32 v3, 0, v3
	s_wait_loadcnt 0x3
	s_delay_alu instid0(VALU_DEP_3) | instskip(SKIP_3) | instid1(VALU_DEP_4)
	v_dual_add_f32 v11, 0, v11 :: v_dual_mov_b32 v74, v87
	v_pk_mul_f32 v[134:135], v[96:97], v[80:81] op_sel:[1,1] op_sel_hi:[0,1]
	v_pk_mul_f32 v[72:73], v[100:101], v[84:85] op_sel:[1,1] op_sel_hi:[0,1]
	v_dual_fmac_f32 v131, v117, v76 :: v_dual_add_f32 v77, v3, v7
	v_dual_fma_f32 v130, v116, v76, -v15 :: v_dual_add_f32 v76, v11, v13
	v_fmac_f32_e32 v133, v119, v78
	v_fma_f32 v132, v118, v78, -v17
	v_pk_fma_f32 v[78:79], v[96:97], v[80:81], v[134:135] op_sel_hi:[1,0,1]
	v_pk_mul_f32 v[112:113], v[122:123], v[136:137] op_sel_hi:[1,0]
	v_pk_add_f32 v[76:77], v[76:77], v[130:131]
	v_pk_fma_f32 v[80:81], v[96:97], v[80:81], v[134:135] neg_lo:[0,0,1] neg_hi:[0,0,1]
	v_pk_fma_f32 v[96:97], v[100:101], v[84:85], v[72:73] op_sel_hi:[1,0,1]
	v_pk_fma_f32 v[72:73], v[100:101], v[84:85], v[72:73] neg_lo:[0,0,1] neg_hi:[0,0,1]
	v_mov_b32_e32 v81, v79
	v_pk_fma_f32 v[78:79], v[98:99], v[82:83], v[112:113] op_sel_hi:[1,0,1]
	v_pk_fma_f32 v[82:83], v[98:99], v[82:83], v[112:113] neg_lo:[0,0,1] neg_hi:[0,0,1]
	v_mov_b32_e32 v73, v97
	v_pk_add_f32 v[76:77], v[76:77], v[132:133]
	v_pk_mul_f32 v[74:75], v[124:125], v[74:75] op_sel_hi:[1,0]
	s_wait_loadcnt 0x2
	v_dual_mov_b32 v83, v79 :: v_dual_mov_b32 v78, v91
	v_pk_mul_f32 v[114:115], v[104:105], v[88:89] op_sel:[1,1] op_sel_hi:[0,1]
	v_pk_add_f32 v[76:77], v[76:77], v[80:81]
	v_pk_fma_f32 v[80:81], v[102:103], v[86:87], v[74:75] op_sel_hi:[1,0,1]
	v_pk_fma_f32 v[74:75], v[102:103], v[86:87], v[74:75] neg_lo:[0,0,1] neg_hi:[0,0,1]
	v_pk_mul_f32 v[78:79], v[126:127], v[78:79] op_sel_hi:[1,0]
	s_delay_alu instid0(VALU_DEP_4) | instskip(SKIP_3) | instid1(VALU_DEP_4)
	v_pk_add_f32 v[76:77], v[76:77], v[82:83]
	v_pk_fma_f32 v[82:83], v[104:105], v[88:89], v[114:115] op_sel_hi:[1,0,1]
	v_mov_b32_e32 v75, v81
	v_pk_fma_f32 v[80:81], v[104:105], v[88:89], v[114:115] neg_lo:[0,0,1] neg_hi:[0,0,1]
	v_pk_add_f32 v[72:73], v[76:77], v[72:73]
	s_wait_loadcnt 0x1
	v_pk_mul_f32 v[76:77], v[108:109], v[92:93] op_sel:[1,1] op_sel_hi:[0,1]
	v_mov_b32_e32 v81, v83
	v_pk_fma_f32 v[82:83], v[106:107], v[90:91], v[78:79] op_sel_hi:[1,0,1]
	v_pk_fma_f32 v[78:79], v[106:107], v[90:91], v[78:79] neg_lo:[0,0,1] neg_hi:[0,0,1]
	v_pk_add_f32 v[72:73], v[72:73], v[74:75]
	v_mov_b32_e32 v74, v95
	v_pk_fma_f32 v[84:85], v[108:109], v[92:93], v[76:77] op_sel_hi:[1,0,1]
	v_mov_b32_e32 v79, v83
	v_pk_fma_f32 v[76:77], v[108:109], v[92:93], v[76:77] neg_lo:[0,0,1] neg_hi:[0,0,1]
	v_pk_add_f32 v[72:73], v[72:73], v[80:81]
	v_pk_mul_f32 v[74:75], v[128:129], v[74:75] op_sel_hi:[1,0]
	s_delay_alu instid0(VALU_DEP_2) | instskip(NEXT) | instid1(VALU_DEP_2)
	v_pk_add_f32 v[72:73], v[72:73], v[78:79]
	v_pk_fma_f32 v[78:79], v[110:111], v[94:95], v[74:75] op_sel_hi:[1,0,1]
	v_mov_b32_e32 v77, v85
	v_pk_fma_f32 v[74:75], v[110:111], v[94:95], v[74:75] neg_lo:[0,0,1] neg_hi:[0,0,1]
	s_delay_alu instid0(VALU_DEP_3) | instskip(NEXT) | instid1(VALU_DEP_3)
	v_mov_b32_e32 v75, v79
	v_pk_add_f32 v[72:73], v[72:73], v[76:77]
	s_delay_alu instid0(VALU_DEP_1) | instskip(SKIP_1) | instid1(VALU_DEP_1)
	v_pk_add_f32 v[72:73], v[72:73], v[74:75]
	s_wait_loadcnt 0x0
	v_pk_add_f32 v[72:73], v[120:121], v[72:73] neg_lo:[0,1] neg_hi:[0,1]
	scratch_store_b64 off, v[72:73], off offset:176
	s_wait_xcnt 0x0
	v_cmpx_lt_u32_e32 21, v0
	s_cbranch_execz .LBB34_181
; %bb.180:
	scratch_load_b64 v[72:73], off, off offset:168
	v_mov_b64_e32 v[74:75], 0
	scratch_store_b64 off, v[74:75], off offset:168
	s_wait_loadcnt 0x0
	ds_store_b64 v1, v[72:73]
.LBB34_181:
	s_wait_xcnt 0x0
	s_or_b32 exec_lo, exec_lo, s0
	s_wait_storecnt_dscnt 0x0
	s_barrier_signal -1
	s_barrier_wait -1
	s_clause 0x7
	scratch_load_b128 v[72:75], off, off offset:176
	scratch_load_b128 v[76:79], off, off offset:192
	;; [unrolled: 1-line block ×6, first 2 shown]
	scratch_load_b64 v[120:121], off, off offset:272
	scratch_load_b64 v[122:123], off, off offset:168
	v_mov_b32_e32 v3, 0
	ds_load_b128 v[96:99], v3 offset:496
	ds_load_b128 v[100:103], v3 offset:512
	ds_load_b128 v[104:107], v3 offset:528
	ds_load_b128 v[108:111], v3 offset:544
	ds_load_b128 v[112:115], v3 offset:464
	ds_load_b128 v[116:119], v3 offset:480
	ds_load_b64 v[124:125], v3 offset:560
	s_mov_b32 s0, exec_lo
	s_wait_dscnt 0x6
	v_dual_mov_b32 v126, v99 :: v_dual_mov_b32 v127, v98
	s_wait_dscnt 0x3
	v_dual_mov_b32 v128, v103 :: v_dual_mov_b32 v133, v110
	v_dual_mov_b32 v129, v102 :: v_dual_mov_b32 v130, v107
	v_dual_mov_b32 v131, v106 :: v_dual_mov_b32 v132, v111
	s_wait_loadcnt_dscnt 0x702
	v_dual_mul_f32 v7, v112, v73 :: v_dual_mul_f32 v15, v113, v73
	v_dual_mul_f32 v17, v115, v75 :: v_dual_mul_f32 v11, v114, v75
	s_wait_loadcnt_dscnt 0x601
	s_delay_alu instid0(VALU_DEP_2) | instskip(NEXT) | instid1(VALU_DEP_2)
	v_dual_mul_f32 v13, v116, v77 :: v_dual_fmac_f32 v7, v113, v72
	v_dual_fma_f32 v15, v112, v72, -v15 :: v_dual_fma_f32 v17, v114, v74, -v17
	s_wait_loadcnt 0x5
	v_dual_mul_f32 v135, v118, v79 :: v_dual_mul_f32 v137, v96, v81
	v_dual_mul_f32 v19, v117, v77 :: v_dual_mul_f32 v21, v119, v79
	v_dual_mul_f32 v23, v97, v81 :: v_dual_mov_b32 v136, v83
	s_wait_loadcnt 0x4
	v_mov_b32_e32 v72, v87
	v_dual_fmac_f32 v11, v115, v74 :: v_dual_add_f32 v7, 0, v7
	v_dual_add_f32 v15, 0, v15 :: v_dual_fmac_f32 v13, v117, v76
	v_fma_f32 v19, v116, v76, -v19
	v_pk_mul_f32 v[76:77], v[126:127], v[136:137] op_sel_hi:[1,0]
	s_delay_alu instid0(VALU_DEP_4) | instskip(NEXT) | instid1(VALU_DEP_4)
	v_add_f32_e32 v7, v7, v11
	v_dual_add_f32 v11, v15, v17 :: v_dual_fma_f32 v134, v118, v78, -v21
	v_dual_fmac_f32 v135, v119, v78 :: v_dual_fmac_f32 v137, v97, v80
	s_delay_alu instid0(VALU_DEP_3) | instskip(SKIP_1) | instid1(VALU_DEP_4)
	v_dual_add_f32 v79, v7, v13 :: v_dual_fma_f32 v136, v96, v80, -v23
	v_pk_fma_f32 v[80:81], v[98:99], v[82:83], v[76:77] op_sel_hi:[1,0,1]
	v_add_f32_e32 v78, v11, v19
	v_pk_fma_f32 v[76:77], v[98:99], v[82:83], v[76:77] neg_lo:[0,0,1] neg_hi:[0,0,1]
	v_pk_mul_f32 v[138:139], v[100:101], v[84:85] op_sel:[1,1] op_sel_hi:[0,1]
	v_pk_mul_f32 v[72:73], v[128:129], v[72:73] op_sel_hi:[1,0]
	v_mov_b32_e32 v77, v81
	v_pk_add_f32 v[78:79], v[78:79], v[134:135]
	s_wait_loadcnt 0x3
	v_pk_mul_f32 v[74:75], v[104:105], v[88:89] op_sel:[1,1] op_sel_hi:[0,1]
	v_pk_fma_f32 v[96:97], v[100:101], v[84:85], v[138:139] op_sel_hi:[1,0,1]
	v_pk_fma_f32 v[82:83], v[100:101], v[84:85], v[138:139] neg_lo:[0,0,1] neg_hi:[0,0,1]
	v_mov_b32_e32 v112, v91
	v_pk_add_f32 v[78:79], v[78:79], v[136:137]
	v_pk_fma_f32 v[84:85], v[102:103], v[86:87], v[72:73] op_sel_hi:[1,0,1]
	v_mov_b32_e32 v83, v97
	v_pk_fma_f32 v[72:73], v[102:103], v[86:87], v[72:73] neg_lo:[0,0,1] neg_hi:[0,0,1]
	v_pk_mul_f32 v[96:97], v[130:131], v[112:113] op_sel_hi:[1,0]
	v_pk_add_f32 v[76:77], v[78:79], v[76:77]
	v_pk_fma_f32 v[78:79], v[104:105], v[88:89], v[74:75] op_sel_hi:[1,0,1]
	s_wait_loadcnt 0x2
	v_dual_mov_b32 v73, v85 :: v_dual_mov_b32 v78, v95
	v_pk_fma_f32 v[74:75], v[104:105], v[88:89], v[74:75] neg_lo:[0,0,1] neg_hi:[0,0,1]
	v_pk_add_f32 v[76:77], v[76:77], v[82:83]
	v_pk_mul_f32 v[80:81], v[108:109], v[92:93] op_sel:[1,1] op_sel_hi:[0,1]
	v_pk_fma_f32 v[82:83], v[106:107], v[90:91], v[96:97] op_sel_hi:[1,0,1]
	v_mov_b32_e32 v75, v79
	v_pk_fma_f32 v[84:85], v[106:107], v[90:91], v[96:97] neg_lo:[0,0,1] neg_hi:[0,0,1]
	v_pk_add_f32 v[72:73], v[76:77], v[72:73]
	v_pk_fma_f32 v[76:77], v[108:109], v[92:93], v[80:81] op_sel_hi:[1,0,1]
	v_pk_mul_f32 v[78:79], v[132:133], v[78:79] op_sel_hi:[1,0]
	v_mov_b32_e32 v85, v83
	s_delay_alu instid0(VALU_DEP_4)
	v_pk_add_f32 v[72:73], v[72:73], v[74:75]
	v_pk_fma_f32 v[74:75], v[108:109], v[92:93], v[80:81] neg_lo:[0,0,1] neg_hi:[0,0,1]
	v_mov_b32_e32 v75, v77
	v_pk_fma_f32 v[76:77], v[110:111], v[94:95], v[78:79] op_sel_hi:[1,0,1]
	s_wait_loadcnt_dscnt 0x100
	v_pk_mul_f32 v[80:81], v[124:125], v[120:121] op_sel:[1,1] op_sel_hi:[0,1]
	v_pk_add_f32 v[72:73], v[72:73], v[84:85]
	v_pk_fma_f32 v[78:79], v[110:111], v[94:95], v[78:79] neg_lo:[0,0,1] neg_hi:[0,0,1]
	v_mov_b32_e32 v79, v77
	s_delay_alu instid0(VALU_DEP_4) | instskip(NEXT) | instid1(VALU_DEP_4)
	v_pk_fma_f32 v[76:77], v[124:125], v[120:121], v[80:81] neg_lo:[0,0,1] neg_hi:[0,0,1]
	v_pk_add_f32 v[72:73], v[72:73], v[74:75]
	v_pk_fma_f32 v[74:75], v[124:125], v[120:121], v[80:81] op_sel_hi:[1,0,1]
	s_delay_alu instid0(VALU_DEP_2) | instskip(NEXT) | instid1(VALU_DEP_2)
	v_pk_add_f32 v[72:73], v[72:73], v[78:79]
	v_mov_b32_e32 v77, v75
	s_delay_alu instid0(VALU_DEP_1) | instskip(SKIP_1) | instid1(VALU_DEP_1)
	v_pk_add_f32 v[72:73], v[72:73], v[76:77]
	s_wait_loadcnt 0x0
	v_pk_add_f32 v[72:73], v[122:123], v[72:73] neg_lo:[0,1] neg_hi:[0,1]
	scratch_store_b64 off, v[72:73], off offset:168
	s_wait_xcnt 0x0
	v_cmpx_lt_u32_e32 20, v0
	s_cbranch_execz .LBB34_183
; %bb.182:
	scratch_load_b64 v[72:73], off, off offset:160
	v_mov_b64_e32 v[74:75], 0
	scratch_store_b64 off, v[74:75], off offset:160
	s_wait_loadcnt 0x0
	ds_store_b64 v1, v[72:73]
.LBB34_183:
	s_wait_xcnt 0x0
	s_or_b32 exec_lo, exec_lo, s0
	s_wait_storecnt_dscnt 0x0
	s_barrier_signal -1
	s_barrier_wait -1
	s_clause 0x7
	scratch_load_b128 v[72:75], off, off offset:168
	scratch_load_b128 v[76:79], off, off offset:184
	scratch_load_b128 v[80:83], off, off offset:200
	scratch_load_b128 v[84:87], off, off offset:216
	scratch_load_b128 v[88:91], off, off offset:232
	scratch_load_b128 v[92:95], off, off offset:248
	scratch_load_b128 v[96:99], off, off offset:264
	scratch_load_b64 v[128:129], off, off offset:160
	ds_load_2addr_b64 v[100:103], v3 offset0:63 offset1:64
	ds_load_2addr_b64 v[104:107], v3 offset0:65 offset1:66
	;; [unrolled: 1-line block ×7, first 2 shown]
	s_mov_b32 s0, exec_lo
	s_wait_dscnt 0x6
	v_dual_mov_b32 v130, v103 :: v_dual_mov_b32 v131, v102
	s_wait_dscnt 0x5
	v_dual_mov_b32 v132, v107 :: v_dual_mov_b32 v133, v106
	;; [unrolled: 2-line block ×4, first 2 shown]
	s_wait_loadcnt_dscnt 0x702
	v_dual_mul_f32 v3, v116, v73 :: v_dual_mul_f32 v7, v118, v75
	v_dual_mul_f32 v15, v117, v73 :: v_dual_mul_f32 v17, v119, v75
	s_wait_loadcnt_dscnt 0x601
	v_dual_mul_f32 v11, v120, v77 :: v_dual_mul_f32 v13, v122, v79
	s_delay_alu instid0(VALU_DEP_3) | instskip(SKIP_2) | instid1(VALU_DEP_3)
	v_fmac_f32_e32 v3, v117, v72
	v_dual_mul_f32 v19, v121, v77 :: v_dual_mul_f32 v21, v123, v79
	v_dual_fma_f32 v17, v118, v74, -v17 :: v_dual_fma_f32 v15, v116, v72, -v15
	v_dual_add_f32 v3, 0, v3 :: v_dual_fmac_f32 v7, v119, v74
	s_wait_loadcnt 0x4
	v_dual_mov_b32 v74, v87 :: v_dual_fmac_f32 v11, v121, v76
	s_delay_alu instid0(VALU_DEP_3) | instskip(SKIP_2) | instid1(VALU_DEP_2)
	v_dual_add_f32 v15, 0, v15 :: v_dual_fma_f32 v19, v120, v76, -v19
	s_wait_dscnt 0x0
	v_dual_add_f32 v3, v3, v7 :: v_dual_mul_f32 v139, v124, v81
	v_dual_mul_f32 v141, v126, v83 :: v_dual_add_f32 v7, v15, v17
	v_dual_fma_f32 v15, v122, v78, -v21 :: v_dual_mul_f32 v23, v125, v81
	v_mul_f32_e32 v25, v127, v83
	v_pk_mul_f32 v[72:73], v[100:101], v[84:85] op_sel:[1,1] op_sel_hi:[0,1]
	s_wait_loadcnt 0x3
	v_pk_mul_f32 v[76:77], v[104:105], v[88:89] op_sel:[1,1] op_sel_hi:[0,1]
	v_dual_fmac_f32 v13, v123, v78 :: v_dual_fmac_f32 v139, v125, v80
	v_dual_add_f32 v3, v3, v11 :: v_dual_fma_f32 v138, v124, v80, -v23
	v_dual_add_f32 v7, v7, v19 :: v_dual_fma_f32 v140, v126, v82, -v25
	v_fmac_f32_e32 v141, v127, v82
	v_pk_fma_f32 v[82:83], v[100:101], v[84:85], v[72:73] op_sel_hi:[1,0,1]
	v_pk_fma_f32 v[72:73], v[100:101], v[84:85], v[72:73] neg_lo:[0,0,1] neg_hi:[0,0,1]
	s_delay_alu instid0(VALU_DEP_4)
	v_add_f32_e32 v80, v7, v15
	v_pk_fma_f32 v[84:85], v[104:105], v[88:89], v[76:77] op_sel_hi:[1,0,1]
	v_add_f32_e32 v81, v3, v13
	v_pk_fma_f32 v[76:77], v[104:105], v[88:89], v[76:77] neg_lo:[0,0,1] neg_hi:[0,0,1]
	v_pk_mul_f32 v[74:75], v[130:131], v[74:75] op_sel_hi:[1,0]
	v_dual_mov_b32 v78, v91 :: v_dual_mov_b32 v73, v83
	v_mov_b32_e32 v77, v85
	v_pk_add_f32 v[80:81], v[80:81], v[138:139]
	s_delay_alu instid0(VALU_DEP_4)
	v_pk_fma_f32 v[82:83], v[102:103], v[86:87], v[74:75] op_sel_hi:[1,0,1]
	v_pk_fma_f32 v[74:75], v[102:103], v[86:87], v[74:75] neg_lo:[0,0,1] neg_hi:[0,0,1]
	v_pk_mul_f32 v[78:79], v[132:133], v[78:79] op_sel_hi:[1,0]
	s_wait_loadcnt 0x2
	v_pk_mul_f32 v[116:117], v[108:109], v[92:93] op_sel:[1,1] op_sel_hi:[0,1]
	v_pk_add_f32 v[80:81], v[80:81], v[140:141]
	v_mov_b32_e32 v75, v83
	v_pk_fma_f32 v[82:83], v[106:107], v[90:91], v[78:79] op_sel_hi:[1,0,1]
	v_pk_fma_f32 v[78:79], v[106:107], v[90:91], v[78:79] neg_lo:[0,0,1] neg_hi:[0,0,1]
	s_delay_alu instid0(VALU_DEP_4) | instskip(SKIP_1) | instid1(VALU_DEP_2)
	v_pk_add_f32 v[72:73], v[80:81], v[72:73]
	v_mov_b32_e32 v80, v95
	v_pk_add_f32 v[72:73], v[72:73], v[74:75]
	v_pk_fma_f32 v[74:75], v[108:109], v[92:93], v[116:117] op_sel_hi:[1,0,1]
	s_delay_alu instid0(VALU_DEP_3)
	v_pk_mul_f32 v[80:81], v[134:135], v[80:81] op_sel_hi:[1,0]
	v_mov_b32_e32 v79, v83
	v_pk_fma_f32 v[82:83], v[108:109], v[92:93], v[116:117] neg_lo:[0,0,1] neg_hi:[0,0,1]
	v_pk_add_f32 v[72:73], v[72:73], v[76:77]
	v_mov_b32_e32 v83, v75
	v_pk_fma_f32 v[74:75], v[110:111], v[94:95], v[80:81] op_sel_hi:[1,0,1]
	s_wait_loadcnt 0x1
	v_pk_mul_f32 v[76:77], v[112:113], v[96:97] op_sel:[1,1] op_sel_hi:[0,1]
	v_mov_b32_e32 v74, v99
	v_pk_add_f32 v[72:73], v[72:73], v[78:79]
	v_pk_fma_f32 v[80:81], v[110:111], v[94:95], v[80:81] neg_lo:[0,0,1] neg_hi:[0,0,1]
	v_mov_b32_e32 v81, v75
	v_pk_fma_f32 v[78:79], v[112:113], v[96:97], v[76:77] op_sel_hi:[1,0,1]
	v_pk_mul_f32 v[74:75], v[136:137], v[74:75] op_sel_hi:[1,0]
	v_pk_add_f32 v[72:73], v[72:73], v[82:83]
	v_pk_fma_f32 v[76:77], v[112:113], v[96:97], v[76:77] neg_lo:[0,0,1] neg_hi:[0,0,1]
	s_delay_alu instid0(VALU_DEP_4) | instskip(NEXT) | instid1(VALU_DEP_4)
	v_mov_b32_e32 v77, v79
	v_pk_fma_f32 v[78:79], v[114:115], v[98:99], v[74:75] op_sel_hi:[1,0,1]
	s_delay_alu instid0(VALU_DEP_4) | instskip(SKIP_1) | instid1(VALU_DEP_3)
	v_pk_add_f32 v[72:73], v[72:73], v[80:81]
	v_pk_fma_f32 v[74:75], v[114:115], v[98:99], v[74:75] neg_lo:[0,0,1] neg_hi:[0,0,1]
	v_mov_b32_e32 v75, v79
	s_delay_alu instid0(VALU_DEP_3) | instskip(NEXT) | instid1(VALU_DEP_1)
	v_pk_add_f32 v[72:73], v[72:73], v[76:77]
	v_pk_add_f32 v[72:73], v[72:73], v[74:75]
	s_wait_loadcnt 0x0
	s_delay_alu instid0(VALU_DEP_1)
	v_pk_add_f32 v[72:73], v[128:129], v[72:73] neg_lo:[0,1] neg_hi:[0,1]
	scratch_store_b64 off, v[72:73], off offset:160
	s_wait_xcnt 0x0
	v_cmpx_lt_u32_e32 19, v0
	s_cbranch_execz .LBB34_185
; %bb.184:
	scratch_load_b64 v[72:73], off, off offset:152
	v_mov_b64_e32 v[74:75], 0
	scratch_store_b64 off, v[74:75], off offset:152
	s_wait_loadcnt 0x0
	ds_store_b64 v1, v[72:73]
.LBB34_185:
	s_wait_xcnt 0x0
	s_or_b32 exec_lo, exec_lo, s0
	s_wait_storecnt_dscnt 0x0
	s_barrier_signal -1
	s_barrier_wait -1
	s_clause 0x8
	scratch_load_b128 v[72:75], off, off offset:160
	scratch_load_b128 v[76:79], off, off offset:176
	;; [unrolled: 1-line block ×7, first 2 shown]
	scratch_load_b64 v[128:129], off, off offset:272
	scratch_load_b64 v[130:131], off, off offset:152
	v_mov_b32_e32 v3, 0
	ds_load_b128 v[100:103], v3 offset:496
	ds_load_b128 v[104:107], v3 offset:512
	;; [unrolled: 1-line block ×7, first 2 shown]
	ds_load_b64 v[132:133], v3 offset:560
	s_mov_b32 s0, exec_lo
	s_wait_dscnt 0x7
	v_dual_mov_b32 v134, v103 :: v_dual_mov_b32 v135, v102
	s_wait_dscnt 0x4
	v_dual_mov_b32 v136, v107 :: v_dual_mov_b32 v141, v114
	v_dual_mov_b32 v137, v106 :: v_dual_mov_b32 v138, v111
	;; [unrolled: 1-line block ×3, first 2 shown]
	s_wait_loadcnt_dscnt 0x803
	v_dual_mul_f32 v7, v116, v73 :: v_dual_mul_f32 v19, v117, v73
	v_dual_mul_f32 v21, v119, v75 :: v_dual_mul_f32 v11, v118, v75
	s_wait_loadcnt_dscnt 0x702
	v_mul_f32_e32 v13, v120, v77
	s_wait_loadcnt 0x5
	v_dual_mul_f32 v31, v101, v85 :: v_dual_fma_f32 v19, v116, v72, -v19
	v_dual_fmac_f32 v7, v117, v72 :: v_dual_mov_b32 v72, v87
	v_dual_mul_f32 v23, v121, v77 :: v_dual_mul_f32 v25, v123, v79
	v_dual_fmac_f32 v11, v119, v74 :: v_dual_fma_f32 v21, v118, v74, -v21
	s_delay_alu instid0(VALU_DEP_3) | instskip(NEXT) | instid1(VALU_DEP_3)
	v_dual_add_f32 v7, 0, v7 :: v_dual_fmac_f32 v13, v121, v76
	v_dual_add_f32 v19, 0, v19 :: v_dual_fma_f32 v23, v120, v76, -v23
	s_wait_dscnt 0x1
	v_dual_mul_f32 v15, v122, v79 :: v_dual_mul_f32 v17, v124, v81
	s_delay_alu instid0(VALU_DEP_3) | instskip(NEXT) | instid1(VALU_DEP_3)
	v_add_f32_e32 v7, v7, v11
	v_dual_add_f32 v11, v19, v21 :: v_dual_mul_f32 v143, v126, v83
	v_mul_f32_e32 v145, v100, v85
	v_dual_mul_f32 v27, v125, v81 :: v_dual_mul_f32 v29, v127, v83
	s_wait_loadcnt 0x4
	v_pk_mul_f32 v[74:75], v[104:105], v[88:89] op_sel:[1,1] op_sel_hi:[0,1]
	s_delay_alu instid0(VALU_DEP_3)
	v_dual_fmac_f32 v15, v123, v78 :: v_dual_fmac_f32 v145, v101, v84
	v_dual_fma_f32 v19, v122, v78, -v25 :: v_dual_add_f32 v7, v7, v13
	v_fma_f32 v142, v126, v82, -v29
	v_dual_fmac_f32 v17, v125, v80 :: v_dual_add_f32 v11, v11, v23
	v_fma_f32 v144, v100, v84, -v31
	v_pk_mul_f32 v[72:73], v[134:135], v[72:73] op_sel_hi:[1,0]
	v_dual_mov_b32 v76, v91 :: v_dual_fma_f32 v13, v124, v80, -v27
	v_pk_fma_f32 v[100:101], v[104:105], v[88:89], v[74:75] op_sel_hi:[1,0,1]
	v_add_f32_e32 v11, v11, v19
	s_delay_alu instid0(VALU_DEP_4) | instskip(SKIP_3) | instid1(VALU_DEP_4)
	v_pk_fma_f32 v[84:85], v[102:103], v[86:87], v[72:73] op_sel_hi:[1,0,1]
	v_add_f32_e32 v7, v7, v15
	v_pk_fma_f32 v[72:73], v[102:103], v[86:87], v[72:73] neg_lo:[0,0,1] neg_hi:[0,0,1]
	v_pk_fma_f32 v[74:75], v[104:105], v[88:89], v[74:75] neg_lo:[0,0,1] neg_hi:[0,0,1]
	v_dual_fmac_f32 v143, v127, v82 :: v_dual_mov_b32 v73, v85
	s_delay_alu instid0(VALU_DEP_4)
	v_dual_add_f32 v81, v7, v17 :: v_dual_mov_b32 v75, v101
	v_add_f32_e32 v80, v11, v13
	v_pk_mul_f32 v[76:77], v[136:137], v[76:77] op_sel_hi:[1,0]
	s_wait_loadcnt 0x3
	v_pk_mul_f32 v[78:79], v[108:109], v[92:93] op_sel:[1,1] op_sel_hi:[0,1]
	s_wait_loadcnt 0x2
	v_pk_mul_f32 v[84:85], v[112:113], v[96:97] op_sel:[1,1] op_sel_hi:[0,1]
	v_pk_add_f32 v[80:81], v[80:81], v[142:143]
	v_pk_fma_f32 v[86:87], v[106:107], v[90:91], v[76:77] op_sel_hi:[1,0,1]
	v_mov_b32_e32 v82, v95
	v_pk_fma_f32 v[76:77], v[106:107], v[90:91], v[76:77] neg_lo:[0,0,1] neg_hi:[0,0,1]
	s_delay_alu instid0(VALU_DEP_4) | instskip(NEXT) | instid1(VALU_DEP_4)
	v_pk_add_f32 v[80:81], v[80:81], v[144:145]
	v_mov_b32_e32 v77, v87
	s_delay_alu instid0(VALU_DEP_4) | instskip(NEXT) | instid1(VALU_DEP_3)
	v_pk_mul_f32 v[82:83], v[138:139], v[82:83] op_sel_hi:[1,0]
	v_pk_add_f32 v[72:73], v[80:81], v[72:73]
	v_pk_fma_f32 v[80:81], v[108:109], v[92:93], v[78:79] op_sel_hi:[1,0,1]
	v_pk_fma_f32 v[78:79], v[108:109], v[92:93], v[78:79] neg_lo:[0,0,1] neg_hi:[0,0,1]
	s_delay_alu instid0(VALU_DEP_3) | instskip(NEXT) | instid1(VALU_DEP_3)
	v_pk_add_f32 v[72:73], v[72:73], v[74:75]
	v_dual_mov_b32 v74, v99 :: v_dual_mov_b32 v79, v81
	v_pk_fma_f32 v[80:81], v[110:111], v[94:95], v[82:83] op_sel_hi:[1,0,1]
	v_pk_fma_f32 v[82:83], v[110:111], v[94:95], v[82:83] neg_lo:[0,0,1] neg_hi:[0,0,1]
	s_delay_alu instid0(VALU_DEP_4)
	v_pk_add_f32 v[72:73], v[72:73], v[76:77]
	v_pk_fma_f32 v[76:77], v[112:113], v[96:97], v[84:85] op_sel_hi:[1,0,1]
	v_pk_mul_f32 v[74:75], v[140:141], v[74:75] op_sel_hi:[1,0]
	v_mov_b32_e32 v83, v81
	s_wait_loadcnt_dscnt 0x100
	v_pk_mul_f32 v[80:81], v[132:133], v[128:129] op_sel:[1,1] op_sel_hi:[0,1]
	v_pk_add_f32 v[72:73], v[72:73], v[78:79]
	v_pk_fma_f32 v[78:79], v[112:113], v[96:97], v[84:85] neg_lo:[0,0,1] neg_hi:[0,0,1]
	v_mov_b32_e32 v79, v77
	v_pk_fma_f32 v[76:77], v[114:115], v[98:99], v[74:75] op_sel_hi:[1,0,1]
	v_pk_fma_f32 v[74:75], v[114:115], v[98:99], v[74:75] neg_lo:[0,0,1] neg_hi:[0,0,1]
	v_pk_add_f32 v[72:73], v[72:73], v[82:83]
	s_delay_alu instid0(VALU_DEP_3) | instskip(SKIP_1) | instid1(VALU_DEP_3)
	v_mov_b32_e32 v75, v77
	v_pk_fma_f32 v[76:77], v[132:133], v[128:129], v[80:81] op_sel_hi:[1,0,1]
	v_pk_add_f32 v[72:73], v[72:73], v[78:79]
	v_pk_fma_f32 v[78:79], v[132:133], v[128:129], v[80:81] neg_lo:[0,0,1] neg_hi:[0,0,1]
	s_delay_alu instid0(VALU_DEP_3) | instskip(NEXT) | instid1(VALU_DEP_3)
	v_mov_b32_e32 v79, v77
	v_pk_add_f32 v[72:73], v[72:73], v[74:75]
	s_delay_alu instid0(VALU_DEP_1) | instskip(SKIP_1) | instid1(VALU_DEP_1)
	v_pk_add_f32 v[72:73], v[72:73], v[78:79]
	s_wait_loadcnt 0x0
	v_pk_add_f32 v[72:73], v[130:131], v[72:73] neg_lo:[0,1] neg_hi:[0,1]
	scratch_store_b64 off, v[72:73], off offset:152
	s_wait_xcnt 0x0
	v_cmpx_lt_u32_e32 18, v0
	s_cbranch_execz .LBB34_187
; %bb.186:
	scratch_load_b64 v[72:73], off, off offset:144
	v_mov_b64_e32 v[74:75], 0
	scratch_store_b64 off, v[74:75], off offset:144
	s_wait_loadcnt 0x0
	ds_store_b64 v1, v[72:73]
.LBB34_187:
	s_wait_xcnt 0x0
	s_or_b32 exec_lo, exec_lo, s0
	s_wait_storecnt_dscnt 0x0
	s_barrier_signal -1
	s_barrier_wait -1
	s_clause 0x8
	scratch_load_b128 v[72:75], off, off offset:152
	scratch_load_b128 v[76:79], off, off offset:168
	;; [unrolled: 1-line block ×8, first 2 shown]
	scratch_load_b64 v[136:137], off, off offset:144
	ds_load_2addr_b64 v[104:107], v3 offset0:63 offset1:64
	ds_load_2addr_b64 v[108:111], v3 offset0:65 offset1:66
	;; [unrolled: 1-line block ×8, first 2 shown]
	s_mov_b32 s0, exec_lo
	s_wait_dscnt 0x7
	v_dual_mov_b32 v138, v107 :: v_dual_mov_b32 v139, v106
	s_wait_dscnt 0x6
	v_dual_mov_b32 v140, v111 :: v_dual_mov_b32 v141, v110
	;; [unrolled: 2-line block ×4, first 2 shown]
	s_wait_loadcnt_dscnt 0x803
	v_dual_mul_f32 v3, v120, v73 :: v_dual_mul_f32 v7, v122, v75
	v_dual_mul_f32 v19, v121, v73 :: v_dual_mul_f32 v21, v123, v75
	s_wait_loadcnt_dscnt 0x702
	v_dual_mul_f32 v11, v124, v77 :: v_dual_mul_f32 v13, v126, v79
	s_delay_alu instid0(VALU_DEP_3)
	v_fmac_f32_e32 v3, v121, v72
	s_wait_loadcnt_dscnt 0x500
	v_dual_fma_f32 v19, v120, v72, -v19 :: v_dual_mul_f32 v31, v133, v85
	v_dual_mul_f32 v23, v125, v77 :: v_dual_mul_f32 v25, v127, v79
	v_dual_fma_f32 v21, v122, v74, -v21 :: v_dual_fmac_f32 v7, v123, v74
	v_add_f32_e32 v3, 0, v3
	s_delay_alu instid0(VALU_DEP_4) | instskip(SKIP_2) | instid1(VALU_DEP_4)
	v_dual_add_f32 v19, 0, v19 :: v_dual_fmac_f32 v11, v125, v76
	v_dual_mul_f32 v15, v128, v81 :: v_dual_mul_f32 v17, v130, v83
	v_dual_mul_f32 v33, v135, v87 :: v_dual_fma_f32 v23, v124, v76, -v23
	v_add_f32_e32 v3, v3, v7
	s_delay_alu instid0(VALU_DEP_3) | instskip(SKIP_4) | instid1(VALU_DEP_4)
	v_dual_add_f32 v7, v19, v21 :: v_dual_fmac_f32 v15, v129, v80
	v_dual_mul_f32 v147, v132, v85 :: v_dual_mul_f32 v149, v134, v87
	v_dual_mul_f32 v27, v129, v81 :: v_dual_mul_f32 v29, v131, v83
	v_fmac_f32_e32 v13, v127, v78
	v_dual_fma_f32 v19, v126, v78, -v25 :: v_dual_add_f32 v3, v3, v11
	v_dual_add_f32 v7, v7, v23 :: v_dual_fmac_f32 v147, v133, v84
	s_delay_alu instid0(VALU_DEP_4) | instskip(NEXT) | instid1(VALU_DEP_3)
	v_dual_fma_f32 v11, v128, v80, -v27 :: v_dual_fmac_f32 v17, v131, v82
	v_dual_add_f32 v3, v3, v13 :: v_dual_fma_f32 v146, v132, v84, -v31
	s_delay_alu instid0(VALU_DEP_3) | instskip(NEXT) | instid1(VALU_DEP_2)
	v_dual_add_f32 v7, v7, v19 :: v_dual_fma_f32 v148, v134, v86, -v33
	v_dual_fma_f32 v13, v130, v82, -v29 :: v_dual_add_f32 v3, v3, v15
	s_wait_loadcnt 0x4
	v_pk_mul_f32 v[72:73], v[104:105], v[88:89] op_sel:[1,1] op_sel_hi:[0,1]
	s_delay_alu instid0(VALU_DEP_3)
	v_add_f32_e32 v7, v7, v11
	s_wait_loadcnt 0x3
	v_dual_mov_b32 v74, v91 :: v_dual_mov_b32 v78, v95
	v_add_f32_e32 v81, v3, v17
	v_fmac_f32_e32 v149, v135, v86
	v_add_f32_e32 v80, v7, v13
	v_pk_fma_f32 v[82:83], v[104:105], v[88:89], v[72:73] op_sel_hi:[1,0,1]
	v_pk_mul_f32 v[74:75], v[138:139], v[74:75] op_sel_hi:[1,0]
	v_pk_fma_f32 v[72:73], v[104:105], v[88:89], v[72:73] neg_lo:[0,0,1] neg_hi:[0,0,1]
	v_pk_mul_f32 v[76:77], v[108:109], v[92:93] op_sel:[1,1] op_sel_hi:[0,1]
	v_pk_add_f32 v[80:81], v[80:81], v[146:147]
	v_mov_b32_e32 v73, v83
	v_pk_fma_f32 v[82:83], v[106:107], v[90:91], v[74:75] op_sel_hi:[1,0,1]
	v_pk_fma_f32 v[74:75], v[106:107], v[90:91], v[74:75] neg_lo:[0,0,1] neg_hi:[0,0,1]
	v_pk_fma_f32 v[86:87], v[108:109], v[92:93], v[76:77] op_sel_hi:[1,0,1]
	v_pk_add_f32 v[80:81], v[80:81], v[148:149]
	v_pk_mul_f32 v[78:79], v[140:141], v[78:79] op_sel_hi:[1,0]
	v_mov_b32_e32 v75, v83
	s_wait_loadcnt 0x2
	v_pk_mul_f32 v[84:85], v[112:113], v[96:97] op_sel:[1,1] op_sel_hi:[0,1]
	v_pk_fma_f32 v[76:77], v[108:109], v[92:93], v[76:77] neg_lo:[0,0,1] neg_hi:[0,0,1]
	v_pk_add_f32 v[72:73], v[80:81], v[72:73]
	v_dual_mov_b32 v80, v99 :: v_dual_mov_b32 v77, v87
	v_pk_fma_f32 v[82:83], v[110:111], v[94:95], v[78:79] op_sel_hi:[1,0,1]
	v_pk_fma_f32 v[78:79], v[110:111], v[94:95], v[78:79] neg_lo:[0,0,1] neg_hi:[0,0,1]
	s_delay_alu instid0(VALU_DEP_4)
	v_pk_add_f32 v[72:73], v[72:73], v[74:75]
	v_pk_fma_f32 v[74:75], v[112:113], v[96:97], v[84:85] op_sel_hi:[1,0,1]
	v_pk_mul_f32 v[80:81], v[142:143], v[80:81] op_sel_hi:[1,0]
	v_mov_b32_e32 v79, v83
	v_pk_fma_f32 v[82:83], v[112:113], v[96:97], v[84:85] neg_lo:[0,0,1] neg_hi:[0,0,1]
	v_pk_add_f32 v[72:73], v[72:73], v[76:77]
	v_mov_b32_e32 v83, v75
	v_pk_fma_f32 v[74:75], v[114:115], v[98:99], v[80:81] op_sel_hi:[1,0,1]
	s_wait_loadcnt 0x1
	v_pk_mul_f32 v[76:77], v[116:117], v[100:101] op_sel:[1,1] op_sel_hi:[0,1]
	v_mov_b32_e32 v74, v103
	v_pk_add_f32 v[72:73], v[72:73], v[78:79]
	v_pk_fma_f32 v[80:81], v[114:115], v[98:99], v[80:81] neg_lo:[0,0,1] neg_hi:[0,0,1]
	v_mov_b32_e32 v81, v75
	v_pk_fma_f32 v[78:79], v[116:117], v[100:101], v[76:77] op_sel_hi:[1,0,1]
	v_pk_mul_f32 v[74:75], v[144:145], v[74:75] op_sel_hi:[1,0]
	v_pk_add_f32 v[72:73], v[72:73], v[82:83]
	v_pk_fma_f32 v[76:77], v[116:117], v[100:101], v[76:77] neg_lo:[0,0,1] neg_hi:[0,0,1]
	s_delay_alu instid0(VALU_DEP_4) | instskip(NEXT) | instid1(VALU_DEP_4)
	v_mov_b32_e32 v77, v79
	v_pk_fma_f32 v[78:79], v[118:119], v[102:103], v[74:75] op_sel_hi:[1,0,1]
	s_delay_alu instid0(VALU_DEP_4) | instskip(SKIP_1) | instid1(VALU_DEP_3)
	v_pk_add_f32 v[72:73], v[72:73], v[80:81]
	v_pk_fma_f32 v[74:75], v[118:119], v[102:103], v[74:75] neg_lo:[0,0,1] neg_hi:[0,0,1]
	v_mov_b32_e32 v75, v79
	s_delay_alu instid0(VALU_DEP_3) | instskip(NEXT) | instid1(VALU_DEP_1)
	v_pk_add_f32 v[72:73], v[72:73], v[76:77]
	v_pk_add_f32 v[72:73], v[72:73], v[74:75]
	s_wait_loadcnt 0x0
	s_delay_alu instid0(VALU_DEP_1)
	v_pk_add_f32 v[72:73], v[136:137], v[72:73] neg_lo:[0,1] neg_hi:[0,1]
	scratch_store_b64 off, v[72:73], off offset:144
	s_wait_xcnt 0x0
	v_cmpx_lt_u32_e32 17, v0
	s_cbranch_execz .LBB34_189
; %bb.188:
	scratch_load_b64 v[72:73], off, off offset:136
	v_mov_b64_e32 v[74:75], 0
	scratch_store_b64 off, v[74:75], off offset:136
	s_wait_loadcnt 0x0
	ds_store_b64 v1, v[72:73]
.LBB34_189:
	s_wait_xcnt 0x0
	s_or_b32 exec_lo, exec_lo, s0
	s_wait_storecnt_dscnt 0x0
	s_barrier_signal -1
	s_barrier_wait -1
	s_clause 0x9
	scratch_load_b128 v[72:75], off, off offset:144
	scratch_load_b128 v[76:79], off, off offset:160
	;; [unrolled: 1-line block ×8, first 2 shown]
	scratch_load_b64 v[136:137], off, off offset:272
	scratch_load_b64 v[138:139], off, off offset:136
	v_mov_b32_e32 v3, 0
	ds_load_b128 v[104:107], v3 offset:496
	ds_load_b128 v[108:111], v3 offset:512
	;; [unrolled: 1-line block ×8, first 2 shown]
	ds_load_b64 v[140:141], v3 offset:560
	s_mov_b32 s0, exec_lo
	s_wait_dscnt 0x8
	v_dual_mov_b32 v142, v107 :: v_dual_mov_b32 v143, v106
	s_wait_dscnt 0x5
	v_dual_mov_b32 v144, v111 :: v_dual_mov_b32 v149, v118
	v_dual_mov_b32 v145, v110 :: v_dual_mov_b32 v146, v115
	;; [unrolled: 1-line block ×3, first 2 shown]
	s_wait_loadcnt_dscnt 0x904
	v_dual_mul_f32 v7, v120, v73 :: v_dual_mul_f32 v23, v121, v73
	v_dual_mul_f32 v25, v123, v75 :: v_dual_mul_f32 v11, v122, v75
	s_wait_loadcnt_dscnt 0x803
	v_mul_f32_e32 v13, v124, v77
	s_wait_loadcnt_dscnt 0x601
	v_dual_mul_f32 v35, v133, v85 :: v_dual_fma_f32 v23, v120, v72, -v23
	v_dual_fmac_f32 v7, v121, v72 :: v_dual_mul_f32 v37, v135, v87
	v_dual_mul_f32 v27, v125, v77 :: v_dual_mul_f32 v29, v127, v79
	v_dual_fmac_f32 v11, v123, v74 :: v_dual_fma_f32 v25, v122, v74, -v25
	s_wait_loadcnt 0x5
	s_delay_alu instid0(VALU_DEP_3) | instskip(SKIP_2) | instid1(VALU_DEP_3)
	v_dual_add_f32 v7, 0, v7 :: v_dual_mul_f32 v39, v105, v89
	v_dual_add_f32 v23, 0, v23 :: v_dual_fmac_f32 v13, v125, v76
	v_dual_mul_f32 v15, v126, v79 :: v_dual_mul_f32 v17, v128, v81
	v_dual_fma_f32 v27, v124, v76, -v27 :: v_dual_add_f32 v7, v7, v11
	s_delay_alu instid0(VALU_DEP_3) | instskip(SKIP_3) | instid1(VALU_DEP_3)
	v_dual_add_f32 v11, v23, v25 :: v_dual_fma_f32 v23, v126, v78, -v29
	v_dual_mul_f32 v19, v130, v83 :: v_dual_mul_f32 v21, v132, v85
	v_dual_mul_f32 v31, v129, v81 :: v_dual_mul_f32 v33, v131, v83
	v_dual_mov_b32 v72, v91 :: v_dual_fmac_f32 v17, v129, v80
	v_dual_fmac_f32 v15, v127, v78 :: v_dual_fmac_f32 v21, v133, v84
	s_delay_alu instid0(VALU_DEP_3) | instskip(SKIP_1) | instid1(VALU_DEP_4)
	v_dual_add_f32 v7, v7, v13 :: v_dual_fma_f32 v13, v128, v80, -v31
	v_add_f32_e32 v11, v11, v27
	v_pk_mul_f32 v[72:73], v[142:143], v[72:73] op_sel_hi:[1,0]
	v_dual_mul_f32 v151, v134, v87 :: v_dual_mul_f32 v153, v104, v89
	s_delay_alu instid0(VALU_DEP_4) | instskip(NEXT) | instid1(VALU_DEP_4)
	v_dual_add_f32 v7, v7, v15 :: v_dual_fma_f32 v15, v130, v82, -v33
	v_dual_add_f32 v11, v11, v23 :: v_dual_fma_f32 v150, v134, v86, -v37
	s_delay_alu instid0(VALU_DEP_3) | instskip(NEXT) | instid1(VALU_DEP_2)
	v_dual_fmac_f32 v19, v131, v82 :: v_dual_fmac_f32 v153, v105, v88
	v_dual_fma_f32 v152, v104, v88, -v39 :: v_dual_add_f32 v11, v11, v13
	s_delay_alu instid0(VALU_DEP_4)
	v_dual_fma_f32 v13, v132, v84, -v35 :: v_dual_add_f32 v7, v7, v17
	v_pk_fma_f32 v[84:85], v[106:107], v[90:91], v[72:73] op_sel_hi:[1,0,1]
	v_pk_fma_f32 v[72:73], v[106:107], v[90:91], v[72:73] neg_lo:[0,0,1] neg_hi:[0,0,1]
	v_fmac_f32_e32 v151, v135, v86
	s_wait_loadcnt 0x4
	v_pk_mul_f32 v[74:75], v[108:109], v[92:93] op_sel:[1,1] op_sel_hi:[0,1]
	v_dual_add_f32 v7, v7, v19 :: v_dual_mov_b32 v73, v85
	v_add_f32_e32 v11, v11, v15
	s_wait_loadcnt 0x3
	v_dual_mov_b32 v76, v95 :: v_dual_mov_b32 v82, v99
	s_delay_alu instid0(VALU_DEP_3) | instskip(SKIP_2) | instid1(VALU_DEP_4)
	v_add_f32_e32 v81, v7, v21
	v_pk_fma_f32 v[86:87], v[108:109], v[92:93], v[74:75] op_sel_hi:[1,0,1]
	v_add_f32_e32 v80, v11, v13
	v_pk_mul_f32 v[76:77], v[144:145], v[76:77] op_sel_hi:[1,0]
	v_pk_fma_f32 v[74:75], v[108:109], v[92:93], v[74:75] neg_lo:[0,0,1] neg_hi:[0,0,1]
	v_pk_mul_f32 v[78:79], v[112:113], v[96:97] op_sel:[1,1] op_sel_hi:[0,1]
	v_mov_b32_e32 v75, v87
	v_pk_add_f32 v[80:81], v[80:81], v[150:151]
	v_pk_fma_f32 v[86:87], v[110:111], v[94:95], v[76:77] op_sel_hi:[1,0,1]
	v_pk_fma_f32 v[76:77], v[110:111], v[94:95], v[76:77] neg_lo:[0,0,1] neg_hi:[0,0,1]
	v_pk_mul_f32 v[82:83], v[146:147], v[82:83] op_sel_hi:[1,0]
	s_wait_loadcnt 0x2
	v_pk_mul_f32 v[84:85], v[116:117], v[100:101] op_sel:[1,1] op_sel_hi:[0,1]
	v_pk_add_f32 v[80:81], v[80:81], v[152:153]
	v_mov_b32_e32 v77, v87
	s_delay_alu instid0(VALU_DEP_2) | instskip(SKIP_2) | instid1(VALU_DEP_3)
	v_pk_add_f32 v[72:73], v[80:81], v[72:73]
	v_pk_fma_f32 v[80:81], v[112:113], v[96:97], v[78:79] op_sel_hi:[1,0,1]
	v_pk_fma_f32 v[78:79], v[112:113], v[96:97], v[78:79] neg_lo:[0,0,1] neg_hi:[0,0,1]
	v_pk_add_f32 v[72:73], v[72:73], v[74:75]
	s_delay_alu instid0(VALU_DEP_3) | instskip(SKIP_2) | instid1(VALU_DEP_4)
	v_dual_mov_b32 v74, v103 :: v_dual_mov_b32 v79, v81
	v_pk_fma_f32 v[80:81], v[114:115], v[98:99], v[82:83] op_sel_hi:[1,0,1]
	v_pk_fma_f32 v[82:83], v[114:115], v[98:99], v[82:83] neg_lo:[0,0,1] neg_hi:[0,0,1]
	v_pk_add_f32 v[72:73], v[72:73], v[76:77]
	v_pk_fma_f32 v[76:77], v[116:117], v[100:101], v[84:85] op_sel_hi:[1,0,1]
	v_pk_mul_f32 v[74:75], v[148:149], v[74:75] op_sel_hi:[1,0]
	v_mov_b32_e32 v83, v81
	s_wait_loadcnt_dscnt 0x100
	v_pk_mul_f32 v[80:81], v[140:141], v[136:137] op_sel:[1,1] op_sel_hi:[0,1]
	v_pk_add_f32 v[72:73], v[72:73], v[78:79]
	v_pk_fma_f32 v[78:79], v[116:117], v[100:101], v[84:85] neg_lo:[0,0,1] neg_hi:[0,0,1]
	v_mov_b32_e32 v79, v77
	v_pk_fma_f32 v[76:77], v[118:119], v[102:103], v[74:75] op_sel_hi:[1,0,1]
	v_pk_fma_f32 v[74:75], v[118:119], v[102:103], v[74:75] neg_lo:[0,0,1] neg_hi:[0,0,1]
	v_pk_add_f32 v[72:73], v[72:73], v[82:83]
	s_delay_alu instid0(VALU_DEP_3) | instskip(SKIP_1) | instid1(VALU_DEP_3)
	v_mov_b32_e32 v75, v77
	v_pk_fma_f32 v[76:77], v[140:141], v[136:137], v[80:81] op_sel_hi:[1,0,1]
	v_pk_add_f32 v[72:73], v[72:73], v[78:79]
	v_pk_fma_f32 v[78:79], v[140:141], v[136:137], v[80:81] neg_lo:[0,0,1] neg_hi:[0,0,1]
	s_delay_alu instid0(VALU_DEP_3) | instskip(NEXT) | instid1(VALU_DEP_3)
	v_mov_b32_e32 v79, v77
	v_pk_add_f32 v[72:73], v[72:73], v[74:75]
	s_delay_alu instid0(VALU_DEP_1) | instskip(SKIP_1) | instid1(VALU_DEP_1)
	v_pk_add_f32 v[72:73], v[72:73], v[78:79]
	s_wait_loadcnt 0x0
	v_pk_add_f32 v[72:73], v[138:139], v[72:73] neg_lo:[0,1] neg_hi:[0,1]
	scratch_store_b64 off, v[72:73], off offset:136
	s_wait_xcnt 0x0
	v_cmpx_lt_u32_e32 16, v0
	s_cbranch_execz .LBB34_191
; %bb.190:
	scratch_load_b64 v[72:73], off, off offset:128
	v_mov_b64_e32 v[74:75], 0
	scratch_store_b64 off, v[74:75], off offset:128
	s_wait_loadcnt 0x0
	ds_store_b64 v1, v[72:73]
.LBB34_191:
	s_wait_xcnt 0x0
	s_or_b32 exec_lo, exec_lo, s0
	s_wait_storecnt_dscnt 0x0
	s_barrier_signal -1
	s_barrier_wait -1
	s_clause 0x9
	scratch_load_b128 v[72:75], off, off offset:136
	scratch_load_b128 v[76:79], off, off offset:152
	;; [unrolled: 1-line block ×9, first 2 shown]
	scratch_load_b64 v[144:145], off, off offset:128
	ds_load_2addr_b64 v[108:111], v3 offset0:63 offset1:64
	ds_load_2addr_b64 v[112:115], v3 offset0:65 offset1:66
	;; [unrolled: 1-line block ×9, first 2 shown]
	s_mov_b32 s0, exec_lo
	s_wait_dscnt 0x8
	v_dual_mov_b32 v146, v111 :: v_dual_mov_b32 v147, v110
	s_wait_dscnt 0x7
	v_dual_mov_b32 v148, v115 :: v_dual_mov_b32 v149, v114
	;; [unrolled: 2-line block ×4, first 2 shown]
	s_wait_loadcnt_dscnt 0x904
	v_dual_mul_f32 v3, v124, v73 :: v_dual_mul_f32 v7, v126, v75
	v_dual_mul_f32 v23, v125, v73 :: v_dual_mul_f32 v25, v127, v75
	s_wait_loadcnt_dscnt 0x803
	v_dual_mul_f32 v11, v128, v77 :: v_dual_mul_f32 v13, v130, v79
	s_delay_alu instid0(VALU_DEP_3)
	v_fmac_f32_e32 v3, v125, v72
	s_wait_loadcnt_dscnt 0x601
	v_dual_fma_f32 v23, v124, v72, -v23 :: v_dual_mul_f32 v35, v137, v85
	v_dual_mul_f32 v27, v129, v77 :: v_dual_mul_f32 v29, v131, v79
	v_dual_fma_f32 v25, v126, v74, -v25 :: v_dual_fmac_f32 v7, v127, v74
	v_add_f32_e32 v3, 0, v3
	s_delay_alu instid0(VALU_DEP_4) | instskip(NEXT) | instid1(VALU_DEP_4)
	v_dual_add_f32 v23, 0, v23 :: v_dual_fmac_f32 v11, v129, v76
	v_dual_mul_f32 v37, v139, v87 :: v_dual_fma_f32 v27, v128, v76, -v27
	s_delay_alu instid0(VALU_DEP_3) | instskip(NEXT) | instid1(VALU_DEP_3)
	v_add_f32_e32 v3, v3, v7
	v_dual_add_f32 v7, v23, v25 :: v_dual_fma_f32 v25, v130, v78, -v29
	v_dual_mul_f32 v15, v132, v81 :: v_dual_mul_f32 v17, v134, v83
	v_dual_mul_f32 v31, v133, v81 :: v_dual_mul_f32 v33, v135, v83
	s_wait_loadcnt_dscnt 0x500
	v_dual_mul_f32 v23, v141, v89 :: v_dual_fmac_f32 v13, v131, v78
	s_delay_alu instid0(VALU_DEP_3) | instskip(SKIP_2) | instid1(VALU_DEP_3)
	v_dual_fmac_f32 v15, v133, v80 :: v_dual_add_f32 v3, v3, v11
	v_dual_add_f32 v7, v7, v27 :: v_dual_mul_f32 v19, v136, v85
	v_dual_mul_f32 v21, v138, v87 :: v_dual_fma_f32 v27, v132, v80, -v31
	v_dual_add_f32 v3, v3, v13 :: v_dual_fma_f32 v13, v134, v82, -v33
	s_delay_alu instid0(VALU_DEP_3) | instskip(SKIP_2) | instid1(VALU_DEP_2)
	v_add_f32_e32 v7, v7, v25
	v_dual_mul_f32 v155, v140, v89 :: v_dual_mul_f32 v157, v142, v91
	v_dual_mul_f32 v11, v143, v91 :: v_dual_fmac_f32 v19, v137, v84
	v_dual_fmac_f32 v17, v135, v82 :: v_dual_fmac_f32 v155, v141, v88
	v_dual_add_f32 v3, v3, v15 :: v_dual_fma_f32 v154, v140, v88, -v23
	s_delay_alu instid0(VALU_DEP_3) | instskip(NEXT) | instid1(VALU_DEP_2)
	v_dual_add_f32 v7, v7, v27 :: v_dual_fma_f32 v156, v142, v90, -v11
	v_dual_fma_f32 v15, v136, v84, -v35 :: v_dual_add_f32 v3, v3, v17
	v_fmac_f32_e32 v21, v139, v86
	s_delay_alu instid0(VALU_DEP_3)
	v_dual_add_f32 v7, v7, v13 :: v_dual_fma_f32 v13, v138, v86, -v37
	s_wait_loadcnt 0x4
	v_pk_mul_f32 v[72:73], v[108:109], v[92:93] op_sel:[1,1] op_sel_hi:[0,1]
	v_add_f32_e32 v3, v3, v19
	s_wait_loadcnt 0x3
	v_dual_mov_b32 v74, v95 :: v_dual_mov_b32 v78, v99
	v_add_f32_e32 v7, v7, v15
	v_fmac_f32_e32 v157, v143, v90
	v_add_f32_e32 v81, v3, v21
	v_pk_fma_f32 v[82:83], v[108:109], v[92:93], v[72:73] op_sel_hi:[1,0,1]
	v_pk_mul_f32 v[74:75], v[146:147], v[74:75] op_sel_hi:[1,0]
	v_add_f32_e32 v80, v7, v13
	v_pk_fma_f32 v[72:73], v[108:109], v[92:93], v[72:73] neg_lo:[0,0,1] neg_hi:[0,0,1]
	v_pk_mul_f32 v[76:77], v[112:113], v[96:97] op_sel:[1,1] op_sel_hi:[0,1]
	v_mov_b32_e32 v73, v83
	v_pk_fma_f32 v[82:83], v[110:111], v[94:95], v[74:75] op_sel_hi:[1,0,1]
	v_pk_add_f32 v[80:81], v[80:81], v[154:155]
	v_pk_fma_f32 v[74:75], v[110:111], v[94:95], v[74:75] neg_lo:[0,0,1] neg_hi:[0,0,1]
	v_pk_fma_f32 v[86:87], v[112:113], v[96:97], v[76:77] op_sel_hi:[1,0,1]
	v_pk_mul_f32 v[78:79], v[148:149], v[78:79] op_sel_hi:[1,0]
	v_mov_b32_e32 v75, v83
	v_pk_add_f32 v[80:81], v[80:81], v[156:157]
	s_wait_loadcnt 0x2
	v_pk_mul_f32 v[84:85], v[116:117], v[100:101] op_sel:[1,1] op_sel_hi:[0,1]
	v_pk_fma_f32 v[76:77], v[112:113], v[96:97], v[76:77] neg_lo:[0,0,1] neg_hi:[0,0,1]
	v_mov_b32_e32 v77, v87
	v_pk_fma_f32 v[82:83], v[114:115], v[98:99], v[78:79] op_sel_hi:[1,0,1]
	v_pk_add_f32 v[72:73], v[80:81], v[72:73]
	v_mov_b32_e32 v80, v103
	v_pk_fma_f32 v[78:79], v[114:115], v[98:99], v[78:79] neg_lo:[0,0,1] neg_hi:[0,0,1]
	s_delay_alu instid0(VALU_DEP_3) | instskip(SKIP_1) | instid1(VALU_DEP_4)
	v_pk_add_f32 v[72:73], v[72:73], v[74:75]
	v_pk_fma_f32 v[74:75], v[116:117], v[100:101], v[84:85] op_sel_hi:[1,0,1]
	v_pk_mul_f32 v[80:81], v[150:151], v[80:81] op_sel_hi:[1,0]
	v_mov_b32_e32 v79, v83
	v_pk_fma_f32 v[82:83], v[116:117], v[100:101], v[84:85] neg_lo:[0,0,1] neg_hi:[0,0,1]
	v_pk_add_f32 v[72:73], v[72:73], v[76:77]
	v_mov_b32_e32 v83, v75
	v_pk_fma_f32 v[74:75], v[118:119], v[102:103], v[80:81] op_sel_hi:[1,0,1]
	s_wait_loadcnt 0x1
	v_pk_mul_f32 v[76:77], v[120:121], v[104:105] op_sel:[1,1] op_sel_hi:[0,1]
	v_mov_b32_e32 v74, v107
	v_pk_add_f32 v[72:73], v[72:73], v[78:79]
	v_pk_fma_f32 v[80:81], v[118:119], v[102:103], v[80:81] neg_lo:[0,0,1] neg_hi:[0,0,1]
	v_mov_b32_e32 v81, v75
	v_pk_fma_f32 v[78:79], v[120:121], v[104:105], v[76:77] op_sel_hi:[1,0,1]
	v_pk_mul_f32 v[74:75], v[152:153], v[74:75] op_sel_hi:[1,0]
	v_pk_add_f32 v[72:73], v[72:73], v[82:83]
	v_pk_fma_f32 v[76:77], v[120:121], v[104:105], v[76:77] neg_lo:[0,0,1] neg_hi:[0,0,1]
	s_delay_alu instid0(VALU_DEP_4) | instskip(NEXT) | instid1(VALU_DEP_4)
	v_mov_b32_e32 v77, v79
	v_pk_fma_f32 v[78:79], v[122:123], v[106:107], v[74:75] op_sel_hi:[1,0,1]
	s_delay_alu instid0(VALU_DEP_4) | instskip(SKIP_1) | instid1(VALU_DEP_3)
	v_pk_add_f32 v[72:73], v[72:73], v[80:81]
	v_pk_fma_f32 v[74:75], v[122:123], v[106:107], v[74:75] neg_lo:[0,0,1] neg_hi:[0,0,1]
	v_mov_b32_e32 v75, v79
	s_delay_alu instid0(VALU_DEP_3) | instskip(NEXT) | instid1(VALU_DEP_1)
	v_pk_add_f32 v[72:73], v[72:73], v[76:77]
	v_pk_add_f32 v[72:73], v[72:73], v[74:75]
	s_wait_loadcnt 0x0
	s_delay_alu instid0(VALU_DEP_1)
	v_pk_add_f32 v[72:73], v[144:145], v[72:73] neg_lo:[0,1] neg_hi:[0,1]
	scratch_store_b64 off, v[72:73], off offset:128
	s_wait_xcnt 0x0
	v_cmpx_lt_u32_e32 15, v0
	s_cbranch_execz .LBB34_193
; %bb.192:
	scratch_load_b64 v[72:73], off, off offset:120
	v_mov_b64_e32 v[74:75], 0
	scratch_store_b64 off, v[74:75], off offset:120
	s_wait_loadcnt 0x0
	ds_store_b64 v1, v[72:73]
.LBB34_193:
	s_wait_xcnt 0x0
	s_or_b32 exec_lo, exec_lo, s0
	s_wait_storecnt_dscnt 0x0
	s_barrier_signal -1
	s_barrier_wait -1
	s_clause 0xa
	scratch_load_b128 v[72:75], off, off offset:128
	scratch_load_b128 v[76:79], off, off offset:144
	;; [unrolled: 1-line block ×9, first 2 shown]
	scratch_load_b64 v[144:145], off, off offset:272
	scratch_load_b64 v[146:147], off, off offset:120
	v_mov_b32_e32 v3, 0
	ds_load_b128 v[108:111], v3 offset:496
	ds_load_b128 v[112:115], v3 offset:512
	;; [unrolled: 1-line block ×9, first 2 shown]
	ds_load_b64 v[148:149], v3 offset:560
	s_mov_b32 s0, exec_lo
	s_wait_dscnt 0x9
	v_dual_mov_b32 v150, v111 :: v_dual_mov_b32 v151, v110
	s_wait_dscnt 0x6
	v_dual_mov_b32 v152, v115 :: v_dual_mov_b32 v157, v122
	v_dual_mov_b32 v153, v114 :: v_dual_mov_b32 v154, v119
	;; [unrolled: 1-line block ×3, first 2 shown]
	s_wait_loadcnt_dscnt 0xa05
	v_dual_mul_f32 v7, v124, v73 :: v_dual_mul_f32 v27, v125, v73
	v_dual_mul_f32 v29, v127, v75 :: v_dual_mul_f32 v11, v126, v75
	s_wait_loadcnt_dscnt 0x904
	v_mul_f32_e32 v13, v128, v77
	s_wait_loadcnt_dscnt 0x702
	v_dual_mul_f32 v39, v137, v85 :: v_dual_fma_f32 v27, v124, v72, -v27
	v_dual_fmac_f32 v7, v125, v72 :: v_dual_mul_f32 v41, v139, v87
	v_dual_mul_f32 v31, v129, v77 :: v_dual_mul_f32 v33, v131, v79
	v_dual_fmac_f32 v11, v127, v74 :: v_dual_fma_f32 v29, v126, v74, -v29
	s_wait_loadcnt_dscnt 0x601
	s_delay_alu instid0(VALU_DEP_3) | instskip(SKIP_2) | instid1(VALU_DEP_3)
	v_dual_add_f32 v7, 0, v7 :: v_dual_mul_f32 v43, v141, v89
	v_dual_add_f32 v27, 0, v27 :: v_dual_fmac_f32 v13, v129, v76
	v_dual_mul_f32 v15, v130, v79 :: v_dual_mul_f32 v17, v132, v81
	v_dual_fma_f32 v31, v128, v76, -v31 :: v_dual_add_f32 v7, v7, v11
	s_delay_alu instid0(VALU_DEP_3) | instskip(SKIP_1) | instid1(VALU_DEP_4)
	v_dual_add_f32 v11, v27, v29 :: v_dual_fma_f32 v29, v130, v78, -v33
	v_dual_mul_f32 v35, v133, v81 :: v_dual_mul_f32 v37, v135, v83
	v_dual_fmac_f32 v15, v131, v78 :: v_dual_fmac_f32 v17, v133, v80
	s_delay_alu instid0(VALU_DEP_4) | instskip(NEXT) | instid1(VALU_DEP_4)
	v_add_f32_e32 v7, v7, v13
	v_add_f32_e32 v11, v11, v31
	v_dual_mul_f32 v19, v134, v83 :: v_dual_mul_f32 v21, v136, v85
	s_delay_alu instid0(VALU_DEP_3) | instskip(NEXT) | instid1(VALU_DEP_3)
	v_dual_fma_f32 v31, v132, v80, -v35 :: v_dual_add_f32 v7, v7, v15
	v_dual_fma_f32 v15, v134, v82, -v37 :: v_dual_add_f32 v11, v11, v29
	v_dual_mul_f32 v23, v138, v87 :: v_dual_mul_f32 v25, v140, v89
	s_wait_loadcnt 0x4
	v_dual_mov_b32 v72, v95 :: v_dual_mov_b32 v76, v99
	v_dual_fmac_f32 v19, v135, v82 :: v_dual_fmac_f32 v21, v137, v84
	v_dual_add_f32 v7, v7, v17 :: v_dual_fma_f32 v17, v136, v84, -v39
	v_add_f32_e32 v11, v11, v31
	v_dual_mul_f32 v159, v142, v91 :: v_dual_mul_f32 v161, v108, v93
	v_dual_mul_f32 v27, v143, v91 :: v_dual_mul_f32 v13, v109, v93
	s_delay_alu instid0(VALU_DEP_3) | instskip(SKIP_1) | instid1(VALU_DEP_3)
	v_dual_add_f32 v11, v11, v15 :: v_dual_fma_f32 v15, v138, v86, -v41
	v_dual_fmac_f32 v25, v141, v88 :: v_dual_add_f32 v7, v7, v19
	v_fma_f32 v158, v142, v90, -v27
	v_pk_mul_f32 v[72:73], v[150:151], v[72:73] op_sel_hi:[1,0]
	v_dual_fmac_f32 v23, v139, v86 :: v_dual_fma_f32 v160, v108, v92, -v13
	v_dual_fmac_f32 v161, v109, v92 :: v_dual_add_f32 v11, v11, v17
	s_delay_alu instid0(VALU_DEP_3) | instskip(SKIP_2) | instid1(VALU_DEP_4)
	v_pk_fma_f32 v[84:85], v[110:111], v[94:95], v[72:73] op_sel_hi:[1,0,1]
	v_add_f32_e32 v7, v7, v21
	v_pk_fma_f32 v[72:73], v[110:111], v[94:95], v[72:73] neg_lo:[0,0,1] neg_hi:[0,0,1]
	v_dual_fma_f32 v17, v140, v88, -v43 :: v_dual_add_f32 v11, v11, v15
	s_delay_alu instid0(VALU_DEP_3) | instskip(SKIP_2) | instid1(VALU_DEP_4)
	v_dual_mov_b32 v73, v85 :: v_dual_add_f32 v7, v7, v23
	v_fmac_f32_e32 v159, v143, v90
	v_pk_mul_f32 v[74:75], v[112:113], v[96:97] op_sel:[1,1] op_sel_hi:[0,1]
	v_add_f32_e32 v80, v11, v17
	v_pk_mul_f32 v[76:77], v[152:153], v[76:77] op_sel_hi:[1,0]
	v_add_f32_e32 v81, v7, v25
	s_wait_loadcnt 0x3
	v_pk_mul_f32 v[78:79], v[116:117], v[100:101] op_sel:[1,1] op_sel_hi:[0,1]
	v_pk_fma_f32 v[86:87], v[112:113], v[96:97], v[74:75] op_sel_hi:[1,0,1]
	v_pk_fma_f32 v[74:75], v[112:113], v[96:97], v[74:75] neg_lo:[0,0,1] neg_hi:[0,0,1]
	v_mov_b32_e32 v82, v103
	v_pk_add_f32 v[80:81], v[80:81], v[158:159]
	s_wait_loadcnt 0x2
	v_pk_mul_f32 v[84:85], v[120:121], v[104:105] op_sel:[1,1] op_sel_hi:[0,1]
	v_mov_b32_e32 v75, v87
	v_pk_fma_f32 v[86:87], v[114:115], v[98:99], v[76:77] op_sel_hi:[1,0,1]
	v_pk_fma_f32 v[76:77], v[114:115], v[98:99], v[76:77] neg_lo:[0,0,1] neg_hi:[0,0,1]
	v_pk_add_f32 v[80:81], v[80:81], v[160:161]
	v_pk_mul_f32 v[82:83], v[154:155], v[82:83] op_sel_hi:[1,0]
	s_delay_alu instid0(VALU_DEP_4) | instskip(NEXT) | instid1(VALU_DEP_3)
	v_mov_b32_e32 v77, v87
	v_pk_add_f32 v[72:73], v[80:81], v[72:73]
	v_pk_fma_f32 v[80:81], v[116:117], v[100:101], v[78:79] op_sel_hi:[1,0,1]
	v_pk_fma_f32 v[78:79], v[116:117], v[100:101], v[78:79] neg_lo:[0,0,1] neg_hi:[0,0,1]
	s_delay_alu instid0(VALU_DEP_3) | instskip(NEXT) | instid1(VALU_DEP_3)
	v_pk_add_f32 v[72:73], v[72:73], v[74:75]
	v_dual_mov_b32 v74, v107 :: v_dual_mov_b32 v79, v81
	v_pk_fma_f32 v[80:81], v[118:119], v[102:103], v[82:83] op_sel_hi:[1,0,1]
	v_pk_fma_f32 v[82:83], v[118:119], v[102:103], v[82:83] neg_lo:[0,0,1] neg_hi:[0,0,1]
	s_delay_alu instid0(VALU_DEP_4)
	v_pk_add_f32 v[72:73], v[72:73], v[76:77]
	v_pk_fma_f32 v[76:77], v[120:121], v[104:105], v[84:85] op_sel_hi:[1,0,1]
	v_pk_mul_f32 v[74:75], v[156:157], v[74:75] op_sel_hi:[1,0]
	v_mov_b32_e32 v83, v81
	s_wait_loadcnt_dscnt 0x100
	v_pk_mul_f32 v[80:81], v[148:149], v[144:145] op_sel:[1,1] op_sel_hi:[0,1]
	v_pk_add_f32 v[72:73], v[72:73], v[78:79]
	v_pk_fma_f32 v[78:79], v[120:121], v[104:105], v[84:85] neg_lo:[0,0,1] neg_hi:[0,0,1]
	v_mov_b32_e32 v79, v77
	v_pk_fma_f32 v[76:77], v[122:123], v[106:107], v[74:75] op_sel_hi:[1,0,1]
	v_pk_fma_f32 v[74:75], v[122:123], v[106:107], v[74:75] neg_lo:[0,0,1] neg_hi:[0,0,1]
	v_pk_add_f32 v[72:73], v[72:73], v[82:83]
	s_delay_alu instid0(VALU_DEP_3) | instskip(SKIP_1) | instid1(VALU_DEP_3)
	v_mov_b32_e32 v75, v77
	v_pk_fma_f32 v[76:77], v[148:149], v[144:145], v[80:81] op_sel_hi:[1,0,1]
	v_pk_add_f32 v[72:73], v[72:73], v[78:79]
	v_pk_fma_f32 v[78:79], v[148:149], v[144:145], v[80:81] neg_lo:[0,0,1] neg_hi:[0,0,1]
	s_delay_alu instid0(VALU_DEP_3) | instskip(NEXT) | instid1(VALU_DEP_3)
	v_mov_b32_e32 v79, v77
	v_pk_add_f32 v[72:73], v[72:73], v[74:75]
	s_delay_alu instid0(VALU_DEP_1) | instskip(SKIP_1) | instid1(VALU_DEP_1)
	v_pk_add_f32 v[72:73], v[72:73], v[78:79]
	s_wait_loadcnt 0x0
	v_pk_add_f32 v[72:73], v[146:147], v[72:73] neg_lo:[0,1] neg_hi:[0,1]
	scratch_store_b64 off, v[72:73], off offset:120
	s_wait_xcnt 0x0
	v_cmpx_lt_u32_e32 14, v0
	s_cbranch_execz .LBB34_195
; %bb.194:
	scratch_load_b64 v[72:73], off, off offset:112
	v_mov_b64_e32 v[74:75], 0
	scratch_store_b64 off, v[74:75], off offset:112
	s_wait_loadcnt 0x0
	ds_store_b64 v1, v[72:73]
.LBB34_195:
	s_wait_xcnt 0x0
	s_or_b32 exec_lo, exec_lo, s0
	s_wait_storecnt_dscnt 0x0
	s_barrier_signal -1
	s_barrier_wait -1
	s_clause 0xa
	scratch_load_b128 v[72:75], off, off offset:120
	scratch_load_b128 v[76:79], off, off offset:136
	;; [unrolled: 1-line block ×10, first 2 shown]
	scratch_load_b64 v[152:153], off, off offset:112
	ds_load_2addr_b64 v[112:115], v3 offset0:63 offset1:64
	ds_load_2addr_b64 v[116:119], v3 offset0:65 offset1:66
	;; [unrolled: 1-line block ×10, first 2 shown]
	s_mov_b32 s0, exec_lo
	s_wait_dscnt 0x9
	v_dual_mov_b32 v154, v115 :: v_dual_mov_b32 v155, v114
	s_wait_dscnt 0x8
	v_dual_mov_b32 v156, v119 :: v_dual_mov_b32 v157, v118
	;; [unrolled: 2-line block ×4, first 2 shown]
	s_wait_loadcnt_dscnt 0xa05
	v_dual_mul_f32 v3, v128, v73 :: v_dual_mul_f32 v7, v130, v75
	v_dual_mul_f32 v27, v129, v73 :: v_dual_mul_f32 v29, v131, v75
	s_wait_loadcnt_dscnt 0x904
	v_dual_mul_f32 v11, v132, v77 :: v_dual_mul_f32 v13, v134, v79
	s_delay_alu instid0(VALU_DEP_3) | instskip(SKIP_3) | instid1(VALU_DEP_3)
	v_fmac_f32_e32 v3, v129, v72
	s_wait_loadcnt_dscnt 0x702
	v_dual_fma_f32 v27, v128, v72, -v27 :: v_dual_mul_f32 v39, v141, v85
	v_dual_fma_f32 v29, v130, v74, -v29 :: v_dual_fmac_f32 v7, v131, v74
	v_dual_add_f32 v3, 0, v3 :: v_dual_mul_f32 v31, v133, v77
	v_mul_f32_e32 v33, v135, v79
	s_delay_alu instid0(VALU_DEP_4) | instskip(NEXT) | instid1(VALU_DEP_3)
	v_dual_add_f32 v27, 0, v27 :: v_dual_fmac_f32 v11, v133, v76
	v_dual_add_f32 v3, v3, v7 :: v_dual_mul_f32 v15, v136, v81
	v_dual_mul_f32 v17, v138, v83 :: v_dual_mul_f32 v35, v137, v81
	v_mul_f32_e32 v37, v139, v83
	v_dual_mul_f32 v41, v143, v87 :: v_dual_fma_f32 v31, v132, v76, -v31
	v_dual_add_f32 v7, v27, v29 :: v_dual_fma_f32 v29, v134, v78, -v33
	s_wait_loadcnt_dscnt 0x601
	v_dual_mul_f32 v27, v145, v89 :: v_dual_fmac_f32 v13, v135, v78
	v_dual_fmac_f32 v15, v137, v80 :: v_dual_add_f32 v3, v3, v11
	v_dual_mul_f32 v19, v140, v85 :: v_dual_mul_f32 v21, v142, v87
	v_dual_add_f32 v7, v7, v31 :: v_dual_fma_f32 v31, v136, v80, -v35
	s_delay_alu instid0(VALU_DEP_2) | instskip(SKIP_4) | instid1(VALU_DEP_3)
	v_dual_add_f32 v3, v3, v13 :: v_dual_fmac_f32 v19, v141, v84
	v_dual_mul_f32 v23, v144, v89 :: v_dual_mul_f32 v25, v146, v91
	s_wait_loadcnt_dscnt 0x500
	v_mul_f32_e32 v13, v149, v93
	v_add_f32_e32 v7, v7, v29
	v_dual_fmac_f32 v17, v139, v82 :: v_dual_fmac_f32 v23, v145, v88
	v_dual_add_f32 v3, v3, v15 :: v_dual_mul_f32 v163, v148, v93
	v_mul_f32_e32 v165, v150, v95
	v_dual_mul_f32 v11, v147, v91 :: v_dual_fma_f32 v29, v138, v82, -v37
	v_add_f32_e32 v7, v7, v31
	s_delay_alu instid0(VALU_DEP_4) | instskip(NEXT) | instid1(VALU_DEP_3)
	v_dual_add_f32 v3, v3, v17 :: v_dual_fmac_f32 v163, v149, v92
	v_dual_mul_f32 v15, v151, v95 :: v_dual_fma_f32 v11, v146, v90, -v11
	s_delay_alu instid0(VALU_DEP_2) | instskip(NEXT) | instid1(VALU_DEP_4)
	v_dual_fma_f32 v31, v140, v84, -v39 :: v_dual_add_f32 v3, v3, v19
	v_dual_fma_f32 v19, v144, v88, -v27 :: v_dual_add_f32 v7, v7, v29
	v_fma_f32 v162, v148, v92, -v13
	v_fmac_f32_e32 v21, v143, v86
	v_fma_f32 v17, v142, v86, -v41
	s_delay_alu instid0(VALU_DEP_4) | instskip(SKIP_1) | instid1(VALU_DEP_4)
	v_dual_fma_f32 v164, v150, v94, -v15 :: v_dual_add_f32 v7, v7, v31
	v_fmac_f32_e32 v25, v147, v90
	v_add_f32_e32 v3, v3, v21
	s_wait_loadcnt 0x4
	v_pk_mul_f32 v[72:73], v[112:113], v[96:97] op_sel:[1,1] op_sel_hi:[0,1]
	s_wait_loadcnt 0x3
	v_dual_mov_b32 v74, v99 :: v_dual_mov_b32 v78, v103
	v_add_f32_e32 v7, v7, v17
	v_add_f32_e32 v3, v3, v23
	v_fmac_f32_e32 v165, v151, v94
	v_pk_fma_f32 v[82:83], v[112:113], v[96:97], v[72:73] op_sel_hi:[1,0,1]
	v_pk_mul_f32 v[74:75], v[154:155], v[74:75] op_sel_hi:[1,0]
	v_add_f32_e32 v7, v7, v19
	v_add_f32_e32 v81, v3, v25
	v_pk_fma_f32 v[72:73], v[112:113], v[96:97], v[72:73] neg_lo:[0,0,1] neg_hi:[0,0,1]
	v_pk_mul_f32 v[76:77], v[116:117], v[100:101] op_sel:[1,1] op_sel_hi:[0,1]
	v_mov_b32_e32 v73, v83
	v_add_f32_e32 v80, v7, v11
	v_pk_fma_f32 v[82:83], v[114:115], v[98:99], v[74:75] op_sel_hi:[1,0,1]
	v_pk_fma_f32 v[74:75], v[114:115], v[98:99], v[74:75] neg_lo:[0,0,1] neg_hi:[0,0,1]
	v_pk_fma_f32 v[86:87], v[116:117], v[100:101], v[76:77] op_sel_hi:[1,0,1]
	v_pk_mul_f32 v[78:79], v[156:157], v[78:79] op_sel_hi:[1,0]
	v_pk_add_f32 v[80:81], v[80:81], v[162:163]
	v_mov_b32_e32 v75, v83
	s_wait_loadcnt 0x2
	v_pk_mul_f32 v[84:85], v[120:121], v[104:105] op_sel:[1,1] op_sel_hi:[0,1]
	v_pk_fma_f32 v[76:77], v[116:117], v[100:101], v[76:77] neg_lo:[0,0,1] neg_hi:[0,0,1]
	v_mov_b32_e32 v77, v87
	v_pk_add_f32 v[80:81], v[80:81], v[164:165]
	v_pk_fma_f32 v[82:83], v[118:119], v[102:103], v[78:79] op_sel_hi:[1,0,1]
	v_pk_fma_f32 v[78:79], v[118:119], v[102:103], v[78:79] neg_lo:[0,0,1] neg_hi:[0,0,1]
	s_delay_alu instid0(VALU_DEP_3) | instskip(SKIP_1) | instid1(VALU_DEP_2)
	v_pk_add_f32 v[72:73], v[80:81], v[72:73]
	v_mov_b32_e32 v80, v107
	v_pk_add_f32 v[72:73], v[72:73], v[74:75]
	v_pk_fma_f32 v[74:75], v[120:121], v[104:105], v[84:85] op_sel_hi:[1,0,1]
	s_delay_alu instid0(VALU_DEP_3)
	v_pk_mul_f32 v[80:81], v[158:159], v[80:81] op_sel_hi:[1,0]
	v_mov_b32_e32 v79, v83
	v_pk_fma_f32 v[82:83], v[120:121], v[104:105], v[84:85] neg_lo:[0,0,1] neg_hi:[0,0,1]
	v_pk_add_f32 v[72:73], v[72:73], v[76:77]
	v_mov_b32_e32 v83, v75
	v_pk_fma_f32 v[74:75], v[122:123], v[106:107], v[80:81] op_sel_hi:[1,0,1]
	s_wait_loadcnt 0x1
	v_pk_mul_f32 v[76:77], v[124:125], v[108:109] op_sel:[1,1] op_sel_hi:[0,1]
	v_mov_b32_e32 v74, v111
	v_pk_add_f32 v[72:73], v[72:73], v[78:79]
	v_pk_fma_f32 v[80:81], v[122:123], v[106:107], v[80:81] neg_lo:[0,0,1] neg_hi:[0,0,1]
	v_mov_b32_e32 v81, v75
	v_pk_fma_f32 v[78:79], v[124:125], v[108:109], v[76:77] op_sel_hi:[1,0,1]
	v_pk_mul_f32 v[74:75], v[160:161], v[74:75] op_sel_hi:[1,0]
	v_pk_add_f32 v[72:73], v[72:73], v[82:83]
	v_pk_fma_f32 v[76:77], v[124:125], v[108:109], v[76:77] neg_lo:[0,0,1] neg_hi:[0,0,1]
	s_delay_alu instid0(VALU_DEP_4) | instskip(NEXT) | instid1(VALU_DEP_4)
	v_mov_b32_e32 v77, v79
	v_pk_fma_f32 v[78:79], v[126:127], v[110:111], v[74:75] op_sel_hi:[1,0,1]
	s_delay_alu instid0(VALU_DEP_4) | instskip(SKIP_1) | instid1(VALU_DEP_3)
	v_pk_add_f32 v[72:73], v[72:73], v[80:81]
	v_pk_fma_f32 v[74:75], v[126:127], v[110:111], v[74:75] neg_lo:[0,0,1] neg_hi:[0,0,1]
	v_mov_b32_e32 v75, v79
	s_delay_alu instid0(VALU_DEP_3) | instskip(NEXT) | instid1(VALU_DEP_1)
	v_pk_add_f32 v[72:73], v[72:73], v[76:77]
	v_pk_add_f32 v[72:73], v[72:73], v[74:75]
	s_wait_loadcnt 0x0
	s_delay_alu instid0(VALU_DEP_1)
	v_pk_add_f32 v[72:73], v[152:153], v[72:73] neg_lo:[0,1] neg_hi:[0,1]
	scratch_store_b64 off, v[72:73], off offset:112
	s_wait_xcnt 0x0
	v_cmpx_lt_u32_e32 13, v0
	s_cbranch_execz .LBB34_197
; %bb.196:
	scratch_load_b64 v[72:73], off, off offset:104
	v_mov_b64_e32 v[74:75], 0
	scratch_store_b64 off, v[74:75], off offset:104
	s_wait_loadcnt 0x0
	ds_store_b64 v1, v[72:73]
.LBB34_197:
	s_wait_xcnt 0x0
	s_or_b32 exec_lo, exec_lo, s0
	s_wait_storecnt_dscnt 0x0
	s_barrier_signal -1
	s_barrier_wait -1
	s_clause 0xb
	scratch_load_b128 v[72:75], off, off offset:112
	scratch_load_b128 v[76:79], off, off offset:128
	;; [unrolled: 1-line block ×10, first 2 shown]
	scratch_load_b64 v[152:153], off, off offset:272
	scratch_load_b64 v[154:155], off, off offset:104
	v_mov_b32_e32 v3, 0
	ds_load_b128 v[112:115], v3 offset:496
	ds_load_b128 v[116:119], v3 offset:512
	ds_load_b128 v[120:123], v3 offset:528
	ds_load_b128 v[124:127], v3 offset:544
	ds_load_b128 v[128:131], v3 offset:400
	ds_load_b128 v[132:135], v3 offset:416
	ds_load_b128 v[136:139], v3 offset:432
	ds_load_b128 v[140:143], v3 offset:448
	ds_load_b128 v[144:147], v3 offset:464
	ds_load_b128 v[148:151], v3 offset:480
	ds_load_b64 v[156:157], v3 offset:560
	s_mov_b32 s0, exec_lo
	s_wait_dscnt 0xa
	v_dual_mov_b32 v158, v115 :: v_dual_mov_b32 v159, v114
	s_wait_dscnt 0x7
	v_dual_mov_b32 v160, v119 :: v_dual_mov_b32 v165, v126
	v_dual_mov_b32 v161, v118 :: v_dual_mov_b32 v162, v123
	;; [unrolled: 1-line block ×3, first 2 shown]
	s_wait_loadcnt_dscnt 0xb06
	v_dual_mul_f32 v7, v128, v73 :: v_dual_mul_f32 v11, v130, v75
	s_wait_loadcnt_dscnt 0xa05
	v_mul_f32_e32 v13, v132, v77
	v_dual_mul_f32 v31, v129, v73 :: v_dual_mul_f32 v33, v131, v75
	s_wait_loadcnt_dscnt 0x803
	v_dual_fmac_f32 v7, v129, v72 :: v_dual_mul_f32 v45, v143, v87
	v_dual_mul_f32 v35, v133, v77 :: v_dual_mul_f32 v37, v135, v79
	s_delay_alu instid0(VALU_DEP_3)
	v_dual_mul_f32 v43, v141, v85 :: v_dual_fma_f32 v31, v128, v72, -v31
	v_dual_fmac_f32 v11, v131, v74 :: v_dual_fma_f32 v33, v130, v74, -v33
	s_wait_loadcnt_dscnt 0x702
	v_dual_add_f32 v7, 0, v7 :: v_dual_mul_f32 v47, v145, v89
	v_dual_mul_f32 v15, v134, v79 :: v_dual_mul_f32 v17, v136, v81
	v_dual_add_f32 v31, 0, v31 :: v_dual_fmac_f32 v13, v133, v76
	s_delay_alu instid0(VALU_DEP_3) | instskip(SKIP_1) | instid1(VALU_DEP_3)
	v_dual_fma_f32 v35, v132, v76, -v35 :: v_dual_add_f32 v7, v7, v11
	v_dual_mul_f32 v39, v137, v81 :: v_dual_mul_f32 v41, v139, v83
	v_dual_add_f32 v11, v31, v33 :: v_dual_fma_f32 v33, v134, v78, -v37
	v_dual_fmac_f32 v15, v135, v78 :: v_dual_fmac_f32 v17, v137, v80
	s_delay_alu instid0(VALU_DEP_4) | instskip(NEXT) | instid1(VALU_DEP_3)
	v_dual_add_f32 v7, v7, v13 :: v_dual_mul_f32 v19, v138, v83
	v_dual_mul_f32 v21, v140, v85 :: v_dual_add_f32 v11, v11, v35
	s_delay_alu instid0(VALU_DEP_2) | instskip(SKIP_1) | instid1(VALU_DEP_3)
	v_dual_fma_f32 v35, v136, v80, -v39 :: v_dual_add_f32 v7, v7, v15
	v_dual_mul_f32 v23, v142, v87 :: v_dual_mul_f32 v25, v144, v89
	v_dual_add_f32 v11, v11, v33 :: v_dual_fmac_f32 v21, v141, v84
	v_fmac_f32_e32 v19, v139, v82
	s_delay_alu instid0(VALU_DEP_4) | instskip(SKIP_3) | instid1(VALU_DEP_3)
	v_add_f32_e32 v7, v7, v17
	s_wait_loadcnt_dscnt 0x601
	v_dual_mul_f32 v31, v147, v91 :: v_dual_mul_f32 v13, v149, v93
	v_dual_fma_f32 v33, v138, v82, -v41 :: v_dual_add_f32 v11, v11, v35
	v_dual_fmac_f32 v25, v145, v88 :: v_dual_add_f32 v7, v7, v19
	v_dual_mul_f32 v27, v146, v91 :: v_dual_mul_f32 v29, v148, v93
	v_dual_mul_f32 v15, v151, v95 :: v_dual_fma_f32 v35, v140, v84, -v43
	s_wait_loadcnt 0x4
	v_dual_mov_b32 v72, v99 :: v_dual_mov_b32 v76, v103
	s_delay_alu instid0(VALU_DEP_2) | instskip(SKIP_4) | instid1(VALU_DEP_4)
	v_dual_add_f32 v7, v7, v21 :: v_dual_fma_f32 v166, v150, v94, -v15
	v_dual_fma_f32 v21, v144, v88, -v47 :: v_dual_add_f32 v11, v11, v33
	v_dual_fmac_f32 v29, v149, v92 :: v_dual_mul_f32 v167, v150, v95
	v_dual_mul_f32 v169, v112, v97 :: v_dual_fmac_f32 v23, v143, v86
	v_fma_f32 v13, v148, v92, -v13
	v_dual_fma_f32 v19, v142, v86, -v45 :: v_dual_add_f32 v11, v11, v35
	s_delay_alu instid0(VALU_DEP_3) | instskip(SKIP_4) | instid1(VALU_DEP_4)
	v_fmac_f32_e32 v169, v113, v96
	v_pk_mul_f32 v[72:73], v[158:159], v[72:73] op_sel_hi:[1,0]
	v_dual_mul_f32 v17, v113, v97 :: v_dual_add_f32 v7, v7, v23
	v_fmac_f32_e32 v27, v147, v90
	v_fmac_f32_e32 v167, v151, v94
	v_pk_fma_f32 v[84:85], v[114:115], v[98:99], v[72:73] op_sel_hi:[1,0,1]
	v_add_f32_e32 v11, v11, v19
	v_pk_fma_f32 v[72:73], v[114:115], v[98:99], v[72:73] neg_lo:[0,0,1] neg_hi:[0,0,1]
	v_dual_fma_f32 v19, v146, v90, -v31 :: v_dual_fma_f32 v168, v112, v96, -v17
	s_delay_alu instid0(VALU_DEP_4) | instskip(NEXT) | instid1(VALU_DEP_4)
	v_dual_add_f32 v7, v7, v25 :: v_dual_mov_b32 v73, v85
	v_add_f32_e32 v11, v11, v21
	v_pk_mul_f32 v[74:75], v[116:117], v[100:101] op_sel:[1,1] op_sel_hi:[0,1]
	v_pk_mul_f32 v[76:77], v[160:161], v[76:77] op_sel_hi:[1,0]
	s_delay_alu instid0(VALU_DEP_4)
	v_add_f32_e32 v7, v7, v27
	s_wait_loadcnt 0x3
	v_pk_mul_f32 v[78:79], v[120:121], v[104:105] op_sel:[1,1] op_sel_hi:[0,1]
	v_add_f32_e32 v11, v11, v19
	v_pk_fma_f32 v[86:87], v[116:117], v[100:101], v[74:75] op_sel_hi:[1,0,1]
	v_pk_fma_f32 v[74:75], v[116:117], v[100:101], v[74:75] neg_lo:[0,0,1] neg_hi:[0,0,1]
	v_add_f32_e32 v81, v7, v29
	v_mov_b32_e32 v82, v107
	v_add_f32_e32 v80, v11, v13
	v_mov_b32_e32 v75, v87
	v_pk_fma_f32 v[86:87], v[118:119], v[102:103], v[76:77] op_sel_hi:[1,0,1]
	v_pk_fma_f32 v[76:77], v[118:119], v[102:103], v[76:77] neg_lo:[0,0,1] neg_hi:[0,0,1]
	v_pk_mul_f32 v[82:83], v[162:163], v[82:83] op_sel_hi:[1,0]
	v_pk_add_f32 v[80:81], v[80:81], v[166:167]
	s_wait_loadcnt 0x2
	v_pk_mul_f32 v[84:85], v[124:125], v[108:109] op_sel:[1,1] op_sel_hi:[0,1]
	v_mov_b32_e32 v77, v87
	s_delay_alu instid0(VALU_DEP_3) | instskip(NEXT) | instid1(VALU_DEP_1)
	v_pk_add_f32 v[80:81], v[80:81], v[168:169]
	v_pk_add_f32 v[72:73], v[80:81], v[72:73]
	v_pk_fma_f32 v[80:81], v[120:121], v[104:105], v[78:79] op_sel_hi:[1,0,1]
	v_pk_fma_f32 v[78:79], v[120:121], v[104:105], v[78:79] neg_lo:[0,0,1] neg_hi:[0,0,1]
	s_delay_alu instid0(VALU_DEP_3) | instskip(NEXT) | instid1(VALU_DEP_3)
	v_pk_add_f32 v[72:73], v[72:73], v[74:75]
	v_dual_mov_b32 v74, v111 :: v_dual_mov_b32 v79, v81
	v_pk_fma_f32 v[80:81], v[122:123], v[106:107], v[82:83] op_sel_hi:[1,0,1]
	v_pk_fma_f32 v[82:83], v[122:123], v[106:107], v[82:83] neg_lo:[0,0,1] neg_hi:[0,0,1]
	s_delay_alu instid0(VALU_DEP_4)
	v_pk_add_f32 v[72:73], v[72:73], v[76:77]
	v_pk_fma_f32 v[76:77], v[124:125], v[108:109], v[84:85] op_sel_hi:[1,0,1]
	v_pk_mul_f32 v[74:75], v[164:165], v[74:75] op_sel_hi:[1,0]
	v_mov_b32_e32 v83, v81
	s_wait_loadcnt_dscnt 0x100
	v_pk_mul_f32 v[80:81], v[156:157], v[152:153] op_sel:[1,1] op_sel_hi:[0,1]
	v_pk_add_f32 v[72:73], v[72:73], v[78:79]
	v_pk_fma_f32 v[78:79], v[124:125], v[108:109], v[84:85] neg_lo:[0,0,1] neg_hi:[0,0,1]
	v_mov_b32_e32 v79, v77
	v_pk_fma_f32 v[76:77], v[126:127], v[110:111], v[74:75] op_sel_hi:[1,0,1]
	v_pk_fma_f32 v[74:75], v[126:127], v[110:111], v[74:75] neg_lo:[0,0,1] neg_hi:[0,0,1]
	v_pk_add_f32 v[72:73], v[72:73], v[82:83]
	s_delay_alu instid0(VALU_DEP_3) | instskip(SKIP_1) | instid1(VALU_DEP_3)
	v_mov_b32_e32 v75, v77
	v_pk_fma_f32 v[76:77], v[156:157], v[152:153], v[80:81] op_sel_hi:[1,0,1]
	v_pk_add_f32 v[72:73], v[72:73], v[78:79]
	v_pk_fma_f32 v[78:79], v[156:157], v[152:153], v[80:81] neg_lo:[0,0,1] neg_hi:[0,0,1]
	s_delay_alu instid0(VALU_DEP_3) | instskip(NEXT) | instid1(VALU_DEP_3)
	v_mov_b32_e32 v79, v77
	v_pk_add_f32 v[72:73], v[72:73], v[74:75]
	s_delay_alu instid0(VALU_DEP_1) | instskip(SKIP_1) | instid1(VALU_DEP_1)
	v_pk_add_f32 v[72:73], v[72:73], v[78:79]
	s_wait_loadcnt 0x0
	v_pk_add_f32 v[72:73], v[154:155], v[72:73] neg_lo:[0,1] neg_hi:[0,1]
	scratch_store_b64 off, v[72:73], off offset:104
	s_wait_xcnt 0x0
	v_cmpx_lt_u32_e32 12, v0
	s_cbranch_execz .LBB34_199
; %bb.198:
	scratch_load_b64 v[72:73], off, off offset:96
	v_mov_b64_e32 v[74:75], 0
	scratch_store_b64 off, v[74:75], off offset:96
	s_wait_loadcnt 0x0
	ds_store_b64 v1, v[72:73]
.LBB34_199:
	s_wait_xcnt 0x0
	s_or_b32 exec_lo, exec_lo, s0
	s_wait_storecnt_dscnt 0x0
	s_barrier_signal -1
	s_barrier_wait -1
	s_clause 0xb
	scratch_load_b128 v[72:75], off, off offset:104
	scratch_load_b128 v[76:79], off, off offset:120
	;; [unrolled: 1-line block ×11, first 2 shown]
	scratch_load_b64 v[160:161], off, off offset:96
	ds_load_2addr_b64 v[116:119], v3 offset0:63 offset1:64
	ds_load_2addr_b64 v[120:123], v3 offset0:65 offset1:66
	;; [unrolled: 1-line block ×11, first 2 shown]
	s_mov_b32 s0, exec_lo
	s_wait_dscnt 0xa
	v_dual_mov_b32 v162, v119 :: v_dual_mov_b32 v163, v118
	s_wait_dscnt 0x9
	v_dual_mov_b32 v164, v123 :: v_dual_mov_b32 v165, v122
	;; [unrolled: 2-line block ×4, first 2 shown]
	s_wait_loadcnt_dscnt 0xb06
	v_dual_mul_f32 v3, v132, v73 :: v_dual_mul_f32 v7, v134, v75
	v_dual_mul_f32 v31, v133, v73 :: v_dual_mul_f32 v33, v135, v75
	s_wait_loadcnt_dscnt 0xa05
	v_dual_mul_f32 v11, v136, v77 :: v_dual_mul_f32 v13, v138, v79
	s_delay_alu instid0(VALU_DEP_3)
	v_fmac_f32_e32 v3, v133, v72
	s_wait_loadcnt_dscnt 0x803
	v_dual_fma_f32 v31, v132, v72, -v31 :: v_dual_mul_f32 v43, v145, v85
	v_dual_mul_f32 v35, v137, v77 :: v_dual_mul_f32 v37, v139, v79
	v_dual_fma_f32 v33, v134, v74, -v33 :: v_dual_fmac_f32 v7, v135, v74
	v_add_f32_e32 v3, 0, v3
	s_delay_alu instid0(VALU_DEP_4) | instskip(NEXT) | instid1(VALU_DEP_4)
	v_dual_add_f32 v31, 0, v31 :: v_dual_fmac_f32 v11, v137, v76
	v_dual_mul_f32 v45, v147, v87 :: v_dual_fma_f32 v35, v136, v76, -v35
	s_delay_alu instid0(VALU_DEP_3) | instskip(NEXT) | instid1(VALU_DEP_3)
	v_add_f32_e32 v3, v3, v7
	v_dual_add_f32 v7, v31, v33 :: v_dual_fma_f32 v33, v138, v78, -v37
	v_dual_mul_f32 v15, v140, v81 :: v_dual_mul_f32 v17, v142, v83
	v_dual_mul_f32 v39, v141, v81 :: v_dual_mul_f32 v41, v143, v83
	s_wait_loadcnt_dscnt 0x702
	v_dual_mul_f32 v31, v149, v89 :: v_dual_fmac_f32 v13, v139, v78
	s_delay_alu instid0(VALU_DEP_3) | instskip(SKIP_2) | instid1(VALU_DEP_3)
	v_dual_fmac_f32 v15, v141, v80 :: v_dual_add_f32 v3, v3, v11
	v_dual_add_f32 v7, v7, v35 :: v_dual_mul_f32 v19, v144, v85
	v_dual_mul_f32 v21, v146, v87 :: v_dual_fma_f32 v35, v140, v80, -v39
	v_add_f32_e32 v3, v3, v13
	s_wait_loadcnt_dscnt 0x601
	v_mul_f32_e32 v13, v153, v93
	v_add_f32_e32 v7, v7, v33
	v_dual_mul_f32 v23, v148, v89 :: v_dual_mul_f32 v25, v150, v91
	v_dual_mul_f32 v11, v151, v91 :: v_dual_fma_f32 v33, v142, v82, -v41
	s_delay_alu instid0(VALU_DEP_2) | instskip(NEXT) | instid1(VALU_DEP_4)
	v_dual_fmac_f32 v17, v143, v82 :: v_dual_fmac_f32 v23, v149, v88
	v_dual_add_f32 v7, v7, v35 :: v_dual_fmac_f32 v19, v145, v84
	v_dual_add_f32 v3, v3, v15 :: v_dual_mul_f32 v27, v152, v93
	v_dual_mul_f32 v29, v154, v95 :: v_dual_fma_f32 v35, v144, v84, -v43
	s_delay_alu instid0(VALU_DEP_3) | instskip(NEXT) | instid1(VALU_DEP_3)
	v_add_f32_e32 v7, v7, v33
	v_dual_add_f32 v3, v3, v17 :: v_dual_fma_f32 v11, v150, v90, -v11
	s_wait_loadcnt_dscnt 0x500
	v_dual_mul_f32 v171, v156, v97 :: v_dual_mul_f32 v173, v158, v99
	v_dual_mul_f32 v15, v155, v95 :: v_dual_fma_f32 v31, v148, v88, -v31
	v_dual_mul_f32 v17, v157, v97 :: v_dual_fmac_f32 v21, v147, v86
	s_delay_alu instid0(VALU_DEP_3) | instskip(SKIP_2) | instid1(VALU_DEP_4)
	v_dual_fmac_f32 v171, v157, v96 :: v_dual_fma_f32 v33, v146, v86, -v45
	v_dual_add_f32 v3, v3, v19 :: v_dual_fma_f32 v13, v152, v92, -v13
	v_dual_fmac_f32 v27, v153, v92 :: v_dual_add_f32 v7, v7, v35
	v_dual_mul_f32 v19, v159, v99 :: v_dual_fma_f32 v170, v156, v96, -v17
	s_delay_alu instid0(VALU_DEP_3) | instskip(SKIP_1) | instid1(VALU_DEP_3)
	v_add_f32_e32 v3, v3, v21
	v_fmac_f32_e32 v25, v151, v90
	v_dual_add_f32 v7, v7, v33 :: v_dual_fma_f32 v172, v158, v98, -v19
	v_fmac_f32_e32 v29, v155, v94
	s_delay_alu instid0(VALU_DEP_4)
	v_add_f32_e32 v3, v3, v23
	s_wait_loadcnt 0x4
	v_pk_mul_f32 v[72:73], v[116:117], v[100:101] op_sel:[1,1] op_sel_hi:[0,1]
	v_add_f32_e32 v7, v7, v31
	s_wait_loadcnt 0x3
	v_dual_mov_b32 v74, v103 :: v_dual_mov_b32 v78, v107
	v_add_f32_e32 v3, v3, v25
	v_fmac_f32_e32 v173, v159, v98
	v_dual_add_f32 v7, v7, v11 :: v_dual_fma_f32 v11, v154, v94, -v15
	v_pk_fma_f32 v[82:83], v[116:117], v[100:101], v[72:73] op_sel_hi:[1,0,1]
	s_delay_alu instid0(VALU_DEP_4) | instskip(SKIP_1) | instid1(VALU_DEP_4)
	v_add_f32_e32 v3, v3, v27
	v_pk_mul_f32 v[74:75], v[162:163], v[74:75] op_sel_hi:[1,0]
	v_add_f32_e32 v7, v7, v13
	v_pk_fma_f32 v[72:73], v[116:117], v[100:101], v[72:73] neg_lo:[0,0,1] neg_hi:[0,0,1]
	v_pk_mul_f32 v[76:77], v[120:121], v[104:105] op_sel:[1,1] op_sel_hi:[0,1]
	v_add_f32_e32 v81, v3, v29
	v_mov_b32_e32 v73, v83
	v_add_f32_e32 v80, v7, v11
	v_pk_fma_f32 v[82:83], v[118:119], v[102:103], v[74:75] op_sel_hi:[1,0,1]
	v_pk_fma_f32 v[74:75], v[118:119], v[102:103], v[74:75] neg_lo:[0,0,1] neg_hi:[0,0,1]
	v_pk_fma_f32 v[86:87], v[120:121], v[104:105], v[76:77] op_sel_hi:[1,0,1]
	v_pk_mul_f32 v[78:79], v[164:165], v[78:79] op_sel_hi:[1,0]
	v_pk_add_f32 v[80:81], v[80:81], v[170:171]
	v_mov_b32_e32 v75, v83
	s_wait_loadcnt 0x2
	v_pk_mul_f32 v[84:85], v[124:125], v[108:109] op_sel:[1,1] op_sel_hi:[0,1]
	v_pk_fma_f32 v[76:77], v[120:121], v[104:105], v[76:77] neg_lo:[0,0,1] neg_hi:[0,0,1]
	v_mov_b32_e32 v77, v87
	v_pk_add_f32 v[80:81], v[80:81], v[172:173]
	v_pk_fma_f32 v[82:83], v[122:123], v[106:107], v[78:79] op_sel_hi:[1,0,1]
	v_pk_fma_f32 v[78:79], v[122:123], v[106:107], v[78:79] neg_lo:[0,0,1] neg_hi:[0,0,1]
	s_delay_alu instid0(VALU_DEP_3) | instskip(SKIP_1) | instid1(VALU_DEP_2)
	v_pk_add_f32 v[72:73], v[80:81], v[72:73]
	v_mov_b32_e32 v80, v111
	v_pk_add_f32 v[72:73], v[72:73], v[74:75]
	v_pk_fma_f32 v[74:75], v[124:125], v[108:109], v[84:85] op_sel_hi:[1,0,1]
	s_delay_alu instid0(VALU_DEP_3)
	v_pk_mul_f32 v[80:81], v[166:167], v[80:81] op_sel_hi:[1,0]
	v_mov_b32_e32 v79, v83
	v_pk_fma_f32 v[82:83], v[124:125], v[108:109], v[84:85] neg_lo:[0,0,1] neg_hi:[0,0,1]
	v_pk_add_f32 v[72:73], v[72:73], v[76:77]
	v_mov_b32_e32 v83, v75
	v_pk_fma_f32 v[74:75], v[126:127], v[110:111], v[80:81] op_sel_hi:[1,0,1]
	s_wait_loadcnt 0x1
	v_pk_mul_f32 v[76:77], v[128:129], v[112:113] op_sel:[1,1] op_sel_hi:[0,1]
	v_mov_b32_e32 v74, v115
	v_pk_add_f32 v[72:73], v[72:73], v[78:79]
	v_pk_fma_f32 v[80:81], v[126:127], v[110:111], v[80:81] neg_lo:[0,0,1] neg_hi:[0,0,1]
	v_mov_b32_e32 v81, v75
	v_pk_fma_f32 v[78:79], v[128:129], v[112:113], v[76:77] op_sel_hi:[1,0,1]
	v_pk_mul_f32 v[74:75], v[168:169], v[74:75] op_sel_hi:[1,0]
	v_pk_add_f32 v[72:73], v[72:73], v[82:83]
	v_pk_fma_f32 v[76:77], v[128:129], v[112:113], v[76:77] neg_lo:[0,0,1] neg_hi:[0,0,1]
	s_delay_alu instid0(VALU_DEP_4) | instskip(NEXT) | instid1(VALU_DEP_4)
	v_mov_b32_e32 v77, v79
	v_pk_fma_f32 v[78:79], v[130:131], v[114:115], v[74:75] op_sel_hi:[1,0,1]
	s_delay_alu instid0(VALU_DEP_4) | instskip(SKIP_1) | instid1(VALU_DEP_3)
	v_pk_add_f32 v[72:73], v[72:73], v[80:81]
	v_pk_fma_f32 v[74:75], v[130:131], v[114:115], v[74:75] neg_lo:[0,0,1] neg_hi:[0,0,1]
	v_mov_b32_e32 v75, v79
	s_delay_alu instid0(VALU_DEP_3) | instskip(NEXT) | instid1(VALU_DEP_1)
	v_pk_add_f32 v[72:73], v[72:73], v[76:77]
	v_pk_add_f32 v[72:73], v[72:73], v[74:75]
	s_wait_loadcnt 0x0
	s_delay_alu instid0(VALU_DEP_1)
	v_pk_add_f32 v[72:73], v[160:161], v[72:73] neg_lo:[0,1] neg_hi:[0,1]
	scratch_store_b64 off, v[72:73], off offset:96
	s_wait_xcnt 0x0
	v_cmpx_lt_u32_e32 11, v0
	s_cbranch_execz .LBB34_201
; %bb.200:
	scratch_load_b64 v[72:73], off, off offset:88
	v_mov_b64_e32 v[74:75], 0
	scratch_store_b64 off, v[74:75], off offset:88
	s_wait_loadcnt 0x0
	ds_store_b64 v1, v[72:73]
.LBB34_201:
	s_wait_xcnt 0x0
	s_or_b32 exec_lo, exec_lo, s0
	s_wait_storecnt_dscnt 0x0
	s_barrier_signal -1
	s_barrier_wait -1
	s_clause 0xc
	scratch_load_b128 v[72:75], off, off offset:96
	scratch_load_b128 v[76:79], off, off offset:112
	scratch_load_b128 v[80:83], off, off offset:128
	scratch_load_b128 v[84:87], off, off offset:144
	scratch_load_b128 v[88:91], off, off offset:160
	scratch_load_b128 v[92:95], off, off offset:176
	scratch_load_b128 v[96:99], off, off offset:192
	scratch_load_b128 v[100:103], off, off offset:208
	scratch_load_b128 v[104:107], off, off offset:224
	scratch_load_b128 v[108:111], off, off offset:240
	scratch_load_b128 v[112:115], off, off offset:256
	scratch_load_b64 v[160:161], off, off offset:272
	scratch_load_b64 v[162:163], off, off offset:88
	v_mov_b32_e32 v3, 0
	ds_load_b128 v[116:119], v3 offset:496
	ds_load_b128 v[120:123], v3 offset:512
	;; [unrolled: 1-line block ×11, first 2 shown]
	ds_load_b64 v[164:165], v3 offset:560
	s_mov_b32 s0, exec_lo
	s_wait_dscnt 0xb
	v_dual_mov_b32 v166, v119 :: v_dual_mov_b32 v167, v118
	s_wait_dscnt 0x8
	v_dual_mov_b32 v168, v123 :: v_dual_mov_b32 v173, v130
	v_dual_mov_b32 v169, v122 :: v_dual_mov_b32 v170, v127
	;; [unrolled: 1-line block ×3, first 2 shown]
	s_wait_loadcnt_dscnt 0xc07
	v_dual_mul_f32 v7, v132, v73 :: v_dual_mul_f32 v35, v133, v73
	v_dual_mul_f32 v37, v135, v75 :: v_dual_mul_f32 v11, v134, v75
	s_wait_loadcnt_dscnt 0xb06
	v_mul_f32_e32 v13, v136, v77
	s_wait_loadcnt_dscnt 0x904
	v_dual_mul_f32 v47, v145, v85 :: v_dual_fma_f32 v35, v132, v72, -v35
	v_dual_fmac_f32 v7, v133, v72 :: v_dual_mul_f32 v49, v147, v87
	v_dual_mul_f32 v39, v137, v77 :: v_dual_mul_f32 v41, v139, v79
	v_dual_fmac_f32 v11, v135, v74 :: v_dual_fma_f32 v37, v134, v74, -v37
	s_wait_loadcnt_dscnt 0x803
	s_delay_alu instid0(VALU_DEP_3) | instskip(SKIP_1) | instid1(VALU_DEP_2)
	v_dual_add_f32 v7, 0, v7 :: v_dual_mul_f32 v51, v149, v89
	v_dual_add_f32 v35, 0, v35 :: v_dual_fmac_f32 v13, v137, v76
	v_dual_fma_f32 v39, v136, v76, -v39 :: v_dual_add_f32 v7, v7, v11
	v_dual_mul_f32 v15, v138, v79 :: v_dual_mul_f32 v17, v140, v81
	s_delay_alu instid0(VALU_DEP_3) | instskip(SKIP_2) | instid1(VALU_DEP_3)
	v_dual_add_f32 v11, v35, v37 :: v_dual_fma_f32 v37, v138, v78, -v41
	v_dual_mul_f32 v43, v141, v81 :: v_dual_mul_f32 v45, v143, v83
	v_dual_mul_f32 v19, v142, v83 :: v_dual_mul_f32 v21, v144, v85
	v_add_f32_e32 v11, v11, v39
	v_dual_fmac_f32 v15, v139, v78 :: v_dual_fmac_f32 v17, v141, v80
	s_delay_alu instid0(VALU_DEP_4) | instskip(NEXT) | instid1(VALU_DEP_3)
	v_dual_add_f32 v7, v7, v13 :: v_dual_fma_f32 v39, v140, v80, -v43
	v_dual_add_f32 v11, v11, v37 :: v_dual_fmac_f32 v21, v145, v84
	v_dual_mul_f32 v23, v146, v87 :: v_dual_mul_f32 v25, v148, v89
	s_delay_alu instid0(VALU_DEP_3) | instskip(NEXT) | instid1(VALU_DEP_3)
	v_dual_add_f32 v7, v7, v15 :: v_dual_fma_f32 v37, v142, v82, -v45
	v_add_f32_e32 v11, v11, v39
	s_wait_loadcnt_dscnt 0x701
	v_dual_mul_f32 v35, v151, v91 :: v_dual_mul_f32 v13, v157, v93
	v_dual_mul_f32 v15, v159, v95 :: v_dual_fma_f32 v39, v144, v84, -v47
	v_fmac_f32_e32 v19, v143, v82
	v_dual_add_f32 v7, v7, v17 :: v_dual_fmac_f32 v25, v149, v88
	v_dual_add_f32 v11, v11, v37 :: v_dual_mul_f32 v27, v150, v91
	v_dual_mul_f32 v29, v156, v93 :: v_dual_mul_f32 v31, v158, v95
	s_wait_loadcnt 0x6
	v_dual_mul_f32 v33, v152, v97 :: v_dual_fma_f32 v37, v146, v86, -v49
	v_add_f32_e32 v7, v7, v19
	v_add_f32_e32 v11, v11, v39
	s_wait_loadcnt 0x4
	v_dual_mov_b32 v72, v103 :: v_dual_mov_b32 v76, v107
	v_dual_mul_f32 v19, v155, v99 :: v_dual_fmac_f32 v29, v157, v92
	v_dual_fmac_f32 v23, v147, v86 :: v_dual_fma_f32 v13, v156, v92, -v13
	v_dual_fma_f32 v39, v148, v88, -v51 :: v_dual_add_f32 v7, v7, v21
	v_dual_fma_f32 v15, v158, v94, -v15 :: v_dual_fmac_f32 v33, v153, v96
	s_delay_alu instid0(VALU_DEP_4) | instskip(SKIP_1) | instid1(VALU_DEP_4)
	v_dual_add_f32 v11, v11, v37 :: v_dual_fma_f32 v174, v154, v98, -v19
	v_pk_mul_f32 v[72:73], v[166:167], v[72:73] op_sel_hi:[1,0]
	v_dual_mul_f32 v17, v153, v97 :: v_dual_add_f32 v7, v7, v23
	v_fma_f32 v23, v150, v90, -v35
	v_dual_mul_f32 v175, v154, v99 :: v_dual_mul_f32 v177, v116, v101
	s_delay_alu instid0(VALU_DEP_4) | instskip(SKIP_4) | instid1(VALU_DEP_4)
	v_pk_fma_f32 v[84:85], v[118:119], v[102:103], v[72:73] op_sel_hi:[1,0,1]
	v_add_f32_e32 v11, v11, v39
	v_pk_fma_f32 v[72:73], v[118:119], v[102:103], v[72:73] neg_lo:[0,0,1] neg_hi:[0,0,1]
	v_dual_mul_f32 v21, v117, v101 :: v_dual_fmac_f32 v27, v151, v90
	v_fmac_f32_e32 v177, v117, v100
	v_dual_mov_b32 v73, v85 :: v_dual_add_f32 v11, v11, v23
	s_delay_alu instid0(VALU_DEP_3) | instskip(SKIP_2) | instid1(VALU_DEP_4)
	v_dual_fma_f32 v176, v116, v100, -v21 :: v_dual_fmac_f32 v31, v159, v94
	v_fmac_f32_e32 v175, v155, v98
	v_pk_mul_f32 v[74:75], v[120:121], v[104:105] op_sel:[1,1] op_sel_hi:[0,1]
	v_dual_add_f32 v11, v11, v13 :: v_dual_fma_f32 v13, v152, v96, -v17
	v_add_f32_e32 v7, v7, v25
	v_pk_mul_f32 v[76:77], v[168:169], v[76:77] op_sel_hi:[1,0]
	s_delay_alu instid0(VALU_DEP_4) | instskip(NEXT) | instid1(VALU_DEP_4)
	v_pk_fma_f32 v[86:87], v[120:121], v[104:105], v[74:75] op_sel_hi:[1,0,1]
	v_add_f32_e32 v11, v11, v15
	v_pk_fma_f32 v[74:75], v[120:121], v[104:105], v[74:75] neg_lo:[0,0,1] neg_hi:[0,0,1]
	v_add_f32_e32 v7, v7, v27
	s_wait_loadcnt 0x3
	v_pk_mul_f32 v[78:79], v[124:125], v[108:109] op_sel:[1,1] op_sel_hi:[0,1]
	v_dual_mov_b32 v82, v111 :: v_dual_mov_b32 v75, v87
	v_add_f32_e32 v80, v11, v13
	v_add_f32_e32 v7, v7, v29
	v_pk_fma_f32 v[86:87], v[122:123], v[106:107], v[76:77] op_sel_hi:[1,0,1]
	v_pk_fma_f32 v[76:77], v[122:123], v[106:107], v[76:77] neg_lo:[0,0,1] neg_hi:[0,0,1]
	v_pk_mul_f32 v[82:83], v[170:171], v[82:83] op_sel_hi:[1,0]
	s_wait_loadcnt 0x2
	v_pk_mul_f32 v[84:85], v[128:129], v[112:113] op_sel:[1,1] op_sel_hi:[0,1]
	v_add_f32_e32 v7, v7, v31
	v_mov_b32_e32 v77, v87
	s_delay_alu instid0(VALU_DEP_2) | instskip(NEXT) | instid1(VALU_DEP_1)
	v_add_f32_e32 v81, v7, v33
	v_pk_add_f32 v[80:81], v[80:81], v[174:175]
	s_delay_alu instid0(VALU_DEP_1) | instskip(NEXT) | instid1(VALU_DEP_1)
	v_pk_add_f32 v[80:81], v[80:81], v[176:177]
	v_pk_add_f32 v[72:73], v[80:81], v[72:73]
	v_pk_fma_f32 v[80:81], v[124:125], v[108:109], v[78:79] op_sel_hi:[1,0,1]
	v_pk_fma_f32 v[78:79], v[124:125], v[108:109], v[78:79] neg_lo:[0,0,1] neg_hi:[0,0,1]
	s_delay_alu instid0(VALU_DEP_3) | instskip(NEXT) | instid1(VALU_DEP_3)
	v_pk_add_f32 v[72:73], v[72:73], v[74:75]
	v_dual_mov_b32 v74, v115 :: v_dual_mov_b32 v79, v81
	v_pk_fma_f32 v[80:81], v[126:127], v[110:111], v[82:83] op_sel_hi:[1,0,1]
	v_pk_fma_f32 v[82:83], v[126:127], v[110:111], v[82:83] neg_lo:[0,0,1] neg_hi:[0,0,1]
	s_delay_alu instid0(VALU_DEP_4)
	v_pk_add_f32 v[72:73], v[72:73], v[76:77]
	v_pk_fma_f32 v[76:77], v[128:129], v[112:113], v[84:85] op_sel_hi:[1,0,1]
	v_pk_mul_f32 v[74:75], v[172:173], v[74:75] op_sel_hi:[1,0]
	v_mov_b32_e32 v83, v81
	s_wait_loadcnt_dscnt 0x100
	v_pk_mul_f32 v[80:81], v[164:165], v[160:161] op_sel:[1,1] op_sel_hi:[0,1]
	v_pk_add_f32 v[72:73], v[72:73], v[78:79]
	v_pk_fma_f32 v[78:79], v[128:129], v[112:113], v[84:85] neg_lo:[0,0,1] neg_hi:[0,0,1]
	v_mov_b32_e32 v79, v77
	v_pk_fma_f32 v[76:77], v[130:131], v[114:115], v[74:75] op_sel_hi:[1,0,1]
	v_pk_fma_f32 v[74:75], v[130:131], v[114:115], v[74:75] neg_lo:[0,0,1] neg_hi:[0,0,1]
	v_pk_add_f32 v[72:73], v[72:73], v[82:83]
	s_delay_alu instid0(VALU_DEP_3) | instskip(SKIP_1) | instid1(VALU_DEP_3)
	v_mov_b32_e32 v75, v77
	v_pk_fma_f32 v[76:77], v[164:165], v[160:161], v[80:81] op_sel_hi:[1,0,1]
	v_pk_add_f32 v[72:73], v[72:73], v[78:79]
	v_pk_fma_f32 v[78:79], v[164:165], v[160:161], v[80:81] neg_lo:[0,0,1] neg_hi:[0,0,1]
	s_delay_alu instid0(VALU_DEP_3) | instskip(NEXT) | instid1(VALU_DEP_3)
	v_mov_b32_e32 v79, v77
	v_pk_add_f32 v[72:73], v[72:73], v[74:75]
	s_delay_alu instid0(VALU_DEP_1) | instskip(SKIP_1) | instid1(VALU_DEP_1)
	v_pk_add_f32 v[72:73], v[72:73], v[78:79]
	s_wait_loadcnt 0x0
	v_pk_add_f32 v[72:73], v[162:163], v[72:73] neg_lo:[0,1] neg_hi:[0,1]
	scratch_store_b64 off, v[72:73], off offset:88
	s_wait_xcnt 0x0
	v_cmpx_lt_u32_e32 10, v0
	s_cbranch_execz .LBB34_203
; %bb.202:
	scratch_load_b64 v[72:73], off, off offset:80
	v_mov_b64_e32 v[74:75], 0
	scratch_store_b64 off, v[74:75], off offset:80
	s_wait_loadcnt 0x0
	ds_store_b64 v1, v[72:73]
.LBB34_203:
	s_wait_xcnt 0x0
	s_or_b32 exec_lo, exec_lo, s0
	s_wait_storecnt_dscnt 0x0
	s_barrier_signal -1
	s_barrier_wait -1
	s_clause 0xc
	scratch_load_b128 v[72:75], off, off offset:88
	scratch_load_b128 v[76:79], off, off offset:104
	;; [unrolled: 1-line block ×12, first 2 shown]
	scratch_load_b64 v[168:169], off, off offset:80
	ds_load_2addr_b64 v[120:123], v3 offset0:63 offset1:64
	ds_load_2addr_b64 v[124:127], v3 offset0:65 offset1:66
	;; [unrolled: 1-line block ×12, first 2 shown]
	s_mov_b32 s0, exec_lo
	s_wait_dscnt 0xb
	v_dual_mov_b32 v170, v123 :: v_dual_mov_b32 v171, v122
	s_wait_dscnt 0xa
	v_dual_mov_b32 v172, v127 :: v_dual_mov_b32 v173, v126
	;; [unrolled: 2-line block ×4, first 2 shown]
	s_wait_loadcnt_dscnt 0xc07
	v_dual_mul_f32 v3, v136, v73 :: v_dual_mul_f32 v7, v138, v75
	v_dual_mul_f32 v35, v137, v73 :: v_dual_mul_f32 v37, v139, v75
	s_wait_loadcnt_dscnt 0xb06
	v_dual_mul_f32 v11, v140, v77 :: v_dual_mul_f32 v13, v142, v79
	s_delay_alu instid0(VALU_DEP_3)
	v_fmac_f32_e32 v3, v137, v72
	s_wait_loadcnt_dscnt 0x904
	v_dual_fma_f32 v35, v136, v72, -v35 :: v_dual_mul_f32 v47, v149, v85
	v_dual_mul_f32 v39, v141, v77 :: v_dual_mul_f32 v41, v143, v79
	v_dual_fma_f32 v37, v138, v74, -v37 :: v_dual_fmac_f32 v7, v139, v74
	v_add_f32_e32 v3, 0, v3
	s_delay_alu instid0(VALU_DEP_4) | instskip(NEXT) | instid1(VALU_DEP_4)
	v_dual_add_f32 v35, 0, v35 :: v_dual_fmac_f32 v11, v141, v76
	v_dual_mul_f32 v49, v151, v87 :: v_dual_fma_f32 v39, v140, v76, -v39
	s_delay_alu instid0(VALU_DEP_3) | instskip(NEXT) | instid1(VALU_DEP_3)
	v_add_f32_e32 v3, v3, v7
	v_dual_add_f32 v7, v35, v37 :: v_dual_fma_f32 v37, v142, v78, -v41
	v_dual_mul_f32 v15, v144, v81 :: v_dual_mul_f32 v17, v146, v83
	v_dual_mul_f32 v43, v145, v81 :: v_dual_mul_f32 v45, v147, v83
	s_wait_loadcnt_dscnt 0x803
	v_dual_mul_f32 v35, v153, v89 :: v_dual_fmac_f32 v13, v143, v78
	s_delay_alu instid0(VALU_DEP_3) | instskip(SKIP_2) | instid1(VALU_DEP_3)
	v_dual_fmac_f32 v15, v145, v80 :: v_dual_add_f32 v3, v3, v11
	v_dual_add_f32 v7, v7, v39 :: v_dual_mul_f32 v19, v148, v85
	v_dual_mul_f32 v21, v150, v87 :: v_dual_fma_f32 v39, v144, v80, -v43
	v_add_f32_e32 v3, v3, v13
	s_wait_loadcnt_dscnt 0x702
	v_mul_f32_e32 v13, v157, v93
	v_add_f32_e32 v7, v7, v37
	v_dual_mul_f32 v11, v155, v91 :: v_dual_fma_f32 v37, v146, v82, -v45
	v_dual_mul_f32 v23, v152, v89 :: v_dual_mul_f32 v25, v154, v91
	s_delay_alu instid0(VALU_DEP_3) | instskip(SKIP_1) | instid1(VALU_DEP_3)
	v_dual_add_f32 v7, v7, v39 :: v_dual_mul_f32 v27, v156, v93
	v_dual_mul_f32 v29, v158, v95 :: v_dual_fmac_f32 v17, v147, v82
	v_fmac_f32_e32 v23, v153, v88
	v_dual_fmac_f32 v19, v149, v84 :: v_dual_add_f32 v3, v3, v15
	s_delay_alu instid0(VALU_DEP_4) | instskip(SKIP_1) | instid1(VALU_DEP_3)
	v_dual_fma_f32 v39, v148, v84, -v47 :: v_dual_add_f32 v7, v7, v37
	v_dual_fmac_f32 v27, v157, v92 :: v_dual_fma_f32 v37, v150, v86, -v49
	v_dual_add_f32 v3, v3, v17 :: v_dual_fma_f32 v11, v154, v90, -v11
	s_delay_alu instid0(VALU_DEP_3) | instskip(SKIP_1) | instid1(VALU_DEP_3)
	v_dual_add_f32 v7, v7, v39 :: v_dual_fma_f32 v13, v156, v92, -v13
	v_dual_mul_f32 v15, v159, v95 :: v_dual_fma_f32 v35, v152, v88, -v35
	v_add_f32_e32 v3, v3, v19
	s_wait_loadcnt_dscnt 0x601
	v_mul_f32_e32 v19, v163, v99
	v_add_f32_e32 v7, v7, v37
	v_dual_mul_f32 v31, v160, v97 :: v_dual_mul_f32 v33, v162, v99
	v_dual_fmac_f32 v21, v151, v86 :: v_dual_mul_f32 v17, v161, v97
	s_delay_alu instid0(VALU_DEP_2) | instskip(SKIP_2) | instid1(VALU_DEP_3)
	v_dual_add_f32 v7, v7, v35 :: v_dual_fmac_f32 v31, v161, v96
	s_wait_loadcnt_dscnt 0x500
	v_dual_mul_f32 v179, v164, v101 :: v_dual_mul_f32 v181, v166, v103
	v_add_f32_e32 v3, v3, v21
	s_delay_alu instid0(VALU_DEP_3) | instskip(NEXT) | instid1(VALU_DEP_3)
	v_dual_add_f32 v7, v7, v11 :: v_dual_mul_f32 v21, v165, v101
	v_dual_fmac_f32 v25, v155, v90 :: v_dual_fmac_f32 v179, v165, v100
	v_fmac_f32_e32 v29, v159, v94
	s_delay_alu instid0(VALU_DEP_3) | instskip(NEXT) | instid1(VALU_DEP_4)
	v_dual_add_f32 v7, v7, v13 :: v_dual_fma_f32 v13, v160, v96, -v17
	v_dual_add_f32 v3, v3, v23 :: v_dual_fma_f32 v178, v164, v100, -v21
	v_fma_f32 v11, v158, v94, -v15
	v_fmac_f32_e32 v33, v163, v98
	v_dual_mul_f32 v23, v167, v103 :: v_dual_fmac_f32 v181, v167, v102
	s_delay_alu instid0(VALU_DEP_4) | instskip(NEXT) | instid1(VALU_DEP_4)
	v_add_f32_e32 v3, v3, v25
	v_dual_add_f32 v7, v7, v11 :: v_dual_fma_f32 v11, v162, v98, -v19
	s_wait_loadcnt 0x4
	v_pk_mul_f32 v[72:73], v[120:121], v[104:105] op_sel:[1,1] op_sel_hi:[0,1]
	s_wait_loadcnt 0x3
	v_dual_mov_b32 v74, v107 :: v_dual_mov_b32 v78, v111
	v_add_f32_e32 v3, v3, v27
	v_dual_add_f32 v7, v7, v13 :: v_dual_fma_f32 v180, v166, v102, -v23
	v_pk_fma_f32 v[82:83], v[120:121], v[104:105], v[72:73] op_sel_hi:[1,0,1]
	s_delay_alu instid0(VALU_DEP_4) | instskip(NEXT) | instid1(VALU_DEP_4)
	v_pk_mul_f32 v[74:75], v[170:171], v[74:75] op_sel_hi:[1,0]
	v_add_f32_e32 v3, v3, v29
	s_delay_alu instid0(VALU_DEP_4)
	v_add_f32_e32 v80, v7, v11
	v_pk_fma_f32 v[72:73], v[120:121], v[104:105], v[72:73] neg_lo:[0,0,1] neg_hi:[0,0,1]
	v_pk_mul_f32 v[76:77], v[124:125], v[108:109] op_sel:[1,1] op_sel_hi:[0,1]
	v_mov_b32_e32 v73, v83
	v_add_f32_e32 v3, v3, v31
	v_pk_fma_f32 v[82:83], v[122:123], v[106:107], v[74:75] op_sel_hi:[1,0,1]
	v_pk_fma_f32 v[74:75], v[122:123], v[106:107], v[74:75] neg_lo:[0,0,1] neg_hi:[0,0,1]
	v_pk_fma_f32 v[86:87], v[124:125], v[108:109], v[76:77] op_sel_hi:[1,0,1]
	v_pk_mul_f32 v[78:79], v[172:173], v[78:79] op_sel_hi:[1,0]
	v_add_f32_e32 v81, v3, v33
	v_mov_b32_e32 v75, v83
	s_wait_loadcnt 0x2
	v_pk_mul_f32 v[84:85], v[128:129], v[112:113] op_sel:[1,1] op_sel_hi:[0,1]
	v_pk_fma_f32 v[76:77], v[124:125], v[108:109], v[76:77] neg_lo:[0,0,1] neg_hi:[0,0,1]
	v_mov_b32_e32 v77, v87
	v_pk_add_f32 v[80:81], v[80:81], v[178:179]
	v_pk_fma_f32 v[82:83], v[126:127], v[110:111], v[78:79] op_sel_hi:[1,0,1]
	v_pk_fma_f32 v[78:79], v[126:127], v[110:111], v[78:79] neg_lo:[0,0,1] neg_hi:[0,0,1]
	s_delay_alu instid0(VALU_DEP_3) | instskip(NEXT) | instid1(VALU_DEP_1)
	v_pk_add_f32 v[80:81], v[80:81], v[180:181]
	v_pk_add_f32 v[72:73], v[80:81], v[72:73]
	v_mov_b32_e32 v80, v115
	s_delay_alu instid0(VALU_DEP_2) | instskip(SKIP_1) | instid1(VALU_DEP_3)
	v_pk_add_f32 v[72:73], v[72:73], v[74:75]
	v_pk_fma_f32 v[74:75], v[128:129], v[112:113], v[84:85] op_sel_hi:[1,0,1]
	v_pk_mul_f32 v[80:81], v[174:175], v[80:81] op_sel_hi:[1,0]
	v_mov_b32_e32 v79, v83
	v_pk_fma_f32 v[82:83], v[128:129], v[112:113], v[84:85] neg_lo:[0,0,1] neg_hi:[0,0,1]
	v_pk_add_f32 v[72:73], v[72:73], v[76:77]
	v_mov_b32_e32 v83, v75
	v_pk_fma_f32 v[74:75], v[130:131], v[114:115], v[80:81] op_sel_hi:[1,0,1]
	s_wait_loadcnt 0x1
	v_pk_mul_f32 v[76:77], v[132:133], v[116:117] op_sel:[1,1] op_sel_hi:[0,1]
	v_mov_b32_e32 v74, v119
	v_pk_add_f32 v[72:73], v[72:73], v[78:79]
	v_pk_fma_f32 v[80:81], v[130:131], v[114:115], v[80:81] neg_lo:[0,0,1] neg_hi:[0,0,1]
	v_mov_b32_e32 v81, v75
	v_pk_fma_f32 v[78:79], v[132:133], v[116:117], v[76:77] op_sel_hi:[1,0,1]
	v_pk_mul_f32 v[74:75], v[176:177], v[74:75] op_sel_hi:[1,0]
	v_pk_add_f32 v[72:73], v[72:73], v[82:83]
	v_pk_fma_f32 v[76:77], v[132:133], v[116:117], v[76:77] neg_lo:[0,0,1] neg_hi:[0,0,1]
	s_delay_alu instid0(VALU_DEP_4) | instskip(NEXT) | instid1(VALU_DEP_4)
	v_mov_b32_e32 v77, v79
	v_pk_fma_f32 v[78:79], v[134:135], v[118:119], v[74:75] op_sel_hi:[1,0,1]
	s_delay_alu instid0(VALU_DEP_4) | instskip(SKIP_1) | instid1(VALU_DEP_3)
	v_pk_add_f32 v[72:73], v[72:73], v[80:81]
	v_pk_fma_f32 v[74:75], v[134:135], v[118:119], v[74:75] neg_lo:[0,0,1] neg_hi:[0,0,1]
	v_mov_b32_e32 v75, v79
	s_delay_alu instid0(VALU_DEP_3) | instskip(NEXT) | instid1(VALU_DEP_1)
	v_pk_add_f32 v[72:73], v[72:73], v[76:77]
	v_pk_add_f32 v[72:73], v[72:73], v[74:75]
	s_wait_loadcnt 0x0
	s_delay_alu instid0(VALU_DEP_1)
	v_pk_add_f32 v[72:73], v[168:169], v[72:73] neg_lo:[0,1] neg_hi:[0,1]
	scratch_store_b64 off, v[72:73], off offset:80
	s_wait_xcnt 0x0
	v_cmpx_lt_u32_e32 9, v0
	s_cbranch_execz .LBB34_205
; %bb.204:
	scratch_load_b64 v[72:73], off, off offset:72
	v_mov_b64_e32 v[74:75], 0
	scratch_store_b64 off, v[74:75], off offset:72
	s_wait_loadcnt 0x0
	ds_store_b64 v1, v[72:73]
.LBB34_205:
	s_wait_xcnt 0x0
	s_or_b32 exec_lo, exec_lo, s0
	s_wait_storecnt_dscnt 0x0
	s_barrier_signal -1
	s_barrier_wait -1
	s_clause 0xd
	scratch_load_b128 v[72:75], off, off offset:80
	scratch_load_b128 v[76:79], off, off offset:96
	;; [unrolled: 1-line block ×12, first 2 shown]
	scratch_load_b64 v[168:169], off, off offset:272
	scratch_load_b64 v[170:171], off, off offset:72
	v_mov_b32_e32 v3, 0
	ds_load_b128 v[120:123], v3 offset:496
	ds_load_b128 v[124:127], v3 offset:512
	;; [unrolled: 1-line block ×12, first 2 shown]
	ds_load_b64 v[172:173], v3 offset:560
	s_mov_b32 s0, exec_lo
	s_wait_dscnt 0xc
	v_dual_mov_b32 v174, v123 :: v_dual_mov_b32 v175, v122
	s_wait_dscnt 0x9
	v_dual_mov_b32 v176, v127 :: v_dual_mov_b32 v181, v134
	v_dual_mov_b32 v177, v126 :: v_dual_mov_b32 v178, v131
	;; [unrolled: 1-line block ×3, first 2 shown]
	s_wait_loadcnt_dscnt 0xd08
	v_dual_mul_f32 v7, v136, v73 :: v_dual_mul_f32 v39, v137, v73
	v_dual_mul_f32 v41, v139, v75 :: v_dual_mul_f32 v11, v138, v75
	s_wait_loadcnt_dscnt 0xc07
	v_mul_f32_e32 v13, v140, v77
	s_wait_loadcnt_dscnt 0xa05
	v_dual_mul_f32 v51, v149, v85 :: v_dual_fma_f32 v39, v136, v72, -v39
	v_dual_fmac_f32 v7, v137, v72 :: v_dual_mul_f32 v53, v151, v87
	v_dual_mul_f32 v43, v141, v77 :: v_dual_mul_f32 v45, v143, v79
	v_dual_fmac_f32 v11, v139, v74 :: v_dual_fma_f32 v41, v138, v74, -v41
	s_wait_loadcnt_dscnt 0x904
	s_delay_alu instid0(VALU_DEP_3) | instskip(SKIP_2) | instid1(VALU_DEP_3)
	v_dual_add_f32 v7, 0, v7 :: v_dual_mul_f32 v55, v153, v89
	v_dual_add_f32 v39, 0, v39 :: v_dual_fmac_f32 v13, v141, v76
	v_dual_mul_f32 v15, v142, v79 :: v_dual_mul_f32 v17, v144, v81
	v_dual_fma_f32 v43, v140, v76, -v43 :: v_dual_add_f32 v7, v7, v11
	s_delay_alu instid0(VALU_DEP_3) | instskip(SKIP_1) | instid1(VALU_DEP_4)
	v_dual_add_f32 v11, v39, v41 :: v_dual_fma_f32 v41, v142, v78, -v45
	v_dual_mul_f32 v47, v145, v81 :: v_dual_mul_f32 v49, v147, v83
	v_dual_fmac_f32 v15, v143, v78 :: v_dual_fmac_f32 v17, v145, v80
	s_delay_alu instid0(VALU_DEP_4) | instskip(NEXT) | instid1(VALU_DEP_4)
	v_add_f32_e32 v7, v7, v13
	v_add_f32_e32 v11, v11, v43
	v_dual_mul_f32 v19, v146, v83 :: v_dual_mul_f32 v21, v148, v85
	s_delay_alu instid0(VALU_DEP_3) | instskip(NEXT) | instid1(VALU_DEP_3)
	v_dual_fma_f32 v43, v144, v80, -v47 :: v_dual_add_f32 v7, v7, v15
	v_dual_add_f32 v11, v11, v41 :: v_dual_mul_f32 v23, v150, v87
	s_delay_alu instid0(VALU_DEP_3) | instskip(NEXT) | instid1(VALU_DEP_3)
	v_dual_mul_f32 v25, v152, v89 :: v_dual_fmac_f32 v19, v147, v82
	v_dual_fma_f32 v41, v146, v82, -v49 :: v_dual_add_f32 v7, v7, v17
	s_delay_alu instid0(VALU_DEP_3) | instskip(NEXT) | instid1(VALU_DEP_3)
	v_dual_fmac_f32 v21, v149, v84 :: v_dual_add_f32 v11, v11, v43
	v_dual_fmac_f32 v25, v153, v88 :: v_dual_mul_f32 v39, v155, v91
	s_wait_loadcnt_dscnt 0x803
	v_dual_mul_f32 v13, v157, v93 :: v_dual_mul_f32 v15, v159, v95
	s_delay_alu instid0(VALU_DEP_3) | instskip(NEXT) | instid1(VALU_DEP_3)
	v_dual_fma_f32 v43, v148, v84, -v51 :: v_dual_add_f32 v11, v11, v41
	v_fma_f32 v39, v154, v90, -v39
	v_dual_fma_f32 v41, v150, v86, -v53 :: v_dual_add_f32 v7, v7, v19
	v_dual_mul_f32 v27, v154, v91 :: v_dual_mul_f32 v29, v156, v93
	v_fmac_f32_e32 v23, v151, v86
	v_dual_add_f32 v11, v11, v43 :: v_dual_fma_f32 v15, v158, v94, -v15
	s_delay_alu instid0(VALU_DEP_4) | instskip(SKIP_4) | instid1(VALU_DEP_2)
	v_dual_fma_f32 v43, v152, v88, -v55 :: v_dual_add_f32 v7, v7, v21
	v_dual_fma_f32 v13, v156, v92, -v13 :: v_dual_mul_f32 v31, v158, v95
	s_wait_loadcnt_dscnt 0x702
	v_dual_mul_f32 v33, v160, v97 :: v_dual_mul_f32 v17, v161, v97
	v_dual_add_f32 v11, v11, v41 :: v_dual_fmac_f32 v29, v157, v92
	v_dual_add_f32 v7, v7, v23 :: v_dual_fmac_f32 v33, v161, v96
	s_wait_loadcnt_dscnt 0x601
	v_dual_mul_f32 v19, v163, v99 :: v_dual_mul_f32 v21, v165, v101
	v_dual_mul_f32 v35, v162, v99 :: v_dual_mul_f32 v37, v164, v101
	s_delay_alu instid0(VALU_DEP_3) | instskip(SKIP_4) | instid1(VALU_DEP_3)
	v_add_f32_e32 v7, v7, v25
	s_wait_loadcnt 0x5
	v_dual_mul_f32 v25, v121, v105 :: v_dual_mul_f32 v23, v167, v103
	v_add_f32_e32 v11, v11, v43
	v_dual_fmac_f32 v27, v155, v90 :: v_dual_fmac_f32 v37, v165, v100
	v_dual_fma_f32 v184, v120, v104, -v25 :: v_dual_mov_b32 v72, v107
	s_wait_loadcnt 0x4
	v_mov_b32_e32 v76, v111
	v_add_f32_e32 v11, v11, v39
	v_dual_mul_f32 v183, v166, v103 :: v_dual_mul_f32 v185, v120, v105
	v_pk_mul_f32 v[72:73], v[174:175], v[72:73] op_sel_hi:[1,0]
	v_fmac_f32_e32 v35, v163, v98
	s_delay_alu instid0(VALU_DEP_4) | instskip(NEXT) | instid1(VALU_DEP_4)
	v_dual_add_f32 v11, v11, v13 :: v_dual_fma_f32 v13, v160, v96, -v17
	v_fmac_f32_e32 v185, v121, v104
	s_delay_alu instid0(VALU_DEP_4) | instskip(SKIP_1) | instid1(VALU_DEP_4)
	v_pk_fma_f32 v[84:85], v[122:123], v[106:107], v[72:73] op_sel_hi:[1,0,1]
	v_fmac_f32_e32 v31, v159, v94
	v_add_f32_e32 v11, v11, v15
	v_pk_fma_f32 v[72:73], v[122:123], v[106:107], v[72:73] neg_lo:[0,0,1] neg_hi:[0,0,1]
	s_delay_alu instid0(VALU_DEP_4) | instskip(SKIP_1) | instid1(VALU_DEP_4)
	v_dual_fma_f32 v15, v162, v98, -v19 :: v_dual_mov_b32 v73, v85
	v_fmac_f32_e32 v183, v167, v102
	v_dual_add_f32 v11, v11, v13 :: v_dual_fma_f32 v13, v164, v100, -v21
	v_dual_add_f32 v7, v7, v27 :: v_dual_fma_f32 v182, v166, v102, -v23
	v_pk_mul_f32 v[74:75], v[124:125], v[108:109] op_sel:[1,1] op_sel_hi:[0,1]
	s_delay_alu instid0(VALU_DEP_3) | instskip(SKIP_1) | instid1(VALU_DEP_4)
	v_add_f32_e32 v11, v11, v15
	v_pk_mul_f32 v[76:77], v[176:177], v[76:77] op_sel_hi:[1,0]
	v_add_f32_e32 v7, v7, v29
	s_wait_loadcnt 0x3
	v_pk_mul_f32 v[78:79], v[128:129], v[112:113] op_sel:[1,1] op_sel_hi:[0,1]
	v_pk_fma_f32 v[86:87], v[124:125], v[108:109], v[74:75] op_sel_hi:[1,0,1]
	v_add_f32_e32 v80, v11, v13
	v_pk_fma_f32 v[74:75], v[124:125], v[108:109], v[74:75] neg_lo:[0,0,1] neg_hi:[0,0,1]
	v_add_f32_e32 v7, v7, v31
	s_delay_alu instid0(VALU_DEP_4) | instskip(SKIP_2) | instid1(VALU_DEP_4)
	v_dual_mov_b32 v82, v115 :: v_dual_mov_b32 v75, v87
	v_pk_fma_f32 v[86:87], v[126:127], v[110:111], v[76:77] op_sel_hi:[1,0,1]
	v_pk_fma_f32 v[76:77], v[126:127], v[110:111], v[76:77] neg_lo:[0,0,1] neg_hi:[0,0,1]
	v_add_f32_e32 v7, v7, v33
	s_delay_alu instid0(VALU_DEP_4) | instskip(SKIP_4) | instid1(VALU_DEP_1)
	v_pk_mul_f32 v[82:83], v[178:179], v[82:83] op_sel_hi:[1,0]
	s_wait_loadcnt 0x2
	v_pk_mul_f32 v[84:85], v[132:133], v[116:117] op_sel:[1,1] op_sel_hi:[0,1]
	v_mov_b32_e32 v77, v87
	v_add_f32_e32 v7, v7, v35
	v_add_f32_e32 v81, v7, v37
	s_delay_alu instid0(VALU_DEP_1) | instskip(NEXT) | instid1(VALU_DEP_1)
	v_pk_add_f32 v[80:81], v[80:81], v[182:183]
	v_pk_add_f32 v[80:81], v[80:81], v[184:185]
	s_delay_alu instid0(VALU_DEP_1) | instskip(SKIP_2) | instid1(VALU_DEP_3)
	v_pk_add_f32 v[72:73], v[80:81], v[72:73]
	v_pk_fma_f32 v[80:81], v[128:129], v[112:113], v[78:79] op_sel_hi:[1,0,1]
	v_pk_fma_f32 v[78:79], v[128:129], v[112:113], v[78:79] neg_lo:[0,0,1] neg_hi:[0,0,1]
	v_pk_add_f32 v[72:73], v[72:73], v[74:75]
	s_delay_alu instid0(VALU_DEP_3) | instskip(SKIP_2) | instid1(VALU_DEP_4)
	v_dual_mov_b32 v74, v119 :: v_dual_mov_b32 v79, v81
	v_pk_fma_f32 v[80:81], v[130:131], v[114:115], v[82:83] op_sel_hi:[1,0,1]
	v_pk_fma_f32 v[82:83], v[130:131], v[114:115], v[82:83] neg_lo:[0,0,1] neg_hi:[0,0,1]
	v_pk_add_f32 v[72:73], v[72:73], v[76:77]
	v_pk_fma_f32 v[76:77], v[132:133], v[116:117], v[84:85] op_sel_hi:[1,0,1]
	v_pk_mul_f32 v[74:75], v[180:181], v[74:75] op_sel_hi:[1,0]
	v_mov_b32_e32 v83, v81
	s_wait_loadcnt_dscnt 0x100
	v_pk_mul_f32 v[80:81], v[172:173], v[168:169] op_sel:[1,1] op_sel_hi:[0,1]
	v_pk_add_f32 v[72:73], v[72:73], v[78:79]
	v_pk_fma_f32 v[78:79], v[132:133], v[116:117], v[84:85] neg_lo:[0,0,1] neg_hi:[0,0,1]
	v_mov_b32_e32 v79, v77
	v_pk_fma_f32 v[76:77], v[134:135], v[118:119], v[74:75] op_sel_hi:[1,0,1]
	v_pk_fma_f32 v[74:75], v[134:135], v[118:119], v[74:75] neg_lo:[0,0,1] neg_hi:[0,0,1]
	v_pk_add_f32 v[72:73], v[72:73], v[82:83]
	s_delay_alu instid0(VALU_DEP_3) | instskip(SKIP_1) | instid1(VALU_DEP_3)
	v_mov_b32_e32 v75, v77
	v_pk_fma_f32 v[76:77], v[172:173], v[168:169], v[80:81] op_sel_hi:[1,0,1]
	v_pk_add_f32 v[72:73], v[72:73], v[78:79]
	v_pk_fma_f32 v[78:79], v[172:173], v[168:169], v[80:81] neg_lo:[0,0,1] neg_hi:[0,0,1]
	s_delay_alu instid0(VALU_DEP_3) | instskip(NEXT) | instid1(VALU_DEP_3)
	v_mov_b32_e32 v79, v77
	v_pk_add_f32 v[72:73], v[72:73], v[74:75]
	s_delay_alu instid0(VALU_DEP_1) | instskip(SKIP_1) | instid1(VALU_DEP_1)
	v_pk_add_f32 v[72:73], v[72:73], v[78:79]
	s_wait_loadcnt 0x0
	v_pk_add_f32 v[72:73], v[170:171], v[72:73] neg_lo:[0,1] neg_hi:[0,1]
	scratch_store_b64 off, v[72:73], off offset:72
	s_wait_xcnt 0x0
	v_cmpx_lt_u32_e32 8, v0
	s_cbranch_execz .LBB34_207
; %bb.206:
	scratch_load_b64 v[72:73], off, off offset:64
	v_mov_b64_e32 v[74:75], 0
	scratch_store_b64 off, v[74:75], off offset:64
	s_wait_loadcnt 0x0
	ds_store_b64 v1, v[72:73]
.LBB34_207:
	s_wait_xcnt 0x0
	s_or_b32 exec_lo, exec_lo, s0
	s_wait_storecnt_dscnt 0x0
	s_barrier_signal -1
	s_barrier_wait -1
	s_clause 0xd
	scratch_load_b128 v[72:75], off, off offset:72
	scratch_load_b128 v[76:79], off, off offset:88
	scratch_load_b128 v[80:83], off, off offset:104
	scratch_load_b128 v[84:87], off, off offset:120
	scratch_load_b128 v[88:91], off, off offset:136
	scratch_load_b128 v[92:95], off, off offset:152
	scratch_load_b128 v[96:99], off, off offset:168
	scratch_load_b128 v[100:103], off, off offset:184
	scratch_load_b128 v[104:107], off, off offset:200
	scratch_load_b128 v[108:111], off, off offset:216
	scratch_load_b128 v[112:115], off, off offset:232
	scratch_load_b128 v[116:119], off, off offset:248
	scratch_load_b128 v[120:123], off, off offset:264
	scratch_load_b64 v[176:177], off, off offset:64
	ds_load_2addr_b64 v[124:127], v3 offset0:63 offset1:64
	ds_load_2addr_b64 v[128:131], v3 offset0:65 offset1:66
	;; [unrolled: 1-line block ×13, first 2 shown]
	s_mov_b32 s0, exec_lo
	s_wait_dscnt 0xc
	v_dual_mov_b32 v178, v127 :: v_dual_mov_b32 v179, v126
	s_wait_dscnt 0xb
	v_dual_mov_b32 v180, v131 :: v_dual_mov_b32 v181, v130
	;; [unrolled: 2-line block ×4, first 2 shown]
	s_wait_loadcnt_dscnt 0xd08
	v_dual_mul_f32 v3, v140, v73 :: v_dual_mul_f32 v7, v142, v75
	v_dual_mul_f32 v39, v141, v73 :: v_dual_mul_f32 v41, v143, v75
	s_wait_loadcnt_dscnt 0xc07
	v_dual_mul_f32 v11, v144, v77 :: v_dual_mul_f32 v13, v146, v79
	s_delay_alu instid0(VALU_DEP_3)
	v_fmac_f32_e32 v3, v141, v72
	s_wait_loadcnt_dscnt 0xa05
	v_dual_fma_f32 v39, v140, v72, -v39 :: v_dual_mul_f32 v51, v153, v85
	v_dual_mul_f32 v43, v145, v77 :: v_dual_mul_f32 v45, v147, v79
	v_dual_fma_f32 v41, v142, v74, -v41 :: v_dual_fmac_f32 v7, v143, v74
	v_add_f32_e32 v3, 0, v3
	s_delay_alu instid0(VALU_DEP_4) | instskip(NEXT) | instid1(VALU_DEP_4)
	v_dual_add_f32 v39, 0, v39 :: v_dual_fmac_f32 v11, v145, v76
	v_dual_mul_f32 v53, v155, v87 :: v_dual_fma_f32 v43, v144, v76, -v43
	s_delay_alu instid0(VALU_DEP_3) | instskip(NEXT) | instid1(VALU_DEP_3)
	v_add_f32_e32 v3, v3, v7
	v_dual_add_f32 v7, v39, v41 :: v_dual_fma_f32 v41, v146, v78, -v45
	v_dual_mul_f32 v15, v148, v81 :: v_dual_mul_f32 v17, v150, v83
	v_dual_mul_f32 v47, v149, v81 :: v_dual_mul_f32 v49, v151, v83
	s_wait_loadcnt_dscnt 0x903
	v_dual_mul_f32 v39, v161, v89 :: v_dual_fmac_f32 v13, v147, v78
	s_delay_alu instid0(VALU_DEP_3) | instskip(SKIP_2) | instid1(VALU_DEP_3)
	v_dual_fmac_f32 v15, v149, v80 :: v_dual_add_f32 v3, v3, v11
	v_dual_add_f32 v7, v7, v43 :: v_dual_mul_f32 v19, v152, v85
	v_dual_mul_f32 v21, v154, v87 :: v_dual_fma_f32 v43, v148, v80, -v47
	v_add_f32_e32 v3, v3, v13
	s_wait_loadcnt_dscnt 0x802
	v_mul_f32_e32 v13, v165, v93
	v_add_f32_e32 v7, v7, v41
	v_dual_mul_f32 v11, v163, v91 :: v_dual_fma_f32 v41, v150, v82, -v49
	v_dual_mul_f32 v27, v164, v93 :: v_dual_mul_f32 v29, v166, v95
	s_delay_alu instid0(VALU_DEP_3) | instskip(SKIP_2) | instid1(VALU_DEP_3)
	v_dual_add_f32 v7, v7, v43 :: v_dual_fma_f32 v43, v152, v84, -v51
	v_dual_mul_f32 v23, v160, v89 :: v_dual_mul_f32 v25, v162, v91
	v_fmac_f32_e32 v17, v151, v82
	v_dual_add_f32 v7, v7, v41 :: v_dual_fmac_f32 v27, v165, v92
	v_dual_fmac_f32 v19, v153, v84 :: v_dual_add_f32 v3, v3, v15
	s_delay_alu instid0(VALU_DEP_2) | instskip(SKIP_2) | instid1(VALU_DEP_4)
	v_dual_fma_f32 v41, v154, v86, -v53 :: v_dual_add_f32 v7, v7, v43
	v_dual_fma_f32 v13, v164, v92, -v13 :: v_dual_mul_f32 v15, v167, v95
	v_fma_f32 v39, v160, v88, -v39
	v_dual_fmac_f32 v23, v161, v88 :: v_dual_add_f32 v3, v3, v17
	s_wait_loadcnt_dscnt 0x701
	v_dual_fma_f32 v11, v162, v90, -v11 :: v_dual_mul_f32 v17, v169, v97
	v_add_f32_e32 v7, v7, v41
	s_wait_loadcnt 0x5
	v_dual_mul_f32 v187, v156, v105 :: v_dual_mul_f32 v189, v158, v107
	v_fmac_f32_e32 v21, v155, v86
	s_delay_alu instid0(VALU_DEP_3) | instskip(SKIP_2) | instid1(VALU_DEP_3)
	v_dual_fma_f32 v17, v168, v96, -v17 :: v_dual_add_f32 v7, v7, v39
	v_dual_add_f32 v3, v3, v19 :: v_dual_mul_f32 v31, v168, v97
	v_dual_mul_f32 v33, v170, v99 :: v_dual_mul_f32 v19, v171, v99
	v_dual_fma_f32 v15, v166, v94, -v15 :: v_dual_add_f32 v7, v7, v11
	v_dual_fmac_f32 v187, v157, v104 :: v_dual_mul_f32 v11, v157, v105
	s_delay_alu instid0(VALU_DEP_4) | instskip(NEXT) | instid1(VALU_DEP_3)
	v_dual_add_f32 v3, v3, v21 :: v_dual_fmac_f32 v31, v169, v96
	v_add_f32_e32 v7, v7, v13
	s_wait_dscnt 0x0
	v_dual_mul_f32 v35, v172, v101 :: v_dual_mul_f32 v37, v174, v103
	v_fmac_f32_e32 v25, v163, v90
	v_add_f32_e32 v3, v3, v23
	v_add_f32_e32 v7, v7, v15
	s_delay_alu instid0(VALU_DEP_4) | instskip(SKIP_1) | instid1(VALU_DEP_4)
	v_dual_mul_f32 v23, v175, v103 :: v_dual_fmac_f32 v37, v175, v102
	v_fma_f32 v15, v170, v98, -v19
	v_dual_fmac_f32 v35, v173, v100 :: v_dual_add_f32 v3, v3, v25
	s_delay_alu instid0(VALU_DEP_4) | instskip(SKIP_2) | instid1(VALU_DEP_3)
	v_add_f32_e32 v7, v7, v17
	v_dual_fmac_f32 v29, v167, v94 :: v_dual_fma_f32 v186, v156, v104, -v11
	v_dual_mul_f32 v13, v159, v107 :: v_dual_fmac_f32 v189, v159, v106
	v_dual_add_f32 v7, v7, v15 :: v_dual_fma_f32 v15, v174, v102, -v23
	s_delay_alu instid0(VALU_DEP_2) | instskip(SKIP_3) | instid1(VALU_DEP_3)
	v_dual_add_f32 v3, v3, v27 :: v_dual_fma_f32 v188, v158, v106, -v13
	v_dual_mul_f32 v21, v173, v101 :: v_dual_fmac_f32 v33, v171, v98
	s_wait_loadcnt 0x4
	v_pk_mul_f32 v[72:73], v[124:125], v[108:109] op_sel:[1,1] op_sel_hi:[0,1]
	v_add_f32_e32 v3, v3, v29
	s_wait_loadcnt 0x3
	v_dual_mov_b32 v74, v111 :: v_dual_mov_b32 v78, v115
	v_fma_f32 v17, v172, v100, -v21
	v_pk_fma_f32 v[82:83], v[124:125], v[108:109], v[72:73] op_sel_hi:[1,0,1]
	v_add_f32_e32 v3, v3, v31
	s_delay_alu instid0(VALU_DEP_4)
	v_pk_mul_f32 v[74:75], v[178:179], v[74:75] op_sel_hi:[1,0]
	v_pk_fma_f32 v[72:73], v[124:125], v[108:109], v[72:73] neg_lo:[0,0,1] neg_hi:[0,0,1]
	v_add_f32_e32 v7, v7, v17
	v_pk_mul_f32 v[76:77], v[128:129], v[112:113] op_sel:[1,1] op_sel_hi:[0,1]
	v_add_f32_e32 v3, v3, v33
	v_mov_b32_e32 v73, v83
	v_pk_fma_f32 v[82:83], v[126:127], v[110:111], v[74:75] op_sel_hi:[1,0,1]
	v_add_f32_e32 v80, v7, v15
	v_pk_fma_f32 v[74:75], v[126:127], v[110:111], v[74:75] neg_lo:[0,0,1] neg_hi:[0,0,1]
	v_add_f32_e32 v3, v3, v35
	v_pk_fma_f32 v[86:87], v[128:129], v[112:113], v[76:77] op_sel_hi:[1,0,1]
	v_pk_mul_f32 v[78:79], v[180:181], v[78:79] op_sel_hi:[1,0]
	v_mov_b32_e32 v75, v83
	s_wait_loadcnt 0x2
	v_pk_mul_f32 v[84:85], v[132:133], v[116:117] op_sel:[1,1] op_sel_hi:[0,1]
	v_add_f32_e32 v81, v3, v37
	v_pk_fma_f32 v[76:77], v[128:129], v[112:113], v[76:77] neg_lo:[0,0,1] neg_hi:[0,0,1]
	v_mov_b32_e32 v77, v87
	v_pk_fma_f32 v[82:83], v[130:131], v[114:115], v[78:79] op_sel_hi:[1,0,1]
	v_pk_fma_f32 v[78:79], v[130:131], v[114:115], v[78:79] neg_lo:[0,0,1] neg_hi:[0,0,1]
	v_pk_add_f32 v[80:81], v[80:81], v[186:187]
	s_delay_alu instid0(VALU_DEP_1) | instskip(NEXT) | instid1(VALU_DEP_1)
	v_pk_add_f32 v[80:81], v[80:81], v[188:189]
	v_pk_add_f32 v[72:73], v[80:81], v[72:73]
	v_mov_b32_e32 v80, v119
	s_delay_alu instid0(VALU_DEP_2) | instskip(SKIP_1) | instid1(VALU_DEP_3)
	v_pk_add_f32 v[72:73], v[72:73], v[74:75]
	v_pk_fma_f32 v[74:75], v[132:133], v[116:117], v[84:85] op_sel_hi:[1,0,1]
	v_pk_mul_f32 v[80:81], v[182:183], v[80:81] op_sel_hi:[1,0]
	v_mov_b32_e32 v79, v83
	v_pk_fma_f32 v[82:83], v[132:133], v[116:117], v[84:85] neg_lo:[0,0,1] neg_hi:[0,0,1]
	v_pk_add_f32 v[72:73], v[72:73], v[76:77]
	v_mov_b32_e32 v83, v75
	v_pk_fma_f32 v[74:75], v[134:135], v[118:119], v[80:81] op_sel_hi:[1,0,1]
	s_wait_loadcnt 0x1
	v_pk_mul_f32 v[76:77], v[136:137], v[120:121] op_sel:[1,1] op_sel_hi:[0,1]
	v_mov_b32_e32 v74, v123
	v_pk_add_f32 v[72:73], v[72:73], v[78:79]
	v_pk_fma_f32 v[80:81], v[134:135], v[118:119], v[80:81] neg_lo:[0,0,1] neg_hi:[0,0,1]
	v_mov_b32_e32 v81, v75
	v_pk_fma_f32 v[78:79], v[136:137], v[120:121], v[76:77] op_sel_hi:[1,0,1]
	v_pk_mul_f32 v[74:75], v[184:185], v[74:75] op_sel_hi:[1,0]
	v_pk_add_f32 v[72:73], v[72:73], v[82:83]
	v_pk_fma_f32 v[76:77], v[136:137], v[120:121], v[76:77] neg_lo:[0,0,1] neg_hi:[0,0,1]
	s_delay_alu instid0(VALU_DEP_4) | instskip(NEXT) | instid1(VALU_DEP_4)
	v_mov_b32_e32 v77, v79
	v_pk_fma_f32 v[78:79], v[138:139], v[122:123], v[74:75] op_sel_hi:[1,0,1]
	s_delay_alu instid0(VALU_DEP_4) | instskip(SKIP_1) | instid1(VALU_DEP_3)
	v_pk_add_f32 v[72:73], v[72:73], v[80:81]
	v_pk_fma_f32 v[74:75], v[138:139], v[122:123], v[74:75] neg_lo:[0,0,1] neg_hi:[0,0,1]
	v_mov_b32_e32 v75, v79
	s_delay_alu instid0(VALU_DEP_3) | instskip(NEXT) | instid1(VALU_DEP_1)
	v_pk_add_f32 v[72:73], v[72:73], v[76:77]
	v_pk_add_f32 v[72:73], v[72:73], v[74:75]
	s_wait_loadcnt 0x0
	s_delay_alu instid0(VALU_DEP_1)
	v_pk_add_f32 v[72:73], v[176:177], v[72:73] neg_lo:[0,1] neg_hi:[0,1]
	scratch_store_b64 off, v[72:73], off offset:64
	s_wait_xcnt 0x0
	v_cmpx_lt_u32_e32 7, v0
	s_cbranch_execz .LBB34_209
; %bb.208:
	scratch_load_b64 v[72:73], off, off offset:56
	v_mov_b64_e32 v[74:75], 0
	scratch_store_b64 off, v[74:75], off offset:56
	s_wait_loadcnt 0x0
	ds_store_b64 v1, v[72:73]
.LBB34_209:
	s_wait_xcnt 0x0
	s_or_b32 exec_lo, exec_lo, s0
	s_wait_storecnt_dscnt 0x0
	s_barrier_signal -1
	s_barrier_wait -1
	s_clause 0xe
	scratch_load_b128 v[72:75], off, off offset:64
	scratch_load_b128 v[76:79], off, off offset:80
	;; [unrolled: 1-line block ×13, first 2 shown]
	scratch_load_b64 v[176:177], off, off offset:272
	scratch_load_b64 v[178:179], off, off offset:56
	v_mov_b32_e32 v3, 0
	ds_load_b128 v[124:127], v3 offset:496
	ds_load_b128 v[128:131], v3 offset:512
	;; [unrolled: 1-line block ×13, first 2 shown]
	ds_load_b64 v[180:181], v3 offset:560
	s_mov_b32 s0, exec_lo
	s_wait_dscnt 0xd
	v_dual_mov_b32 v182, v127 :: v_dual_mov_b32 v183, v126
	s_wait_dscnt 0xa
	v_dual_mov_b32 v184, v131 :: v_dual_mov_b32 v189, v138
	v_dual_mov_b32 v185, v130 :: v_dual_mov_b32 v186, v135
	;; [unrolled: 1-line block ×3, first 2 shown]
	s_wait_loadcnt_dscnt 0xe09
	v_dual_mul_f32 v7, v140, v73 :: v_dual_mul_f32 v43, v141, v73
	v_dual_mul_f32 v45, v143, v75 :: v_dual_mul_f32 v11, v142, v75
	s_wait_loadcnt_dscnt 0xd08
	v_mul_f32_e32 v13, v144, v77
	s_wait_loadcnt_dscnt 0xb05
	v_dual_mul_f32 v55, v157, v85 :: v_dual_fma_f32 v43, v140, v72, -v43
	v_dual_fmac_f32 v7, v141, v72 :: v_dual_mul_f32 v57, v159, v87
	v_dual_mul_f32 v47, v145, v77 :: v_dual_mul_f32 v49, v147, v79
	v_dual_fmac_f32 v11, v143, v74 :: v_dual_fma_f32 v45, v142, v74, -v45
	s_wait_loadcnt_dscnt 0xa04
	s_delay_alu instid0(VALU_DEP_3) | instskip(SKIP_1) | instid1(VALU_DEP_2)
	v_dual_add_f32 v7, 0, v7 :: v_dual_mul_f32 v59, v161, v89
	v_dual_add_f32 v43, 0, v43 :: v_dual_fmac_f32 v13, v145, v76
	v_dual_fma_f32 v47, v144, v76, -v47 :: v_dual_add_f32 v7, v7, v11
	v_dual_mul_f32 v51, v149, v81 :: v_dual_mul_f32 v53, v151, v83
	s_delay_alu instid0(VALU_DEP_3) | instskip(SKIP_2) | instid1(VALU_DEP_3)
	v_dual_add_f32 v11, v43, v45 :: v_dual_fma_f32 v45, v146, v78, -v49
	v_dual_mul_f32 v15, v146, v79 :: v_dual_mul_f32 v17, v148, v81
	v_dual_mul_f32 v19, v150, v83 :: v_dual_mul_f32 v21, v156, v85
	v_add_f32_e32 v11, v11, v47
	v_dual_add_f32 v7, v7, v13 :: v_dual_fma_f32 v47, v148, v80, -v51
	v_dual_mul_f32 v23, v158, v87 :: v_dual_mul_f32 v25, v160, v89
	s_delay_alu instid0(VALU_DEP_3) | instskip(SKIP_1) | instid1(VALU_DEP_2)
	v_dual_add_f32 v11, v11, v45 :: v_dual_fmac_f32 v21, v157, v84
	v_dual_fmac_f32 v15, v147, v78 :: v_dual_fmac_f32 v17, v149, v80
	v_dual_fma_f32 v45, v150, v82, -v53 :: v_dual_add_f32 v11, v11, v47
	s_delay_alu instid0(VALU_DEP_4) | instskip(SKIP_1) | instid1(VALU_DEP_3)
	v_dual_fmac_f32 v25, v161, v88 :: v_dual_mul_f32 v43, v163, v91
	s_wait_loadcnt_dscnt 0x903
	v_dual_mul_f32 v13, v165, v93 :: v_dual_add_f32 v7, v7, v15
	v_dual_mul_f32 v15, v167, v95 :: v_dual_fma_f32 v47, v156, v84, -v55
	s_delay_alu instid0(VALU_DEP_3) | instskip(SKIP_1) | instid1(VALU_DEP_4)
	v_dual_add_f32 v11, v11, v45 :: v_dual_fma_f32 v43, v162, v90, -v43
	v_fmac_f32_e32 v19, v151, v82
	v_dual_add_f32 v7, v7, v17 :: v_dual_fma_f32 v45, v158, v86, -v57
	s_delay_alu instid0(VALU_DEP_3) | instskip(SKIP_2) | instid1(VALU_DEP_3)
	v_dual_add_f32 v11, v11, v47 :: v_dual_fma_f32 v15, v166, v94, -v15
	s_wait_loadcnt_dscnt 0x802
	v_dual_mul_f32 v31, v166, v95 :: v_dual_mul_f32 v33, v168, v97
	v_dual_add_f32 v7, v7, v19 :: v_dual_fma_f32 v47, v160, v88, -v59
	s_delay_alu instid0(VALU_DEP_3) | instskip(SKIP_1) | instid1(VALU_DEP_3)
	v_dual_add_f32 v11, v11, v45 :: v_dual_mul_f32 v27, v162, v91
	v_mul_f32_e32 v29, v164, v93
	v_dual_add_f32 v7, v7, v21 :: v_dual_fma_f32 v13, v164, v92, -v13
	s_wait_loadcnt_dscnt 0x701
	v_mul_f32_e32 v21, v173, v101
	v_dual_fmac_f32 v33, v169, v96 :: v_dual_add_f32 v11, v11, v47
	s_wait_loadcnt 0x6
	v_dual_mul_f32 v39, v174, v103 :: v_dual_mul_f32 v41, v152, v105
	v_dual_fmac_f32 v23, v159, v86 :: v_dual_fmac_f32 v29, v165, v92
	s_delay_alu instid0(VALU_DEP_3) | instskip(NEXT) | instid1(VALU_DEP_2)
	v_dual_add_f32 v11, v11, v43 :: v_dual_mul_f32 v17, v169, v97
	v_dual_fmac_f32 v41, v153, v104 :: v_dual_add_f32 v7, v7, v23
	v_mul_f32_e32 v19, v171, v99
	s_delay_alu instid0(VALU_DEP_3) | instskip(SKIP_4) | instid1(VALU_DEP_3)
	v_add_f32_e32 v11, v11, v13
	s_wait_loadcnt 0x5
	v_dual_mul_f32 v13, v125, v109 :: v_dual_mul_f32 v23, v175, v103
	v_dual_fma_f32 v17, v168, v96, -v17 :: v_dual_mul_f32 v35, v170, v99
	v_mul_f32_e32 v37, v172, v101
	v_dual_fma_f32 v192, v124, v108, -v13 :: v_dual_add_f32 v11, v11, v15
	v_fmac_f32_e32 v27, v163, v90
	v_add_f32_e32 v7, v7, v25
	v_dual_mul_f32 v25, v153, v105 :: v_dual_fma_f32 v15, v170, v98, -v19
	s_delay_alu instid0(VALU_DEP_4) | instskip(SKIP_3) | instid1(VALU_DEP_3)
	v_add_f32_e32 v11, v11, v17
	s_wait_loadcnt 0x4
	v_dual_mov_b32 v72, v111 :: v_dual_mov_b32 v76, v115
	v_dual_fmac_f32 v37, v173, v100 :: v_dual_add_f32 v7, v7, v27
	v_dual_fma_f32 v17, v172, v100, -v21 :: v_dual_add_f32 v11, v11, v15
	v_dual_mul_f32 v191, v154, v107 :: v_dual_mul_f32 v193, v124, v109
	v_mul_f32_e32 v27, v155, v107
	v_fmac_f32_e32 v31, v167, v94
	s_delay_alu instid0(VALU_DEP_4) | instskip(SKIP_1) | instid1(VALU_DEP_4)
	v_dual_fma_f32 v15, v174, v102, -v23 :: v_dual_add_f32 v11, v11, v17
	v_dual_fma_f32 v17, v152, v104, -v25 :: v_dual_add_f32 v7, v7, v29
	v_fma_f32 v190, v154, v106, -v27
	v_pk_mul_f32 v[72:73], v[182:183], v[72:73] op_sel_hi:[1,0]
	v_dual_fmac_f32 v193, v125, v108 :: v_dual_fmac_f32 v35, v171, v98
	v_fmac_f32_e32 v39, v175, v102
	v_add_f32_e32 v11, v11, v15
	s_delay_alu instid0(VALU_DEP_4) | instskip(SKIP_3) | instid1(VALU_DEP_4)
	v_pk_fma_f32 v[84:85], v[126:127], v[110:111], v[72:73] op_sel_hi:[1,0,1]
	v_add_f32_e32 v7, v7, v31
	v_pk_fma_f32 v[72:73], v[126:127], v[110:111], v[72:73] neg_lo:[0,0,1] neg_hi:[0,0,1]
	v_fmac_f32_e32 v191, v155, v106
	v_dual_add_f32 v80, v11, v17 :: v_dual_mov_b32 v73, v85
	s_delay_alu instid0(VALU_DEP_4)
	v_add_f32_e32 v7, v7, v33
	v_pk_mul_f32 v[74:75], v[128:129], v[112:113] op_sel:[1,1] op_sel_hi:[0,1]
	v_pk_mul_f32 v[76:77], v[184:185], v[76:77] op_sel_hi:[1,0]
	s_wait_loadcnt 0x3
	v_pk_mul_f32 v[78:79], v[132:133], v[116:117] op_sel:[1,1] op_sel_hi:[0,1]
	s_wait_loadcnt 0x2
	v_pk_mul_f32 v[84:85], v[136:137], v[120:121] op_sel:[1,1] op_sel_hi:[0,1]
	v_add_f32_e32 v7, v7, v35
	v_pk_fma_f32 v[86:87], v[128:129], v[112:113], v[74:75] op_sel_hi:[1,0,1]
	v_pk_fma_f32 v[74:75], v[128:129], v[112:113], v[74:75] neg_lo:[0,0,1] neg_hi:[0,0,1]
	v_mov_b32_e32 v82, v119
	s_delay_alu instid0(VALU_DEP_4) | instskip(NEXT) | instid1(VALU_DEP_4)
	v_add_f32_e32 v7, v7, v37
	v_mov_b32_e32 v75, v87
	v_pk_fma_f32 v[86:87], v[130:131], v[114:115], v[76:77] op_sel_hi:[1,0,1]
	v_pk_fma_f32 v[76:77], v[130:131], v[114:115], v[76:77] neg_lo:[0,0,1] neg_hi:[0,0,1]
	v_pk_mul_f32 v[82:83], v[186:187], v[82:83] op_sel_hi:[1,0]
	v_add_f32_e32 v7, v7, v39
	s_delay_alu instid0(VALU_DEP_4) | instskip(NEXT) | instid1(VALU_DEP_2)
	v_mov_b32_e32 v77, v87
	v_add_f32_e32 v81, v7, v41
	s_delay_alu instid0(VALU_DEP_1) | instskip(NEXT) | instid1(VALU_DEP_1)
	v_pk_add_f32 v[80:81], v[80:81], v[190:191]
	v_pk_add_f32 v[80:81], v[80:81], v[192:193]
	s_delay_alu instid0(VALU_DEP_1) | instskip(SKIP_2) | instid1(VALU_DEP_3)
	v_pk_add_f32 v[72:73], v[80:81], v[72:73]
	v_pk_fma_f32 v[80:81], v[132:133], v[116:117], v[78:79] op_sel_hi:[1,0,1]
	v_pk_fma_f32 v[78:79], v[132:133], v[116:117], v[78:79] neg_lo:[0,0,1] neg_hi:[0,0,1]
	v_pk_add_f32 v[72:73], v[72:73], v[74:75]
	s_delay_alu instid0(VALU_DEP_3) | instskip(SKIP_2) | instid1(VALU_DEP_4)
	v_dual_mov_b32 v74, v123 :: v_dual_mov_b32 v79, v81
	v_pk_fma_f32 v[80:81], v[134:135], v[118:119], v[82:83] op_sel_hi:[1,0,1]
	v_pk_fma_f32 v[82:83], v[134:135], v[118:119], v[82:83] neg_lo:[0,0,1] neg_hi:[0,0,1]
	v_pk_add_f32 v[72:73], v[72:73], v[76:77]
	v_pk_fma_f32 v[76:77], v[136:137], v[120:121], v[84:85] op_sel_hi:[1,0,1]
	v_pk_mul_f32 v[74:75], v[188:189], v[74:75] op_sel_hi:[1,0]
	v_mov_b32_e32 v83, v81
	s_wait_loadcnt_dscnt 0x100
	v_pk_mul_f32 v[80:81], v[180:181], v[176:177] op_sel:[1,1] op_sel_hi:[0,1]
	v_pk_add_f32 v[72:73], v[72:73], v[78:79]
	v_pk_fma_f32 v[78:79], v[136:137], v[120:121], v[84:85] neg_lo:[0,0,1] neg_hi:[0,0,1]
	v_mov_b32_e32 v79, v77
	v_pk_fma_f32 v[76:77], v[138:139], v[122:123], v[74:75] op_sel_hi:[1,0,1]
	v_pk_fma_f32 v[74:75], v[138:139], v[122:123], v[74:75] neg_lo:[0,0,1] neg_hi:[0,0,1]
	v_pk_add_f32 v[72:73], v[72:73], v[82:83]
	s_delay_alu instid0(VALU_DEP_3) | instskip(SKIP_1) | instid1(VALU_DEP_3)
	v_mov_b32_e32 v75, v77
	v_pk_fma_f32 v[76:77], v[180:181], v[176:177], v[80:81] op_sel_hi:[1,0,1]
	v_pk_add_f32 v[72:73], v[72:73], v[78:79]
	v_pk_fma_f32 v[78:79], v[180:181], v[176:177], v[80:81] neg_lo:[0,0,1] neg_hi:[0,0,1]
	s_delay_alu instid0(VALU_DEP_3) | instskip(NEXT) | instid1(VALU_DEP_3)
	v_mov_b32_e32 v79, v77
	v_pk_add_f32 v[72:73], v[72:73], v[74:75]
	s_delay_alu instid0(VALU_DEP_1) | instskip(SKIP_1) | instid1(VALU_DEP_1)
	v_pk_add_f32 v[72:73], v[72:73], v[78:79]
	s_wait_loadcnt 0x0
	v_pk_add_f32 v[72:73], v[178:179], v[72:73] neg_lo:[0,1] neg_hi:[0,1]
	scratch_store_b64 off, v[72:73], off offset:56
	s_wait_xcnt 0x0
	v_cmpx_lt_u32_e32 6, v0
	s_cbranch_execz .LBB34_211
; %bb.210:
	scratch_load_b64 v[72:73], off, off offset:48
	v_mov_b64_e32 v[74:75], 0
	scratch_store_b64 off, v[74:75], off offset:48
	s_wait_loadcnt 0x0
	ds_store_b64 v1, v[72:73]
.LBB34_211:
	s_wait_xcnt 0x0
	s_or_b32 exec_lo, exec_lo, s0
	s_wait_storecnt_dscnt 0x0
	s_barrier_signal -1
	s_barrier_wait -1
	s_clause 0xe
	scratch_load_b128 v[72:75], off, off offset:56
	scratch_load_b128 v[76:79], off, off offset:72
	;; [unrolled: 1-line block ×14, first 2 shown]
	scratch_load_b64 v[184:185], off, off offset:48
	ds_load_2addr_b64 v[128:131], v3 offset0:63 offset1:64
	ds_load_2addr_b64 v[132:135], v3 offset0:65 offset1:66
	;; [unrolled: 1-line block ×14, first 2 shown]
	s_mov_b32 s0, exec_lo
	s_wait_dscnt 0xd
	v_dual_mov_b32 v186, v131 :: v_dual_mov_b32 v187, v130
	s_wait_dscnt 0xc
	v_dual_mov_b32 v188, v135 :: v_dual_mov_b32 v189, v134
	s_wait_dscnt 0xb
	v_dual_mov_b32 v190, v139 :: v_dual_mov_b32 v191, v138
	s_wait_dscnt 0xa
	v_dual_mov_b32 v192, v143 :: v_dual_mov_b32 v193, v142
	s_wait_loadcnt_dscnt 0xe09
	v_dual_mul_f32 v3, v144, v73 :: v_dual_mul_f32 v7, v146, v75
	v_dual_mul_f32 v43, v145, v73 :: v_dual_mul_f32 v45, v147, v75
	s_wait_loadcnt_dscnt 0xd08
	v_dual_mul_f32 v11, v148, v77 :: v_dual_mul_f32 v13, v150, v79
	s_delay_alu instid0(VALU_DEP_3)
	v_fmac_f32_e32 v3, v145, v72
	s_wait_loadcnt_dscnt 0xb06
	v_dual_fma_f32 v43, v144, v72, -v43 :: v_dual_mul_f32 v55, v157, v85
	v_dual_mul_f32 v47, v149, v77 :: v_dual_mul_f32 v49, v151, v79
	v_dual_fma_f32 v45, v146, v74, -v45 :: v_dual_fmac_f32 v7, v147, v74
	v_add_f32_e32 v3, 0, v3
	s_delay_alu instid0(VALU_DEP_4) | instskip(NEXT) | instid1(VALU_DEP_4)
	v_dual_add_f32 v43, 0, v43 :: v_dual_fmac_f32 v11, v149, v76
	v_dual_mul_f32 v57, v159, v87 :: v_dual_fma_f32 v47, v148, v76, -v47
	s_delay_alu instid0(VALU_DEP_3) | instskip(NEXT) | instid1(VALU_DEP_3)
	v_add_f32_e32 v3, v3, v7
	v_dual_add_f32 v7, v43, v45 :: v_dual_fma_f32 v45, v150, v78, -v49
	v_dual_mul_f32 v15, v152, v81 :: v_dual_mul_f32 v17, v154, v83
	v_dual_mul_f32 v51, v153, v81 :: v_dual_mul_f32 v53, v155, v83
	s_wait_loadcnt_dscnt 0xa05
	v_dual_mul_f32 v43, v161, v89 :: v_dual_fmac_f32 v13, v151, v78
	s_delay_alu instid0(VALU_DEP_3) | instskip(SKIP_2) | instid1(VALU_DEP_3)
	v_dual_fmac_f32 v15, v153, v80 :: v_dual_add_f32 v3, v3, v11
	v_dual_add_f32 v7, v7, v47 :: v_dual_mul_f32 v19, v156, v85
	v_dual_mul_f32 v21, v158, v87 :: v_dual_fma_f32 v47, v152, v80, -v51
	v_add_f32_e32 v3, v3, v13
	s_wait_loadcnt_dscnt 0x904
	v_mul_f32_e32 v13, v165, v93
	v_add_f32_e32 v7, v7, v45
	v_dual_mul_f32 v11, v163, v91 :: v_dual_fma_f32 v45, v154, v82, -v53
	v_dual_mul_f32 v27, v164, v93 :: v_dual_mul_f32 v29, v166, v95
	s_delay_alu instid0(VALU_DEP_3) | instskip(SKIP_2) | instid1(VALU_DEP_3)
	v_dual_add_f32 v7, v7, v47 :: v_dual_fma_f32 v47, v156, v84, -v55
	v_dual_mul_f32 v23, v160, v89 :: v_dual_mul_f32 v25, v162, v91
	v_fmac_f32_e32 v17, v155, v82
	v_dual_add_f32 v7, v7, v45 :: v_dual_fmac_f32 v27, v165, v92
	v_dual_fmac_f32 v19, v157, v84 :: v_dual_add_f32 v3, v3, v15
	s_delay_alu instid0(VALU_DEP_2) | instskip(SKIP_2) | instid1(VALU_DEP_4)
	v_dual_fma_f32 v45, v158, v86, -v57 :: v_dual_add_f32 v7, v7, v47
	v_dual_fma_f32 v13, v164, v92, -v13 :: v_dual_mul_f32 v15, v167, v95
	v_fma_f32 v43, v160, v88, -v43
	v_dual_fmac_f32 v23, v161, v88 :: v_dual_add_f32 v3, v3, v17
	s_wait_loadcnt_dscnt 0x803
	v_dual_fma_f32 v11, v162, v90, -v11 :: v_dual_mul_f32 v17, v169, v97
	v_add_f32_e32 v7, v7, v45
	s_wait_loadcnt_dscnt 0x702
	v_dual_mul_f32 v35, v172, v101 :: v_dual_mul_f32 v37, v174, v103
	s_wait_loadcnt_dscnt 0x601
	v_dual_mul_f32 v39, v176, v105 :: v_dual_mul_f32 v41, v178, v107
	v_dual_fma_f32 v17, v168, v96, -v17 :: v_dual_add_f32 v7, v7, v43
	s_delay_alu instid0(VALU_DEP_3) | instskip(SKIP_2) | instid1(VALU_DEP_4)
	v_dual_fmac_f32 v35, v173, v100 :: v_dual_fmac_f32 v21, v159, v86
	v_dual_add_f32 v3, v3, v19 :: v_dual_mul_f32 v31, v168, v97
	v_mul_f32_e32 v33, v170, v99
	v_dual_add_f32 v7, v7, v11 :: v_dual_fmac_f32 v39, v177, v104
	s_wait_loadcnt_dscnt 0x500
	v_dual_mul_f32 v195, v180, v109 :: v_dual_mul_f32 v197, v182, v111
	v_dual_mul_f32 v19, v171, v99 :: v_dual_fma_f32 v15, v166, v94, -v15
	v_mul_f32_e32 v11, v177, v105
	v_dual_add_f32 v3, v3, v21 :: v_dual_fmac_f32 v31, v169, v96
	s_delay_alu instid0(VALU_DEP_4) | instskip(SKIP_1) | instid1(VALU_DEP_3)
	v_dual_add_f32 v7, v7, v13 :: v_dual_fmac_f32 v195, v181, v108
	v_dual_mul_f32 v21, v173, v101 :: v_dual_fmac_f32 v25, v163, v90
	v_dual_add_f32 v3, v3, v23 :: v_dual_fma_f32 v19, v170, v98, -v19
	s_delay_alu instid0(VALU_DEP_3) | instskip(NEXT) | instid1(VALU_DEP_3)
	v_add_f32_e32 v7, v7, v15
	v_dual_mul_f32 v23, v175, v103 :: v_dual_fma_f32 v21, v172, v100, -v21
	v_mul_f32_e32 v15, v181, v109
	s_delay_alu instid0(VALU_DEP_4) | instskip(NEXT) | instid1(VALU_DEP_4)
	v_add_f32_e32 v3, v3, v25
	v_add_f32_e32 v7, v7, v17
	v_dual_fmac_f32 v29, v167, v94 :: v_dual_fma_f32 v11, v176, v104, -v11
	v_dual_mul_f32 v13, v179, v107 :: v_dual_fmac_f32 v41, v179, v106
	s_delay_alu instid0(VALU_DEP_3) | instskip(NEXT) | instid1(VALU_DEP_2)
	v_dual_add_f32 v7, v7, v19 :: v_dual_fma_f32 v19, v174, v102, -v23
	v_dual_add_f32 v3, v3, v27 :: v_dual_fma_f32 v13, v178, v106, -v13
	v_dual_fmac_f32 v33, v171, v98 :: v_dual_fma_f32 v194, v180, v108, -v15
	v_fmac_f32_e32 v37, v175, v102
	s_delay_alu instid0(VALU_DEP_3)
	v_add_f32_e32 v3, v3, v29
	v_add_f32_e32 v7, v7, v21
	v_dual_mul_f32 v17, v183, v111 :: v_dual_fmac_f32 v197, v183, v110
	s_wait_loadcnt 0x4
	v_pk_mul_f32 v[72:73], v[128:129], v[112:113] op_sel:[1,1] op_sel_hi:[0,1]
	v_add_f32_e32 v3, v3, v31
	v_add_f32_e32 v7, v7, v19
	s_wait_loadcnt 0x3
	v_dual_mov_b32 v74, v115 :: v_dual_mov_b32 v78, v119
	s_delay_alu instid0(VALU_DEP_3) | instskip(NEXT) | instid1(VALU_DEP_3)
	v_dual_fma_f32 v196, v182, v110, -v17 :: v_dual_add_f32 v3, v3, v33
	v_add_f32_e32 v7, v7, v11
	v_pk_fma_f32 v[82:83], v[128:129], v[112:113], v[72:73] op_sel_hi:[1,0,1]
	s_delay_alu instid0(VALU_DEP_4)
	v_pk_mul_f32 v[74:75], v[186:187], v[74:75] op_sel_hi:[1,0]
	v_pk_fma_f32 v[72:73], v[128:129], v[112:113], v[72:73] neg_lo:[0,0,1] neg_hi:[0,0,1]
	v_add_f32_e32 v3, v3, v35
	v_add_f32_e32 v80, v7, v13
	v_pk_mul_f32 v[76:77], v[132:133], v[116:117] op_sel:[1,1] op_sel_hi:[0,1]
	v_mov_b32_e32 v73, v83
	v_pk_fma_f32 v[82:83], v[130:131], v[114:115], v[74:75] op_sel_hi:[1,0,1]
	v_add_f32_e32 v3, v3, v37
	v_pk_fma_f32 v[74:75], v[130:131], v[114:115], v[74:75] neg_lo:[0,0,1] neg_hi:[0,0,1]
	v_pk_fma_f32 v[86:87], v[132:133], v[116:117], v[76:77] op_sel_hi:[1,0,1]
	v_pk_mul_f32 v[78:79], v[188:189], v[78:79] op_sel_hi:[1,0]
	v_mov_b32_e32 v75, v83
	v_add_f32_e32 v3, v3, v39
	s_wait_loadcnt 0x2
	v_pk_mul_f32 v[84:85], v[136:137], v[120:121] op_sel:[1,1] op_sel_hi:[0,1]
	v_pk_fma_f32 v[76:77], v[132:133], v[116:117], v[76:77] neg_lo:[0,0,1] neg_hi:[0,0,1]
	v_mov_b32_e32 v77, v87
	v_pk_fma_f32 v[82:83], v[134:135], v[118:119], v[78:79] op_sel_hi:[1,0,1]
	v_add_f32_e32 v81, v3, v41
	v_pk_fma_f32 v[78:79], v[134:135], v[118:119], v[78:79] neg_lo:[0,0,1] neg_hi:[0,0,1]
	s_delay_alu instid0(VALU_DEP_2) | instskip(NEXT) | instid1(VALU_DEP_1)
	v_pk_add_f32 v[80:81], v[80:81], v[194:195]
	v_pk_add_f32 v[80:81], v[80:81], v[196:197]
	s_delay_alu instid0(VALU_DEP_1) | instskip(SKIP_1) | instid1(VALU_DEP_2)
	v_pk_add_f32 v[72:73], v[80:81], v[72:73]
	v_mov_b32_e32 v80, v123
	v_pk_add_f32 v[72:73], v[72:73], v[74:75]
	v_pk_fma_f32 v[74:75], v[136:137], v[120:121], v[84:85] op_sel_hi:[1,0,1]
	s_delay_alu instid0(VALU_DEP_3)
	v_pk_mul_f32 v[80:81], v[190:191], v[80:81] op_sel_hi:[1,0]
	v_mov_b32_e32 v79, v83
	v_pk_fma_f32 v[82:83], v[136:137], v[120:121], v[84:85] neg_lo:[0,0,1] neg_hi:[0,0,1]
	v_pk_add_f32 v[72:73], v[72:73], v[76:77]
	v_mov_b32_e32 v83, v75
	v_pk_fma_f32 v[74:75], v[138:139], v[122:123], v[80:81] op_sel_hi:[1,0,1]
	s_wait_loadcnt 0x1
	v_pk_mul_f32 v[76:77], v[140:141], v[124:125] op_sel:[1,1] op_sel_hi:[0,1]
	v_mov_b32_e32 v74, v127
	v_pk_add_f32 v[72:73], v[72:73], v[78:79]
	v_pk_fma_f32 v[80:81], v[138:139], v[122:123], v[80:81] neg_lo:[0,0,1] neg_hi:[0,0,1]
	v_mov_b32_e32 v81, v75
	v_pk_fma_f32 v[78:79], v[140:141], v[124:125], v[76:77] op_sel_hi:[1,0,1]
	v_pk_mul_f32 v[74:75], v[192:193], v[74:75] op_sel_hi:[1,0]
	v_pk_add_f32 v[72:73], v[72:73], v[82:83]
	v_pk_fma_f32 v[76:77], v[140:141], v[124:125], v[76:77] neg_lo:[0,0,1] neg_hi:[0,0,1]
	s_delay_alu instid0(VALU_DEP_4) | instskip(NEXT) | instid1(VALU_DEP_4)
	v_mov_b32_e32 v77, v79
	v_pk_fma_f32 v[78:79], v[142:143], v[126:127], v[74:75] op_sel_hi:[1,0,1]
	s_delay_alu instid0(VALU_DEP_4) | instskip(SKIP_1) | instid1(VALU_DEP_3)
	v_pk_add_f32 v[72:73], v[72:73], v[80:81]
	v_pk_fma_f32 v[74:75], v[142:143], v[126:127], v[74:75] neg_lo:[0,0,1] neg_hi:[0,0,1]
	v_mov_b32_e32 v75, v79
	s_delay_alu instid0(VALU_DEP_3) | instskip(NEXT) | instid1(VALU_DEP_1)
	v_pk_add_f32 v[72:73], v[72:73], v[76:77]
	v_pk_add_f32 v[72:73], v[72:73], v[74:75]
	s_wait_loadcnt 0x0
	s_delay_alu instid0(VALU_DEP_1)
	v_pk_add_f32 v[72:73], v[184:185], v[72:73] neg_lo:[0,1] neg_hi:[0,1]
	scratch_store_b64 off, v[72:73], off offset:48
	s_wait_xcnt 0x0
	v_cmpx_lt_u32_e32 5, v0
	s_cbranch_execz .LBB34_213
; %bb.212:
	scratch_load_b64 v[72:73], off, off offset:40
	v_mov_b64_e32 v[74:75], 0
	scratch_store_b64 off, v[74:75], off offset:40
	s_wait_loadcnt 0x0
	ds_store_b64 v1, v[72:73]
.LBB34_213:
	s_wait_xcnt 0x0
	s_or_b32 exec_lo, exec_lo, s0
	s_wait_storecnt_dscnt 0x0
	s_barrier_signal -1
	s_barrier_wait -1
	s_clause 0xf
	scratch_load_b128 v[72:75], off, off offset:48
	scratch_load_b128 v[76:79], off, off offset:64
	;; [unrolled: 1-line block ×14, first 2 shown]
	scratch_load_b64 v[184:185], off, off offset:272
	scratch_load_b64 v[186:187], off, off offset:40
	v_mov_b32_e32 v3, 0
	ds_load_b128 v[128:131], v3 offset:496
	ds_load_b128 v[132:135], v3 offset:512
	;; [unrolled: 1-line block ×14, first 2 shown]
	ds_load_b64 v[188:189], v3 offset:560
	s_mov_b32 s0, exec_lo
	s_wait_dscnt 0xe
	v_dual_mov_b32 v190, v131 :: v_dual_mov_b32 v191, v130
	s_wait_dscnt 0xb
	v_dual_mov_b32 v192, v135 :: v_dual_mov_b32 v197, v142
	v_dual_mov_b32 v193, v134 :: v_dual_mov_b32 v194, v139
	;; [unrolled: 1-line block ×3, first 2 shown]
	s_wait_loadcnt_dscnt 0xf0a
	v_dual_mul_f32 v7, v144, v73 :: v_dual_mul_f32 v47, v145, v73
	v_dual_mul_f32 v49, v147, v75 :: v_dual_mul_f32 v11, v146, v75
	s_wait_loadcnt_dscnt 0xe09
	v_mul_f32_e32 v13, v148, v77
	s_wait_loadcnt_dscnt 0xc07
	v_dual_mul_f32 v59, v157, v85 :: v_dual_fma_f32 v47, v144, v72, -v47
	v_dual_fmac_f32 v7, v145, v72 :: v_dual_mul_f32 v61, v159, v87
	v_dual_mul_f32 v51, v149, v77 :: v_dual_mul_f32 v53, v151, v79
	v_dual_fmac_f32 v11, v147, v74 :: v_dual_fma_f32 v49, v146, v74, -v49
	s_wait_loadcnt_dscnt 0xb06
	s_delay_alu instid0(VALU_DEP_3) | instskip(SKIP_1) | instid1(VALU_DEP_2)
	v_dual_add_f32 v7, 0, v7 :: v_dual_mul_f32 v63, v161, v89
	v_dual_add_f32 v47, 0, v47 :: v_dual_fmac_f32 v13, v149, v76
	v_dual_fma_f32 v51, v148, v76, -v51 :: v_dual_add_f32 v7, v7, v11
	v_dual_mul_f32 v55, v153, v81 :: v_dual_mul_f32 v57, v155, v83
	s_delay_alu instid0(VALU_DEP_3) | instskip(SKIP_2) | instid1(VALU_DEP_3)
	v_dual_add_f32 v11, v47, v49 :: v_dual_fma_f32 v49, v150, v78, -v53
	v_dual_mul_f32 v15, v150, v79 :: v_dual_mul_f32 v17, v152, v81
	v_dual_mul_f32 v19, v154, v83 :: v_dual_mul_f32 v21, v156, v85
	v_add_f32_e32 v11, v11, v51
	v_dual_add_f32 v7, v7, v13 :: v_dual_fma_f32 v51, v152, v80, -v55
	v_dual_mul_f32 v23, v158, v87 :: v_dual_mul_f32 v25, v160, v89
	s_delay_alu instid0(VALU_DEP_3) | instskip(SKIP_1) | instid1(VALU_DEP_2)
	v_dual_add_f32 v11, v11, v49 :: v_dual_fmac_f32 v21, v157, v84
	v_dual_fmac_f32 v15, v151, v78 :: v_dual_fmac_f32 v17, v153, v80
	v_dual_fma_f32 v49, v154, v82, -v57 :: v_dual_add_f32 v11, v11, v51
	s_delay_alu instid0(VALU_DEP_4) | instskip(SKIP_1) | instid1(VALU_DEP_3)
	v_dual_fmac_f32 v25, v161, v88 :: v_dual_mul_f32 v47, v163, v91
	s_wait_loadcnt_dscnt 0xa05
	v_dual_mul_f32 v13, v165, v93 :: v_dual_add_f32 v7, v7, v15
	v_dual_mul_f32 v15, v167, v95 :: v_dual_fma_f32 v51, v156, v84, -v59
	s_delay_alu instid0(VALU_DEP_3) | instskip(SKIP_1) | instid1(VALU_DEP_4)
	v_dual_add_f32 v11, v11, v49 :: v_dual_fma_f32 v47, v162, v90, -v47
	v_fmac_f32_e32 v19, v155, v82
	v_dual_add_f32 v7, v7, v17 :: v_dual_fma_f32 v49, v158, v86, -v61
	s_delay_alu instid0(VALU_DEP_3) | instskip(SKIP_2) | instid1(VALU_DEP_3)
	v_dual_add_f32 v11, v11, v51 :: v_dual_fma_f32 v15, v166, v94, -v15
	s_wait_loadcnt_dscnt 0x904
	v_dual_mul_f32 v31, v166, v95 :: v_dual_mul_f32 v33, v168, v97
	v_dual_add_f32 v7, v7, v19 :: v_dual_fma_f32 v51, v160, v88, -v63
	s_delay_alu instid0(VALU_DEP_3) | instskip(SKIP_4) | instid1(VALU_DEP_3)
	v_dual_add_f32 v11, v11, v49 :: v_dual_mul_f32 v27, v162, v91
	v_dual_mul_f32 v29, v164, v93 :: v_dual_mul_f32 v35, v170, v99
	s_wait_loadcnt_dscnt 0x803
	v_mul_f32_e32 v37, v172, v101
	v_dual_mul_f32 v17, v169, v97 :: v_dual_fmac_f32 v23, v159, v86
	v_dual_fmac_f32 v29, v165, v92 :: v_dual_add_f32 v7, v7, v21
	v_fma_f32 v13, v164, v92, -v13
	v_dual_fmac_f32 v33, v169, v96 :: v_dual_add_f32 v11, v11, v51
	s_delay_alu instid0(VALU_DEP_3) | instskip(SKIP_1) | instid1(VALU_DEP_3)
	v_dual_fmac_f32 v37, v173, v100 :: v_dual_add_f32 v7, v7, v23
	v_dual_mul_f32 v23, v175, v103 :: v_dual_fma_f32 v17, v168, v96, -v17
	v_add_f32_e32 v11, v11, v47
	s_wait_loadcnt_dscnt 0x601
	v_dual_mul_f32 v43, v178, v107 :: v_dual_mul_f32 v45, v180, v109
	s_wait_loadcnt 0x4
	v_dual_mov_b32 v72, v115 :: v_dual_mov_b32 v76, v119
	v_dual_add_f32 v11, v11, v13 :: v_dual_mul_f32 v199, v182, v111
	v_dual_mul_f32 v201, v128, v113 :: v_dual_mul_f32 v19, v171, v99
	s_delay_alu instid0(VALU_DEP_2) | instskip(NEXT) | instid1(VALU_DEP_3)
	v_dual_fmac_f32 v45, v181, v108 :: v_dual_add_f32 v11, v11, v15
	v_dual_mul_f32 v15, v183, v111 :: v_dual_fmac_f32 v199, v183, v110
	v_pk_mul_f32 v[72:73], v[190:191], v[72:73] op_sel_hi:[1,0]
	v_dual_mul_f32 v21, v173, v101 :: v_dual_fmac_f32 v27, v163, v90
	v_mul_f32_e32 v13, v181, v109
	v_add_f32_e32 v7, v7, v25
	v_dual_mul_f32 v25, v177, v105 :: v_dual_fma_f32 v19, v170, v98, -v19
	v_fma_f32 v198, v182, v110, -v15
	v_pk_fma_f32 v[84:85], v[130:131], v[114:115], v[72:73] op_sel_hi:[1,0,1]
	v_add_f32_e32 v11, v11, v17
	v_pk_fma_f32 v[72:73], v[130:131], v[114:115], v[72:73] neg_lo:[0,0,1] neg_hi:[0,0,1]
	v_dual_mul_f32 v39, v174, v103 :: v_dual_mul_f32 v41, v176, v105
	v_dual_mul_f32 v17, v129, v113 :: v_dual_add_f32 v7, v7, v27
	v_dual_fma_f32 v21, v172, v100, -v21 :: v_dual_mov_b32 v73, v85
	v_add_f32_e32 v11, v11, v19
	s_delay_alu instid0(VALU_DEP_4) | instskip(SKIP_2) | instid1(VALU_DEP_4)
	v_dual_mul_f32 v27, v179, v107 :: v_dual_fmac_f32 v41, v177, v104
	v_fmac_f32_e32 v31, v167, v94
	v_dual_add_f32 v7, v7, v29 :: v_dual_fma_f32 v19, v174, v102, -v23
	v_dual_add_f32 v11, v11, v21 :: v_dual_fma_f32 v21, v176, v104, -v25
	v_dual_fmac_f32 v35, v171, v98 :: v_dual_fmac_f32 v201, v129, v112
	s_delay_alu instid0(VALU_DEP_2) | instskip(NEXT) | instid1(VALU_DEP_4)
	v_dual_fma_f32 v13, v180, v108, -v13 :: v_dual_add_f32 v11, v11, v19
	v_dual_fma_f32 v19, v178, v106, -v27 :: v_dual_add_f32 v7, v7, v31
	v_dual_fma_f32 v200, v128, v112, -v17 :: v_dual_fmac_f32 v39, v175, v102
	v_fmac_f32_e32 v43, v179, v106
	s_delay_alu instid0(VALU_DEP_4) | instskip(NEXT) | instid1(VALU_DEP_4)
	v_add_f32_e32 v11, v11, v21
	v_add_f32_e32 v7, v7, v33
	v_pk_mul_f32 v[74:75], v[132:133], v[116:117] op_sel:[1,1] op_sel_hi:[0,1]
	v_pk_mul_f32 v[76:77], v[192:193], v[76:77] op_sel_hi:[1,0]
	s_wait_loadcnt 0x3
	v_pk_mul_f32 v[78:79], v[136:137], v[120:121] op_sel:[1,1] op_sel_hi:[0,1]
	v_add_f32_e32 v11, v11, v19
	v_add_f32_e32 v7, v7, v35
	v_pk_fma_f32 v[86:87], v[132:133], v[116:117], v[74:75] op_sel_hi:[1,0,1]
	v_pk_fma_f32 v[74:75], v[132:133], v[116:117], v[74:75] neg_lo:[0,0,1] neg_hi:[0,0,1]
	v_mov_b32_e32 v82, v123
	v_add_f32_e32 v80, v11, v13
	v_add_f32_e32 v7, v7, v37
	v_mov_b32_e32 v75, v87
	v_pk_fma_f32 v[86:87], v[134:135], v[118:119], v[76:77] op_sel_hi:[1,0,1]
	v_pk_fma_f32 v[76:77], v[134:135], v[118:119], v[76:77] neg_lo:[0,0,1] neg_hi:[0,0,1]
	v_pk_mul_f32 v[82:83], v[194:195], v[82:83] op_sel_hi:[1,0]
	v_add_f32_e32 v7, v7, v39
	s_wait_loadcnt 0x2
	v_pk_mul_f32 v[84:85], v[140:141], v[124:125] op_sel:[1,1] op_sel_hi:[0,1]
	v_mov_b32_e32 v77, v87
	s_delay_alu instid0(VALU_DEP_3) | instskip(NEXT) | instid1(VALU_DEP_1)
	v_add_f32_e32 v7, v7, v41
	v_add_f32_e32 v7, v7, v43
	s_delay_alu instid0(VALU_DEP_1) | instskip(NEXT) | instid1(VALU_DEP_1)
	v_add_f32_e32 v81, v7, v45
	v_pk_add_f32 v[80:81], v[80:81], v[198:199]
	s_delay_alu instid0(VALU_DEP_1) | instskip(NEXT) | instid1(VALU_DEP_1)
	v_pk_add_f32 v[80:81], v[80:81], v[200:201]
	v_pk_add_f32 v[72:73], v[80:81], v[72:73]
	v_pk_fma_f32 v[80:81], v[136:137], v[120:121], v[78:79] op_sel_hi:[1,0,1]
	v_pk_fma_f32 v[78:79], v[136:137], v[120:121], v[78:79] neg_lo:[0,0,1] neg_hi:[0,0,1]
	s_delay_alu instid0(VALU_DEP_3) | instskip(NEXT) | instid1(VALU_DEP_3)
	v_pk_add_f32 v[72:73], v[72:73], v[74:75]
	v_dual_mov_b32 v74, v127 :: v_dual_mov_b32 v79, v81
	v_pk_fma_f32 v[80:81], v[138:139], v[122:123], v[82:83] op_sel_hi:[1,0,1]
	v_pk_fma_f32 v[82:83], v[138:139], v[122:123], v[82:83] neg_lo:[0,0,1] neg_hi:[0,0,1]
	s_delay_alu instid0(VALU_DEP_4)
	v_pk_add_f32 v[72:73], v[72:73], v[76:77]
	v_pk_fma_f32 v[76:77], v[140:141], v[124:125], v[84:85] op_sel_hi:[1,0,1]
	v_pk_mul_f32 v[74:75], v[196:197], v[74:75] op_sel_hi:[1,0]
	v_mov_b32_e32 v83, v81
	s_wait_loadcnt_dscnt 0x100
	v_pk_mul_f32 v[80:81], v[188:189], v[184:185] op_sel:[1,1] op_sel_hi:[0,1]
	v_pk_add_f32 v[72:73], v[72:73], v[78:79]
	v_pk_fma_f32 v[78:79], v[140:141], v[124:125], v[84:85] neg_lo:[0,0,1] neg_hi:[0,0,1]
	v_mov_b32_e32 v79, v77
	v_pk_fma_f32 v[76:77], v[142:143], v[126:127], v[74:75] op_sel_hi:[1,0,1]
	v_pk_fma_f32 v[74:75], v[142:143], v[126:127], v[74:75] neg_lo:[0,0,1] neg_hi:[0,0,1]
	v_pk_add_f32 v[72:73], v[72:73], v[82:83]
	s_delay_alu instid0(VALU_DEP_3) | instskip(SKIP_1) | instid1(VALU_DEP_3)
	v_mov_b32_e32 v75, v77
	v_pk_fma_f32 v[76:77], v[188:189], v[184:185], v[80:81] op_sel_hi:[1,0,1]
	v_pk_add_f32 v[72:73], v[72:73], v[78:79]
	v_pk_fma_f32 v[78:79], v[188:189], v[184:185], v[80:81] neg_lo:[0,0,1] neg_hi:[0,0,1]
	s_delay_alu instid0(VALU_DEP_3) | instskip(NEXT) | instid1(VALU_DEP_3)
	v_mov_b32_e32 v79, v77
	v_pk_add_f32 v[72:73], v[72:73], v[74:75]
	s_delay_alu instid0(VALU_DEP_1) | instskip(SKIP_1) | instid1(VALU_DEP_1)
	v_pk_add_f32 v[72:73], v[72:73], v[78:79]
	s_wait_loadcnt 0x0
	v_pk_add_f32 v[72:73], v[186:187], v[72:73] neg_lo:[0,1] neg_hi:[0,1]
	scratch_store_b64 off, v[72:73], off offset:40
	s_wait_xcnt 0x0
	v_cmpx_lt_u32_e32 4, v0
	s_cbranch_execz .LBB34_215
; %bb.214:
	scratch_load_b64 v[72:73], off, off offset:32
	v_mov_b64_e32 v[74:75], 0
	scratch_store_b64 off, v[74:75], off offset:32
	s_wait_loadcnt 0x0
	ds_store_b64 v1, v[72:73]
.LBB34_215:
	s_wait_xcnt 0x0
	s_or_b32 exec_lo, exec_lo, s0
	s_wait_storecnt_dscnt 0x0
	s_barrier_signal -1
	s_barrier_wait -1
	s_clause 0xf
	scratch_load_b128 v[72:75], off, off offset:40
	scratch_load_b128 v[76:79], off, off offset:56
	;; [unrolled: 1-line block ×15, first 2 shown]
	scratch_load_b64 v[192:193], off, off offset:32
	ds_load_2addr_b64 v[132:135], v3 offset0:63 offset1:64
	ds_load_2addr_b64 v[136:139], v3 offset0:65 offset1:66
	;; [unrolled: 1-line block ×15, first 2 shown]
	s_mov_b32 s0, exec_lo
	s_wait_dscnt 0xe
	v_dual_mov_b32 v194, v135 :: v_dual_mov_b32 v195, v134
	s_wait_dscnt 0xd
	v_dual_mov_b32 v196, v139 :: v_dual_mov_b32 v197, v138
	;; [unrolled: 2-line block ×4, first 2 shown]
	s_wait_loadcnt_dscnt 0xf0a
	v_dual_mul_f32 v3, v148, v73 :: v_dual_mul_f32 v7, v150, v75
	v_dual_mul_f32 v47, v149, v73 :: v_dual_mul_f32 v49, v151, v75
	s_wait_loadcnt_dscnt 0xe09
	v_dual_mul_f32 v11, v152, v77 :: v_dual_mul_f32 v13, v154, v79
	s_delay_alu instid0(VALU_DEP_3)
	v_fmac_f32_e32 v3, v149, v72
	s_wait_loadcnt_dscnt 0xc06
	v_dual_fma_f32 v47, v148, v72, -v47 :: v_dual_mul_f32 v59, v165, v85
	v_dual_mul_f32 v51, v153, v77 :: v_dual_mul_f32 v53, v155, v79
	v_dual_fma_f32 v49, v150, v74, -v49 :: v_dual_fmac_f32 v7, v151, v74
	v_add_f32_e32 v3, 0, v3
	s_delay_alu instid0(VALU_DEP_4) | instskip(NEXT) | instid1(VALU_DEP_4)
	v_dual_add_f32 v47, 0, v47 :: v_dual_fmac_f32 v11, v153, v76
	v_dual_mul_f32 v61, v167, v87 :: v_dual_fma_f32 v51, v152, v76, -v51
	s_delay_alu instid0(VALU_DEP_3) | instskip(NEXT) | instid1(VALU_DEP_3)
	v_add_f32_e32 v3, v3, v7
	v_dual_add_f32 v7, v47, v49 :: v_dual_fma_f32 v49, v154, v78, -v53
	v_dual_mul_f32 v15, v160, v81 :: v_dual_mul_f32 v17, v162, v83
	v_dual_mul_f32 v55, v161, v81 :: v_dual_mul_f32 v57, v163, v83
	s_wait_loadcnt_dscnt 0xb05
	v_dual_mul_f32 v47, v169, v89 :: v_dual_fmac_f32 v13, v155, v78
	s_delay_alu instid0(VALU_DEP_3) | instskip(SKIP_2) | instid1(VALU_DEP_3)
	v_dual_fmac_f32 v15, v161, v80 :: v_dual_add_f32 v3, v3, v11
	v_dual_add_f32 v7, v7, v51 :: v_dual_mul_f32 v19, v164, v85
	v_dual_mul_f32 v21, v166, v87 :: v_dual_fma_f32 v51, v160, v80, -v55
	v_add_f32_e32 v3, v3, v13
	s_wait_loadcnt_dscnt 0xa04
	v_mul_f32_e32 v13, v173, v93
	v_add_f32_e32 v7, v7, v49
	v_dual_mul_f32 v11, v171, v91 :: v_dual_fma_f32 v49, v162, v82, -v57
	v_dual_mul_f32 v27, v172, v93 :: v_dual_mul_f32 v29, v174, v95
	s_delay_alu instid0(VALU_DEP_3) | instskip(SKIP_2) | instid1(VALU_DEP_3)
	v_dual_add_f32 v7, v7, v51 :: v_dual_fma_f32 v51, v164, v84, -v59
	v_dual_mul_f32 v23, v168, v89 :: v_dual_mul_f32 v25, v170, v91
	v_fmac_f32_e32 v17, v163, v82
	v_dual_add_f32 v7, v7, v49 :: v_dual_fmac_f32 v27, v173, v92
	v_dual_fmac_f32 v19, v165, v84 :: v_dual_add_f32 v3, v3, v15
	s_delay_alu instid0(VALU_DEP_2) | instskip(SKIP_2) | instid1(VALU_DEP_4)
	v_dual_fma_f32 v49, v166, v86, -v61 :: v_dual_add_f32 v7, v7, v51
	v_dual_fma_f32 v13, v172, v92, -v13 :: v_dual_mul_f32 v15, v175, v95
	v_fma_f32 v47, v168, v88, -v47
	v_dual_fmac_f32 v23, v169, v88 :: v_dual_add_f32 v3, v3, v17
	s_wait_loadcnt_dscnt 0x903
	v_dual_fma_f32 v11, v170, v90, -v11 :: v_dual_mul_f32 v17, v177, v97
	v_add_f32_e32 v7, v7, v49
	s_wait_loadcnt_dscnt 0x802
	v_dual_mul_f32 v35, v180, v101 :: v_dual_mul_f32 v37, v182, v103
	s_wait_loadcnt_dscnt 0x701
	v_dual_mul_f32 v39, v184, v105 :: v_dual_mul_f32 v41, v186, v107
	v_dual_fma_f32 v17, v176, v96, -v17 :: v_dual_add_f32 v7, v7, v47
	s_delay_alu instid0(VALU_DEP_3) | instskip(SKIP_2) | instid1(VALU_DEP_4)
	v_dual_fmac_f32 v35, v181, v100 :: v_dual_fmac_f32 v21, v167, v86
	v_add_f32_e32 v3, v3, v19
	v_dual_mul_f32 v19, v179, v99 :: v_dual_fma_f32 v15, v174, v94, -v15
	v_dual_add_f32 v7, v7, v11 :: v_dual_mul_f32 v31, v176, v97
	v_dual_mul_f32 v33, v178, v99 :: v_dual_mul_f32 v11, v185, v105
	s_delay_alu instid0(VALU_DEP_4) | instskip(NEXT) | instid1(VALU_DEP_3)
	v_add_f32_e32 v3, v3, v21
	v_add_f32_e32 v7, v7, v13
	v_dual_mul_f32 v13, v187, v107 :: v_dual_fmac_f32 v41, v187, v106
	v_dual_mul_f32 v21, v181, v101 :: v_dual_fmac_f32 v25, v171, v90
	s_delay_alu instid0(VALU_DEP_2) | instskip(NEXT) | instid1(VALU_DEP_4)
	v_dual_fmac_f32 v31, v177, v96 :: v_dual_fma_f32 v13, v186, v106, -v13
	v_add_f32_e32 v7, v7, v15
	v_dual_add_f32 v3, v3, v23 :: v_dual_fma_f32 v19, v178, v98, -v19
	s_delay_alu instid0(VALU_DEP_4) | instskip(NEXT) | instid1(VALU_DEP_3)
	v_dual_mul_f32 v23, v183, v103 :: v_dual_fma_f32 v21, v180, v100, -v21
	v_add_f32_e32 v7, v7, v17
	s_wait_loadcnt_dscnt 0x600
	v_mul_f32_e32 v15, v189, v109
	s_delay_alu instid0(VALU_DEP_3) | instskip(SKIP_2) | instid1(VALU_DEP_3)
	v_dual_add_f32 v3, v3, v25 :: v_dual_fma_f32 v23, v182, v102, -v23
	v_dual_fmac_f32 v29, v175, v94 :: v_dual_fmac_f32 v39, v185, v104
	v_add_f32_e32 v7, v7, v19
	v_dual_add_f32 v3, v3, v27 :: v_dual_fma_f32 v11, v184, v104, -v11
	v_dual_mul_f32 v43, v188, v109 :: v_dual_mul_f32 v45, v190, v111
	s_delay_alu instid0(VALU_DEP_3) | instskip(NEXT) | instid1(VALU_DEP_3)
	v_add_f32_e32 v7, v7, v21
	v_add_f32_e32 v3, v3, v29
	s_wait_loadcnt 0x5
	v_dual_mul_f32 v203, v156, v113 :: v_dual_mul_f32 v205, v158, v115
	v_fmac_f32_e32 v33, v179, v98
	v_add_f32_e32 v7, v7, v23
	v_dual_mul_f32 v17, v191, v111 :: v_dual_fmac_f32 v45, v191, v110
	v_dual_fmac_f32 v43, v189, v108 :: v_dual_add_f32 v3, v3, v31
	s_delay_alu instid0(VALU_DEP_3) | instskip(SKIP_2) | instid1(VALU_DEP_3)
	v_add_f32_e32 v7, v7, v11
	v_dual_mul_f32 v21, v159, v115 :: v_dual_fmac_f32 v205, v159, v114
	v_dual_fmac_f32 v203, v157, v112 :: v_dual_fmac_f32 v37, v183, v102
	v_dual_add_f32 v7, v7, v13 :: v_dual_fma_f32 v13, v190, v110, -v17
	s_delay_alu instid0(VALU_DEP_3) | instskip(SKIP_3) | instid1(VALU_DEP_3)
	v_dual_add_f32 v3, v3, v33 :: v_dual_fma_f32 v204, v158, v114, -v21
	v_dual_fma_f32 v11, v188, v108, -v15 :: v_dual_mul_f32 v19, v157, v113
	s_wait_loadcnt 0x4
	v_pk_mul_f32 v[72:73], v[132:133], v[116:117] op_sel:[1,1] op_sel_hi:[0,1]
	v_add_f32_e32 v3, v3, v35
	s_wait_loadcnt 0x3
	v_dual_mov_b32 v74, v119 :: v_dual_mov_b32 v78, v123
	v_dual_add_f32 v7, v7, v11 :: v_dual_fma_f32 v202, v156, v112, -v19
	s_delay_alu instid0(VALU_DEP_3) | instskip(SKIP_1) | instid1(VALU_DEP_4)
	v_add_f32_e32 v3, v3, v37
	v_pk_fma_f32 v[82:83], v[132:133], v[116:117], v[72:73] op_sel_hi:[1,0,1]
	v_pk_mul_f32 v[74:75], v[194:195], v[74:75] op_sel_hi:[1,0]
	s_delay_alu instid0(VALU_DEP_4)
	v_add_f32_e32 v80, v7, v13
	v_pk_fma_f32 v[72:73], v[132:133], v[116:117], v[72:73] neg_lo:[0,0,1] neg_hi:[0,0,1]
	v_add_f32_e32 v3, v3, v39
	v_pk_mul_f32 v[76:77], v[136:137], v[120:121] op_sel:[1,1] op_sel_hi:[0,1]
	v_mov_b32_e32 v73, v83
	v_pk_fma_f32 v[82:83], v[134:135], v[118:119], v[74:75] op_sel_hi:[1,0,1]
	v_pk_fma_f32 v[74:75], v[134:135], v[118:119], v[74:75] neg_lo:[0,0,1] neg_hi:[0,0,1]
	v_add_f32_e32 v3, v3, v41
	v_pk_fma_f32 v[86:87], v[136:137], v[120:121], v[76:77] op_sel_hi:[1,0,1]
	v_pk_mul_f32 v[78:79], v[196:197], v[78:79] op_sel_hi:[1,0]
	v_mov_b32_e32 v75, v83
	s_wait_loadcnt 0x2
	v_pk_mul_f32 v[84:85], v[140:141], v[124:125] op_sel:[1,1] op_sel_hi:[0,1]
	v_add_f32_e32 v3, v3, v43
	v_pk_fma_f32 v[76:77], v[136:137], v[120:121], v[76:77] neg_lo:[0,0,1] neg_hi:[0,0,1]
	v_mov_b32_e32 v77, v87
	v_pk_fma_f32 v[82:83], v[138:139], v[122:123], v[78:79] op_sel_hi:[1,0,1]
	v_pk_fma_f32 v[78:79], v[138:139], v[122:123], v[78:79] neg_lo:[0,0,1] neg_hi:[0,0,1]
	v_add_f32_e32 v81, v3, v45
	s_delay_alu instid0(VALU_DEP_1) | instskip(NEXT) | instid1(VALU_DEP_1)
	v_pk_add_f32 v[80:81], v[80:81], v[202:203]
	v_pk_add_f32 v[80:81], v[80:81], v[204:205]
	s_delay_alu instid0(VALU_DEP_1) | instskip(SKIP_1) | instid1(VALU_DEP_2)
	v_pk_add_f32 v[72:73], v[80:81], v[72:73]
	v_mov_b32_e32 v80, v127
	v_pk_add_f32 v[72:73], v[72:73], v[74:75]
	v_pk_fma_f32 v[74:75], v[140:141], v[124:125], v[84:85] op_sel_hi:[1,0,1]
	s_delay_alu instid0(VALU_DEP_3)
	v_pk_mul_f32 v[80:81], v[198:199], v[80:81] op_sel_hi:[1,0]
	v_mov_b32_e32 v79, v83
	v_pk_fma_f32 v[82:83], v[140:141], v[124:125], v[84:85] neg_lo:[0,0,1] neg_hi:[0,0,1]
	v_pk_add_f32 v[72:73], v[72:73], v[76:77]
	v_mov_b32_e32 v83, v75
	v_pk_fma_f32 v[74:75], v[142:143], v[126:127], v[80:81] op_sel_hi:[1,0,1]
	s_wait_loadcnt 0x1
	v_pk_mul_f32 v[76:77], v[144:145], v[128:129] op_sel:[1,1] op_sel_hi:[0,1]
	v_mov_b32_e32 v74, v131
	v_pk_add_f32 v[72:73], v[72:73], v[78:79]
	v_pk_fma_f32 v[80:81], v[142:143], v[126:127], v[80:81] neg_lo:[0,0,1] neg_hi:[0,0,1]
	v_mov_b32_e32 v81, v75
	v_pk_fma_f32 v[78:79], v[144:145], v[128:129], v[76:77] op_sel_hi:[1,0,1]
	v_pk_mul_f32 v[74:75], v[200:201], v[74:75] op_sel_hi:[1,0]
	v_pk_add_f32 v[72:73], v[72:73], v[82:83]
	v_pk_fma_f32 v[76:77], v[144:145], v[128:129], v[76:77] neg_lo:[0,0,1] neg_hi:[0,0,1]
	s_delay_alu instid0(VALU_DEP_4) | instskip(NEXT) | instid1(VALU_DEP_4)
	v_mov_b32_e32 v77, v79
	v_pk_fma_f32 v[78:79], v[146:147], v[130:131], v[74:75] op_sel_hi:[1,0,1]
	s_delay_alu instid0(VALU_DEP_4) | instskip(SKIP_1) | instid1(VALU_DEP_3)
	v_pk_add_f32 v[72:73], v[72:73], v[80:81]
	v_pk_fma_f32 v[74:75], v[146:147], v[130:131], v[74:75] neg_lo:[0,0,1] neg_hi:[0,0,1]
	v_mov_b32_e32 v75, v79
	s_delay_alu instid0(VALU_DEP_3) | instskip(NEXT) | instid1(VALU_DEP_1)
	v_pk_add_f32 v[72:73], v[72:73], v[76:77]
	v_pk_add_f32 v[72:73], v[72:73], v[74:75]
	s_wait_loadcnt 0x0
	s_delay_alu instid0(VALU_DEP_1)
	v_pk_add_f32 v[72:73], v[192:193], v[72:73] neg_lo:[0,1] neg_hi:[0,1]
	scratch_store_b64 off, v[72:73], off offset:32
	s_wait_xcnt 0x0
	v_cmpx_lt_u32_e32 3, v0
	s_cbranch_execz .LBB34_217
; %bb.216:
	scratch_load_b64 v[72:73], off, off offset:24
	v_mov_b64_e32 v[74:75], 0
	scratch_store_b64 off, v[74:75], off offset:24
	s_wait_loadcnt 0x0
	ds_store_b64 v1, v[72:73]
.LBB34_217:
	s_wait_xcnt 0x0
	s_or_b32 exec_lo, exec_lo, s0
	s_wait_storecnt_dscnt 0x0
	s_barrier_signal -1
	s_barrier_wait -1
	s_clause 0x10
	scratch_load_b128 v[72:75], off, off offset:32
	scratch_load_b128 v[76:79], off, off offset:48
	;; [unrolled: 1-line block ×15, first 2 shown]
	scratch_load_b64 v[192:193], off, off offset:272
	scratch_load_b64 v[194:195], off, off offset:24
	v_mov_b32_e32 v3, 0
	ds_load_b128 v[132:135], v3 offset:496
	ds_load_b128 v[136:139], v3 offset:512
	;; [unrolled: 1-line block ×15, first 2 shown]
	ds_load_b64 v[196:197], v3 offset:560
	s_mov_b32 s0, exec_lo
	s_wait_dscnt 0xf
	v_dual_mov_b32 v198, v135 :: v_dual_mov_b32 v199, v134
	s_wait_dscnt 0xc
	v_dual_mov_b32 v200, v139 :: v_dual_mov_b32 v205, v146
	v_dual_mov_b32 v201, v138 :: v_dual_mov_b32 v202, v143
	v_dual_mov_b32 v203, v142 :: v_dual_mov_b32 v204, v147
	s_wait_loadcnt_dscnt 0x100b
	v_dual_mul_f32 v7, v148, v73 :: v_dual_mul_f32 v51, v149, v73
	v_dual_mul_f32 v53, v151, v75 :: v_dual_mul_f32 v11, v150, v75
	s_wait_loadcnt_dscnt 0xf09
	v_mul_f32_e32 v13, v156, v77
	s_wait_loadcnt_dscnt 0xd07
	v_dual_mul_f32 v63, v165, v85 :: v_dual_fma_f32 v51, v148, v72, -v51
	v_dual_fmac_f32 v7, v149, v72 :: v_dual_mul_f32 v65, v167, v87
	v_dual_mul_f32 v55, v157, v77 :: v_dual_mul_f32 v57, v159, v79
	v_dual_fmac_f32 v11, v151, v74 :: v_dual_fma_f32 v53, v150, v74, -v53
	s_wait_loadcnt_dscnt 0xc06
	s_delay_alu instid0(VALU_DEP_3) | instskip(SKIP_1) | instid1(VALU_DEP_2)
	v_dual_add_f32 v7, 0, v7 :: v_dual_mul_f32 v67, v169, v89
	v_dual_add_f32 v51, 0, v51 :: v_dual_fmac_f32 v13, v157, v76
	v_dual_fma_f32 v55, v156, v76, -v55 :: v_dual_add_f32 v7, v7, v11
	v_dual_mul_f32 v59, v161, v81 :: v_dual_mul_f32 v61, v163, v83
	s_delay_alu instid0(VALU_DEP_3) | instskip(SKIP_2) | instid1(VALU_DEP_3)
	v_dual_add_f32 v11, v51, v53 :: v_dual_fma_f32 v53, v158, v78, -v57
	v_dual_mul_f32 v15, v158, v79 :: v_dual_mul_f32 v17, v160, v81
	v_dual_mul_f32 v19, v162, v83 :: v_dual_mul_f32 v21, v164, v85
	v_add_f32_e32 v11, v11, v55
	v_dual_add_f32 v7, v7, v13 :: v_dual_fma_f32 v55, v160, v80, -v59
	v_dual_mul_f32 v23, v166, v87 :: v_dual_mul_f32 v25, v168, v89
	s_delay_alu instid0(VALU_DEP_3) | instskip(SKIP_1) | instid1(VALU_DEP_2)
	v_dual_add_f32 v11, v11, v53 :: v_dual_fmac_f32 v21, v165, v84
	v_dual_fmac_f32 v15, v159, v78 :: v_dual_fmac_f32 v17, v161, v80
	v_dual_fma_f32 v53, v162, v82, -v61 :: v_dual_add_f32 v11, v11, v55
	s_delay_alu instid0(VALU_DEP_4) | instskip(SKIP_1) | instid1(VALU_DEP_3)
	v_dual_fmac_f32 v25, v169, v88 :: v_dual_mul_f32 v51, v171, v91
	s_wait_loadcnt_dscnt 0xb05
	v_dual_mul_f32 v13, v173, v93 :: v_dual_add_f32 v7, v7, v15
	v_dual_mul_f32 v15, v175, v95 :: v_dual_fma_f32 v55, v164, v84, -v63
	s_delay_alu instid0(VALU_DEP_3) | instskip(SKIP_1) | instid1(VALU_DEP_4)
	v_dual_add_f32 v11, v11, v53 :: v_dual_fma_f32 v51, v170, v90, -v51
	v_fmac_f32_e32 v19, v163, v82
	v_dual_add_f32 v7, v7, v17 :: v_dual_fma_f32 v53, v166, v86, -v65
	s_delay_alu instid0(VALU_DEP_3) | instskip(SKIP_2) | instid1(VALU_DEP_3)
	v_dual_add_f32 v11, v11, v55 :: v_dual_fma_f32 v15, v174, v94, -v15
	s_wait_loadcnt_dscnt 0xa04
	v_dual_mul_f32 v31, v174, v95 :: v_dual_mul_f32 v33, v176, v97
	v_dual_add_f32 v7, v7, v19 :: v_dual_fma_f32 v55, v168, v88, -v67
	s_delay_alu instid0(VALU_DEP_3) | instskip(SKIP_4) | instid1(VALU_DEP_3)
	v_dual_add_f32 v11, v11, v53 :: v_dual_mul_f32 v27, v170, v91
	v_dual_mul_f32 v29, v172, v93 :: v_dual_mul_f32 v35, v178, v99
	s_wait_loadcnt_dscnt 0x903
	v_mul_f32_e32 v37, v180, v101
	v_dual_mul_f32 v17, v177, v97 :: v_dual_fmac_f32 v23, v167, v86
	v_dual_fmac_f32 v29, v173, v92 :: v_dual_add_f32 v7, v7, v21
	v_fma_f32 v13, v172, v92, -v13
	v_dual_fmac_f32 v33, v177, v96 :: v_dual_add_f32 v11, v11, v55
	s_delay_alu instid0(VALU_DEP_3) | instskip(SKIP_1) | instid1(VALU_DEP_3)
	v_dual_fmac_f32 v37, v181, v100 :: v_dual_add_f32 v7, v7, v23
	v_dual_mul_f32 v23, v183, v103 :: v_dual_fma_f32 v17, v176, v96, -v17
	v_add_f32_e32 v11, v11, v51
	v_mul_f32_e32 v19, v179, v99
	v_fmac_f32_e32 v27, v171, v90
	s_delay_alu instid0(VALU_DEP_4) | instskip(NEXT) | instid1(VALU_DEP_4)
	v_dual_fma_f32 v23, v182, v102, -v23 :: v_dual_mul_f32 v21, v181, v101
	v_add_f32_e32 v11, v11, v13
	s_wait_loadcnt_dscnt 0x701
	v_mul_f32_e32 v13, v189, v109
	v_add_f32_e32 v7, v7, v25
	v_dual_mul_f32 v25, v185, v105 :: v_dual_fma_f32 v19, v178, v98, -v19
	s_delay_alu instid0(VALU_DEP_3) | instskip(SKIP_2) | instid1(VALU_DEP_3)
	v_dual_add_f32 v11, v11, v15 :: v_dual_fma_f32 v13, v188, v108, -v13
	v_dual_mul_f32 v39, v182, v103 :: v_dual_mul_f32 v41, v184, v105
	v_fmac_f32_e32 v31, v175, v94
	v_add_f32_e32 v11, v11, v17
	s_wait_loadcnt 0x6
	v_dual_mul_f32 v17, v153, v113 :: v_dual_add_f32 v7, v7, v27
	v_dual_fma_f32 v21, v180, v100, -v21 :: v_dual_mul_f32 v43, v186, v107
	v_dual_mul_f32 v45, v188, v109 :: v_dual_mul_f32 v47, v190, v111
	v_mul_f32_e32 v49, v152, v113
	s_delay_alu instid0(VALU_DEP_4) | instskip(SKIP_2) | instid1(VALU_DEP_2)
	v_dual_add_f32 v7, v7, v29 :: v_dual_fma_f32 v25, v184, v104, -v25
	v_dual_fmac_f32 v41, v185, v104 :: v_dual_mul_f32 v207, v154, v115
	s_wait_loadcnt 0x5
	v_dual_mul_f32 v209, v132, v117 :: v_dual_add_f32 v7, v7, v31
	v_dual_fmac_f32 v45, v189, v108 :: v_dual_mul_f32 v15, v191, v111
	v_fmac_f32_e32 v47, v191, v110
	v_dual_fmac_f32 v35, v179, v98 :: v_dual_fmac_f32 v49, v153, v112
	s_delay_alu instid0(VALU_DEP_3)
	v_dual_add_f32 v7, v7, v33 :: v_dual_fma_f32 v15, v190, v110, -v15
	s_wait_loadcnt 0x4
	v_dual_mov_b32 v72, v119 :: v_dual_mov_b32 v76, v123
	v_dual_add_f32 v11, v11, v19 :: v_dual_fmac_f32 v209, v133, v116
	v_dual_mul_f32 v19, v155, v115 :: v_dual_fmac_f32 v207, v155, v114
	v_add_f32_e32 v7, v7, v35
	s_delay_alu instid0(VALU_DEP_4)
	v_pk_mul_f32 v[72:73], v[198:199], v[72:73] op_sel_hi:[1,0]
	v_mul_f32_e32 v27, v187, v107
	v_add_f32_e32 v11, v11, v21
	v_dual_mul_f32 v21, v133, v117 :: v_dual_fmac_f32 v39, v183, v102
	v_fma_f32 v206, v154, v114, -v19
	v_pk_fma_f32 v[84:85], v[134:135], v[118:119], v[72:73] op_sel_hi:[1,0,1]
	v_add_f32_e32 v7, v7, v37
	v_pk_fma_f32 v[72:73], v[134:135], v[118:119], v[72:73] neg_lo:[0,0,1] neg_hi:[0,0,1]
	v_dual_add_f32 v11, v11, v23 :: v_dual_fma_f32 v208, v132, v116, -v21
	s_delay_alu instid0(VALU_DEP_3) | instskip(SKIP_1) | instid1(VALU_DEP_3)
	v_dual_mov_b32 v73, v85 :: v_dual_add_f32 v7, v7, v39
	v_fmac_f32_e32 v43, v187, v106
	v_dual_fma_f32 v23, v186, v106, -v27 :: v_dual_add_f32 v11, v11, v25
	v_pk_mul_f32 v[74:75], v[136:137], v[120:121] op_sel:[1,1] op_sel_hi:[0,1]
	s_delay_alu instid0(VALU_DEP_4)
	v_add_f32_e32 v7, v7, v41
	v_pk_mul_f32 v[76:77], v[200:201], v[76:77] op_sel_hi:[1,0]
	s_wait_loadcnt 0x3
	v_pk_mul_f32 v[78:79], v[140:141], v[124:125] op_sel:[1,1] op_sel_hi:[0,1]
	v_add_f32_e32 v11, v11, v23
	v_pk_fma_f32 v[86:87], v[136:137], v[120:121], v[74:75] op_sel_hi:[1,0,1]
	v_add_f32_e32 v7, v7, v43
	v_pk_fma_f32 v[74:75], v[136:137], v[120:121], v[74:75] neg_lo:[0,0,1] neg_hi:[0,0,1]
	v_mov_b32_e32 v82, v127
	v_dual_add_f32 v11, v11, v13 :: v_dual_fma_f32 v13, v152, v112, -v17
	s_delay_alu instid0(VALU_DEP_4) | instskip(SKIP_2) | instid1(VALU_DEP_4)
	v_add_f32_e32 v7, v7, v45
	v_mov_b32_e32 v75, v87
	v_pk_fma_f32 v[86:87], v[138:139], v[122:123], v[76:77] op_sel_hi:[1,0,1]
	v_add_f32_e32 v11, v11, v15
	v_pk_fma_f32 v[76:77], v[138:139], v[122:123], v[76:77] neg_lo:[0,0,1] neg_hi:[0,0,1]
	v_add_f32_e32 v7, v7, v47
	v_pk_mul_f32 v[82:83], v[202:203], v[82:83] op_sel_hi:[1,0]
	v_mov_b32_e32 v77, v87
	v_add_f32_e32 v80, v11, v13
	s_wait_loadcnt 0x2
	v_pk_mul_f32 v[84:85], v[144:145], v[128:129] op_sel:[1,1] op_sel_hi:[0,1]
	v_add_f32_e32 v81, v7, v49
	s_delay_alu instid0(VALU_DEP_1) | instskip(NEXT) | instid1(VALU_DEP_1)
	v_pk_add_f32 v[80:81], v[80:81], v[206:207]
	v_pk_add_f32 v[80:81], v[80:81], v[208:209]
	s_delay_alu instid0(VALU_DEP_1) | instskip(SKIP_2) | instid1(VALU_DEP_3)
	v_pk_add_f32 v[72:73], v[80:81], v[72:73]
	v_pk_fma_f32 v[80:81], v[140:141], v[124:125], v[78:79] op_sel_hi:[1,0,1]
	v_pk_fma_f32 v[78:79], v[140:141], v[124:125], v[78:79] neg_lo:[0,0,1] neg_hi:[0,0,1]
	v_pk_add_f32 v[72:73], v[72:73], v[74:75]
	s_delay_alu instid0(VALU_DEP_3) | instskip(SKIP_2) | instid1(VALU_DEP_4)
	v_dual_mov_b32 v74, v131 :: v_dual_mov_b32 v79, v81
	v_pk_fma_f32 v[80:81], v[142:143], v[126:127], v[82:83] op_sel_hi:[1,0,1]
	v_pk_fma_f32 v[82:83], v[142:143], v[126:127], v[82:83] neg_lo:[0,0,1] neg_hi:[0,0,1]
	v_pk_add_f32 v[72:73], v[72:73], v[76:77]
	v_pk_fma_f32 v[76:77], v[144:145], v[128:129], v[84:85] op_sel_hi:[1,0,1]
	v_pk_mul_f32 v[74:75], v[204:205], v[74:75] op_sel_hi:[1,0]
	v_mov_b32_e32 v83, v81
	s_wait_loadcnt_dscnt 0x100
	v_pk_mul_f32 v[80:81], v[196:197], v[192:193] op_sel:[1,1] op_sel_hi:[0,1]
	v_pk_add_f32 v[72:73], v[72:73], v[78:79]
	v_pk_fma_f32 v[78:79], v[144:145], v[128:129], v[84:85] neg_lo:[0,0,1] neg_hi:[0,0,1]
	v_mov_b32_e32 v79, v77
	v_pk_fma_f32 v[76:77], v[146:147], v[130:131], v[74:75] op_sel_hi:[1,0,1]
	v_pk_fma_f32 v[74:75], v[146:147], v[130:131], v[74:75] neg_lo:[0,0,1] neg_hi:[0,0,1]
	v_pk_add_f32 v[72:73], v[72:73], v[82:83]
	s_delay_alu instid0(VALU_DEP_3) | instskip(SKIP_1) | instid1(VALU_DEP_3)
	v_mov_b32_e32 v75, v77
	v_pk_fma_f32 v[76:77], v[196:197], v[192:193], v[80:81] op_sel_hi:[1,0,1]
	v_pk_add_f32 v[72:73], v[72:73], v[78:79]
	v_pk_fma_f32 v[78:79], v[196:197], v[192:193], v[80:81] neg_lo:[0,0,1] neg_hi:[0,0,1]
	s_delay_alu instid0(VALU_DEP_3) | instskip(NEXT) | instid1(VALU_DEP_3)
	v_mov_b32_e32 v79, v77
	v_pk_add_f32 v[72:73], v[72:73], v[74:75]
	s_delay_alu instid0(VALU_DEP_1) | instskip(SKIP_1) | instid1(VALU_DEP_1)
	v_pk_add_f32 v[72:73], v[72:73], v[78:79]
	s_wait_loadcnt 0x0
	v_pk_add_f32 v[72:73], v[194:195], v[72:73] neg_lo:[0,1] neg_hi:[0,1]
	scratch_store_b64 off, v[72:73], off offset:24
	s_wait_xcnt 0x0
	v_cmpx_lt_u32_e32 2, v0
	s_cbranch_execz .LBB34_219
; %bb.218:
	scratch_load_b64 v[72:73], off, off offset:16
	v_mov_b64_e32 v[74:75], 0
	scratch_store_b64 off, v[74:75], off offset:16
	s_wait_loadcnt 0x0
	ds_store_b64 v1, v[72:73]
.LBB34_219:
	s_wait_xcnt 0x0
	s_or_b32 exec_lo, exec_lo, s0
	s_wait_storecnt_dscnt 0x0
	s_barrier_signal -1
	s_barrier_wait -1
	s_clause 0x10
	scratch_load_b128 v[72:75], off, off offset:24
	scratch_load_b128 v[76:79], off, off offset:40
	scratch_load_b128 v[80:83], off, off offset:56
	scratch_load_b128 v[84:87], off, off offset:72
	scratch_load_b128 v[88:91], off, off offset:88
	scratch_load_b128 v[92:95], off, off offset:104
	scratch_load_b128 v[96:99], off, off offset:120
	scratch_load_b128 v[100:103], off, off offset:136
	scratch_load_b128 v[104:107], off, off offset:152
	scratch_load_b128 v[108:111], off, off offset:168
	scratch_load_b128 v[112:115], off, off offset:184
	scratch_load_b128 v[116:119], off, off offset:200
	scratch_load_b128 v[120:123], off, off offset:216
	scratch_load_b128 v[124:127], off, off offset:232
	scratch_load_b128 v[128:131], off, off offset:248
	scratch_load_b128 v[132:135], off, off offset:264
	scratch_load_b64 v[200:201], off, off offset:16
	ds_load_2addr_b64 v[136:139], v3 offset0:63 offset1:64
	ds_load_2addr_b64 v[140:143], v3 offset0:65 offset1:66
	;; [unrolled: 1-line block ×16, first 2 shown]
	s_mov_b32 s0, exec_lo
	s_wait_dscnt 0xf
	v_dual_mov_b32 v202, v139 :: v_dual_mov_b32 v203, v138
	s_wait_dscnt 0xe
	v_dual_mov_b32 v204, v143 :: v_dual_mov_b32 v205, v142
	;; [unrolled: 2-line block ×4, first 2 shown]
	s_wait_loadcnt_dscnt 0x100b
	v_dual_mul_f32 v3, v152, v73 :: v_dual_mul_f32 v7, v154, v75
	v_dual_mul_f32 v51, v153, v73 :: v_dual_mul_f32 v53, v155, v75
	s_wait_loadcnt_dscnt 0xf0a
	v_dual_mul_f32 v11, v156, v77 :: v_dual_mul_f32 v13, v158, v79
	s_delay_alu instid0(VALU_DEP_3)
	v_fmac_f32_e32 v3, v153, v72
	s_wait_loadcnt_dscnt 0xd08
	v_dual_fma_f32 v51, v152, v72, -v51 :: v_dual_mul_f32 v63, v165, v85
	v_dual_mul_f32 v55, v157, v77 :: v_dual_mul_f32 v57, v159, v79
	v_dual_fma_f32 v53, v154, v74, -v53 :: v_dual_fmac_f32 v7, v155, v74
	v_add_f32_e32 v3, 0, v3
	s_delay_alu instid0(VALU_DEP_4) | instskip(NEXT) | instid1(VALU_DEP_4)
	v_dual_add_f32 v51, 0, v51 :: v_dual_fmac_f32 v11, v157, v76
	v_dual_mul_f32 v65, v167, v87 :: v_dual_fma_f32 v55, v156, v76, -v55
	s_delay_alu instid0(VALU_DEP_3) | instskip(NEXT) | instid1(VALU_DEP_3)
	v_add_f32_e32 v3, v3, v7
	v_dual_add_f32 v7, v51, v53 :: v_dual_fma_f32 v53, v158, v78, -v57
	v_dual_mul_f32 v15, v160, v81 :: v_dual_mul_f32 v17, v162, v83
	v_dual_mul_f32 v59, v161, v81 :: v_dual_mul_f32 v61, v163, v83
	s_wait_loadcnt_dscnt 0xc07
	v_dual_mul_f32 v51, v169, v89 :: v_dual_fmac_f32 v13, v159, v78
	s_delay_alu instid0(VALU_DEP_3) | instskip(SKIP_2) | instid1(VALU_DEP_3)
	v_dual_fmac_f32 v15, v161, v80 :: v_dual_add_f32 v3, v3, v11
	v_dual_add_f32 v7, v7, v55 :: v_dual_mul_f32 v19, v164, v85
	v_dual_mul_f32 v21, v166, v87 :: v_dual_fma_f32 v55, v160, v80, -v59
	v_add_f32_e32 v3, v3, v13
	s_wait_loadcnt_dscnt 0xb06
	v_mul_f32_e32 v13, v173, v93
	v_add_f32_e32 v7, v7, v53
	v_dual_mul_f32 v11, v171, v91 :: v_dual_fma_f32 v53, v162, v82, -v61
	v_dual_mul_f32 v27, v172, v93 :: v_dual_mul_f32 v29, v174, v95
	s_delay_alu instid0(VALU_DEP_3) | instskip(SKIP_2) | instid1(VALU_DEP_3)
	v_dual_add_f32 v7, v7, v55 :: v_dual_fma_f32 v55, v164, v84, -v63
	v_dual_mul_f32 v23, v168, v89 :: v_dual_mul_f32 v25, v170, v91
	v_fmac_f32_e32 v17, v163, v82
	v_dual_add_f32 v7, v7, v53 :: v_dual_fmac_f32 v27, v173, v92
	v_dual_fmac_f32 v19, v165, v84 :: v_dual_add_f32 v3, v3, v15
	s_delay_alu instid0(VALU_DEP_2) | instskip(SKIP_2) | instid1(VALU_DEP_4)
	v_dual_fma_f32 v53, v166, v86, -v65 :: v_dual_add_f32 v7, v7, v55
	v_dual_fma_f32 v13, v172, v92, -v13 :: v_dual_mul_f32 v15, v175, v95
	v_fma_f32 v51, v168, v88, -v51
	v_dual_fmac_f32 v23, v169, v88 :: v_dual_add_f32 v3, v3, v17
	s_wait_loadcnt_dscnt 0xa05
	v_dual_fma_f32 v11, v170, v90, -v11 :: v_dual_mul_f32 v17, v177, v97
	v_add_f32_e32 v7, v7, v53
	s_wait_loadcnt_dscnt 0x904
	v_dual_mul_f32 v35, v180, v101 :: v_dual_mul_f32 v37, v182, v103
	v_fmac_f32_e32 v21, v167, v86
	s_delay_alu instid0(VALU_DEP_3) | instskip(NEXT) | instid1(VALU_DEP_3)
	v_dual_fma_f32 v17, v176, v96, -v17 :: v_dual_add_f32 v7, v7, v51
	v_dual_fmac_f32 v35, v181, v100 :: v_dual_add_f32 v3, v3, v19
	v_dual_mul_f32 v19, v179, v99 :: v_dual_fma_f32 v15, v174, v94, -v15
	s_delay_alu instid0(VALU_DEP_3) | instskip(SKIP_3) | instid1(VALU_DEP_3)
	v_dual_add_f32 v7, v7, v11 :: v_dual_mul_f32 v31, v176, v97
	v_dual_mul_f32 v33, v178, v99 :: v_dual_fmac_f32 v25, v171, v90
	s_wait_loadcnt_dscnt 0x803
	v_mul_f32_e32 v11, v185, v105
	v_add_f32_e32 v7, v7, v13
	v_mul_f32_e32 v13, v187, v107
	v_dual_add_f32 v3, v3, v21 :: v_dual_fmac_f32 v31, v177, v96
	v_dual_mul_f32 v21, v181, v101 :: v_dual_fma_f32 v19, v178, v98, -v19
	s_delay_alu instid0(VALU_DEP_3) | instskip(SKIP_1) | instid1(VALU_DEP_3)
	v_dual_fma_f32 v13, v186, v106, -v13 :: v_dual_add_f32 v7, v7, v15
	s_wait_loadcnt_dscnt 0x702
	v_dual_mul_f32 v15, v189, v109 :: v_dual_add_f32 v3, v3, v23
	s_wait_loadcnt_dscnt 0x500
	v_dual_mul_f32 v211, v196, v117 :: v_dual_mul_f32 v213, v198, v119
	v_dual_mul_f32 v23, v183, v103 :: v_dual_fma_f32 v21, v180, v100, -v21
	s_delay_alu instid0(VALU_DEP_3) | instskip(NEXT) | instid1(VALU_DEP_2)
	v_dual_fma_f32 v15, v188, v108, -v15 :: v_dual_add_f32 v7, v7, v17
	v_dual_add_f32 v3, v3, v25 :: v_dual_fma_f32 v23, v182, v102, -v23
	s_delay_alu instid0(VALU_DEP_4) | instskip(SKIP_1) | instid1(VALU_DEP_4)
	v_dual_fmac_f32 v211, v197, v116 :: v_dual_mul_f32 v39, v184, v105
	v_mul_f32_e32 v41, v186, v107
	v_add_f32_e32 v7, v7, v19
	v_fmac_f32_e32 v29, v175, v94
	v_dual_add_f32 v3, v3, v27 :: v_dual_fma_f32 v11, v184, v104, -v11
	v_dual_mul_f32 v43, v188, v109 :: v_dual_mul_f32 v45, v190, v111
	s_delay_alu instid0(VALU_DEP_4) | instskip(NEXT) | instid1(VALU_DEP_2)
	v_dual_add_f32 v7, v7, v21 :: v_dual_fmac_f32 v39, v185, v104
	v_dual_add_f32 v3, v3, v29 :: v_dual_fmac_f32 v43, v189, v108
	v_dual_mul_f32 v47, v192, v113 :: v_dual_mul_f32 v49, v194, v115
	s_delay_alu instid0(VALU_DEP_3) | instskip(SKIP_3) | instid1(VALU_DEP_4)
	v_add_f32_e32 v7, v7, v23
	v_fmac_f32_e32 v33, v179, v98
	v_dual_mul_f32 v17, v191, v111 :: v_dual_fmac_f32 v45, v191, v110
	v_add_f32_e32 v3, v3, v31
	v_add_f32_e32 v7, v7, v11
	v_dual_mul_f32 v21, v195, v115 :: v_dual_fmac_f32 v49, v195, v114
	v_fmac_f32_e32 v47, v193, v112
	v_mul_f32_e32 v23, v197, v117
	s_delay_alu instid0(VALU_DEP_4) | instskip(SKIP_1) | instid1(VALU_DEP_3)
	v_dual_add_f32 v7, v7, v13 :: v_dual_fma_f32 v13, v190, v110, -v17
	v_add_f32_e32 v3, v3, v33
	v_dual_fmac_f32 v37, v183, v102 :: v_dual_fma_f32 v210, v196, v116, -v23
	s_delay_alu instid0(VALU_DEP_3) | instskip(SKIP_2) | instid1(VALU_DEP_3)
	v_add_f32_e32 v7, v7, v15
	v_dual_mul_f32 v11, v199, v119 :: v_dual_fmac_f32 v213, v199, v118
	v_dual_fmac_f32 v41, v187, v106 :: v_dual_mul_f32 v19, v193, v113
	v_dual_add_f32 v7, v7, v13 :: v_dual_fma_f32 v13, v194, v114, -v21
	s_delay_alu instid0(VALU_DEP_3) | instskip(NEXT) | instid1(VALU_DEP_3)
	v_dual_add_f32 v3, v3, v35 :: v_dual_fma_f32 v212, v198, v118, -v11
	v_fma_f32 v15, v192, v112, -v19
	s_wait_loadcnt 0x4
	v_pk_mul_f32 v[72:73], v[136:137], v[120:121] op_sel:[1,1] op_sel_hi:[0,1]
	s_wait_loadcnt 0x3
	v_dual_mov_b32 v74, v123 :: v_dual_mov_b32 v78, v127
	v_add_f32_e32 v3, v3, v37
	v_add_f32_e32 v7, v7, v15
	v_pk_fma_f32 v[82:83], v[136:137], v[120:121], v[72:73] op_sel_hi:[1,0,1]
	s_delay_alu instid0(VALU_DEP_4)
	v_pk_mul_f32 v[74:75], v[202:203], v[74:75] op_sel_hi:[1,0]
	v_pk_fma_f32 v[72:73], v[136:137], v[120:121], v[72:73] neg_lo:[0,0,1] neg_hi:[0,0,1]
	v_add_f32_e32 v3, v3, v39
	v_add_f32_e32 v80, v7, v13
	v_pk_mul_f32 v[76:77], v[140:141], v[124:125] op_sel:[1,1] op_sel_hi:[0,1]
	v_mov_b32_e32 v73, v83
	v_pk_fma_f32 v[82:83], v[138:139], v[122:123], v[74:75] op_sel_hi:[1,0,1]
	v_add_f32_e32 v3, v3, v41
	v_pk_fma_f32 v[74:75], v[138:139], v[122:123], v[74:75] neg_lo:[0,0,1] neg_hi:[0,0,1]
	v_pk_fma_f32 v[86:87], v[140:141], v[124:125], v[76:77] op_sel_hi:[1,0,1]
	v_pk_mul_f32 v[78:79], v[204:205], v[78:79] op_sel_hi:[1,0]
	v_mov_b32_e32 v75, v83
	v_add_f32_e32 v3, v3, v43
	s_wait_loadcnt 0x2
	v_pk_mul_f32 v[84:85], v[144:145], v[128:129] op_sel:[1,1] op_sel_hi:[0,1]
	v_pk_fma_f32 v[76:77], v[140:141], v[124:125], v[76:77] neg_lo:[0,0,1] neg_hi:[0,0,1]
	v_mov_b32_e32 v77, v87
	v_pk_fma_f32 v[82:83], v[142:143], v[126:127], v[78:79] op_sel_hi:[1,0,1]
	v_add_f32_e32 v3, v3, v45
	v_pk_fma_f32 v[78:79], v[142:143], v[126:127], v[78:79] neg_lo:[0,0,1] neg_hi:[0,0,1]
	s_delay_alu instid0(VALU_DEP_2) | instskip(NEXT) | instid1(VALU_DEP_1)
	v_add_f32_e32 v3, v3, v47
	v_add_f32_e32 v81, v3, v49
	s_delay_alu instid0(VALU_DEP_1) | instskip(NEXT) | instid1(VALU_DEP_1)
	v_pk_add_f32 v[80:81], v[80:81], v[210:211]
	v_pk_add_f32 v[80:81], v[80:81], v[212:213]
	s_delay_alu instid0(VALU_DEP_1) | instskip(SKIP_1) | instid1(VALU_DEP_2)
	v_pk_add_f32 v[72:73], v[80:81], v[72:73]
	v_mov_b32_e32 v80, v131
	v_pk_add_f32 v[72:73], v[72:73], v[74:75]
	v_pk_fma_f32 v[74:75], v[144:145], v[128:129], v[84:85] op_sel_hi:[1,0,1]
	s_delay_alu instid0(VALU_DEP_3)
	v_pk_mul_f32 v[80:81], v[206:207], v[80:81] op_sel_hi:[1,0]
	v_mov_b32_e32 v79, v83
	v_pk_fma_f32 v[82:83], v[144:145], v[128:129], v[84:85] neg_lo:[0,0,1] neg_hi:[0,0,1]
	v_pk_add_f32 v[72:73], v[72:73], v[76:77]
	v_mov_b32_e32 v83, v75
	v_pk_fma_f32 v[74:75], v[146:147], v[130:131], v[80:81] op_sel_hi:[1,0,1]
	s_wait_loadcnt 0x1
	v_pk_mul_f32 v[76:77], v[148:149], v[132:133] op_sel:[1,1] op_sel_hi:[0,1]
	v_mov_b32_e32 v74, v135
	v_pk_add_f32 v[72:73], v[72:73], v[78:79]
	v_pk_fma_f32 v[80:81], v[146:147], v[130:131], v[80:81] neg_lo:[0,0,1] neg_hi:[0,0,1]
	v_mov_b32_e32 v81, v75
	v_pk_fma_f32 v[78:79], v[148:149], v[132:133], v[76:77] op_sel_hi:[1,0,1]
	v_pk_mul_f32 v[74:75], v[208:209], v[74:75] op_sel_hi:[1,0]
	v_pk_add_f32 v[72:73], v[72:73], v[82:83]
	v_pk_fma_f32 v[76:77], v[148:149], v[132:133], v[76:77] neg_lo:[0,0,1] neg_hi:[0,0,1]
	s_delay_alu instid0(VALU_DEP_4) | instskip(NEXT) | instid1(VALU_DEP_4)
	v_mov_b32_e32 v77, v79
	v_pk_fma_f32 v[78:79], v[150:151], v[134:135], v[74:75] op_sel_hi:[1,0,1]
	s_delay_alu instid0(VALU_DEP_4) | instskip(SKIP_1) | instid1(VALU_DEP_3)
	v_pk_add_f32 v[72:73], v[72:73], v[80:81]
	v_pk_fma_f32 v[74:75], v[150:151], v[134:135], v[74:75] neg_lo:[0,0,1] neg_hi:[0,0,1]
	v_mov_b32_e32 v75, v79
	s_delay_alu instid0(VALU_DEP_3) | instskip(NEXT) | instid1(VALU_DEP_1)
	v_pk_add_f32 v[72:73], v[72:73], v[76:77]
	v_pk_add_f32 v[72:73], v[72:73], v[74:75]
	s_wait_loadcnt 0x0
	s_delay_alu instid0(VALU_DEP_1)
	v_pk_add_f32 v[72:73], v[200:201], v[72:73] neg_lo:[0,1] neg_hi:[0,1]
	scratch_store_b64 off, v[72:73], off offset:16
	s_wait_xcnt 0x0
	v_cmpx_lt_u32_e32 1, v0
	s_cbranch_execz .LBB34_221
; %bb.220:
	scratch_load_b64 v[72:73], off, off offset:8
	v_mov_b64_e32 v[74:75], 0
	scratch_store_b64 off, v[74:75], off offset:8
	s_wait_loadcnt 0x0
	ds_store_b64 v1, v[72:73]
.LBB34_221:
	s_wait_xcnt 0x0
	s_or_b32 exec_lo, exec_lo, s0
	s_wait_storecnt_dscnt 0x0
	s_barrier_signal -1
	s_barrier_wait -1
	s_clause 0x11
	scratch_load_b128 v[74:77], off, off offset:16
	scratch_load_b128 v[78:81], off, off offset:32
	;; [unrolled: 1-line block ×16, first 2 shown]
	scratch_load_b64 v[202:203], off, off offset:272
	scratch_load_b64 v[204:205], off, off offset:8
	v_dual_mov_b32 v72, 0 :: v_dual_ashrrev_i32 v27, 31, v26
	v_dual_ashrrev_i32 v3, 31, v2 :: v_dual_ashrrev_i32 v13, 31, v12
	v_dual_ashrrev_i32 v7, 31, v6 :: v_dual_ashrrev_i32 v17, 31, v16
	ds_load_b128 v[138:141], v72 offset:496
	ds_load_b128 v[142:145], v72 offset:512
	;; [unrolled: 1-line block ×16, first 2 shown]
	ds_load_b64 v[206:207], v72 offset:560
	v_ashrrev_i32_e32 v43, 31, v42
	v_ashrrev_i32_e32 v47, 31, v46
	v_dual_ashrrev_i32 v11, 31, v10 :: v_dual_ashrrev_i32 v21, 31, v20
	v_dual_ashrrev_i32 v15, 31, v14 :: v_dual_ashrrev_i32 v25, 31, v24
	s_wait_dscnt 0xd
	v_dual_mov_b32 v214, v153 :: v_dual_mov_b32 v215, v152
	v_dual_ashrrev_i32 v19, 31, v18 :: v_dual_ashrrev_i32 v29, 31, v28
	v_dual_ashrrev_i32 v23, 31, v22 :: v_dual_ashrrev_i32 v33, 31, v32
	;; [unrolled: 1-line block ×4, first 2 shown]
	v_dual_mov_b32 v208, v141 :: v_dual_mov_b32 v209, v140
	v_dual_mov_b32 v210, v145 :: v_dual_mov_b32 v211, v144
	;; [unrolled: 1-line block ×3, first 2 shown]
	v_dual_ashrrev_i32 v39, 31, v38 :: v_dual_ashrrev_i32 v45, 31, v44
	s_mov_b32 s0, exec_lo
	s_wait_loadcnt_dscnt 0x110c
	v_dual_mul_f32 v49, v154, v75 :: v_dual_mul_f32 v51, v156, v77
	v_mul_f32_e32 v75, v155, v75
	s_wait_loadcnt_dscnt 0x100b
	v_dual_mul_f32 v53, v158, v79 :: v_dual_mul_f32 v55, v160, v81
	s_wait_loadcnt_dscnt 0xf0a
	v_dual_mul_f32 v57, v162, v83 :: v_dual_mul_f32 v59, v164, v85
	v_mul_f32_e32 v81, v161, v81
	v_dual_mul_f32 v77, v157, v77 :: v_dual_mul_f32 v83, v163, v83
	v_dual_fmac_f32 v49, v155, v74 :: v_dual_fmac_f32 v51, v157, v76
	s_wait_loadcnt 0x5
	v_mul_f32_e32 v219, v138, v123
	v_dual_fma_f32 v74, v154, v74, -v75 :: v_dual_mul_f32 v79, v159, v79
	v_dual_mul_f32 v85, v165, v85 :: v_dual_fma_f32 v76, v156, v76, -v77
	s_delay_alu instid0(VALU_DEP_2) | instskip(SKIP_3) | instid1(VALU_DEP_3)
	v_dual_add_f32 v49, 0, v49 :: v_dual_add_f32 v74, 0, v74
	s_wait_dscnt 0x8
	v_mul_f32_e32 v77, v171, v91
	v_dual_fmac_f32 v53, v159, v78 :: v_dual_fma_f32 v78, v158, v78, -v79
	v_dual_add_f32 v49, v49, v51 :: v_dual_add_f32 v51, v74, v76
	v_dual_mul_f32 v74, v173, v93 :: v_dual_fma_f32 v76, v160, v80, -v81
	v_fmac_f32_e32 v55, v161, v80
	s_wait_dscnt 0x7
	s_delay_alu instid0(VALU_DEP_3) | instskip(SKIP_2) | instid1(VALU_DEP_3)
	v_dual_add_f32 v49, v49, v53 :: v_dual_mul_f32 v53, v175, v95
	v_add_f32_e32 v51, v51, v78
	v_dual_fmac_f32 v57, v163, v82 :: v_dual_fma_f32 v78, v162, v82, -v83
	v_add_f32_e32 v49, v49, v55
	v_dual_mul_f32 v61, v166, v87 :: v_dual_mul_f32 v63, v168, v89
	s_delay_alu instid0(VALU_DEP_4) | instskip(SKIP_2) | instid1(VALU_DEP_3)
	v_add_f32_e32 v51, v51, v76
	v_dual_mul_f32 v87, v167, v87 :: v_dual_mul_f32 v75, v169, v89
	v_dual_mul_f32 v55, v177, v97 :: v_dual_fma_f32 v76, v164, v84, -v85
	v_dual_fmac_f32 v59, v165, v84 :: v_dual_add_f32 v51, v51, v78
	s_wait_dscnt 0x6
	v_dual_add_f32 v49, v49, v57 :: v_dual_mul_f32 v57, v179, v99
	v_dual_fmac_f32 v61, v167, v86 :: v_dual_fma_f32 v78, v166, v86, -v87
	s_delay_alu instid0(VALU_DEP_2) | instskip(SKIP_2) | instid1(VALU_DEP_3)
	v_dual_add_f32 v51, v51, v76 :: v_dual_add_f32 v49, v49, v59
	v_dual_mul_f32 v65, v170, v91 :: v_dual_mul_f32 v67, v172, v93
	v_dual_mul_f32 v59, v181, v101 :: v_dual_fma_f32 v75, v168, v88, -v75
	v_dual_fmac_f32 v63, v169, v88 :: v_dual_add_f32 v51, v51, v78
	s_wait_dscnt 0x5
	v_dual_add_f32 v49, v49, v61 :: v_dual_mul_f32 v61, v183, v103
	v_fmac_f32_e32 v65, v171, v90
	s_delay_alu instid0(VALU_DEP_3) | instskip(NEXT) | instid1(VALU_DEP_3)
	v_dual_fma_f32 v76, v170, v90, -v77 :: v_dual_add_f32 v51, v51, v75
	v_add_f32_e32 v49, v49, v63
	v_dual_mul_f32 v69, v174, v95 :: v_dual_mul_f32 v71, v176, v97
	v_dual_mul_f32 v63, v185, v105 :: v_dual_fma_f32 v74, v172, v92, -v74
	v_fmac_f32_e32 v67, v173, v92
	s_delay_alu instid0(VALU_DEP_4) | instskip(SKIP_3) | instid1(VALU_DEP_3)
	v_dual_add_f32 v49, v49, v65 :: v_dual_add_f32 v51, v51, v76
	s_wait_dscnt 0x4
	v_mul_f32_e32 v65, v187, v107
	v_fmac_f32_e32 v69, v175, v94
	v_dual_fma_f32 v53, v174, v94, -v53 :: v_dual_add_f32 v49, v49, v67
	v_dual_add_f32 v51, v51, v74 :: v_dual_fmac_f32 v71, v177, v96
	v_dual_mul_f32 v73, v178, v99 :: v_dual_mul_f32 v216, v180, v101
	v_dual_mul_f32 v67, v189, v109 :: v_dual_fma_f32 v55, v176, v96, -v55
	s_delay_alu instid0(VALU_DEP_4) | instskip(NEXT) | instid1(VALU_DEP_4)
	v_add_f32_e32 v49, v49, v69
	v_dual_add_f32 v51, v51, v53 :: v_dual_fma_f32 v57, v178, v98, -v57
	s_delay_alu instid0(VALU_DEP_4) | instskip(NEXT) | instid1(VALU_DEP_3)
	v_dual_fmac_f32 v73, v179, v98 :: v_dual_mul_f32 v218, v182, v103
	v_dual_mul_f32 v220, v184, v105 :: v_dual_add_f32 v49, v49, v71
	s_delay_alu instid0(VALU_DEP_3) | instskip(NEXT) | instid1(VALU_DEP_3)
	v_dual_add_f32 v51, v51, v55 :: v_dual_fmac_f32 v216, v181, v100
	v_dual_fma_f32 v59, v180, v100, -v59 :: v_dual_fmac_f32 v218, v183, v102
	s_delay_alu instid0(VALU_DEP_3) | instskip(NEXT) | instid1(VALU_DEP_3)
	v_add_f32_e32 v49, v49, v73
	v_dual_add_f32 v51, v51, v57 :: v_dual_fma_f32 v61, v182, v102, -v61
	s_wait_dscnt 0x2
	v_mul_f32_e32 v57, v195, v115
	v_dual_mul_f32 v221, v186, v107 :: v_dual_mul_f32 v222, v188, v109
	s_delay_alu instid0(VALU_DEP_3) | instskip(SKIP_2) | instid1(VALU_DEP_3)
	v_dual_add_f32 v49, v49, v216 :: v_dual_add_f32 v51, v51, v59
	v_fmac_f32_e32 v220, v185, v104
	v_dual_mul_f32 v59, v197, v117 :: v_dual_fma_f32 v63, v184, v104, -v63
	v_dual_add_f32 v49, v49, v218 :: v_dual_add_f32 v51, v51, v61
	s_wait_dscnt 0x1
	v_dual_fma_f32 v65, v186, v106, -v65 :: v_dual_mul_f32 v61, v199, v119
	s_delay_alu instid0(VALU_DEP_2) | instskip(NEXT) | instid1(VALU_DEP_3)
	v_dual_fmac_f32 v221, v187, v106 :: v_dual_add_f32 v49, v49, v220
	v_dual_add_f32 v51, v51, v63 :: v_dual_fmac_f32 v222, v189, v108
	v_dual_mul_f32 v223, v190, v111 :: v_dual_mul_f32 v224, v192, v113
	v_dual_mul_f32 v53, v191, v111 :: v_dual_mul_f32 v55, v193, v113
	v_dual_mul_f32 v63, v201, v121 :: v_dual_fma_f32 v67, v188, v108, -v67
	v_add_f32_e32 v49, v49, v221
	s_delay_alu instid0(VALU_DEP_3) | instskip(SKIP_2) | instid1(VALU_DEP_3)
	v_dual_add_f32 v51, v51, v65 :: v_dual_fma_f32 v53, v190, v110, -v53
	v_mul_f32_e32 v65, v139, v123
	v_dual_fmac_f32 v223, v191, v110 :: v_dual_mov_b32 v74, v125
	v_dual_add_f32 v49, v49, v222 :: v_dual_add_f32 v51, v51, v67
	v_dual_fmac_f32 v224, v193, v112 :: v_dual_mul_f32 v225, v194, v115
	v_mul_f32_e32 v226, v196, v117
	s_delay_alu instid0(VALU_DEP_3) | instskip(NEXT) | instid1(VALU_DEP_4)
	v_dual_fma_f32 v55, v192, v112, -v55 :: v_dual_add_f32 v49, v49, v223
	v_dual_add_f32 v51, v51, v53 :: v_dual_fma_f32 v53, v194, v114, -v57
	s_delay_alu instid0(VALU_DEP_4) | instskip(NEXT) | instid1(VALU_DEP_3)
	v_dual_fmac_f32 v225, v195, v114 :: v_dual_mul_f32 v227, v198, v119
	v_dual_mul_f32 v217, v200, v121 :: v_dual_add_f32 v49, v49, v224
	s_wait_loadcnt 0x4
	s_delay_alu instid0(VALU_DEP_3) | instskip(SKIP_1) | instid1(VALU_DEP_3)
	v_dual_add_f32 v51, v51, v55 :: v_dual_mov_b32 v78, v129
	v_dual_fmac_f32 v226, v197, v116 :: v_dual_fma_f32 v55, v196, v116, -v59
	v_dual_add_f32 v49, v49, v225 :: v_dual_fmac_f32 v227, v199, v118
	s_delay_alu instid0(VALU_DEP_3) | instskip(SKIP_1) | instid1(VALU_DEP_2)
	v_dual_add_f32 v51, v51, v53 :: v_dual_fma_f32 v53, v198, v118, -v61
	v_dual_fmac_f32 v217, v201, v120 :: v_dual_fma_f32 v216, v200, v120, -v63
	v_dual_add_f32 v49, v49, v226 :: v_dual_add_f32 v51, v51, v55
	v_pk_mul_f32 v[74:75], v[208:209], v[74:75] op_sel_hi:[1,0]
	v_pk_mul_f32 v[76:77], v[142:143], v[126:127] op_sel:[1,1] op_sel_hi:[0,1]
	s_wait_loadcnt 0x3
	v_dual_mov_b32 v84, v133 :: v_dual_fmac_f32 v219, v139, v122
	v_dual_add_f32 v83, v49, v227 :: v_dual_add_f32 v82, v51, v53
	v_pk_fma_f32 v[86:87], v[140:141], v[124:125], v[74:75] op_sel_hi:[1,0,1]
	v_fma_f32 v218, v138, v122, -v65
	v_pk_fma_f32 v[74:75], v[140:141], v[124:125], v[74:75] neg_lo:[0,0,1] neg_hi:[0,0,1]
	v_pk_fma_f32 v[88:89], v[142:143], v[126:127], v[76:77] op_sel_hi:[1,0,1]
	v_pk_add_f32 v[82:83], v[82:83], v[216:217]
	v_pk_mul_f32 v[78:79], v[210:211], v[78:79] op_sel_hi:[1,0]
	v_mov_b32_e32 v75, v87
	v_pk_fma_f32 v[76:77], v[142:143], v[126:127], v[76:77] neg_lo:[0,0,1] neg_hi:[0,0,1]
	v_pk_mul_f32 v[80:81], v[146:147], v[130:131] op_sel:[1,1] op_sel_hi:[0,1]
	v_pk_add_f32 v[82:83], v[82:83], v[218:219]
	v_mov_b32_e32 v77, v89
	v_pk_fma_f32 v[88:89], v[144:145], v[128:129], v[78:79] op_sel_hi:[1,0,1]
	v_pk_fma_f32 v[78:79], v[144:145], v[128:129], v[78:79] neg_lo:[0,0,1] neg_hi:[0,0,1]
	v_pk_mul_f32 v[84:85], v[212:213], v[84:85] op_sel_hi:[1,0]
	v_pk_add_f32 v[74:75], v[82:83], v[74:75]
	v_pk_fma_f32 v[82:83], v[146:147], v[130:131], v[80:81] op_sel_hi:[1,0,1]
	v_mov_b32_e32 v79, v89
	v_pk_fma_f32 v[80:81], v[146:147], v[130:131], v[80:81] neg_lo:[0,0,1] neg_hi:[0,0,1]
	s_wait_loadcnt 0x2
	v_pk_mul_f32 v[86:87], v[150:151], v[134:135] op_sel:[1,1] op_sel_hi:[0,1]
	v_pk_add_f32 v[74:75], v[74:75], v[76:77]
	v_dual_mov_b32 v76, v137 :: v_dual_mov_b32 v81, v83
	v_pk_fma_f32 v[82:83], v[148:149], v[132:133], v[84:85] op_sel_hi:[1,0,1]
	v_pk_fma_f32 v[84:85], v[148:149], v[132:133], v[84:85] neg_lo:[0,0,1] neg_hi:[0,0,1]
	s_delay_alu instid0(VALU_DEP_4) | instskip(SKIP_3) | instid1(VALU_DEP_4)
	v_pk_add_f32 v[74:75], v[74:75], v[78:79]
	v_pk_fma_f32 v[78:79], v[150:151], v[134:135], v[86:87] op_sel_hi:[1,0,1]
	v_pk_mul_f32 v[76:77], v[214:215], v[76:77] op_sel_hi:[1,0]
	v_dual_mov_b32 v85, v83 :: v_dual_ashrrev_i32 v49, 31, v48
	v_pk_add_f32 v[74:75], v[74:75], v[80:81]
	v_pk_fma_f32 v[80:81], v[150:151], v[134:135], v[86:87] neg_lo:[0,0,1] neg_hi:[0,0,1]
	v_dual_mov_b32 v81, v79 :: v_dual_ashrrev_i32 v51, 31, v50
	v_pk_fma_f32 v[78:79], v[152:153], v[136:137], v[76:77] op_sel_hi:[1,0,1]
	s_delay_alu instid0(VALU_DEP_4)
	v_pk_add_f32 v[74:75], v[74:75], v[84:85]
	s_wait_loadcnt_dscnt 0x100
	v_pk_mul_f32 v[82:83], v[206:207], v[202:203] op_sel:[1,1] op_sel_hi:[0,1]
	v_pk_fma_f32 v[76:77], v[152:153], v[136:137], v[76:77] neg_lo:[0,0,1] neg_hi:[0,0,1]
	v_dual_ashrrev_i32 v53, 31, v52 :: v_dual_mov_b32 v77, v79
	v_pk_add_f32 v[74:75], v[74:75], v[80:81]
	s_delay_alu instid0(VALU_DEP_4)
	v_pk_fma_f32 v[78:79], v[206:207], v[202:203], v[82:83] op_sel_hi:[1,0,1]
	v_pk_fma_f32 v[80:81], v[206:207], v[202:203], v[82:83] neg_lo:[0,0,1] neg_hi:[0,0,1]
	v_dual_ashrrev_i32 v55, 31, v54 :: v_dual_ashrrev_i32 v57, 31, v56
	v_ashrrev_i32_e32 v59, 31, v58
	v_pk_add_f32 v[74:75], v[74:75], v[76:77]
	v_dual_mov_b32 v81, v79 :: v_dual_ashrrev_i32 v61, 31, v60
	v_dual_ashrrev_i32 v63, 31, v62 :: v_dual_ashrrev_i32 v65, 31, v64
	v_ashrrev_i32_e32 v67, 31, v66
	s_delay_alu instid0(VALU_DEP_3) | instskip(SKIP_2) | instid1(VALU_DEP_2)
	v_pk_add_f32 v[74:75], v[74:75], v[80:81]
	v_dual_ashrrev_i32 v69, 31, v68 :: v_dual_ashrrev_i32 v71, 31, v70
	s_wait_loadcnt 0x0
	v_pk_add_f32 v[74:75], v[204:205], v[74:75] neg_lo:[0,1] neg_hi:[0,1]
	scratch_store_b64 off, v[74:75], off offset:8
	s_wait_xcnt 0x0
	v_cmpx_ne_u32_e32 0, v0
	s_cbranch_execz .LBB34_223
; %bb.222:
	scratch_load_b64 v[74:75], off, off
	v_mov_b64_e32 v[76:77], 0
	scratch_store_b64 off, v[76:77], off
	s_wait_loadcnt 0x0
	ds_store_b64 v1, v[74:75]
.LBB34_223:
	s_wait_xcnt 0x0
	s_or_b32 exec_lo, exec_lo, s0
	s_wait_storecnt_dscnt 0x0
	s_barrier_signal -1
	s_barrier_wait -1
	s_clause 0x11
	scratch_load_b128 v[74:77], off, off offset:8
	scratch_load_b128 v[78:81], off, off offset:24
	;; [unrolled: 1-line block ×17, first 2 shown]
	scratch_load_b64 v[0:1], off, off
	ds_load_2addr_b64 v[142:145], v72 offset0:63 offset1:64
	ds_load_2addr_b64 v[146:149], v72 offset0:65 offset1:66
	;; [unrolled: 1-line block ×17, first 2 shown]
	s_and_b32 vcc_lo, exec_lo, s18
	s_wait_dscnt 0x10
	v_dual_mov_b32 v72, v145 :: v_dual_mov_b32 v73, v144
	s_wait_dscnt 0xf
	v_dual_mov_b32 v210, v149 :: v_dual_mov_b32 v211, v148
	;; [unrolled: 2-line block ×4, first 2 shown]
	s_wait_loadcnt_dscnt 0x110b
	v_dual_mul_f32 v216, v162, v75 :: v_dual_mul_f32 v218, v164, v77
	v_dual_mul_f32 v75, v163, v75 :: v_dual_mul_f32 v77, v165, v77
	s_wait_loadcnt_dscnt 0xe08
	v_dual_mul_f32 v224, v174, v87 :: v_dual_mul_f32 v225, v176, v89
	v_mul_f32_e32 v87, v175, v87
	s_delay_alu instid0(VALU_DEP_3)
	v_dual_fmac_f32 v216, v163, v74 :: v_dual_fma_f32 v74, v162, v74, -v75
	v_dual_mul_f32 v220, v166, v79 :: v_dual_mul_f32 v221, v168, v81
	v_dual_mul_f32 v79, v167, v79 :: v_dual_mul_f32 v81, v169, v81
	v_mul_f32_e32 v75, v177, v89
	v_dual_fmac_f32 v218, v165, v76 :: v_dual_fma_f32 v76, v164, v76, -v77
	v_dual_add_f32 v77, 0, v216 :: v_dual_add_f32 v74, 0, v74
	s_wait_loadcnt_dscnt 0xd07
	v_mul_f32_e32 v89, v179, v91
	v_dual_fmac_f32 v220, v167, v78 :: v_dual_fma_f32 v78, v166, v78, -v79
	s_delay_alu instid0(VALU_DEP_3) | instskip(SKIP_3) | instid1(VALU_DEP_3)
	v_dual_add_f32 v77, v77, v218 :: v_dual_fma_f32 v79, v168, v80, -v81
	v_add_f32_e32 v74, v74, v76
	v_dual_mul_f32 v222, v170, v83 :: v_dual_mul_f32 v223, v172, v85
	v_dual_mul_f32 v83, v171, v83 :: v_dual_mul_f32 v85, v173, v85
	v_dual_mul_f32 v76, v181, v93 :: v_dual_add_f32 v74, v74, v78
	s_wait_loadcnt_dscnt 0xc06
	v_dual_fmac_f32 v221, v169, v80 :: v_dual_mul_f32 v78, v183, v95
	v_dual_add_f32 v77, v77, v220 :: v_dual_fmac_f32 v222, v171, v82
	v_fma_f32 v80, v170, v82, -v83
	v_dual_add_f32 v74, v74, v79 :: v_dual_mul_f32 v79, v185, v97
	s_delay_alu instid0(VALU_DEP_3) | instskip(SKIP_2) | instid1(VALU_DEP_3)
	v_add_f32_e32 v77, v77, v221
	v_dual_fmac_f32 v223, v173, v84 :: v_dual_fma_f32 v81, v172, v84, -v85
	s_wait_loadcnt_dscnt 0xb05
	v_dual_add_f32 v74, v74, v80 :: v_dual_mul_f32 v80, v187, v99
	v_fma_f32 v82, v174, v86, -v87
	v_add_f32_e32 v77, v77, v222
	s_delay_alu instid0(VALU_DEP_3) | instskip(SKIP_1) | instid1(VALU_DEP_3)
	v_dual_fmac_f32 v224, v175, v86 :: v_dual_add_f32 v74, v74, v81
	v_dual_fmac_f32 v225, v177, v88 :: v_dual_mul_f32 v226, v178, v91
	v_dual_mul_f32 v227, v180, v93 :: v_dual_add_f32 v77, v77, v223
	v_dual_mul_f32 v81, v189, v101 :: v_dual_fma_f32 v75, v176, v88, -v75
	s_wait_loadcnt_dscnt 0xa04
	v_dual_add_f32 v74, v74, v82 :: v_dual_mul_f32 v82, v191, v103
	s_delay_alu instid0(VALU_DEP_3) | instskip(NEXT) | instid1(VALU_DEP_2)
	v_dual_fma_f32 v83, v178, v90, -v89 :: v_dual_add_f32 v77, v77, v224
	v_dual_fmac_f32 v226, v179, v90 :: v_dual_add_f32 v74, v74, v75
	v_dual_mul_f32 v75, v193, v105 :: v_dual_mul_f32 v228, v182, v95
	v_mul_f32_e32 v229, v184, v97
	s_delay_alu instid0(VALU_DEP_4)
	v_add_f32_e32 v77, v77, v225
	v_dual_fmac_f32 v227, v181, v92 :: v_dual_fma_f32 v76, v180, v92, -v76
	v_add_f32_e32 v74, v74, v83
	s_wait_loadcnt_dscnt 0x903
	v_dual_mul_f32 v83, v195, v107 :: v_dual_fma_f32 v78, v182, v94, -v78
	v_add_f32_e32 v77, v77, v226
	s_delay_alu instid0(VALU_DEP_3) | instskip(SKIP_1) | instid1(VALU_DEP_3)
	v_dual_fmac_f32 v228, v183, v94 :: v_dual_add_f32 v74, v74, v76
	v_dual_mul_f32 v76, v197, v109 :: v_dual_mul_f32 v230, v186, v99
	v_dual_mul_f32 v231, v188, v101 :: v_dual_add_f32 v77, v77, v227
	v_dual_fmac_f32 v229, v185, v96 :: v_dual_fma_f32 v79, v184, v96, -v79
	s_wait_loadcnt_dscnt 0x802
	v_dual_add_f32 v74, v74, v78 :: v_dual_mul_f32 v78, v199, v111
	s_delay_alu instid0(VALU_DEP_3) | instskip(NEXT) | instid1(VALU_DEP_2)
	v_dual_fma_f32 v80, v186, v98, -v80 :: v_dual_add_f32 v77, v77, v228
	v_dual_fmac_f32 v230, v187, v98 :: v_dual_add_f32 v74, v74, v79
	v_dual_mul_f32 v79, v201, v113 :: v_dual_mul_f32 v232, v190, v103
	v_mul_f32_e32 v233, v192, v105
	s_delay_alu instid0(VALU_DEP_4)
	v_add_f32_e32 v77, v77, v229
	v_dual_fmac_f32 v231, v189, v100 :: v_dual_fma_f32 v81, v188, v100, -v81
	s_wait_loadcnt_dscnt 0x701
	v_dual_add_f32 v74, v74, v80 :: v_dual_mul_f32 v80, v203, v115
	v_fma_f32 v82, v190, v102, -v82
	v_add_f32_e32 v77, v77, v230
	s_delay_alu instid0(VALU_DEP_3) | instskip(SKIP_1) | instid1(VALU_DEP_3)
	v_dual_fmac_f32 v232, v191, v102 :: v_dual_add_f32 v74, v74, v81
	v_dual_fmac_f32 v233, v193, v104 :: v_dual_mul_f32 v234, v194, v107
	v_dual_mul_f32 v235, v196, v109 :: v_dual_add_f32 v77, v77, v231
	v_dual_mul_f32 v81, v205, v117 :: v_dual_fma_f32 v75, v192, v104, -v75
	s_wait_loadcnt_dscnt 0x600
	v_dual_add_f32 v74, v74, v82 :: v_dual_mul_f32 v82, v207, v119
	s_delay_alu instid0(VALU_DEP_3) | instskip(NEXT) | instid1(VALU_DEP_2)
	v_dual_fma_f32 v83, v194, v106, -v83 :: v_dual_add_f32 v77, v77, v232
	v_dual_fmac_f32 v234, v195, v106 :: v_dual_add_f32 v74, v74, v75
	v_dual_mul_f32 v84, v209, v121 :: v_dual_mul_f32 v236, v198, v111
	v_mul_f32_e32 v237, v200, v113
	s_delay_alu instid0(VALU_DEP_4)
	v_add_f32_e32 v77, v77, v233
	v_dual_fmac_f32 v235, v197, v108 :: v_dual_fma_f32 v75, v196, v108, -v76
	v_add_f32_e32 v74, v74, v83
	v_fma_f32 v78, v198, v110, -v78
	s_wait_loadcnt 0x5
	v_dual_add_f32 v76, v77, v234 :: v_dual_mul_f32 v77, v159, v123
	s_delay_alu instid0(VALU_DEP_3) | instskip(NEXT) | instid1(VALU_DEP_2)
	v_dual_fmac_f32 v236, v199, v110 :: v_dual_add_f32 v74, v74, v75
	v_dual_mul_f32 v86, v161, v125 :: v_dual_add_f32 v76, v76, v235
	v_dual_mul_f32 v238, v202, v115 :: v_dual_mul_f32 v239, v204, v117
	v_dual_fmac_f32 v237, v201, v112 :: v_dual_fma_f32 v79, v200, v112, -v79
	s_delay_alu instid0(VALU_DEP_3) | instskip(NEXT) | instid1(VALU_DEP_3)
	v_dual_add_f32 v76, v76, v236 :: v_dual_add_f32 v78, v74, v78
	v_dual_fmac_f32 v238, v203, v114 :: v_dual_fma_f32 v80, v202, v114, -v80
	v_dual_mul_f32 v240, v206, v119 :: v_dual_mul_f32 v241, v208, v121
	s_delay_alu instid0(VALU_DEP_3) | instskip(SKIP_2) | instid1(VALU_DEP_2)
	v_dual_add_f32 v83, v76, v237 :: v_dual_add_f32 v78, v78, v79
	s_wait_loadcnt 0x4
	v_dual_mov_b32 v76, v129 :: v_dual_fma_f32 v81, v204, v116, -v81
	v_dual_fmac_f32 v239, v205, v116 :: v_dual_add_f32 v83, v83, v238
	s_delay_alu instid0(VALU_DEP_3) | instskip(SKIP_2) | instid1(VALU_DEP_3)
	v_dual_add_f32 v80, v78, v80 :: v_dual_fmac_f32 v240, v207, v118
	v_fma_f32 v82, v206, v118, -v82
	v_dual_mul_f32 v217, v158, v123 :: v_dual_mul_f32 v219, v160, v125
	v_dual_add_f32 v83, v83, v239 :: v_dual_add_f32 v81, v80, v81
	s_wait_loadcnt 0x3
	v_mov_b32_e32 v80, v133
	v_dual_fmac_f32 v241, v209, v120 :: v_dual_fma_f32 v84, v208, v120, -v84
	s_delay_alu instid0(VALU_DEP_3) | instskip(SKIP_2) | instid1(VALU_DEP_3)
	v_dual_add_f32 v85, v83, v240 :: v_dual_add_f32 v81, v81, v82
	v_pk_mul_f32 v[74:75], v[142:143], v[126:127] op_sel:[1,1] op_sel_hi:[0,1]
	v_fmac_f32_e32 v217, v159, v122
	v_dual_fma_f32 v216, v158, v122, -v77 :: v_dual_add_f32 v85, v85, v241
	s_delay_alu instid0(VALU_DEP_4) | instskip(SKIP_3) | instid1(VALU_DEP_4)
	v_add_f32_e32 v84, v81, v84
	v_dual_fmac_f32 v219, v161, v124 :: v_dual_fma_f32 v218, v160, v124, -v86
	v_pk_fma_f32 v[86:87], v[142:143], v[126:127], v[74:75] op_sel_hi:[1,0,1]
	v_pk_mul_f32 v[72:73], v[72:73], v[76:77] op_sel_hi:[1,0]
	v_pk_add_f32 v[76:77], v[84:85], v[216:217]
	v_pk_fma_f32 v[74:75], v[142:143], v[126:127], v[74:75] neg_lo:[0,0,1] neg_hi:[0,0,1]
	v_pk_mul_f32 v[78:79], v[146:147], v[130:131] op_sel:[1,1] op_sel_hi:[0,1]
	s_wait_loadcnt 0x2
	v_dual_mov_b32 v84, v137 :: v_dual_mov_b32 v75, v87
	v_pk_fma_f32 v[86:87], v[144:145], v[128:129], v[72:73] op_sel_hi:[1,0,1]
	v_pk_add_f32 v[76:77], v[76:77], v[218:219]
	v_pk_fma_f32 v[72:73], v[144:145], v[128:129], v[72:73] neg_lo:[0,0,1] neg_hi:[0,0,1]
	v_pk_fma_f32 v[88:89], v[146:147], v[130:131], v[78:79] op_sel_hi:[1,0,1]
	v_pk_mul_f32 v[80:81], v[210:211], v[80:81] op_sel_hi:[1,0]
	v_mov_b32_e32 v73, v87
	v_pk_add_f32 v[74:75], v[76:77], v[74:75]
	v_pk_fma_f32 v[78:79], v[146:147], v[130:131], v[78:79] neg_lo:[0,0,1] neg_hi:[0,0,1]
	v_pk_mul_f32 v[82:83], v[150:151], v[134:135] op_sel:[1,1] op_sel_hi:[0,1]
	v_mov_b32_e32 v79, v89
	v_pk_fma_f32 v[86:87], v[148:149], v[132:133], v[80:81] op_sel_hi:[1,0,1]
	v_pk_add_f32 v[72:73], v[74:75], v[72:73]
	v_pk_fma_f32 v[80:81], v[148:149], v[132:133], v[80:81] neg_lo:[0,0,1] neg_hi:[0,0,1]
	v_pk_fma_f32 v[74:75], v[150:151], v[134:135], v[82:83] op_sel_hi:[1,0,1]
	v_pk_mul_f32 v[84:85], v[212:213], v[84:85] op_sel_hi:[1,0]
	s_wait_loadcnt 0x1
	v_dual_mov_b32 v81, v87 :: v_dual_mov_b32 v74, v141
	v_pk_add_f32 v[72:73], v[72:73], v[78:79]
	v_pk_fma_f32 v[78:79], v[150:151], v[134:135], v[82:83] neg_lo:[0,0,1] neg_hi:[0,0,1]
	v_pk_mul_f32 v[76:77], v[154:155], v[138:139] op_sel:[1,1] op_sel_hi:[0,1]
	v_pk_fma_f32 v[82:83], v[152:153], v[136:137], v[84:85] op_sel_hi:[1,0,1]
	v_mov_b32_e32 v79, v75
	v_pk_add_f32 v[72:73], v[72:73], v[80:81]
	v_pk_fma_f32 v[84:85], v[152:153], v[136:137], v[84:85] neg_lo:[0,0,1] neg_hi:[0,0,1]
	v_pk_fma_f32 v[80:81], v[154:155], v[138:139], v[76:77] op_sel_hi:[1,0,1]
	v_pk_mul_f32 v[74:75], v[214:215], v[74:75] op_sel_hi:[1,0]
	v_mov_b32_e32 v85, v83
	v_pk_add_f32 v[72:73], v[72:73], v[78:79]
	v_pk_fma_f32 v[76:77], v[154:155], v[138:139], v[76:77] neg_lo:[0,0,1] neg_hi:[0,0,1]
	s_delay_alu instid0(VALU_DEP_4) | instskip(SKIP_1) | instid1(VALU_DEP_4)
	v_pk_fma_f32 v[78:79], v[156:157], v[140:141], v[74:75] op_sel_hi:[1,0,1]
	v_mov_b32_e32 v77, v81
	v_pk_add_f32 v[72:73], v[72:73], v[84:85]
	v_pk_fma_f32 v[74:75], v[156:157], v[140:141], v[74:75] neg_lo:[0,0,1] neg_hi:[0,0,1]
	s_delay_alu instid0(VALU_DEP_4) | instskip(NEXT) | instid1(VALU_DEP_3)
	v_mov_b32_e32 v75, v79
	v_pk_add_f32 v[72:73], v[72:73], v[76:77]
	s_delay_alu instid0(VALU_DEP_1) | instskip(SKIP_1) | instid1(VALU_DEP_1)
	v_pk_add_f32 v[72:73], v[72:73], v[74:75]
	s_wait_loadcnt 0x0
	v_pk_add_f32 v[0:1], v[0:1], v[72:73] neg_lo:[0,1] neg_hi:[0,1]
	scratch_store_b64 off, v[0:1], off
	s_cbranch_vccz .LBB34_292
; %bb.224:
	s_wait_xcnt 0x0
	v_mov_b32_e32 v0, 0
	global_load_b32 v1, v0, s[2:3] offset:132
	s_wait_loadcnt 0x0
	v_cmp_ne_u32_e32 vcc_lo, 34, v1
	s_cbranch_vccz .LBB34_226
; %bb.225:
	v_lshlrev_b32_e32 v1, 3, v1
	scratch_load_b64 v[72:73], v1, off offset:-8
	scratch_load_b64 v[74:75], off, off offset:264
	s_wait_loadcnt 0x1
	scratch_store_b64 off, v[72:73], off offset:264
	s_wait_loadcnt 0x0
	scratch_store_b64 v1, v[74:75], off offset:-8
.LBB34_226:
	global_load_b32 v0, v0, s[2:3] offset:128
	s_wait_loadcnt 0x0
	v_cmp_eq_u32_e32 vcc_lo, 33, v0
	s_cbranch_vccnz .LBB34_228
; %bb.227:
	s_wait_xcnt 0x0
	v_lshlrev_b32_e32 v0, 3, v0
	s_delay_alu instid0(VALU_DEP_1)
	v_mov_b32_e32 v74, v0
	scratch_load_b64 v[0:1], v74, off offset:-8
	scratch_load_b64 v[72:73], off, off offset:256
	s_wait_loadcnt 0x1
	scratch_store_b64 off, v[0:1], off offset:256
	s_wait_loadcnt 0x0
	scratch_store_b64 v74, v[72:73], off offset:-8
.LBB34_228:
	s_wait_xcnt 0x0
	v_mov_b32_e32 v0, 0
	global_load_b32 v1, v0, s[2:3] offset:124
	s_wait_loadcnt 0x0
	v_cmp_eq_u32_e32 vcc_lo, 32, v1
	s_cbranch_vccnz .LBB34_230
; %bb.229:
	v_lshlrev_b32_e32 v1, 3, v1
	scratch_load_b64 v[72:73], v1, off offset:-8
	scratch_load_b64 v[74:75], off, off offset:248
	s_wait_loadcnt 0x1
	scratch_store_b64 off, v[72:73], off offset:248
	s_wait_loadcnt 0x0
	scratch_store_b64 v1, v[74:75], off offset:-8
.LBB34_230:
	global_load_b32 v0, v0, s[2:3] offset:120
	s_wait_loadcnt 0x0
	v_cmp_eq_u32_e32 vcc_lo, 31, v0
	s_cbranch_vccnz .LBB34_232
; %bb.231:
	s_wait_xcnt 0x0
	v_lshlrev_b32_e32 v0, 3, v0
	s_delay_alu instid0(VALU_DEP_1)
	v_mov_b32_e32 v74, v0
	scratch_load_b64 v[0:1], v74, off offset:-8
	scratch_load_b64 v[72:73], off, off offset:240
	s_wait_loadcnt 0x1
	scratch_store_b64 off, v[0:1], off offset:240
	s_wait_loadcnt 0x0
	scratch_store_b64 v74, v[72:73], off offset:-8
.LBB34_232:
	s_wait_xcnt 0x0
	v_mov_b32_e32 v0, 0
	global_load_b32 v1, v0, s[2:3] offset:116
	s_wait_loadcnt 0x0
	v_cmp_eq_u32_e32 vcc_lo, 30, v1
	s_cbranch_vccnz .LBB34_234
; %bb.233:
	v_lshlrev_b32_e32 v1, 3, v1
	scratch_load_b64 v[72:73], v1, off offset:-8
	scratch_load_b64 v[74:75], off, off offset:232
	s_wait_loadcnt 0x1
	scratch_store_b64 off, v[72:73], off offset:232
	s_wait_loadcnt 0x0
	scratch_store_b64 v1, v[74:75], off offset:-8
.LBB34_234:
	;; [unrolled: 31-line block ×16, first 2 shown]
	global_load_b32 v72, v0, s[2:3]
	scratch_load_b64 v[0:1], off, off
	s_wait_loadcnt 0x1
	v_cmp_eq_u32_e32 vcc_lo, 1, v72
	s_cbranch_vccnz .LBB34_292
; %bb.291:
	v_lshlrev_b32_e32 v72, 3, v72
	s_delay_alu instid0(VALU_DEP_1)
	v_mov_b32_e32 v74, v72
	scratch_load_b64 v[72:73], v74, off offset:-8
	s_wait_loadcnt 0x0
	scratch_store_b64 off, v[72:73], off
	scratch_store_b64 v74, v[0:1], off offset:-8
	scratch_load_b64 v[0:1], off, off
.LBB34_292:
	v_lshl_add_u64 v[72:73], v[2:3], 3, s[4:5]
	v_lshl_add_u64 v[74:75], v[6:7], 3, s[4:5]
	;; [unrolled: 1-line block ×4, first 2 shown]
	s_clause 0x10
	scratch_load_b128 v[68:71], off, off offset:8
	scratch_load_b128 v[76:79], off, off offset:24
	;; [unrolled: 1-line block ×17, first 2 shown]
	v_lshl_add_u64 v[10:11], v[10:11], 3, s[4:5]
	v_lshl_add_u64 v[12:13], v[12:13], 3, s[4:5]
	v_lshl_add_u64 v[14:15], v[14:15], 3, s[4:5]
	v_lshl_add_u64 v[16:17], v[16:17], 3, s[4:5]
	v_lshl_add_u64 v[18:19], v[18:19], 3, s[4:5]
	v_lshl_add_u64 v[20:21], v[20:21], 3, s[4:5]
	v_lshl_add_u64 v[22:23], v[22:23], 3, s[4:5]
	v_lshl_add_u64 v[24:25], v[24:25], 3, s[4:5]
	v_lshl_add_u64 v[26:27], v[26:27], 3, s[4:5]
	v_lshl_add_u64 v[28:29], v[28:29], 3, s[4:5]
	v_lshl_add_u64 v[30:31], v[30:31], 3, s[4:5]
	v_lshl_add_u64 v[32:33], v[32:33], 3, s[4:5]
	v_lshl_add_u64 v[34:35], v[34:35], 3, s[4:5]
	v_lshl_add_u64 v[36:37], v[36:37], 3, s[4:5]
	v_lshl_add_u64 v[38:39], v[38:39], 3, s[4:5]
	v_lshl_add_u64 v[40:41], v[40:41], 3, s[4:5]
	v_lshl_add_u64 v[42:43], v[42:43], 3, s[4:5]
	v_lshl_add_u64 v[44:45], v[44:45], 3, s[4:5]
	v_lshl_add_u64 v[46:47], v[46:47], 3, s[4:5]
	v_lshl_add_u64 v[48:49], v[48:49], 3, s[4:5]
	v_lshl_add_u64 v[50:51], v[50:51], 3, s[4:5]
	v_lshl_add_u64 v[52:53], v[52:53], 3, s[4:5]
	v_lshl_add_u64 v[54:55], v[54:55], 3, s[4:5]
	v_lshl_add_u64 v[56:57], v[56:57], 3, s[4:5]
	v_lshl_add_u64 v[58:59], v[58:59], 3, s[4:5]
	v_lshl_add_u64 v[60:61], v[60:61], 3, s[4:5]
	v_lshl_add_u64 v[62:63], v[62:63], 3, s[4:5]
	v_lshl_add_u64 v[64:65], v[64:65], 3, s[4:5]
	v_lshl_add_u64 v[66:67], v[66:67], 3, s[4:5]
	s_wait_loadcnt 0x11
	global_store_b64 v[4:5], v[0:1], off
	s_wait_loadcnt 0x10
	s_clause 0x1
	global_store_b64 v[8:9], v[68:69], off
	global_store_b64 v[72:73], v[70:71], off
	s_wait_loadcnt 0xf
	s_clause 0x1
	global_store_b64 v[74:75], v[76:77], off
	;; [unrolled: 4-line block ×17, first 2 shown]
	global_store_b64 v[6:7], v[138:139], off
	s_sendmsg sendmsg(MSG_DEALLOC_VGPRS)
	s_endpgm
	.section	.rodata,"a",@progbits
	.p2align	6, 0x0
	.amdhsa_kernel _ZN9rocsolver6v33100L18getri_kernel_smallILi35E19rocblas_complex_numIfEPS3_EEvT1_iilPiilS6_bb
		.amdhsa_group_segment_fixed_size 568
		.amdhsa_private_segment_fixed_size 288
		.amdhsa_kernarg_size 60
		.amdhsa_user_sgpr_count 2
		.amdhsa_user_sgpr_dispatch_ptr 0
		.amdhsa_user_sgpr_queue_ptr 0
		.amdhsa_user_sgpr_kernarg_segment_ptr 1
		.amdhsa_user_sgpr_dispatch_id 0
		.amdhsa_user_sgpr_kernarg_preload_length 0
		.amdhsa_user_sgpr_kernarg_preload_offset 0
		.amdhsa_user_sgpr_private_segment_size 0
		.amdhsa_wavefront_size32 1
		.amdhsa_uses_dynamic_stack 0
		.amdhsa_enable_private_segment 1
		.amdhsa_system_sgpr_workgroup_id_x 1
		.amdhsa_system_sgpr_workgroup_id_y 0
		.amdhsa_system_sgpr_workgroup_id_z 0
		.amdhsa_system_sgpr_workgroup_info 0
		.amdhsa_system_vgpr_workitem_id 0
		.amdhsa_next_free_vgpr 242
		.amdhsa_next_free_sgpr 19
		.amdhsa_named_barrier_count 0
		.amdhsa_reserve_vcc 1
		.amdhsa_float_round_mode_32 0
		.amdhsa_float_round_mode_16_64 0
		.amdhsa_float_denorm_mode_32 3
		.amdhsa_float_denorm_mode_16_64 3
		.amdhsa_fp16_overflow 0
		.amdhsa_memory_ordered 1
		.amdhsa_forward_progress 1
		.amdhsa_inst_pref_size 255
		.amdhsa_round_robin_scheduling 0
		.amdhsa_exception_fp_ieee_invalid_op 0
		.amdhsa_exception_fp_denorm_src 0
		.amdhsa_exception_fp_ieee_div_zero 0
		.amdhsa_exception_fp_ieee_overflow 0
		.amdhsa_exception_fp_ieee_underflow 0
		.amdhsa_exception_fp_ieee_inexact 0
		.amdhsa_exception_int_div_zero 0
	.end_amdhsa_kernel
	.section	.text._ZN9rocsolver6v33100L18getri_kernel_smallILi35E19rocblas_complex_numIfEPS3_EEvT1_iilPiilS6_bb,"axG",@progbits,_ZN9rocsolver6v33100L18getri_kernel_smallILi35E19rocblas_complex_numIfEPS3_EEvT1_iilPiilS6_bb,comdat
.Lfunc_end34:
	.size	_ZN9rocsolver6v33100L18getri_kernel_smallILi35E19rocblas_complex_numIfEPS3_EEvT1_iilPiilS6_bb, .Lfunc_end34-_ZN9rocsolver6v33100L18getri_kernel_smallILi35E19rocblas_complex_numIfEPS3_EEvT1_iilPiilS6_bb
                                        ; -- End function
	.set _ZN9rocsolver6v33100L18getri_kernel_smallILi35E19rocblas_complex_numIfEPS3_EEvT1_iilPiilS6_bb.num_vgpr, 242
	.set _ZN9rocsolver6v33100L18getri_kernel_smallILi35E19rocblas_complex_numIfEPS3_EEvT1_iilPiilS6_bb.num_agpr, 0
	.set _ZN9rocsolver6v33100L18getri_kernel_smallILi35E19rocblas_complex_numIfEPS3_EEvT1_iilPiilS6_bb.numbered_sgpr, 19
	.set _ZN9rocsolver6v33100L18getri_kernel_smallILi35E19rocblas_complex_numIfEPS3_EEvT1_iilPiilS6_bb.num_named_barrier, 0
	.set _ZN9rocsolver6v33100L18getri_kernel_smallILi35E19rocblas_complex_numIfEPS3_EEvT1_iilPiilS6_bb.private_seg_size, 288
	.set _ZN9rocsolver6v33100L18getri_kernel_smallILi35E19rocblas_complex_numIfEPS3_EEvT1_iilPiilS6_bb.uses_vcc, 1
	.set _ZN9rocsolver6v33100L18getri_kernel_smallILi35E19rocblas_complex_numIfEPS3_EEvT1_iilPiilS6_bb.uses_flat_scratch, 1
	.set _ZN9rocsolver6v33100L18getri_kernel_smallILi35E19rocblas_complex_numIfEPS3_EEvT1_iilPiilS6_bb.has_dyn_sized_stack, 0
	.set _ZN9rocsolver6v33100L18getri_kernel_smallILi35E19rocblas_complex_numIfEPS3_EEvT1_iilPiilS6_bb.has_recursion, 0
	.set _ZN9rocsolver6v33100L18getri_kernel_smallILi35E19rocblas_complex_numIfEPS3_EEvT1_iilPiilS6_bb.has_indirect_call, 0
	.section	.AMDGPU.csdata,"",@progbits
; Kernel info:
; codeLenInByte = 50972
; TotalNumSgprs: 21
; NumVgprs: 242
; ScratchSize: 288
; MemoryBound: 0
; FloatMode: 240
; IeeeMode: 1
; LDSByteSize: 568 bytes/workgroup (compile time only)
; SGPRBlocks: 0
; VGPRBlocks: 15
; NumSGPRsForWavesPerEU: 21
; NumVGPRsForWavesPerEU: 242
; NamedBarCnt: 0
; Occupancy: 4
; WaveLimiterHint : 1
; COMPUTE_PGM_RSRC2:SCRATCH_EN: 1
; COMPUTE_PGM_RSRC2:USER_SGPR: 2
; COMPUTE_PGM_RSRC2:TRAP_HANDLER: 0
; COMPUTE_PGM_RSRC2:TGID_X_EN: 1
; COMPUTE_PGM_RSRC2:TGID_Y_EN: 0
; COMPUTE_PGM_RSRC2:TGID_Z_EN: 0
; COMPUTE_PGM_RSRC2:TIDIG_COMP_CNT: 0
	.section	.text._ZN9rocsolver6v33100L18getri_kernel_smallILi36E19rocblas_complex_numIfEPS3_EEvT1_iilPiilS6_bb,"axG",@progbits,_ZN9rocsolver6v33100L18getri_kernel_smallILi36E19rocblas_complex_numIfEPS3_EEvT1_iilPiilS6_bb,comdat
	.globl	_ZN9rocsolver6v33100L18getri_kernel_smallILi36E19rocblas_complex_numIfEPS3_EEvT1_iilPiilS6_bb ; -- Begin function _ZN9rocsolver6v33100L18getri_kernel_smallILi36E19rocblas_complex_numIfEPS3_EEvT1_iilPiilS6_bb
	.p2align	8
	.type	_ZN9rocsolver6v33100L18getri_kernel_smallILi36E19rocblas_complex_numIfEPS3_EEvT1_iilPiilS6_bb,@function
_ZN9rocsolver6v33100L18getri_kernel_smallILi36E19rocblas_complex_numIfEPS3_EEvT1_iilPiilS6_bb: ; @_ZN9rocsolver6v33100L18getri_kernel_smallILi36E19rocblas_complex_numIfEPS3_EEvT1_iilPiilS6_bb
; %bb.0:
	s_mov_b32 s2, exec_lo
	v_cmpx_gt_u32_e32 36, v0
	s_cbranch_execz .LBB35_158
; %bb.1:
	s_clause 0x2
	s_load_b32 s2, s[0:1], 0x38
	s_load_b128 s[12:15], s[0:1], 0x10
	s_load_b128 s[4:7], s[0:1], 0x28
	s_getreg_b32 s9, hwreg(HW_REG_IB_STS2, 6, 4)
	s_wait_kmcnt 0x0
	s_bitcmp1_b32 s2, 8
	s_cselect_b32 s18, -1, 0
	s_bfe_u32 s3, ttmp6, 0x4000c
	s_and_b32 s8, ttmp6, 15
	s_add_co_i32 s3, s3, 1
	s_delay_alu instid0(SALU_CYCLE_1) | instskip(NEXT) | instid1(SALU_CYCLE_1)
	s_mul_i32 s3, ttmp9, s3
	s_add_co_i32 s8, s8, s3
	s_cmp_eq_u32 s9, 0
	s_cselect_b32 s16, ttmp9, s8
	s_bfe_u32 s2, s2, 0x10008
	s_ashr_i32 s17, s16, 31
	s_cmp_eq_u32 s2, 0
                                        ; implicit-def: $sgpr2_sgpr3
	s_cbranch_scc1 .LBB35_3
; %bb.2:
	s_load_b32 s2, s[0:1], 0x20
	s_mul_u64 s[4:5], s[4:5], s[16:17]
	s_delay_alu instid0(SALU_CYCLE_1) | instskip(NEXT) | instid1(SALU_CYCLE_1)
	s_lshl_b64 s[4:5], s[4:5], 2
	s_add_nc_u64 s[4:5], s[14:15], s[4:5]
	s_wait_kmcnt 0x0
	s_ashr_i32 s3, s2, 31
	s_delay_alu instid0(SALU_CYCLE_1) | instskip(NEXT) | instid1(SALU_CYCLE_1)
	s_lshl_b64 s[2:3], s[2:3], 2
	s_add_nc_u64 s[2:3], s[4:5], s[2:3]
.LBB35_3:
	s_clause 0x1
	s_load_b128 s[8:11], s[0:1], 0x0
	s_load_b32 s14, s[0:1], 0x38
	s_wait_xcnt 0x0
	s_mul_u64 s[0:1], s[12:13], s[16:17]
	v_lshlrev_b32_e32 v74, 3, v0
	s_lshl_b64 s[0:1], s[0:1], 3
	s_wait_kmcnt 0x0
	v_add3_u32 v4, s11, s11, v0
	s_ashr_i32 s5, s10, 31
	s_mov_b32 s4, s10
	s_add_nc_u64 s[0:1], s[8:9], s[0:1]
	s_lshl_b64 s[4:5], s[4:5], 3
	v_add_nc_u32_e32 v6, s11, v4
	s_add_nc_u64 s[4:5], s[0:1], s[4:5]
	s_ashr_i32 s1, s11, 31
	s_mov_b32 s0, s11
	s_bitcmp0_b32 s14, 0
	v_add_nc_u32_e32 v10, s11, v6
	s_delay_alu instid0(VALU_DEP_1) | instskip(NEXT) | instid1(VALU_DEP_1)
	v_add_nc_u32_e32 v12, s11, v10
	v_add_nc_u32_e32 v14, s11, v12
	s_delay_alu instid0(VALU_DEP_1) | instskip(NEXT) | instid1(VALU_DEP_1)
	v_add_nc_u32_e32 v16, s11, v14
	;; [unrolled: 3-line block ×9, first 2 shown]
	v_add_nc_u32_e32 v46, s11, v44
	s_delay_alu instid0(VALU_DEP_1) | instskip(NEXT) | instid1(VALU_DEP_1)
	v_dual_mov_b32 v75, 0 :: v_dual_add_nc_u32 v48, s11, v46
	v_add_nc_u32_e32 v50, s11, v48
	s_delay_alu instid0(VALU_DEP_2) | instskip(NEXT) | instid1(VALU_DEP_2)
	v_add_nc_u64_e32 v[2:3], s[4:5], v[74:75]
	v_add_nc_u32_e32 v52, s11, v50
	s_delay_alu instid0(VALU_DEP_2) | instskip(SKIP_1) | instid1(VALU_DEP_2)
	v_lshl_add_u64 v[8:9], s[0:1], 3, v[2:3]
	s_mov_b32 s1, -1
	v_add_nc_u32_e32 v54, s11, v52
	s_clause 0x9
	global_load_b64 v[76:77], v0, s[4:5] scale_offset
	global_load_b64 v[78:79], v[8:9], off
	global_load_b64 v[80:81], v4, s[4:5] scale_offset
	global_load_b64 v[82:83], v6, s[4:5] scale_offset
	;; [unrolled: 1-line block ×8, first 2 shown]
	v_add_nc_u32_e32 v56, s11, v54
	s_clause 0xb
	global_load_b64 v[96:97], v22, s[4:5] scale_offset
	global_load_b64 v[98:99], v24, s[4:5] scale_offset
	;; [unrolled: 1-line block ×12, first 2 shown]
	v_add_nc_u32_e32 v58, s11, v56
	s_clause 0x3
	global_load_b64 v[120:121], v46, s[4:5] scale_offset
	global_load_b64 v[122:123], v48, s[4:5] scale_offset
	;; [unrolled: 1-line block ×4, first 2 shown]
	v_add_nc_u32_e32 v60, s11, v58
	s_delay_alu instid0(VALU_DEP_1)
	v_add_nc_u32_e32 v62, s11, v60
	s_clause 0x3
	global_load_b64 v[128:129], v54, s[4:5] scale_offset
	global_load_b64 v[130:131], v56, s[4:5] scale_offset
	;; [unrolled: 1-line block ×4, first 2 shown]
	v_add_nc_u32_e32 v64, s11, v62
	s_delay_alu instid0(VALU_DEP_1) | instskip(NEXT) | instid1(VALU_DEP_1)
	v_add_nc_u32_e32 v66, s11, v64
	v_add_nc_u32_e32 v68, s11, v66
	s_delay_alu instid0(VALU_DEP_1) | instskip(NEXT) | instid1(VALU_DEP_1)
	v_add_nc_u32_e32 v70, s11, v68
	v_add_nc_u32_e32 v72, s11, v70
	s_clause 0x5
	global_load_b64 v[136:137], v62, s[4:5] scale_offset
	global_load_b64 v[138:139], v64, s[4:5] scale_offset
	;; [unrolled: 1-line block ×6, first 2 shown]
	s_wait_loadcnt 0x22
	scratch_store_b128 off, v[76:79], off
	s_wait_loadcnt 0x20
	scratch_store_b128 off, v[80:83], off offset:16
	s_wait_loadcnt 0x1e
	scratch_store_b128 off, v[84:87], off offset:32
	;; [unrolled: 2-line block ×17, first 2 shown]
	s_cbranch_scc1 .LBB35_156
; %bb.4:
	v_cmp_eq_u32_e64 s0, 0, v0
	s_wait_xcnt 0x0
	s_and_saveexec_b32 s1, s0
; %bb.5:
	v_mov_b32_e32 v1, 0
	ds_store_b32 v1, v1 offset:576
; %bb.6:
	s_or_b32 exec_lo, exec_lo, s1
	s_wait_storecnt_dscnt 0x0
	s_barrier_signal -1
	s_barrier_wait -1
	scratch_load_b64 v[76:77], v0, off scale_offset
	s_wait_loadcnt 0x0
	v_cmp_eq_f32_e32 vcc_lo, 0, v76
	v_cmp_eq_f32_e64 s1, 0, v77
	s_and_b32 s1, vcc_lo, s1
	s_delay_alu instid0(SALU_CYCLE_1)
	s_and_saveexec_b32 s8, s1
	s_cbranch_execz .LBB35_10
; %bb.7:
	v_mov_b32_e32 v1, 0
	s_mov_b32 s9, 0
	ds_load_b32 v5, v1 offset:576
	s_wait_dscnt 0x0
	v_readfirstlane_b32 s1, v5
	v_add_nc_u32_e32 v5, 1, v0
	s_cmp_eq_u32 s1, 0
	s_delay_alu instid0(VALU_DEP_1) | instskip(SKIP_1) | instid1(SALU_CYCLE_1)
	v_cmp_gt_i32_e32 vcc_lo, s1, v5
	s_cselect_b32 s10, -1, 0
	s_or_b32 s10, s10, vcc_lo
	s_delay_alu instid0(SALU_CYCLE_1)
	s_and_b32 exec_lo, exec_lo, s10
	s_cbranch_execz .LBB35_10
; %bb.8:
	v_mov_b32_e32 v7, s1
.LBB35_9:                               ; =>This Inner Loop Header: Depth=1
	ds_cmpstore_rtn_b32 v7, v1, v5, v7 offset:576
	s_wait_dscnt 0x0
	v_cmp_ne_u32_e32 vcc_lo, 0, v7
	v_cmp_le_i32_e64 s1, v7, v5
	s_and_b32 s1, vcc_lo, s1
	s_delay_alu instid0(SALU_CYCLE_1) | instskip(NEXT) | instid1(SALU_CYCLE_1)
	s_and_b32 s1, exec_lo, s1
	s_or_b32 s9, s1, s9
	s_delay_alu instid0(SALU_CYCLE_1)
	s_and_not1_b32 exec_lo, exec_lo, s9
	s_cbranch_execnz .LBB35_9
.LBB35_10:
	s_or_b32 exec_lo, exec_lo, s8
	v_mov_b32_e32 v1, 0
	s_barrier_signal -1
	s_barrier_wait -1
	ds_load_b32 v5, v1 offset:576
	s_and_saveexec_b32 s1, s0
	s_cbranch_execz .LBB35_12
; %bb.11:
	s_lshl_b64 s[8:9], s[16:17], 2
	s_delay_alu instid0(SALU_CYCLE_1)
	s_add_nc_u64 s[8:9], s[6:7], s[8:9]
	s_wait_dscnt 0x0
	global_store_b32 v1, v5, s[8:9]
.LBB35_12:
	s_wait_xcnt 0x0
	s_or_b32 exec_lo, exec_lo, s1
	s_wait_dscnt 0x0
	v_cmp_ne_u32_e32 vcc_lo, 0, v5
	s_mov_b32 s1, 0
	s_cbranch_vccnz .LBB35_156
; %bb.13:
	v_lshl_add_u32 v5, v0, 3, 0
                                        ; implicit-def: $vgpr79
                                        ; implicit-def: $vgpr80
	scratch_load_b64 v[76:77], v5, off
	s_wait_loadcnt 0x0
	v_cmp_ngt_f32_e64 s1, |v76|, |v77|
	s_wait_xcnt 0x0
	s_and_saveexec_b32 s8, s1
	s_delay_alu instid0(SALU_CYCLE_1)
	s_xor_b32 s1, exec_lo, s8
	s_cbranch_execz .LBB35_15
; %bb.14:
	v_div_scale_f32 v1, null, v77, v77, v76
	v_div_scale_f32 v13, vcc_lo, v76, v77, v76
	s_delay_alu instid0(VALU_DEP_2) | instskip(SKIP_1) | instid1(TRANS32_DEP_1)
	v_rcp_f32_e32 v7, v1
	v_nop
	v_fma_f32 v11, -v1, v7, 1.0
	s_delay_alu instid0(VALU_DEP_1) | instskip(NEXT) | instid1(VALU_DEP_1)
	v_fmac_f32_e32 v7, v11, v7
	v_mul_f32_e32 v11, v13, v7
	s_delay_alu instid0(VALU_DEP_1) | instskip(NEXT) | instid1(VALU_DEP_1)
	v_fma_f32 v15, -v1, v11, v13
	v_fmac_f32_e32 v11, v15, v7
	s_delay_alu instid0(VALU_DEP_1) | instskip(NEXT) | instid1(VALU_DEP_1)
	v_fma_f32 v1, -v1, v11, v13
	v_div_fmas_f32 v1, v1, v7, v11
	s_delay_alu instid0(VALU_DEP_1) | instskip(NEXT) | instid1(VALU_DEP_1)
	v_div_fixup_f32 v1, v1, v77, v76
	v_fmac_f32_e32 v77, v76, v1
	s_delay_alu instid0(VALU_DEP_1) | instskip(NEXT) | instid1(VALU_DEP_1)
	v_div_scale_f32 v7, null, v77, v77, -1.0
	v_rcp_f32_e32 v11, v7
	v_nop
	s_delay_alu instid0(TRANS32_DEP_1) | instskip(NEXT) | instid1(VALU_DEP_1)
	v_fma_f32 v13, -v7, v11, 1.0
	v_fmac_f32_e32 v11, v13, v11
	v_div_scale_f32 v13, vcc_lo, -1.0, v77, -1.0
	s_delay_alu instid0(VALU_DEP_1) | instskip(NEXT) | instid1(VALU_DEP_1)
	v_mul_f32_e32 v15, v13, v11
	v_fma_f32 v17, -v7, v15, v13
	s_delay_alu instid0(VALU_DEP_1) | instskip(NEXT) | instid1(VALU_DEP_1)
	v_fmac_f32_e32 v15, v17, v11
	v_fma_f32 v7, -v7, v15, v13
	s_delay_alu instid0(VALU_DEP_1) | instskip(NEXT) | instid1(VALU_DEP_1)
	v_div_fmas_f32 v7, v7, v11, v15
	v_div_fixup_f32 v79, v7, v77, -1.0
                                        ; implicit-def: $vgpr76_vgpr77
	s_delay_alu instid0(VALU_DEP_1) | instskip(NEXT) | instid1(VALU_DEP_1)
	v_mul_f32_e32 v80, v1, v79
	v_xor_b32_e32 v78, 0x80000000, v80
.LBB35_15:
	s_and_not1_saveexec_b32 s1, s1
	s_cbranch_execz .LBB35_17
; %bb.16:
	v_div_scale_f32 v1, null, v76, v76, v77
	v_div_scale_f32 v13, vcc_lo, v77, v76, v77
	s_delay_alu instid0(VALU_DEP_2) | instskip(SKIP_1) | instid1(TRANS32_DEP_1)
	v_rcp_f32_e32 v7, v1
	v_nop
	v_fma_f32 v11, -v1, v7, 1.0
	s_delay_alu instid0(VALU_DEP_1) | instskip(NEXT) | instid1(VALU_DEP_1)
	v_fmac_f32_e32 v7, v11, v7
	v_mul_f32_e32 v11, v13, v7
	s_delay_alu instid0(VALU_DEP_1) | instskip(NEXT) | instid1(VALU_DEP_1)
	v_fma_f32 v15, -v1, v11, v13
	v_fmac_f32_e32 v11, v15, v7
	s_delay_alu instid0(VALU_DEP_1) | instskip(NEXT) | instid1(VALU_DEP_1)
	v_fma_f32 v1, -v1, v11, v13
	v_div_fmas_f32 v1, v1, v7, v11
	s_delay_alu instid0(VALU_DEP_1) | instskip(NEXT) | instid1(VALU_DEP_1)
	v_div_fixup_f32 v1, v1, v76, v77
	v_fmac_f32_e32 v76, v77, v1
	s_delay_alu instid0(VALU_DEP_1) | instskip(SKIP_1) | instid1(VALU_DEP_2)
	v_div_scale_f32 v7, null, v76, v76, 1.0
	v_div_scale_f32 v15, vcc_lo, 1.0, v76, 1.0
	v_rcp_f32_e32 v11, v7
	v_nop
	s_delay_alu instid0(TRANS32_DEP_1) | instskip(NEXT) | instid1(VALU_DEP_1)
	v_fma_f32 v13, -v7, v11, 1.0
	v_fmac_f32_e32 v11, v13, v11
	s_delay_alu instid0(VALU_DEP_1) | instskip(NEXT) | instid1(VALU_DEP_1)
	v_mul_f32_e32 v13, v15, v11
	v_fma_f32 v17, -v7, v13, v15
	s_delay_alu instid0(VALU_DEP_1) | instskip(NEXT) | instid1(VALU_DEP_1)
	v_fmac_f32_e32 v13, v17, v11
	v_fma_f32 v7, -v7, v13, v15
	s_delay_alu instid0(VALU_DEP_1) | instskip(NEXT) | instid1(VALU_DEP_1)
	v_div_fmas_f32 v7, v7, v11, v13
	v_div_fixup_f32 v78, v7, v76, 1.0
	s_delay_alu instid0(VALU_DEP_1)
	v_xor_b32_e32 v80, 0x80000000, v78
	v_mul_f32_e64 v79, v1, -v78
.LBB35_17:
	s_or_b32 exec_lo, exec_lo, s1
	scratch_store_b64 v5, v[78:79], off
	scratch_load_b64 v[76:77], off, off offset:8
	v_xor_b32_e32 v81, 0x80000000, v79
	v_add_nc_u32_e32 v1, 0x120, v74
	s_wait_loadcnt 0x0
	ds_store_2addr_b64 v74, v[80:81], v[76:77] offset1:36
	s_wait_storecnt_dscnt 0x0
	s_barrier_signal -1
	s_barrier_wait -1
	s_wait_xcnt 0x0
	s_and_saveexec_b32 s1, s0
	s_cbranch_execz .LBB35_19
; %bb.18:
	scratch_load_b64 v[76:77], v5, off
	ds_load_b64 v[78:79], v1
	s_wait_loadcnt_dscnt 0x0
	v_pk_mul_f32 v[82:83], v[78:79], v[76:77] op_sel:[1,1] op_sel_hi:[0,1]
	s_delay_alu instid0(VALU_DEP_1) | instskip(SKIP_2) | instid1(VALU_DEP_3)
	v_pk_fma_f32 v[84:85], v[78:79], v[76:77], v[82:83] op_sel_hi:[1,0,1]
	v_mov_b32_e32 v7, 0
	v_pk_fma_f32 v[76:77], v[78:79], v[76:77], v[82:83] neg_lo:[0,0,1] neg_hi:[0,0,1]
	v_mov_b32_e32 v77, v85
	ds_load_b64 v[80:81], v7 offset:8
	v_pk_add_f32 v[76:77], v[76:77], 0 op_sel_hi:[1,0]
	s_wait_dscnt 0x0
	s_delay_alu instid0(VALU_DEP_1) | instskip(NEXT) | instid1(VALU_DEP_1)
	v_pk_mul_f32 v[78:79], v[76:77], v[80:81] op_sel:[1,1] op_sel_hi:[0,1]
	v_pk_fma_f32 v[82:83], v[76:77], v[80:81], v[78:79] op_sel_hi:[1,0,1]
	v_pk_fma_f32 v[76:77], v[76:77], v[80:81], v[78:79] neg_lo:[0,0,1] neg_hi:[0,0,1]
	s_delay_alu instid0(VALU_DEP_2)
	v_mov_b32_e32 v77, v83
	scratch_store_b64 off, v[76:77], off offset:8
.LBB35_19:
	s_wait_xcnt 0x0
	s_or_b32 exec_lo, exec_lo, s1
	s_wait_storecnt 0x0
	s_barrier_signal -1
	s_barrier_wait -1
	scratch_load_b64 v[76:77], off, off offset:16
	s_mov_b32 s1, exec_lo
	s_wait_loadcnt 0x0
	ds_store_b64 v1, v[76:77]
	s_wait_dscnt 0x0
	s_barrier_signal -1
	s_barrier_wait -1
	v_cmpx_gt_u32_e32 2, v0
	s_cbranch_execz .LBB35_23
; %bb.20:
	scratch_load_b64 v[76:77], v5, off
	ds_load_b64 v[78:79], v1
	s_wait_loadcnt_dscnt 0x0
	v_pk_mul_f32 v[80:81], v[78:79], v[76:77] op_sel:[1,1] op_sel_hi:[0,1]
	s_delay_alu instid0(VALU_DEP_1) | instskip(SKIP_1) | instid1(VALU_DEP_2)
	v_pk_fma_f32 v[82:83], v[78:79], v[76:77], v[80:81] op_sel_hi:[1,0,1]
	v_pk_fma_f32 v[76:77], v[78:79], v[76:77], v[80:81] neg_lo:[0,0,1] neg_hi:[0,0,1]
	v_mov_b32_e32 v77, v83
	s_delay_alu instid0(VALU_DEP_1)
	v_pk_add_f32 v[76:77], v[76:77], 0 op_sel_hi:[1,0]
	s_and_saveexec_b32 s8, s0
	s_cbranch_execz .LBB35_22
; %bb.21:
	scratch_load_b64 v[78:79], off, off offset:8
	v_mov_b32_e32 v5, 0
	ds_load_b64 v[80:81], v5 offset:296
	s_wait_loadcnt_dscnt 0x0
	v_pk_mul_f32 v[82:83], v[80:81], v[78:79] op_sel:[1,1] op_sel_hi:[0,1]
	s_delay_alu instid0(VALU_DEP_1) | instskip(SKIP_1) | instid1(VALU_DEP_2)
	v_pk_fma_f32 v[84:85], v[80:81], v[78:79], v[82:83] op_sel_hi:[1,0,1]
	v_pk_fma_f32 v[78:79], v[80:81], v[78:79], v[82:83] neg_lo:[0,0,1] neg_hi:[0,0,1]
	v_mov_b32_e32 v79, v85
	s_delay_alu instid0(VALU_DEP_1)
	v_pk_add_f32 v[76:77], v[76:77], v[78:79]
.LBB35_22:
	s_or_b32 exec_lo, exec_lo, s8
	v_mov_b32_e32 v5, 0
	ds_load_b64 v[78:79], v5 offset:16
	s_wait_dscnt 0x0
	v_pk_mul_f32 v[80:81], v[76:77], v[78:79] op_sel:[1,1] op_sel_hi:[0,1]
	s_delay_alu instid0(VALU_DEP_1) | instskip(SKIP_1) | instid1(VALU_DEP_2)
	v_pk_fma_f32 v[82:83], v[76:77], v[78:79], v[80:81] op_sel_hi:[1,0,1]
	v_pk_fma_f32 v[76:77], v[76:77], v[78:79], v[80:81] neg_lo:[0,0,1] neg_hi:[0,0,1]
	v_mov_b32_e32 v77, v83
	scratch_store_b64 off, v[76:77], off offset:16
.LBB35_23:
	s_wait_xcnt 0x0
	s_or_b32 exec_lo, exec_lo, s1
	s_wait_storecnt 0x0
	s_barrier_signal -1
	s_barrier_wait -1
	scratch_load_b64 v[76:77], off, off offset:24
	v_add_nc_u32_e32 v5, -1, v0
	s_mov_b32 s0, exec_lo
	s_wait_loadcnt 0x0
	ds_store_b64 v1, v[76:77]
	s_wait_dscnt 0x0
	s_barrier_signal -1
	s_barrier_wait -1
	v_cmpx_gt_u32_e32 3, v0
	s_cbranch_execz .LBB35_27
; %bb.24:
	v_dual_mov_b32 v76, 0 :: v_dual_add_nc_u32 v7, -1, v0
	v_add_nc_u32_e32 v11, 0x120, v74
	v_mov_b32_e32 v13, v74
	s_mov_b32 s1, 0
	s_delay_alu instid0(VALU_DEP_3)
	v_mov_b32_e32 v77, v76
.LBB35_25:                              ; =>This Inner Loop Header: Depth=1
	scratch_load_b64 v[78:79], v13, off
	ds_load_b64 v[80:81], v11
	s_wait_xcnt 0x0
	v_dual_add_nc_u32 v11, 8, v11 :: v_dual_add_nc_u32 v13, 8, v13
	s_wait_loadcnt_dscnt 0x0
	v_pk_mul_f32 v[82:83], v[80:81], v[78:79] op_sel:[1,1] op_sel_hi:[0,1]
	s_delay_alu instid0(VALU_DEP_1) | instskip(SKIP_2) | instid1(VALU_DEP_3)
	v_pk_fma_f32 v[84:85], v[80:81], v[78:79], v[82:83] op_sel_hi:[1,0,1]
	v_add_nc_u32_e32 v7, 1, v7
	v_pk_fma_f32 v[78:79], v[80:81], v[78:79], v[82:83] neg_lo:[0,0,1] neg_hi:[0,0,1]
	v_mov_b32_e32 v79, v85
	s_delay_alu instid0(VALU_DEP_3) | instskip(NEXT) | instid1(VALU_DEP_2)
	v_cmp_lt_u32_e32 vcc_lo, 1, v7
	v_pk_add_f32 v[76:77], v[76:77], v[78:79]
	s_or_b32 s1, vcc_lo, s1
	s_delay_alu instid0(SALU_CYCLE_1)
	s_and_not1_b32 exec_lo, exec_lo, s1
	s_cbranch_execnz .LBB35_25
; %bb.26:
	s_or_b32 exec_lo, exec_lo, s1
	v_mov_b32_e32 v7, 0
	ds_load_b64 v[78:79], v7 offset:24
	s_wait_dscnt 0x0
	v_pk_mul_f32 v[80:81], v[76:77], v[78:79] op_sel:[1,1] op_sel_hi:[0,1]
	s_delay_alu instid0(VALU_DEP_1) | instskip(SKIP_1) | instid1(VALU_DEP_2)
	v_pk_fma_f32 v[82:83], v[76:77], v[78:79], v[80:81] op_sel_hi:[1,0,1]
	v_pk_fma_f32 v[76:77], v[76:77], v[78:79], v[80:81] neg_lo:[0,0,1] neg_hi:[0,0,1]
	v_mov_b32_e32 v77, v83
	scratch_store_b64 off, v[76:77], off offset:24
.LBB35_27:
	s_wait_xcnt 0x0
	s_or_b32 exec_lo, exec_lo, s0
	s_wait_storecnt 0x0
	s_barrier_signal -1
	s_barrier_wait -1
	scratch_load_b64 v[76:77], off, off offset:32
	s_mov_b32 s0, exec_lo
	s_wait_loadcnt 0x0
	ds_store_b64 v1, v[76:77]
	s_wait_dscnt 0x0
	s_barrier_signal -1
	s_barrier_wait -1
	v_cmpx_gt_u32_e32 4, v0
	s_cbranch_execz .LBB35_31
; %bb.28:
	v_dual_mov_b32 v76, 0 :: v_dual_add_nc_u32 v7, -1, v0
	v_add_nc_u32_e32 v11, 0x120, v74
	v_mov_b32_e32 v13, v74
	s_mov_b32 s1, 0
	s_delay_alu instid0(VALU_DEP_3)
	v_mov_b32_e32 v77, v76
.LBB35_29:                              ; =>This Inner Loop Header: Depth=1
	scratch_load_b64 v[78:79], v13, off
	ds_load_b64 v[80:81], v11
	s_wait_xcnt 0x0
	v_dual_add_nc_u32 v11, 8, v11 :: v_dual_add_nc_u32 v13, 8, v13
	s_wait_loadcnt_dscnt 0x0
	v_pk_mul_f32 v[82:83], v[80:81], v[78:79] op_sel:[1,1] op_sel_hi:[0,1]
	s_delay_alu instid0(VALU_DEP_1) | instskip(SKIP_2) | instid1(VALU_DEP_3)
	v_pk_fma_f32 v[84:85], v[80:81], v[78:79], v[82:83] op_sel_hi:[1,0,1]
	v_add_nc_u32_e32 v7, 1, v7
	v_pk_fma_f32 v[78:79], v[80:81], v[78:79], v[82:83] neg_lo:[0,0,1] neg_hi:[0,0,1]
	v_mov_b32_e32 v79, v85
	s_delay_alu instid0(VALU_DEP_3) | instskip(NEXT) | instid1(VALU_DEP_2)
	v_cmp_lt_u32_e32 vcc_lo, 2, v7
	v_pk_add_f32 v[76:77], v[76:77], v[78:79]
	s_or_b32 s1, vcc_lo, s1
	s_delay_alu instid0(SALU_CYCLE_1)
	s_and_not1_b32 exec_lo, exec_lo, s1
	s_cbranch_execnz .LBB35_29
; %bb.30:
	s_or_b32 exec_lo, exec_lo, s1
	v_mov_b32_e32 v7, 0
	ds_load_b64 v[78:79], v7 offset:32
	s_wait_dscnt 0x0
	v_pk_mul_f32 v[80:81], v[76:77], v[78:79] op_sel:[1,1] op_sel_hi:[0,1]
	s_delay_alu instid0(VALU_DEP_1) | instskip(SKIP_1) | instid1(VALU_DEP_2)
	v_pk_fma_f32 v[82:83], v[76:77], v[78:79], v[80:81] op_sel_hi:[1,0,1]
	v_pk_fma_f32 v[76:77], v[76:77], v[78:79], v[80:81] neg_lo:[0,0,1] neg_hi:[0,0,1]
	v_mov_b32_e32 v77, v83
	scratch_store_b64 off, v[76:77], off offset:32
.LBB35_31:
	s_wait_xcnt 0x0
	s_or_b32 exec_lo, exec_lo, s0
	s_wait_storecnt 0x0
	s_barrier_signal -1
	s_barrier_wait -1
	scratch_load_b64 v[76:77], off, off offset:40
	;; [unrolled: 52-line block ×19, first 2 shown]
	s_mov_b32 s0, exec_lo
	s_wait_loadcnt 0x0
	ds_store_b64 v1, v[76:77]
	s_wait_dscnt 0x0
	s_barrier_signal -1
	s_barrier_wait -1
	v_cmpx_gt_u32_e32 22, v0
	s_cbranch_execz .LBB35_103
; %bb.100:
	v_dual_mov_b32 v76, 0 :: v_dual_add_nc_u32 v7, -1, v0
	v_add_nc_u32_e32 v11, 0x120, v74
	v_mov_b32_e32 v13, v74
	s_mov_b32 s1, 0
	s_delay_alu instid0(VALU_DEP_3)
	v_mov_b32_e32 v77, v76
.LBB35_101:                             ; =>This Inner Loop Header: Depth=1
	scratch_load_b64 v[78:79], v13, off
	ds_load_b64 v[80:81], v11
	s_wait_xcnt 0x0
	v_dual_add_nc_u32 v11, 8, v11 :: v_dual_add_nc_u32 v13, 8, v13
	s_wait_loadcnt_dscnt 0x0
	v_pk_mul_f32 v[82:83], v[80:81], v[78:79] op_sel:[1,1] op_sel_hi:[0,1]
	s_delay_alu instid0(VALU_DEP_1) | instskip(SKIP_2) | instid1(VALU_DEP_3)
	v_pk_fma_f32 v[84:85], v[80:81], v[78:79], v[82:83] op_sel_hi:[1,0,1]
	v_add_nc_u32_e32 v7, 1, v7
	v_pk_fma_f32 v[78:79], v[80:81], v[78:79], v[82:83] neg_lo:[0,0,1] neg_hi:[0,0,1]
	v_mov_b32_e32 v79, v85
	s_delay_alu instid0(VALU_DEP_3) | instskip(NEXT) | instid1(VALU_DEP_2)
	v_cmp_lt_u32_e32 vcc_lo, 20, v7
	v_pk_add_f32 v[76:77], v[76:77], v[78:79]
	s_or_b32 s1, vcc_lo, s1
	s_delay_alu instid0(SALU_CYCLE_1)
	s_and_not1_b32 exec_lo, exec_lo, s1
	s_cbranch_execnz .LBB35_101
; %bb.102:
	s_or_b32 exec_lo, exec_lo, s1
	v_mov_b32_e32 v7, 0
	ds_load_b64 v[78:79], v7 offset:176
	s_wait_dscnt 0x0
	v_pk_mul_f32 v[80:81], v[76:77], v[78:79] op_sel:[1,1] op_sel_hi:[0,1]
	s_delay_alu instid0(VALU_DEP_1) | instskip(SKIP_1) | instid1(VALU_DEP_2)
	v_pk_fma_f32 v[82:83], v[76:77], v[78:79], v[80:81] op_sel_hi:[1,0,1]
	v_pk_fma_f32 v[76:77], v[76:77], v[78:79], v[80:81] neg_lo:[0,0,1] neg_hi:[0,0,1]
	v_mov_b32_e32 v77, v83
	scratch_store_b64 off, v[76:77], off offset:176
.LBB35_103:
	s_wait_xcnt 0x0
	s_or_b32 exec_lo, exec_lo, s0
	s_wait_storecnt 0x0
	s_barrier_signal -1
	s_barrier_wait -1
	scratch_load_b64 v[76:77], off, off offset:184
	s_mov_b32 s0, exec_lo
	s_wait_loadcnt 0x0
	ds_store_b64 v1, v[76:77]
	s_wait_dscnt 0x0
	s_barrier_signal -1
	s_barrier_wait -1
	v_cmpx_gt_u32_e32 23, v0
	s_cbranch_execz .LBB35_107
; %bb.104:
	v_dual_mov_b32 v76, 0 :: v_dual_add_nc_u32 v7, -1, v0
	v_add_nc_u32_e32 v11, 0x120, v74
	v_mov_b32_e32 v13, v74
	s_mov_b32 s1, 0
	s_delay_alu instid0(VALU_DEP_3)
	v_mov_b32_e32 v77, v76
.LBB35_105:                             ; =>This Inner Loop Header: Depth=1
	scratch_load_b64 v[78:79], v13, off
	ds_load_b64 v[80:81], v11
	s_wait_xcnt 0x0
	v_dual_add_nc_u32 v11, 8, v11 :: v_dual_add_nc_u32 v13, 8, v13
	s_wait_loadcnt_dscnt 0x0
	v_pk_mul_f32 v[82:83], v[80:81], v[78:79] op_sel:[1,1] op_sel_hi:[0,1]
	s_delay_alu instid0(VALU_DEP_1) | instskip(SKIP_2) | instid1(VALU_DEP_3)
	v_pk_fma_f32 v[84:85], v[80:81], v[78:79], v[82:83] op_sel_hi:[1,0,1]
	v_add_nc_u32_e32 v7, 1, v7
	v_pk_fma_f32 v[78:79], v[80:81], v[78:79], v[82:83] neg_lo:[0,0,1] neg_hi:[0,0,1]
	v_mov_b32_e32 v79, v85
	s_delay_alu instid0(VALU_DEP_3) | instskip(NEXT) | instid1(VALU_DEP_2)
	v_cmp_lt_u32_e32 vcc_lo, 21, v7
	v_pk_add_f32 v[76:77], v[76:77], v[78:79]
	s_or_b32 s1, vcc_lo, s1
	s_delay_alu instid0(SALU_CYCLE_1)
	s_and_not1_b32 exec_lo, exec_lo, s1
	s_cbranch_execnz .LBB35_105
; %bb.106:
	s_or_b32 exec_lo, exec_lo, s1
	v_mov_b32_e32 v7, 0
	ds_load_b64 v[78:79], v7 offset:184
	s_wait_dscnt 0x0
	v_pk_mul_f32 v[80:81], v[76:77], v[78:79] op_sel:[1,1] op_sel_hi:[0,1]
	s_delay_alu instid0(VALU_DEP_1) | instskip(SKIP_1) | instid1(VALU_DEP_2)
	v_pk_fma_f32 v[82:83], v[76:77], v[78:79], v[80:81] op_sel_hi:[1,0,1]
	v_pk_fma_f32 v[76:77], v[76:77], v[78:79], v[80:81] neg_lo:[0,0,1] neg_hi:[0,0,1]
	v_mov_b32_e32 v77, v83
	scratch_store_b64 off, v[76:77], off offset:184
.LBB35_107:
	s_wait_xcnt 0x0
	s_or_b32 exec_lo, exec_lo, s0
	s_wait_storecnt 0x0
	s_barrier_signal -1
	s_barrier_wait -1
	scratch_load_b64 v[76:77], off, off offset:192
	s_mov_b32 s0, exec_lo
	s_wait_loadcnt 0x0
	ds_store_b64 v1, v[76:77]
	s_wait_dscnt 0x0
	s_barrier_signal -1
	s_barrier_wait -1
	v_cmpx_gt_u32_e32 24, v0
	s_cbranch_execz .LBB35_111
; %bb.108:
	v_dual_mov_b32 v76, 0 :: v_dual_add_nc_u32 v7, -1, v0
	v_add_nc_u32_e32 v11, 0x120, v74
	v_mov_b32_e32 v13, v74
	s_mov_b32 s1, 0
	s_delay_alu instid0(VALU_DEP_3)
	v_mov_b32_e32 v77, v76
.LBB35_109:                             ; =>This Inner Loop Header: Depth=1
	scratch_load_b64 v[78:79], v13, off
	ds_load_b64 v[80:81], v11
	s_wait_xcnt 0x0
	v_dual_add_nc_u32 v11, 8, v11 :: v_dual_add_nc_u32 v13, 8, v13
	s_wait_loadcnt_dscnt 0x0
	v_pk_mul_f32 v[82:83], v[80:81], v[78:79] op_sel:[1,1] op_sel_hi:[0,1]
	s_delay_alu instid0(VALU_DEP_1) | instskip(SKIP_2) | instid1(VALU_DEP_3)
	v_pk_fma_f32 v[84:85], v[80:81], v[78:79], v[82:83] op_sel_hi:[1,0,1]
	v_add_nc_u32_e32 v7, 1, v7
	v_pk_fma_f32 v[78:79], v[80:81], v[78:79], v[82:83] neg_lo:[0,0,1] neg_hi:[0,0,1]
	v_mov_b32_e32 v79, v85
	s_delay_alu instid0(VALU_DEP_3) | instskip(NEXT) | instid1(VALU_DEP_2)
	v_cmp_lt_u32_e32 vcc_lo, 22, v7
	v_pk_add_f32 v[76:77], v[76:77], v[78:79]
	s_or_b32 s1, vcc_lo, s1
	s_delay_alu instid0(SALU_CYCLE_1)
	s_and_not1_b32 exec_lo, exec_lo, s1
	s_cbranch_execnz .LBB35_109
; %bb.110:
	s_or_b32 exec_lo, exec_lo, s1
	v_mov_b32_e32 v7, 0
	ds_load_b64 v[78:79], v7 offset:192
	s_wait_dscnt 0x0
	v_pk_mul_f32 v[80:81], v[76:77], v[78:79] op_sel:[1,1] op_sel_hi:[0,1]
	s_delay_alu instid0(VALU_DEP_1) | instskip(SKIP_1) | instid1(VALU_DEP_2)
	v_pk_fma_f32 v[82:83], v[76:77], v[78:79], v[80:81] op_sel_hi:[1,0,1]
	v_pk_fma_f32 v[76:77], v[76:77], v[78:79], v[80:81] neg_lo:[0,0,1] neg_hi:[0,0,1]
	v_mov_b32_e32 v77, v83
	scratch_store_b64 off, v[76:77], off offset:192
.LBB35_111:
	s_wait_xcnt 0x0
	s_or_b32 exec_lo, exec_lo, s0
	s_wait_storecnt 0x0
	s_barrier_signal -1
	s_barrier_wait -1
	scratch_load_b64 v[76:77], off, off offset:200
	s_mov_b32 s0, exec_lo
	s_wait_loadcnt 0x0
	ds_store_b64 v1, v[76:77]
	s_wait_dscnt 0x0
	s_barrier_signal -1
	s_barrier_wait -1
	v_cmpx_gt_u32_e32 25, v0
	s_cbranch_execz .LBB35_115
; %bb.112:
	v_dual_mov_b32 v76, 0 :: v_dual_add_nc_u32 v7, -1, v0
	v_add_nc_u32_e32 v11, 0x120, v74
	v_mov_b32_e32 v13, v74
	s_mov_b32 s1, 0
	s_delay_alu instid0(VALU_DEP_3)
	v_mov_b32_e32 v77, v76
.LBB35_113:                             ; =>This Inner Loop Header: Depth=1
	scratch_load_b64 v[78:79], v13, off
	ds_load_b64 v[80:81], v11
	s_wait_xcnt 0x0
	v_dual_add_nc_u32 v11, 8, v11 :: v_dual_add_nc_u32 v13, 8, v13
	s_wait_loadcnt_dscnt 0x0
	v_pk_mul_f32 v[82:83], v[80:81], v[78:79] op_sel:[1,1] op_sel_hi:[0,1]
	s_delay_alu instid0(VALU_DEP_1) | instskip(SKIP_2) | instid1(VALU_DEP_3)
	v_pk_fma_f32 v[84:85], v[80:81], v[78:79], v[82:83] op_sel_hi:[1,0,1]
	v_add_nc_u32_e32 v7, 1, v7
	v_pk_fma_f32 v[78:79], v[80:81], v[78:79], v[82:83] neg_lo:[0,0,1] neg_hi:[0,0,1]
	v_mov_b32_e32 v79, v85
	s_delay_alu instid0(VALU_DEP_3) | instskip(NEXT) | instid1(VALU_DEP_2)
	v_cmp_lt_u32_e32 vcc_lo, 23, v7
	v_pk_add_f32 v[76:77], v[76:77], v[78:79]
	s_or_b32 s1, vcc_lo, s1
	s_delay_alu instid0(SALU_CYCLE_1)
	s_and_not1_b32 exec_lo, exec_lo, s1
	s_cbranch_execnz .LBB35_113
; %bb.114:
	s_or_b32 exec_lo, exec_lo, s1
	v_mov_b32_e32 v7, 0
	ds_load_b64 v[78:79], v7 offset:200
	s_wait_dscnt 0x0
	v_pk_mul_f32 v[80:81], v[76:77], v[78:79] op_sel:[1,1] op_sel_hi:[0,1]
	s_delay_alu instid0(VALU_DEP_1) | instskip(SKIP_1) | instid1(VALU_DEP_2)
	v_pk_fma_f32 v[82:83], v[76:77], v[78:79], v[80:81] op_sel_hi:[1,0,1]
	v_pk_fma_f32 v[76:77], v[76:77], v[78:79], v[80:81] neg_lo:[0,0,1] neg_hi:[0,0,1]
	v_mov_b32_e32 v77, v83
	scratch_store_b64 off, v[76:77], off offset:200
.LBB35_115:
	s_wait_xcnt 0x0
	s_or_b32 exec_lo, exec_lo, s0
	s_wait_storecnt 0x0
	s_barrier_signal -1
	s_barrier_wait -1
	scratch_load_b64 v[76:77], off, off offset:208
	s_mov_b32 s0, exec_lo
	s_wait_loadcnt 0x0
	ds_store_b64 v1, v[76:77]
	s_wait_dscnt 0x0
	s_barrier_signal -1
	s_barrier_wait -1
	v_cmpx_gt_u32_e32 26, v0
	s_cbranch_execz .LBB35_119
; %bb.116:
	v_dual_mov_b32 v76, 0 :: v_dual_add_nc_u32 v7, -1, v0
	v_add_nc_u32_e32 v11, 0x120, v74
	v_mov_b32_e32 v13, v74
	s_mov_b32 s1, 0
	s_delay_alu instid0(VALU_DEP_3)
	v_mov_b32_e32 v77, v76
.LBB35_117:                             ; =>This Inner Loop Header: Depth=1
	scratch_load_b64 v[78:79], v13, off
	ds_load_b64 v[80:81], v11
	s_wait_xcnt 0x0
	v_dual_add_nc_u32 v11, 8, v11 :: v_dual_add_nc_u32 v13, 8, v13
	s_wait_loadcnt_dscnt 0x0
	v_pk_mul_f32 v[82:83], v[80:81], v[78:79] op_sel:[1,1] op_sel_hi:[0,1]
	s_delay_alu instid0(VALU_DEP_1) | instskip(SKIP_2) | instid1(VALU_DEP_3)
	v_pk_fma_f32 v[84:85], v[80:81], v[78:79], v[82:83] op_sel_hi:[1,0,1]
	v_add_nc_u32_e32 v7, 1, v7
	v_pk_fma_f32 v[78:79], v[80:81], v[78:79], v[82:83] neg_lo:[0,0,1] neg_hi:[0,0,1]
	v_mov_b32_e32 v79, v85
	s_delay_alu instid0(VALU_DEP_3) | instskip(NEXT) | instid1(VALU_DEP_2)
	v_cmp_lt_u32_e32 vcc_lo, 24, v7
	v_pk_add_f32 v[76:77], v[76:77], v[78:79]
	s_or_b32 s1, vcc_lo, s1
	s_delay_alu instid0(SALU_CYCLE_1)
	s_and_not1_b32 exec_lo, exec_lo, s1
	s_cbranch_execnz .LBB35_117
; %bb.118:
	s_or_b32 exec_lo, exec_lo, s1
	v_mov_b32_e32 v7, 0
	ds_load_b64 v[78:79], v7 offset:208
	s_wait_dscnt 0x0
	v_pk_mul_f32 v[80:81], v[76:77], v[78:79] op_sel:[1,1] op_sel_hi:[0,1]
	s_delay_alu instid0(VALU_DEP_1) | instskip(SKIP_1) | instid1(VALU_DEP_2)
	v_pk_fma_f32 v[82:83], v[76:77], v[78:79], v[80:81] op_sel_hi:[1,0,1]
	v_pk_fma_f32 v[76:77], v[76:77], v[78:79], v[80:81] neg_lo:[0,0,1] neg_hi:[0,0,1]
	v_mov_b32_e32 v77, v83
	scratch_store_b64 off, v[76:77], off offset:208
.LBB35_119:
	s_wait_xcnt 0x0
	s_or_b32 exec_lo, exec_lo, s0
	s_wait_storecnt 0x0
	s_barrier_signal -1
	s_barrier_wait -1
	scratch_load_b64 v[76:77], off, off offset:216
	s_mov_b32 s0, exec_lo
	s_wait_loadcnt 0x0
	ds_store_b64 v1, v[76:77]
	s_wait_dscnt 0x0
	s_barrier_signal -1
	s_barrier_wait -1
	v_cmpx_gt_u32_e32 27, v0
	s_cbranch_execz .LBB35_123
; %bb.120:
	v_dual_mov_b32 v76, 0 :: v_dual_add_nc_u32 v7, -1, v0
	v_add_nc_u32_e32 v11, 0x120, v74
	v_mov_b32_e32 v13, v74
	s_mov_b32 s1, 0
	s_delay_alu instid0(VALU_DEP_3)
	v_mov_b32_e32 v77, v76
.LBB35_121:                             ; =>This Inner Loop Header: Depth=1
	scratch_load_b64 v[78:79], v13, off
	ds_load_b64 v[80:81], v11
	s_wait_xcnt 0x0
	v_dual_add_nc_u32 v11, 8, v11 :: v_dual_add_nc_u32 v13, 8, v13
	s_wait_loadcnt_dscnt 0x0
	v_pk_mul_f32 v[82:83], v[80:81], v[78:79] op_sel:[1,1] op_sel_hi:[0,1]
	s_delay_alu instid0(VALU_DEP_1) | instskip(SKIP_2) | instid1(VALU_DEP_3)
	v_pk_fma_f32 v[84:85], v[80:81], v[78:79], v[82:83] op_sel_hi:[1,0,1]
	v_add_nc_u32_e32 v7, 1, v7
	v_pk_fma_f32 v[78:79], v[80:81], v[78:79], v[82:83] neg_lo:[0,0,1] neg_hi:[0,0,1]
	v_mov_b32_e32 v79, v85
	s_delay_alu instid0(VALU_DEP_3) | instskip(NEXT) | instid1(VALU_DEP_2)
	v_cmp_lt_u32_e32 vcc_lo, 25, v7
	v_pk_add_f32 v[76:77], v[76:77], v[78:79]
	s_or_b32 s1, vcc_lo, s1
	s_delay_alu instid0(SALU_CYCLE_1)
	s_and_not1_b32 exec_lo, exec_lo, s1
	s_cbranch_execnz .LBB35_121
; %bb.122:
	s_or_b32 exec_lo, exec_lo, s1
	v_mov_b32_e32 v7, 0
	ds_load_b64 v[78:79], v7 offset:216
	s_wait_dscnt 0x0
	v_pk_mul_f32 v[80:81], v[76:77], v[78:79] op_sel:[1,1] op_sel_hi:[0,1]
	s_delay_alu instid0(VALU_DEP_1) | instskip(SKIP_1) | instid1(VALU_DEP_2)
	v_pk_fma_f32 v[82:83], v[76:77], v[78:79], v[80:81] op_sel_hi:[1,0,1]
	v_pk_fma_f32 v[76:77], v[76:77], v[78:79], v[80:81] neg_lo:[0,0,1] neg_hi:[0,0,1]
	v_mov_b32_e32 v77, v83
	scratch_store_b64 off, v[76:77], off offset:216
.LBB35_123:
	s_wait_xcnt 0x0
	s_or_b32 exec_lo, exec_lo, s0
	s_wait_storecnt 0x0
	s_barrier_signal -1
	s_barrier_wait -1
	scratch_load_b64 v[76:77], off, off offset:224
	s_mov_b32 s0, exec_lo
	s_wait_loadcnt 0x0
	ds_store_b64 v1, v[76:77]
	s_wait_dscnt 0x0
	s_barrier_signal -1
	s_barrier_wait -1
	v_cmpx_gt_u32_e32 28, v0
	s_cbranch_execz .LBB35_127
; %bb.124:
	v_dual_mov_b32 v76, 0 :: v_dual_add_nc_u32 v7, -1, v0
	v_add_nc_u32_e32 v11, 0x120, v74
	v_mov_b32_e32 v13, v74
	s_mov_b32 s1, 0
	s_delay_alu instid0(VALU_DEP_3)
	v_mov_b32_e32 v77, v76
.LBB35_125:                             ; =>This Inner Loop Header: Depth=1
	scratch_load_b64 v[78:79], v13, off
	ds_load_b64 v[80:81], v11
	s_wait_xcnt 0x0
	v_dual_add_nc_u32 v11, 8, v11 :: v_dual_add_nc_u32 v13, 8, v13
	s_wait_loadcnt_dscnt 0x0
	v_pk_mul_f32 v[82:83], v[80:81], v[78:79] op_sel:[1,1] op_sel_hi:[0,1]
	s_delay_alu instid0(VALU_DEP_1) | instskip(SKIP_2) | instid1(VALU_DEP_3)
	v_pk_fma_f32 v[84:85], v[80:81], v[78:79], v[82:83] op_sel_hi:[1,0,1]
	v_add_nc_u32_e32 v7, 1, v7
	v_pk_fma_f32 v[78:79], v[80:81], v[78:79], v[82:83] neg_lo:[0,0,1] neg_hi:[0,0,1]
	v_mov_b32_e32 v79, v85
	s_delay_alu instid0(VALU_DEP_3) | instskip(NEXT) | instid1(VALU_DEP_2)
	v_cmp_lt_u32_e32 vcc_lo, 26, v7
	v_pk_add_f32 v[76:77], v[76:77], v[78:79]
	s_or_b32 s1, vcc_lo, s1
	s_delay_alu instid0(SALU_CYCLE_1)
	s_and_not1_b32 exec_lo, exec_lo, s1
	s_cbranch_execnz .LBB35_125
; %bb.126:
	s_or_b32 exec_lo, exec_lo, s1
	v_mov_b32_e32 v7, 0
	ds_load_b64 v[78:79], v7 offset:224
	s_wait_dscnt 0x0
	v_pk_mul_f32 v[80:81], v[76:77], v[78:79] op_sel:[1,1] op_sel_hi:[0,1]
	s_delay_alu instid0(VALU_DEP_1) | instskip(SKIP_1) | instid1(VALU_DEP_2)
	v_pk_fma_f32 v[82:83], v[76:77], v[78:79], v[80:81] op_sel_hi:[1,0,1]
	v_pk_fma_f32 v[76:77], v[76:77], v[78:79], v[80:81] neg_lo:[0,0,1] neg_hi:[0,0,1]
	v_mov_b32_e32 v77, v83
	scratch_store_b64 off, v[76:77], off offset:224
.LBB35_127:
	s_wait_xcnt 0x0
	s_or_b32 exec_lo, exec_lo, s0
	s_wait_storecnt 0x0
	s_barrier_signal -1
	s_barrier_wait -1
	scratch_load_b64 v[76:77], off, off offset:232
	s_mov_b32 s0, exec_lo
	s_wait_loadcnt 0x0
	ds_store_b64 v1, v[76:77]
	s_wait_dscnt 0x0
	s_barrier_signal -1
	s_barrier_wait -1
	v_cmpx_gt_u32_e32 29, v0
	s_cbranch_execz .LBB35_131
; %bb.128:
	v_dual_mov_b32 v76, 0 :: v_dual_add_nc_u32 v7, -1, v0
	v_add_nc_u32_e32 v11, 0x120, v74
	v_mov_b32_e32 v13, v74
	s_mov_b32 s1, 0
	s_delay_alu instid0(VALU_DEP_3)
	v_mov_b32_e32 v77, v76
.LBB35_129:                             ; =>This Inner Loop Header: Depth=1
	scratch_load_b64 v[78:79], v13, off
	ds_load_b64 v[80:81], v11
	s_wait_xcnt 0x0
	v_dual_add_nc_u32 v11, 8, v11 :: v_dual_add_nc_u32 v13, 8, v13
	s_wait_loadcnt_dscnt 0x0
	v_pk_mul_f32 v[82:83], v[80:81], v[78:79] op_sel:[1,1] op_sel_hi:[0,1]
	s_delay_alu instid0(VALU_DEP_1) | instskip(SKIP_2) | instid1(VALU_DEP_3)
	v_pk_fma_f32 v[84:85], v[80:81], v[78:79], v[82:83] op_sel_hi:[1,0,1]
	v_add_nc_u32_e32 v7, 1, v7
	v_pk_fma_f32 v[78:79], v[80:81], v[78:79], v[82:83] neg_lo:[0,0,1] neg_hi:[0,0,1]
	v_mov_b32_e32 v79, v85
	s_delay_alu instid0(VALU_DEP_3) | instskip(NEXT) | instid1(VALU_DEP_2)
	v_cmp_lt_u32_e32 vcc_lo, 27, v7
	v_pk_add_f32 v[76:77], v[76:77], v[78:79]
	s_or_b32 s1, vcc_lo, s1
	s_delay_alu instid0(SALU_CYCLE_1)
	s_and_not1_b32 exec_lo, exec_lo, s1
	s_cbranch_execnz .LBB35_129
; %bb.130:
	s_or_b32 exec_lo, exec_lo, s1
	v_mov_b32_e32 v7, 0
	ds_load_b64 v[78:79], v7 offset:232
	s_wait_dscnt 0x0
	v_pk_mul_f32 v[80:81], v[76:77], v[78:79] op_sel:[1,1] op_sel_hi:[0,1]
	s_delay_alu instid0(VALU_DEP_1) | instskip(SKIP_1) | instid1(VALU_DEP_2)
	v_pk_fma_f32 v[82:83], v[76:77], v[78:79], v[80:81] op_sel_hi:[1,0,1]
	v_pk_fma_f32 v[76:77], v[76:77], v[78:79], v[80:81] neg_lo:[0,0,1] neg_hi:[0,0,1]
	v_mov_b32_e32 v77, v83
	scratch_store_b64 off, v[76:77], off offset:232
.LBB35_131:
	s_wait_xcnt 0x0
	s_or_b32 exec_lo, exec_lo, s0
	s_wait_storecnt 0x0
	s_barrier_signal -1
	s_barrier_wait -1
	scratch_load_b64 v[76:77], off, off offset:240
	s_mov_b32 s0, exec_lo
	s_wait_loadcnt 0x0
	ds_store_b64 v1, v[76:77]
	s_wait_dscnt 0x0
	s_barrier_signal -1
	s_barrier_wait -1
	v_cmpx_gt_u32_e32 30, v0
	s_cbranch_execz .LBB35_135
; %bb.132:
	v_dual_mov_b32 v76, 0 :: v_dual_add_nc_u32 v7, -1, v0
	v_add_nc_u32_e32 v11, 0x120, v74
	v_mov_b32_e32 v13, v74
	s_mov_b32 s1, 0
	s_delay_alu instid0(VALU_DEP_3)
	v_mov_b32_e32 v77, v76
.LBB35_133:                             ; =>This Inner Loop Header: Depth=1
	scratch_load_b64 v[78:79], v13, off
	ds_load_b64 v[80:81], v11
	s_wait_xcnt 0x0
	v_dual_add_nc_u32 v11, 8, v11 :: v_dual_add_nc_u32 v13, 8, v13
	s_wait_loadcnt_dscnt 0x0
	v_pk_mul_f32 v[82:83], v[80:81], v[78:79] op_sel:[1,1] op_sel_hi:[0,1]
	s_delay_alu instid0(VALU_DEP_1) | instskip(SKIP_2) | instid1(VALU_DEP_3)
	v_pk_fma_f32 v[84:85], v[80:81], v[78:79], v[82:83] op_sel_hi:[1,0,1]
	v_add_nc_u32_e32 v7, 1, v7
	v_pk_fma_f32 v[78:79], v[80:81], v[78:79], v[82:83] neg_lo:[0,0,1] neg_hi:[0,0,1]
	v_mov_b32_e32 v79, v85
	s_delay_alu instid0(VALU_DEP_3) | instskip(NEXT) | instid1(VALU_DEP_2)
	v_cmp_lt_u32_e32 vcc_lo, 28, v7
	v_pk_add_f32 v[76:77], v[76:77], v[78:79]
	s_or_b32 s1, vcc_lo, s1
	s_delay_alu instid0(SALU_CYCLE_1)
	s_and_not1_b32 exec_lo, exec_lo, s1
	s_cbranch_execnz .LBB35_133
; %bb.134:
	s_or_b32 exec_lo, exec_lo, s1
	v_mov_b32_e32 v7, 0
	ds_load_b64 v[78:79], v7 offset:240
	s_wait_dscnt 0x0
	v_pk_mul_f32 v[80:81], v[76:77], v[78:79] op_sel:[1,1] op_sel_hi:[0,1]
	s_delay_alu instid0(VALU_DEP_1) | instskip(SKIP_1) | instid1(VALU_DEP_2)
	v_pk_fma_f32 v[82:83], v[76:77], v[78:79], v[80:81] op_sel_hi:[1,0,1]
	v_pk_fma_f32 v[76:77], v[76:77], v[78:79], v[80:81] neg_lo:[0,0,1] neg_hi:[0,0,1]
	v_mov_b32_e32 v77, v83
	scratch_store_b64 off, v[76:77], off offset:240
.LBB35_135:
	s_wait_xcnt 0x0
	s_or_b32 exec_lo, exec_lo, s0
	s_wait_storecnt 0x0
	s_barrier_signal -1
	s_barrier_wait -1
	scratch_load_b64 v[76:77], off, off offset:248
	s_mov_b32 s0, exec_lo
	s_wait_loadcnt 0x0
	ds_store_b64 v1, v[76:77]
	s_wait_dscnt 0x0
	s_barrier_signal -1
	s_barrier_wait -1
	v_cmpx_gt_u32_e32 31, v0
	s_cbranch_execz .LBB35_139
; %bb.136:
	v_dual_mov_b32 v76, 0 :: v_dual_add_nc_u32 v7, -1, v0
	v_add_nc_u32_e32 v11, 0x120, v74
	v_mov_b32_e32 v13, v74
	s_mov_b32 s1, 0
	s_delay_alu instid0(VALU_DEP_3)
	v_mov_b32_e32 v77, v76
.LBB35_137:                             ; =>This Inner Loop Header: Depth=1
	scratch_load_b64 v[78:79], v13, off
	ds_load_b64 v[80:81], v11
	s_wait_xcnt 0x0
	v_dual_add_nc_u32 v11, 8, v11 :: v_dual_add_nc_u32 v13, 8, v13
	s_wait_loadcnt_dscnt 0x0
	v_pk_mul_f32 v[82:83], v[80:81], v[78:79] op_sel:[1,1] op_sel_hi:[0,1]
	s_delay_alu instid0(VALU_DEP_1) | instskip(SKIP_2) | instid1(VALU_DEP_3)
	v_pk_fma_f32 v[84:85], v[80:81], v[78:79], v[82:83] op_sel_hi:[1,0,1]
	v_add_nc_u32_e32 v7, 1, v7
	v_pk_fma_f32 v[78:79], v[80:81], v[78:79], v[82:83] neg_lo:[0,0,1] neg_hi:[0,0,1]
	v_mov_b32_e32 v79, v85
	s_delay_alu instid0(VALU_DEP_3) | instskip(NEXT) | instid1(VALU_DEP_2)
	v_cmp_lt_u32_e32 vcc_lo, 29, v7
	v_pk_add_f32 v[76:77], v[76:77], v[78:79]
	s_or_b32 s1, vcc_lo, s1
	s_delay_alu instid0(SALU_CYCLE_1)
	s_and_not1_b32 exec_lo, exec_lo, s1
	s_cbranch_execnz .LBB35_137
; %bb.138:
	s_or_b32 exec_lo, exec_lo, s1
	v_mov_b32_e32 v7, 0
	ds_load_b64 v[78:79], v7 offset:248
	s_wait_dscnt 0x0
	v_pk_mul_f32 v[80:81], v[76:77], v[78:79] op_sel:[1,1] op_sel_hi:[0,1]
	s_delay_alu instid0(VALU_DEP_1) | instskip(SKIP_1) | instid1(VALU_DEP_2)
	v_pk_fma_f32 v[82:83], v[76:77], v[78:79], v[80:81] op_sel_hi:[1,0,1]
	v_pk_fma_f32 v[76:77], v[76:77], v[78:79], v[80:81] neg_lo:[0,0,1] neg_hi:[0,0,1]
	v_mov_b32_e32 v77, v83
	scratch_store_b64 off, v[76:77], off offset:248
.LBB35_139:
	s_wait_xcnt 0x0
	s_or_b32 exec_lo, exec_lo, s0
	s_wait_storecnt 0x0
	s_barrier_signal -1
	s_barrier_wait -1
	scratch_load_b64 v[76:77], off, off offset:256
	s_mov_b32 s0, exec_lo
	s_wait_loadcnt 0x0
	ds_store_b64 v1, v[76:77]
	s_wait_dscnt 0x0
	s_barrier_signal -1
	s_barrier_wait -1
	v_cmpx_gt_u32_e32 32, v0
	s_cbranch_execz .LBB35_143
; %bb.140:
	v_dual_mov_b32 v76, 0 :: v_dual_add_nc_u32 v7, -1, v0
	v_add_nc_u32_e32 v11, 0x120, v74
	v_mov_b32_e32 v13, v74
	s_mov_b32 s1, 0
	s_delay_alu instid0(VALU_DEP_3)
	v_mov_b32_e32 v77, v76
.LBB35_141:                             ; =>This Inner Loop Header: Depth=1
	scratch_load_b64 v[78:79], v13, off
	ds_load_b64 v[80:81], v11
	s_wait_xcnt 0x0
	v_dual_add_nc_u32 v11, 8, v11 :: v_dual_add_nc_u32 v13, 8, v13
	s_wait_loadcnt_dscnt 0x0
	v_pk_mul_f32 v[82:83], v[80:81], v[78:79] op_sel:[1,1] op_sel_hi:[0,1]
	s_delay_alu instid0(VALU_DEP_1) | instskip(SKIP_2) | instid1(VALU_DEP_3)
	v_pk_fma_f32 v[84:85], v[80:81], v[78:79], v[82:83] op_sel_hi:[1,0,1]
	v_add_nc_u32_e32 v7, 1, v7
	v_pk_fma_f32 v[78:79], v[80:81], v[78:79], v[82:83] neg_lo:[0,0,1] neg_hi:[0,0,1]
	v_mov_b32_e32 v79, v85
	s_delay_alu instid0(VALU_DEP_3) | instskip(NEXT) | instid1(VALU_DEP_2)
	v_cmp_lt_u32_e32 vcc_lo, 30, v7
	v_pk_add_f32 v[76:77], v[76:77], v[78:79]
	s_or_b32 s1, vcc_lo, s1
	s_delay_alu instid0(SALU_CYCLE_1)
	s_and_not1_b32 exec_lo, exec_lo, s1
	s_cbranch_execnz .LBB35_141
; %bb.142:
	s_or_b32 exec_lo, exec_lo, s1
	v_mov_b32_e32 v7, 0
	ds_load_b64 v[78:79], v7 offset:256
	s_wait_dscnt 0x0
	v_pk_mul_f32 v[80:81], v[76:77], v[78:79] op_sel:[1,1] op_sel_hi:[0,1]
	s_delay_alu instid0(VALU_DEP_1) | instskip(SKIP_1) | instid1(VALU_DEP_2)
	v_pk_fma_f32 v[82:83], v[76:77], v[78:79], v[80:81] op_sel_hi:[1,0,1]
	v_pk_fma_f32 v[76:77], v[76:77], v[78:79], v[80:81] neg_lo:[0,0,1] neg_hi:[0,0,1]
	v_mov_b32_e32 v77, v83
	scratch_store_b64 off, v[76:77], off offset:256
.LBB35_143:
	s_wait_xcnt 0x0
	s_or_b32 exec_lo, exec_lo, s0
	s_wait_storecnt 0x0
	s_barrier_signal -1
	s_barrier_wait -1
	scratch_load_b64 v[76:77], off, off offset:264
	s_mov_b32 s0, exec_lo
	s_wait_loadcnt 0x0
	ds_store_b64 v1, v[76:77]
	s_wait_dscnt 0x0
	s_barrier_signal -1
	s_barrier_wait -1
	v_cmpx_gt_u32_e32 33, v0
	s_cbranch_execz .LBB35_147
; %bb.144:
	v_dual_mov_b32 v76, 0 :: v_dual_add_nc_u32 v7, -1, v0
	v_add_nc_u32_e32 v11, 0x120, v74
	v_mov_b32_e32 v13, v74
	s_mov_b32 s1, 0
	s_delay_alu instid0(VALU_DEP_3)
	v_mov_b32_e32 v77, v76
.LBB35_145:                             ; =>This Inner Loop Header: Depth=1
	scratch_load_b64 v[78:79], v13, off
	ds_load_b64 v[80:81], v11
	s_wait_xcnt 0x0
	v_dual_add_nc_u32 v11, 8, v11 :: v_dual_add_nc_u32 v13, 8, v13
	s_wait_loadcnt_dscnt 0x0
	v_pk_mul_f32 v[82:83], v[80:81], v[78:79] op_sel:[1,1] op_sel_hi:[0,1]
	s_delay_alu instid0(VALU_DEP_1) | instskip(SKIP_2) | instid1(VALU_DEP_3)
	v_pk_fma_f32 v[84:85], v[80:81], v[78:79], v[82:83] op_sel_hi:[1,0,1]
	v_add_nc_u32_e32 v7, 1, v7
	v_pk_fma_f32 v[78:79], v[80:81], v[78:79], v[82:83] neg_lo:[0,0,1] neg_hi:[0,0,1]
	v_mov_b32_e32 v79, v85
	s_delay_alu instid0(VALU_DEP_3) | instskip(NEXT) | instid1(VALU_DEP_2)
	v_cmp_lt_u32_e32 vcc_lo, 31, v7
	v_pk_add_f32 v[76:77], v[76:77], v[78:79]
	s_or_b32 s1, vcc_lo, s1
	s_delay_alu instid0(SALU_CYCLE_1)
	s_and_not1_b32 exec_lo, exec_lo, s1
	s_cbranch_execnz .LBB35_145
; %bb.146:
	s_or_b32 exec_lo, exec_lo, s1
	v_mov_b32_e32 v7, 0
	ds_load_b64 v[78:79], v7 offset:264
	s_wait_dscnt 0x0
	v_pk_mul_f32 v[80:81], v[76:77], v[78:79] op_sel:[1,1] op_sel_hi:[0,1]
	s_delay_alu instid0(VALU_DEP_1) | instskip(SKIP_1) | instid1(VALU_DEP_2)
	v_pk_fma_f32 v[82:83], v[76:77], v[78:79], v[80:81] op_sel_hi:[1,0,1]
	v_pk_fma_f32 v[76:77], v[76:77], v[78:79], v[80:81] neg_lo:[0,0,1] neg_hi:[0,0,1]
	v_mov_b32_e32 v77, v83
	scratch_store_b64 off, v[76:77], off offset:264
.LBB35_147:
	s_wait_xcnt 0x0
	s_or_b32 exec_lo, exec_lo, s0
	s_wait_storecnt 0x0
	s_barrier_signal -1
	s_barrier_wait -1
	scratch_load_b64 v[76:77], off, off offset:272
	s_mov_b32 s0, exec_lo
	s_wait_loadcnt 0x0
	ds_store_b64 v1, v[76:77]
	s_wait_dscnt 0x0
	s_barrier_signal -1
	s_barrier_wait -1
	v_cmpx_gt_u32_e32 34, v0
	s_cbranch_execz .LBB35_151
; %bb.148:
	v_dual_mov_b32 v76, 0 :: v_dual_add_nc_u32 v7, -1, v0
	v_add_nc_u32_e32 v11, 0x120, v74
	v_mov_b32_e32 v13, v74
	s_mov_b32 s1, 0
	s_delay_alu instid0(VALU_DEP_3)
	v_mov_b32_e32 v77, v76
.LBB35_149:                             ; =>This Inner Loop Header: Depth=1
	scratch_load_b64 v[78:79], v13, off
	ds_load_b64 v[80:81], v11
	s_wait_xcnt 0x0
	v_dual_add_nc_u32 v11, 8, v11 :: v_dual_add_nc_u32 v13, 8, v13
	s_wait_loadcnt_dscnt 0x0
	v_pk_mul_f32 v[82:83], v[80:81], v[78:79] op_sel:[1,1] op_sel_hi:[0,1]
	s_delay_alu instid0(VALU_DEP_1) | instskip(SKIP_2) | instid1(VALU_DEP_3)
	v_pk_fma_f32 v[84:85], v[80:81], v[78:79], v[82:83] op_sel_hi:[1,0,1]
	v_add_nc_u32_e32 v7, 1, v7
	v_pk_fma_f32 v[78:79], v[80:81], v[78:79], v[82:83] neg_lo:[0,0,1] neg_hi:[0,0,1]
	v_mov_b32_e32 v79, v85
	s_delay_alu instid0(VALU_DEP_3) | instskip(NEXT) | instid1(VALU_DEP_2)
	v_cmp_lt_u32_e32 vcc_lo, 32, v7
	v_pk_add_f32 v[76:77], v[76:77], v[78:79]
	s_or_b32 s1, vcc_lo, s1
	s_delay_alu instid0(SALU_CYCLE_1)
	s_and_not1_b32 exec_lo, exec_lo, s1
	s_cbranch_execnz .LBB35_149
; %bb.150:
	s_or_b32 exec_lo, exec_lo, s1
	v_mov_b32_e32 v7, 0
	ds_load_b64 v[78:79], v7 offset:272
	s_wait_dscnt 0x0
	v_pk_mul_f32 v[80:81], v[76:77], v[78:79] op_sel:[1,1] op_sel_hi:[0,1]
	s_delay_alu instid0(VALU_DEP_1) | instskip(SKIP_1) | instid1(VALU_DEP_2)
	v_pk_fma_f32 v[82:83], v[76:77], v[78:79], v[80:81] op_sel_hi:[1,0,1]
	v_pk_fma_f32 v[76:77], v[76:77], v[78:79], v[80:81] neg_lo:[0,0,1] neg_hi:[0,0,1]
	v_mov_b32_e32 v77, v83
	scratch_store_b64 off, v[76:77], off offset:272
.LBB35_151:
	s_wait_xcnt 0x0
	s_or_b32 exec_lo, exec_lo, s0
	s_wait_storecnt 0x0
	s_barrier_signal -1
	s_barrier_wait -1
	scratch_load_b64 v[76:77], off, off offset:280
	s_mov_b32 s0, exec_lo
	s_wait_loadcnt 0x0
	ds_store_b64 v1, v[76:77]
	s_wait_dscnt 0x0
	s_barrier_signal -1
	s_barrier_wait -1
	v_cmpx_ne_u32_e32 35, v0
	s_cbranch_execz .LBB35_155
; %bb.152:
	v_dual_mov_b32 v76, 0 :: v_dual_mov_b32 v7, v74
	s_mov_b32 s1, 0
	s_delay_alu instid0(VALU_DEP_1)
	v_mov_b32_e32 v77, v76
.LBB35_153:                             ; =>This Inner Loop Header: Depth=1
	scratch_load_b64 v[74:75], v7, off
	ds_load_b64 v[78:79], v1
	s_wait_xcnt 0x0
	v_dual_add_nc_u32 v1, 8, v1 :: v_dual_add_nc_u32 v7, 8, v7
	s_wait_loadcnt_dscnt 0x0
	v_pk_mul_f32 v[80:81], v[78:79], v[74:75] op_sel:[1,1] op_sel_hi:[0,1]
	s_delay_alu instid0(VALU_DEP_1) | instskip(SKIP_2) | instid1(VALU_DEP_3)
	v_pk_fma_f32 v[82:83], v[78:79], v[74:75], v[80:81] op_sel_hi:[1,0,1]
	v_add_nc_u32_e32 v5, 1, v5
	v_pk_fma_f32 v[74:75], v[78:79], v[74:75], v[80:81] neg_lo:[0,0,1] neg_hi:[0,0,1]
	v_mov_b32_e32 v75, v83
	s_delay_alu instid0(VALU_DEP_3) | instskip(NEXT) | instid1(VALU_DEP_2)
	v_cmp_lt_u32_e32 vcc_lo, 33, v5
	v_pk_add_f32 v[76:77], v[76:77], v[74:75]
	s_or_b32 s1, vcc_lo, s1
	s_delay_alu instid0(SALU_CYCLE_1)
	s_and_not1_b32 exec_lo, exec_lo, s1
	s_cbranch_execnz .LBB35_153
; %bb.154:
	s_or_b32 exec_lo, exec_lo, s1
	v_mov_b32_e32 v1, 0
	ds_load_b64 v[74:75], v1 offset:280
	s_wait_dscnt 0x0
	v_pk_mul_f32 v[78:79], v[76:77], v[74:75] op_sel:[1,1] op_sel_hi:[0,1]
	s_delay_alu instid0(VALU_DEP_1) | instskip(SKIP_1) | instid1(VALU_DEP_2)
	v_pk_fma_f32 v[80:81], v[76:77], v[74:75], v[78:79] op_sel_hi:[1,0,1]
	v_pk_fma_f32 v[74:75], v[76:77], v[74:75], v[78:79] neg_lo:[0,0,1] neg_hi:[0,0,1]
	v_mov_b32_e32 v75, v81
	scratch_store_b64 off, v[74:75], off offset:280
.LBB35_155:
	s_wait_xcnt 0x0
	s_or_b32 exec_lo, exec_lo, s0
	s_mov_b32 s1, -1
	s_wait_storecnt 0x0
	s_barrier_signal -1
	s_barrier_wait -1
.LBB35_156:
	s_and_b32 vcc_lo, exec_lo, s1
	s_cbranch_vccz .LBB35_158
; %bb.157:
	v_mov_b32_e32 v1, 0
	s_lshl_b64 s[0:1], s[16:17], 2
	s_delay_alu instid0(SALU_CYCLE_1)
	s_add_nc_u64 s[0:1], s[6:7], s[0:1]
	global_load_b32 v1, v1, s[0:1]
	s_wait_loadcnt 0x0
	v_cmp_ne_u32_e32 vcc_lo, 0, v1
	s_cbranch_vccz .LBB35_159
.LBB35_158:
	s_sendmsg sendmsg(MSG_DEALLOC_VGPRS)
	s_endpgm
.LBB35_159:
	s_wait_xcnt 0x0
	v_lshl_add_u32 v1, v0, 3, 0x120
	s_mov_b32 s0, exec_lo
	v_cmpx_eq_u32_e32 35, v0
	s_cbranch_execz .LBB35_161
; %bb.160:
	scratch_load_b64 v[74:75], off, off offset:272
	v_mov_b64_e32 v[76:77], 0
	scratch_store_b64 off, v[76:77], off offset:272
	s_wait_loadcnt 0x0
	ds_store_b64 v1, v[74:75]
.LBB35_161:
	s_wait_xcnt 0x0
	s_or_b32 exec_lo, exec_lo, s0
	s_wait_storecnt_dscnt 0x0
	s_barrier_signal -1
	s_barrier_wait -1
	s_clause 0x1
	scratch_load_b64 v[74:75], off, off offset:280
	scratch_load_b64 v[76:77], off, off offset:272
	v_mov_b32_e32 v5, 0
	s_mov_b32 s0, exec_lo
	ds_load_b64 v[78:79], v5 offset:568
	s_wait_loadcnt_dscnt 0x100
	v_pk_mul_f32 v[80:81], v[78:79], v[74:75] op_sel:[1,1] op_sel_hi:[0,1]
	s_delay_alu instid0(VALU_DEP_1) | instskip(SKIP_1) | instid1(VALU_DEP_2)
	v_pk_fma_f32 v[82:83], v[78:79], v[74:75], v[80:81] op_sel_hi:[1,0,1]
	v_pk_fma_f32 v[74:75], v[78:79], v[74:75], v[80:81] neg_lo:[0,0,1] neg_hi:[0,0,1]
	v_mov_b32_e32 v75, v83
	s_delay_alu instid0(VALU_DEP_1) | instskip(SKIP_1) | instid1(VALU_DEP_1)
	v_pk_add_f32 v[74:75], v[74:75], 0 op_sel_hi:[1,0]
	s_wait_loadcnt 0x0
	v_pk_add_f32 v[74:75], v[76:77], v[74:75] neg_lo:[0,1] neg_hi:[0,1]
	scratch_store_b64 off, v[74:75], off offset:272
	s_wait_xcnt 0x0
	v_cmpx_lt_u32_e32 33, v0
	s_cbranch_execz .LBB35_163
; %bb.162:
	scratch_load_b64 v[74:75], off, off offset:264
	v_mov_b64_e32 v[76:77], 0
	scratch_store_b64 off, v[76:77], off offset:264
	s_wait_loadcnt 0x0
	ds_store_b64 v1, v[74:75]
.LBB35_163:
	s_wait_xcnt 0x0
	s_or_b32 exec_lo, exec_lo, s0
	s_wait_storecnt_dscnt 0x0
	s_barrier_signal -1
	s_barrier_wait -1
	s_clause 0x1
	scratch_load_b128 v[74:77], off, off offset:272
	scratch_load_b64 v[82:83], off, off offset:264
	ds_load_b128 v[78:81], v5 offset:560
	s_mov_b32 s0, exec_lo
	s_wait_dscnt 0x0
	v_dual_mov_b32 v84, v81 :: v_dual_mov_b32 v85, v80
	s_wait_loadcnt 0x1
	v_pk_mul_f32 v[86:87], v[78:79], v[74:75] op_sel:[1,1] op_sel_hi:[0,1]
	s_delay_alu instid0(VALU_DEP_1) | instskip(SKIP_2) | instid1(VALU_DEP_3)
	v_pk_fma_f32 v[90:91], v[78:79], v[74:75], v[86:87] op_sel_hi:[1,0,1]
	v_mov_b32_e32 v88, v77
	v_pk_fma_f32 v[74:75], v[78:79], v[74:75], v[86:87] neg_lo:[0,0,1] neg_hi:[0,0,1]
	v_mov_b32_e32 v75, v91
	s_delay_alu instid0(VALU_DEP_3) | instskip(NEXT) | instid1(VALU_DEP_2)
	v_pk_mul_f32 v[84:85], v[84:85], v[88:89] op_sel_hi:[1,0]
	v_pk_add_f32 v[74:75], v[74:75], 0 op_sel_hi:[1,0]
	s_delay_alu instid0(VALU_DEP_2) | instskip(SKIP_1) | instid1(VALU_DEP_2)
	v_pk_fma_f32 v[78:79], v[80:81], v[76:77], v[84:85] op_sel_hi:[1,0,1]
	v_pk_fma_f32 v[76:77], v[80:81], v[76:77], v[84:85] neg_lo:[0,0,1] neg_hi:[0,0,1]
	v_mov_b32_e32 v77, v79
	s_delay_alu instid0(VALU_DEP_1) | instskip(SKIP_1) | instid1(VALU_DEP_1)
	v_pk_add_f32 v[74:75], v[74:75], v[76:77]
	s_wait_loadcnt 0x0
	v_pk_add_f32 v[74:75], v[82:83], v[74:75] neg_lo:[0,1] neg_hi:[0,1]
	scratch_store_b64 off, v[74:75], off offset:264
	s_wait_xcnt 0x0
	v_cmpx_lt_u32_e32 32, v0
	s_cbranch_execz .LBB35_165
; %bb.164:
	scratch_load_b64 v[74:75], off, off offset:256
	v_mov_b64_e32 v[76:77], 0
	scratch_store_b64 off, v[76:77], off offset:256
	s_wait_loadcnt 0x0
	ds_store_b64 v1, v[74:75]
.LBB35_165:
	s_wait_xcnt 0x0
	s_or_b32 exec_lo, exec_lo, s0
	s_wait_storecnt_dscnt 0x0
	s_barrier_signal -1
	s_barrier_wait -1
	s_clause 0x2
	scratch_load_b128 v[74:77], off, off offset:264
	scratch_load_b64 v[82:83], off, off offset:280
	scratch_load_b64 v[84:85], off, off offset:256
	v_mov_b32_e32 v5, 0
	ds_load_2addr_b64 v[78:81], v5 offset0:69 offset1:70
	ds_load_b64 v[86:87], v5 offset:568
	s_mov_b32 s0, exec_lo
	s_wait_dscnt 0x1
	v_dual_mov_b32 v88, v81 :: v_dual_mov_b32 v89, v80
	s_wait_loadcnt 0x2
	v_mov_b32_e32 v92, v77
	v_pk_mul_f32 v[90:91], v[78:79], v[74:75] op_sel:[1,1] op_sel_hi:[0,1]
	s_delay_alu instid0(VALU_DEP_2) | instskip(NEXT) | instid1(VALU_DEP_2)
	v_pk_mul_f32 v[88:89], v[88:89], v[92:93] op_sel_hi:[1,0]
	v_pk_fma_f32 v[94:95], v[78:79], v[74:75], v[90:91] op_sel_hi:[1,0,1]
	v_pk_fma_f32 v[74:75], v[78:79], v[74:75], v[90:91] neg_lo:[0,0,1] neg_hi:[0,0,1]
	s_wait_loadcnt_dscnt 0x100
	v_pk_mul_f32 v[90:91], v[86:87], v[82:83] op_sel:[1,1] op_sel_hi:[0,1]
	v_pk_fma_f32 v[78:79], v[80:81], v[76:77], v[88:89] op_sel_hi:[1,0,1]
	v_mov_b32_e32 v75, v95
	v_pk_fma_f32 v[76:77], v[80:81], v[76:77], v[88:89] neg_lo:[0,0,1] neg_hi:[0,0,1]
	s_delay_alu instid0(VALU_DEP_4) | instskip(NEXT) | instid1(VALU_DEP_4)
	v_pk_fma_f32 v[80:81], v[86:87], v[82:83], v[90:91] neg_lo:[0,0,1] neg_hi:[0,0,1]
	v_mov_b32_e32 v77, v79
	s_delay_alu instid0(VALU_DEP_4) | instskip(SKIP_1) | instid1(VALU_DEP_2)
	v_pk_add_f32 v[74:75], v[74:75], 0 op_sel_hi:[1,0]
	v_pk_fma_f32 v[78:79], v[86:87], v[82:83], v[90:91] op_sel_hi:[1,0,1]
	v_pk_add_f32 v[74:75], v[74:75], v[76:77]
	s_delay_alu instid0(VALU_DEP_2) | instskip(NEXT) | instid1(VALU_DEP_1)
	v_mov_b32_e32 v81, v79
	v_pk_add_f32 v[74:75], v[74:75], v[80:81]
	s_wait_loadcnt 0x0
	s_delay_alu instid0(VALU_DEP_1)
	v_pk_add_f32 v[74:75], v[84:85], v[74:75] neg_lo:[0,1] neg_hi:[0,1]
	scratch_store_b64 off, v[74:75], off offset:256
	s_wait_xcnt 0x0
	v_cmpx_lt_u32_e32 31, v0
	s_cbranch_execz .LBB35_167
; %bb.166:
	scratch_load_b64 v[74:75], off, off offset:248
	v_mov_b64_e32 v[76:77], 0
	scratch_store_b64 off, v[76:77], off offset:248
	s_wait_loadcnt 0x0
	ds_store_b64 v1, v[74:75]
.LBB35_167:
	s_wait_xcnt 0x0
	s_or_b32 exec_lo, exec_lo, s0
	s_wait_storecnt_dscnt 0x0
	s_barrier_signal -1
	s_barrier_wait -1
	s_clause 0x2
	scratch_load_b128 v[74:77], off, off offset:256
	scratch_load_b128 v[78:81], off, off offset:272
	scratch_load_b64 v[90:91], off, off offset:248
	ds_load_b128 v[82:85], v5 offset:544
	ds_load_b128 v[86:89], v5 offset:560
	s_mov_b32 s0, exec_lo
	s_wait_dscnt 0x1
	v_dual_mov_b32 v92, v85 :: v_dual_mov_b32 v93, v84
	s_wait_loadcnt_dscnt 0x200
	v_dual_mov_b32 v98, v89 :: v_dual_mov_b32 v96, v77
	v_pk_mul_f32 v[94:95], v[82:83], v[74:75] op_sel:[1,1] op_sel_hi:[0,1]
	s_delay_alu instid0(VALU_DEP_2) | instskip(NEXT) | instid1(VALU_DEP_2)
	v_pk_mul_f32 v[92:93], v[92:93], v[96:97] op_sel_hi:[1,0]
	v_pk_fma_f32 v[100:101], v[82:83], v[74:75], v[94:95] op_sel_hi:[1,0,1]
	v_pk_fma_f32 v[74:75], v[82:83], v[74:75], v[94:95] neg_lo:[0,0,1] neg_hi:[0,0,1]
	v_mov_b32_e32 v99, v88
	s_wait_loadcnt 0x1
	v_pk_mul_f32 v[96:97], v[86:87], v[78:79] op_sel:[1,1] op_sel_hi:[0,1]
	v_pk_fma_f32 v[82:83], v[84:85], v[76:77], v[92:93] op_sel_hi:[1,0,1]
	v_dual_mov_b32 v75, v101 :: v_dual_mov_b32 v82, v81
	v_pk_fma_f32 v[76:77], v[84:85], v[76:77], v[92:93] neg_lo:[0,0,1] neg_hi:[0,0,1]
	s_delay_alu instid0(VALU_DEP_4) | instskip(NEXT) | instid1(VALU_DEP_4)
	v_pk_fma_f32 v[94:95], v[86:87], v[78:79], v[96:97] op_sel_hi:[1,0,1]
	v_mov_b32_e32 v77, v83
	s_delay_alu instid0(VALU_DEP_4) | instskip(SKIP_2) | instid1(VALU_DEP_3)
	v_pk_add_f32 v[74:75], v[74:75], 0 op_sel_hi:[1,0]
	v_pk_mul_f32 v[82:83], v[98:99], v[82:83] op_sel_hi:[1,0]
	v_pk_fma_f32 v[78:79], v[86:87], v[78:79], v[96:97] neg_lo:[0,0,1] neg_hi:[0,0,1]
	v_pk_add_f32 v[74:75], v[74:75], v[76:77]
	s_delay_alu instid0(VALU_DEP_3) | instskip(SKIP_2) | instid1(VALU_DEP_3)
	v_pk_fma_f32 v[76:77], v[88:89], v[80:81], v[82:83] op_sel_hi:[1,0,1]
	v_mov_b32_e32 v79, v95
	v_pk_fma_f32 v[80:81], v[88:89], v[80:81], v[82:83] neg_lo:[0,0,1] neg_hi:[0,0,1]
	v_mov_b32_e32 v81, v77
	s_delay_alu instid0(VALU_DEP_3) | instskip(NEXT) | instid1(VALU_DEP_1)
	v_pk_add_f32 v[74:75], v[74:75], v[78:79]
	v_pk_add_f32 v[74:75], v[74:75], v[80:81]
	s_wait_loadcnt 0x0
	s_delay_alu instid0(VALU_DEP_1)
	v_pk_add_f32 v[74:75], v[90:91], v[74:75] neg_lo:[0,1] neg_hi:[0,1]
	scratch_store_b64 off, v[74:75], off offset:248
	s_wait_xcnt 0x0
	v_cmpx_lt_u32_e32 30, v0
	s_cbranch_execz .LBB35_169
; %bb.168:
	scratch_load_b64 v[74:75], off, off offset:240
	v_mov_b64_e32 v[76:77], 0
	scratch_store_b64 off, v[76:77], off offset:240
	s_wait_loadcnt 0x0
	ds_store_b64 v1, v[74:75]
.LBB35_169:
	s_wait_xcnt 0x0
	s_or_b32 exec_lo, exec_lo, s0
	s_wait_storecnt_dscnt 0x0
	s_barrier_signal -1
	s_barrier_wait -1
	s_clause 0x3
	scratch_load_b128 v[74:77], off, off offset:248
	scratch_load_b128 v[78:81], off, off offset:264
	scratch_load_b64 v[90:91], off, off offset:280
	scratch_load_b64 v[92:93], off, off offset:240
	v_mov_b32_e32 v5, 0
	ds_load_2addr_b64 v[82:85], v5 offset0:67 offset1:68
	ds_load_2addr_b64 v[86:89], v5 offset0:69 offset1:70
	s_mov_b32 s0, exec_lo
	s_wait_dscnt 0x1
	v_dual_mov_b32 v94, v85 :: v_dual_mov_b32 v95, v84
	ds_load_b64 v[100:101], v5 offset:568
	s_wait_dscnt 0x1
	v_dual_mov_b32 v102, v89 :: v_dual_mov_b32 v103, v88
	s_wait_loadcnt 0x3
	v_pk_mul_f32 v[96:97], v[82:83], v[74:75] op_sel:[1,1] op_sel_hi:[0,1]
	v_mov_b32_e32 v98, v77
	s_delay_alu instid0(VALU_DEP_2) | instskip(NEXT) | instid1(VALU_DEP_2)
	v_pk_fma_f32 v[104:105], v[82:83], v[74:75], v[96:97] op_sel_hi:[1,0,1]
	v_pk_mul_f32 v[94:95], v[94:95], v[98:99] op_sel_hi:[1,0]
	v_pk_fma_f32 v[74:75], v[82:83], v[74:75], v[96:97] neg_lo:[0,0,1] neg_hi:[0,0,1]
	s_wait_loadcnt 0x2
	v_pk_mul_f32 v[98:99], v[86:87], v[78:79] op_sel:[1,1] op_sel_hi:[0,1]
	v_dual_mov_b32 v104, v81 :: v_dual_mov_b32 v75, v105
	v_pk_fma_f32 v[82:83], v[84:85], v[76:77], v[94:95] op_sel_hi:[1,0,1]
	v_pk_fma_f32 v[76:77], v[84:85], v[76:77], v[94:95] neg_lo:[0,0,1] neg_hi:[0,0,1]
	s_delay_alu instid0(VALU_DEP_4) | instskip(NEXT) | instid1(VALU_DEP_4)
	v_pk_fma_f32 v[96:97], v[86:87], v[78:79], v[98:99] op_sel_hi:[1,0,1]
	v_pk_mul_f32 v[102:103], v[102:103], v[104:105] op_sel_hi:[1,0]
	v_pk_add_f32 v[74:75], v[74:75], 0 op_sel_hi:[1,0]
	v_mov_b32_e32 v77, v83
	v_pk_fma_f32 v[78:79], v[86:87], v[78:79], v[98:99] neg_lo:[0,0,1] neg_hi:[0,0,1]
	v_mov_b32_e32 v79, v97
	v_pk_fma_f32 v[82:83], v[88:89], v[80:81], v[102:103] op_sel_hi:[1,0,1]
	v_pk_fma_f32 v[80:81], v[88:89], v[80:81], v[102:103] neg_lo:[0,0,1] neg_hi:[0,0,1]
	v_pk_add_f32 v[74:75], v[74:75], v[76:77]
	s_wait_loadcnt_dscnt 0x100
	v_pk_mul_f32 v[76:77], v[100:101], v[90:91] op_sel:[1,1] op_sel_hi:[0,1]
	s_delay_alu instid0(VALU_DEP_2) | instskip(NEXT) | instid1(VALU_DEP_2)
	v_pk_add_f32 v[74:75], v[74:75], v[78:79]
	v_pk_fma_f32 v[78:79], v[100:101], v[90:91], v[76:77] op_sel_hi:[1,0,1]
	v_mov_b32_e32 v81, v83
	v_pk_fma_f32 v[76:77], v[100:101], v[90:91], v[76:77] neg_lo:[0,0,1] neg_hi:[0,0,1]
	s_delay_alu instid0(VALU_DEP_3) | instskip(NEXT) | instid1(VALU_DEP_3)
	v_mov_b32_e32 v77, v79
	v_pk_add_f32 v[74:75], v[74:75], v[80:81]
	s_delay_alu instid0(VALU_DEP_1) | instskip(SKIP_1) | instid1(VALU_DEP_1)
	v_pk_add_f32 v[74:75], v[74:75], v[76:77]
	s_wait_loadcnt 0x0
	v_pk_add_f32 v[74:75], v[92:93], v[74:75] neg_lo:[0,1] neg_hi:[0,1]
	scratch_store_b64 off, v[74:75], off offset:240
	s_wait_xcnt 0x0
	v_cmpx_lt_u32_e32 29, v0
	s_cbranch_execz .LBB35_171
; %bb.170:
	scratch_load_b64 v[74:75], off, off offset:232
	v_mov_b64_e32 v[76:77], 0
	scratch_store_b64 off, v[76:77], off offset:232
	s_wait_loadcnt 0x0
	ds_store_b64 v1, v[74:75]
.LBB35_171:
	s_wait_xcnt 0x0
	s_or_b32 exec_lo, exec_lo, s0
	s_wait_storecnt_dscnt 0x0
	s_barrier_signal -1
	s_barrier_wait -1
	s_clause 0x3
	scratch_load_b128 v[74:77], off, off offset:240
	scratch_load_b128 v[78:81], off, off offset:256
	;; [unrolled: 1-line block ×3, first 2 shown]
	scratch_load_b64 v[98:99], off, off offset:232
	ds_load_b128 v[86:89], v5 offset:528
	ds_load_b128 v[90:93], v5 offset:544
	;; [unrolled: 1-line block ×3, first 2 shown]
	s_mov_b32 s0, exec_lo
	s_wait_dscnt 0x2
	v_dual_mov_b32 v100, v89 :: v_dual_mov_b32 v101, v88
	s_wait_dscnt 0x1
	v_dual_mov_b32 v102, v93 :: v_dual_mov_b32 v103, v92
	;; [unrolled: 2-line block ×3, first 2 shown]
	s_wait_loadcnt 0x3
	v_pk_mul_f32 v[104:105], v[86:87], v[74:75] op_sel:[1,1] op_sel_hi:[0,1]
	v_mov_b32_e32 v106, v77
	s_delay_alu instid0(VALU_DEP_2) | instskip(NEXT) | instid1(VALU_DEP_2)
	v_pk_fma_f32 v[110:111], v[86:87], v[74:75], v[104:105] op_sel_hi:[1,0,1]
	v_pk_mul_f32 v[100:101], v[100:101], v[106:107] op_sel_hi:[1,0]
	v_pk_fma_f32 v[74:75], v[86:87], v[74:75], v[104:105] neg_lo:[0,0,1] neg_hi:[0,0,1]
	s_wait_loadcnt 0x2
	v_pk_mul_f32 v[106:107], v[90:91], v[78:79] op_sel:[1,1] op_sel_hi:[0,1]
	v_mov_b32_e32 v110, v81
	v_pk_fma_f32 v[86:87], v[88:89], v[76:77], v[100:101] op_sel_hi:[1,0,1]
	v_mov_b32_e32 v75, v111
	v_pk_fma_f32 v[76:77], v[88:89], v[76:77], v[100:101] neg_lo:[0,0,1] neg_hi:[0,0,1]
	v_pk_fma_f32 v[104:105], v[90:91], v[78:79], v[106:107] op_sel_hi:[1,0,1]
	v_pk_mul_f32 v[102:103], v[102:103], v[110:111] op_sel_hi:[1,0]
	v_mov_b32_e32 v77, v87
	v_pk_add_f32 v[74:75], v[74:75], 0 op_sel_hi:[1,0]
	v_pk_fma_f32 v[78:79], v[90:91], v[78:79], v[106:107] neg_lo:[0,0,1] neg_hi:[0,0,1]
	s_wait_loadcnt 0x1
	v_pk_mul_f32 v[86:87], v[94:95], v[82:83] op_sel:[1,1] op_sel_hi:[0,1]
	v_mov_b32_e32 v79, v105
	v_pk_fma_f32 v[88:89], v[92:93], v[80:81], v[102:103] op_sel_hi:[1,0,1]
	v_pk_add_f32 v[74:75], v[74:75], v[76:77]
	v_mov_b32_e32 v76, v85
	v_pk_fma_f32 v[80:81], v[92:93], v[80:81], v[102:103] neg_lo:[0,0,1] neg_hi:[0,0,1]
	v_pk_fma_f32 v[90:91], v[94:95], v[82:83], v[86:87] op_sel_hi:[1,0,1]
	v_mov_b32_e32 v81, v89
	v_pk_add_f32 v[74:75], v[74:75], v[78:79]
	v_pk_mul_f32 v[76:77], v[108:109], v[76:77] op_sel_hi:[1,0]
	v_pk_fma_f32 v[78:79], v[94:95], v[82:83], v[86:87] neg_lo:[0,0,1] neg_hi:[0,0,1]
	v_mov_b32_e32 v79, v91
	s_delay_alu instid0(VALU_DEP_4) | instskip(NEXT) | instid1(VALU_DEP_4)
	v_pk_add_f32 v[74:75], v[74:75], v[80:81]
	v_pk_fma_f32 v[80:81], v[96:97], v[84:85], v[76:77] op_sel_hi:[1,0,1]
	v_pk_fma_f32 v[76:77], v[96:97], v[84:85], v[76:77] neg_lo:[0,0,1] neg_hi:[0,0,1]
	s_delay_alu instid0(VALU_DEP_3) | instskip(NEXT) | instid1(VALU_DEP_3)
	v_pk_add_f32 v[74:75], v[74:75], v[78:79]
	v_mov_b32_e32 v77, v81
	s_delay_alu instid0(VALU_DEP_1) | instskip(SKIP_1) | instid1(VALU_DEP_1)
	v_pk_add_f32 v[74:75], v[74:75], v[76:77]
	s_wait_loadcnt 0x0
	v_pk_add_f32 v[74:75], v[98:99], v[74:75] neg_lo:[0,1] neg_hi:[0,1]
	scratch_store_b64 off, v[74:75], off offset:232
	s_wait_xcnt 0x0
	v_cmpx_lt_u32_e32 28, v0
	s_cbranch_execz .LBB35_173
; %bb.172:
	scratch_load_b64 v[74:75], off, off offset:224
	v_mov_b64_e32 v[76:77], 0
	scratch_store_b64 off, v[76:77], off offset:224
	s_wait_loadcnt 0x0
	ds_store_b64 v1, v[74:75]
.LBB35_173:
	s_wait_xcnt 0x0
	s_or_b32 exec_lo, exec_lo, s0
	s_wait_storecnt_dscnt 0x0
	s_barrier_signal -1
	s_barrier_wait -1
	s_clause 0x4
	scratch_load_b128 v[74:77], off, off offset:232
	scratch_load_b128 v[78:81], off, off offset:248
	;; [unrolled: 1-line block ×3, first 2 shown]
	scratch_load_b64 v[98:99], off, off offset:280
	scratch_load_b64 v[100:101], off, off offset:224
	v_mov_b32_e32 v5, 0
	ds_load_2addr_b64 v[86:89], v5 offset0:65 offset1:66
	ds_load_2addr_b64 v[90:93], v5 offset0:67 offset1:68
	ds_load_2addr_b64 v[94:97], v5 offset0:69 offset1:70
	ds_load_b64 v[102:103], v5 offset:568
	s_mov_b32 s0, exec_lo
	s_wait_dscnt 0x3
	v_dual_mov_b32 v104, v89 :: v_dual_mov_b32 v105, v88
	s_wait_dscnt 0x2
	v_dual_mov_b32 v106, v93 :: v_dual_mov_b32 v107, v92
	;; [unrolled: 2-line block ×3, first 2 shown]
	s_wait_loadcnt 0x4
	v_pk_mul_f32 v[108:109], v[86:87], v[74:75] op_sel:[1,1] op_sel_hi:[0,1]
	v_mov_b32_e32 v110, v77
	s_wait_loadcnt 0x3
	v_pk_mul_f32 v[114:115], v[90:91], v[78:79] op_sel:[1,1] op_sel_hi:[0,1]
	s_wait_loadcnt 0x2
	v_pk_mul_f32 v[118:119], v[94:95], v[82:83] op_sel:[1,1] op_sel_hi:[0,1]
	v_pk_fma_f32 v[116:117], v[86:87], v[74:75], v[108:109] op_sel_hi:[1,0,1]
	v_pk_mul_f32 v[104:105], v[104:105], v[110:111] op_sel_hi:[1,0]
	v_pk_fma_f32 v[74:75], v[86:87], v[74:75], v[108:109] neg_lo:[0,0,1] neg_hi:[0,0,1]
	v_mov_b32_e32 v110, v81
	v_pk_fma_f32 v[108:109], v[90:91], v[78:79], v[114:115] op_sel_hi:[1,0,1]
	v_mov_b32_e32 v75, v117
	v_pk_fma_f32 v[86:87], v[88:89], v[76:77], v[104:105] op_sel_hi:[1,0,1]
	v_pk_fma_f32 v[76:77], v[88:89], v[76:77], v[104:105] neg_lo:[0,0,1] neg_hi:[0,0,1]
	v_pk_mul_f32 v[106:107], v[106:107], v[110:111] op_sel_hi:[1,0]
	v_pk_fma_f32 v[78:79], v[90:91], v[78:79], v[114:115] neg_lo:[0,0,1] neg_hi:[0,0,1]
	v_pk_add_f32 v[74:75], v[74:75], 0 op_sel_hi:[1,0]
	v_dual_mov_b32 v77, v87 :: v_dual_mov_b32 v86, v85
	s_delay_alu instid0(VALU_DEP_4) | instskip(SKIP_2) | instid1(VALU_DEP_4)
	v_pk_fma_f32 v[88:89], v[92:93], v[80:81], v[106:107] op_sel_hi:[1,0,1]
	v_mov_b32_e32 v79, v109
	v_pk_fma_f32 v[80:81], v[92:93], v[80:81], v[106:107] neg_lo:[0,0,1] neg_hi:[0,0,1]
	v_pk_add_f32 v[74:75], v[74:75], v[76:77]
	v_pk_fma_f32 v[76:77], v[94:95], v[82:83], v[118:119] op_sel_hi:[1,0,1]
	v_pk_mul_f32 v[86:87], v[112:113], v[86:87] op_sel_hi:[1,0]
	v_mov_b32_e32 v81, v89
	s_delay_alu instid0(VALU_DEP_4)
	v_pk_add_f32 v[74:75], v[74:75], v[78:79]
	v_pk_fma_f32 v[78:79], v[94:95], v[82:83], v[118:119] neg_lo:[0,0,1] neg_hi:[0,0,1]
	v_mov_b32_e32 v79, v77
	v_pk_fma_f32 v[76:77], v[96:97], v[84:85], v[86:87] op_sel_hi:[1,0,1]
	v_pk_fma_f32 v[82:83], v[96:97], v[84:85], v[86:87] neg_lo:[0,0,1] neg_hi:[0,0,1]
	v_pk_add_f32 v[74:75], v[74:75], v[80:81]
	s_wait_loadcnt_dscnt 0x100
	v_pk_mul_f32 v[80:81], v[102:103], v[98:99] op_sel:[1,1] op_sel_hi:[0,1]
	v_mov_b32_e32 v83, v77
	s_delay_alu instid0(VALU_DEP_3) | instskip(NEXT) | instid1(VALU_DEP_3)
	v_pk_add_f32 v[74:75], v[74:75], v[78:79]
	v_pk_fma_f32 v[76:77], v[102:103], v[98:99], v[80:81] op_sel_hi:[1,0,1]
	v_pk_fma_f32 v[78:79], v[102:103], v[98:99], v[80:81] neg_lo:[0,0,1] neg_hi:[0,0,1]
	s_delay_alu instid0(VALU_DEP_3) | instskip(NEXT) | instid1(VALU_DEP_3)
	v_pk_add_f32 v[74:75], v[74:75], v[82:83]
	v_mov_b32_e32 v79, v77
	s_delay_alu instid0(VALU_DEP_1) | instskip(SKIP_1) | instid1(VALU_DEP_1)
	v_pk_add_f32 v[74:75], v[74:75], v[78:79]
	s_wait_loadcnt 0x0
	v_pk_add_f32 v[74:75], v[100:101], v[74:75] neg_lo:[0,1] neg_hi:[0,1]
	scratch_store_b64 off, v[74:75], off offset:224
	s_wait_xcnt 0x0
	v_cmpx_lt_u32_e32 27, v0
	s_cbranch_execz .LBB35_175
; %bb.174:
	scratch_load_b64 v[74:75], off, off offset:216
	v_mov_b64_e32 v[76:77], 0
	scratch_store_b64 off, v[76:77], off offset:216
	s_wait_loadcnt 0x0
	ds_store_b64 v1, v[74:75]
.LBB35_175:
	s_wait_xcnt 0x0
	s_or_b32 exec_lo, exec_lo, s0
	s_wait_storecnt_dscnt 0x0
	s_barrier_signal -1
	s_barrier_wait -1
	s_clause 0x4
	scratch_load_b128 v[74:77], off, off offset:224
	scratch_load_b128 v[78:81], off, off offset:240
	;; [unrolled: 1-line block ×4, first 2 shown]
	scratch_load_b64 v[106:107], off, off offset:216
	ds_load_b128 v[90:93], v5 offset:512
	ds_load_b128 v[94:97], v5 offset:528
	;; [unrolled: 1-line block ×4, first 2 shown]
	s_mov_b32 s0, exec_lo
	s_wait_dscnt 0x3
	v_dual_mov_b32 v108, v93 :: v_dual_mov_b32 v109, v92
	s_wait_dscnt 0x2
	v_dual_mov_b32 v110, v97 :: v_dual_mov_b32 v111, v96
	;; [unrolled: 2-line block ×3, first 2 shown]
	v_dual_mov_b32 v113, v100 :: v_dual_mov_b32 v118, v105
	s_wait_loadcnt 0x4
	v_mov_b32_e32 v116, v77
	v_pk_mul_f32 v[114:115], v[90:91], v[74:75] op_sel:[1,1] op_sel_hi:[0,1]
	s_wait_loadcnt 0x3
	v_pk_mul_f32 v[120:121], v[94:95], v[78:79] op_sel:[1,1] op_sel_hi:[0,1]
	s_wait_loadcnt 0x2
	v_pk_mul_f32 v[124:125], v[98:99], v[82:83] op_sel:[1,1] op_sel_hi:[0,1]
	v_pk_mul_f32 v[108:109], v[108:109], v[116:117] op_sel_hi:[1,0]
	v_pk_fma_f32 v[122:123], v[90:91], v[74:75], v[114:115] op_sel_hi:[1,0,1]
	v_pk_fma_f32 v[74:75], v[90:91], v[74:75], v[114:115] neg_lo:[0,0,1] neg_hi:[0,0,1]
	v_mov_b32_e32 v116, v81
	v_pk_fma_f32 v[114:115], v[94:95], v[78:79], v[120:121] op_sel_hi:[1,0,1]
	v_pk_fma_f32 v[90:91], v[92:93], v[76:77], v[108:109] op_sel_hi:[1,0,1]
	v_mov_b32_e32 v75, v123
	v_pk_fma_f32 v[76:77], v[92:93], v[76:77], v[108:109] neg_lo:[0,0,1] neg_hi:[0,0,1]
	v_pk_mul_f32 v[110:111], v[110:111], v[116:117] op_sel_hi:[1,0]
	s_delay_alu instid0(VALU_DEP_4) | instskip(NEXT) | instid1(VALU_DEP_4)
	v_dual_mov_b32 v90, v85 :: v_dual_mov_b32 v77, v91
	v_pk_add_f32 v[74:75], v[74:75], 0 op_sel_hi:[1,0]
	v_pk_fma_f32 v[78:79], v[94:95], v[78:79], v[120:121] neg_lo:[0,0,1] neg_hi:[0,0,1]
	v_mov_b32_e32 v79, v115
	v_pk_fma_f32 v[92:93], v[96:97], v[80:81], v[110:111] op_sel_hi:[1,0,1]
	v_pk_mul_f32 v[90:91], v[112:113], v[90:91] op_sel_hi:[1,0]
	v_pk_add_f32 v[74:75], v[74:75], v[76:77]
	v_pk_fma_f32 v[76:77], v[98:99], v[82:83], v[124:125] op_sel_hi:[1,0,1]
	v_pk_fma_f32 v[80:81], v[96:97], v[80:81], v[110:111] neg_lo:[0,0,1] neg_hi:[0,0,1]
	v_mov_b32_e32 v81, v93
	v_pk_fma_f32 v[82:83], v[98:99], v[82:83], v[124:125] neg_lo:[0,0,1] neg_hi:[0,0,1]
	v_pk_add_f32 v[74:75], v[74:75], v[78:79]
	v_mov_b32_e32 v83, v77
	v_pk_fma_f32 v[76:77], v[100:101], v[84:85], v[90:91] op_sel_hi:[1,0,1]
	s_wait_loadcnt 0x1
	v_pk_mul_f32 v[78:79], v[102:103], v[86:87] op_sel:[1,1] op_sel_hi:[0,1]
	v_mov_b32_e32 v76, v89
	v_pk_add_f32 v[74:75], v[74:75], v[80:81]
	v_pk_fma_f32 v[84:85], v[100:101], v[84:85], v[90:91] neg_lo:[0,0,1] neg_hi:[0,0,1]
	v_mov_b32_e32 v85, v77
	v_pk_fma_f32 v[80:81], v[102:103], v[86:87], v[78:79] op_sel_hi:[1,0,1]
	v_pk_mul_f32 v[76:77], v[118:119], v[76:77] op_sel_hi:[1,0]
	v_pk_add_f32 v[74:75], v[74:75], v[82:83]
	v_pk_fma_f32 v[78:79], v[102:103], v[86:87], v[78:79] neg_lo:[0,0,1] neg_hi:[0,0,1]
	s_delay_alu instid0(VALU_DEP_4) | instskip(NEXT) | instid1(VALU_DEP_4)
	v_mov_b32_e32 v79, v81
	v_pk_fma_f32 v[80:81], v[104:105], v[88:89], v[76:77] op_sel_hi:[1,0,1]
	s_delay_alu instid0(VALU_DEP_4) | instskip(SKIP_1) | instid1(VALU_DEP_3)
	v_pk_add_f32 v[74:75], v[74:75], v[84:85]
	v_pk_fma_f32 v[76:77], v[104:105], v[88:89], v[76:77] neg_lo:[0,0,1] neg_hi:[0,0,1]
	v_mov_b32_e32 v77, v81
	s_delay_alu instid0(VALU_DEP_3) | instskip(NEXT) | instid1(VALU_DEP_1)
	v_pk_add_f32 v[74:75], v[74:75], v[78:79]
	v_pk_add_f32 v[74:75], v[74:75], v[76:77]
	s_wait_loadcnt 0x0
	s_delay_alu instid0(VALU_DEP_1)
	v_pk_add_f32 v[74:75], v[106:107], v[74:75] neg_lo:[0,1] neg_hi:[0,1]
	scratch_store_b64 off, v[74:75], off offset:216
	s_wait_xcnt 0x0
	v_cmpx_lt_u32_e32 26, v0
	s_cbranch_execz .LBB35_177
; %bb.176:
	scratch_load_b64 v[74:75], off, off offset:208
	v_mov_b64_e32 v[76:77], 0
	scratch_store_b64 off, v[76:77], off offset:208
	s_wait_loadcnt 0x0
	ds_store_b64 v1, v[74:75]
.LBB35_177:
	s_wait_xcnt 0x0
	s_or_b32 exec_lo, exec_lo, s0
	s_wait_storecnt_dscnt 0x0
	s_barrier_signal -1
	s_barrier_wait -1
	s_clause 0x5
	scratch_load_b128 v[74:77], off, off offset:216
	scratch_load_b128 v[78:81], off, off offset:232
	;; [unrolled: 1-line block ×4, first 2 shown]
	scratch_load_b64 v[106:107], off, off offset:280
	scratch_load_b64 v[108:109], off, off offset:208
	v_mov_b32_e32 v5, 0
	ds_load_2addr_b64 v[90:93], v5 offset0:63 offset1:64
	ds_load_2addr_b64 v[94:97], v5 offset0:65 offset1:66
	ds_load_2addr_b64 v[98:101], v5 offset0:67 offset1:68
	ds_load_2addr_b64 v[102:105], v5 offset0:69 offset1:70
	ds_load_b64 v[110:111], v5 offset:568
	s_mov_b32 s0, exec_lo
	s_wait_dscnt 0x4
	v_dual_mov_b32 v112, v93 :: v_dual_mov_b32 v113, v92
	s_wait_dscnt 0x1
	v_dual_mov_b32 v114, v97 :: v_dual_mov_b32 v119, v104
	v_dual_mov_b32 v115, v96 :: v_dual_mov_b32 v116, v101
	;; [unrolled: 1-line block ×3, first 2 shown]
	s_wait_loadcnt 0x5
	v_dual_mov_b32 v120, v77 :: v_dual_mul_f32 v121, v90, v75
	v_mul_f32_e32 v7, v91, v75
	s_wait_loadcnt 0x4
	v_pk_mul_f32 v[122:123], v[94:95], v[78:79] op_sel:[1,1] op_sel_hi:[0,1]
	v_mov_b32_e32 v124, v81
	s_wait_loadcnt 0x3
	v_pk_mul_f32 v[126:127], v[98:99], v[82:83] op_sel:[1,1] op_sel_hi:[0,1]
	v_pk_mul_f32 v[112:113], v[112:113], v[120:121] op_sel_hi:[1,0]
	v_dual_fmac_f32 v121, v91, v74 :: v_dual_fma_f32 v120, v90, v74, -v7
	v_mov_b32_e32 v74, v85
	v_pk_fma_f32 v[128:129], v[94:95], v[78:79], v[122:123] op_sel_hi:[1,0,1]
	s_delay_alu instid0(VALU_DEP_4)
	v_pk_fma_f32 v[90:91], v[92:93], v[76:77], v[112:113] op_sel_hi:[1,0,1]
	v_pk_fma_f32 v[76:77], v[92:93], v[76:77], v[112:113] neg_lo:[0,0,1] neg_hi:[0,0,1]
	v_pk_mul_f32 v[114:115], v[114:115], v[124:125] op_sel_hi:[1,0]
	v_pk_add_f32 v[120:121], v[120:121], 0 op_sel_hi:[1,0]
	v_pk_fma_f32 v[78:79], v[94:95], v[78:79], v[122:123] neg_lo:[0,0,1] neg_hi:[0,0,1]
	v_dual_mov_b32 v77, v91 :: v_dual_mov_b32 v79, v129
	s_delay_alu instid0(VALU_DEP_4) | instskip(SKIP_2) | instid1(VALU_DEP_4)
	v_pk_fma_f32 v[92:93], v[96:97], v[80:81], v[114:115] op_sel_hi:[1,0,1]
	v_pk_fma_f32 v[80:81], v[96:97], v[80:81], v[114:115] neg_lo:[0,0,1] neg_hi:[0,0,1]
	v_pk_fma_f32 v[94:95], v[98:99], v[82:83], v[126:127] op_sel_hi:[1,0,1]
	v_pk_add_f32 v[76:77], v[120:121], v[76:77]
	v_pk_mul_f32 v[74:75], v[116:117], v[74:75] op_sel_hi:[1,0]
	v_mov_b32_e32 v81, v93
	v_pk_fma_f32 v[82:83], v[98:99], v[82:83], v[126:127] neg_lo:[0,0,1] neg_hi:[0,0,1]
	s_wait_loadcnt 0x2
	v_pk_mul_f32 v[90:91], v[102:103], v[86:87] op_sel:[1,1] op_sel_hi:[0,1]
	v_pk_add_f32 v[76:77], v[76:77], v[78:79]
	v_mov_b32_e32 v78, v89
	v_pk_fma_f32 v[92:93], v[100:101], v[84:85], v[74:75] op_sel_hi:[1,0,1]
	v_mov_b32_e32 v83, v95
	v_pk_fma_f32 v[74:75], v[100:101], v[84:85], v[74:75] neg_lo:[0,0,1] neg_hi:[0,0,1]
	v_pk_add_f32 v[76:77], v[76:77], v[80:81]
	v_pk_fma_f32 v[80:81], v[102:103], v[86:87], v[90:91] op_sel_hi:[1,0,1]
	v_pk_mul_f32 v[78:79], v[118:119], v[78:79] op_sel_hi:[1,0]
	v_mov_b32_e32 v75, v93
	s_delay_alu instid0(VALU_DEP_4)
	v_pk_add_f32 v[76:77], v[76:77], v[82:83]
	v_pk_fma_f32 v[82:83], v[102:103], v[86:87], v[90:91] neg_lo:[0,0,1] neg_hi:[0,0,1]
	v_mov_b32_e32 v83, v81
	v_pk_fma_f32 v[80:81], v[104:105], v[88:89], v[78:79] op_sel_hi:[1,0,1]
	v_pk_fma_f32 v[78:79], v[104:105], v[88:89], v[78:79] neg_lo:[0,0,1] neg_hi:[0,0,1]
	v_pk_add_f32 v[74:75], v[76:77], v[74:75]
	s_wait_loadcnt_dscnt 0x100
	v_pk_mul_f32 v[76:77], v[110:111], v[106:107] op_sel:[1,1] op_sel_hi:[0,1]
	v_mov_b32_e32 v79, v81
	s_delay_alu instid0(VALU_DEP_3) | instskip(NEXT) | instid1(VALU_DEP_3)
	v_pk_add_f32 v[74:75], v[74:75], v[82:83]
	v_pk_fma_f32 v[80:81], v[110:111], v[106:107], v[76:77] op_sel_hi:[1,0,1]
	v_pk_fma_f32 v[76:77], v[110:111], v[106:107], v[76:77] neg_lo:[0,0,1] neg_hi:[0,0,1]
	s_delay_alu instid0(VALU_DEP_3) | instskip(NEXT) | instid1(VALU_DEP_3)
	v_pk_add_f32 v[74:75], v[74:75], v[78:79]
	v_mov_b32_e32 v77, v81
	s_delay_alu instid0(VALU_DEP_1) | instskip(SKIP_1) | instid1(VALU_DEP_1)
	v_pk_add_f32 v[74:75], v[74:75], v[76:77]
	s_wait_loadcnt 0x0
	v_pk_add_f32 v[74:75], v[108:109], v[74:75] neg_lo:[0,1] neg_hi:[0,1]
	scratch_store_b64 off, v[74:75], off offset:208
	s_wait_xcnt 0x0
	v_cmpx_lt_u32_e32 25, v0
	s_cbranch_execz .LBB35_179
; %bb.178:
	scratch_load_b64 v[74:75], off, off offset:200
	v_mov_b64_e32 v[76:77], 0
	scratch_store_b64 off, v[76:77], off offset:200
	s_wait_loadcnt 0x0
	ds_store_b64 v1, v[74:75]
.LBB35_179:
	s_wait_xcnt 0x0
	s_or_b32 exec_lo, exec_lo, s0
	s_wait_storecnt_dscnt 0x0
	s_barrier_signal -1
	s_barrier_wait -1
	s_clause 0x5
	scratch_load_b128 v[74:77], off, off offset:208
	scratch_load_b128 v[78:81], off, off offset:224
	;; [unrolled: 1-line block ×5, first 2 shown]
	scratch_load_b64 v[114:115], off, off offset:200
	ds_load_b128 v[94:97], v5 offset:512
	ds_load_b128 v[98:101], v5 offset:528
	;; [unrolled: 1-line block ×5, first 2 shown]
	s_mov_b32 s0, exec_lo
	s_wait_dscnt 0x4
	v_dual_mov_b32 v116, v97 :: v_dual_mov_b32 v117, v96
	s_wait_dscnt 0x3
	v_dual_mov_b32 v118, v101 :: v_dual_mov_b32 v119, v100
	;; [unrolled: 2-line block ×4, first 2 shown]
	s_wait_loadcnt_dscnt 0x500
	v_dual_mul_f32 v125, v110, v75 :: v_dual_mul_f32 v127, v112, v77
	v_dual_mul_f32 v5, v111, v75 :: v_dual_mul_f32 v7, v113, v77
	s_wait_loadcnt 0x4
	v_pk_mul_f32 v[128:129], v[94:95], v[78:79] op_sel:[1,1] op_sel_hi:[0,1]
	s_wait_loadcnt 0x3
	v_dual_mov_b32 v130, v81 :: v_dual_mov_b32 v134, v85
	v_dual_fmac_f32 v125, v111, v74 :: v_dual_fmac_f32 v127, v113, v76
	v_dual_fma_f32 v124, v110, v74, -v5 :: v_dual_fma_f32 v126, v112, v76, -v7
	v_pk_fma_f32 v[74:75], v[94:95], v[78:79], v[128:129] op_sel_hi:[1,0,1]
	s_delay_alu instid0(VALU_DEP_4) | instskip(SKIP_1) | instid1(VALU_DEP_4)
	v_pk_mul_f32 v[76:77], v[116:117], v[130:131] op_sel_hi:[1,0]
	v_pk_fma_f32 v[78:79], v[94:95], v[78:79], v[128:129] neg_lo:[0,0,1] neg_hi:[0,0,1]
	v_pk_add_f32 v[110:111], v[124:125], 0 op_sel_hi:[1,0]
	v_pk_mul_f32 v[132:133], v[98:99], v[82:83] op_sel:[1,1] op_sel_hi:[0,1]
	v_mov_b32_e32 v79, v75
	v_pk_fma_f32 v[74:75], v[96:97], v[80:81], v[76:77] op_sel_hi:[1,0,1]
	v_pk_fma_f32 v[76:77], v[96:97], v[80:81], v[76:77] neg_lo:[0,0,1] neg_hi:[0,0,1]
	v_pk_add_f32 v[94:95], v[110:111], v[126:127]
	v_pk_fma_f32 v[110:111], v[98:99], v[82:83], v[132:133] op_sel_hi:[1,0,1]
	v_pk_mul_f32 v[116:117], v[118:119], v[134:135] op_sel_hi:[1,0]
	v_mov_b32_e32 v77, v75
	s_wait_loadcnt 0x2
	v_pk_mul_f32 v[112:113], v[102:103], v[86:87] op_sel:[1,1] op_sel_hi:[0,1]
	v_pk_add_f32 v[74:75], v[94:95], v[78:79]
	v_mov_b32_e32 v78, v89
	v_pk_fma_f32 v[80:81], v[98:99], v[82:83], v[132:133] neg_lo:[0,0,1] neg_hi:[0,0,1]
	v_mov_b32_e32 v81, v111
	v_pk_fma_f32 v[82:83], v[100:101], v[84:85], v[116:117] op_sel_hi:[1,0,1]
	v_pk_add_f32 v[74:75], v[74:75], v[76:77]
	v_pk_fma_f32 v[76:77], v[102:103], v[86:87], v[112:113] op_sel_hi:[1,0,1]
	v_pk_mul_f32 v[78:79], v[120:121], v[78:79] op_sel_hi:[1,0]
	v_pk_fma_f32 v[84:85], v[100:101], v[84:85], v[116:117] neg_lo:[0,0,1] neg_hi:[0,0,1]
	v_mov_b32_e32 v85, v83
	v_pk_add_f32 v[74:75], v[74:75], v[80:81]
	v_pk_fma_f32 v[82:83], v[102:103], v[86:87], v[112:113] neg_lo:[0,0,1] neg_hi:[0,0,1]
	v_mov_b32_e32 v83, v77
	v_pk_fma_f32 v[76:77], v[104:105], v[88:89], v[78:79] op_sel_hi:[1,0,1]
	s_wait_loadcnt 0x1
	v_pk_mul_f32 v[80:81], v[106:107], v[90:91] op_sel:[1,1] op_sel_hi:[0,1]
	v_pk_add_f32 v[74:75], v[74:75], v[84:85]
	v_mov_b32_e32 v76, v93
	v_pk_fma_f32 v[78:79], v[104:105], v[88:89], v[78:79] neg_lo:[0,0,1] neg_hi:[0,0,1]
	v_mov_b32_e32 v79, v77
	v_pk_fma_f32 v[84:85], v[106:107], v[90:91], v[80:81] op_sel_hi:[1,0,1]
	v_pk_add_f32 v[74:75], v[74:75], v[82:83]
	v_pk_mul_f32 v[76:77], v[122:123], v[76:77] op_sel_hi:[1,0]
	v_pk_fma_f32 v[80:81], v[106:107], v[90:91], v[80:81] neg_lo:[0,0,1] neg_hi:[0,0,1]
	s_delay_alu instid0(VALU_DEP_3) | instskip(NEXT) | instid1(VALU_DEP_3)
	v_pk_add_f32 v[74:75], v[74:75], v[78:79]
	v_pk_fma_f32 v[78:79], v[108:109], v[92:93], v[76:77] op_sel_hi:[1,0,1]
	v_mov_b32_e32 v81, v85
	v_pk_fma_f32 v[76:77], v[108:109], v[92:93], v[76:77] neg_lo:[0,0,1] neg_hi:[0,0,1]
	s_delay_alu instid0(VALU_DEP_3) | instskip(NEXT) | instid1(VALU_DEP_3)
	v_mov_b32_e32 v77, v79
	v_pk_add_f32 v[74:75], v[74:75], v[80:81]
	s_delay_alu instid0(VALU_DEP_1) | instskip(SKIP_1) | instid1(VALU_DEP_1)
	v_pk_add_f32 v[74:75], v[74:75], v[76:77]
	s_wait_loadcnt 0x0
	v_pk_add_f32 v[74:75], v[114:115], v[74:75] neg_lo:[0,1] neg_hi:[0,1]
	scratch_store_b64 off, v[74:75], off offset:200
	s_wait_xcnt 0x0
	v_cmpx_lt_u32_e32 24, v0
	s_cbranch_execz .LBB35_181
; %bb.180:
	scratch_load_b64 v[74:75], off, off offset:192
	v_mov_b64_e32 v[76:77], 0
	scratch_store_b64 off, v[76:77], off offset:192
	s_wait_loadcnt 0x0
	ds_store_b64 v1, v[74:75]
.LBB35_181:
	s_wait_xcnt 0x0
	s_or_b32 exec_lo, exec_lo, s0
	s_wait_storecnt_dscnt 0x0
	s_barrier_signal -1
	s_barrier_wait -1
	s_clause 0x6
	scratch_load_b128 v[74:77], off, off offset:200
	scratch_load_b128 v[78:81], off, off offset:216
	;; [unrolled: 1-line block ×5, first 2 shown]
	scratch_load_b64 v[114:115], off, off offset:280
	scratch_load_b64 v[116:117], off, off offset:192
	v_mov_b32_e32 v5, 0
	ds_load_2addr_b64 v[94:97], v5 offset0:63 offset1:64
	ds_load_2addr_b64 v[98:101], v5 offset0:65 offset1:66
	;; [unrolled: 1-line block ×5, first 2 shown]
	ds_load_b64 v[118:119], v5 offset:568
	s_mov_b32 s0, exec_lo
	s_wait_dscnt 0x5
	v_dual_mov_b32 v120, v97 :: v_dual_mov_b32 v121, v96
	s_wait_dscnt 0x2
	v_dual_mov_b32 v122, v101 :: v_dual_mov_b32 v127, v108
	v_dual_mov_b32 v123, v100 :: v_dual_mov_b32 v124, v105
	;; [unrolled: 1-line block ×3, first 2 shown]
	s_wait_loadcnt_dscnt 0x601
	v_dual_mul_f32 v7, v110, v75 :: v_dual_mul_f32 v11, v111, v75
	v_dual_mul_f32 v13, v113, v77 :: v_dual_mul_f32 v129, v112, v77
	s_wait_loadcnt 0x5
	v_dual_mul_f32 v131, v94, v79 :: v_dual_mul_f32 v15, v95, v79
	s_wait_loadcnt 0x4
	v_dual_mov_b32 v130, v81 :: v_dual_mov_b32 v134, v85
	v_fmac_f32_e32 v7, v111, v74
	v_dual_fma_f32 v11, v110, v74, -v11 :: v_dual_fmac_f32 v129, v113, v76
	v_pk_mul_f32 v[132:133], v[98:99], v[82:83] op_sel:[1,1] op_sel_hi:[0,1]
	s_delay_alu instid0(VALU_DEP_3)
	v_dual_fma_f32 v128, v112, v76, -v13 :: v_dual_add_f32 v77, 0, v7
	v_pk_mul_f32 v[74:75], v[120:121], v[130:131] op_sel_hi:[1,0]
	s_wait_loadcnt 0x3
	v_dual_add_f32 v76, 0, v11 :: v_dual_mov_b32 v110, v89
	v_fmac_f32_e32 v131, v95, v78
	v_fma_f32 v130, v94, v78, -v15
	v_pk_fma_f32 v[78:79], v[96:97], v[80:81], v[74:75] op_sel_hi:[1,0,1]
	s_delay_alu instid0(VALU_DEP_4) | instskip(SKIP_4) | instid1(VALU_DEP_4)
	v_pk_add_f32 v[76:77], v[76:77], v[128:129]
	v_pk_fma_f32 v[94:95], v[98:99], v[82:83], v[132:133] op_sel_hi:[1,0,1]
	v_pk_fma_f32 v[74:75], v[96:97], v[80:81], v[74:75] neg_lo:[0,0,1] neg_hi:[0,0,1]
	v_pk_fma_f32 v[80:81], v[98:99], v[82:83], v[132:133] neg_lo:[0,0,1] neg_hi:[0,0,1]
	v_pk_mul_f32 v[112:113], v[122:123], v[134:135] op_sel_hi:[1,0]
	v_dual_mov_b32 v75, v79 :: v_dual_mov_b32 v81, v95
	v_pk_add_f32 v[76:77], v[76:77], v[130:131]
	v_pk_mul_f32 v[136:137], v[102:103], v[86:87] op_sel:[1,1] op_sel_hi:[0,1]
	s_delay_alu instid0(VALU_DEP_4)
	v_pk_fma_f32 v[82:83], v[100:101], v[84:85], v[112:113] op_sel_hi:[1,0,1]
	v_pk_fma_f32 v[84:85], v[100:101], v[84:85], v[112:113] neg_lo:[0,0,1] neg_hi:[0,0,1]
	v_pk_mul_f32 v[94:95], v[124:125], v[110:111] op_sel_hi:[1,0]
	v_pk_add_f32 v[74:75], v[76:77], v[74:75]
	v_pk_fma_f32 v[76:77], v[102:103], v[86:87], v[136:137] op_sel_hi:[1,0,1]
	s_wait_loadcnt 0x2
	v_dual_mov_b32 v85, v83 :: v_dual_mov_b32 v76, v93
	v_pk_mul_f32 v[78:79], v[106:107], v[90:91] op_sel:[1,1] op_sel_hi:[0,1]
	v_pk_add_f32 v[74:75], v[74:75], v[80:81]
	v_pk_fma_f32 v[80:81], v[102:103], v[86:87], v[136:137] neg_lo:[0,0,1] neg_hi:[0,0,1]
	v_pk_fma_f32 v[82:83], v[104:105], v[88:89], v[94:95] op_sel_hi:[1,0,1]
	v_mov_b32_e32 v81, v77
	v_pk_fma_f32 v[86:87], v[104:105], v[88:89], v[94:95] neg_lo:[0,0,1] neg_hi:[0,0,1]
	v_pk_add_f32 v[74:75], v[74:75], v[84:85]
	v_pk_fma_f32 v[84:85], v[106:107], v[90:91], v[78:79] op_sel_hi:[1,0,1]
	v_pk_mul_f32 v[76:77], v[126:127], v[76:77] op_sel_hi:[1,0]
	v_mov_b32_e32 v87, v83
	v_pk_fma_f32 v[78:79], v[106:107], v[90:91], v[78:79] neg_lo:[0,0,1] neg_hi:[0,0,1]
	v_pk_add_f32 v[74:75], v[74:75], v[80:81]
	s_wait_loadcnt_dscnt 0x100
	v_pk_mul_f32 v[82:83], v[118:119], v[114:115] op_sel:[1,1] op_sel_hi:[0,1]
	v_pk_fma_f32 v[80:81], v[108:109], v[92:93], v[76:77] op_sel_hi:[1,0,1]
	v_mov_b32_e32 v79, v85
	v_pk_fma_f32 v[76:77], v[108:109], v[92:93], v[76:77] neg_lo:[0,0,1] neg_hi:[0,0,1]
	v_pk_add_f32 v[74:75], v[74:75], v[86:87]
	s_delay_alu instid0(VALU_DEP_4) | instskip(SKIP_1) | instid1(VALU_DEP_3)
	v_mov_b32_e32 v77, v81
	v_pk_fma_f32 v[80:81], v[118:119], v[114:115], v[82:83] neg_lo:[0,0,1] neg_hi:[0,0,1]
	v_pk_add_f32 v[74:75], v[74:75], v[78:79]
	v_pk_fma_f32 v[78:79], v[118:119], v[114:115], v[82:83] op_sel_hi:[1,0,1]
	s_delay_alu instid0(VALU_DEP_2) | instskip(NEXT) | instid1(VALU_DEP_2)
	v_pk_add_f32 v[74:75], v[74:75], v[76:77]
	v_mov_b32_e32 v81, v79
	s_delay_alu instid0(VALU_DEP_1) | instskip(SKIP_1) | instid1(VALU_DEP_1)
	v_pk_add_f32 v[74:75], v[74:75], v[80:81]
	s_wait_loadcnt 0x0
	v_pk_add_f32 v[74:75], v[116:117], v[74:75] neg_lo:[0,1] neg_hi:[0,1]
	scratch_store_b64 off, v[74:75], off offset:192
	s_wait_xcnt 0x0
	v_cmpx_lt_u32_e32 23, v0
	s_cbranch_execz .LBB35_183
; %bb.182:
	scratch_load_b64 v[74:75], off, off offset:184
	v_mov_b64_e32 v[76:77], 0
	scratch_store_b64 off, v[76:77], off offset:184
	s_wait_loadcnt 0x0
	ds_store_b64 v1, v[74:75]
.LBB35_183:
	s_wait_xcnt 0x0
	s_or_b32 exec_lo, exec_lo, s0
	s_wait_storecnt_dscnt 0x0
	s_barrier_signal -1
	s_barrier_wait -1
	s_clause 0x6
	scratch_load_b128 v[74:77], off, off offset:192
	scratch_load_b128 v[78:81], off, off offset:208
	;; [unrolled: 1-line block ×6, first 2 shown]
	scratch_load_b64 v[122:123], off, off offset:184
	ds_load_b128 v[98:101], v5 offset:512
	ds_load_b128 v[102:105], v5 offset:528
	;; [unrolled: 1-line block ×6, first 2 shown]
	s_mov_b32 s0, exec_lo
	s_wait_dscnt 0x5
	v_dual_mov_b32 v124, v101 :: v_dual_mov_b32 v125, v100
	s_wait_dscnt 0x4
	v_dual_mov_b32 v126, v105 :: v_dual_mov_b32 v127, v104
	;; [unrolled: 2-line block ×4, first 2 shown]
	s_wait_loadcnt_dscnt 0x601
	v_dual_mul_f32 v5, v114, v75 :: v_dual_mul_f32 v7, v116, v77
	v_dual_mul_f32 v11, v115, v75 :: v_dual_mul_f32 v13, v117, v77
	s_wait_loadcnt 0x4
	s_delay_alu instid0(VALU_DEP_2)
	v_dual_mov_b32 v138, v85 :: v_dual_fmac_f32 v5, v115, v74
	s_wait_dscnt 0x0
	v_dual_mul_f32 v133, v118, v79 :: v_dual_mul_f32 v135, v120, v81
	v_dual_fma_f32 v11, v114, v74, -v11 :: v_dual_fma_f32 v13, v116, v76, -v13
	v_dual_mul_f32 v15, v119, v79 :: v_dual_mul_f32 v17, v121, v81
	v_dual_fmac_f32 v7, v117, v76 :: v_dual_add_f32 v5, 0, v5
	s_wait_loadcnt 0x3
	s_delay_alu instid0(VALU_DEP_3) | instskip(SKIP_2) | instid1(VALU_DEP_3)
	v_dual_add_f32 v11, 0, v11 :: v_dual_mov_b32 v76, v89
	v_pk_mul_f32 v[136:137], v[98:99], v[82:83] op_sel:[1,1] op_sel_hi:[0,1]
	v_dual_fmac_f32 v133, v119, v78 :: v_dual_fma_f32 v132, v118, v78, -v15
	v_dual_add_f32 v79, v5, v7 :: v_dual_add_f32 v78, v11, v13
	v_dual_fmac_f32 v135, v121, v80 :: v_dual_fma_f32 v134, v120, v80, -v17
	s_delay_alu instid0(VALU_DEP_4) | instskip(SKIP_1) | instid1(VALU_DEP_4)
	v_pk_fma_f32 v[80:81], v[98:99], v[82:83], v[136:137] op_sel_hi:[1,0,1]
	v_pk_mul_f32 v[114:115], v[124:125], v[138:139] op_sel_hi:[1,0]
	v_pk_add_f32 v[78:79], v[78:79], v[132:133]
	v_pk_fma_f32 v[82:83], v[98:99], v[82:83], v[136:137] neg_lo:[0,0,1] neg_hi:[0,0,1]
	v_pk_mul_f32 v[74:75], v[102:103], v[86:87] op_sel:[1,1] op_sel_hi:[0,1]
	v_mov_b32_e32 v83, v81
	v_pk_fma_f32 v[80:81], v[100:101], v[84:85], v[114:115] op_sel_hi:[1,0,1]
	v_pk_add_f32 v[78:79], v[78:79], v[134:135]
	v_pk_fma_f32 v[84:85], v[100:101], v[84:85], v[114:115] neg_lo:[0,0,1] neg_hi:[0,0,1]
	v_pk_fma_f32 v[98:99], v[102:103], v[86:87], v[74:75] op_sel_hi:[1,0,1]
	v_pk_mul_f32 v[76:77], v[126:127], v[76:77] op_sel_hi:[1,0]
	v_mov_b32_e32 v85, v81
	v_pk_add_f32 v[78:79], v[78:79], v[82:83]
	v_pk_fma_f32 v[74:75], v[102:103], v[86:87], v[74:75] neg_lo:[0,0,1] neg_hi:[0,0,1]
	s_wait_loadcnt 0x2
	v_pk_mul_f32 v[116:117], v[106:107], v[90:91] op_sel:[1,1] op_sel_hi:[0,1]
	v_dual_mov_b32 v80, v93 :: v_dual_mov_b32 v75, v99
	v_pk_fma_f32 v[82:83], v[104:105], v[88:89], v[76:77] op_sel_hi:[1,0,1]
	v_pk_add_f32 v[78:79], v[78:79], v[84:85]
	v_pk_fma_f32 v[76:77], v[104:105], v[88:89], v[76:77] neg_lo:[0,0,1] neg_hi:[0,0,1]
	v_pk_fma_f32 v[84:85], v[106:107], v[90:91], v[116:117] op_sel_hi:[1,0,1]
	v_pk_mul_f32 v[80:81], v[128:129], v[80:81] op_sel_hi:[1,0]
	v_mov_b32_e32 v77, v83
	v_pk_add_f32 v[74:75], v[78:79], v[74:75]
	v_pk_fma_f32 v[82:83], v[106:107], v[90:91], v[116:117] neg_lo:[0,0,1] neg_hi:[0,0,1]
	s_wait_loadcnt 0x1
	v_pk_mul_f32 v[78:79], v[110:111], v[94:95] op_sel:[1,1] op_sel_hi:[0,1]
	v_mov_b32_e32 v83, v85
	v_pk_fma_f32 v[84:85], v[108:109], v[92:93], v[80:81] op_sel_hi:[1,0,1]
	v_pk_add_f32 v[74:75], v[74:75], v[76:77]
	v_mov_b32_e32 v76, v97
	v_pk_fma_f32 v[80:81], v[108:109], v[92:93], v[80:81] neg_lo:[0,0,1] neg_hi:[0,0,1]
	v_pk_fma_f32 v[86:87], v[110:111], v[94:95], v[78:79] op_sel_hi:[1,0,1]
	v_mov_b32_e32 v81, v85
	v_pk_add_f32 v[74:75], v[74:75], v[82:83]
	v_pk_mul_f32 v[76:77], v[130:131], v[76:77] op_sel_hi:[1,0]
	v_pk_fma_f32 v[78:79], v[110:111], v[94:95], v[78:79] neg_lo:[0,0,1] neg_hi:[0,0,1]
	s_delay_alu instid0(VALU_DEP_3) | instskip(NEXT) | instid1(VALU_DEP_3)
	v_pk_add_f32 v[74:75], v[74:75], v[80:81]
	v_pk_fma_f32 v[80:81], v[112:113], v[96:97], v[76:77] op_sel_hi:[1,0,1]
	v_mov_b32_e32 v79, v87
	v_pk_fma_f32 v[76:77], v[112:113], v[96:97], v[76:77] neg_lo:[0,0,1] neg_hi:[0,0,1]
	s_delay_alu instid0(VALU_DEP_3) | instskip(NEXT) | instid1(VALU_DEP_3)
	v_mov_b32_e32 v77, v81
	v_pk_add_f32 v[74:75], v[74:75], v[78:79]
	s_delay_alu instid0(VALU_DEP_1) | instskip(SKIP_1) | instid1(VALU_DEP_1)
	v_pk_add_f32 v[74:75], v[74:75], v[76:77]
	s_wait_loadcnt 0x0
	v_pk_add_f32 v[74:75], v[122:123], v[74:75] neg_lo:[0,1] neg_hi:[0,1]
	scratch_store_b64 off, v[74:75], off offset:184
	s_wait_xcnt 0x0
	v_cmpx_lt_u32_e32 22, v0
	s_cbranch_execz .LBB35_185
; %bb.184:
	scratch_load_b64 v[74:75], off, off offset:176
	v_mov_b64_e32 v[76:77], 0
	scratch_store_b64 off, v[76:77], off offset:176
	s_wait_loadcnt 0x0
	ds_store_b64 v1, v[74:75]
.LBB35_185:
	s_wait_xcnt 0x0
	s_or_b32 exec_lo, exec_lo, s0
	s_wait_storecnt_dscnt 0x0
	s_barrier_signal -1
	s_barrier_wait -1
	s_clause 0x7
	scratch_load_b128 v[74:77], off, off offset:184
	scratch_load_b128 v[78:81], off, off offset:200
	scratch_load_b128 v[82:85], off, off offset:216
	scratch_load_b128 v[86:89], off, off offset:232
	scratch_load_b128 v[90:93], off, off offset:248
	scratch_load_b128 v[94:97], off, off offset:264
	scratch_load_b64 v[122:123], off, off offset:280
	scratch_load_b64 v[124:125], off, off offset:176
	v_mov_b32_e32 v5, 0
	ds_load_2addr_b64 v[98:101], v5 offset0:63 offset1:64
	ds_load_2addr_b64 v[102:105], v5 offset0:65 offset1:66
	;; [unrolled: 1-line block ×6, first 2 shown]
	ds_load_b64 v[126:127], v5 offset:568
	s_mov_b32 s0, exec_lo
	s_wait_dscnt 0x6
	v_dual_mov_b32 v128, v101 :: v_dual_mov_b32 v129, v100
	s_wait_dscnt 0x3
	v_dual_mov_b32 v130, v105 :: v_dual_mov_b32 v135, v112
	v_dual_mov_b32 v131, v104 :: v_dual_mov_b32 v132, v109
	;; [unrolled: 1-line block ×3, first 2 shown]
	s_wait_loadcnt_dscnt 0x702
	v_dual_mul_f32 v7, v114, v75 :: v_dual_mul_f32 v15, v115, v75
	v_dual_mul_f32 v17, v117, v77 :: v_dual_mul_f32 v11, v116, v77
	s_wait_loadcnt_dscnt 0x601
	s_delay_alu instid0(VALU_DEP_2) | instskip(NEXT) | instid1(VALU_DEP_2)
	v_dual_mul_f32 v13, v118, v79 :: v_dual_fmac_f32 v7, v115, v74
	v_dual_fma_f32 v15, v114, v74, -v15 :: v_dual_fma_f32 v17, v116, v76, -v17
	v_dual_mul_f32 v19, v119, v79 :: v_dual_mul_f32 v21, v121, v81
	s_wait_loadcnt 0x4
	v_mov_b32_e32 v74, v89
	v_dual_fmac_f32 v11, v117, v76 :: v_dual_add_f32 v7, 0, v7
	v_dual_add_f32 v15, 0, v15 :: v_dual_fmac_f32 v13, v119, v78
	v_dual_mul_f32 v137, v120, v81 :: v_dual_mul_f32 v139, v98, v83
	v_dual_mul_f32 v23, v99, v83 :: v_dual_mov_b32 v138, v85
	s_delay_alu instid0(VALU_DEP_4) | instskip(NEXT) | instid1(VALU_DEP_3)
	v_dual_fma_f32 v19, v118, v78, -v19 :: v_dual_add_f32 v7, v7, v11
	v_dual_add_f32 v11, v15, v17 :: v_dual_fmac_f32 v137, v121, v80
	v_pk_mul_f32 v[140:141], v[102:103], v[86:87] op_sel:[1,1] op_sel_hi:[0,1]
	s_delay_alu instid0(VALU_DEP_3)
	v_dual_fma_f32 v136, v120, v80, -v21 :: v_dual_add_f32 v81, v7, v13
	v_pk_mul_f32 v[78:79], v[128:129], v[138:139] op_sel_hi:[1,0]
	s_wait_loadcnt 0x3
	v_dual_add_f32 v80, v11, v19 :: v_dual_mov_b32 v114, v93
	v_fmac_f32_e32 v139, v99, v82
	v_fma_f32 v138, v98, v82, -v23
	v_pk_fma_f32 v[82:83], v[100:101], v[84:85], v[78:79] op_sel_hi:[1,0,1]
	s_delay_alu instid0(VALU_DEP_4) | instskip(SKIP_4) | instid1(VALU_DEP_4)
	v_pk_add_f32 v[80:81], v[80:81], v[136:137]
	v_pk_fma_f32 v[98:99], v[102:103], v[86:87], v[140:141] op_sel_hi:[1,0,1]
	v_pk_fma_f32 v[78:79], v[100:101], v[84:85], v[78:79] neg_lo:[0,0,1] neg_hi:[0,0,1]
	v_pk_fma_f32 v[84:85], v[102:103], v[86:87], v[140:141] neg_lo:[0,0,1] neg_hi:[0,0,1]
	v_pk_mul_f32 v[74:75], v[130:131], v[74:75] op_sel_hi:[1,0]
	v_dual_mov_b32 v79, v83 :: v_dual_mov_b32 v85, v99
	v_pk_add_f32 v[80:81], v[80:81], v[138:139]
	v_pk_mul_f32 v[76:77], v[106:107], v[90:91] op_sel:[1,1] op_sel_hi:[0,1]
	s_delay_alu instid0(VALU_DEP_4)
	v_pk_fma_f32 v[86:87], v[104:105], v[88:89], v[74:75] op_sel_hi:[1,0,1]
	v_pk_fma_f32 v[74:75], v[104:105], v[88:89], v[74:75] neg_lo:[0,0,1] neg_hi:[0,0,1]
	v_pk_mul_f32 v[98:99], v[132:133], v[114:115] op_sel_hi:[1,0]
	v_pk_add_f32 v[78:79], v[80:81], v[78:79]
	v_pk_fma_f32 v[80:81], v[106:107], v[90:91], v[76:77] op_sel_hi:[1,0,1]
	s_wait_loadcnt 0x2
	v_dual_mov_b32 v75, v87 :: v_dual_mov_b32 v80, v97
	v_pk_fma_f32 v[76:77], v[106:107], v[90:91], v[76:77] neg_lo:[0,0,1] neg_hi:[0,0,1]
	v_pk_add_f32 v[78:79], v[78:79], v[84:85]
	v_pk_mul_f32 v[82:83], v[110:111], v[94:95] op_sel:[1,1] op_sel_hi:[0,1]
	v_pk_fma_f32 v[84:85], v[108:109], v[92:93], v[98:99] op_sel_hi:[1,0,1]
	v_mov_b32_e32 v77, v81
	v_pk_fma_f32 v[86:87], v[108:109], v[92:93], v[98:99] neg_lo:[0,0,1] neg_hi:[0,0,1]
	v_pk_add_f32 v[74:75], v[78:79], v[74:75]
	v_pk_fma_f32 v[78:79], v[110:111], v[94:95], v[82:83] op_sel_hi:[1,0,1]
	v_pk_mul_f32 v[80:81], v[134:135], v[80:81] op_sel_hi:[1,0]
	v_mov_b32_e32 v87, v85
	s_delay_alu instid0(VALU_DEP_4)
	v_pk_add_f32 v[74:75], v[74:75], v[76:77]
	v_pk_fma_f32 v[76:77], v[110:111], v[94:95], v[82:83] neg_lo:[0,0,1] neg_hi:[0,0,1]
	v_mov_b32_e32 v77, v79
	v_pk_fma_f32 v[78:79], v[112:113], v[96:97], v[80:81] op_sel_hi:[1,0,1]
	s_wait_loadcnt_dscnt 0x100
	v_pk_mul_f32 v[82:83], v[126:127], v[122:123] op_sel:[1,1] op_sel_hi:[0,1]
	v_pk_add_f32 v[74:75], v[74:75], v[86:87]
	v_pk_fma_f32 v[80:81], v[112:113], v[96:97], v[80:81] neg_lo:[0,0,1] neg_hi:[0,0,1]
	v_mov_b32_e32 v81, v79
	s_delay_alu instid0(VALU_DEP_4) | instskip(NEXT) | instid1(VALU_DEP_4)
	v_pk_fma_f32 v[78:79], v[126:127], v[122:123], v[82:83] neg_lo:[0,0,1] neg_hi:[0,0,1]
	v_pk_add_f32 v[74:75], v[74:75], v[76:77]
	v_pk_fma_f32 v[76:77], v[126:127], v[122:123], v[82:83] op_sel_hi:[1,0,1]
	s_delay_alu instid0(VALU_DEP_2) | instskip(NEXT) | instid1(VALU_DEP_2)
	v_pk_add_f32 v[74:75], v[74:75], v[80:81]
	v_mov_b32_e32 v79, v77
	s_delay_alu instid0(VALU_DEP_1) | instskip(SKIP_1) | instid1(VALU_DEP_1)
	v_pk_add_f32 v[74:75], v[74:75], v[78:79]
	s_wait_loadcnt 0x0
	v_pk_add_f32 v[74:75], v[124:125], v[74:75] neg_lo:[0,1] neg_hi:[0,1]
	scratch_store_b64 off, v[74:75], off offset:176
	s_wait_xcnt 0x0
	v_cmpx_lt_u32_e32 21, v0
	s_cbranch_execz .LBB35_187
; %bb.186:
	scratch_load_b64 v[74:75], off, off offset:168
	v_mov_b64_e32 v[76:77], 0
	scratch_store_b64 off, v[76:77], off offset:168
	s_wait_loadcnt 0x0
	ds_store_b64 v1, v[74:75]
.LBB35_187:
	s_wait_xcnt 0x0
	s_or_b32 exec_lo, exec_lo, s0
	s_wait_storecnt_dscnt 0x0
	s_barrier_signal -1
	s_barrier_wait -1
	s_clause 0x7
	scratch_load_b128 v[74:77], off, off offset:176
	scratch_load_b128 v[78:81], off, off offset:192
	;; [unrolled: 1-line block ×7, first 2 shown]
	scratch_load_b64 v[130:131], off, off offset:168
	ds_load_b128 v[102:105], v5 offset:512
	ds_load_b128 v[106:109], v5 offset:528
	;; [unrolled: 1-line block ×7, first 2 shown]
	s_mov_b32 s0, exec_lo
	s_wait_dscnt 0x6
	v_dual_mov_b32 v132, v105 :: v_dual_mov_b32 v133, v104
	s_wait_dscnt 0x5
	v_dual_mov_b32 v134, v109 :: v_dual_mov_b32 v135, v108
	;; [unrolled: 2-line block ×4, first 2 shown]
	s_wait_loadcnt_dscnt 0x702
	v_dual_mul_f32 v5, v118, v75 :: v_dual_mul_f32 v7, v120, v77
	v_dual_mul_f32 v15, v119, v75 :: v_dual_mul_f32 v17, v121, v77
	s_wait_loadcnt_dscnt 0x601
	v_dual_mul_f32 v11, v122, v79 :: v_dual_mul_f32 v13, v124, v81
	s_delay_alu instid0(VALU_DEP_2) | instskip(SKIP_2) | instid1(VALU_DEP_3)
	v_dual_fmac_f32 v5, v119, v74 :: v_dual_fma_f32 v15, v118, v74, -v15
	v_dual_mul_f32 v19, v123, v79 :: v_dual_mul_f32 v21, v125, v81
	v_dual_fmac_f32 v7, v121, v76 :: v_dual_fma_f32 v17, v120, v76, -v17
	v_dual_add_f32 v5, 0, v5 :: v_dual_add_f32 v15, 0, v15
	s_wait_loadcnt 0x4
	v_dual_mov_b32 v76, v89 :: v_dual_fmac_f32 v11, v123, v78
	s_delay_alu instid0(VALU_DEP_2) | instskip(NEXT) | instid1(VALU_DEP_3)
	v_dual_fma_f32 v19, v122, v78, -v19 :: v_dual_add_f32 v5, v5, v7
	v_dual_add_f32 v7, v15, v17 :: v_dual_fmac_f32 v13, v125, v80
	s_wait_dscnt 0x0
	v_dual_mul_f32 v141, v126, v83 :: v_dual_mul_f32 v143, v128, v85
	v_dual_mul_f32 v23, v127, v83 :: v_dual_mul_f32 v25, v129, v85
	v_dual_fma_f32 v15, v124, v80, -v21 :: v_dual_add_f32 v5, v5, v11
	s_wait_loadcnt 0x3
	v_dual_add_f32 v7, v7, v19 :: v_dual_mov_b32 v80, v93
	v_pk_mul_f32 v[74:75], v[102:103], v[86:87] op_sel:[1,1] op_sel_hi:[0,1]
	v_dual_fmac_f32 v141, v127, v82 :: v_dual_fma_f32 v140, v126, v82, -v23
	s_delay_alu instid0(VALU_DEP_3) | instskip(SKIP_1) | instid1(VALU_DEP_4)
	v_dual_add_f32 v83, v5, v13 :: v_dual_add_f32 v82, v7, v15
	v_dual_fmac_f32 v143, v129, v84 :: v_dual_fma_f32 v142, v128, v84, -v25
	v_pk_fma_f32 v[84:85], v[102:103], v[86:87], v[74:75] op_sel_hi:[1,0,1]
	v_pk_mul_f32 v[76:77], v[132:133], v[76:77] op_sel_hi:[1,0]
	s_delay_alu instid0(VALU_DEP_4)
	v_pk_add_f32 v[82:83], v[82:83], v[140:141]
	v_pk_fma_f32 v[74:75], v[102:103], v[86:87], v[74:75] neg_lo:[0,0,1] neg_hi:[0,0,1]
	v_pk_mul_f32 v[78:79], v[106:107], v[90:91] op_sel:[1,1] op_sel_hi:[0,1]
	v_mov_b32_e32 v75, v85
	v_pk_fma_f32 v[84:85], v[104:105], v[88:89], v[76:77] op_sel_hi:[1,0,1]
	v_pk_add_f32 v[82:83], v[82:83], v[142:143]
	v_pk_fma_f32 v[76:77], v[104:105], v[88:89], v[76:77] neg_lo:[0,0,1] neg_hi:[0,0,1]
	v_pk_fma_f32 v[86:87], v[106:107], v[90:91], v[78:79] op_sel_hi:[1,0,1]
	v_pk_mul_f32 v[80:81], v[134:135], v[80:81] op_sel_hi:[1,0]
	v_mov_b32_e32 v77, v85
	v_pk_add_f32 v[74:75], v[82:83], v[74:75]
	s_wait_loadcnt 0x2
	v_pk_mul_f32 v[118:119], v[110:111], v[94:95] op_sel:[1,1] op_sel_hi:[0,1]
	v_mov_b32_e32 v82, v97
	v_pk_fma_f32 v[78:79], v[106:107], v[90:91], v[78:79] neg_lo:[0,0,1] neg_hi:[0,0,1]
	v_mov_b32_e32 v79, v87
	v_pk_fma_f32 v[84:85], v[108:109], v[92:93], v[80:81] op_sel_hi:[1,0,1]
	v_pk_add_f32 v[74:75], v[74:75], v[76:77]
	v_pk_fma_f32 v[76:77], v[110:111], v[94:95], v[118:119] op_sel_hi:[1,0,1]
	v_pk_mul_f32 v[82:83], v[136:137], v[82:83] op_sel_hi:[1,0]
	v_pk_fma_f32 v[80:81], v[108:109], v[92:93], v[80:81] neg_lo:[0,0,1] neg_hi:[0,0,1]
	v_mov_b32_e32 v81, v85
	v_pk_add_f32 v[74:75], v[74:75], v[78:79]
	v_pk_fma_f32 v[84:85], v[110:111], v[94:95], v[118:119] neg_lo:[0,0,1] neg_hi:[0,0,1]
	v_mov_b32_e32 v85, v77
	v_pk_fma_f32 v[76:77], v[112:113], v[96:97], v[82:83] op_sel_hi:[1,0,1]
	s_wait_loadcnt 0x1
	v_pk_mul_f32 v[78:79], v[114:115], v[98:99] op_sel:[1,1] op_sel_hi:[0,1]
	v_pk_add_f32 v[74:75], v[74:75], v[80:81]
	v_mov_b32_e32 v76, v101
	v_pk_fma_f32 v[82:83], v[112:113], v[96:97], v[82:83] neg_lo:[0,0,1] neg_hi:[0,0,1]
	v_mov_b32_e32 v83, v77
	v_pk_fma_f32 v[80:81], v[114:115], v[98:99], v[78:79] op_sel_hi:[1,0,1]
	v_pk_add_f32 v[74:75], v[74:75], v[84:85]
	v_pk_mul_f32 v[76:77], v[138:139], v[76:77] op_sel_hi:[1,0]
	v_pk_fma_f32 v[78:79], v[114:115], v[98:99], v[78:79] neg_lo:[0,0,1] neg_hi:[0,0,1]
	s_delay_alu instid0(VALU_DEP_4) | instskip(NEXT) | instid1(VALU_DEP_4)
	v_mov_b32_e32 v79, v81
	v_pk_add_f32 v[74:75], v[74:75], v[82:83]
	s_delay_alu instid0(VALU_DEP_4) | instskip(SKIP_1) | instid1(VALU_DEP_2)
	v_pk_fma_f32 v[80:81], v[116:117], v[100:101], v[76:77] op_sel_hi:[1,0,1]
	v_pk_fma_f32 v[76:77], v[116:117], v[100:101], v[76:77] neg_lo:[0,0,1] neg_hi:[0,0,1]
	v_mov_b32_e32 v77, v81
	s_delay_alu instid0(VALU_DEP_4) | instskip(NEXT) | instid1(VALU_DEP_1)
	v_pk_add_f32 v[74:75], v[74:75], v[78:79]
	v_pk_add_f32 v[74:75], v[74:75], v[76:77]
	s_wait_loadcnt 0x0
	s_delay_alu instid0(VALU_DEP_1)
	v_pk_add_f32 v[74:75], v[130:131], v[74:75] neg_lo:[0,1] neg_hi:[0,1]
	scratch_store_b64 off, v[74:75], off offset:168
	s_wait_xcnt 0x0
	v_cmpx_lt_u32_e32 20, v0
	s_cbranch_execz .LBB35_189
; %bb.188:
	scratch_load_b64 v[74:75], off, off offset:160
	v_mov_b64_e32 v[76:77], 0
	scratch_store_b64 off, v[76:77], off offset:160
	s_wait_loadcnt 0x0
	ds_store_b64 v1, v[74:75]
.LBB35_189:
	s_wait_xcnt 0x0
	s_or_b32 exec_lo, exec_lo, s0
	s_wait_storecnt_dscnt 0x0
	s_barrier_signal -1
	s_barrier_wait -1
	s_clause 0x8
	scratch_load_b128 v[74:77], off, off offset:168
	scratch_load_b128 v[78:81], off, off offset:184
	;; [unrolled: 1-line block ×7, first 2 shown]
	scratch_load_b64 v[130:131], off, off offset:280
	scratch_load_b64 v[132:133], off, off offset:160
	v_mov_b32_e32 v5, 0
	ds_load_2addr_b64 v[102:105], v5 offset0:63 offset1:64
	ds_load_2addr_b64 v[106:109], v5 offset0:65 offset1:66
	;; [unrolled: 1-line block ×7, first 2 shown]
	ds_load_b64 v[134:135], v5 offset:568
	s_mov_b32 s0, exec_lo
	s_wait_dscnt 0x7
	v_dual_mov_b32 v136, v105 :: v_dual_mov_b32 v137, v104
	s_wait_dscnt 0x4
	v_dual_mov_b32 v138, v109 :: v_dual_mov_b32 v143, v116
	v_dual_mov_b32 v139, v108 :: v_dual_mov_b32 v140, v113
	;; [unrolled: 1-line block ×3, first 2 shown]
	s_wait_loadcnt_dscnt 0x803
	v_dual_mul_f32 v7, v118, v75 :: v_dual_mul_f32 v19, v119, v75
	v_dual_mul_f32 v21, v121, v77 :: v_dual_mul_f32 v11, v120, v77
	s_wait_loadcnt_dscnt 0x702
	v_mul_f32_e32 v13, v122, v79
	s_wait_loadcnt 0x5
	v_dual_mul_f32 v31, v103, v87 :: v_dual_fma_f32 v19, v118, v74, -v19
	v_dual_fmac_f32 v7, v119, v74 :: v_dual_mov_b32 v74, v89
	v_dual_mul_f32 v23, v123, v79 :: v_dual_mul_f32 v25, v125, v81
	v_dual_fmac_f32 v11, v121, v76 :: v_dual_fma_f32 v21, v120, v76, -v21
	s_delay_alu instid0(VALU_DEP_3) | instskip(NEXT) | instid1(VALU_DEP_3)
	v_dual_add_f32 v7, 0, v7 :: v_dual_fmac_f32 v13, v123, v78
	v_dual_add_f32 v19, 0, v19 :: v_dual_fma_f32 v23, v122, v78, -v23
	s_wait_dscnt 0x1
	v_dual_mul_f32 v15, v124, v81 :: v_dual_mul_f32 v17, v126, v83
	s_wait_loadcnt 0x4
	v_dual_add_f32 v7, v7, v11 :: v_dual_mov_b32 v78, v93
	s_delay_alu instid0(VALU_DEP_2) | instskip(SKIP_1) | instid1(VALU_DEP_3)
	v_dual_add_f32 v11, v19, v21 :: v_dual_fmac_f32 v15, v125, v80
	v_dual_mul_f32 v27, v127, v83 :: v_dual_mul_f32 v29, v129, v85
	v_dual_fma_f32 v19, v124, v80, -v25 :: v_dual_add_f32 v7, v7, v13
	s_delay_alu instid0(VALU_DEP_2) | instskip(SKIP_2) | instid1(VALU_DEP_4)
	v_dual_add_f32 v11, v11, v23 :: v_dual_fma_f32 v13, v126, v82, -v27
	v_dual_mul_f32 v145, v128, v85 :: v_dual_mul_f32 v147, v102, v87
	v_fmac_f32_e32 v17, v127, v82
	v_add_f32_e32 v7, v7, v15
	s_delay_alu instid0(VALU_DEP_4)
	v_dual_add_f32 v11, v11, v19 :: v_dual_fma_f32 v144, v128, v84, -v29
	v_pk_mul_f32 v[74:75], v[136:137], v[74:75] op_sel_hi:[1,0]
	v_pk_mul_f32 v[78:79], v[138:139], v[78:79] op_sel_hi:[1,0]
	v_pk_mul_f32 v[76:77], v[106:107], v[90:91] op_sel:[1,1] op_sel_hi:[0,1]
	v_fmac_f32_e32 v145, v129, v84
	s_wait_loadcnt 0x3
	v_dual_mov_b32 v84, v97 :: v_dual_add_f32 v83, v7, v17
	v_fma_f32 v146, v102, v86, -v31
	v_fmac_f32_e32 v147, v103, v86
	v_pk_fma_f32 v[86:87], v[104:105], v[88:89], v[74:75] op_sel_hi:[1,0,1]
	v_pk_fma_f32 v[74:75], v[104:105], v[88:89], v[74:75] neg_lo:[0,0,1] neg_hi:[0,0,1]
	v_pk_fma_f32 v[88:89], v[108:109], v[92:93], v[78:79] op_sel_hi:[1,0,1]
	v_add_f32_e32 v82, v11, v13
	v_pk_fma_f32 v[78:79], v[108:109], v[92:93], v[78:79] neg_lo:[0,0,1] neg_hi:[0,0,1]
	v_pk_fma_f32 v[102:103], v[106:107], v[90:91], v[76:77] op_sel_hi:[1,0,1]
	v_pk_fma_f32 v[76:77], v[106:107], v[90:91], v[76:77] neg_lo:[0,0,1] neg_hi:[0,0,1]
	v_mov_b32_e32 v79, v89
	v_pk_add_f32 v[82:83], v[82:83], v[144:145]
	s_delay_alu instid0(VALU_DEP_4) | instskip(SKIP_2) | instid1(VALU_DEP_4)
	v_dual_mov_b32 v75, v87 :: v_dual_mov_b32 v77, v103
	v_pk_mul_f32 v[80:81], v[110:111], v[94:95] op_sel:[1,1] op_sel_hi:[0,1]
	v_pk_mul_f32 v[84:85], v[140:141], v[84:85] op_sel_hi:[1,0]
	v_pk_add_f32 v[82:83], v[82:83], v[146:147]
	s_wait_loadcnt 0x2
	v_pk_mul_f32 v[86:87], v[114:115], v[98:99] op_sel:[1,1] op_sel_hi:[0,1]
	s_delay_alu instid0(VALU_DEP_2) | instskip(SKIP_2) | instid1(VALU_DEP_3)
	v_pk_add_f32 v[74:75], v[82:83], v[74:75]
	v_pk_fma_f32 v[82:83], v[110:111], v[94:95], v[80:81] op_sel_hi:[1,0,1]
	v_pk_fma_f32 v[80:81], v[110:111], v[94:95], v[80:81] neg_lo:[0,0,1] neg_hi:[0,0,1]
	v_pk_add_f32 v[74:75], v[74:75], v[76:77]
	s_delay_alu instid0(VALU_DEP_3) | instskip(SKIP_2) | instid1(VALU_DEP_4)
	v_dual_mov_b32 v76, v101 :: v_dual_mov_b32 v81, v83
	v_pk_fma_f32 v[82:83], v[112:113], v[96:97], v[84:85] op_sel_hi:[1,0,1]
	v_pk_fma_f32 v[84:85], v[112:113], v[96:97], v[84:85] neg_lo:[0,0,1] neg_hi:[0,0,1]
	v_pk_add_f32 v[74:75], v[74:75], v[78:79]
	v_pk_fma_f32 v[78:79], v[114:115], v[98:99], v[86:87] op_sel_hi:[1,0,1]
	v_pk_mul_f32 v[76:77], v[142:143], v[76:77] op_sel_hi:[1,0]
	v_mov_b32_e32 v85, v83
	s_wait_loadcnt_dscnt 0x100
	v_pk_mul_f32 v[82:83], v[134:135], v[130:131] op_sel:[1,1] op_sel_hi:[0,1]
	v_pk_add_f32 v[74:75], v[74:75], v[80:81]
	v_pk_fma_f32 v[80:81], v[114:115], v[98:99], v[86:87] neg_lo:[0,0,1] neg_hi:[0,0,1]
	v_mov_b32_e32 v81, v79
	v_pk_fma_f32 v[78:79], v[116:117], v[100:101], v[76:77] op_sel_hi:[1,0,1]
	v_pk_fma_f32 v[76:77], v[116:117], v[100:101], v[76:77] neg_lo:[0,0,1] neg_hi:[0,0,1]
	v_pk_add_f32 v[74:75], v[74:75], v[84:85]
	s_delay_alu instid0(VALU_DEP_3) | instskip(SKIP_1) | instid1(VALU_DEP_3)
	v_mov_b32_e32 v77, v79
	v_pk_fma_f32 v[78:79], v[134:135], v[130:131], v[82:83] op_sel_hi:[1,0,1]
	v_pk_add_f32 v[74:75], v[74:75], v[80:81]
	v_pk_fma_f32 v[80:81], v[134:135], v[130:131], v[82:83] neg_lo:[0,0,1] neg_hi:[0,0,1]
	s_delay_alu instid0(VALU_DEP_3) | instskip(NEXT) | instid1(VALU_DEP_3)
	v_mov_b32_e32 v81, v79
	v_pk_add_f32 v[74:75], v[74:75], v[76:77]
	s_delay_alu instid0(VALU_DEP_1) | instskip(SKIP_1) | instid1(VALU_DEP_1)
	v_pk_add_f32 v[74:75], v[74:75], v[80:81]
	s_wait_loadcnt 0x0
	v_pk_add_f32 v[74:75], v[132:133], v[74:75] neg_lo:[0,1] neg_hi:[0,1]
	scratch_store_b64 off, v[74:75], off offset:160
	s_wait_xcnt 0x0
	v_cmpx_lt_u32_e32 19, v0
	s_cbranch_execz .LBB35_191
; %bb.190:
	scratch_load_b64 v[74:75], off, off offset:152
	v_mov_b64_e32 v[76:77], 0
	scratch_store_b64 off, v[76:77], off offset:152
	s_wait_loadcnt 0x0
	ds_store_b64 v1, v[74:75]
.LBB35_191:
	s_wait_xcnt 0x0
	s_or_b32 exec_lo, exec_lo, s0
	s_wait_storecnt_dscnt 0x0
	s_barrier_signal -1
	s_barrier_wait -1
	s_clause 0x8
	scratch_load_b128 v[74:77], off, off offset:160
	scratch_load_b128 v[78:81], off, off offset:176
	;; [unrolled: 1-line block ×8, first 2 shown]
	scratch_load_b64 v[138:139], off, off offset:152
	ds_load_b128 v[106:109], v5 offset:512
	ds_load_b128 v[110:113], v5 offset:528
	;; [unrolled: 1-line block ×8, first 2 shown]
	s_mov_b32 s0, exec_lo
	s_wait_dscnt 0x7
	v_dual_mov_b32 v140, v109 :: v_dual_mov_b32 v141, v108
	s_wait_dscnt 0x6
	v_dual_mov_b32 v142, v113 :: v_dual_mov_b32 v143, v112
	;; [unrolled: 2-line block ×4, first 2 shown]
	s_wait_loadcnt_dscnt 0x803
	v_dual_mul_f32 v5, v122, v75 :: v_dual_mul_f32 v7, v124, v77
	v_dual_mul_f32 v19, v123, v75 :: v_dual_mul_f32 v21, v125, v77
	s_wait_loadcnt_dscnt 0x702
	v_dual_mul_f32 v11, v126, v79 :: v_dual_mul_f32 v13, v128, v81
	s_delay_alu instid0(VALU_DEP_2) | instskip(SKIP_3) | instid1(VALU_DEP_3)
	v_dual_fmac_f32 v5, v123, v74 :: v_dual_fma_f32 v19, v122, v74, -v19
	v_dual_mul_f32 v23, v127, v79 :: v_dual_mul_f32 v25, v129, v81
	s_wait_loadcnt_dscnt 0x500
	v_dual_mul_f32 v31, v135, v87 :: v_dual_fmac_f32 v7, v125, v76
	v_dual_fma_f32 v21, v124, v76, -v21 :: v_dual_add_f32 v5, 0, v5
	v_dual_add_f32 v19, 0, v19 :: v_dual_mul_f32 v33, v137, v89
	v_fmac_f32_e32 v11, v127, v78
	s_delay_alu instid0(VALU_DEP_3) | instskip(NEXT) | instid1(VALU_DEP_3)
	v_dual_fma_f32 v23, v126, v78, -v23 :: v_dual_add_f32 v5, v5, v7
	v_dual_add_f32 v7, v19, v21 :: v_dual_mul_f32 v15, v130, v83
	v_dual_mul_f32 v17, v132, v85 :: v_dual_mul_f32 v27, v131, v83
	v_mul_f32_e32 v29, v133, v85
	s_delay_alu instid0(VALU_DEP_3) | instskip(SKIP_3) | instid1(VALU_DEP_2)
	v_dual_fmac_f32 v13, v129, v80 :: v_dual_add_f32 v7, v7, v23
	v_dual_fma_f32 v19, v128, v80, -v25 :: v_dual_add_f32 v5, v5, v11
	s_wait_loadcnt 0x4
	v_dual_mov_b32 v76, v93 :: v_dual_fmac_f32 v15, v131, v82
	v_dual_fma_f32 v11, v130, v82, -v27 :: v_dual_add_f32 v7, v7, v19
	v_fmac_f32_e32 v17, v133, v84
	v_dual_add_f32 v5, v5, v13 :: v_dual_mul_f32 v149, v134, v87
	v_mul_f32_e32 v151, v136, v89
	s_delay_alu instid0(VALU_DEP_4)
	v_dual_fma_f32 v13, v132, v84, -v29 :: v_dual_add_f32 v7, v7, v11
	s_wait_loadcnt 0x3
	v_mov_b32_e32 v80, v97
	v_add_f32_e32 v5, v5, v15
	v_pk_mul_f32 v[74:75], v[106:107], v[90:91] op_sel:[1,1] op_sel_hi:[0,1]
	v_dual_fmac_f32 v149, v135, v86 :: v_dual_fma_f32 v148, v134, v86, -v31
	v_dual_add_f32 v82, v7, v13 :: v_dual_fmac_f32 v151, v137, v88
	s_delay_alu instid0(VALU_DEP_4) | instskip(NEXT) | instid1(VALU_DEP_4)
	v_dual_add_f32 v83, v5, v17 :: v_dual_fma_f32 v150, v136, v88, -v33
	v_pk_fma_f32 v[84:85], v[106:107], v[90:91], v[74:75] op_sel_hi:[1,0,1]
	v_pk_mul_f32 v[76:77], v[140:141], v[76:77] op_sel_hi:[1,0]
	v_pk_fma_f32 v[74:75], v[106:107], v[90:91], v[74:75] neg_lo:[0,0,1] neg_hi:[0,0,1]
	s_delay_alu instid0(VALU_DEP_4)
	v_pk_add_f32 v[82:83], v[82:83], v[148:149]
	v_pk_mul_f32 v[78:79], v[110:111], v[94:95] op_sel:[1,1] op_sel_hi:[0,1]
	v_mov_b32_e32 v75, v85
	v_pk_fma_f32 v[84:85], v[108:109], v[92:93], v[76:77] op_sel_hi:[1,0,1]
	v_pk_fma_f32 v[76:77], v[108:109], v[92:93], v[76:77] neg_lo:[0,0,1] neg_hi:[0,0,1]
	v_pk_add_f32 v[82:83], v[82:83], v[150:151]
	v_pk_fma_f32 v[88:89], v[110:111], v[94:95], v[78:79] op_sel_hi:[1,0,1]
	v_pk_mul_f32 v[80:81], v[142:143], v[80:81] op_sel_hi:[1,0]
	v_mov_b32_e32 v77, v85
	s_wait_loadcnt 0x2
	v_pk_mul_f32 v[86:87], v[114:115], v[98:99] op_sel:[1,1] op_sel_hi:[0,1]
	v_pk_add_f32 v[74:75], v[82:83], v[74:75]
	v_mov_b32_e32 v82, v101
	v_pk_fma_f32 v[78:79], v[110:111], v[94:95], v[78:79] neg_lo:[0,0,1] neg_hi:[0,0,1]
	v_mov_b32_e32 v79, v89
	v_pk_fma_f32 v[84:85], v[112:113], v[96:97], v[80:81] op_sel_hi:[1,0,1]
	v_pk_add_f32 v[74:75], v[74:75], v[76:77]
	v_pk_fma_f32 v[76:77], v[114:115], v[98:99], v[86:87] op_sel_hi:[1,0,1]
	v_pk_mul_f32 v[82:83], v[144:145], v[82:83] op_sel_hi:[1,0]
	v_pk_fma_f32 v[80:81], v[112:113], v[96:97], v[80:81] neg_lo:[0,0,1] neg_hi:[0,0,1]
	v_mov_b32_e32 v81, v85
	v_pk_add_f32 v[74:75], v[74:75], v[78:79]
	v_pk_fma_f32 v[84:85], v[114:115], v[98:99], v[86:87] neg_lo:[0,0,1] neg_hi:[0,0,1]
	v_mov_b32_e32 v85, v77
	v_pk_fma_f32 v[76:77], v[116:117], v[100:101], v[82:83] op_sel_hi:[1,0,1]
	s_wait_loadcnt 0x1
	v_pk_mul_f32 v[78:79], v[118:119], v[102:103] op_sel:[1,1] op_sel_hi:[0,1]
	v_pk_add_f32 v[74:75], v[74:75], v[80:81]
	v_mov_b32_e32 v76, v105
	v_pk_fma_f32 v[82:83], v[116:117], v[100:101], v[82:83] neg_lo:[0,0,1] neg_hi:[0,0,1]
	v_mov_b32_e32 v83, v77
	v_pk_fma_f32 v[80:81], v[118:119], v[102:103], v[78:79] op_sel_hi:[1,0,1]
	v_pk_add_f32 v[74:75], v[74:75], v[84:85]
	v_pk_mul_f32 v[76:77], v[146:147], v[76:77] op_sel_hi:[1,0]
	v_pk_fma_f32 v[78:79], v[118:119], v[102:103], v[78:79] neg_lo:[0,0,1] neg_hi:[0,0,1]
	s_delay_alu instid0(VALU_DEP_4) | instskip(NEXT) | instid1(VALU_DEP_4)
	v_mov_b32_e32 v79, v81
	v_pk_add_f32 v[74:75], v[74:75], v[82:83]
	s_delay_alu instid0(VALU_DEP_4) | instskip(SKIP_1) | instid1(VALU_DEP_2)
	v_pk_fma_f32 v[80:81], v[120:121], v[104:105], v[76:77] op_sel_hi:[1,0,1]
	v_pk_fma_f32 v[76:77], v[120:121], v[104:105], v[76:77] neg_lo:[0,0,1] neg_hi:[0,0,1]
	v_mov_b32_e32 v77, v81
	s_delay_alu instid0(VALU_DEP_4) | instskip(NEXT) | instid1(VALU_DEP_1)
	v_pk_add_f32 v[74:75], v[74:75], v[78:79]
	v_pk_add_f32 v[74:75], v[74:75], v[76:77]
	s_wait_loadcnt 0x0
	s_delay_alu instid0(VALU_DEP_1)
	v_pk_add_f32 v[74:75], v[138:139], v[74:75] neg_lo:[0,1] neg_hi:[0,1]
	scratch_store_b64 off, v[74:75], off offset:152
	s_wait_xcnt 0x0
	v_cmpx_lt_u32_e32 18, v0
	s_cbranch_execz .LBB35_193
; %bb.192:
	scratch_load_b64 v[74:75], off, off offset:144
	v_mov_b64_e32 v[76:77], 0
	scratch_store_b64 off, v[76:77], off offset:144
	s_wait_loadcnt 0x0
	ds_store_b64 v1, v[74:75]
.LBB35_193:
	s_wait_xcnt 0x0
	s_or_b32 exec_lo, exec_lo, s0
	s_wait_storecnt_dscnt 0x0
	s_barrier_signal -1
	s_barrier_wait -1
	s_clause 0x9
	scratch_load_b128 v[74:77], off, off offset:152
	scratch_load_b128 v[78:81], off, off offset:168
	;; [unrolled: 1-line block ×8, first 2 shown]
	scratch_load_b64 v[138:139], off, off offset:280
	scratch_load_b64 v[140:141], off, off offset:144
	v_mov_b32_e32 v5, 0
	ds_load_2addr_b64 v[106:109], v5 offset0:63 offset1:64
	ds_load_2addr_b64 v[110:113], v5 offset0:65 offset1:66
	;; [unrolled: 1-line block ×8, first 2 shown]
	ds_load_b64 v[142:143], v5 offset:568
	s_mov_b32 s0, exec_lo
	s_wait_dscnt 0x7
	v_dual_mov_b32 v145, v108 :: v_dual_mov_b32 v146, v113
	s_wait_dscnt 0x6
	v_dual_mov_b32 v147, v112 :: v_dual_mov_b32 v148, v117
	;; [unrolled: 2-line block ×3, first 2 shown]
	v_dual_mov_b32 v149, v116 :: v_dual_mov_b32 v150, v121
	s_wait_loadcnt_dscnt 0x904
	v_dual_mul_f32 v7, v122, v75 :: v_dual_mul_f32 v23, v123, v75
	v_dual_mul_f32 v25, v125, v77 :: v_dual_mul_f32 v11, v124, v77
	s_wait_loadcnt_dscnt 0x803
	v_mul_f32_e32 v13, v126, v79
	s_wait_loadcnt_dscnt 0x601
	v_dual_mul_f32 v35, v135, v87 :: v_dual_fma_f32 v23, v122, v74, -v23
	v_dual_fmac_f32 v7, v123, v74 :: v_dual_mul_f32 v37, v137, v89
	v_dual_mul_f32 v27, v127, v79 :: v_dual_mul_f32 v29, v129, v81
	v_dual_fmac_f32 v11, v125, v76 :: v_dual_fma_f32 v25, v124, v76, -v25
	s_delay_alu instid0(VALU_DEP_3) | instskip(NEXT) | instid1(VALU_DEP_3)
	v_dual_add_f32 v7, 0, v7 :: v_dual_fmac_f32 v13, v127, v78
	v_dual_add_f32 v23, 0, v23 :: v_dual_fma_f32 v27, v126, v78, -v27
	v_dual_mul_f32 v15, v128, v81 :: v_dual_mul_f32 v17, v130, v83
	s_delay_alu instid0(VALU_DEP_3) | instskip(NEXT) | instid1(VALU_DEP_3)
	v_add_f32_e32 v7, v7, v11
	v_dual_add_f32 v11, v23, v25 :: v_dual_fma_f32 v23, v128, v80, -v29
	v_dual_mul_f32 v31, v131, v83 :: v_dual_mul_f32 v33, v133, v85
	s_delay_alu instid0(VALU_DEP_3) | instskip(SKIP_1) | instid1(VALU_DEP_3)
	v_dual_fmac_f32 v15, v129, v80 :: v_dual_add_f32 v7, v7, v13
	s_wait_loadcnt 0x4
	v_dual_add_f32 v11, v11, v27 :: v_dual_mov_b32 v78, v97
	v_dual_mul_f32 v19, v132, v85 :: v_dual_mul_f32 v21, v134, v87
	v_dual_fmac_f32 v17, v131, v82 :: v_dual_fma_f32 v13, v130, v82, -v31
	v_dual_add_f32 v7, v7, v15 :: v_dual_fma_f32 v15, v132, v84, -v33
	s_delay_alu instid0(VALU_DEP_4) | instskip(SKIP_2) | instid1(VALU_DEP_4)
	v_dual_add_f32 v11, v11, v23 :: v_dual_mul_f32 v153, v136, v89
	v_mul_f32_e32 v155, v106, v91
	v_pk_mul_f32 v[76:77], v[110:111], v[94:95] op_sel:[1,1] op_sel_hi:[0,1]
	v_dual_fmac_f32 v19, v133, v84 :: v_dual_add_f32 v7, v7, v17
	s_delay_alu instid0(VALU_DEP_4) | instskip(SKIP_4) | instid1(VALU_DEP_3)
	v_dual_fmac_f32 v153, v137, v88 :: v_dual_add_f32 v11, v11, v13
	v_dual_fma_f32 v152, v136, v88, -v37 :: v_dual_mul_f32 v39, v107, v91
	v_dual_mov_b32 v74, v93 :: v_dual_fmac_f32 v21, v135, v86
	s_wait_loadcnt 0x3
	v_dual_mov_b32 v84, v101 :: v_dual_fma_f32 v13, v134, v86, -v35
	v_dual_add_f32 v7, v7, v19 :: v_dual_fma_f32 v154, v106, v90, -v39
	v_pk_fma_f32 v[88:89], v[110:111], v[94:95], v[76:77] op_sel_hi:[1,0,1]
	v_add_f32_e32 v11, v11, v15
	v_pk_mul_f32 v[78:79], v[146:147], v[78:79] op_sel_hi:[1,0]
	v_pk_fma_f32 v[76:77], v[110:111], v[94:95], v[76:77] neg_lo:[0,0,1] neg_hi:[0,0,1]
	v_pk_mul_f32 v[74:75], v[144:145], v[74:75] op_sel_hi:[1,0]
	s_delay_alu instid0(VALU_DEP_4) | instskip(NEXT) | instid1(VALU_DEP_4)
	v_dual_mov_b32 v77, v89 :: v_dual_add_f32 v82, v11, v13
	v_pk_fma_f32 v[88:89], v[112:113], v[96:97], v[78:79] op_sel_hi:[1,0,1]
	v_add_f32_e32 v83, v7, v21
	v_pk_fma_f32 v[78:79], v[112:113], v[96:97], v[78:79] neg_lo:[0,0,1] neg_hi:[0,0,1]
	v_fmac_f32_e32 v155, v107, v90
	v_pk_fma_f32 v[86:87], v[108:109], v[92:93], v[74:75] op_sel_hi:[1,0,1]
	v_mov_b32_e32 v79, v89
	v_pk_add_f32 v[82:83], v[82:83], v[152:153]
	v_pk_fma_f32 v[74:75], v[108:109], v[92:93], v[74:75] neg_lo:[0,0,1] neg_hi:[0,0,1]
	v_pk_mul_f32 v[80:81], v[114:115], v[98:99] op_sel:[1,1] op_sel_hi:[0,1]
	v_mov_b32_e32 v75, v87
	v_pk_mul_f32 v[84:85], v[148:149], v[84:85] op_sel_hi:[1,0]
	v_pk_add_f32 v[82:83], v[82:83], v[154:155]
	s_wait_loadcnt 0x2
	v_pk_mul_f32 v[86:87], v[118:119], v[102:103] op_sel:[1,1] op_sel_hi:[0,1]
	s_delay_alu instid0(VALU_DEP_2) | instskip(SKIP_2) | instid1(VALU_DEP_3)
	v_pk_add_f32 v[74:75], v[82:83], v[74:75]
	v_pk_fma_f32 v[82:83], v[114:115], v[98:99], v[80:81] op_sel_hi:[1,0,1]
	v_pk_fma_f32 v[80:81], v[114:115], v[98:99], v[80:81] neg_lo:[0,0,1] neg_hi:[0,0,1]
	v_pk_add_f32 v[74:75], v[74:75], v[76:77]
	s_delay_alu instid0(VALU_DEP_3) | instskip(SKIP_2) | instid1(VALU_DEP_4)
	v_dual_mov_b32 v76, v105 :: v_dual_mov_b32 v81, v83
	v_pk_fma_f32 v[82:83], v[116:117], v[100:101], v[84:85] op_sel_hi:[1,0,1]
	v_pk_fma_f32 v[84:85], v[116:117], v[100:101], v[84:85] neg_lo:[0,0,1] neg_hi:[0,0,1]
	v_pk_add_f32 v[74:75], v[74:75], v[78:79]
	v_pk_fma_f32 v[78:79], v[118:119], v[102:103], v[86:87] op_sel_hi:[1,0,1]
	v_pk_mul_f32 v[76:77], v[150:151], v[76:77] op_sel_hi:[1,0]
	v_mov_b32_e32 v85, v83
	s_wait_loadcnt_dscnt 0x100
	v_pk_mul_f32 v[82:83], v[142:143], v[138:139] op_sel:[1,1] op_sel_hi:[0,1]
	v_pk_add_f32 v[74:75], v[74:75], v[80:81]
	v_pk_fma_f32 v[80:81], v[118:119], v[102:103], v[86:87] neg_lo:[0,0,1] neg_hi:[0,0,1]
	v_mov_b32_e32 v81, v79
	v_pk_fma_f32 v[78:79], v[120:121], v[104:105], v[76:77] op_sel_hi:[1,0,1]
	v_pk_fma_f32 v[76:77], v[120:121], v[104:105], v[76:77] neg_lo:[0,0,1] neg_hi:[0,0,1]
	v_pk_add_f32 v[74:75], v[74:75], v[84:85]
	s_delay_alu instid0(VALU_DEP_3) | instskip(SKIP_1) | instid1(VALU_DEP_3)
	v_mov_b32_e32 v77, v79
	v_pk_fma_f32 v[78:79], v[142:143], v[138:139], v[82:83] op_sel_hi:[1,0,1]
	v_pk_add_f32 v[74:75], v[74:75], v[80:81]
	v_pk_fma_f32 v[80:81], v[142:143], v[138:139], v[82:83] neg_lo:[0,0,1] neg_hi:[0,0,1]
	s_delay_alu instid0(VALU_DEP_3) | instskip(NEXT) | instid1(VALU_DEP_3)
	v_mov_b32_e32 v81, v79
	v_pk_add_f32 v[74:75], v[74:75], v[76:77]
	s_delay_alu instid0(VALU_DEP_1) | instskip(SKIP_1) | instid1(VALU_DEP_1)
	v_pk_add_f32 v[74:75], v[74:75], v[80:81]
	s_wait_loadcnt 0x0
	v_pk_add_f32 v[74:75], v[140:141], v[74:75] neg_lo:[0,1] neg_hi:[0,1]
	scratch_store_b64 off, v[74:75], off offset:144
	s_wait_xcnt 0x0
	v_cmpx_lt_u32_e32 17, v0
	s_cbranch_execz .LBB35_195
; %bb.194:
	scratch_load_b64 v[74:75], off, off offset:136
	v_mov_b64_e32 v[76:77], 0
	scratch_store_b64 off, v[76:77], off offset:136
	s_wait_loadcnt 0x0
	ds_store_b64 v1, v[74:75]
.LBB35_195:
	s_wait_xcnt 0x0
	s_or_b32 exec_lo, exec_lo, s0
	s_wait_storecnt_dscnt 0x0
	s_barrier_signal -1
	s_barrier_wait -1
	s_clause 0x9
	scratch_load_b128 v[74:77], off, off offset:144
	scratch_load_b128 v[78:81], off, off offset:160
	;; [unrolled: 1-line block ×9, first 2 shown]
	scratch_load_b64 v[146:147], off, off offset:136
	ds_load_b128 v[110:113], v5 offset:512
	ds_load_b128 v[114:117], v5 offset:528
	;; [unrolled: 1-line block ×9, first 2 shown]
	s_mov_b32 s0, exec_lo
	s_wait_dscnt 0x8
	v_dual_mov_b32 v148, v113 :: v_dual_mov_b32 v149, v112
	s_wait_dscnt 0x7
	v_dual_mov_b32 v150, v117 :: v_dual_mov_b32 v151, v116
	s_wait_dscnt 0x6
	v_dual_mov_b32 v152, v121 :: v_dual_mov_b32 v153, v120
	s_wait_dscnt 0x5
	v_dual_mov_b32 v154, v125 :: v_dual_mov_b32 v155, v124
	s_wait_loadcnt_dscnt 0x904
	v_dual_mul_f32 v5, v126, v75 :: v_dual_mul_f32 v7, v128, v77
	v_dual_mul_f32 v23, v127, v75 :: v_dual_mul_f32 v25, v129, v77
	s_wait_loadcnt_dscnt 0x803
	v_dual_mul_f32 v11, v130, v79 :: v_dual_mul_f32 v13, v132, v81
	s_delay_alu instid0(VALU_DEP_2) | instskip(SKIP_3) | instid1(VALU_DEP_3)
	v_dual_fmac_f32 v5, v127, v74 :: v_dual_fma_f32 v23, v126, v74, -v23
	v_dual_mul_f32 v27, v131, v79 :: v_dual_mul_f32 v29, v133, v81
	s_wait_loadcnt_dscnt 0x601
	v_dual_mul_f32 v35, v139, v87 :: v_dual_fmac_f32 v7, v129, v76
	v_dual_fma_f32 v25, v128, v76, -v25 :: v_dual_add_f32 v5, 0, v5
	v_dual_add_f32 v23, 0, v23 :: v_dual_mul_f32 v37, v141, v89
	v_fmac_f32_e32 v11, v131, v78
	s_delay_alu instid0(VALU_DEP_3) | instskip(NEXT) | instid1(VALU_DEP_3)
	v_dual_fma_f32 v27, v130, v78, -v27 :: v_dual_add_f32 v5, v5, v7
	v_dual_add_f32 v7, v23, v25 :: v_dual_mul_f32 v15, v134, v83
	v_dual_mul_f32 v17, v136, v85 :: v_dual_mul_f32 v31, v135, v83
	s_wait_loadcnt_dscnt 0x500
	v_dual_mul_f32 v33, v137, v85 :: v_dual_mul_f32 v23, v143, v91
	v_fmac_f32_e32 v13, v133, v80
	v_dual_fma_f32 v25, v132, v80, -v29 :: v_dual_add_f32 v5, v5, v11
	v_dual_add_f32 v7, v7, v27 :: v_dual_mul_f32 v11, v145, v93
	v_fmac_f32_e32 v15, v135, v82
	s_delay_alu instid0(VALU_DEP_3) | instskip(NEXT) | instid1(VALU_DEP_3)
	v_dual_fma_f32 v27, v134, v82, -v31 :: v_dual_add_f32 v5, v5, v13
	v_dual_add_f32 v7, v7, v25 :: v_dual_mul_f32 v19, v138, v87
	v_dual_mul_f32 v21, v140, v89 :: v_dual_fmac_f32 v17, v137, v84
	s_delay_alu instid0(VALU_DEP_3) | instskip(SKIP_1) | instid1(VALU_DEP_3)
	v_dual_fma_f32 v13, v136, v84, -v33 :: v_dual_add_f32 v5, v5, v15
	s_wait_loadcnt 0x4
	v_dual_add_f32 v7, v7, v27 :: v_dual_mov_b32 v76, v97
	v_fmac_f32_e32 v19, v139, v86
	s_delay_alu instid0(VALU_DEP_3) | instskip(NEXT) | instid1(VALU_DEP_3)
	v_dual_fma_f32 v15, v138, v86, -v35 :: v_dual_add_f32 v5, v5, v17
	v_dual_add_f32 v7, v7, v13 :: v_dual_fmac_f32 v21, v141, v88
	v_dual_mul_f32 v157, v142, v91 :: v_dual_mul_f32 v159, v144, v93
	s_delay_alu instid0(VALU_DEP_3) | instskip(SKIP_1) | instid1(VALU_DEP_3)
	v_dual_fma_f32 v13, v140, v88, -v37 :: v_dual_add_f32 v5, v5, v19
	s_wait_loadcnt 0x3
	v_dual_add_f32 v7, v7, v15 :: v_dual_mov_b32 v80, v101
	v_pk_mul_f32 v[74:75], v[110:111], v[94:95] op_sel:[1,1] op_sel_hi:[0,1]
	v_dual_fmac_f32 v157, v143, v90 :: v_dual_fma_f32 v156, v142, v90, -v23
	v_dual_add_f32 v83, v5, v21 :: v_dual_fma_f32 v158, v144, v92, -v11
	s_delay_alu instid0(VALU_DEP_4) | instskip(NEXT) | instid1(VALU_DEP_4)
	v_dual_add_f32 v82, v7, v13 :: v_dual_fmac_f32 v159, v145, v92
	v_pk_fma_f32 v[84:85], v[110:111], v[94:95], v[74:75] op_sel_hi:[1,0,1]
	v_pk_mul_f32 v[76:77], v[148:149], v[76:77] op_sel_hi:[1,0]
	v_pk_fma_f32 v[74:75], v[110:111], v[94:95], v[74:75] neg_lo:[0,0,1] neg_hi:[0,0,1]
	s_delay_alu instid0(VALU_DEP_4)
	v_pk_add_f32 v[82:83], v[82:83], v[156:157]
	v_pk_mul_f32 v[78:79], v[114:115], v[98:99] op_sel:[1,1] op_sel_hi:[0,1]
	v_mov_b32_e32 v75, v85
	v_pk_fma_f32 v[84:85], v[112:113], v[96:97], v[76:77] op_sel_hi:[1,0,1]
	v_pk_fma_f32 v[76:77], v[112:113], v[96:97], v[76:77] neg_lo:[0,0,1] neg_hi:[0,0,1]
	v_pk_add_f32 v[82:83], v[82:83], v[158:159]
	v_pk_fma_f32 v[88:89], v[114:115], v[98:99], v[78:79] op_sel_hi:[1,0,1]
	v_pk_mul_f32 v[80:81], v[150:151], v[80:81] op_sel_hi:[1,0]
	v_mov_b32_e32 v77, v85
	s_wait_loadcnt 0x2
	v_pk_mul_f32 v[86:87], v[118:119], v[102:103] op_sel:[1,1] op_sel_hi:[0,1]
	v_pk_add_f32 v[74:75], v[82:83], v[74:75]
	v_mov_b32_e32 v82, v105
	v_pk_fma_f32 v[78:79], v[114:115], v[98:99], v[78:79] neg_lo:[0,0,1] neg_hi:[0,0,1]
	v_mov_b32_e32 v79, v89
	v_pk_fma_f32 v[84:85], v[116:117], v[100:101], v[80:81] op_sel_hi:[1,0,1]
	v_pk_add_f32 v[74:75], v[74:75], v[76:77]
	v_pk_fma_f32 v[76:77], v[118:119], v[102:103], v[86:87] op_sel_hi:[1,0,1]
	v_pk_mul_f32 v[82:83], v[152:153], v[82:83] op_sel_hi:[1,0]
	v_pk_fma_f32 v[80:81], v[116:117], v[100:101], v[80:81] neg_lo:[0,0,1] neg_hi:[0,0,1]
	v_mov_b32_e32 v81, v85
	v_pk_add_f32 v[74:75], v[74:75], v[78:79]
	v_pk_fma_f32 v[84:85], v[118:119], v[102:103], v[86:87] neg_lo:[0,0,1] neg_hi:[0,0,1]
	v_mov_b32_e32 v85, v77
	v_pk_fma_f32 v[76:77], v[120:121], v[104:105], v[82:83] op_sel_hi:[1,0,1]
	s_wait_loadcnt 0x1
	v_pk_mul_f32 v[78:79], v[122:123], v[106:107] op_sel:[1,1] op_sel_hi:[0,1]
	v_pk_add_f32 v[74:75], v[74:75], v[80:81]
	v_mov_b32_e32 v76, v109
	v_pk_fma_f32 v[82:83], v[120:121], v[104:105], v[82:83] neg_lo:[0,0,1] neg_hi:[0,0,1]
	v_mov_b32_e32 v83, v77
	v_pk_fma_f32 v[80:81], v[122:123], v[106:107], v[78:79] op_sel_hi:[1,0,1]
	v_pk_add_f32 v[74:75], v[74:75], v[84:85]
	v_pk_mul_f32 v[76:77], v[154:155], v[76:77] op_sel_hi:[1,0]
	v_pk_fma_f32 v[78:79], v[122:123], v[106:107], v[78:79] neg_lo:[0,0,1] neg_hi:[0,0,1]
	s_delay_alu instid0(VALU_DEP_4) | instskip(NEXT) | instid1(VALU_DEP_4)
	v_mov_b32_e32 v79, v81
	v_pk_add_f32 v[74:75], v[74:75], v[82:83]
	s_delay_alu instid0(VALU_DEP_4) | instskip(SKIP_1) | instid1(VALU_DEP_2)
	v_pk_fma_f32 v[80:81], v[124:125], v[108:109], v[76:77] op_sel_hi:[1,0,1]
	v_pk_fma_f32 v[76:77], v[124:125], v[108:109], v[76:77] neg_lo:[0,0,1] neg_hi:[0,0,1]
	v_mov_b32_e32 v77, v81
	s_delay_alu instid0(VALU_DEP_4) | instskip(NEXT) | instid1(VALU_DEP_1)
	v_pk_add_f32 v[74:75], v[74:75], v[78:79]
	v_pk_add_f32 v[74:75], v[74:75], v[76:77]
	s_wait_loadcnt 0x0
	s_delay_alu instid0(VALU_DEP_1)
	v_pk_add_f32 v[74:75], v[146:147], v[74:75] neg_lo:[0,1] neg_hi:[0,1]
	scratch_store_b64 off, v[74:75], off offset:136
	s_wait_xcnt 0x0
	v_cmpx_lt_u32_e32 16, v0
	s_cbranch_execz .LBB35_197
; %bb.196:
	scratch_load_b64 v[74:75], off, off offset:128
	v_mov_b64_e32 v[76:77], 0
	scratch_store_b64 off, v[76:77], off offset:128
	s_wait_loadcnt 0x0
	ds_store_b64 v1, v[74:75]
.LBB35_197:
	s_wait_xcnt 0x0
	s_or_b32 exec_lo, exec_lo, s0
	s_wait_storecnt_dscnt 0x0
	s_barrier_signal -1
	s_barrier_wait -1
	s_clause 0xa
	scratch_load_b128 v[74:77], off, off offset:136
	scratch_load_b128 v[78:81], off, off offset:152
	;; [unrolled: 1-line block ×9, first 2 shown]
	scratch_load_b64 v[146:147], off, off offset:280
	scratch_load_b64 v[148:149], off, off offset:128
	v_mov_b32_e32 v5, 0
	ds_load_2addr_b64 v[110:113], v5 offset0:63 offset1:64
	ds_load_2addr_b64 v[114:117], v5 offset0:65 offset1:66
	;; [unrolled: 1-line block ×9, first 2 shown]
	ds_load_b64 v[150:151], v5 offset:568
	s_mov_b32 s0, exec_lo
	s_wait_dscnt 0x8
	v_dual_mov_b32 v153, v112 :: v_dual_mov_b32 v154, v117
	s_wait_dscnt 0x7
	v_dual_mov_b32 v155, v116 :: v_dual_mov_b32 v156, v121
	;; [unrolled: 2-line block ×3, first 2 shown]
	v_dual_mov_b32 v157, v120 :: v_dual_mov_b32 v158, v125
	s_wait_loadcnt_dscnt 0xa05
	v_dual_mul_f32 v7, v126, v75 :: v_dual_mul_f32 v27, v127, v75
	v_dual_mul_f32 v29, v129, v77 :: v_dual_mul_f32 v11, v128, v77
	s_wait_loadcnt_dscnt 0x904
	v_mul_f32_e32 v13, v130, v79
	s_wait_loadcnt_dscnt 0x702
	v_dual_mul_f32 v39, v139, v87 :: v_dual_fma_f32 v27, v126, v74, -v27
	v_dual_fmac_f32 v7, v127, v74 :: v_dual_mul_f32 v41, v141, v89
	v_dual_mul_f32 v31, v131, v79 :: v_dual_mul_f32 v33, v133, v81
	v_dual_fmac_f32 v11, v129, v76 :: v_dual_fma_f32 v29, v128, v76, -v29
	s_delay_alu instid0(VALU_DEP_3) | instskip(NEXT) | instid1(VALU_DEP_3)
	v_dual_add_f32 v7, 0, v7 :: v_dual_fmac_f32 v13, v131, v78
	v_dual_add_f32 v27, 0, v27 :: v_dual_fma_f32 v31, v130, v78, -v31
	v_dual_mul_f32 v15, v132, v81 :: v_dual_mul_f32 v17, v134, v83
	s_delay_alu instid0(VALU_DEP_3) | instskip(NEXT) | instid1(VALU_DEP_3)
	v_add_f32_e32 v7, v7, v11
	v_dual_add_f32 v11, v27, v29 :: v_dual_fma_f32 v29, v132, v80, -v33
	v_dual_mul_f32 v35, v135, v83 :: v_dual_mul_f32 v37, v137, v85
	s_delay_alu instid0(VALU_DEP_3) | instskip(SKIP_1) | instid1(VALU_DEP_3)
	v_dual_fmac_f32 v15, v133, v80 :: v_dual_add_f32 v7, v7, v13
	s_wait_loadcnt 0x5
	v_dual_add_f32 v11, v11, v31 :: v_dual_mov_b32 v74, v97
	v_dual_mul_f32 v19, v136, v85 :: v_dual_mul_f32 v21, v138, v87
	s_wait_loadcnt 0x4
	v_dual_fmac_f32 v17, v135, v82 :: v_dual_mov_b32 v78, v101
	v_dual_fma_f32 v31, v134, v82, -v35 :: v_dual_add_f32 v7, v7, v15
	v_dual_fma_f32 v15, v136, v84, -v37 :: v_dual_add_f32 v11, v11, v29
	s_wait_dscnt 0x1
	v_dual_mul_f32 v23, v140, v89 :: v_dual_mul_f32 v25, v142, v91
	v_dual_mul_f32 v13, v111, v95 :: v_dual_fmac_f32 v19, v137, v84
	s_delay_alu instid0(VALU_DEP_2)
	v_dual_add_f32 v7, v7, v17 :: v_dual_fmac_f32 v23, v141, v88
	v_dual_fma_f32 v17, v138, v86, -v39 :: v_dual_add_f32 v11, v11, v31
	v_dual_mul_f32 v161, v144, v93 :: v_dual_mul_f32 v163, v110, v95
	v_dual_mul_f32 v43, v143, v91 :: v_dual_mul_f32 v27, v145, v93
	v_pk_mul_f32 v[76:77], v[114:115], v[98:99] op_sel:[1,1] op_sel_hi:[0,1]
	v_fmac_f32_e32 v21, v139, v86
	v_add_f32_e32 v7, v7, v19
	v_dual_add_f32 v11, v11, v15 :: v_dual_fmac_f32 v161, v145, v92
	v_fma_f32 v15, v140, v88, -v41
	v_fma_f32 v160, v144, v92, -v27
	v_pk_fma_f32 v[88:89], v[114:115], v[98:99], v[76:77] op_sel_hi:[1,0,1]
	s_delay_alu instid0(VALU_DEP_4)
	v_dual_add_f32 v11, v11, v17 :: v_dual_fma_f32 v162, v110, v94, -v13
	v_dual_fma_f32 v17, v142, v90, -v43 :: v_dual_add_f32 v7, v7, v21
	s_wait_loadcnt 0x3
	v_mov_b32_e32 v84, v105
	v_pk_mul_f32 v[78:79], v[154:155], v[78:79] op_sel_hi:[1,0]
	v_pk_fma_f32 v[76:77], v[114:115], v[98:99], v[76:77] neg_lo:[0,0,1] neg_hi:[0,0,1]
	v_dual_fmac_f32 v25, v143, v90 :: v_dual_mov_b32 v77, v89
	v_add_f32_e32 v11, v11, v15
	s_delay_alu instid0(VALU_DEP_4) | instskip(SKIP_3) | instid1(VALU_DEP_4)
	v_pk_fma_f32 v[88:89], v[116:117], v[100:101], v[78:79] op_sel_hi:[1,0,1]
	v_add_f32_e32 v7, v7, v23
	v_pk_fma_f32 v[78:79], v[116:117], v[100:101], v[78:79] neg_lo:[0,0,1] neg_hi:[0,0,1]
	v_pk_mul_f32 v[74:75], v[152:153], v[74:75] op_sel_hi:[1,0]
	v_dual_add_f32 v82, v11, v17 :: v_dual_mov_b32 v79, v89
	s_delay_alu instid0(VALU_DEP_4) | instskip(SKIP_1) | instid1(VALU_DEP_4)
	v_add_f32_e32 v83, v7, v25
	v_fmac_f32_e32 v163, v111, v94
	v_pk_fma_f32 v[86:87], v[112:113], v[96:97], v[74:75] op_sel_hi:[1,0,1]
	v_pk_fma_f32 v[74:75], v[112:113], v[96:97], v[74:75] neg_lo:[0,0,1] neg_hi:[0,0,1]
	v_pk_mul_f32 v[80:81], v[118:119], v[102:103] op_sel:[1,1] op_sel_hi:[0,1]
	v_pk_add_f32 v[82:83], v[82:83], v[160:161]
	v_pk_mul_f32 v[84:85], v[156:157], v[84:85] op_sel_hi:[1,0]
	v_mov_b32_e32 v75, v87
	s_wait_loadcnt 0x2
	v_pk_mul_f32 v[86:87], v[122:123], v[106:107] op_sel:[1,1] op_sel_hi:[0,1]
	v_pk_add_f32 v[82:83], v[82:83], v[162:163]
	s_delay_alu instid0(VALU_DEP_1) | instskip(SKIP_2) | instid1(VALU_DEP_3)
	v_pk_add_f32 v[74:75], v[82:83], v[74:75]
	v_pk_fma_f32 v[82:83], v[118:119], v[102:103], v[80:81] op_sel_hi:[1,0,1]
	v_pk_fma_f32 v[80:81], v[118:119], v[102:103], v[80:81] neg_lo:[0,0,1] neg_hi:[0,0,1]
	v_pk_add_f32 v[74:75], v[74:75], v[76:77]
	s_delay_alu instid0(VALU_DEP_3) | instskip(SKIP_2) | instid1(VALU_DEP_4)
	v_dual_mov_b32 v76, v109 :: v_dual_mov_b32 v81, v83
	v_pk_fma_f32 v[82:83], v[120:121], v[104:105], v[84:85] op_sel_hi:[1,0,1]
	v_pk_fma_f32 v[84:85], v[120:121], v[104:105], v[84:85] neg_lo:[0,0,1] neg_hi:[0,0,1]
	v_pk_add_f32 v[74:75], v[74:75], v[78:79]
	v_pk_fma_f32 v[78:79], v[122:123], v[106:107], v[86:87] op_sel_hi:[1,0,1]
	v_pk_mul_f32 v[76:77], v[158:159], v[76:77] op_sel_hi:[1,0]
	v_mov_b32_e32 v85, v83
	s_wait_loadcnt_dscnt 0x100
	v_pk_mul_f32 v[82:83], v[150:151], v[146:147] op_sel:[1,1] op_sel_hi:[0,1]
	v_pk_add_f32 v[74:75], v[74:75], v[80:81]
	v_pk_fma_f32 v[80:81], v[122:123], v[106:107], v[86:87] neg_lo:[0,0,1] neg_hi:[0,0,1]
	v_mov_b32_e32 v81, v79
	v_pk_fma_f32 v[78:79], v[124:125], v[108:109], v[76:77] op_sel_hi:[1,0,1]
	v_pk_fma_f32 v[76:77], v[124:125], v[108:109], v[76:77] neg_lo:[0,0,1] neg_hi:[0,0,1]
	v_pk_add_f32 v[74:75], v[74:75], v[84:85]
	s_delay_alu instid0(VALU_DEP_3) | instskip(SKIP_1) | instid1(VALU_DEP_3)
	v_mov_b32_e32 v77, v79
	v_pk_fma_f32 v[78:79], v[150:151], v[146:147], v[82:83] op_sel_hi:[1,0,1]
	v_pk_add_f32 v[74:75], v[74:75], v[80:81]
	v_pk_fma_f32 v[80:81], v[150:151], v[146:147], v[82:83] neg_lo:[0,0,1] neg_hi:[0,0,1]
	s_delay_alu instid0(VALU_DEP_3) | instskip(NEXT) | instid1(VALU_DEP_3)
	v_mov_b32_e32 v81, v79
	v_pk_add_f32 v[74:75], v[74:75], v[76:77]
	s_delay_alu instid0(VALU_DEP_1) | instskip(SKIP_1) | instid1(VALU_DEP_1)
	v_pk_add_f32 v[74:75], v[74:75], v[80:81]
	s_wait_loadcnt 0x0
	v_pk_add_f32 v[74:75], v[148:149], v[74:75] neg_lo:[0,1] neg_hi:[0,1]
	scratch_store_b64 off, v[74:75], off offset:128
	s_wait_xcnt 0x0
	v_cmpx_lt_u32_e32 15, v0
	s_cbranch_execz .LBB35_199
; %bb.198:
	scratch_load_b64 v[74:75], off, off offset:120
	v_mov_b64_e32 v[76:77], 0
	scratch_store_b64 off, v[76:77], off offset:120
	s_wait_loadcnt 0x0
	ds_store_b64 v1, v[74:75]
.LBB35_199:
	s_wait_xcnt 0x0
	s_or_b32 exec_lo, exec_lo, s0
	s_wait_storecnt_dscnt 0x0
	s_barrier_signal -1
	s_barrier_wait -1
	s_clause 0xa
	scratch_load_b128 v[74:77], off, off offset:128
	scratch_load_b128 v[78:81], off, off offset:144
	;; [unrolled: 1-line block ×10, first 2 shown]
	scratch_load_b64 v[154:155], off, off offset:120
	ds_load_b128 v[114:117], v5 offset:512
	ds_load_b128 v[118:121], v5 offset:528
	;; [unrolled: 1-line block ×10, first 2 shown]
	s_mov_b32 s0, exec_lo
	s_wait_dscnt 0x9
	v_dual_mov_b32 v156, v117 :: v_dual_mov_b32 v157, v116
	s_wait_dscnt 0x8
	v_dual_mov_b32 v158, v121 :: v_dual_mov_b32 v159, v120
	;; [unrolled: 2-line block ×4, first 2 shown]
	s_wait_loadcnt_dscnt 0xa05
	v_dual_mul_f32 v5, v130, v75 :: v_dual_mul_f32 v7, v132, v77
	v_dual_mul_f32 v27, v131, v75 :: v_dual_mul_f32 v29, v133, v77
	s_wait_loadcnt_dscnt 0x904
	v_dual_mul_f32 v11, v134, v79 :: v_dual_mul_f32 v13, v136, v81
	s_delay_alu instid0(VALU_DEP_2) | instskip(SKIP_3) | instid1(VALU_DEP_3)
	v_dual_fmac_f32 v5, v131, v74 :: v_dual_fma_f32 v27, v130, v74, -v27
	v_dual_mul_f32 v31, v135, v79 :: v_dual_mul_f32 v33, v137, v81
	s_wait_loadcnt_dscnt 0x702
	v_dual_mul_f32 v39, v143, v87 :: v_dual_fmac_f32 v7, v133, v76
	v_dual_fma_f32 v29, v132, v76, -v29 :: v_dual_add_f32 v5, 0, v5
	v_dual_add_f32 v27, 0, v27 :: v_dual_mul_f32 v41, v145, v89
	v_fmac_f32_e32 v11, v135, v78
	s_delay_alu instid0(VALU_DEP_3) | instskip(NEXT) | instid1(VALU_DEP_3)
	v_dual_fma_f32 v31, v134, v78, -v31 :: v_dual_add_f32 v5, v5, v7
	v_dual_add_f32 v7, v27, v29 :: v_dual_mul_f32 v15, v138, v83
	v_dual_mul_f32 v17, v140, v85 :: v_dual_mul_f32 v35, v139, v83
	s_wait_loadcnt_dscnt 0x601
	v_dual_mul_f32 v37, v141, v85 :: v_dual_mul_f32 v27, v147, v91
	v_fmac_f32_e32 v13, v137, v80
	v_dual_fma_f32 v29, v136, v80, -v33 :: v_dual_add_f32 v5, v5, v11
	v_dual_add_f32 v7, v7, v31 :: v_dual_mul_f32 v11, v149, v93
	v_fmac_f32_e32 v15, v139, v82
	s_delay_alu instid0(VALU_DEP_3) | instskip(NEXT) | instid1(VALU_DEP_3)
	v_dual_fma_f32 v31, v138, v82, -v35 :: v_dual_add_f32 v5, v5, v13
	v_dual_add_f32 v7, v7, v29 :: v_dual_mul_f32 v19, v142, v87
	s_wait_loadcnt_dscnt 0x500
	v_dual_mul_f32 v21, v144, v89 :: v_dual_mul_f32 v13, v151, v95
	v_fmac_f32_e32 v17, v141, v84
	v_dual_fma_f32 v29, v140, v84, -v37 :: v_dual_add_f32 v5, v5, v15
	v_dual_add_f32 v7, v7, v31 :: v_dual_mul_f32 v15, v153, v97
	v_fmac_f32_e32 v19, v143, v86
	s_delay_alu instid0(VALU_DEP_3) | instskip(NEXT) | instid1(VALU_DEP_3)
	v_dual_fma_f32 v31, v142, v86, -v39 :: v_dual_add_f32 v5, v5, v17
	v_dual_add_f32 v7, v7, v29 :: v_dual_mul_f32 v23, v146, v91
	v_dual_mul_f32 v25, v148, v93 :: v_dual_fmac_f32 v21, v145, v88
	s_delay_alu instid0(VALU_DEP_3) | instskip(SKIP_1) | instid1(VALU_DEP_3)
	v_dual_fma_f32 v17, v144, v88, -v41 :: v_dual_add_f32 v5, v5, v19
	s_wait_loadcnt 0x4
	v_dual_add_f32 v7, v7, v31 :: v_dual_mov_b32 v76, v101
	v_fmac_f32_e32 v23, v147, v90
	s_delay_alu instid0(VALU_DEP_3) | instskip(NEXT) | instid1(VALU_DEP_3)
	v_dual_fma_f32 v19, v146, v90, -v27 :: v_dual_add_f32 v5, v5, v21
	v_dual_add_f32 v7, v7, v17 :: v_dual_fmac_f32 v25, v149, v92
	v_dual_mul_f32 v165, v150, v95 :: v_dual_mul_f32 v167, v152, v97
	s_delay_alu instid0(VALU_DEP_3) | instskip(SKIP_1) | instid1(VALU_DEP_3)
	v_dual_fma_f32 v11, v148, v92, -v11 :: v_dual_add_f32 v5, v5, v23
	s_wait_loadcnt 0x3
	v_dual_add_f32 v7, v7, v19 :: v_dual_mov_b32 v80, v105
	v_pk_mul_f32 v[74:75], v[114:115], v[98:99] op_sel:[1,1] op_sel_hi:[0,1]
	s_delay_alu instid0(VALU_DEP_3) | instskip(NEXT) | instid1(VALU_DEP_3)
	v_dual_fmac_f32 v165, v151, v94 :: v_dual_add_f32 v83, v5, v25
	v_dual_fma_f32 v164, v150, v94, -v13 :: v_dual_add_f32 v82, v7, v11
	v_fmac_f32_e32 v167, v153, v96
	s_delay_alu instid0(VALU_DEP_4)
	v_pk_fma_f32 v[84:85], v[114:115], v[98:99], v[74:75] op_sel_hi:[1,0,1]
	v_fma_f32 v166, v152, v96, -v15
	v_pk_mul_f32 v[76:77], v[156:157], v[76:77] op_sel_hi:[1,0]
	v_pk_add_f32 v[82:83], v[82:83], v[164:165]
	v_pk_fma_f32 v[74:75], v[114:115], v[98:99], v[74:75] neg_lo:[0,0,1] neg_hi:[0,0,1]
	v_pk_mul_f32 v[78:79], v[118:119], v[102:103] op_sel:[1,1] op_sel_hi:[0,1]
	v_mov_b32_e32 v75, v85
	v_pk_fma_f32 v[84:85], v[116:117], v[100:101], v[76:77] op_sel_hi:[1,0,1]
	v_pk_add_f32 v[82:83], v[82:83], v[166:167]
	v_pk_fma_f32 v[76:77], v[116:117], v[100:101], v[76:77] neg_lo:[0,0,1] neg_hi:[0,0,1]
	v_pk_fma_f32 v[88:89], v[118:119], v[102:103], v[78:79] op_sel_hi:[1,0,1]
	v_pk_mul_f32 v[80:81], v[158:159], v[80:81] op_sel_hi:[1,0]
	v_mov_b32_e32 v77, v85
	v_pk_add_f32 v[74:75], v[82:83], v[74:75]
	s_wait_loadcnt 0x2
	v_pk_mul_f32 v[86:87], v[122:123], v[106:107] op_sel:[1,1] op_sel_hi:[0,1]
	v_mov_b32_e32 v82, v109
	v_pk_fma_f32 v[78:79], v[118:119], v[102:103], v[78:79] neg_lo:[0,0,1] neg_hi:[0,0,1]
	v_pk_fma_f32 v[84:85], v[120:121], v[104:105], v[80:81] op_sel_hi:[1,0,1]
	v_mov_b32_e32 v79, v89
	v_pk_add_f32 v[74:75], v[74:75], v[76:77]
	v_pk_fma_f32 v[76:77], v[122:123], v[106:107], v[86:87] op_sel_hi:[1,0,1]
	v_pk_mul_f32 v[82:83], v[160:161], v[82:83] op_sel_hi:[1,0]
	v_pk_fma_f32 v[80:81], v[120:121], v[104:105], v[80:81] neg_lo:[0,0,1] neg_hi:[0,0,1]
	v_mov_b32_e32 v81, v85
	v_pk_add_f32 v[74:75], v[74:75], v[78:79]
	v_pk_fma_f32 v[84:85], v[122:123], v[106:107], v[86:87] neg_lo:[0,0,1] neg_hi:[0,0,1]
	v_mov_b32_e32 v85, v77
	v_pk_fma_f32 v[76:77], v[124:125], v[108:109], v[82:83] op_sel_hi:[1,0,1]
	s_wait_loadcnt 0x1
	v_pk_mul_f32 v[78:79], v[126:127], v[110:111] op_sel:[1,1] op_sel_hi:[0,1]
	v_pk_add_f32 v[74:75], v[74:75], v[80:81]
	v_mov_b32_e32 v76, v113
	v_pk_fma_f32 v[82:83], v[124:125], v[108:109], v[82:83] neg_lo:[0,0,1] neg_hi:[0,0,1]
	s_delay_alu instid0(VALU_DEP_4)
	v_pk_fma_f32 v[80:81], v[126:127], v[110:111], v[78:79] op_sel_hi:[1,0,1]
	v_mov_b32_e32 v83, v77
	v_pk_add_f32 v[74:75], v[74:75], v[84:85]
	v_pk_mul_f32 v[76:77], v[162:163], v[76:77] op_sel_hi:[1,0]
	v_pk_fma_f32 v[78:79], v[126:127], v[110:111], v[78:79] neg_lo:[0,0,1] neg_hi:[0,0,1]
	v_mov_b32_e32 v79, v81
	s_delay_alu instid0(VALU_DEP_4) | instskip(NEXT) | instid1(VALU_DEP_4)
	v_pk_add_f32 v[74:75], v[74:75], v[82:83]
	v_pk_fma_f32 v[80:81], v[128:129], v[112:113], v[76:77] op_sel_hi:[1,0,1]
	v_pk_fma_f32 v[76:77], v[128:129], v[112:113], v[76:77] neg_lo:[0,0,1] neg_hi:[0,0,1]
	s_delay_alu instid0(VALU_DEP_3) | instskip(NEXT) | instid1(VALU_DEP_3)
	v_pk_add_f32 v[74:75], v[74:75], v[78:79]
	v_mov_b32_e32 v77, v81
	s_delay_alu instid0(VALU_DEP_1) | instskip(SKIP_1) | instid1(VALU_DEP_1)
	v_pk_add_f32 v[74:75], v[74:75], v[76:77]
	s_wait_loadcnt 0x0
	v_pk_add_f32 v[74:75], v[154:155], v[74:75] neg_lo:[0,1] neg_hi:[0,1]
	scratch_store_b64 off, v[74:75], off offset:120
	s_wait_xcnt 0x0
	v_cmpx_lt_u32_e32 14, v0
	s_cbranch_execz .LBB35_201
; %bb.200:
	scratch_load_b64 v[74:75], off, off offset:112
	v_mov_b64_e32 v[76:77], 0
	scratch_store_b64 off, v[76:77], off offset:112
	s_wait_loadcnt 0x0
	ds_store_b64 v1, v[74:75]
.LBB35_201:
	s_wait_xcnt 0x0
	s_or_b32 exec_lo, exec_lo, s0
	s_wait_storecnt_dscnt 0x0
	s_barrier_signal -1
	s_barrier_wait -1
	s_clause 0xb
	scratch_load_b128 v[74:77], off, off offset:120
	scratch_load_b128 v[78:81], off, off offset:136
	;; [unrolled: 1-line block ×10, first 2 shown]
	scratch_load_b64 v[154:155], off, off offset:280
	scratch_load_b64 v[156:157], off, off offset:112
	v_mov_b32_e32 v5, 0
	ds_load_2addr_b64 v[114:117], v5 offset0:63 offset1:64
	ds_load_2addr_b64 v[118:121], v5 offset0:65 offset1:66
	ds_load_2addr_b64 v[122:125], v5 offset0:67 offset1:68
	ds_load_2addr_b64 v[126:129], v5 offset0:69 offset1:70
	ds_load_2addr_b64 v[130:133], v5 offset0:51 offset1:52
	ds_load_2addr_b64 v[134:137], v5 offset0:53 offset1:54
	ds_load_2addr_b64 v[138:141], v5 offset0:55 offset1:56
	ds_load_2addr_b64 v[142:145], v5 offset0:57 offset1:58
	ds_load_2addr_b64 v[146:149], v5 offset0:59 offset1:60
	ds_load_2addr_b64 v[150:153], v5 offset0:61 offset1:62
	ds_load_b64 v[158:159], v5 offset:568
	s_mov_b32 s0, exec_lo
	s_wait_dscnt 0x9
	v_dual_mov_b32 v161, v116 :: v_dual_mov_b32 v162, v121
	s_wait_dscnt 0x8
	v_dual_mov_b32 v163, v120 :: v_dual_mov_b32 v164, v125
	;; [unrolled: 2-line block ×3, first 2 shown]
	v_dual_mov_b32 v165, v124 :: v_dual_mov_b32 v166, v129
	s_wait_loadcnt_dscnt 0xb06
	v_dual_mul_f32 v7, v130, v75 :: v_dual_mul_f32 v31, v131, v75
	v_dual_mul_f32 v33, v133, v77 :: v_dual_mul_f32 v11, v132, v77
	s_wait_loadcnt_dscnt 0xa05
	v_mul_f32_e32 v13, v134, v79
	s_wait_loadcnt_dscnt 0x803
	v_dual_mul_f32 v43, v143, v87 :: v_dual_fma_f32 v31, v130, v74, -v31
	v_dual_fmac_f32 v7, v131, v74 :: v_dual_mul_f32 v45, v145, v89
	v_dual_mul_f32 v35, v135, v79 :: v_dual_mul_f32 v37, v137, v81
	v_dual_fmac_f32 v11, v133, v76 :: v_dual_fma_f32 v33, v132, v76, -v33
	s_delay_alu instid0(VALU_DEP_3) | instskip(NEXT) | instid1(VALU_DEP_3)
	v_dual_add_f32 v7, 0, v7 :: v_dual_fmac_f32 v13, v135, v78
	v_dual_add_f32 v31, 0, v31 :: v_dual_fma_f32 v35, v134, v78, -v35
	v_dual_mul_f32 v15, v136, v81 :: v_dual_mul_f32 v17, v138, v83
	s_delay_alu instid0(VALU_DEP_3) | instskip(NEXT) | instid1(VALU_DEP_3)
	v_add_f32_e32 v7, v7, v11
	v_dual_add_f32 v11, v31, v33 :: v_dual_fma_f32 v33, v136, v80, -v37
	v_dual_mul_f32 v39, v139, v83 :: v_dual_mul_f32 v41, v141, v85
	s_delay_alu instid0(VALU_DEP_3) | instskip(NEXT) | instid1(VALU_DEP_3)
	v_dual_fmac_f32 v15, v137, v80 :: v_dual_add_f32 v7, v7, v13
	v_dual_add_f32 v11, v11, v35 :: v_dual_mul_f32 v19, v140, v85
	v_dual_mul_f32 v21, v142, v87 :: v_dual_fmac_f32 v17, v139, v82
	s_wait_loadcnt 0x5
	v_dual_mov_b32 v74, v101 :: v_dual_fma_f32 v35, v138, v82, -v39
	s_wait_dscnt 0x1
	v_dual_add_f32 v7, v7, v15 :: v_dual_mul_f32 v15, v153, v97
	v_add_f32_e32 v11, v11, v33
	v_dual_mul_f32 v23, v144, v89 :: v_dual_mul_f32 v25, v146, v91
	v_dual_mul_f32 v13, v151, v95 :: v_dual_fmac_f32 v19, v141, v84
	s_delay_alu instid0(VALU_DEP_4) | instskip(NEXT) | instid1(VALU_DEP_3)
	v_dual_fma_f32 v33, v140, v84, -v41 :: v_dual_add_f32 v7, v7, v17
	v_dual_fmac_f32 v23, v145, v88 :: v_dual_add_f32 v11, v11, v35
	v_dual_mul_f32 v27, v148, v93 :: v_dual_mul_f32 v29, v150, v95
	v_dual_mul_f32 v47, v147, v91 :: v_dual_mul_f32 v31, v149, v93
	s_wait_loadcnt 0x4
	v_dual_fmac_f32 v21, v143, v86 :: v_dual_mov_b32 v78, v105
	v_dual_fma_f32 v35, v142, v86, -v43 :: v_dual_add_f32 v7, v7, v19
	v_fmac_f32_e32 v27, v149, v92
	v_dual_fma_f32 v19, v144, v88, -v45 :: v_dual_add_f32 v11, v11, v33
	v_dual_mul_f32 v169, v152, v97 :: v_dual_mul_f32 v171, v114, v99
	s_delay_alu instid0(VALU_DEP_4) | instskip(NEXT) | instid1(VALU_DEP_2)
	v_dual_add_f32 v7, v7, v21 :: v_dual_fma_f32 v13, v150, v94, -v13
	v_dual_add_f32 v11, v11, v35 :: v_dual_fmac_f32 v169, v153, v96
	v_pk_mul_f32 v[76:77], v[118:119], v[102:103] op_sel:[1,1] op_sel_hi:[0,1]
	v_dual_mul_f32 v17, v115, v99 :: v_dual_fma_f32 v21, v146, v90, -v47
	v_dual_fmac_f32 v25, v147, v90 :: v_dual_fma_f32 v168, v152, v96, -v15
	s_wait_loadcnt 0x3
	v_dual_add_f32 v7, v7, v23 :: v_dual_mov_b32 v84, v109
	s_delay_alu instid0(VALU_DEP_3) | instskip(SKIP_4) | instid1(VALU_DEP_4)
	v_dual_add_f32 v11, v11, v19 :: v_dual_fma_f32 v170, v114, v98, -v17
	v_pk_fma_f32 v[88:89], v[118:119], v[102:103], v[76:77] op_sel_hi:[1,0,1]
	v_pk_mul_f32 v[78:79], v[162:163], v[78:79] op_sel_hi:[1,0]
	v_pk_fma_f32 v[76:77], v[118:119], v[102:103], v[76:77] neg_lo:[0,0,1] neg_hi:[0,0,1]
	v_dual_fma_f32 v19, v148, v92, -v31 :: v_dual_add_f32 v7, v7, v25
	v_mov_b32_e32 v77, v89
	s_delay_alu instid0(VALU_DEP_4) | instskip(SKIP_3) | instid1(VALU_DEP_4)
	v_pk_fma_f32 v[88:89], v[120:121], v[104:105], v[78:79] op_sel_hi:[1,0,1]
	v_add_f32_e32 v11, v11, v21
	v_pk_fma_f32 v[78:79], v[120:121], v[104:105], v[78:79] neg_lo:[0,0,1] neg_hi:[0,0,1]
	v_fmac_f32_e32 v29, v151, v94
	v_dual_add_f32 v7, v7, v27 :: v_dual_mov_b32 v79, v89
	s_delay_alu instid0(VALU_DEP_4) | instskip(SKIP_2) | instid1(VALU_DEP_4)
	v_add_f32_e32 v11, v11, v19
	v_pk_mul_f32 v[74:75], v[160:161], v[74:75] op_sel_hi:[1,0]
	v_fmac_f32_e32 v171, v115, v98
	v_add_f32_e32 v83, v7, v29
	v_pk_mul_f32 v[80:81], v[122:123], v[106:107] op_sel:[1,1] op_sel_hi:[0,1]
	v_add_f32_e32 v82, v11, v13
	v_pk_fma_f32 v[86:87], v[116:117], v[100:101], v[74:75] op_sel_hi:[1,0,1]
	v_pk_fma_f32 v[74:75], v[116:117], v[100:101], v[74:75] neg_lo:[0,0,1] neg_hi:[0,0,1]
	v_pk_mul_f32 v[84:85], v[164:165], v[84:85] op_sel_hi:[1,0]
	s_delay_alu instid0(VALU_DEP_4) | instskip(NEXT) | instid1(VALU_DEP_4)
	v_pk_add_f32 v[82:83], v[82:83], v[168:169]
	v_mov_b32_e32 v75, v87
	s_wait_loadcnt 0x2
	v_pk_mul_f32 v[86:87], v[126:127], v[110:111] op_sel:[1,1] op_sel_hi:[0,1]
	s_delay_alu instid0(VALU_DEP_3) | instskip(NEXT) | instid1(VALU_DEP_1)
	v_pk_add_f32 v[82:83], v[82:83], v[170:171]
	v_pk_add_f32 v[74:75], v[82:83], v[74:75]
	v_pk_fma_f32 v[82:83], v[122:123], v[106:107], v[80:81] op_sel_hi:[1,0,1]
	v_pk_fma_f32 v[80:81], v[122:123], v[106:107], v[80:81] neg_lo:[0,0,1] neg_hi:[0,0,1]
	s_delay_alu instid0(VALU_DEP_3) | instskip(NEXT) | instid1(VALU_DEP_3)
	v_pk_add_f32 v[74:75], v[74:75], v[76:77]
	v_dual_mov_b32 v76, v113 :: v_dual_mov_b32 v81, v83
	v_pk_fma_f32 v[82:83], v[124:125], v[108:109], v[84:85] op_sel_hi:[1,0,1]
	v_pk_fma_f32 v[84:85], v[124:125], v[108:109], v[84:85] neg_lo:[0,0,1] neg_hi:[0,0,1]
	s_delay_alu instid0(VALU_DEP_4)
	v_pk_add_f32 v[74:75], v[74:75], v[78:79]
	v_pk_fma_f32 v[78:79], v[126:127], v[110:111], v[86:87] op_sel_hi:[1,0,1]
	v_pk_mul_f32 v[76:77], v[166:167], v[76:77] op_sel_hi:[1,0]
	v_mov_b32_e32 v85, v83
	s_wait_loadcnt_dscnt 0x100
	v_pk_mul_f32 v[82:83], v[158:159], v[154:155] op_sel:[1,1] op_sel_hi:[0,1]
	v_pk_add_f32 v[74:75], v[74:75], v[80:81]
	v_pk_fma_f32 v[80:81], v[126:127], v[110:111], v[86:87] neg_lo:[0,0,1] neg_hi:[0,0,1]
	v_mov_b32_e32 v81, v79
	v_pk_fma_f32 v[78:79], v[128:129], v[112:113], v[76:77] op_sel_hi:[1,0,1]
	v_pk_fma_f32 v[76:77], v[128:129], v[112:113], v[76:77] neg_lo:[0,0,1] neg_hi:[0,0,1]
	v_pk_add_f32 v[74:75], v[74:75], v[84:85]
	s_delay_alu instid0(VALU_DEP_3) | instskip(SKIP_1) | instid1(VALU_DEP_3)
	v_mov_b32_e32 v77, v79
	v_pk_fma_f32 v[78:79], v[158:159], v[154:155], v[82:83] op_sel_hi:[1,0,1]
	v_pk_add_f32 v[74:75], v[74:75], v[80:81]
	v_pk_fma_f32 v[80:81], v[158:159], v[154:155], v[82:83] neg_lo:[0,0,1] neg_hi:[0,0,1]
	s_delay_alu instid0(VALU_DEP_3) | instskip(NEXT) | instid1(VALU_DEP_3)
	v_mov_b32_e32 v81, v79
	v_pk_add_f32 v[74:75], v[74:75], v[76:77]
	s_delay_alu instid0(VALU_DEP_1) | instskip(SKIP_1) | instid1(VALU_DEP_1)
	v_pk_add_f32 v[74:75], v[74:75], v[80:81]
	s_wait_loadcnt 0x0
	v_pk_add_f32 v[74:75], v[156:157], v[74:75] neg_lo:[0,1] neg_hi:[0,1]
	scratch_store_b64 off, v[74:75], off offset:112
	s_wait_xcnt 0x0
	v_cmpx_lt_u32_e32 13, v0
	s_cbranch_execz .LBB35_203
; %bb.202:
	scratch_load_b64 v[74:75], off, off offset:104
	v_mov_b64_e32 v[76:77], 0
	scratch_store_b64 off, v[76:77], off offset:104
	s_wait_loadcnt 0x0
	ds_store_b64 v1, v[74:75]
.LBB35_203:
	s_wait_xcnt 0x0
	s_or_b32 exec_lo, exec_lo, s0
	s_wait_storecnt_dscnt 0x0
	s_barrier_signal -1
	s_barrier_wait -1
	s_clause 0xb
	scratch_load_b128 v[74:77], off, off offset:112
	scratch_load_b128 v[78:81], off, off offset:128
	;; [unrolled: 1-line block ×11, first 2 shown]
	scratch_load_b64 v[162:163], off, off offset:104
	ds_load_b128 v[118:121], v5 offset:512
	ds_load_b128 v[122:125], v5 offset:528
	;; [unrolled: 1-line block ×11, first 2 shown]
	s_mov_b32 s0, exec_lo
	s_wait_dscnt 0xa
	v_dual_mov_b32 v164, v121 :: v_dual_mov_b32 v165, v120
	s_wait_dscnt 0x9
	v_dual_mov_b32 v166, v125 :: v_dual_mov_b32 v167, v124
	;; [unrolled: 2-line block ×4, first 2 shown]
	s_wait_loadcnt_dscnt 0xb06
	v_dual_mul_f32 v5, v134, v75 :: v_dual_mul_f32 v7, v136, v77
	v_dual_mul_f32 v31, v135, v75 :: v_dual_mul_f32 v33, v137, v77
	s_wait_loadcnt_dscnt 0xa05
	v_dual_mul_f32 v11, v138, v79 :: v_dual_mul_f32 v13, v140, v81
	s_delay_alu instid0(VALU_DEP_2) | instskip(SKIP_3) | instid1(VALU_DEP_3)
	v_dual_fmac_f32 v5, v135, v74 :: v_dual_fma_f32 v31, v134, v74, -v31
	v_dual_mul_f32 v35, v139, v79 :: v_dual_mul_f32 v37, v141, v81
	s_wait_loadcnt_dscnt 0x803
	v_dual_mul_f32 v43, v147, v87 :: v_dual_fmac_f32 v7, v137, v76
	v_dual_fma_f32 v33, v136, v76, -v33 :: v_dual_add_f32 v5, 0, v5
	v_dual_add_f32 v31, 0, v31 :: v_dual_mul_f32 v45, v149, v89
	v_fmac_f32_e32 v11, v139, v78
	s_delay_alu instid0(VALU_DEP_3) | instskip(NEXT) | instid1(VALU_DEP_3)
	v_dual_fma_f32 v35, v138, v78, -v35 :: v_dual_add_f32 v5, v5, v7
	v_dual_add_f32 v7, v31, v33 :: v_dual_mul_f32 v15, v142, v83
	v_dual_mul_f32 v17, v144, v85 :: v_dual_mul_f32 v39, v143, v83
	s_wait_loadcnt_dscnt 0x702
	v_dual_mul_f32 v41, v145, v85 :: v_dual_mul_f32 v31, v151, v91
	v_fmac_f32_e32 v13, v141, v80
	v_dual_fma_f32 v33, v140, v80, -v37 :: v_dual_add_f32 v5, v5, v11
	v_dual_add_f32 v7, v7, v35 :: v_dual_mul_f32 v11, v153, v93
	v_fmac_f32_e32 v15, v143, v82
	s_delay_alu instid0(VALU_DEP_3) | instskip(NEXT) | instid1(VALU_DEP_3)
	v_dual_fma_f32 v35, v142, v82, -v39 :: v_dual_add_f32 v5, v5, v13
	v_dual_add_f32 v7, v7, v33 :: v_dual_mul_f32 v19, v146, v87
	s_wait_loadcnt_dscnt 0x601
	v_dual_mul_f32 v21, v148, v89 :: v_dual_mul_f32 v13, v155, v95
	v_fmac_f32_e32 v17, v145, v84
	v_dual_fma_f32 v33, v144, v84, -v41 :: v_dual_add_f32 v5, v5, v15
	v_dual_add_f32 v7, v7, v35 :: v_dual_mul_f32 v15, v157, v97
	v_fmac_f32_e32 v19, v147, v86
	s_delay_alu instid0(VALU_DEP_3) | instskip(NEXT) | instid1(VALU_DEP_3)
	v_dual_fma_f32 v35, v146, v86, -v43 :: v_dual_add_f32 v5, v5, v17
	v_dual_add_f32 v7, v7, v33 :: v_dual_mul_f32 v23, v150, v91
	;; [unrolled: 9-line block ×3, first 2 shown]
	v_dual_mul_f32 v29, v156, v97 :: v_dual_fmac_f32 v25, v153, v92
	s_delay_alu instid0(VALU_DEP_3) | instskip(NEXT) | instid1(VALU_DEP_3)
	v_dual_fma_f32 v11, v152, v92, -v11 :: v_dual_add_f32 v5, v5, v23
	v_fmac_f32_e32 v27, v155, v94
	s_wait_loadcnt 0x4
	v_dual_add_f32 v7, v7, v31 :: v_dual_mov_b32 v76, v105
	s_delay_alu instid0(VALU_DEP_3) | instskip(SKIP_1) | instid1(VALU_DEP_3)
	v_dual_fma_f32 v13, v154, v94, -v13 :: v_dual_add_f32 v5, v5, v25
	v_dual_mul_f32 v173, v158, v99 :: v_dual_mul_f32 v175, v160, v101
	v_dual_add_f32 v7, v7, v11 :: v_dual_fmac_f32 v29, v157, v96
	s_delay_alu instid0(VALU_DEP_3) | instskip(SKIP_2) | instid1(VALU_DEP_3)
	v_dual_fma_f32 v11, v156, v96, -v15 :: v_dual_add_f32 v5, v5, v27
	v_pk_mul_f32 v[74:75], v[118:119], v[102:103] op_sel:[1,1] op_sel_hi:[0,1]
	s_wait_loadcnt 0x3
	v_dual_add_f32 v7, v7, v13 :: v_dual_mov_b32 v80, v109
	s_delay_alu instid0(VALU_DEP_3) | instskip(NEXT) | instid1(VALU_DEP_2)
	v_dual_fmac_f32 v173, v159, v98 :: v_dual_add_f32 v83, v5, v29
	v_dual_fma_f32 v172, v158, v98, -v17 :: v_dual_add_f32 v82, v7, v11
	v_fmac_f32_e32 v175, v161, v100
	v_pk_fma_f32 v[84:85], v[118:119], v[102:103], v[74:75] op_sel_hi:[1,0,1]
	v_fma_f32 v174, v160, v100, -v19
	v_pk_mul_f32 v[76:77], v[164:165], v[76:77] op_sel_hi:[1,0]
	v_pk_add_f32 v[82:83], v[82:83], v[172:173]
	v_pk_fma_f32 v[74:75], v[118:119], v[102:103], v[74:75] neg_lo:[0,0,1] neg_hi:[0,0,1]
	v_pk_mul_f32 v[78:79], v[122:123], v[106:107] op_sel:[1,1] op_sel_hi:[0,1]
	v_mov_b32_e32 v75, v85
	v_pk_fma_f32 v[84:85], v[120:121], v[104:105], v[76:77] op_sel_hi:[1,0,1]
	v_pk_add_f32 v[82:83], v[82:83], v[174:175]
	v_pk_fma_f32 v[76:77], v[120:121], v[104:105], v[76:77] neg_lo:[0,0,1] neg_hi:[0,0,1]
	v_pk_fma_f32 v[88:89], v[122:123], v[106:107], v[78:79] op_sel_hi:[1,0,1]
	v_pk_mul_f32 v[80:81], v[166:167], v[80:81] op_sel_hi:[1,0]
	v_mov_b32_e32 v77, v85
	v_pk_add_f32 v[74:75], v[82:83], v[74:75]
	s_wait_loadcnt 0x2
	v_pk_mul_f32 v[86:87], v[126:127], v[110:111] op_sel:[1,1] op_sel_hi:[0,1]
	v_mov_b32_e32 v82, v113
	v_pk_fma_f32 v[78:79], v[122:123], v[106:107], v[78:79] neg_lo:[0,0,1] neg_hi:[0,0,1]
	v_pk_fma_f32 v[84:85], v[124:125], v[108:109], v[80:81] op_sel_hi:[1,0,1]
	v_mov_b32_e32 v79, v89
	v_pk_add_f32 v[74:75], v[74:75], v[76:77]
	v_pk_fma_f32 v[76:77], v[126:127], v[110:111], v[86:87] op_sel_hi:[1,0,1]
	v_pk_mul_f32 v[82:83], v[168:169], v[82:83] op_sel_hi:[1,0]
	v_pk_fma_f32 v[80:81], v[124:125], v[108:109], v[80:81] neg_lo:[0,0,1] neg_hi:[0,0,1]
	v_mov_b32_e32 v81, v85
	v_pk_add_f32 v[74:75], v[74:75], v[78:79]
	v_pk_fma_f32 v[84:85], v[126:127], v[110:111], v[86:87] neg_lo:[0,0,1] neg_hi:[0,0,1]
	v_mov_b32_e32 v85, v77
	v_pk_fma_f32 v[76:77], v[128:129], v[112:113], v[82:83] op_sel_hi:[1,0,1]
	s_wait_loadcnt 0x1
	v_pk_mul_f32 v[78:79], v[130:131], v[114:115] op_sel:[1,1] op_sel_hi:[0,1]
	v_pk_add_f32 v[74:75], v[74:75], v[80:81]
	v_mov_b32_e32 v76, v117
	v_pk_fma_f32 v[82:83], v[128:129], v[112:113], v[82:83] neg_lo:[0,0,1] neg_hi:[0,0,1]
	s_delay_alu instid0(VALU_DEP_4)
	v_pk_fma_f32 v[80:81], v[130:131], v[114:115], v[78:79] op_sel_hi:[1,0,1]
	v_mov_b32_e32 v83, v77
	v_pk_add_f32 v[74:75], v[74:75], v[84:85]
	v_pk_mul_f32 v[76:77], v[170:171], v[76:77] op_sel_hi:[1,0]
	v_pk_fma_f32 v[78:79], v[130:131], v[114:115], v[78:79] neg_lo:[0,0,1] neg_hi:[0,0,1]
	v_mov_b32_e32 v79, v81
	s_delay_alu instid0(VALU_DEP_4) | instskip(NEXT) | instid1(VALU_DEP_4)
	v_pk_add_f32 v[74:75], v[74:75], v[82:83]
	v_pk_fma_f32 v[80:81], v[132:133], v[116:117], v[76:77] op_sel_hi:[1,0,1]
	v_pk_fma_f32 v[76:77], v[132:133], v[116:117], v[76:77] neg_lo:[0,0,1] neg_hi:[0,0,1]
	s_delay_alu instid0(VALU_DEP_3) | instskip(NEXT) | instid1(VALU_DEP_3)
	v_pk_add_f32 v[74:75], v[74:75], v[78:79]
	v_mov_b32_e32 v77, v81
	s_delay_alu instid0(VALU_DEP_1) | instskip(SKIP_1) | instid1(VALU_DEP_1)
	v_pk_add_f32 v[74:75], v[74:75], v[76:77]
	s_wait_loadcnt 0x0
	v_pk_add_f32 v[74:75], v[162:163], v[74:75] neg_lo:[0,1] neg_hi:[0,1]
	scratch_store_b64 off, v[74:75], off offset:104
	s_wait_xcnt 0x0
	v_cmpx_lt_u32_e32 12, v0
	s_cbranch_execz .LBB35_205
; %bb.204:
	scratch_load_b64 v[74:75], off, off offset:96
	v_mov_b64_e32 v[76:77], 0
	scratch_store_b64 off, v[76:77], off offset:96
	s_wait_loadcnt 0x0
	ds_store_b64 v1, v[74:75]
.LBB35_205:
	s_wait_xcnt 0x0
	s_or_b32 exec_lo, exec_lo, s0
	s_wait_storecnt_dscnt 0x0
	s_barrier_signal -1
	s_barrier_wait -1
	s_clause 0xc
	scratch_load_b128 v[74:77], off, off offset:104
	scratch_load_b128 v[78:81], off, off offset:120
	;; [unrolled: 1-line block ×11, first 2 shown]
	scratch_load_b64 v[162:163], off, off offset:280
	scratch_load_b64 v[164:165], off, off offset:96
	v_mov_b32_e32 v5, 0
	ds_load_2addr_b64 v[118:121], v5 offset0:63 offset1:64
	ds_load_2addr_b64 v[122:125], v5 offset0:65 offset1:66
	;; [unrolled: 1-line block ×11, first 2 shown]
	ds_load_b64 v[166:167], v5 offset:568
	s_mov_b32 s0, exec_lo
	s_wait_dscnt 0xa
	v_dual_mov_b32 v169, v120 :: v_dual_mov_b32 v170, v125
	s_wait_dscnt 0x9
	v_dual_mov_b32 v171, v124 :: v_dual_mov_b32 v172, v129
	;; [unrolled: 2-line block ×3, first 2 shown]
	v_dual_mov_b32 v173, v128 :: v_dual_mov_b32 v174, v133
	s_wait_loadcnt_dscnt 0xc07
	v_dual_mul_f32 v7, v134, v75 :: v_dual_mul_f32 v11, v136, v77
	s_wait_loadcnt_dscnt 0xb06
	v_mul_f32_e32 v13, v138, v79
	v_dual_mul_f32 v35, v135, v75 :: v_dual_mul_f32 v37, v137, v77
	s_wait_loadcnt_dscnt 0x904
	v_dual_fmac_f32 v7, v135, v74 :: v_dual_mul_f32 v49, v149, v89
	s_delay_alu instid0(VALU_DEP_2) | instskip(NEXT) | instid1(VALU_DEP_3)
	v_dual_mul_f32 v47, v147, v87 :: v_dual_fma_f32 v35, v134, v74, -v35
	v_dual_fmac_f32 v11, v137, v76 :: v_dual_fma_f32 v37, v136, v76, -v37
	s_delay_alu instid0(VALU_DEP_3) | instskip(SKIP_3) | instid1(VALU_DEP_3)
	v_dual_add_f32 v7, 0, v7 :: v_dual_fmac_f32 v13, v139, v78
	v_dual_mul_f32 v15, v140, v81 :: v_dual_mul_f32 v17, v142, v83
	v_dual_mul_f32 v39, v139, v79 :: v_dual_mul_f32 v41, v141, v81
	v_add_f32_e32 v35, 0, v35
	v_dual_add_f32 v7, v7, v11 :: v_dual_fmac_f32 v15, v141, v80
	v_dual_mul_f32 v43, v143, v83 :: v_dual_mul_f32 v45, v145, v85
	s_delay_alu instid0(VALU_DEP_3) | instskip(NEXT) | instid1(VALU_DEP_3)
	v_dual_fma_f32 v39, v138, v78, -v39 :: v_dual_add_f32 v11, v35, v37
	v_dual_fma_f32 v37, v140, v80, -v41 :: v_dual_add_f32 v7, v7, v13
	v_dual_mul_f32 v19, v144, v85 :: v_dual_mul_f32 v21, v146, v87
	s_delay_alu instid0(VALU_DEP_3) | instskip(SKIP_1) | instid1(VALU_DEP_4)
	v_add_f32_e32 v11, v11, v39
	v_dual_fmac_f32 v17, v143, v82 :: v_dual_fma_f32 v39, v142, v82, -v43
	v_dual_add_f32 v7, v7, v15 :: v_dual_mul_f32 v23, v148, v89
	s_wait_loadcnt_dscnt 0x803
	v_mul_f32_e32 v25, v150, v91
	s_wait_loadcnt_dscnt 0x701
	v_dual_mul_f32 v13, v159, v95 :: v_dual_fmac_f32 v19, v145, v84
	v_mul_f32_e32 v15, v161, v97
	v_dual_add_f32 v11, v11, v37 :: v_dual_fma_f32 v37, v144, v84, -v45
	v_dual_add_f32 v7, v7, v17 :: v_dual_fmac_f32 v23, v149, v88
	v_dual_mul_f32 v27, v152, v93 :: v_dual_mul_f32 v29, v158, v95
	s_delay_alu instid0(VALU_DEP_3) | instskip(SKIP_2) | instid1(VALU_DEP_3)
	v_add_f32_e32 v11, v11, v39
	s_wait_loadcnt 0x5
	v_dual_fmac_f32 v21, v147, v86 :: v_dual_mov_b32 v74, v105
	v_dual_add_f32 v7, v7, v19 :: v_dual_fmac_f32 v27, v153, v92
	v_dual_mul_f32 v51, v151, v91 :: v_dual_mul_f32 v35, v153, v93
	v_dual_fma_f32 v39, v146, v86, -v47 :: v_dual_add_f32 v11, v11, v37
	s_delay_alu instid0(VALU_DEP_3) | instskip(SKIP_2) | instid1(VALU_DEP_3)
	v_dual_add_f32 v7, v7, v21 :: v_dual_fma_f32 v13, v158, v94, -v13
	v_dual_mul_f32 v17, v155, v99 :: v_dual_fma_f32 v37, v148, v88, -v49
	v_dual_mul_f32 v177, v156, v101 :: v_dual_mul_f32 v179, v118, v103
	v_dual_add_f32 v7, v7, v23 :: v_dual_fma_f32 v23, v152, v92, -v35
	s_wait_loadcnt 0x4
	v_dual_add_f32 v11, v11, v39 :: v_dual_mov_b32 v78, v109
	v_fma_f32 v39, v150, v90, -v51
	v_pk_mul_f32 v[76:77], v[122:123], v[106:107] op_sel:[1,1] op_sel_hi:[0,1]
	s_delay_alu instid0(VALU_DEP_3) | instskip(NEXT) | instid1(VALU_DEP_4)
	v_dual_fmac_f32 v177, v157, v100 :: v_dual_add_f32 v11, v11, v37
	v_pk_mul_f32 v[78:79], v[170:171], v[78:79] op_sel_hi:[1,0]
	v_dual_fmac_f32 v25, v151, v90 :: v_dual_fma_f32 v15, v160, v96, -v15
	s_delay_alu instid0(VALU_DEP_4) | instskip(SKIP_3) | instid1(VALU_DEP_3)
	v_pk_fma_f32 v[88:89], v[122:123], v[106:107], v[76:77] op_sel_hi:[1,0,1]
	s_wait_loadcnt 0x3
	v_dual_add_f32 v11, v11, v39 :: v_dual_mov_b32 v84, v113
	v_pk_fma_f32 v[76:77], v[122:123], v[106:107], v[76:77] neg_lo:[0,0,1] neg_hi:[0,0,1]
	v_dual_fmac_f32 v29, v159, v94 :: v_dual_mov_b32 v77, v89
	v_pk_fma_f32 v[88:89], v[124:125], v[108:109], v[78:79] op_sel_hi:[1,0,1]
	s_delay_alu instid0(VALU_DEP_4) | instskip(SKIP_3) | instid1(VALU_DEP_4)
	v_add_f32_e32 v11, v11, v23
	v_pk_fma_f32 v[78:79], v[124:125], v[108:109], v[78:79] neg_lo:[0,0,1] neg_hi:[0,0,1]
	v_dual_mul_f32 v31, v160, v97 :: v_dual_mul_f32 v33, v154, v99
	v_mul_f32_e32 v19, v157, v101
	v_dual_mov_b32 v79, v89 :: v_dual_add_f32 v11, v11, v13
	v_dual_fma_f32 v13, v154, v98, -v17 :: v_dual_add_f32 v7, v7, v25
	s_delay_alu instid0(VALU_DEP_3) | instskip(SKIP_1) | instid1(VALU_DEP_3)
	v_dual_fma_f32 v176, v156, v100, -v19 :: v_dual_mul_f32 v21, v119, v103
	v_dual_fmac_f32 v31, v161, v96 :: v_dual_fmac_f32 v33, v155, v98
	v_add_f32_e32 v7, v7, v27
	s_delay_alu instid0(VALU_DEP_3) | instskip(SKIP_2) | instid1(VALU_DEP_4)
	v_dual_add_f32 v11, v11, v15 :: v_dual_fma_f32 v178, v118, v102, -v21
	v_pk_mul_f32 v[74:75], v[168:169], v[74:75] op_sel_hi:[1,0]
	v_fmac_f32_e32 v179, v119, v102
	v_add_f32_e32 v7, v7, v29
	s_delay_alu instid0(VALU_DEP_4)
	v_add_f32_e32 v82, v11, v13
	v_pk_mul_f32 v[80:81], v[126:127], v[110:111] op_sel:[1,1] op_sel_hi:[0,1]
	v_pk_fma_f32 v[86:87], v[120:121], v[104:105], v[74:75] op_sel_hi:[1,0,1]
	v_pk_fma_f32 v[74:75], v[120:121], v[104:105], v[74:75] neg_lo:[0,0,1] neg_hi:[0,0,1]
	v_add_f32_e32 v7, v7, v31
	v_pk_mul_f32 v[84:85], v[172:173], v[84:85] op_sel_hi:[1,0]
	s_delay_alu instid0(VALU_DEP_4) | instskip(SKIP_3) | instid1(VALU_DEP_1)
	v_mov_b32_e32 v75, v87
	s_wait_loadcnt 0x2
	v_pk_mul_f32 v[86:87], v[130:131], v[114:115] op_sel:[1,1] op_sel_hi:[0,1]
	v_add_f32_e32 v83, v7, v33
	v_pk_add_f32 v[82:83], v[82:83], v[176:177]
	s_delay_alu instid0(VALU_DEP_1) | instskip(NEXT) | instid1(VALU_DEP_1)
	v_pk_add_f32 v[82:83], v[82:83], v[178:179]
	v_pk_add_f32 v[74:75], v[82:83], v[74:75]
	v_pk_fma_f32 v[82:83], v[126:127], v[110:111], v[80:81] op_sel_hi:[1,0,1]
	v_pk_fma_f32 v[80:81], v[126:127], v[110:111], v[80:81] neg_lo:[0,0,1] neg_hi:[0,0,1]
	s_delay_alu instid0(VALU_DEP_3) | instskip(NEXT) | instid1(VALU_DEP_3)
	v_pk_add_f32 v[74:75], v[74:75], v[76:77]
	v_dual_mov_b32 v76, v117 :: v_dual_mov_b32 v81, v83
	v_pk_fma_f32 v[82:83], v[128:129], v[112:113], v[84:85] op_sel_hi:[1,0,1]
	v_pk_fma_f32 v[84:85], v[128:129], v[112:113], v[84:85] neg_lo:[0,0,1] neg_hi:[0,0,1]
	s_delay_alu instid0(VALU_DEP_4)
	v_pk_add_f32 v[74:75], v[74:75], v[78:79]
	v_pk_fma_f32 v[78:79], v[130:131], v[114:115], v[86:87] op_sel_hi:[1,0,1]
	v_pk_mul_f32 v[76:77], v[174:175], v[76:77] op_sel_hi:[1,0]
	v_mov_b32_e32 v85, v83
	s_wait_loadcnt_dscnt 0x100
	v_pk_mul_f32 v[82:83], v[166:167], v[162:163] op_sel:[1,1] op_sel_hi:[0,1]
	v_pk_add_f32 v[74:75], v[74:75], v[80:81]
	v_pk_fma_f32 v[80:81], v[130:131], v[114:115], v[86:87] neg_lo:[0,0,1] neg_hi:[0,0,1]
	v_mov_b32_e32 v81, v79
	v_pk_fma_f32 v[78:79], v[132:133], v[116:117], v[76:77] op_sel_hi:[1,0,1]
	v_pk_fma_f32 v[76:77], v[132:133], v[116:117], v[76:77] neg_lo:[0,0,1] neg_hi:[0,0,1]
	v_pk_add_f32 v[74:75], v[74:75], v[84:85]
	s_delay_alu instid0(VALU_DEP_3) | instskip(SKIP_1) | instid1(VALU_DEP_3)
	v_mov_b32_e32 v77, v79
	v_pk_fma_f32 v[78:79], v[166:167], v[162:163], v[82:83] op_sel_hi:[1,0,1]
	v_pk_add_f32 v[74:75], v[74:75], v[80:81]
	v_pk_fma_f32 v[80:81], v[166:167], v[162:163], v[82:83] neg_lo:[0,0,1] neg_hi:[0,0,1]
	s_delay_alu instid0(VALU_DEP_3) | instskip(NEXT) | instid1(VALU_DEP_3)
	v_mov_b32_e32 v81, v79
	v_pk_add_f32 v[74:75], v[74:75], v[76:77]
	s_delay_alu instid0(VALU_DEP_1) | instskip(SKIP_1) | instid1(VALU_DEP_1)
	v_pk_add_f32 v[74:75], v[74:75], v[80:81]
	s_wait_loadcnt 0x0
	v_pk_add_f32 v[74:75], v[164:165], v[74:75] neg_lo:[0,1] neg_hi:[0,1]
	scratch_store_b64 off, v[74:75], off offset:96
	s_wait_xcnt 0x0
	v_cmpx_lt_u32_e32 11, v0
	s_cbranch_execz .LBB35_207
; %bb.206:
	scratch_load_b64 v[74:75], off, off offset:88
	v_mov_b64_e32 v[76:77], 0
	scratch_store_b64 off, v[76:77], off offset:88
	s_wait_loadcnt 0x0
	ds_store_b64 v1, v[74:75]
.LBB35_207:
	s_wait_xcnt 0x0
	s_or_b32 exec_lo, exec_lo, s0
	s_wait_storecnt_dscnt 0x0
	s_barrier_signal -1
	s_barrier_wait -1
	s_clause 0xc
	scratch_load_b128 v[74:77], off, off offset:96
	scratch_load_b128 v[78:81], off, off offset:112
	;; [unrolled: 1-line block ×12, first 2 shown]
	scratch_load_b64 v[170:171], off, off offset:88
	ds_load_b128 v[122:125], v5 offset:512
	ds_load_b128 v[126:129], v5 offset:528
	ds_load_b128 v[130:133], v5 offset:544
	ds_load_b128 v[134:137], v5 offset:560
	ds_load_b128 v[138:141], v5 offset:384
	ds_load_b128 v[142:145], v5 offset:400
	ds_load_b128 v[146:149], v5 offset:416
	ds_load_b128 v[150:153], v5 offset:432
	ds_load_b128 v[154:157], v5 offset:448
	ds_load_b128 v[158:161], v5 offset:464
	ds_load_b128 v[162:165], v5 offset:480
	ds_load_b128 v[166:169], v5 offset:496
	s_mov_b32 s0, exec_lo
	s_wait_dscnt 0xb
	v_dual_mov_b32 v172, v125 :: v_dual_mov_b32 v173, v124
	s_wait_dscnt 0xa
	v_dual_mov_b32 v174, v129 :: v_dual_mov_b32 v175, v128
	s_wait_dscnt 0x9
	v_dual_mov_b32 v176, v133 :: v_dual_mov_b32 v177, v132
	s_wait_dscnt 0x8
	v_dual_mov_b32 v178, v137 :: v_dual_mov_b32 v179, v136
	s_wait_loadcnt_dscnt 0xc07
	v_dual_mul_f32 v5, v138, v75 :: v_dual_mul_f32 v7, v140, v77
	v_dual_mul_f32 v35, v139, v75 :: v_dual_mul_f32 v37, v141, v77
	s_wait_loadcnt_dscnt 0xb06
	v_dual_mul_f32 v11, v142, v79 :: v_dual_mul_f32 v13, v144, v81
	s_delay_alu instid0(VALU_DEP_2) | instskip(SKIP_3) | instid1(VALU_DEP_3)
	v_dual_fmac_f32 v5, v139, v74 :: v_dual_fma_f32 v35, v138, v74, -v35
	v_dual_mul_f32 v39, v143, v79 :: v_dual_mul_f32 v41, v145, v81
	s_wait_loadcnt_dscnt 0x904
	v_dual_mul_f32 v47, v151, v87 :: v_dual_fmac_f32 v7, v141, v76
	v_dual_fma_f32 v37, v140, v76, -v37 :: v_dual_add_f32 v5, 0, v5
	v_dual_add_f32 v35, 0, v35 :: v_dual_mul_f32 v49, v153, v89
	v_fmac_f32_e32 v11, v143, v78
	s_delay_alu instid0(VALU_DEP_3) | instskip(NEXT) | instid1(VALU_DEP_3)
	v_dual_fma_f32 v39, v142, v78, -v39 :: v_dual_add_f32 v5, v5, v7
	v_dual_add_f32 v7, v35, v37 :: v_dual_mul_f32 v15, v146, v83
	v_dual_mul_f32 v17, v148, v85 :: v_dual_mul_f32 v43, v147, v83
	s_wait_loadcnt_dscnt 0x803
	v_dual_mul_f32 v45, v149, v85 :: v_dual_mul_f32 v35, v155, v91
	v_fmac_f32_e32 v13, v145, v80
	v_dual_fma_f32 v37, v144, v80, -v41 :: v_dual_add_f32 v5, v5, v11
	v_dual_add_f32 v7, v7, v39 :: v_dual_mul_f32 v11, v157, v93
	v_fmac_f32_e32 v15, v147, v82
	s_delay_alu instid0(VALU_DEP_3) | instskip(NEXT) | instid1(VALU_DEP_3)
	v_dual_fma_f32 v39, v146, v82, -v43 :: v_dual_add_f32 v5, v5, v13
	v_dual_add_f32 v7, v7, v37 :: v_dual_mul_f32 v19, v150, v87
	s_wait_loadcnt_dscnt 0x702
	v_dual_mul_f32 v21, v152, v89 :: v_dual_mul_f32 v13, v159, v95
	v_fmac_f32_e32 v17, v149, v84
	v_dual_fma_f32 v37, v148, v84, -v45 :: v_dual_add_f32 v5, v5, v15
	v_dual_add_f32 v7, v7, v39 :: v_dual_mul_f32 v15, v161, v97
	v_fmac_f32_e32 v19, v151, v86
	s_delay_alu instid0(VALU_DEP_3) | instskip(NEXT) | instid1(VALU_DEP_3)
	v_dual_fma_f32 v39, v150, v86, -v47 :: v_dual_add_f32 v5, v5, v17
	v_dual_add_f32 v7, v7, v37 :: v_dual_mul_f32 v23, v154, v91
	;; [unrolled: 9-line block ×3, first 2 shown]
	s_wait_loadcnt_dscnt 0x500
	v_dual_mul_f32 v29, v160, v97 :: v_dual_mul_f32 v21, v167, v103
	v_dual_fmac_f32 v25, v157, v92 :: v_dual_fma_f32 v11, v156, v92, -v11
	v_add_f32_e32 v5, v5, v23
	v_dual_add_f32 v7, v7, v35 :: v_dual_mul_f32 v23, v169, v105
	v_dual_fmac_f32 v27, v159, v94 :: v_dual_fma_f32 v13, v158, v94, -v13
	s_delay_alu instid0(VALU_DEP_2) | instskip(SKIP_2) | instid1(VALU_DEP_3)
	v_dual_add_f32 v5, v5, v25 :: v_dual_add_f32 v7, v7, v11
	v_dual_mul_f32 v31, v162, v99 :: v_dual_mul_f32 v33, v164, v101
	v_dual_fmac_f32 v29, v161, v96 :: v_dual_fma_f32 v11, v160, v96, -v15
	v_dual_add_f32 v5, v5, v27 :: v_dual_add_f32 v7, v7, v13
	s_wait_loadcnt 0x4
	s_delay_alu instid0(VALU_DEP_3) | instskip(NEXT) | instid1(VALU_DEP_2)
	v_dual_mov_b32 v76, v109 :: v_dual_fmac_f32 v31, v163, v98
	v_dual_fma_f32 v13, v162, v98, -v17 :: v_dual_add_f32 v5, v5, v29
	s_delay_alu instid0(VALU_DEP_3) | instskip(SKIP_1) | instid1(VALU_DEP_3)
	v_dual_add_f32 v7, v7, v11 :: v_dual_fmac_f32 v33, v165, v100
	v_dual_mul_f32 v181, v166, v103 :: v_dual_mul_f32 v183, v168, v105
	v_dual_fma_f32 v11, v164, v100, -v19 :: v_dual_add_f32 v5, v5, v31
	s_wait_loadcnt 0x3
	s_delay_alu instid0(VALU_DEP_3) | instskip(SKIP_1) | instid1(VALU_DEP_3)
	v_dual_add_f32 v7, v7, v13 :: v_dual_mov_b32 v80, v113
	v_pk_mul_f32 v[74:75], v[122:123], v[106:107] op_sel:[1,1] op_sel_hi:[0,1]
	v_dual_fmac_f32 v181, v167, v102 :: v_dual_add_f32 v83, v5, v33
	s_delay_alu instid0(VALU_DEP_3) | instskip(SKIP_1) | instid1(VALU_DEP_4)
	v_dual_fma_f32 v180, v166, v102, -v21 :: v_dual_add_f32 v82, v7, v11
	v_fmac_f32_e32 v183, v169, v104
	v_pk_fma_f32 v[84:85], v[122:123], v[106:107], v[74:75] op_sel_hi:[1,0,1]
	v_fma_f32 v182, v168, v104, -v23
	v_pk_mul_f32 v[76:77], v[172:173], v[76:77] op_sel_hi:[1,0]
	v_pk_add_f32 v[82:83], v[82:83], v[180:181]
	v_pk_fma_f32 v[74:75], v[122:123], v[106:107], v[74:75] neg_lo:[0,0,1] neg_hi:[0,0,1]
	v_pk_mul_f32 v[78:79], v[126:127], v[110:111] op_sel:[1,1] op_sel_hi:[0,1]
	v_mov_b32_e32 v75, v85
	v_pk_fma_f32 v[84:85], v[124:125], v[108:109], v[76:77] op_sel_hi:[1,0,1]
	v_pk_add_f32 v[82:83], v[82:83], v[182:183]
	v_pk_fma_f32 v[76:77], v[124:125], v[108:109], v[76:77] neg_lo:[0,0,1] neg_hi:[0,0,1]
	v_pk_fma_f32 v[88:89], v[126:127], v[110:111], v[78:79] op_sel_hi:[1,0,1]
	v_pk_mul_f32 v[80:81], v[174:175], v[80:81] op_sel_hi:[1,0]
	v_mov_b32_e32 v77, v85
	v_pk_add_f32 v[74:75], v[82:83], v[74:75]
	s_wait_loadcnt 0x2
	v_pk_mul_f32 v[86:87], v[130:131], v[114:115] op_sel:[1,1] op_sel_hi:[0,1]
	v_mov_b32_e32 v82, v117
	v_pk_fma_f32 v[78:79], v[126:127], v[110:111], v[78:79] neg_lo:[0,0,1] neg_hi:[0,0,1]
	v_pk_fma_f32 v[84:85], v[128:129], v[112:113], v[80:81] op_sel_hi:[1,0,1]
	v_mov_b32_e32 v79, v89
	v_pk_add_f32 v[74:75], v[74:75], v[76:77]
	v_pk_fma_f32 v[76:77], v[130:131], v[114:115], v[86:87] op_sel_hi:[1,0,1]
	v_pk_mul_f32 v[82:83], v[176:177], v[82:83] op_sel_hi:[1,0]
	v_pk_fma_f32 v[80:81], v[128:129], v[112:113], v[80:81] neg_lo:[0,0,1] neg_hi:[0,0,1]
	v_mov_b32_e32 v81, v85
	v_pk_add_f32 v[74:75], v[74:75], v[78:79]
	v_pk_fma_f32 v[84:85], v[130:131], v[114:115], v[86:87] neg_lo:[0,0,1] neg_hi:[0,0,1]
	v_mov_b32_e32 v85, v77
	v_pk_fma_f32 v[76:77], v[132:133], v[116:117], v[82:83] op_sel_hi:[1,0,1]
	s_wait_loadcnt 0x1
	v_pk_mul_f32 v[78:79], v[134:135], v[118:119] op_sel:[1,1] op_sel_hi:[0,1]
	v_pk_add_f32 v[74:75], v[74:75], v[80:81]
	v_mov_b32_e32 v76, v121
	v_pk_fma_f32 v[82:83], v[132:133], v[116:117], v[82:83] neg_lo:[0,0,1] neg_hi:[0,0,1]
	s_delay_alu instid0(VALU_DEP_4)
	v_pk_fma_f32 v[80:81], v[134:135], v[118:119], v[78:79] op_sel_hi:[1,0,1]
	v_mov_b32_e32 v83, v77
	v_pk_add_f32 v[74:75], v[74:75], v[84:85]
	v_pk_mul_f32 v[76:77], v[178:179], v[76:77] op_sel_hi:[1,0]
	v_pk_fma_f32 v[78:79], v[134:135], v[118:119], v[78:79] neg_lo:[0,0,1] neg_hi:[0,0,1]
	v_mov_b32_e32 v79, v81
	s_delay_alu instid0(VALU_DEP_4) | instskip(NEXT) | instid1(VALU_DEP_4)
	v_pk_add_f32 v[74:75], v[74:75], v[82:83]
	v_pk_fma_f32 v[80:81], v[136:137], v[120:121], v[76:77] op_sel_hi:[1,0,1]
	v_pk_fma_f32 v[76:77], v[136:137], v[120:121], v[76:77] neg_lo:[0,0,1] neg_hi:[0,0,1]
	s_delay_alu instid0(VALU_DEP_3) | instskip(NEXT) | instid1(VALU_DEP_3)
	v_pk_add_f32 v[74:75], v[74:75], v[78:79]
	v_mov_b32_e32 v77, v81
	s_delay_alu instid0(VALU_DEP_1) | instskip(SKIP_1) | instid1(VALU_DEP_1)
	v_pk_add_f32 v[74:75], v[74:75], v[76:77]
	s_wait_loadcnt 0x0
	v_pk_add_f32 v[74:75], v[170:171], v[74:75] neg_lo:[0,1] neg_hi:[0,1]
	scratch_store_b64 off, v[74:75], off offset:88
	s_wait_xcnt 0x0
	v_cmpx_lt_u32_e32 10, v0
	s_cbranch_execz .LBB35_209
; %bb.208:
	scratch_load_b64 v[74:75], off, off offset:80
	v_mov_b64_e32 v[76:77], 0
	scratch_store_b64 off, v[76:77], off offset:80
	s_wait_loadcnt 0x0
	ds_store_b64 v1, v[74:75]
.LBB35_209:
	s_wait_xcnt 0x0
	s_or_b32 exec_lo, exec_lo, s0
	s_wait_storecnt_dscnt 0x0
	s_barrier_signal -1
	s_barrier_wait -1
	s_clause 0xd
	scratch_load_b128 v[74:77], off, off offset:88
	scratch_load_b128 v[78:81], off, off offset:104
	;; [unrolled: 1-line block ×12, first 2 shown]
	scratch_load_b64 v[170:171], off, off offset:280
	scratch_load_b64 v[172:173], off, off offset:80
	v_mov_b32_e32 v5, 0
	ds_load_2addr_b64 v[122:125], v5 offset0:63 offset1:64
	ds_load_2addr_b64 v[126:129], v5 offset0:65 offset1:66
	;; [unrolled: 1-line block ×12, first 2 shown]
	ds_load_b64 v[174:175], v5 offset:568
	s_mov_b32 s0, exec_lo
	s_wait_dscnt 0xb
	v_dual_mov_b32 v177, v124 :: v_dual_mov_b32 v178, v129
	s_wait_dscnt 0xa
	v_dual_mov_b32 v179, v128 :: v_dual_mov_b32 v180, v133
	;; [unrolled: 2-line block ×3, first 2 shown]
	v_dual_mov_b32 v181, v132 :: v_dual_mov_b32 v182, v137
	s_wait_loadcnt_dscnt 0xd08
	v_dual_mul_f32 v7, v138, v75 :: v_dual_mul_f32 v39, v139, v75
	v_dual_mul_f32 v41, v141, v77 :: v_dual_mul_f32 v11, v140, v77
	s_wait_loadcnt_dscnt 0xc07
	v_mul_f32_e32 v13, v142, v79
	s_wait_loadcnt_dscnt 0xa05
	v_dual_mul_f32 v51, v151, v87 :: v_dual_fma_f32 v39, v138, v74, -v39
	v_dual_fmac_f32 v7, v139, v74 :: v_dual_mul_f32 v53, v153, v89
	v_dual_mul_f32 v43, v143, v79 :: v_dual_mul_f32 v45, v145, v81
	v_dual_fmac_f32 v11, v141, v76 :: v_dual_fma_f32 v41, v140, v76, -v41
	s_delay_alu instid0(VALU_DEP_3) | instskip(NEXT) | instid1(VALU_DEP_3)
	v_dual_add_f32 v7, 0, v7 :: v_dual_fmac_f32 v13, v143, v78
	v_dual_add_f32 v39, 0, v39 :: v_dual_fma_f32 v43, v142, v78, -v43
	v_dual_mul_f32 v15, v144, v81 :: v_dual_mul_f32 v17, v146, v83
	s_delay_alu instid0(VALU_DEP_3) | instskip(NEXT) | instid1(VALU_DEP_3)
	v_add_f32_e32 v7, v7, v11
	v_dual_add_f32 v11, v39, v41 :: v_dual_fma_f32 v41, v144, v80, -v45
	v_dual_mul_f32 v47, v147, v83 :: v_dual_mul_f32 v49, v149, v85
	s_delay_alu instid0(VALU_DEP_3) | instskip(NEXT) | instid1(VALU_DEP_2)
	v_dual_fmac_f32 v15, v145, v80 :: v_dual_add_f32 v7, v7, v13
	v_dual_add_f32 v11, v11, v43 :: v_dual_fma_f32 v43, v146, v82, -v47
	v_dual_mul_f32 v19, v148, v85 :: v_dual_mul_f32 v21, v150, v87
	s_wait_loadcnt_dscnt 0x803
	s_delay_alu instid0(VALU_DEP_3) | instskip(NEXT) | instid1(VALU_DEP_3)
	v_dual_add_f32 v7, v7, v15 :: v_dual_mul_f32 v15, v161, v97
	v_dual_add_f32 v11, v11, v41 :: v_dual_fma_f32 v41, v148, v84, -v49
	v_dual_mul_f32 v55, v155, v91 :: v_dual_mul_f32 v39, v157, v93
	v_fmac_f32_e32 v17, v147, v82
	s_delay_alu instid0(VALU_DEP_3) | instskip(SKIP_2) | instid1(VALU_DEP_3)
	v_dual_add_f32 v11, v11, v43 :: v_dual_fma_f32 v43, v150, v86, -v51
	v_dual_mul_f32 v23, v152, v89 :: v_dual_mul_f32 v25, v154, v91
	v_dual_mul_f32 v13, v159, v95 :: v_dual_fmac_f32 v19, v149, v84
	v_dual_add_f32 v11, v11, v41 :: v_dual_fma_f32 v39, v156, v92, -v39
	s_delay_alu instid0(VALU_DEP_3) | instskip(NEXT) | instid1(VALU_DEP_2)
	v_dual_add_f32 v7, v7, v17 :: v_dual_fmac_f32 v23, v153, v88
	v_dual_fma_f32 v41, v152, v88, -v53 :: v_dual_add_f32 v11, v11, v43
	s_wait_loadcnt 0x5
	v_dual_mov_b32 v74, v109 :: v_dual_mul_f32 v27, v156, v93
	v_mul_f32_e32 v29, v158, v95
	s_wait_dscnt 0x2
	v_dual_mul_f32 v17, v163, v99 :: v_dual_fma_f32 v43, v154, v90, -v55
	v_fmac_f32_e32 v21, v151, v86
	v_dual_add_f32 v7, v7, v19 :: v_dual_fmac_f32 v27, v157, v92
	s_wait_loadcnt 0x4
	v_dual_add_f32 v11, v11, v41 :: v_dual_mov_b32 v78, v113
	v_mul_f32_e32 v19, v165, v101
	s_delay_alu instid0(VALU_DEP_3) | instskip(NEXT) | instid1(VALU_DEP_3)
	v_dual_add_f32 v7, v7, v21 :: v_dual_fma_f32 v13, v158, v94, -v13
	v_add_f32_e32 v11, v11, v43
	v_dual_fmac_f32 v25, v155, v90 :: v_dual_fma_f32 v15, v160, v96, -v15
	s_delay_alu instid0(VALU_DEP_3)
	v_add_f32_e32 v7, v7, v23
	v_pk_mul_f32 v[76:77], v[126:127], v[110:111] op_sel:[1,1] op_sel_hi:[0,1]
	s_wait_loadcnt 0x3
	v_dual_add_f32 v11, v11, v39 :: v_dual_mov_b32 v84, v117
	s_wait_dscnt 0x1
	v_dual_mul_f32 v35, v164, v101 :: v_dual_mul_f32 v37, v166, v103
	v_pk_fma_f32 v[88:89], v[126:127], v[110:111], v[76:77] op_sel_hi:[1,0,1]
	s_delay_alu instid0(VALU_DEP_3) | instskip(NEXT) | instid1(VALU_DEP_3)
	v_dual_add_f32 v11, v11, v13 :: v_dual_fma_f32 v13, v162, v98, -v17
	v_dual_add_f32 v7, v7, v25 :: v_dual_fmac_f32 v35, v165, v100
	v_pk_fma_f32 v[76:77], v[126:127], v[110:111], v[76:77] neg_lo:[0,0,1] neg_hi:[0,0,1]
	v_dual_mul_f32 v31, v160, v97 :: v_dual_mul_f32 v33, v162, v99
	v_dual_mul_f32 v185, v168, v105 :: v_dual_mul_f32 v187, v122, v107
	s_delay_alu instid0(VALU_DEP_2) | instskip(SKIP_1) | instid1(VALU_DEP_3)
	v_dual_mul_f32 v21, v167, v103 :: v_dual_fmac_f32 v31, v161, v96
	v_dual_mul_f32 v23, v169, v105 :: v_dual_fmac_f32 v29, v159, v94
	v_dual_add_f32 v7, v7, v27 :: v_dual_fmac_f32 v185, v169, v104
	v_dual_mov_b32 v77, v89 :: v_dual_add_f32 v11, v11, v15
	s_delay_alu instid0(VALU_DEP_3) | instskip(SKIP_1) | instid1(VALU_DEP_3)
	v_dual_mul_f32 v25, v123, v107 :: v_dual_fma_f32 v184, v168, v104, -v23
	v_pk_mul_f32 v[78:79], v[178:179], v[78:79] op_sel_hi:[1,0]
	v_dual_fma_f32 v15, v164, v100, -v19 :: v_dual_add_f32 v11, v11, v13
	v_dual_fma_f32 v13, v166, v102, -v21 :: v_dual_add_f32 v7, v7, v29
	s_delay_alu instid0(VALU_DEP_4) | instskip(NEXT) | instid1(VALU_DEP_4)
	v_fma_f32 v186, v122, v106, -v25
	v_pk_fma_f32 v[88:89], v[128:129], v[112:113], v[78:79] op_sel_hi:[1,0,1]
	v_fmac_f32_e32 v33, v163, v98
	v_pk_fma_f32 v[78:79], v[128:129], v[112:113], v[78:79] neg_lo:[0,0,1] neg_hi:[0,0,1]
	v_add_f32_e32 v7, v7, v31
	s_delay_alu instid0(VALU_DEP_4) | instskip(SKIP_2) | instid1(VALU_DEP_4)
	v_dual_fmac_f32 v37, v167, v102 :: v_dual_mov_b32 v79, v89
	v_add_f32_e32 v11, v11, v15
	v_pk_mul_f32 v[74:75], v[176:177], v[74:75] op_sel_hi:[1,0]
	v_add_f32_e32 v7, v7, v33
	v_fmac_f32_e32 v187, v123, v106
	v_pk_mul_f32 v[80:81], v[130:131], v[114:115] op_sel:[1,1] op_sel_hi:[0,1]
	v_add_f32_e32 v82, v11, v13
	v_pk_fma_f32 v[86:87], v[124:125], v[108:109], v[74:75] op_sel_hi:[1,0,1]
	v_add_f32_e32 v7, v7, v35
	v_pk_fma_f32 v[74:75], v[124:125], v[108:109], v[74:75] neg_lo:[0,0,1] neg_hi:[0,0,1]
	v_pk_mul_f32 v[84:85], v[180:181], v[84:85] op_sel_hi:[1,0]
	s_delay_alu instid0(VALU_DEP_4) | instskip(NEXT) | instid1(VALU_DEP_4)
	v_mov_b32_e32 v75, v87
	v_add_f32_e32 v83, v7, v37
	s_wait_loadcnt 0x2
	v_pk_mul_f32 v[86:87], v[134:135], v[118:119] op_sel:[1,1] op_sel_hi:[0,1]
	s_delay_alu instid0(VALU_DEP_2) | instskip(NEXT) | instid1(VALU_DEP_1)
	v_pk_add_f32 v[82:83], v[82:83], v[184:185]
	v_pk_add_f32 v[82:83], v[82:83], v[186:187]
	s_delay_alu instid0(VALU_DEP_1) | instskip(SKIP_2) | instid1(VALU_DEP_3)
	v_pk_add_f32 v[74:75], v[82:83], v[74:75]
	v_pk_fma_f32 v[82:83], v[130:131], v[114:115], v[80:81] op_sel_hi:[1,0,1]
	v_pk_fma_f32 v[80:81], v[130:131], v[114:115], v[80:81] neg_lo:[0,0,1] neg_hi:[0,0,1]
	v_pk_add_f32 v[74:75], v[74:75], v[76:77]
	s_delay_alu instid0(VALU_DEP_3) | instskip(SKIP_2) | instid1(VALU_DEP_4)
	v_dual_mov_b32 v76, v121 :: v_dual_mov_b32 v81, v83
	v_pk_fma_f32 v[82:83], v[132:133], v[116:117], v[84:85] op_sel_hi:[1,0,1]
	v_pk_fma_f32 v[84:85], v[132:133], v[116:117], v[84:85] neg_lo:[0,0,1] neg_hi:[0,0,1]
	v_pk_add_f32 v[74:75], v[74:75], v[78:79]
	v_pk_fma_f32 v[78:79], v[134:135], v[118:119], v[86:87] op_sel_hi:[1,0,1]
	v_pk_mul_f32 v[76:77], v[182:183], v[76:77] op_sel_hi:[1,0]
	v_mov_b32_e32 v85, v83
	s_wait_loadcnt_dscnt 0x100
	v_pk_mul_f32 v[82:83], v[174:175], v[170:171] op_sel:[1,1] op_sel_hi:[0,1]
	v_pk_add_f32 v[74:75], v[74:75], v[80:81]
	v_pk_fma_f32 v[80:81], v[134:135], v[118:119], v[86:87] neg_lo:[0,0,1] neg_hi:[0,0,1]
	v_mov_b32_e32 v81, v79
	v_pk_fma_f32 v[78:79], v[136:137], v[120:121], v[76:77] op_sel_hi:[1,0,1]
	v_pk_fma_f32 v[76:77], v[136:137], v[120:121], v[76:77] neg_lo:[0,0,1] neg_hi:[0,0,1]
	v_pk_add_f32 v[74:75], v[74:75], v[84:85]
	s_delay_alu instid0(VALU_DEP_3) | instskip(SKIP_1) | instid1(VALU_DEP_3)
	v_mov_b32_e32 v77, v79
	v_pk_fma_f32 v[78:79], v[174:175], v[170:171], v[82:83] op_sel_hi:[1,0,1]
	v_pk_add_f32 v[74:75], v[74:75], v[80:81]
	v_pk_fma_f32 v[80:81], v[174:175], v[170:171], v[82:83] neg_lo:[0,0,1] neg_hi:[0,0,1]
	s_delay_alu instid0(VALU_DEP_3) | instskip(NEXT) | instid1(VALU_DEP_3)
	v_mov_b32_e32 v81, v79
	v_pk_add_f32 v[74:75], v[74:75], v[76:77]
	s_delay_alu instid0(VALU_DEP_1) | instskip(SKIP_1) | instid1(VALU_DEP_1)
	v_pk_add_f32 v[74:75], v[74:75], v[80:81]
	s_wait_loadcnt 0x0
	v_pk_add_f32 v[74:75], v[172:173], v[74:75] neg_lo:[0,1] neg_hi:[0,1]
	scratch_store_b64 off, v[74:75], off offset:80
	s_wait_xcnt 0x0
	v_cmpx_lt_u32_e32 9, v0
	s_cbranch_execz .LBB35_211
; %bb.210:
	scratch_load_b64 v[74:75], off, off offset:72
	v_mov_b64_e32 v[76:77], 0
	scratch_store_b64 off, v[76:77], off offset:72
	s_wait_loadcnt 0x0
	ds_store_b64 v1, v[74:75]
.LBB35_211:
	s_wait_xcnt 0x0
	s_or_b32 exec_lo, exec_lo, s0
	s_wait_storecnt_dscnt 0x0
	s_barrier_signal -1
	s_barrier_wait -1
	s_clause 0xd
	scratch_load_b128 v[74:77], off, off offset:80
	scratch_load_b128 v[78:81], off, off offset:96
	;; [unrolled: 1-line block ×13, first 2 shown]
	scratch_load_b64 v[178:179], off, off offset:72
	ds_load_b128 v[126:129], v5 offset:512
	ds_load_b128 v[130:133], v5 offset:528
	ds_load_b128 v[134:137], v5 offset:544
	ds_load_b128 v[138:141], v5 offset:560
	ds_load_b128 v[142:145], v5 offset:368
	ds_load_b128 v[146:149], v5 offset:384
	ds_load_b128 v[150:153], v5 offset:400
	ds_load_b128 v[154:157], v5 offset:416
	ds_load_b128 v[158:161], v5 offset:496
	ds_load_b128 v[162:165], v5 offset:432
	ds_load_b128 v[166:169], v5 offset:448
	ds_load_b128 v[170:173], v5 offset:464
	ds_load_b128 v[174:177], v5 offset:480
	s_mov_b32 s0, exec_lo
	s_wait_dscnt 0xc
	v_dual_mov_b32 v180, v129 :: v_dual_mov_b32 v181, v128
	s_wait_dscnt 0xb
	v_dual_mov_b32 v182, v133 :: v_dual_mov_b32 v183, v132
	;; [unrolled: 2-line block ×4, first 2 shown]
	s_wait_loadcnt_dscnt 0xd08
	v_dual_mul_f32 v5, v142, v75 :: v_dual_mul_f32 v7, v144, v77
	v_dual_mul_f32 v39, v143, v75 :: v_dual_mul_f32 v41, v145, v77
	s_wait_loadcnt_dscnt 0xc07
	v_dual_mul_f32 v11, v146, v79 :: v_dual_mul_f32 v13, v148, v81
	s_delay_alu instid0(VALU_DEP_2) | instskip(SKIP_3) | instid1(VALU_DEP_3)
	v_dual_fmac_f32 v5, v143, v74 :: v_dual_fma_f32 v39, v142, v74, -v39
	v_dual_mul_f32 v43, v147, v79 :: v_dual_mul_f32 v45, v149, v81
	s_wait_loadcnt_dscnt 0xa05
	v_dual_mul_f32 v51, v155, v87 :: v_dual_fmac_f32 v7, v145, v76
	v_dual_fma_f32 v41, v144, v76, -v41 :: v_dual_add_f32 v5, 0, v5
	v_dual_add_f32 v39, 0, v39 :: v_dual_mul_f32 v53, v157, v89
	v_fmac_f32_e32 v11, v147, v78
	s_delay_alu instid0(VALU_DEP_3) | instskip(NEXT) | instid1(VALU_DEP_3)
	v_dual_fma_f32 v43, v146, v78, -v43 :: v_dual_add_f32 v5, v5, v7
	v_dual_add_f32 v7, v39, v41 :: v_dual_mul_f32 v15, v150, v83
	v_dual_mul_f32 v17, v152, v85 :: v_dual_mul_f32 v47, v151, v83
	s_wait_loadcnt_dscnt 0x903
	v_dual_mul_f32 v49, v153, v85 :: v_dual_mul_f32 v39, v163, v91
	v_fmac_f32_e32 v13, v149, v80
	v_dual_fma_f32 v41, v148, v80, -v45 :: v_dual_add_f32 v5, v5, v11
	v_dual_add_f32 v7, v7, v43 :: v_dual_mul_f32 v11, v165, v93
	v_fmac_f32_e32 v15, v151, v82
	s_delay_alu instid0(VALU_DEP_3) | instskip(NEXT) | instid1(VALU_DEP_3)
	v_dual_fma_f32 v43, v150, v82, -v47 :: v_dual_add_f32 v5, v5, v13
	v_dual_add_f32 v7, v7, v41 :: v_dual_mul_f32 v19, v154, v87
	s_wait_loadcnt_dscnt 0x802
	v_dual_mul_f32 v21, v156, v89 :: v_dual_mul_f32 v13, v167, v95
	v_fmac_f32_e32 v17, v153, v84
	v_dual_fma_f32 v41, v152, v84, -v49 :: v_dual_add_f32 v5, v5, v15
	v_dual_add_f32 v7, v7, v43 :: v_dual_mul_f32 v15, v169, v97
	v_fmac_f32_e32 v19, v155, v86
	s_delay_alu instid0(VALU_DEP_3) | instskip(NEXT) | instid1(VALU_DEP_3)
	v_dual_fma_f32 v43, v154, v86, -v51 :: v_dual_add_f32 v5, v5, v17
	v_dual_add_f32 v7, v7, v41 :: v_dual_mul_f32 v23, v162, v91
	;; [unrolled: 9-line block ×3, first 2 shown]
	s_wait_loadcnt_dscnt 0x600
	v_dual_mul_f32 v29, v168, v97 :: v_dual_mul_f32 v21, v175, v103
	v_dual_fmac_f32 v25, v165, v92 :: v_dual_fma_f32 v11, v164, v92, -v11
	v_add_f32_e32 v5, v5, v23
	v_dual_add_f32 v7, v7, v39 :: v_dual_mul_f32 v23, v177, v105
	v_dual_fmac_f32 v27, v167, v94 :: v_dual_fma_f32 v13, v166, v94, -v13
	s_delay_alu instid0(VALU_DEP_2) | instskip(SKIP_3) | instid1(VALU_DEP_3)
	v_dual_add_f32 v5, v5, v25 :: v_dual_add_f32 v7, v7, v11
	v_dual_mul_f32 v31, v170, v99 :: v_dual_mul_f32 v33, v172, v101
	s_wait_loadcnt 0x5
	v_dual_mul_f32 v11, v159, v107 :: v_dual_fmac_f32 v29, v169, v96
	v_dual_fma_f32 v15, v168, v96, -v15 :: v_dual_add_f32 v5, v5, v27
	v_dual_add_f32 v7, v7, v13 :: v_dual_fma_f32 v17, v170, v98, -v17
	v_dual_mul_f32 v13, v161, v109 :: v_dual_fmac_f32 v31, v171, v98
	s_delay_alu instid0(VALU_DEP_2) | instskip(SKIP_2) | instid1(VALU_DEP_3)
	v_dual_add_f32 v5, v5, v29 :: v_dual_add_f32 v7, v7, v15
	v_dual_mul_f32 v35, v174, v103 :: v_dual_mul_f32 v37, v176, v105
	v_dual_fmac_f32 v33, v173, v100 :: v_dual_fma_f32 v15, v172, v100, -v19
	v_dual_add_f32 v5, v5, v31 :: v_dual_add_f32 v7, v7, v17
	s_wait_loadcnt 0x4
	s_delay_alu instid0(VALU_DEP_3) | instskip(NEXT) | instid1(VALU_DEP_2)
	v_dual_mov_b32 v76, v113 :: v_dual_fmac_f32 v35, v175, v102
	v_dual_fma_f32 v17, v174, v102, -v21 :: v_dual_add_f32 v5, v5, v33
	s_delay_alu instid0(VALU_DEP_3) | instskip(SKIP_1) | instid1(VALU_DEP_3)
	v_dual_add_f32 v7, v7, v15 :: v_dual_fmac_f32 v37, v177, v104
	v_dual_mul_f32 v189, v158, v107 :: v_dual_mul_f32 v191, v160, v109
	v_dual_fma_f32 v15, v176, v104, -v23 :: v_dual_add_f32 v5, v5, v35
	s_wait_loadcnt 0x3
	s_delay_alu instid0(VALU_DEP_3) | instskip(SKIP_2) | instid1(VALU_DEP_3)
	v_dual_add_f32 v7, v7, v17 :: v_dual_mov_b32 v80, v117
	v_pk_mul_f32 v[74:75], v[126:127], v[110:111] op_sel:[1,1] op_sel_hi:[0,1]
	v_dual_fmac_f32 v189, v159, v106 :: v_dual_fma_f32 v188, v158, v106, -v11
	v_dual_add_f32 v83, v5, v37 :: v_dual_add_f32 v82, v7, v15
	v_dual_fmac_f32 v191, v161, v108 :: v_dual_fma_f32 v190, v160, v108, -v13
	s_delay_alu instid0(VALU_DEP_4) | instskip(SKIP_1) | instid1(VALU_DEP_4)
	v_pk_fma_f32 v[84:85], v[126:127], v[110:111], v[74:75] op_sel_hi:[1,0,1]
	v_pk_mul_f32 v[76:77], v[180:181], v[76:77] op_sel_hi:[1,0]
	v_pk_add_f32 v[82:83], v[82:83], v[188:189]
	v_pk_fma_f32 v[74:75], v[126:127], v[110:111], v[74:75] neg_lo:[0,0,1] neg_hi:[0,0,1]
	v_pk_mul_f32 v[78:79], v[130:131], v[114:115] op_sel:[1,1] op_sel_hi:[0,1]
	v_mov_b32_e32 v75, v85
	v_pk_fma_f32 v[84:85], v[128:129], v[112:113], v[76:77] op_sel_hi:[1,0,1]
	v_pk_add_f32 v[82:83], v[82:83], v[190:191]
	v_pk_fma_f32 v[76:77], v[128:129], v[112:113], v[76:77] neg_lo:[0,0,1] neg_hi:[0,0,1]
	v_pk_fma_f32 v[88:89], v[130:131], v[114:115], v[78:79] op_sel_hi:[1,0,1]
	v_pk_mul_f32 v[80:81], v[182:183], v[80:81] op_sel_hi:[1,0]
	v_mov_b32_e32 v77, v85
	v_pk_add_f32 v[74:75], v[82:83], v[74:75]
	s_wait_loadcnt 0x2
	v_pk_mul_f32 v[86:87], v[134:135], v[118:119] op_sel:[1,1] op_sel_hi:[0,1]
	v_mov_b32_e32 v82, v121
	v_pk_fma_f32 v[78:79], v[130:131], v[114:115], v[78:79] neg_lo:[0,0,1] neg_hi:[0,0,1]
	v_mov_b32_e32 v79, v89
	v_pk_fma_f32 v[84:85], v[132:133], v[116:117], v[80:81] op_sel_hi:[1,0,1]
	v_pk_add_f32 v[74:75], v[74:75], v[76:77]
	v_pk_fma_f32 v[76:77], v[134:135], v[118:119], v[86:87] op_sel_hi:[1,0,1]
	v_pk_mul_f32 v[82:83], v[184:185], v[82:83] op_sel_hi:[1,0]
	v_pk_fma_f32 v[80:81], v[132:133], v[116:117], v[80:81] neg_lo:[0,0,1] neg_hi:[0,0,1]
	v_mov_b32_e32 v81, v85
	v_pk_add_f32 v[74:75], v[74:75], v[78:79]
	v_pk_fma_f32 v[84:85], v[134:135], v[118:119], v[86:87] neg_lo:[0,0,1] neg_hi:[0,0,1]
	v_mov_b32_e32 v85, v77
	v_pk_fma_f32 v[76:77], v[136:137], v[120:121], v[82:83] op_sel_hi:[1,0,1]
	s_wait_loadcnt 0x1
	v_pk_mul_f32 v[78:79], v[138:139], v[122:123] op_sel:[1,1] op_sel_hi:[0,1]
	v_pk_add_f32 v[74:75], v[74:75], v[80:81]
	v_mov_b32_e32 v76, v125
	v_pk_fma_f32 v[82:83], v[136:137], v[120:121], v[82:83] neg_lo:[0,0,1] neg_hi:[0,0,1]
	v_mov_b32_e32 v83, v77
	v_pk_fma_f32 v[80:81], v[138:139], v[122:123], v[78:79] op_sel_hi:[1,0,1]
	v_pk_add_f32 v[74:75], v[74:75], v[84:85]
	v_pk_mul_f32 v[76:77], v[186:187], v[76:77] op_sel_hi:[1,0]
	v_pk_fma_f32 v[78:79], v[138:139], v[122:123], v[78:79] neg_lo:[0,0,1] neg_hi:[0,0,1]
	s_delay_alu instid0(VALU_DEP_4) | instskip(NEXT) | instid1(VALU_DEP_4)
	v_mov_b32_e32 v79, v81
	v_pk_add_f32 v[74:75], v[74:75], v[82:83]
	s_delay_alu instid0(VALU_DEP_4) | instskip(SKIP_1) | instid1(VALU_DEP_2)
	v_pk_fma_f32 v[80:81], v[140:141], v[124:125], v[76:77] op_sel_hi:[1,0,1]
	v_pk_fma_f32 v[76:77], v[140:141], v[124:125], v[76:77] neg_lo:[0,0,1] neg_hi:[0,0,1]
	v_mov_b32_e32 v77, v81
	s_delay_alu instid0(VALU_DEP_4) | instskip(NEXT) | instid1(VALU_DEP_1)
	v_pk_add_f32 v[74:75], v[74:75], v[78:79]
	v_pk_add_f32 v[74:75], v[74:75], v[76:77]
	s_wait_loadcnt 0x0
	s_delay_alu instid0(VALU_DEP_1)
	v_pk_add_f32 v[74:75], v[178:179], v[74:75] neg_lo:[0,1] neg_hi:[0,1]
	scratch_store_b64 off, v[74:75], off offset:72
	s_wait_xcnt 0x0
	v_cmpx_lt_u32_e32 8, v0
	s_cbranch_execz .LBB35_213
; %bb.212:
	scratch_load_b64 v[74:75], off, off offset:64
	v_mov_b64_e32 v[76:77], 0
	scratch_store_b64 off, v[76:77], off offset:64
	s_wait_loadcnt 0x0
	ds_store_b64 v1, v[74:75]
.LBB35_213:
	s_wait_xcnt 0x0
	s_or_b32 exec_lo, exec_lo, s0
	s_wait_storecnt_dscnt 0x0
	s_barrier_signal -1
	s_barrier_wait -1
	s_clause 0xe
	scratch_load_b128 v[74:77], off, off offset:72
	scratch_load_b128 v[78:81], off, off offset:88
	;; [unrolled: 1-line block ×13, first 2 shown]
	scratch_load_b64 v[178:179], off, off offset:280
	scratch_load_b64 v[180:181], off, off offset:64
	v_mov_b32_e32 v5, 0
	ds_load_2addr_b64 v[126:129], v5 offset0:63 offset1:64
	ds_load_2addr_b64 v[130:133], v5 offset0:65 offset1:66
	;; [unrolled: 1-line block ×13, first 2 shown]
	ds_load_b64 v[182:183], v5 offset:568
	s_mov_b32 s0, exec_lo
	s_wait_dscnt 0xc
	v_dual_mov_b32 v185, v128 :: v_dual_mov_b32 v186, v133
	s_wait_dscnt 0xb
	v_dual_mov_b32 v187, v132 :: v_dual_mov_b32 v188, v137
	s_wait_dscnt 0xa
	v_dual_mov_b32 v191, v140 :: v_dual_mov_b32 v184, v129
	v_dual_mov_b32 v189, v136 :: v_dual_mov_b32 v190, v141
	s_wait_loadcnt_dscnt 0xe09
	v_dual_mul_f32 v7, v142, v75 :: v_dual_mul_f32 v11, v144, v77
	s_wait_loadcnt_dscnt 0xd08
	v_mul_f32_e32 v13, v146, v79
	v_dual_mul_f32 v43, v143, v75 :: v_dual_mul_f32 v45, v145, v77
	s_wait_loadcnt_dscnt 0xb05
	v_dual_fmac_f32 v7, v143, v74 :: v_dual_mul_f32 v57, v161, v89
	s_delay_alu instid0(VALU_DEP_2) | instskip(NEXT) | instid1(VALU_DEP_3)
	v_dual_mul_f32 v55, v159, v87 :: v_dual_fma_f32 v43, v142, v74, -v43
	v_dual_fmac_f32 v11, v145, v76 :: v_dual_fma_f32 v45, v144, v76, -v45
	s_delay_alu instid0(VALU_DEP_3) | instskip(SKIP_3) | instid1(VALU_DEP_3)
	v_dual_add_f32 v7, 0, v7 :: v_dual_fmac_f32 v13, v147, v78
	v_dual_mul_f32 v15, v148, v81 :: v_dual_mul_f32 v17, v150, v83
	v_dual_mul_f32 v47, v147, v79 :: v_dual_mul_f32 v49, v149, v81
	v_add_f32_e32 v43, 0, v43
	v_dual_add_f32 v7, v7, v11 :: v_dual_fmac_f32 v15, v149, v80
	v_dual_mul_f32 v51, v151, v83 :: v_dual_mul_f32 v53, v153, v85
	s_delay_alu instid0(VALU_DEP_3) | instskip(NEXT) | instid1(VALU_DEP_3)
	v_dual_fma_f32 v47, v146, v78, -v47 :: v_dual_add_f32 v11, v43, v45
	v_dual_fma_f32 v45, v148, v80, -v49 :: v_dual_add_f32 v7, v7, v13
	v_dual_mul_f32 v19, v152, v85 :: v_dual_mul_f32 v21, v158, v87
	s_delay_alu instid0(VALU_DEP_3) | instskip(SKIP_1) | instid1(VALU_DEP_4)
	v_add_f32_e32 v11, v11, v47
	v_dual_fmac_f32 v17, v151, v82 :: v_dual_fma_f32 v47, v150, v82, -v51
	v_dual_add_f32 v7, v7, v15 :: v_dual_mul_f32 v23, v160, v89
	s_wait_loadcnt_dscnt 0xa04
	v_mul_f32_e32 v25, v162, v91
	s_wait_loadcnt_dscnt 0x903
	v_dual_mul_f32 v13, v167, v95 :: v_dual_fmac_f32 v19, v153, v84
	v_mul_f32_e32 v15, v169, v97
	v_dual_add_f32 v11, v11, v45 :: v_dual_fma_f32 v45, v152, v84, -v53
	v_dual_add_f32 v7, v7, v17 :: v_dual_fmac_f32 v23, v161, v88
	v_dual_mul_f32 v27, v164, v93 :: v_dual_mul_f32 v29, v166, v95
	s_delay_alu instid0(VALU_DEP_3) | instskip(SKIP_1) | instid1(VALU_DEP_3)
	v_add_f32_e32 v11, v11, v47
	v_fmac_f32_e32 v21, v159, v86
	v_dual_add_f32 v7, v7, v19 :: v_dual_fmac_f32 v27, v165, v92
	v_dual_mul_f32 v59, v163, v91 :: v_dual_mul_f32 v43, v165, v93
	s_delay_alu instid0(VALU_DEP_4) | instskip(NEXT) | instid1(VALU_DEP_3)
	v_dual_fma_f32 v47, v158, v86, -v55 :: v_dual_add_f32 v11, v11, v45
	v_dual_add_f32 v7, v7, v21 :: v_dual_fma_f32 v13, v166, v94, -v13
	s_wait_loadcnt_dscnt 0x802
	v_mul_f32_e32 v17, v171, v99
	v_dual_fmac_f32 v25, v163, v90 :: v_dual_fma_f32 v15, v168, v96, -v15
	v_dual_fma_f32 v43, v164, v92, -v43 :: v_dual_add_f32 v11, v11, v47
	v_dual_fma_f32 v47, v162, v90, -v59 :: v_dual_add_f32 v7, v7, v23
	s_delay_alu instid0(VALU_DEP_4) | instskip(SKIP_2) | instid1(VALU_DEP_3)
	v_dual_fma_f32 v17, v170, v98, -v17 :: v_dual_mul_f32 v35, v172, v101
	s_wait_loadcnt_dscnt 0x701
	v_dual_mul_f32 v37, v174, v103 :: v_dual_fma_f32 v45, v160, v88, -v57
	v_add_f32_e32 v7, v7, v25
	s_wait_loadcnt 0x6
	v_dual_mul_f32 v39, v176, v105 :: v_dual_mul_f32 v41, v154, v107
	v_dual_fmac_f32 v35, v173, v100 :: v_dual_mul_f32 v19, v173, v101
	s_delay_alu instid0(VALU_DEP_2)
	v_dual_add_f32 v7, v7, v27 :: v_dual_fmac_f32 v39, v177, v104
	v_mul_f32_e32 v27, v157, v109
	s_wait_loadcnt 0x5
	v_dual_add_f32 v11, v11, v45 :: v_dual_mov_b32 v74, v113
	v_mul_f32_e32 v23, v177, v105
	v_dual_mul_f32 v193, v156, v109 :: v_dual_mul_f32 v195, v126, v111
	s_delay_alu instid0(VALU_DEP_3) | instskip(SKIP_3) | instid1(VALU_DEP_3)
	v_add_f32_e32 v11, v11, v47
	s_wait_loadcnt 0x4
	v_pk_mul_f32 v[76:77], v[130:131], v[114:115] op_sel:[1,1] op_sel_hi:[0,1]
	v_dual_mul_f32 v31, v168, v97 :: v_dual_mul_f32 v33, v170, v99
	v_dual_fmac_f32 v193, v157, v108 :: v_dual_add_f32 v11, v11, v43
	s_delay_alu instid0(VALU_DEP_3) | instskip(SKIP_1) | instid1(VALU_DEP_4)
	v_pk_fma_f32 v[88:89], v[130:131], v[114:115], v[76:77] op_sel_hi:[1,0,1]
	v_pk_fma_f32 v[76:77], v[130:131], v[114:115], v[76:77] neg_lo:[0,0,1] neg_hi:[0,0,1]
	v_dual_mul_f32 v21, v175, v103 :: v_dual_fmac_f32 v31, v169, v96
	s_delay_alu instid0(VALU_DEP_4) | instskip(SKIP_2) | instid1(VALU_DEP_3)
	v_add_f32_e32 v11, v11, v13
	v_dual_fmac_f32 v29, v167, v94 :: v_dual_mov_b32 v78, v117
	v_dual_mov_b32 v77, v89 :: v_dual_mul_f32 v25, v155, v107
	v_dual_add_f32 v11, v11, v15 :: v_dual_fma_f32 v15, v172, v100, -v19
	s_delay_alu instid0(VALU_DEP_3) | instskip(SKIP_1) | instid1(VALU_DEP_3)
	v_add_f32_e32 v7, v7, v29
	v_dual_mul_f32 v13, v127, v111 :: v_dual_fma_f32 v192, v156, v108, -v27
	v_dual_add_f32 v11, v11, v17 :: v_dual_fma_f32 v17, v174, v102, -v21
	s_wait_loadcnt 0x3
	v_dual_fmac_f32 v33, v171, v98 :: v_dual_mov_b32 v84, v121
	v_pk_mul_f32 v[78:79], v[186:187], v[78:79] op_sel_hi:[1,0]
	s_delay_alu instid0(VALU_DEP_3) | instskip(SKIP_1) | instid1(VALU_DEP_3)
	v_dual_add_f32 v11, v11, v15 :: v_dual_fma_f32 v194, v126, v110, -v13
	v_dual_fmac_f32 v37, v175, v102 :: v_dual_fma_f32 v15, v176, v104, -v23
	v_pk_fma_f32 v[88:89], v[132:133], v[116:117], v[78:79] op_sel_hi:[1,0,1]
	s_delay_alu instid0(VALU_DEP_3) | instskip(SKIP_2) | instid1(VALU_DEP_4)
	v_dual_add_f32 v11, v11, v17 :: v_dual_fma_f32 v17, v154, v106, -v25
	v_add_f32_e32 v7, v7, v31
	v_pk_fma_f32 v[78:79], v[132:133], v[116:117], v[78:79] neg_lo:[0,0,1] neg_hi:[0,0,1]
	v_dual_mov_b32 v79, v89 :: v_dual_fmac_f32 v41, v155, v106
	s_delay_alu instid0(VALU_DEP_4) | instskip(NEXT) | instid1(VALU_DEP_4)
	v_add_f32_e32 v11, v11, v15
	v_add_f32_e32 v7, v7, v33
	v_pk_mul_f32 v[74:75], v[184:185], v[74:75] op_sel_hi:[1,0]
	v_fmac_f32_e32 v195, v127, v110
	v_pk_mul_f32 v[80:81], v[134:135], v[118:119] op_sel:[1,1] op_sel_hi:[0,1]
	v_add_f32_e32 v82, v11, v17
	v_add_f32_e32 v7, v7, v35
	v_pk_fma_f32 v[86:87], v[128:129], v[112:113], v[74:75] op_sel_hi:[1,0,1]
	v_pk_fma_f32 v[74:75], v[128:129], v[112:113], v[74:75] neg_lo:[0,0,1] neg_hi:[0,0,1]
	v_pk_mul_f32 v[84:85], v[188:189], v[84:85] op_sel_hi:[1,0]
	s_delay_alu instid0(VALU_DEP_4) | instskip(NEXT) | instid1(VALU_DEP_4)
	v_add_f32_e32 v7, v7, v37
	v_mov_b32_e32 v75, v87
	s_wait_loadcnt 0x2
	v_pk_mul_f32 v[86:87], v[138:139], v[122:123] op_sel:[1,1] op_sel_hi:[0,1]
	s_delay_alu instid0(VALU_DEP_3) | instskip(NEXT) | instid1(VALU_DEP_1)
	v_add_f32_e32 v7, v7, v39
	v_add_f32_e32 v83, v7, v41
	s_delay_alu instid0(VALU_DEP_1) | instskip(NEXT) | instid1(VALU_DEP_1)
	v_pk_add_f32 v[82:83], v[82:83], v[192:193]
	v_pk_add_f32 v[82:83], v[82:83], v[194:195]
	s_delay_alu instid0(VALU_DEP_1) | instskip(SKIP_2) | instid1(VALU_DEP_3)
	v_pk_add_f32 v[74:75], v[82:83], v[74:75]
	v_pk_fma_f32 v[82:83], v[134:135], v[118:119], v[80:81] op_sel_hi:[1,0,1]
	v_pk_fma_f32 v[80:81], v[134:135], v[118:119], v[80:81] neg_lo:[0,0,1] neg_hi:[0,0,1]
	v_pk_add_f32 v[74:75], v[74:75], v[76:77]
	s_delay_alu instid0(VALU_DEP_3) | instskip(SKIP_2) | instid1(VALU_DEP_4)
	v_dual_mov_b32 v76, v125 :: v_dual_mov_b32 v81, v83
	v_pk_fma_f32 v[82:83], v[136:137], v[120:121], v[84:85] op_sel_hi:[1,0,1]
	v_pk_fma_f32 v[84:85], v[136:137], v[120:121], v[84:85] neg_lo:[0,0,1] neg_hi:[0,0,1]
	v_pk_add_f32 v[74:75], v[74:75], v[78:79]
	v_pk_fma_f32 v[78:79], v[138:139], v[122:123], v[86:87] op_sel_hi:[1,0,1]
	v_pk_mul_f32 v[76:77], v[190:191], v[76:77] op_sel_hi:[1,0]
	v_mov_b32_e32 v85, v83
	s_wait_loadcnt_dscnt 0x100
	v_pk_mul_f32 v[82:83], v[182:183], v[178:179] op_sel:[1,1] op_sel_hi:[0,1]
	v_pk_add_f32 v[74:75], v[74:75], v[80:81]
	v_pk_fma_f32 v[80:81], v[138:139], v[122:123], v[86:87] neg_lo:[0,0,1] neg_hi:[0,0,1]
	v_mov_b32_e32 v81, v79
	v_pk_fma_f32 v[78:79], v[140:141], v[124:125], v[76:77] op_sel_hi:[1,0,1]
	v_pk_fma_f32 v[76:77], v[140:141], v[124:125], v[76:77] neg_lo:[0,0,1] neg_hi:[0,0,1]
	v_pk_add_f32 v[74:75], v[74:75], v[84:85]
	s_delay_alu instid0(VALU_DEP_3) | instskip(SKIP_1) | instid1(VALU_DEP_3)
	v_mov_b32_e32 v77, v79
	v_pk_fma_f32 v[78:79], v[182:183], v[178:179], v[82:83] op_sel_hi:[1,0,1]
	v_pk_add_f32 v[74:75], v[74:75], v[80:81]
	v_pk_fma_f32 v[80:81], v[182:183], v[178:179], v[82:83] neg_lo:[0,0,1] neg_hi:[0,0,1]
	s_delay_alu instid0(VALU_DEP_3) | instskip(NEXT) | instid1(VALU_DEP_3)
	v_mov_b32_e32 v81, v79
	v_pk_add_f32 v[74:75], v[74:75], v[76:77]
	s_delay_alu instid0(VALU_DEP_1) | instskip(SKIP_1) | instid1(VALU_DEP_1)
	v_pk_add_f32 v[74:75], v[74:75], v[80:81]
	s_wait_loadcnt 0x0
	v_pk_add_f32 v[74:75], v[180:181], v[74:75] neg_lo:[0,1] neg_hi:[0,1]
	scratch_store_b64 off, v[74:75], off offset:64
	s_wait_xcnt 0x0
	v_cmpx_lt_u32_e32 7, v0
	s_cbranch_execz .LBB35_215
; %bb.214:
	scratch_load_b64 v[74:75], off, off offset:56
	v_mov_b64_e32 v[76:77], 0
	scratch_store_b64 off, v[76:77], off offset:56
	s_wait_loadcnt 0x0
	ds_store_b64 v1, v[74:75]
.LBB35_215:
	s_wait_xcnt 0x0
	s_or_b32 exec_lo, exec_lo, s0
	s_wait_storecnt_dscnt 0x0
	s_barrier_signal -1
	s_barrier_wait -1
	s_clause 0xe
	scratch_load_b128 v[74:77], off, off offset:64
	scratch_load_b128 v[78:81], off, off offset:80
	;; [unrolled: 1-line block ×14, first 2 shown]
	scratch_load_b64 v[186:187], off, off offset:56
	ds_load_b128 v[130:133], v5 offset:512
	ds_load_b128 v[134:137], v5 offset:528
	;; [unrolled: 1-line block ×14, first 2 shown]
	s_mov_b32 s0, exec_lo
	s_wait_dscnt 0xd
	v_dual_mov_b32 v188, v133 :: v_dual_mov_b32 v189, v132
	s_wait_dscnt 0xc
	v_dual_mov_b32 v190, v137 :: v_dual_mov_b32 v191, v136
	;; [unrolled: 2-line block ×4, first 2 shown]
	s_wait_loadcnt_dscnt 0xe09
	v_dual_mul_f32 v5, v146, v75 :: v_dual_mul_f32 v7, v148, v77
	v_dual_mul_f32 v43, v147, v75 :: v_dual_mul_f32 v45, v149, v77
	s_wait_loadcnt_dscnt 0xd08
	v_dual_mul_f32 v11, v150, v79 :: v_dual_mul_f32 v13, v152, v81
	s_delay_alu instid0(VALU_DEP_2) | instskip(SKIP_3) | instid1(VALU_DEP_3)
	v_dual_fmac_f32 v5, v147, v74 :: v_dual_fma_f32 v43, v146, v74, -v43
	v_dual_mul_f32 v47, v151, v79 :: v_dual_mul_f32 v49, v153, v81
	s_wait_loadcnt_dscnt 0xb06
	v_dual_mul_f32 v55, v159, v87 :: v_dual_fmac_f32 v7, v149, v76
	v_dual_fma_f32 v45, v148, v76, -v45 :: v_dual_add_f32 v5, 0, v5
	v_dual_add_f32 v43, 0, v43 :: v_dual_mul_f32 v57, v161, v89
	v_fmac_f32_e32 v11, v151, v78
	s_delay_alu instid0(VALU_DEP_3) | instskip(NEXT) | instid1(VALU_DEP_3)
	v_dual_fma_f32 v47, v150, v78, -v47 :: v_dual_add_f32 v5, v5, v7
	v_dual_add_f32 v7, v43, v45 :: v_dual_mul_f32 v15, v154, v83
	v_dual_mul_f32 v17, v156, v85 :: v_dual_mul_f32 v51, v155, v83
	s_wait_loadcnt_dscnt 0xa05
	v_dual_mul_f32 v53, v157, v85 :: v_dual_mul_f32 v43, v163, v91
	v_fmac_f32_e32 v13, v153, v80
	v_dual_fma_f32 v45, v152, v80, -v49 :: v_dual_add_f32 v5, v5, v11
	v_dual_add_f32 v7, v7, v47 :: v_dual_mul_f32 v11, v165, v93
	v_fmac_f32_e32 v15, v155, v82
	s_delay_alu instid0(VALU_DEP_3) | instskip(NEXT) | instid1(VALU_DEP_3)
	v_dual_fma_f32 v47, v154, v82, -v51 :: v_dual_add_f32 v5, v5, v13
	v_dual_add_f32 v7, v7, v45 :: v_dual_mul_f32 v19, v158, v87
	s_wait_loadcnt_dscnt 0x904
	v_dual_mul_f32 v21, v160, v89 :: v_dual_mul_f32 v13, v167, v95
	v_fmac_f32_e32 v17, v157, v84
	v_dual_fma_f32 v45, v156, v84, -v53 :: v_dual_add_f32 v5, v5, v15
	v_dual_add_f32 v7, v7, v47 :: v_dual_mul_f32 v15, v169, v97
	v_fmac_f32_e32 v19, v159, v86
	s_delay_alu instid0(VALU_DEP_3) | instskip(NEXT) | instid1(VALU_DEP_3)
	v_dual_fma_f32 v47, v158, v86, -v55 :: v_dual_add_f32 v5, v5, v17
	v_dual_add_f32 v7, v7, v45 :: v_dual_mul_f32 v23, v162, v91
	;; [unrolled: 9-line block ×3, first 2 shown]
	s_wait_loadcnt_dscnt 0x702
	v_dual_mul_f32 v29, v168, v97 :: v_dual_mul_f32 v21, v175, v103
	v_dual_fmac_f32 v25, v165, v92 :: v_dual_fma_f32 v11, v164, v92, -v11
	v_add_f32_e32 v5, v5, v23
	v_dual_add_f32 v7, v7, v43 :: v_dual_mul_f32 v23, v177, v105
	v_dual_fmac_f32 v27, v167, v94 :: v_dual_fma_f32 v13, v166, v94, -v13
	s_delay_alu instid0(VALU_DEP_2) | instskip(SKIP_3) | instid1(VALU_DEP_3)
	v_dual_add_f32 v5, v5, v25 :: v_dual_add_f32 v7, v7, v11
	v_dual_mul_f32 v31, v170, v99 :: v_dual_mul_f32 v33, v172, v101
	s_wait_loadcnt_dscnt 0x601
	v_dual_mul_f32 v11, v179, v107 :: v_dual_fmac_f32 v29, v169, v96
	v_dual_fma_f32 v15, v168, v96, -v15 :: v_dual_add_f32 v5, v5, v27
	v_dual_add_f32 v7, v7, v13 :: v_dual_fma_f32 v17, v170, v98, -v17
	v_dual_mul_f32 v13, v181, v109 :: v_dual_fmac_f32 v31, v171, v98
	s_delay_alu instid0(VALU_DEP_2) | instskip(SKIP_3) | instid1(VALU_DEP_3)
	v_dual_add_f32 v5, v5, v29 :: v_dual_add_f32 v7, v7, v15
	v_dual_mul_f32 v35, v174, v103 :: v_dual_mul_f32 v37, v176, v105
	s_wait_loadcnt_dscnt 0x500
	v_dual_mul_f32 v15, v183, v111 :: v_dual_fmac_f32 v33, v173, v100
	v_dual_fma_f32 v19, v172, v100, -v19 :: v_dual_add_f32 v5, v5, v31
	v_dual_add_f32 v7, v7, v17 :: v_dual_fma_f32 v21, v174, v102, -v21
	v_dual_mul_f32 v17, v185, v113 :: v_dual_fmac_f32 v35, v175, v102
	s_delay_alu instid0(VALU_DEP_2) | instskip(SKIP_2) | instid1(VALU_DEP_3)
	v_dual_add_f32 v5, v5, v33 :: v_dual_add_f32 v7, v7, v19
	v_dual_mul_f32 v39, v178, v107 :: v_dual_mul_f32 v41, v180, v109
	v_dual_fmac_f32 v37, v177, v104 :: v_dual_fma_f32 v19, v176, v104, -v23
	v_dual_add_f32 v5, v5, v35 :: v_dual_add_f32 v7, v7, v21
	s_wait_loadcnt 0x4
	s_delay_alu instid0(VALU_DEP_3) | instskip(NEXT) | instid1(VALU_DEP_2)
	v_dual_mov_b32 v76, v117 :: v_dual_fmac_f32 v39, v179, v106
	v_dual_fma_f32 v11, v178, v106, -v11 :: v_dual_add_f32 v5, v5, v37
	s_delay_alu instid0(VALU_DEP_3) | instskip(SKIP_1) | instid1(VALU_DEP_3)
	v_dual_add_f32 v7, v7, v19 :: v_dual_fmac_f32 v41, v181, v108
	v_dual_mul_f32 v197, v182, v111 :: v_dual_mul_f32 v199, v184, v113
	v_dual_fma_f32 v13, v180, v108, -v13 :: v_dual_add_f32 v5, v5, v39
	s_wait_loadcnt 0x3
	s_delay_alu instid0(VALU_DEP_3) | instskip(SKIP_3) | instid1(VALU_DEP_4)
	v_dual_add_f32 v7, v7, v11 :: v_dual_mov_b32 v80, v121
	v_pk_mul_f32 v[74:75], v[130:131], v[114:115] op_sel:[1,1] op_sel_hi:[0,1]
	v_dual_fmac_f32 v197, v183, v110 :: v_dual_fma_f32 v196, v182, v110, -v15
	v_dual_add_f32 v83, v5, v41 :: v_dual_fma_f32 v198, v184, v112, -v17
	v_dual_add_f32 v82, v7, v13 :: v_dual_fmac_f32 v199, v185, v112
	s_delay_alu instid0(VALU_DEP_4) | instskip(SKIP_2) | instid1(VALU_DEP_4)
	v_pk_fma_f32 v[84:85], v[130:131], v[114:115], v[74:75] op_sel_hi:[1,0,1]
	v_pk_mul_f32 v[76:77], v[188:189], v[76:77] op_sel_hi:[1,0]
	v_pk_fma_f32 v[74:75], v[130:131], v[114:115], v[74:75] neg_lo:[0,0,1] neg_hi:[0,0,1]
	v_pk_add_f32 v[82:83], v[82:83], v[196:197]
	v_pk_mul_f32 v[78:79], v[134:135], v[118:119] op_sel:[1,1] op_sel_hi:[0,1]
	v_mov_b32_e32 v75, v85
	v_pk_fma_f32 v[84:85], v[132:133], v[116:117], v[76:77] op_sel_hi:[1,0,1]
	v_pk_fma_f32 v[76:77], v[132:133], v[116:117], v[76:77] neg_lo:[0,0,1] neg_hi:[0,0,1]
	v_pk_add_f32 v[82:83], v[82:83], v[198:199]
	v_pk_fma_f32 v[88:89], v[134:135], v[118:119], v[78:79] op_sel_hi:[1,0,1]
	v_pk_mul_f32 v[80:81], v[190:191], v[80:81] op_sel_hi:[1,0]
	v_mov_b32_e32 v77, v85
	s_wait_loadcnt 0x2
	v_pk_mul_f32 v[86:87], v[138:139], v[122:123] op_sel:[1,1] op_sel_hi:[0,1]
	v_pk_add_f32 v[74:75], v[82:83], v[74:75]
	v_mov_b32_e32 v82, v125
	v_pk_fma_f32 v[78:79], v[134:135], v[118:119], v[78:79] neg_lo:[0,0,1] neg_hi:[0,0,1]
	v_mov_b32_e32 v79, v89
	v_pk_fma_f32 v[84:85], v[136:137], v[120:121], v[80:81] op_sel_hi:[1,0,1]
	v_pk_add_f32 v[74:75], v[74:75], v[76:77]
	v_pk_fma_f32 v[76:77], v[138:139], v[122:123], v[86:87] op_sel_hi:[1,0,1]
	v_pk_mul_f32 v[82:83], v[192:193], v[82:83] op_sel_hi:[1,0]
	v_pk_fma_f32 v[80:81], v[136:137], v[120:121], v[80:81] neg_lo:[0,0,1] neg_hi:[0,0,1]
	v_mov_b32_e32 v81, v85
	v_pk_add_f32 v[74:75], v[74:75], v[78:79]
	v_pk_fma_f32 v[84:85], v[138:139], v[122:123], v[86:87] neg_lo:[0,0,1] neg_hi:[0,0,1]
	v_mov_b32_e32 v85, v77
	v_pk_fma_f32 v[76:77], v[140:141], v[124:125], v[82:83] op_sel_hi:[1,0,1]
	s_wait_loadcnt 0x1
	v_pk_mul_f32 v[78:79], v[142:143], v[126:127] op_sel:[1,1] op_sel_hi:[0,1]
	v_pk_add_f32 v[74:75], v[74:75], v[80:81]
	v_mov_b32_e32 v76, v129
	v_pk_fma_f32 v[82:83], v[140:141], v[124:125], v[82:83] neg_lo:[0,0,1] neg_hi:[0,0,1]
	v_mov_b32_e32 v83, v77
	v_pk_fma_f32 v[80:81], v[142:143], v[126:127], v[78:79] op_sel_hi:[1,0,1]
	v_pk_add_f32 v[74:75], v[74:75], v[84:85]
	v_pk_mul_f32 v[76:77], v[194:195], v[76:77] op_sel_hi:[1,0]
	v_pk_fma_f32 v[78:79], v[142:143], v[126:127], v[78:79] neg_lo:[0,0,1] neg_hi:[0,0,1]
	s_delay_alu instid0(VALU_DEP_4) | instskip(NEXT) | instid1(VALU_DEP_4)
	v_mov_b32_e32 v79, v81
	v_pk_add_f32 v[74:75], v[74:75], v[82:83]
	s_delay_alu instid0(VALU_DEP_4) | instskip(SKIP_1) | instid1(VALU_DEP_2)
	v_pk_fma_f32 v[80:81], v[144:145], v[128:129], v[76:77] op_sel_hi:[1,0,1]
	v_pk_fma_f32 v[76:77], v[144:145], v[128:129], v[76:77] neg_lo:[0,0,1] neg_hi:[0,0,1]
	v_mov_b32_e32 v77, v81
	s_delay_alu instid0(VALU_DEP_4) | instskip(NEXT) | instid1(VALU_DEP_1)
	v_pk_add_f32 v[74:75], v[74:75], v[78:79]
	v_pk_add_f32 v[74:75], v[74:75], v[76:77]
	s_wait_loadcnt 0x0
	s_delay_alu instid0(VALU_DEP_1)
	v_pk_add_f32 v[74:75], v[186:187], v[74:75] neg_lo:[0,1] neg_hi:[0,1]
	scratch_store_b64 off, v[74:75], off offset:56
	s_wait_xcnt 0x0
	v_cmpx_lt_u32_e32 6, v0
	s_cbranch_execz .LBB35_217
; %bb.216:
	scratch_load_b64 v[74:75], off, off offset:48
	v_mov_b64_e32 v[76:77], 0
	scratch_store_b64 off, v[76:77], off offset:48
	s_wait_loadcnt 0x0
	ds_store_b64 v1, v[74:75]
.LBB35_217:
	s_wait_xcnt 0x0
	s_or_b32 exec_lo, exec_lo, s0
	s_wait_storecnt_dscnt 0x0
	s_barrier_signal -1
	s_barrier_wait -1
	s_clause 0xf
	scratch_load_b128 v[74:77], off, off offset:56
	scratch_load_b128 v[78:81], off, off offset:72
	;; [unrolled: 1-line block ×14, first 2 shown]
	scratch_load_b64 v[186:187], off, off offset:280
	scratch_load_b64 v[188:189], off, off offset:48
	v_mov_b32_e32 v5, 0
	ds_load_2addr_b64 v[130:133], v5 offset0:63 offset1:64
	ds_load_2addr_b64 v[134:137], v5 offset0:65 offset1:66
	;; [unrolled: 1-line block ×14, first 2 shown]
	ds_load_b64 v[190:191], v5 offset:568
	s_mov_b32 s0, exec_lo
	s_wait_dscnt 0xd
	v_dual_mov_b32 v193, v132 :: v_dual_mov_b32 v194, v137
	s_wait_dscnt 0xc
	v_dual_mov_b32 v195, v136 :: v_dual_mov_b32 v196, v141
	;; [unrolled: 2-line block ×3, first 2 shown]
	v_dual_mov_b32 v197, v140 :: v_dual_mov_b32 v198, v145
	s_wait_loadcnt_dscnt 0xf0a
	v_dual_mul_f32 v7, v146, v75 :: v_dual_mul_f32 v11, v148, v77
	s_wait_loadcnt_dscnt 0xe09
	v_mul_f32_e32 v13, v150, v79
	v_dual_mul_f32 v47, v147, v75 :: v_dual_mul_f32 v49, v149, v77
	s_wait_loadcnt_dscnt 0xc07
	v_dual_fmac_f32 v7, v147, v74 :: v_dual_mul_f32 v61, v161, v89
	s_delay_alu instid0(VALU_DEP_2) | instskip(NEXT) | instid1(VALU_DEP_3)
	v_dual_mul_f32 v59, v159, v87 :: v_dual_fma_f32 v47, v146, v74, -v47
	v_dual_fmac_f32 v11, v149, v76 :: v_dual_fma_f32 v49, v148, v76, -v49
	s_delay_alu instid0(VALU_DEP_3) | instskip(SKIP_3) | instid1(VALU_DEP_3)
	v_dual_add_f32 v7, 0, v7 :: v_dual_fmac_f32 v13, v151, v78
	v_dual_mul_f32 v15, v152, v81 :: v_dual_mul_f32 v17, v154, v83
	v_dual_mul_f32 v51, v151, v79 :: v_dual_mul_f32 v53, v153, v81
	v_add_f32_e32 v47, 0, v47
	v_dual_add_f32 v7, v7, v11 :: v_dual_fmac_f32 v15, v153, v80
	v_dual_mul_f32 v55, v155, v83 :: v_dual_mul_f32 v57, v157, v85
	s_delay_alu instid0(VALU_DEP_3) | instskip(NEXT) | instid1(VALU_DEP_3)
	v_dual_fma_f32 v51, v150, v78, -v51 :: v_dual_add_f32 v11, v47, v49
	v_dual_fma_f32 v49, v152, v80, -v53 :: v_dual_add_f32 v7, v7, v13
	v_dual_mul_f32 v19, v156, v85 :: v_dual_mul_f32 v21, v158, v87
	s_delay_alu instid0(VALU_DEP_3) | instskip(SKIP_1) | instid1(VALU_DEP_4)
	v_add_f32_e32 v11, v11, v51
	v_dual_fmac_f32 v17, v155, v82 :: v_dual_fma_f32 v51, v154, v82, -v55
	v_dual_add_f32 v7, v7, v15 :: v_dual_mul_f32 v23, v160, v89
	s_wait_loadcnt_dscnt 0xb06
	v_mul_f32_e32 v25, v162, v91
	s_wait_loadcnt_dscnt 0xa05
	v_dual_mul_f32 v13, v167, v95 :: v_dual_fmac_f32 v19, v157, v84
	v_mul_f32_e32 v15, v169, v97
	v_dual_add_f32 v11, v11, v49 :: v_dual_fma_f32 v49, v156, v84, -v57
	v_dual_add_f32 v7, v7, v17 :: v_dual_fmac_f32 v23, v161, v88
	v_dual_mul_f32 v27, v164, v93 :: v_dual_mul_f32 v29, v166, v95
	s_delay_alu instid0(VALU_DEP_3) | instskip(SKIP_1) | instid1(VALU_DEP_3)
	v_add_f32_e32 v11, v11, v51
	v_fmac_f32_e32 v21, v159, v86
	v_dual_add_f32 v7, v7, v19 :: v_dual_fmac_f32 v27, v165, v92
	v_dual_mul_f32 v63, v163, v91 :: v_dual_mul_f32 v47, v165, v93
	s_delay_alu instid0(VALU_DEP_4) | instskip(NEXT) | instid1(VALU_DEP_3)
	v_dual_fma_f32 v51, v158, v86, -v59 :: v_dual_add_f32 v11, v11, v49
	v_dual_add_f32 v7, v7, v21 :: v_dual_fma_f32 v13, v166, v94, -v13
	s_wait_loadcnt_dscnt 0x904
	v_mul_f32_e32 v17, v171, v99
	v_dual_fmac_f32 v25, v163, v90 :: v_dual_fma_f32 v15, v168, v96, -v15
	v_dual_fma_f32 v47, v164, v92, -v47 :: v_dual_add_f32 v11, v11, v51
	v_dual_fma_f32 v51, v162, v90, -v63 :: v_dual_add_f32 v7, v7, v23
	s_delay_alu instid0(VALU_DEP_4) | instskip(SKIP_3) | instid1(VALU_DEP_3)
	v_dual_fma_f32 v17, v170, v98, -v17 :: v_dual_mul_f32 v19, v173, v101
	v_fma_f32 v49, v160, v88, -v61
	s_wait_loadcnt_dscnt 0x803
	v_dual_mul_f32 v35, v172, v101 :: v_dual_mul_f32 v37, v174, v103
	v_dual_add_f32 v7, v7, v25 :: v_dual_fma_f32 v19, v172, v100, -v19
	s_wait_loadcnt_dscnt 0x702
	v_dual_mul_f32 v39, v176, v105 :: v_dual_mul_f32 v41, v178, v107
	s_delay_alu instid0(VALU_DEP_2)
	v_dual_fmac_f32 v35, v173, v100 :: v_dual_add_f32 v7, v7, v27
	v_mul_f32_e32 v27, v181, v109
	v_add_f32_e32 v11, v11, v49
	v_mul_f32_e32 v23, v177, v105
	s_wait_loadcnt_dscnt 0x501
	v_dual_mul_f32 v201, v184, v113 :: v_dual_mul_f32 v203, v130, v115
	s_wait_loadcnt 0x4
	v_pk_mul_f32 v[76:77], v[134:135], v[118:119] op_sel:[1,1] op_sel_hi:[0,1]
	v_dual_add_f32 v11, v11, v51 :: v_dual_mov_b32 v78, v121
	v_dual_mul_f32 v31, v168, v97 :: v_dual_mul_f32 v33, v170, v99
	v_mul_f32_e32 v21, v175, v103
	s_delay_alu instid0(VALU_DEP_3) | instskip(SKIP_3) | instid1(VALU_DEP_4)
	v_add_f32_e32 v11, v11, v47
	v_dual_fmac_f32 v29, v167, v94 :: v_dual_mov_b32 v74, v117
	v_fmac_f32_e32 v201, v185, v112
	v_pk_fma_f32 v[88:89], v[134:135], v[118:119], v[76:77] op_sel_hi:[1,0,1]
	v_add_f32_e32 v11, v11, v13
	v_pk_mul_f32 v[78:79], v[194:195], v[78:79] op_sel_hi:[1,0]
	v_pk_fma_f32 v[76:77], v[134:135], v[118:119], v[76:77] neg_lo:[0,0,1] neg_hi:[0,0,1]
	v_dual_mul_f32 v43, v180, v109 :: v_dual_mul_f32 v45, v182, v111
	s_delay_alu instid0(VALU_DEP_4) | instskip(SKIP_3) | instid1(VALU_DEP_3)
	v_dual_add_f32 v11, v11, v15 :: v_dual_fmac_f32 v31, v169, v96
	v_dual_mul_f32 v25, v179, v107 :: v_dual_fma_f32 v21, v174, v102, -v21
	v_dual_fmac_f32 v37, v175, v102 :: v_dual_mov_b32 v77, v89
	s_wait_loadcnt 0x3
	v_dual_add_f32 v11, v11, v17 :: v_dual_mov_b32 v84, v125
	v_dual_fmac_f32 v39, v177, v104 :: v_dual_add_f32 v7, v7, v29
	v_pk_fma_f32 v[88:89], v[136:137], v[120:121], v[78:79] op_sel_hi:[1,0,1]
	s_delay_alu instid0(VALU_DEP_3) | instskip(SKIP_3) | instid1(VALU_DEP_4)
	v_add_f32_e32 v11, v11, v19
	v_pk_fma_f32 v[78:79], v[136:137], v[120:121], v[78:79] neg_lo:[0,0,1] neg_hi:[0,0,1]
	v_dual_mul_f32 v13, v183, v111 :: v_dual_fmac_f32 v43, v181, v108
	v_dual_fmac_f32 v33, v171, v98 :: v_dual_fma_f32 v19, v176, v104, -v23
	v_dual_mov_b32 v79, v89 :: v_dual_add_f32 v11, v11, v21
	v_dual_fma_f32 v21, v178, v106, -v25 :: v_dual_add_f32 v7, v7, v31
	s_delay_alu instid0(VALU_DEP_4) | instskip(NEXT) | instid1(VALU_DEP_3)
	v_dual_fma_f32 v13, v182, v110, -v13 :: v_dual_mul_f32 v15, v185, v113
	v_dual_add_f32 v11, v11, v19 :: v_dual_fma_f32 v19, v180, v108, -v27
	s_delay_alu instid0(VALU_DEP_3) | instskip(SKIP_1) | instid1(VALU_DEP_4)
	v_add_f32_e32 v7, v7, v33
	v_dual_mul_f32 v17, v131, v115 :: v_dual_fmac_f32 v203, v131, v114
	v_dual_fma_f32 v200, v184, v112, -v15 :: v_dual_fmac_f32 v41, v179, v106
	s_delay_alu instid0(VALU_DEP_2) | instskip(SKIP_3) | instid1(VALU_DEP_4)
	v_dual_add_f32 v7, v7, v35 :: v_dual_fma_f32 v202, v130, v114, -v17
	v_add_f32_e32 v11, v11, v21
	v_fmac_f32_e32 v45, v183, v110
	v_pk_mul_f32 v[74:75], v[192:193], v[74:75] op_sel_hi:[1,0]
	v_add_f32_e32 v7, v7, v37
	v_pk_mul_f32 v[80:81], v[138:139], v[122:123] op_sel:[1,1] op_sel_hi:[0,1]
	v_add_f32_e32 v11, v11, v19
	v_pk_mul_f32 v[84:85], v[196:197], v[84:85] op_sel_hi:[1,0]
	v_pk_fma_f32 v[86:87], v[132:133], v[116:117], v[74:75] op_sel_hi:[1,0,1]
	v_add_f32_e32 v7, v7, v39
	v_pk_fma_f32 v[74:75], v[132:133], v[116:117], v[74:75] neg_lo:[0,0,1] neg_hi:[0,0,1]
	v_add_f32_e32 v82, v11, v13
	s_delay_alu instid0(VALU_DEP_4) | instskip(NEXT) | instid1(VALU_DEP_4)
	v_mov_b32_e32 v75, v87
	v_add_f32_e32 v7, v7, v41
	s_wait_loadcnt 0x2
	v_pk_mul_f32 v[86:87], v[142:143], v[126:127] op_sel:[1,1] op_sel_hi:[0,1]
	s_delay_alu instid0(VALU_DEP_2) | instskip(NEXT) | instid1(VALU_DEP_1)
	v_add_f32_e32 v7, v7, v43
	v_add_f32_e32 v83, v7, v45
	s_delay_alu instid0(VALU_DEP_1) | instskip(NEXT) | instid1(VALU_DEP_1)
	v_pk_add_f32 v[82:83], v[82:83], v[200:201]
	v_pk_add_f32 v[82:83], v[82:83], v[202:203]
	s_delay_alu instid0(VALU_DEP_1) | instskip(SKIP_2) | instid1(VALU_DEP_3)
	v_pk_add_f32 v[74:75], v[82:83], v[74:75]
	v_pk_fma_f32 v[82:83], v[138:139], v[122:123], v[80:81] op_sel_hi:[1,0,1]
	v_pk_fma_f32 v[80:81], v[138:139], v[122:123], v[80:81] neg_lo:[0,0,1] neg_hi:[0,0,1]
	v_pk_add_f32 v[74:75], v[74:75], v[76:77]
	s_delay_alu instid0(VALU_DEP_3) | instskip(SKIP_2) | instid1(VALU_DEP_4)
	v_dual_mov_b32 v76, v129 :: v_dual_mov_b32 v81, v83
	v_pk_fma_f32 v[82:83], v[140:141], v[124:125], v[84:85] op_sel_hi:[1,0,1]
	v_pk_fma_f32 v[84:85], v[140:141], v[124:125], v[84:85] neg_lo:[0,0,1] neg_hi:[0,0,1]
	v_pk_add_f32 v[74:75], v[74:75], v[78:79]
	v_pk_fma_f32 v[78:79], v[142:143], v[126:127], v[86:87] op_sel_hi:[1,0,1]
	v_pk_mul_f32 v[76:77], v[198:199], v[76:77] op_sel_hi:[1,0]
	v_mov_b32_e32 v85, v83
	s_wait_loadcnt_dscnt 0x100
	v_pk_mul_f32 v[82:83], v[190:191], v[186:187] op_sel:[1,1] op_sel_hi:[0,1]
	v_pk_add_f32 v[74:75], v[74:75], v[80:81]
	v_pk_fma_f32 v[80:81], v[142:143], v[126:127], v[86:87] neg_lo:[0,0,1] neg_hi:[0,0,1]
	v_mov_b32_e32 v81, v79
	v_pk_fma_f32 v[78:79], v[144:145], v[128:129], v[76:77] op_sel_hi:[1,0,1]
	v_pk_fma_f32 v[76:77], v[144:145], v[128:129], v[76:77] neg_lo:[0,0,1] neg_hi:[0,0,1]
	v_pk_add_f32 v[74:75], v[74:75], v[84:85]
	s_delay_alu instid0(VALU_DEP_3) | instskip(SKIP_1) | instid1(VALU_DEP_3)
	v_mov_b32_e32 v77, v79
	v_pk_fma_f32 v[78:79], v[190:191], v[186:187], v[82:83] op_sel_hi:[1,0,1]
	v_pk_add_f32 v[74:75], v[74:75], v[80:81]
	v_pk_fma_f32 v[80:81], v[190:191], v[186:187], v[82:83] neg_lo:[0,0,1] neg_hi:[0,0,1]
	s_delay_alu instid0(VALU_DEP_3) | instskip(NEXT) | instid1(VALU_DEP_3)
	v_mov_b32_e32 v81, v79
	v_pk_add_f32 v[74:75], v[74:75], v[76:77]
	s_delay_alu instid0(VALU_DEP_1) | instskip(SKIP_1) | instid1(VALU_DEP_1)
	v_pk_add_f32 v[74:75], v[74:75], v[80:81]
	s_wait_loadcnt 0x0
	v_pk_add_f32 v[74:75], v[188:189], v[74:75] neg_lo:[0,1] neg_hi:[0,1]
	scratch_store_b64 off, v[74:75], off offset:48
	s_wait_xcnt 0x0
	v_cmpx_lt_u32_e32 5, v0
	s_cbranch_execz .LBB35_219
; %bb.218:
	scratch_load_b64 v[74:75], off, off offset:40
	v_mov_b64_e32 v[76:77], 0
	scratch_store_b64 off, v[76:77], off offset:40
	s_wait_loadcnt 0x0
	ds_store_b64 v1, v[74:75]
.LBB35_219:
	s_wait_xcnt 0x0
	s_or_b32 exec_lo, exec_lo, s0
	s_wait_storecnt_dscnt 0x0
	s_barrier_signal -1
	s_barrier_wait -1
	s_clause 0xf
	scratch_load_b128 v[74:77], off, off offset:48
	scratch_load_b128 v[78:81], off, off offset:64
	;; [unrolled: 1-line block ×15, first 2 shown]
	scratch_load_b64 v[194:195], off, off offset:40
	ds_load_b128 v[134:137], v5 offset:512
	ds_load_b128 v[138:141], v5 offset:528
	;; [unrolled: 1-line block ×15, first 2 shown]
	s_mov_b32 s0, exec_lo
	s_wait_dscnt 0xe
	v_dual_mov_b32 v196, v137 :: v_dual_mov_b32 v197, v136
	s_wait_dscnt 0xd
	v_dual_mov_b32 v198, v141 :: v_dual_mov_b32 v199, v140
	;; [unrolled: 2-line block ×4, first 2 shown]
	s_wait_loadcnt_dscnt 0xf0a
	v_dual_mul_f32 v5, v150, v75 :: v_dual_mul_f32 v7, v152, v77
	v_dual_mul_f32 v47, v151, v75 :: v_dual_mul_f32 v49, v153, v77
	s_wait_loadcnt_dscnt 0xe09
	v_dual_mul_f32 v11, v154, v79 :: v_dual_mul_f32 v13, v156, v81
	s_delay_alu instid0(VALU_DEP_2) | instskip(SKIP_3) | instid1(VALU_DEP_3)
	v_dual_fmac_f32 v5, v151, v74 :: v_dual_fma_f32 v47, v150, v74, -v47
	v_dual_mul_f32 v51, v155, v79 :: v_dual_mul_f32 v53, v157, v81
	s_wait_loadcnt_dscnt 0xc06
	v_dual_mul_f32 v59, v167, v87 :: v_dual_fmac_f32 v7, v153, v76
	v_dual_fma_f32 v49, v152, v76, -v49 :: v_dual_add_f32 v5, 0, v5
	v_dual_add_f32 v47, 0, v47 :: v_dual_mul_f32 v61, v169, v89
	v_fmac_f32_e32 v11, v155, v78
	s_delay_alu instid0(VALU_DEP_3) | instskip(NEXT) | instid1(VALU_DEP_3)
	v_dual_fma_f32 v51, v154, v78, -v51 :: v_dual_add_f32 v5, v5, v7
	v_dual_add_f32 v7, v47, v49 :: v_dual_mul_f32 v15, v162, v83
	v_dual_mul_f32 v17, v164, v85 :: v_dual_mul_f32 v55, v163, v83
	s_wait_loadcnt_dscnt 0xb05
	v_dual_mul_f32 v57, v165, v85 :: v_dual_mul_f32 v47, v171, v91
	v_fmac_f32_e32 v13, v157, v80
	v_dual_fma_f32 v49, v156, v80, -v53 :: v_dual_add_f32 v5, v5, v11
	v_dual_add_f32 v7, v7, v51 :: v_dual_mul_f32 v11, v173, v93
	v_fmac_f32_e32 v15, v163, v82
	s_delay_alu instid0(VALU_DEP_3) | instskip(NEXT) | instid1(VALU_DEP_3)
	v_dual_fma_f32 v51, v162, v82, -v55 :: v_dual_add_f32 v5, v5, v13
	v_dual_add_f32 v7, v7, v49 :: v_dual_mul_f32 v19, v166, v87
	s_wait_loadcnt_dscnt 0xa04
	v_dual_mul_f32 v21, v168, v89 :: v_dual_mul_f32 v13, v175, v95
	v_fmac_f32_e32 v17, v165, v84
	v_dual_fma_f32 v49, v164, v84, -v57 :: v_dual_add_f32 v5, v5, v15
	v_dual_add_f32 v7, v7, v51 :: v_dual_mul_f32 v15, v177, v97
	v_fmac_f32_e32 v19, v167, v86
	s_delay_alu instid0(VALU_DEP_3) | instskip(NEXT) | instid1(VALU_DEP_3)
	v_dual_fma_f32 v51, v166, v86, -v59 :: v_dual_add_f32 v5, v5, v17
	v_dual_add_f32 v7, v7, v49 :: v_dual_mul_f32 v23, v170, v91
	;; [unrolled: 9-line block ×3, first 2 shown]
	s_wait_loadcnt_dscnt 0x802
	v_dual_mul_f32 v29, v176, v97 :: v_dual_mul_f32 v21, v183, v103
	v_dual_fmac_f32 v25, v173, v92 :: v_dual_fma_f32 v11, v172, v92, -v11
	v_add_f32_e32 v5, v5, v23
	v_dual_add_f32 v7, v7, v47 :: v_dual_mul_f32 v23, v185, v105
	v_dual_fmac_f32 v27, v175, v94 :: v_dual_fma_f32 v13, v174, v94, -v13
	s_delay_alu instid0(VALU_DEP_2) | instskip(SKIP_3) | instid1(VALU_DEP_3)
	v_dual_add_f32 v5, v5, v25 :: v_dual_add_f32 v7, v7, v11
	v_dual_mul_f32 v31, v178, v99 :: v_dual_mul_f32 v33, v180, v101
	s_wait_loadcnt_dscnt 0x701
	v_dual_mul_f32 v11, v187, v107 :: v_dual_fmac_f32 v29, v177, v96
	v_dual_fma_f32 v15, v176, v96, -v15 :: v_dual_add_f32 v5, v5, v27
	v_dual_add_f32 v7, v7, v13 :: v_dual_fma_f32 v17, v178, v98, -v17
	v_dual_mul_f32 v13, v189, v109 :: v_dual_fmac_f32 v31, v179, v98
	s_delay_alu instid0(VALU_DEP_2) | instskip(SKIP_3) | instid1(VALU_DEP_3)
	v_dual_add_f32 v5, v5, v29 :: v_dual_add_f32 v7, v7, v15
	v_dual_mul_f32 v35, v182, v103 :: v_dual_mul_f32 v37, v184, v105
	s_wait_loadcnt_dscnt 0x600
	v_dual_mul_f32 v15, v191, v111 :: v_dual_fmac_f32 v33, v181, v100
	v_dual_fma_f32 v19, v180, v100, -v19 :: v_dual_add_f32 v5, v5, v31
	v_dual_add_f32 v7, v7, v17 :: v_dual_fma_f32 v21, v182, v102, -v21
	v_dual_mul_f32 v17, v193, v113 :: v_dual_fmac_f32 v35, v183, v102
	s_delay_alu instid0(VALU_DEP_2) | instskip(SKIP_3) | instid1(VALU_DEP_3)
	v_dual_add_f32 v5, v5, v33 :: v_dual_add_f32 v7, v7, v19
	v_dual_mul_f32 v39, v186, v107 :: v_dual_mul_f32 v41, v188, v109
	s_wait_loadcnt 0x5
	v_dual_mul_f32 v19, v159, v115 :: v_dual_fmac_f32 v37, v185, v104
	v_dual_fma_f32 v23, v184, v104, -v23 :: v_dual_add_f32 v5, v5, v35
	v_dual_add_f32 v7, v7, v21 :: v_dual_fma_f32 v11, v186, v106, -v11
	v_dual_mul_f32 v21, v161, v117 :: v_dual_fmac_f32 v39, v187, v106
	s_delay_alu instid0(VALU_DEP_2) | instskip(SKIP_2) | instid1(VALU_DEP_3)
	v_dual_add_f32 v5, v5, v37 :: v_dual_add_f32 v7, v7, v23
	v_dual_mul_f32 v43, v190, v111 :: v_dual_mul_f32 v45, v192, v113
	v_fmac_f32_e32 v41, v189, v108
	v_dual_fma_f32 v13, v188, v108, -v13 :: v_dual_add_f32 v5, v5, v39
	s_wait_loadcnt 0x4
	v_dual_add_f32 v7, v7, v11 :: v_dual_mov_b32 v76, v121
	v_fmac_f32_e32 v43, v191, v110
	s_delay_alu instid0(VALU_DEP_3) | instskip(NEXT) | instid1(VALU_DEP_3)
	v_dual_fma_f32 v11, v190, v110, -v15 :: v_dual_add_f32 v5, v5, v41
	v_dual_add_f32 v7, v7, v13 :: v_dual_fmac_f32 v45, v193, v112
	v_dual_mul_f32 v205, v158, v115 :: v_dual_mul_f32 v207, v160, v117
	s_delay_alu instid0(VALU_DEP_3) | instskip(SKIP_1) | instid1(VALU_DEP_3)
	v_dual_fma_f32 v13, v192, v112, -v17 :: v_dual_add_f32 v5, v5, v43
	s_wait_loadcnt 0x3
	v_dual_add_f32 v7, v7, v11 :: v_dual_mov_b32 v80, v125
	v_pk_mul_f32 v[74:75], v[134:135], v[118:119] op_sel:[1,1] op_sel_hi:[0,1]
	v_dual_fmac_f32 v205, v159, v114 :: v_dual_fma_f32 v204, v158, v114, -v19
	v_dual_add_f32 v83, v5, v45 :: v_dual_fma_f32 v206, v160, v116, -v21
	s_delay_alu instid0(VALU_DEP_4) | instskip(NEXT) | instid1(VALU_DEP_4)
	v_dual_add_f32 v82, v7, v13 :: v_dual_fmac_f32 v207, v161, v116
	v_pk_fma_f32 v[84:85], v[134:135], v[118:119], v[74:75] op_sel_hi:[1,0,1]
	v_pk_mul_f32 v[76:77], v[196:197], v[76:77] op_sel_hi:[1,0]
	v_pk_fma_f32 v[74:75], v[134:135], v[118:119], v[74:75] neg_lo:[0,0,1] neg_hi:[0,0,1]
	s_delay_alu instid0(VALU_DEP_4)
	v_pk_add_f32 v[82:83], v[82:83], v[204:205]
	v_pk_mul_f32 v[78:79], v[138:139], v[122:123] op_sel:[1,1] op_sel_hi:[0,1]
	v_mov_b32_e32 v75, v85
	v_pk_fma_f32 v[84:85], v[136:137], v[120:121], v[76:77] op_sel_hi:[1,0,1]
	v_pk_fma_f32 v[76:77], v[136:137], v[120:121], v[76:77] neg_lo:[0,0,1] neg_hi:[0,0,1]
	v_pk_add_f32 v[82:83], v[82:83], v[206:207]
	v_pk_fma_f32 v[88:89], v[138:139], v[122:123], v[78:79] op_sel_hi:[1,0,1]
	v_pk_mul_f32 v[80:81], v[198:199], v[80:81] op_sel_hi:[1,0]
	v_mov_b32_e32 v77, v85
	s_wait_loadcnt 0x2
	v_pk_mul_f32 v[86:87], v[142:143], v[126:127] op_sel:[1,1] op_sel_hi:[0,1]
	v_pk_add_f32 v[74:75], v[82:83], v[74:75]
	v_mov_b32_e32 v82, v129
	v_pk_fma_f32 v[78:79], v[138:139], v[122:123], v[78:79] neg_lo:[0,0,1] neg_hi:[0,0,1]
	v_mov_b32_e32 v79, v89
	v_pk_fma_f32 v[84:85], v[140:141], v[124:125], v[80:81] op_sel_hi:[1,0,1]
	v_pk_add_f32 v[74:75], v[74:75], v[76:77]
	v_pk_fma_f32 v[76:77], v[142:143], v[126:127], v[86:87] op_sel_hi:[1,0,1]
	v_pk_mul_f32 v[82:83], v[200:201], v[82:83] op_sel_hi:[1,0]
	v_pk_fma_f32 v[80:81], v[140:141], v[124:125], v[80:81] neg_lo:[0,0,1] neg_hi:[0,0,1]
	v_mov_b32_e32 v81, v85
	v_pk_add_f32 v[74:75], v[74:75], v[78:79]
	v_pk_fma_f32 v[84:85], v[142:143], v[126:127], v[86:87] neg_lo:[0,0,1] neg_hi:[0,0,1]
	v_mov_b32_e32 v85, v77
	v_pk_fma_f32 v[76:77], v[144:145], v[128:129], v[82:83] op_sel_hi:[1,0,1]
	s_wait_loadcnt 0x1
	v_pk_mul_f32 v[78:79], v[146:147], v[130:131] op_sel:[1,1] op_sel_hi:[0,1]
	v_pk_add_f32 v[74:75], v[74:75], v[80:81]
	v_mov_b32_e32 v76, v133
	v_pk_fma_f32 v[82:83], v[144:145], v[128:129], v[82:83] neg_lo:[0,0,1] neg_hi:[0,0,1]
	v_mov_b32_e32 v83, v77
	v_pk_fma_f32 v[80:81], v[146:147], v[130:131], v[78:79] op_sel_hi:[1,0,1]
	v_pk_add_f32 v[74:75], v[74:75], v[84:85]
	v_pk_mul_f32 v[76:77], v[202:203], v[76:77] op_sel_hi:[1,0]
	v_pk_fma_f32 v[78:79], v[146:147], v[130:131], v[78:79] neg_lo:[0,0,1] neg_hi:[0,0,1]
	s_delay_alu instid0(VALU_DEP_4) | instskip(NEXT) | instid1(VALU_DEP_4)
	v_mov_b32_e32 v79, v81
	v_pk_add_f32 v[74:75], v[74:75], v[82:83]
	s_delay_alu instid0(VALU_DEP_4) | instskip(SKIP_1) | instid1(VALU_DEP_2)
	v_pk_fma_f32 v[80:81], v[148:149], v[132:133], v[76:77] op_sel_hi:[1,0,1]
	v_pk_fma_f32 v[76:77], v[148:149], v[132:133], v[76:77] neg_lo:[0,0,1] neg_hi:[0,0,1]
	v_mov_b32_e32 v77, v81
	s_delay_alu instid0(VALU_DEP_4) | instskip(NEXT) | instid1(VALU_DEP_1)
	v_pk_add_f32 v[74:75], v[74:75], v[78:79]
	v_pk_add_f32 v[74:75], v[74:75], v[76:77]
	s_wait_loadcnt 0x0
	s_delay_alu instid0(VALU_DEP_1)
	v_pk_add_f32 v[74:75], v[194:195], v[74:75] neg_lo:[0,1] neg_hi:[0,1]
	scratch_store_b64 off, v[74:75], off offset:40
	s_wait_xcnt 0x0
	v_cmpx_lt_u32_e32 4, v0
	s_cbranch_execz .LBB35_221
; %bb.220:
	scratch_load_b64 v[74:75], off, off offset:32
	v_mov_b64_e32 v[76:77], 0
	scratch_store_b64 off, v[76:77], off offset:32
	s_wait_loadcnt 0x0
	ds_store_b64 v1, v[74:75]
.LBB35_221:
	s_wait_xcnt 0x0
	s_or_b32 exec_lo, exec_lo, s0
	s_wait_storecnt_dscnt 0x0
	s_barrier_signal -1
	s_barrier_wait -1
	s_clause 0x10
	scratch_load_b128 v[74:77], off, off offset:40
	scratch_load_b128 v[78:81], off, off offset:56
	;; [unrolled: 1-line block ×15, first 2 shown]
	scratch_load_b64 v[194:195], off, off offset:280
	scratch_load_b64 v[196:197], off, off offset:32
	v_mov_b32_e32 v5, 0
	ds_load_2addr_b64 v[134:137], v5 offset0:63 offset1:64
	ds_load_2addr_b64 v[138:141], v5 offset0:65 offset1:66
	;; [unrolled: 1-line block ×15, first 2 shown]
	ds_load_b64 v[198:199], v5 offset:568
	s_mov_b32 s0, exec_lo
	s_wait_dscnt 0xe
	v_dual_mov_b32 v201, v136 :: v_dual_mov_b32 v202, v141
	s_wait_dscnt 0xd
	v_dual_mov_b32 v203, v140 :: v_dual_mov_b32 v204, v145
	;; [unrolled: 2-line block ×3, first 2 shown]
	v_dual_mov_b32 v205, v144 :: v_dual_mov_b32 v206, v149
	s_wait_loadcnt_dscnt 0x100b
	v_dual_mul_f32 v7, v150, v75 :: v_dual_mul_f32 v11, v152, v77
	s_wait_loadcnt_dscnt 0xf09
	v_mul_f32_e32 v13, v158, v79
	v_dual_mul_f32 v51, v151, v75 :: v_dual_mul_f32 v53, v153, v77
	s_wait_loadcnt_dscnt 0xd07
	v_dual_fmac_f32 v7, v151, v74 :: v_dual_mul_f32 v65, v169, v89
	s_delay_alu instid0(VALU_DEP_2) | instskip(NEXT) | instid1(VALU_DEP_3)
	v_dual_mul_f32 v63, v167, v87 :: v_dual_fma_f32 v51, v150, v74, -v51
	v_dual_fmac_f32 v11, v153, v76 :: v_dual_fma_f32 v53, v152, v76, -v53
	s_delay_alu instid0(VALU_DEP_3) | instskip(SKIP_3) | instid1(VALU_DEP_3)
	v_dual_add_f32 v7, 0, v7 :: v_dual_fmac_f32 v13, v159, v78
	v_dual_mul_f32 v15, v160, v81 :: v_dual_mul_f32 v17, v162, v83
	v_dual_mul_f32 v55, v159, v79 :: v_dual_mul_f32 v57, v161, v81
	v_add_f32_e32 v51, 0, v51
	v_dual_add_f32 v7, v7, v11 :: v_dual_fmac_f32 v15, v161, v80
	v_dual_mul_f32 v59, v163, v83 :: v_dual_mul_f32 v61, v165, v85
	s_delay_alu instid0(VALU_DEP_3) | instskip(NEXT) | instid1(VALU_DEP_3)
	v_dual_fma_f32 v55, v158, v78, -v55 :: v_dual_add_f32 v11, v51, v53
	v_dual_fma_f32 v53, v160, v80, -v57 :: v_dual_add_f32 v7, v7, v13
	v_dual_mul_f32 v19, v164, v85 :: v_dual_mul_f32 v21, v166, v87
	s_delay_alu instid0(VALU_DEP_3) | instskip(SKIP_1) | instid1(VALU_DEP_4)
	v_add_f32_e32 v11, v11, v55
	v_dual_fmac_f32 v17, v163, v82 :: v_dual_fma_f32 v55, v162, v82, -v59
	v_dual_add_f32 v7, v7, v15 :: v_dual_mul_f32 v23, v168, v89
	s_wait_loadcnt_dscnt 0xc06
	v_mul_f32_e32 v25, v170, v91
	s_wait_loadcnt_dscnt 0xb05
	v_dual_mul_f32 v13, v175, v95 :: v_dual_fmac_f32 v19, v165, v84
	v_mul_f32_e32 v15, v177, v97
	v_dual_add_f32 v11, v11, v53 :: v_dual_fma_f32 v53, v164, v84, -v61
	v_dual_add_f32 v7, v7, v17 :: v_dual_fmac_f32 v23, v169, v88
	v_dual_mul_f32 v27, v172, v93 :: v_dual_mul_f32 v29, v174, v95
	s_delay_alu instid0(VALU_DEP_3) | instskip(SKIP_1) | instid1(VALU_DEP_3)
	v_add_f32_e32 v11, v11, v55
	v_fmac_f32_e32 v21, v167, v86
	v_dual_add_f32 v7, v7, v19 :: v_dual_fmac_f32 v27, v173, v92
	v_dual_mul_f32 v67, v171, v91 :: v_dual_mul_f32 v51, v173, v93
	s_delay_alu instid0(VALU_DEP_4) | instskip(NEXT) | instid1(VALU_DEP_3)
	v_dual_fma_f32 v55, v166, v86, -v63 :: v_dual_add_f32 v11, v11, v53
	v_dual_add_f32 v7, v7, v21 :: v_dual_fma_f32 v13, v174, v94, -v13
	s_wait_loadcnt_dscnt 0xa04
	v_mul_f32_e32 v17, v179, v99
	v_dual_fmac_f32 v25, v171, v90 :: v_dual_fma_f32 v15, v176, v96, -v15
	v_dual_fma_f32 v51, v172, v92, -v51 :: v_dual_add_f32 v11, v11, v55
	v_dual_fma_f32 v55, v170, v90, -v67 :: v_dual_add_f32 v7, v7, v23
	s_delay_alu instid0(VALU_DEP_4) | instskip(SKIP_3) | instid1(VALU_DEP_3)
	v_dual_fma_f32 v17, v178, v98, -v17 :: v_dual_mul_f32 v19, v181, v101
	v_fma_f32 v53, v168, v88, -v65
	s_wait_loadcnt_dscnt 0x903
	v_dual_mul_f32 v35, v180, v101 :: v_dual_mul_f32 v37, v182, v103
	v_dual_add_f32 v7, v7, v25 :: v_dual_fma_f32 v19, v180, v100, -v19
	s_wait_loadcnt_dscnt 0x802
	v_dual_mul_f32 v39, v184, v105 :: v_dual_mul_f32 v41, v186, v107
	s_delay_alu instid0(VALU_DEP_2)
	v_dual_fmac_f32 v35, v181, v100 :: v_dual_add_f32 v7, v7, v27
	v_mul_f32_e32 v27, v189, v109
	v_add_f32_e32 v11, v11, v53
	v_mul_f32_e32 v23, v185, v105
	s_wait_loadcnt 0x5
	v_dual_mov_b32 v74, v121 :: v_dual_mul_f32 v31, v176, v97
	v_mul_f32_e32 v33, v178, v99
	s_delay_alu instid0(VALU_DEP_3) | instskip(NEXT) | instid1(VALU_DEP_3)
	v_dual_add_f32 v11, v11, v55 :: v_dual_fma_f32 v23, v184, v104, -v23
	v_dual_mul_f32 v21, v183, v103 :: v_dual_fmac_f32 v31, v177, v96
	s_wait_loadcnt 0x4
	s_delay_alu instid0(VALU_DEP_2) | instskip(SKIP_1) | instid1(VALU_DEP_3)
	v_dual_mov_b32 v78, v125 :: v_dual_add_f32 v11, v11, v51
	v_dual_mul_f32 v209, v156, v117 :: v_dual_mul_f32 v211, v134, v119
	v_dual_mul_f32 v25, v187, v107 :: v_dual_fma_f32 v21, v182, v102, -v21
	s_delay_alu instid0(VALU_DEP_3) | instskip(SKIP_3) | instid1(VALU_DEP_3)
	v_add_f32_e32 v11, v11, v13
	v_dual_fmac_f32 v29, v175, v94 :: v_dual_mul_f32 v43, v188, v109
	s_wait_dscnt 0x1
	v_dual_mul_f32 v45, v190, v111 :: v_dual_fmac_f32 v39, v185, v104
	v_dual_add_f32 v11, v11, v15 :: v_dual_mul_f32 v15, v193, v113
	v_dual_fmac_f32 v209, v157, v116 :: v_dual_mul_f32 v13, v191, v111
	s_delay_alu instid0(VALU_DEP_2) | instskip(NEXT) | instid1(VALU_DEP_3)
	v_dual_fmac_f32 v43, v189, v108 :: v_dual_add_f32 v11, v11, v17
	v_dual_fma_f32 v15, v192, v112, -v15 :: v_dual_fmac_f32 v33, v179, v98
	v_fma_f32 v25, v186, v106, -v25
	v_fmac_f32_e32 v211, v135, v118
	s_delay_alu instid0(VALU_DEP_4) | instskip(SKIP_2) | instid1(VALU_DEP_3)
	v_dual_add_f32 v11, v11, v19 :: v_dual_mul_f32 v19, v157, v117
	v_add_f32_e32 v7, v7, v29
	v_dual_mul_f32 v47, v192, v113 :: v_dual_mul_f32 v49, v154, v115
	v_add_f32_e32 v11, v11, v21
	v_mul_f32_e32 v21, v135, v119
	s_delay_alu instid0(VALU_DEP_4) | instskip(NEXT) | instid1(VALU_DEP_4)
	v_dual_add_f32 v7, v7, v31 :: v_dual_fma_f32 v13, v190, v110, -v13
	v_dual_mul_f32 v17, v155, v115 :: v_dual_fmac_f32 v49, v155, v114
	s_delay_alu instid0(VALU_DEP_3) | instskip(NEXT) | instid1(VALU_DEP_3)
	v_dual_fma_f32 v210, v134, v118, -v21 :: v_dual_add_f32 v11, v11, v23
	v_dual_fma_f32 v23, v188, v108, -v27 :: v_dual_add_f32 v7, v7, v33
	v_dual_fmac_f32 v47, v193, v112 :: v_dual_fmac_f32 v37, v183, v102
	s_delay_alu instid0(VALU_DEP_3) | instskip(NEXT) | instid1(VALU_DEP_3)
	v_dual_fma_f32 v208, v156, v116, -v19 :: v_dual_add_f32 v11, v11, v25
	v_add_f32_e32 v7, v7, v35
	v_pk_mul_f32 v[76:77], v[138:139], v[122:123] op_sel:[1,1] op_sel_hi:[0,1]
	v_pk_mul_f32 v[78:79], v[202:203], v[78:79] op_sel_hi:[1,0]
	s_wait_loadcnt 0x3
	v_dual_mov_b32 v84, v129 :: v_dual_add_f32 v11, v11, v23
	v_fmac_f32_e32 v45, v191, v110
	v_pk_fma_f32 v[88:89], v[138:139], v[122:123], v[76:77] op_sel_hi:[1,0,1]
	v_pk_fma_f32 v[76:77], v[138:139], v[122:123], v[76:77] neg_lo:[0,0,1] neg_hi:[0,0,1]
	v_fmac_f32_e32 v41, v187, v106
	v_dual_add_f32 v11, v11, v13 :: v_dual_fma_f32 v13, v154, v114, -v17
	s_delay_alu instid0(VALU_DEP_4) | instskip(SKIP_2) | instid1(VALU_DEP_4)
	v_dual_add_f32 v7, v7, v37 :: v_dual_mov_b32 v77, v89
	v_pk_fma_f32 v[88:89], v[140:141], v[124:125], v[78:79] op_sel_hi:[1,0,1]
	v_pk_fma_f32 v[78:79], v[140:141], v[124:125], v[78:79] neg_lo:[0,0,1] neg_hi:[0,0,1]
	v_add_f32_e32 v11, v11, v15
	s_delay_alu instid0(VALU_DEP_4)
	v_add_f32_e32 v7, v7, v39
	v_pk_mul_f32 v[74:75], v[200:201], v[74:75] op_sel_hi:[1,0]
	v_mov_b32_e32 v79, v89
	v_pk_mul_f32 v[80:81], v[142:143], v[126:127] op_sel:[1,1] op_sel_hi:[0,1]
	v_add_f32_e32 v82, v11, v13
	v_add_f32_e32 v7, v7, v41
	v_pk_fma_f32 v[86:87], v[136:137], v[120:121], v[74:75] op_sel_hi:[1,0,1]
	v_pk_fma_f32 v[74:75], v[136:137], v[120:121], v[74:75] neg_lo:[0,0,1] neg_hi:[0,0,1]
	v_pk_mul_f32 v[84:85], v[204:205], v[84:85] op_sel_hi:[1,0]
	s_delay_alu instid0(VALU_DEP_4) | instskip(NEXT) | instid1(VALU_DEP_4)
	v_add_f32_e32 v7, v7, v43
	v_mov_b32_e32 v75, v87
	s_wait_loadcnt 0x2
	v_pk_mul_f32 v[86:87], v[146:147], v[130:131] op_sel:[1,1] op_sel_hi:[0,1]
	s_delay_alu instid0(VALU_DEP_3) | instskip(NEXT) | instid1(VALU_DEP_1)
	v_add_f32_e32 v7, v7, v45
	v_add_f32_e32 v7, v7, v47
	s_delay_alu instid0(VALU_DEP_1) | instskip(NEXT) | instid1(VALU_DEP_1)
	v_add_f32_e32 v83, v7, v49
	v_pk_add_f32 v[82:83], v[82:83], v[208:209]
	s_delay_alu instid0(VALU_DEP_1) | instskip(NEXT) | instid1(VALU_DEP_1)
	v_pk_add_f32 v[82:83], v[82:83], v[210:211]
	v_pk_add_f32 v[74:75], v[82:83], v[74:75]
	v_pk_fma_f32 v[82:83], v[142:143], v[126:127], v[80:81] op_sel_hi:[1,0,1]
	v_pk_fma_f32 v[80:81], v[142:143], v[126:127], v[80:81] neg_lo:[0,0,1] neg_hi:[0,0,1]
	s_delay_alu instid0(VALU_DEP_3) | instskip(NEXT) | instid1(VALU_DEP_3)
	v_pk_add_f32 v[74:75], v[74:75], v[76:77]
	v_dual_mov_b32 v76, v133 :: v_dual_mov_b32 v81, v83
	v_pk_fma_f32 v[82:83], v[144:145], v[128:129], v[84:85] op_sel_hi:[1,0,1]
	v_pk_fma_f32 v[84:85], v[144:145], v[128:129], v[84:85] neg_lo:[0,0,1] neg_hi:[0,0,1]
	s_delay_alu instid0(VALU_DEP_4)
	v_pk_add_f32 v[74:75], v[74:75], v[78:79]
	v_pk_fma_f32 v[78:79], v[146:147], v[130:131], v[86:87] op_sel_hi:[1,0,1]
	v_pk_mul_f32 v[76:77], v[206:207], v[76:77] op_sel_hi:[1,0]
	v_mov_b32_e32 v85, v83
	s_wait_loadcnt_dscnt 0x100
	v_pk_mul_f32 v[82:83], v[198:199], v[194:195] op_sel:[1,1] op_sel_hi:[0,1]
	v_pk_add_f32 v[74:75], v[74:75], v[80:81]
	v_pk_fma_f32 v[80:81], v[146:147], v[130:131], v[86:87] neg_lo:[0,0,1] neg_hi:[0,0,1]
	v_mov_b32_e32 v81, v79
	v_pk_fma_f32 v[78:79], v[148:149], v[132:133], v[76:77] op_sel_hi:[1,0,1]
	v_pk_fma_f32 v[76:77], v[148:149], v[132:133], v[76:77] neg_lo:[0,0,1] neg_hi:[0,0,1]
	v_pk_add_f32 v[74:75], v[74:75], v[84:85]
	s_delay_alu instid0(VALU_DEP_3) | instskip(SKIP_1) | instid1(VALU_DEP_3)
	v_mov_b32_e32 v77, v79
	v_pk_fma_f32 v[78:79], v[198:199], v[194:195], v[82:83] op_sel_hi:[1,0,1]
	v_pk_add_f32 v[74:75], v[74:75], v[80:81]
	v_pk_fma_f32 v[80:81], v[198:199], v[194:195], v[82:83] neg_lo:[0,0,1] neg_hi:[0,0,1]
	s_delay_alu instid0(VALU_DEP_3) | instskip(NEXT) | instid1(VALU_DEP_3)
	v_mov_b32_e32 v81, v79
	v_pk_add_f32 v[74:75], v[74:75], v[76:77]
	s_delay_alu instid0(VALU_DEP_1) | instskip(SKIP_1) | instid1(VALU_DEP_1)
	v_pk_add_f32 v[74:75], v[74:75], v[80:81]
	s_wait_loadcnt 0x0
	v_pk_add_f32 v[74:75], v[196:197], v[74:75] neg_lo:[0,1] neg_hi:[0,1]
	scratch_store_b64 off, v[74:75], off offset:32
	s_wait_xcnt 0x0
	v_cmpx_lt_u32_e32 3, v0
	s_cbranch_execz .LBB35_223
; %bb.222:
	scratch_load_b64 v[74:75], off, off offset:24
	v_mov_b64_e32 v[76:77], 0
	scratch_store_b64 off, v[76:77], off offset:24
	s_wait_loadcnt 0x0
	ds_store_b64 v1, v[74:75]
.LBB35_223:
	s_wait_xcnt 0x0
	s_or_b32 exec_lo, exec_lo, s0
	s_wait_storecnt_dscnt 0x0
	s_barrier_signal -1
	s_barrier_wait -1
	s_clause 0x10
	scratch_load_b128 v[74:77], off, off offset:32
	scratch_load_b128 v[78:81], off, off offset:48
	;; [unrolled: 1-line block ×16, first 2 shown]
	scratch_load_b64 v[202:203], off, off offset:24
	ds_load_b128 v[138:141], v5 offset:512
	ds_load_b128 v[142:145], v5 offset:528
	;; [unrolled: 1-line block ×16, first 2 shown]
	s_mov_b32 s0, exec_lo
	s_wait_dscnt 0xf
	v_dual_mov_b32 v204, v141 :: v_dual_mov_b32 v205, v140
	s_wait_dscnt 0xe
	v_dual_mov_b32 v206, v145 :: v_dual_mov_b32 v207, v144
	;; [unrolled: 2-line block ×4, first 2 shown]
	s_wait_loadcnt_dscnt 0x100b
	v_dual_mul_f32 v5, v154, v75 :: v_dual_mul_f32 v7, v156, v77
	v_dual_mul_f32 v51, v155, v75 :: v_dual_mul_f32 v53, v157, v77
	s_wait_loadcnt_dscnt 0xf0a
	v_dual_mul_f32 v11, v158, v79 :: v_dual_mul_f32 v13, v160, v81
	s_delay_alu instid0(VALU_DEP_2) | instskip(SKIP_3) | instid1(VALU_DEP_3)
	v_dual_fmac_f32 v5, v155, v74 :: v_dual_fma_f32 v51, v154, v74, -v51
	v_dual_mul_f32 v55, v159, v79 :: v_dual_mul_f32 v57, v161, v81
	s_wait_loadcnt_dscnt 0xd08
	v_dual_mul_f32 v63, v167, v87 :: v_dual_fmac_f32 v7, v157, v76
	v_dual_fma_f32 v53, v156, v76, -v53 :: v_dual_add_f32 v5, 0, v5
	v_dual_add_f32 v51, 0, v51 :: v_dual_mul_f32 v65, v169, v89
	v_fmac_f32_e32 v11, v159, v78
	s_delay_alu instid0(VALU_DEP_3) | instskip(NEXT) | instid1(VALU_DEP_3)
	v_dual_fma_f32 v55, v158, v78, -v55 :: v_dual_add_f32 v5, v5, v7
	v_dual_add_f32 v7, v51, v53 :: v_dual_mul_f32 v15, v162, v83
	v_dual_mul_f32 v17, v164, v85 :: v_dual_mul_f32 v59, v163, v83
	s_wait_loadcnt_dscnt 0xc07
	v_dual_mul_f32 v61, v165, v85 :: v_dual_mul_f32 v51, v171, v91
	v_fmac_f32_e32 v13, v161, v80
	v_dual_fma_f32 v53, v160, v80, -v57 :: v_dual_add_f32 v5, v5, v11
	v_dual_add_f32 v7, v7, v55 :: v_dual_mul_f32 v11, v173, v93
	v_fmac_f32_e32 v15, v163, v82
	s_delay_alu instid0(VALU_DEP_3) | instskip(NEXT) | instid1(VALU_DEP_3)
	v_dual_fma_f32 v55, v162, v82, -v59 :: v_dual_add_f32 v5, v5, v13
	v_dual_add_f32 v7, v7, v53 :: v_dual_mul_f32 v19, v166, v87
	s_wait_loadcnt_dscnt 0xb06
	v_dual_mul_f32 v21, v168, v89 :: v_dual_mul_f32 v13, v175, v95
	v_fmac_f32_e32 v17, v165, v84
	v_dual_fma_f32 v53, v164, v84, -v61 :: v_dual_add_f32 v5, v5, v15
	v_dual_add_f32 v7, v7, v55 :: v_dual_mul_f32 v15, v177, v97
	v_fmac_f32_e32 v19, v167, v86
	s_delay_alu instid0(VALU_DEP_3) | instskip(NEXT) | instid1(VALU_DEP_3)
	v_dual_fma_f32 v55, v166, v86, -v63 :: v_dual_add_f32 v5, v5, v17
	v_dual_add_f32 v7, v7, v53 :: v_dual_mul_f32 v23, v170, v91
	;; [unrolled: 9-line block ×3, first 2 shown]
	s_wait_loadcnt_dscnt 0x904
	v_dual_mul_f32 v29, v176, v97 :: v_dual_mul_f32 v21, v183, v103
	v_dual_fmac_f32 v25, v173, v92 :: v_dual_fma_f32 v11, v172, v92, -v11
	v_add_f32_e32 v5, v5, v23
	v_dual_add_f32 v7, v7, v51 :: v_dual_mul_f32 v23, v185, v105
	v_dual_fmac_f32 v27, v175, v94 :: v_dual_fma_f32 v13, v174, v94, -v13
	s_delay_alu instid0(VALU_DEP_2) | instskip(SKIP_3) | instid1(VALU_DEP_3)
	v_dual_add_f32 v5, v5, v25 :: v_dual_add_f32 v7, v7, v11
	v_dual_mul_f32 v31, v178, v99 :: v_dual_mul_f32 v33, v180, v101
	s_wait_loadcnt_dscnt 0x803
	v_dual_mul_f32 v11, v187, v107 :: v_dual_fmac_f32 v29, v177, v96
	v_dual_fma_f32 v15, v176, v96, -v15 :: v_dual_add_f32 v5, v5, v27
	v_dual_add_f32 v7, v7, v13 :: v_dual_fma_f32 v17, v178, v98, -v17
	v_dual_mul_f32 v13, v189, v109 :: v_dual_fmac_f32 v31, v179, v98
	s_delay_alu instid0(VALU_DEP_2) | instskip(SKIP_3) | instid1(VALU_DEP_3)
	v_dual_add_f32 v5, v5, v29 :: v_dual_add_f32 v7, v7, v15
	v_dual_mul_f32 v35, v182, v103 :: v_dual_mul_f32 v37, v184, v105
	s_wait_loadcnt_dscnt 0x702
	v_dual_mul_f32 v15, v191, v111 :: v_dual_fmac_f32 v33, v181, v100
	v_dual_fma_f32 v19, v180, v100, -v19 :: v_dual_add_f32 v5, v5, v31
	v_dual_add_f32 v7, v7, v17 :: v_dual_fma_f32 v21, v182, v102, -v21
	v_dual_mul_f32 v17, v193, v113 :: v_dual_fmac_f32 v35, v183, v102
	;; [unrolled: 8-line block ×3, first 2 shown]
	s_delay_alu instid0(VALU_DEP_2) | instskip(SKIP_3) | instid1(VALU_DEP_3)
	v_dual_add_f32 v5, v5, v37 :: v_dual_add_f32 v7, v7, v23
	v_dual_mul_f32 v43, v190, v111 :: v_dual_mul_f32 v45, v192, v113
	s_wait_loadcnt_dscnt 0x500
	v_dual_mul_f32 v23, v199, v119 :: v_dual_fmac_f32 v41, v189, v108
	v_dual_fma_f32 v13, v188, v108, -v13 :: v_dual_add_f32 v5, v5, v39
	v_dual_add_f32 v7, v7, v11 :: v_dual_mul_f32 v11, v201, v121
	v_fmac_f32_e32 v43, v191, v110
	s_delay_alu instid0(VALU_DEP_3) | instskip(NEXT) | instid1(VALU_DEP_3)
	v_dual_fma_f32 v15, v190, v110, -v15 :: v_dual_add_f32 v5, v5, v41
	v_dual_add_f32 v7, v7, v13 :: v_dual_mul_f32 v47, v194, v115
	v_dual_mul_f32 v49, v196, v117 :: v_dual_fmac_f32 v45, v193, v112
	s_delay_alu instid0(VALU_DEP_3) | instskip(SKIP_1) | instid1(VALU_DEP_3)
	v_dual_fma_f32 v13, v192, v112, -v17 :: v_dual_add_f32 v5, v5, v43
	s_wait_loadcnt 0x4
	v_dual_add_f32 v7, v7, v15 :: v_dual_mov_b32 v76, v125
	v_fmac_f32_e32 v47, v195, v114
	s_delay_alu instid0(VALU_DEP_3) | instskip(NEXT) | instid1(VALU_DEP_3)
	v_dual_fma_f32 v15, v194, v114, -v19 :: v_dual_add_f32 v5, v5, v45
	v_dual_add_f32 v7, v7, v13 :: v_dual_fmac_f32 v49, v197, v116
	v_dual_mul_f32 v213, v198, v119 :: v_dual_mul_f32 v215, v200, v121
	s_delay_alu instid0(VALU_DEP_3) | instskip(SKIP_1) | instid1(VALU_DEP_3)
	v_dual_fma_f32 v13, v196, v116, -v21 :: v_dual_add_f32 v5, v5, v47
	s_wait_loadcnt 0x3
	v_dual_add_f32 v7, v7, v15 :: v_dual_mov_b32 v80, v129
	v_pk_mul_f32 v[74:75], v[138:139], v[122:123] op_sel:[1,1] op_sel_hi:[0,1]
	v_dual_fmac_f32 v213, v199, v118 :: v_dual_fma_f32 v212, v198, v118, -v23
	v_dual_add_f32 v83, v5, v49 :: v_dual_fma_f32 v214, v200, v120, -v11
	s_delay_alu instid0(VALU_DEP_4) | instskip(NEXT) | instid1(VALU_DEP_4)
	v_dual_add_f32 v82, v7, v13 :: v_dual_fmac_f32 v215, v201, v120
	v_pk_fma_f32 v[84:85], v[138:139], v[122:123], v[74:75] op_sel_hi:[1,0,1]
	v_pk_mul_f32 v[76:77], v[204:205], v[76:77] op_sel_hi:[1,0]
	v_pk_fma_f32 v[74:75], v[138:139], v[122:123], v[74:75] neg_lo:[0,0,1] neg_hi:[0,0,1]
	s_delay_alu instid0(VALU_DEP_4)
	v_pk_add_f32 v[82:83], v[82:83], v[212:213]
	v_pk_mul_f32 v[78:79], v[142:143], v[126:127] op_sel:[1,1] op_sel_hi:[0,1]
	v_mov_b32_e32 v75, v85
	v_pk_fma_f32 v[84:85], v[140:141], v[124:125], v[76:77] op_sel_hi:[1,0,1]
	v_pk_fma_f32 v[76:77], v[140:141], v[124:125], v[76:77] neg_lo:[0,0,1] neg_hi:[0,0,1]
	v_pk_add_f32 v[82:83], v[82:83], v[214:215]
	v_pk_fma_f32 v[88:89], v[142:143], v[126:127], v[78:79] op_sel_hi:[1,0,1]
	v_pk_mul_f32 v[80:81], v[206:207], v[80:81] op_sel_hi:[1,0]
	v_mov_b32_e32 v77, v85
	s_wait_loadcnt 0x2
	v_pk_mul_f32 v[86:87], v[146:147], v[130:131] op_sel:[1,1] op_sel_hi:[0,1]
	v_pk_add_f32 v[74:75], v[82:83], v[74:75]
	v_mov_b32_e32 v82, v133
	v_pk_fma_f32 v[78:79], v[142:143], v[126:127], v[78:79] neg_lo:[0,0,1] neg_hi:[0,0,1]
	v_mov_b32_e32 v79, v89
	v_pk_fma_f32 v[84:85], v[144:145], v[128:129], v[80:81] op_sel_hi:[1,0,1]
	v_pk_add_f32 v[74:75], v[74:75], v[76:77]
	v_pk_fma_f32 v[76:77], v[146:147], v[130:131], v[86:87] op_sel_hi:[1,0,1]
	v_pk_mul_f32 v[82:83], v[208:209], v[82:83] op_sel_hi:[1,0]
	v_pk_fma_f32 v[80:81], v[144:145], v[128:129], v[80:81] neg_lo:[0,0,1] neg_hi:[0,0,1]
	v_mov_b32_e32 v81, v85
	v_pk_add_f32 v[74:75], v[74:75], v[78:79]
	v_pk_fma_f32 v[84:85], v[146:147], v[130:131], v[86:87] neg_lo:[0,0,1] neg_hi:[0,0,1]
	v_mov_b32_e32 v85, v77
	v_pk_fma_f32 v[76:77], v[148:149], v[132:133], v[82:83] op_sel_hi:[1,0,1]
	s_wait_loadcnt 0x1
	v_pk_mul_f32 v[78:79], v[150:151], v[134:135] op_sel:[1,1] op_sel_hi:[0,1]
	v_pk_add_f32 v[74:75], v[74:75], v[80:81]
	v_mov_b32_e32 v76, v137
	v_pk_fma_f32 v[82:83], v[148:149], v[132:133], v[82:83] neg_lo:[0,0,1] neg_hi:[0,0,1]
	v_mov_b32_e32 v83, v77
	v_pk_fma_f32 v[80:81], v[150:151], v[134:135], v[78:79] op_sel_hi:[1,0,1]
	v_pk_add_f32 v[74:75], v[74:75], v[84:85]
	v_pk_mul_f32 v[76:77], v[210:211], v[76:77] op_sel_hi:[1,0]
	v_pk_fma_f32 v[78:79], v[150:151], v[134:135], v[78:79] neg_lo:[0,0,1] neg_hi:[0,0,1]
	s_delay_alu instid0(VALU_DEP_4) | instskip(NEXT) | instid1(VALU_DEP_4)
	v_mov_b32_e32 v79, v81
	v_pk_add_f32 v[74:75], v[74:75], v[82:83]
	s_delay_alu instid0(VALU_DEP_4) | instskip(SKIP_1) | instid1(VALU_DEP_2)
	v_pk_fma_f32 v[80:81], v[152:153], v[136:137], v[76:77] op_sel_hi:[1,0,1]
	v_pk_fma_f32 v[76:77], v[152:153], v[136:137], v[76:77] neg_lo:[0,0,1] neg_hi:[0,0,1]
	v_mov_b32_e32 v77, v81
	s_delay_alu instid0(VALU_DEP_4) | instskip(NEXT) | instid1(VALU_DEP_1)
	v_pk_add_f32 v[74:75], v[74:75], v[78:79]
	v_pk_add_f32 v[74:75], v[74:75], v[76:77]
	s_wait_loadcnt 0x0
	s_delay_alu instid0(VALU_DEP_1)
	v_pk_add_f32 v[74:75], v[202:203], v[74:75] neg_lo:[0,1] neg_hi:[0,1]
	scratch_store_b64 off, v[74:75], off offset:24
	s_wait_xcnt 0x0
	v_cmpx_lt_u32_e32 2, v0
	s_cbranch_execz .LBB35_225
; %bb.224:
	scratch_load_b64 v[74:75], off, off offset:16
	v_mov_b64_e32 v[76:77], 0
	scratch_store_b64 off, v[76:77], off offset:16
	s_wait_loadcnt 0x0
	ds_store_b64 v1, v[74:75]
.LBB35_225:
	s_wait_xcnt 0x0
	s_or_b32 exec_lo, exec_lo, s0
	s_wait_storecnt_dscnt 0x0
	s_barrier_signal -1
	s_barrier_wait -1
	s_clause 0x11
	scratch_load_b128 v[74:77], off, off offset:24
	scratch_load_b128 v[78:81], off, off offset:40
	scratch_load_b128 v[82:85], off, off offset:56
	scratch_load_b128 v[86:89], off, off offset:72
	scratch_load_b128 v[90:93], off, off offset:88
	scratch_load_b128 v[94:97], off, off offset:104
	scratch_load_b128 v[98:101], off, off offset:120
	scratch_load_b128 v[102:105], off, off offset:136
	scratch_load_b128 v[106:109], off, off offset:152
	scratch_load_b128 v[110:113], off, off offset:168
	scratch_load_b128 v[114:117], off, off offset:184
	scratch_load_b128 v[118:121], off, off offset:200
	scratch_load_b128 v[122:125], off, off offset:216
	scratch_load_b128 v[126:129], off, off offset:232
	scratch_load_b128 v[130:133], off, off offset:248
	scratch_load_b128 v[134:137], off, off offset:264
	scratch_load_b64 v[202:203], off, off offset:280
	scratch_load_b64 v[204:205], off, off offset:16
	v_mov_b32_e32 v53, 0
	ds_load_2addr_b64 v[138:141], v53 offset0:63 offset1:64
	ds_load_2addr_b64 v[142:145], v53 offset0:65 offset1:66
	;; [unrolled: 1-line block ×16, first 2 shown]
	ds_load_b64 v[206:207], v53 offset:568
	s_mov_b32 s0, exec_lo
	s_wait_dscnt 0x10
	v_dual_mov_b32 v208, v141 :: v_dual_mov_b32 v209, v140
	s_wait_dscnt 0xd
	v_dual_mov_b32 v210, v145 :: v_dual_mov_b32 v215, v152
	v_dual_mov_b32 v211, v144 :: v_dual_mov_b32 v212, v149
	v_dual_mov_b32 v213, v148 :: v_dual_mov_b32 v214, v153
	s_wait_loadcnt_dscnt 0x110c
	v_dual_mul_f32 v5, v154, v75 :: v_dual_mul_f32 v55, v155, v75
	v_dual_mul_f32 v57, v157, v77 :: v_dual_mul_f32 v7, v156, v77
	s_wait_loadcnt_dscnt 0x100b
	v_mul_f32_e32 v11, v158, v79
	s_wait_loadcnt_dscnt 0xe09
	v_dual_mul_f32 v67, v167, v87 :: v_dual_fma_f32 v55, v154, v74, -v55
	v_dual_fmac_f32 v5, v155, v74 :: v_dual_mul_f32 v69, v169, v89
	v_dual_mul_f32 v59, v159, v79 :: v_dual_mul_f32 v61, v161, v81
	v_dual_fmac_f32 v7, v157, v76 :: v_dual_fma_f32 v57, v156, v76, -v57
	s_delay_alu instid0(VALU_DEP_3) | instskip(SKIP_3) | instid1(VALU_DEP_3)
	v_dual_add_f32 v5, 0, v5 :: v_dual_add_f32 v55, 0, v55
	v_dual_mul_f32 v13, v160, v81 :: v_dual_mul_f32 v15, v162, v83
	s_wait_loadcnt_dscnt 0xd08
	v_dual_mul_f32 v71, v171, v91 :: v_dual_fma_f32 v59, v158, v78, -v59
	v_dual_fmac_f32 v11, v159, v78 :: v_dual_add_f32 v5, v5, v7
	s_delay_alu instid0(VALU_DEP_3) | instskip(SKIP_2) | instid1(VALU_DEP_4)
	v_dual_add_f32 v7, v55, v57 :: v_dual_fmac_f32 v13, v161, v80
	v_dual_mul_f32 v63, v163, v83 :: v_dual_mul_f32 v65, v165, v85
	v_dual_mul_f32 v55, v173, v93 :: v_dual_fma_f32 v57, v160, v80, -v61
	v_dual_add_f32 v5, v5, v11 :: v_dual_fmac_f32 v15, v163, v82
	s_delay_alu instid0(VALU_DEP_3) | instskip(SKIP_2) | instid1(VALU_DEP_3)
	v_dual_add_f32 v7, v7, v59 :: v_dual_fma_f32 v59, v162, v82, -v63
	v_dual_mul_f32 v17, v164, v85 :: v_dual_mul_f32 v19, v166, v87
	s_wait_loadcnt_dscnt 0xc07
	v_dual_mul_f32 v11, v175, v95 :: v_dual_add_f32 v5, v5, v13
	s_delay_alu instid0(VALU_DEP_2) | instskip(SKIP_1) | instid1(VALU_DEP_3)
	v_dual_add_f32 v7, v7, v57 :: v_dual_fmac_f32 v17, v165, v84
	v_dual_mul_f32 v13, v177, v97 :: v_dual_fma_f32 v57, v164, v84, -v65
	v_dual_add_f32 v5, v5, v15 :: v_dual_fmac_f32 v19, v167, v86
	s_delay_alu instid0(VALU_DEP_3) | instskip(SKIP_2) | instid1(VALU_DEP_3)
	v_dual_add_f32 v7, v7, v59 :: v_dual_fma_f32 v59, v166, v86, -v67
	v_dual_mul_f32 v21, v168, v89 :: v_dual_mul_f32 v23, v170, v91
	s_wait_loadcnt_dscnt 0xb06
	v_dual_mul_f32 v15, v179, v99 :: v_dual_add_f32 v5, v5, v17
	s_delay_alu instid0(VALU_DEP_2) | instskip(SKIP_1) | instid1(VALU_DEP_3)
	v_dual_add_f32 v7, v7, v57 :: v_dual_fmac_f32 v21, v169, v88
	;; [unrolled: 9-line block ×3, first 2 shown]
	v_dual_mul_f32 v21, v185, v105 :: v_dual_fma_f32 v55, v172, v92, -v55
	v_dual_add_f32 v5, v5, v23 :: v_dual_fmac_f32 v27, v175, v94
	s_delay_alu instid0(VALU_DEP_3) | instskip(SKIP_2) | instid1(VALU_DEP_3)
	v_dual_add_f32 v7, v7, v59 :: v_dual_fma_f32 v11, v174, v94, -v11
	v_dual_mul_f32 v29, v176, v97 :: v_dual_mul_f32 v31, v178, v99
	s_wait_loadcnt_dscnt 0x904
	v_dual_mul_f32 v23, v187, v107 :: v_dual_add_f32 v5, v5, v25
	s_delay_alu instid0(VALU_DEP_3) | instskip(NEXT) | instid1(VALU_DEP_3)
	v_dual_add_f32 v7, v7, v55 :: v_dual_mul_f32 v25, v189, v109
	v_fmac_f32_e32 v29, v177, v96
	s_delay_alu instid0(VALU_DEP_3) | instskip(NEXT) | instid1(VALU_DEP_3)
	v_dual_fma_f32 v13, v176, v96, -v13 :: v_dual_add_f32 v5, v5, v27
	v_dual_add_f32 v7, v7, v11 :: v_dual_mul_f32 v33, v180, v101
	v_mul_f32_e32 v35, v182, v103
	s_wait_loadcnt_dscnt 0x803
	v_dual_mul_f32 v11, v191, v111 :: v_dual_fma_f32 v15, v178, v98, -v15
	v_dual_fmac_f32 v31, v179, v98 :: v_dual_add_f32 v5, v5, v29
	v_dual_add_f32 v7, v7, v13 :: v_dual_fmac_f32 v33, v181, v100
	v_dual_mul_f32 v13, v193, v113 :: v_dual_fma_f32 v17, v180, v100, -v17
	s_delay_alu instid0(VALU_DEP_3) | instskip(NEXT) | instid1(VALU_DEP_3)
	v_dual_add_f32 v5, v5, v31 :: v_dual_fmac_f32 v35, v183, v102
	v_dual_add_f32 v7, v7, v15 :: v_dual_fma_f32 v19, v182, v102, -v19
	v_dual_mul_f32 v37, v184, v105 :: v_dual_mul_f32 v39, v186, v107
	s_wait_loadcnt_dscnt 0x702
	s_delay_alu instid0(VALU_DEP_3) | instskip(NEXT) | instid1(VALU_DEP_2)
	v_dual_mul_f32 v15, v195, v115 :: v_dual_add_f32 v5, v5, v33
	v_dual_add_f32 v7, v7, v17 :: v_dual_fmac_f32 v37, v185, v104
	v_dual_mul_f32 v17, v197, v117 :: v_dual_fma_f32 v21, v184, v104, -v21
	s_delay_alu instid0(VALU_DEP_3) | instskip(NEXT) | instid1(VALU_DEP_3)
	v_dual_add_f32 v5, v5, v35 :: v_dual_fmac_f32 v39, v187, v106
	v_dual_add_f32 v7, v7, v19 :: v_dual_fma_f32 v23, v186, v106, -v23
	v_dual_mul_f32 v41, v188, v109 :: v_dual_mul_f32 v43, v190, v111
	s_wait_loadcnt_dscnt 0x601
	s_delay_alu instid0(VALU_DEP_3) | instskip(NEXT) | instid1(VALU_DEP_2)
	v_dual_mul_f32 v19, v199, v119 :: v_dual_add_f32 v5, v5, v37
	v_dual_add_f32 v7, v7, v21 :: v_dual_fmac_f32 v41, v189, v108
	v_dual_mul_f32 v21, v201, v121 :: v_dual_fma_f32 v25, v188, v108, -v25
	s_delay_alu instid0(VALU_DEP_3) | instskip(NEXT) | instid1(VALU_DEP_3)
	v_dual_add_f32 v5, v5, v39 :: v_dual_fmac_f32 v43, v191, v110
	v_dual_add_f32 v7, v7, v23 :: v_dual_fma_f32 v11, v190, v110, -v11
	v_dual_mul_f32 v45, v192, v113 :: v_dual_mul_f32 v47, v194, v115
	s_wait_loadcnt 0x5
	s_delay_alu instid0(VALU_DEP_3) | instskip(NEXT) | instid1(VALU_DEP_3)
	v_dual_mul_f32 v23, v139, v123 :: v_dual_add_f32 v5, v5, v41
	v_dual_add_f32 v7, v7, v25 :: v_dual_mov_b32 v74, v125
	s_delay_alu instid0(VALU_DEP_3) | instskip(NEXT) | instid1(VALU_DEP_3)
	v_fmac_f32_e32 v45, v193, v112
	v_dual_fma_f32 v13, v192, v112, -v13 :: v_dual_add_f32 v5, v5, v43
	s_delay_alu instid0(VALU_DEP_3) | instskip(SKIP_1) | instid1(VALU_DEP_3)
	v_dual_add_f32 v7, v7, v11 :: v_dual_mul_f32 v49, v196, v117
	v_dual_mul_f32 v51, v198, v119 :: v_dual_fmac_f32 v47, v195, v114
	v_dual_add_f32 v5, v5, v45 :: v_dual_fma_f32 v11, v194, v114, -v15
	s_wait_loadcnt 0x4
	s_delay_alu instid0(VALU_DEP_3) | instskip(SKIP_3) | instid1(VALU_DEP_4)
	v_dual_add_f32 v7, v7, v13 :: v_dual_mov_b32 v78, v129
	v_fma_f32 v13, v196, v116, -v17
	v_fmac_f32_e32 v49, v197, v116
	v_dual_add_f32 v5, v5, v47 :: v_dual_fmac_f32 v51, v199, v118
	v_dual_add_f32 v7, v7, v11 :: v_dual_mul_f32 v217, v200, v121
	v_mul_f32_e32 v219, v138, v123
	s_delay_alu instid0(VALU_DEP_3) | instskip(NEXT) | instid1(VALU_DEP_3)
	v_dual_fma_f32 v11, v198, v118, -v19 :: v_dual_add_f32 v5, v5, v49
	v_dual_add_f32 v7, v7, v13 :: v_dual_fmac_f32 v217, v201, v120
	v_pk_mul_f32 v[76:77], v[142:143], v[126:127] op_sel:[1,1] op_sel_hi:[0,1]
	s_delay_alu instid0(VALU_DEP_3)
	v_dual_fma_f32 v216, v200, v120, -v21 :: v_dual_add_f32 v83, v5, v51
	v_pk_mul_f32 v[74:75], v[208:209], v[74:75] op_sel_hi:[1,0]
	s_wait_loadcnt 0x3
	v_dual_add_f32 v82, v7, v11 :: v_dual_mov_b32 v84, v133
	v_pk_fma_f32 v[88:89], v[142:143], v[126:127], v[76:77] op_sel_hi:[1,0,1]
	v_fmac_f32_e32 v219, v139, v122
	v_pk_fma_f32 v[86:87], v[140:141], v[124:125], v[74:75] op_sel_hi:[1,0,1]
	v_fma_f32 v218, v138, v122, -v23
	v_pk_add_f32 v[82:83], v[82:83], v[216:217]
	v_pk_fma_f32 v[74:75], v[140:141], v[124:125], v[74:75] neg_lo:[0,0,1] neg_hi:[0,0,1]
	v_pk_fma_f32 v[76:77], v[142:143], v[126:127], v[76:77] neg_lo:[0,0,1] neg_hi:[0,0,1]
	v_pk_mul_f32 v[78:79], v[210:211], v[78:79] op_sel_hi:[1,0]
	v_dual_mov_b32 v75, v87 :: v_dual_mov_b32 v77, v89
	v_pk_add_f32 v[82:83], v[82:83], v[218:219]
	v_pk_mul_f32 v[80:81], v[146:147], v[130:131] op_sel:[1,1] op_sel_hi:[0,1]
	s_delay_alu instid0(VALU_DEP_4)
	v_pk_fma_f32 v[88:89], v[144:145], v[128:129], v[78:79] op_sel_hi:[1,0,1]
	v_pk_fma_f32 v[78:79], v[144:145], v[128:129], v[78:79] neg_lo:[0,0,1] neg_hi:[0,0,1]
	v_pk_mul_f32 v[84:85], v[212:213], v[84:85] op_sel_hi:[1,0]
	v_pk_add_f32 v[74:75], v[82:83], v[74:75]
	v_pk_fma_f32 v[82:83], v[146:147], v[130:131], v[80:81] op_sel_hi:[1,0,1]
	v_mov_b32_e32 v79, v89
	v_pk_fma_f32 v[80:81], v[146:147], v[130:131], v[80:81] neg_lo:[0,0,1] neg_hi:[0,0,1]
	s_wait_loadcnt 0x2
	v_pk_mul_f32 v[86:87], v[150:151], v[134:135] op_sel:[1,1] op_sel_hi:[0,1]
	v_pk_add_f32 v[74:75], v[74:75], v[76:77]
	v_dual_mov_b32 v76, v137 :: v_dual_mov_b32 v81, v83
	v_pk_fma_f32 v[82:83], v[148:149], v[132:133], v[84:85] op_sel_hi:[1,0,1]
	v_pk_fma_f32 v[84:85], v[148:149], v[132:133], v[84:85] neg_lo:[0,0,1] neg_hi:[0,0,1]
	s_delay_alu instid0(VALU_DEP_4)
	v_pk_add_f32 v[74:75], v[74:75], v[78:79]
	v_pk_fma_f32 v[78:79], v[150:151], v[134:135], v[86:87] op_sel_hi:[1,0,1]
	v_pk_mul_f32 v[76:77], v[214:215], v[76:77] op_sel_hi:[1,0]
	v_mov_b32_e32 v85, v83
	s_wait_loadcnt_dscnt 0x100
	v_pk_mul_f32 v[82:83], v[206:207], v[202:203] op_sel:[1,1] op_sel_hi:[0,1]
	v_pk_add_f32 v[74:75], v[74:75], v[80:81]
	v_pk_fma_f32 v[80:81], v[150:151], v[134:135], v[86:87] neg_lo:[0,0,1] neg_hi:[0,0,1]
	v_mov_b32_e32 v81, v79
	v_pk_fma_f32 v[78:79], v[152:153], v[136:137], v[76:77] op_sel_hi:[1,0,1]
	v_pk_fma_f32 v[76:77], v[152:153], v[136:137], v[76:77] neg_lo:[0,0,1] neg_hi:[0,0,1]
	v_pk_add_f32 v[74:75], v[74:75], v[84:85]
	s_delay_alu instid0(VALU_DEP_3) | instskip(SKIP_1) | instid1(VALU_DEP_3)
	v_mov_b32_e32 v77, v79
	v_pk_fma_f32 v[78:79], v[206:207], v[202:203], v[82:83] op_sel_hi:[1,0,1]
	v_pk_add_f32 v[74:75], v[74:75], v[80:81]
	v_pk_fma_f32 v[80:81], v[206:207], v[202:203], v[82:83] neg_lo:[0,0,1] neg_hi:[0,0,1]
	s_delay_alu instid0(VALU_DEP_3) | instskip(NEXT) | instid1(VALU_DEP_3)
	v_mov_b32_e32 v81, v79
	v_pk_add_f32 v[74:75], v[74:75], v[76:77]
	s_delay_alu instid0(VALU_DEP_1) | instskip(SKIP_1) | instid1(VALU_DEP_1)
	v_pk_add_f32 v[74:75], v[74:75], v[80:81]
	s_wait_loadcnt 0x0
	v_pk_add_f32 v[74:75], v[204:205], v[74:75] neg_lo:[0,1] neg_hi:[0,1]
	scratch_store_b64 off, v[74:75], off offset:16
	s_wait_xcnt 0x0
	v_cmpx_lt_u32_e32 1, v0
	s_cbranch_execz .LBB35_227
; %bb.226:
	scratch_load_b64 v[74:75], off, off offset:8
	v_mov_b64_e32 v[76:77], 0
	scratch_store_b64 off, v[76:77], off offset:8
	s_wait_loadcnt 0x0
	ds_store_b64 v1, v[74:75]
.LBB35_227:
	s_wait_xcnt 0x0
	s_or_b32 exec_lo, exec_lo, s0
	s_wait_storecnt_dscnt 0x0
	s_barrier_signal -1
	s_barrier_wait -1
	s_clause 0x11
	scratch_load_b128 v[74:77], off, off offset:16
	scratch_load_b128 v[78:81], off, off offset:32
	;; [unrolled: 1-line block ×17, first 2 shown]
	scratch_load_b64 v[210:211], off, off offset:8
	ds_load_b128 v[142:145], v53 offset:496
	ds_load_b128 v[146:149], v53 offset:512
	;; [unrolled: 1-line block ×17, first 2 shown]
	v_dual_ashrrev_i32 v51, 31, v50 :: v_dual_ashrrev_i32 v5, 31, v4
	v_ashrrev_i32_e32 v7, 31, v6
	v_dual_ashrrev_i32 v11, 31, v10 :: v_dual_ashrrev_i32 v13, 31, v12
	v_dual_ashrrev_i32 v15, 31, v14 :: v_dual_ashrrev_i32 v17, 31, v16
	;; [unrolled: 1-line block ×6, first 2 shown]
	s_wait_dscnt 0xe
	v_dual_mov_b32 v212, v149 :: v_dual_mov_b32 v219, v160
	s_wait_dscnt 0xd
	v_dual_mov_b32 v213, v148 :: v_dual_mov_b32 v214, v153
	s_wait_dscnt 0xc
	v_dual_mov_b32 v215, v152 :: v_dual_mov_b32 v216, v157
	v_dual_mov_b32 v217, v156 :: v_dual_mov_b32 v218, v161
	v_dual_ashrrev_i32 v35, 31, v34 :: v_dual_ashrrev_i32 v37, 31, v36
	v_dual_ashrrev_i32 v39, 31, v38 :: v_dual_ashrrev_i32 v41, 31, v40
	;; [unrolled: 1-line block ×4, first 2 shown]
	s_mov_b32 s0, exec_lo
	s_wait_loadcnt_dscnt 0x110b
	v_dual_mul_f32 v53, v162, v75 :: v_dual_mul_f32 v55, v164, v77
	s_wait_loadcnt_dscnt 0xf09
	v_dual_mul_f32 v57, v166, v79 :: v_dual_mul_f32 v63, v172, v85
	;; [unrolled: 2-line block ×3, first 2 shown]
	v_dual_mul_f32 v79, v167, v79 :: v_dual_mul_f32 v85, v173, v85
	v_dual_fmac_f32 v53, v163, v74 :: v_dual_mul_f32 v75, v163, v75
	s_delay_alu instid0(VALU_DEP_3)
	v_dual_fmac_f32 v55, v165, v76 :: v_dual_fma_f32 v76, v164, v76, -v77
	s_wait_loadcnt 0x5
	v_mul_f32_e32 v223, v144, v125
	v_dual_mul_f32 v59, v168, v81 :: v_dual_mul_f32 v61, v170, v83
	v_dual_fma_f32 v74, v162, v74, -v75 :: v_dual_mul_f32 v75, v175, v87
	v_add_f32_e32 v53, 0, v53
	v_dual_mul_f32 v81, v169, v81 :: v_dual_mul_f32 v83, v171, v83
	s_delay_alu instid0(VALU_DEP_3) | instskip(SKIP_1) | instid1(VALU_DEP_2)
	v_dual_add_f32 v74, 0, v74 :: v_dual_mul_f32 v77, v177, v89
	v_dual_fmac_f32 v57, v167, v78 :: v_dual_fma_f32 v78, v166, v78, -v79
	v_dual_add_f32 v53, v53, v55 :: v_dual_add_f32 v55, v74, v76
	s_wait_dscnt 0x7
	v_dual_mul_f32 v74, v179, v91 :: v_dual_fmac_f32 v59, v169, v80
	s_delay_alu instid0(VALU_DEP_2) | instskip(NEXT) | instid1(VALU_DEP_3)
	v_dual_fma_f32 v76, v168, v80, -v81 :: v_dual_add_f32 v53, v53, v57
	v_dual_add_f32 v55, v55, v78 :: v_dual_mul_f32 v57, v181, v93
	v_dual_fmac_f32 v61, v171, v82 :: v_dual_fma_f32 v78, v170, v82, -v83
	s_delay_alu instid0(VALU_DEP_2) | instskip(SKIP_3) | instid1(VALU_DEP_3)
	v_dual_add_f32 v53, v53, v59 :: v_dual_add_f32 v55, v55, v76
	s_wait_dscnt 0x6
	v_dual_mul_f32 v59, v183, v95 :: v_dual_fmac_f32 v63, v173, v84
	v_dual_mul_f32 v67, v176, v89 :: v_dual_mul_f32 v69, v178, v91
	v_dual_add_f32 v53, v53, v61 :: v_dual_fma_f32 v76, v172, v84, -v85
	v_dual_add_f32 v55, v55, v78 :: v_dual_mul_f32 v61, v185, v97
	v_dual_fmac_f32 v65, v175, v86 :: v_dual_fma_f32 v75, v174, v86, -v75
	s_delay_alu instid0(VALU_DEP_2) | instskip(SKIP_3) | instid1(VALU_DEP_3)
	v_dual_add_f32 v53, v53, v63 :: v_dual_add_f32 v55, v55, v76
	s_wait_dscnt 0x5
	v_dual_mul_f32 v63, v187, v99 :: v_dual_fmac_f32 v67, v177, v88
	v_dual_mul_f32 v71, v180, v93 :: v_dual_mul_f32 v73, v182, v95
	v_dual_add_f32 v53, v53, v65 :: v_dual_fma_f32 v76, v176, v88, -v77
	;; [unrolled: 8-line block ×3, first 2 shown]
	v_dual_add_f32 v55, v55, v74 :: v_dual_mul_f32 v69, v193, v105
	v_dual_fmac_f32 v73, v183, v94 :: v_dual_fma_f32 v59, v182, v94, -v59
	s_delay_alu instid0(VALU_DEP_2) | instskip(SKIP_2) | instid1(VALU_DEP_2)
	v_dual_add_f32 v53, v53, v71 :: v_dual_add_f32 v55, v55, v57
	s_wait_dscnt 0x3
	v_dual_fmac_f32 v220, v185, v96 :: v_dual_mul_f32 v57, v195, v107
	v_dual_fma_f32 v61, v184, v96, -v61 :: v_dual_add_f32 v53, v53, v73
	s_delay_alu instid0(VALU_DEP_3) | instskip(SKIP_2) | instid1(VALU_DEP_3)
	v_dual_add_f32 v55, v55, v59 :: v_dual_mul_f32 v224, v188, v101
	v_dual_mul_f32 v225, v190, v103 :: v_dual_mul_f32 v59, v197, v109
	v_dual_fmac_f32 v222, v187, v98 :: v_dual_fma_f32 v63, v186, v98, -v63
	v_dual_add_f32 v53, v53, v220 :: v_dual_add_f32 v55, v55, v61
	s_wait_dscnt 0x2
	v_dual_fmac_f32 v224, v189, v100 :: v_dual_mul_f32 v61, v199, v111
	s_delay_alu instid0(VALU_DEP_2) | instskip(NEXT) | instid1(VALU_DEP_3)
	v_dual_fma_f32 v65, v188, v100, -v65 :: v_dual_add_f32 v53, v53, v222
	v_dual_add_f32 v55, v55, v63 :: v_dual_mul_f32 v226, v192, v105
	v_dual_mul_f32 v227, v194, v107 :: v_dual_mul_f32 v63, v201, v113
	v_dual_fmac_f32 v225, v191, v102 :: v_dual_fma_f32 v67, v190, v102, -v67
	s_delay_alu instid0(VALU_DEP_3) | instskip(SKIP_2) | instid1(VALU_DEP_2)
	v_dual_add_f32 v53, v53, v224 :: v_dual_add_f32 v55, v55, v65
	s_wait_dscnt 0x1
	v_dual_fmac_f32 v226, v193, v104 :: v_dual_mul_f32 v65, v203, v115
	v_dual_fma_f32 v69, v192, v104, -v69 :: v_dual_add_f32 v53, v53, v225
	s_delay_alu instid0(VALU_DEP_3) | instskip(SKIP_2) | instid1(VALU_DEP_3)
	v_dual_add_f32 v55, v55, v67 :: v_dual_mul_f32 v228, v196, v109
	v_dual_mul_f32 v229, v198, v111 :: v_dual_mul_f32 v67, v205, v117
	v_dual_fmac_f32 v227, v195, v106 :: v_dual_fma_f32 v57, v194, v106, -v57
	v_dual_add_f32 v55, v55, v69 :: v_dual_add_f32 v53, v53, v226
	s_wait_dscnt 0x0
	v_dual_mul_f32 v69, v207, v119 :: v_dual_fmac_f32 v228, v197, v108
	s_delay_alu instid0(VALU_DEP_2) | instskip(NEXT) | instid1(VALU_DEP_3)
	v_dual_fma_f32 v59, v196, v108, -v59 :: v_dual_add_f32 v55, v55, v57
	v_dual_add_f32 v53, v53, v227 :: v_dual_mul_f32 v230, v200, v113
	v_dual_mul_f32 v231, v202, v115 :: v_dual_mul_f32 v57, v209, v121
	v_fmac_f32_e32 v229, v199, v110
	s_delay_alu instid0(VALU_DEP_3) | instskip(NEXT) | instid1(VALU_DEP_4)
	v_dual_fma_f32 v61, v198, v110, -v61 :: v_dual_add_f32 v53, v53, v228
	v_dual_add_f32 v55, v55, v59 :: v_dual_fmac_f32 v230, v201, v112
	v_dual_mul_f32 v59, v143, v123 :: v_dual_fma_f32 v63, v200, v112, -v63
	s_delay_alu instid0(VALU_DEP_3) | instskip(NEXT) | instid1(VALU_DEP_3)
	v_dual_add_f32 v53, v53, v229 :: v_dual_fmac_f32 v231, v203, v114
	v_dual_add_f32 v55, v55, v61 :: v_dual_fma_f32 v65, v202, v114, -v65
	v_dual_mul_f32 v232, v204, v117 :: v_dual_mul_f32 v233, v206, v119
	s_delay_alu instid0(VALU_DEP_2) | instskip(NEXT) | instid1(VALU_DEP_4)
	v_dual_mul_f32 v61, v145, v125 :: v_dual_add_f32 v55, v55, v63
	v_dual_add_f32 v53, v53, v230 :: v_dual_fma_f32 v63, v204, v116, -v67
	s_delay_alu instid0(VALU_DEP_3) | instskip(SKIP_1) | instid1(VALU_DEP_3)
	v_dual_fmac_f32 v232, v205, v116 :: v_dual_mul_f32 v234, v208, v121
	v_mul_f32_e32 v221, v142, v123
	v_dual_add_f32 v53, v53, v231 :: v_dual_fmac_f32 v233, v207, v118
	s_wait_loadcnt 0x4
	v_dual_add_f32 v55, v55, v65 :: v_dual_mov_b32 v76, v129
	s_delay_alu instid0(VALU_DEP_2) | instskip(SKIP_1) | instid1(VALU_DEP_3)
	v_dual_fma_f32 v65, v206, v118, -v69 :: v_dual_add_f32 v53, v53, v232
	v_dual_fmac_f32 v234, v209, v120 :: v_dual_fma_f32 v57, v208, v120, -v57
	v_add_f32_e32 v55, v55, v63
	v_pk_mul_f32 v[74:75], v[146:147], v[126:127] op_sel:[1,1] op_sel_hi:[0,1]
	s_delay_alu instid0(VALU_DEP_4) | instskip(SKIP_1) | instid1(VALU_DEP_3)
	v_dual_add_f32 v53, v53, v233 :: v_dual_fmac_f32 v221, v143, v122
	s_wait_loadcnt 0x3
	v_dual_mov_b32 v80, v133 :: v_dual_add_f32 v55, v55, v65
	v_fma_f32 v220, v142, v122, -v59
	s_delay_alu instid0(VALU_DEP_3) | instskip(NEXT) | instid1(VALU_DEP_3)
	v_dual_add_f32 v83, v53, v234 :: v_dual_fma_f32 v222, v144, v124, -v61
	v_dual_fmac_f32 v223, v145, v124 :: v_dual_add_f32 v82, v55, v57
	v_pk_fma_f32 v[84:85], v[146:147], v[126:127], v[74:75] op_sel_hi:[1,0,1]
	v_pk_mul_f32 v[76:77], v[212:213], v[76:77] op_sel_hi:[1,0]
	v_pk_fma_f32 v[74:75], v[146:147], v[126:127], v[74:75] neg_lo:[0,0,1] neg_hi:[0,0,1]
	v_pk_mul_f32 v[78:79], v[150:151], v[130:131] op_sel:[1,1] op_sel_hi:[0,1]
	v_pk_add_f32 v[82:83], v[82:83], v[220:221]
	v_mov_b32_e32 v75, v85
	v_pk_fma_f32 v[84:85], v[148:149], v[128:129], v[76:77] op_sel_hi:[1,0,1]
	v_ashrrev_i32_e32 v55, 31, v54
	v_pk_fma_f32 v[76:77], v[148:149], v[128:129], v[76:77] neg_lo:[0,0,1] neg_hi:[0,0,1]
	v_pk_add_f32 v[82:83], v[82:83], v[222:223]
	v_pk_fma_f32 v[88:89], v[150:151], v[130:131], v[78:79] op_sel_hi:[1,0,1]
	v_pk_mul_f32 v[80:81], v[214:215], v[80:81] op_sel_hi:[1,0]
	v_mov_b32_e32 v77, v85
	s_wait_loadcnt 0x2
	v_pk_mul_f32 v[86:87], v[154:155], v[134:135] op_sel:[1,1] op_sel_hi:[0,1]
	v_pk_add_f32 v[74:75], v[82:83], v[74:75]
	v_mov_b32_e32 v82, v137
	v_pk_fma_f32 v[78:79], v[150:151], v[130:131], v[78:79] neg_lo:[0,0,1] neg_hi:[0,0,1]
	v_mov_b32_e32 v79, v89
	v_pk_fma_f32 v[84:85], v[152:153], v[132:133], v[80:81] op_sel_hi:[1,0,1]
	v_pk_add_f32 v[74:75], v[74:75], v[76:77]
	v_pk_fma_f32 v[76:77], v[154:155], v[134:135], v[86:87] op_sel_hi:[1,0,1]
	v_pk_mul_f32 v[82:83], v[216:217], v[82:83] op_sel_hi:[1,0]
	v_pk_fma_f32 v[80:81], v[152:153], v[132:133], v[80:81] neg_lo:[0,0,1] neg_hi:[0,0,1]
	v_mov_b32_e32 v81, v85
	v_pk_add_f32 v[74:75], v[74:75], v[78:79]
	v_pk_fma_f32 v[84:85], v[154:155], v[134:135], v[86:87] neg_lo:[0,0,1] neg_hi:[0,0,1]
	v_mov_b32_e32 v85, v77
	v_pk_fma_f32 v[76:77], v[156:157], v[136:137], v[82:83] op_sel_hi:[1,0,1]
	s_wait_loadcnt 0x1
	v_pk_mul_f32 v[78:79], v[158:159], v[138:139] op_sel:[1,1] op_sel_hi:[0,1]
	v_pk_add_f32 v[74:75], v[74:75], v[80:81]
	v_mov_b32_e32 v76, v141
	v_pk_fma_f32 v[82:83], v[156:157], v[136:137], v[82:83] neg_lo:[0,0,1] neg_hi:[0,0,1]
	v_mov_b32_e32 v83, v77
	v_pk_fma_f32 v[80:81], v[158:159], v[138:139], v[78:79] op_sel_hi:[1,0,1]
	v_pk_add_f32 v[74:75], v[74:75], v[84:85]
	v_pk_mul_f32 v[76:77], v[218:219], v[76:77] op_sel_hi:[1,0]
	v_pk_fma_f32 v[78:79], v[158:159], v[138:139], v[78:79] neg_lo:[0,0,1] neg_hi:[0,0,1]
	s_delay_alu instid0(VALU_DEP_4) | instskip(NEXT) | instid1(VALU_DEP_4)
	v_dual_ashrrev_i32 v53, 31, v52 :: v_dual_mov_b32 v79, v81
	v_pk_add_f32 v[74:75], v[74:75], v[82:83]
	s_delay_alu instid0(VALU_DEP_4)
	v_pk_fma_f32 v[80:81], v[160:161], v[140:141], v[76:77] op_sel_hi:[1,0,1]
	v_pk_fma_f32 v[76:77], v[160:161], v[140:141], v[76:77] neg_lo:[0,0,1] neg_hi:[0,0,1]
	v_dual_ashrrev_i32 v57, 31, v56 :: v_dual_ashrrev_i32 v59, 31, v58
	v_ashrrev_i32_e32 v61, 31, v60
	v_pk_add_f32 v[74:75], v[74:75], v[78:79]
	v_dual_mov_b32 v77, v81 :: v_dual_ashrrev_i32 v63, 31, v62
	v_dual_ashrrev_i32 v65, 31, v64 :: v_dual_ashrrev_i32 v67, 31, v66
	v_ashrrev_i32_e32 v69, 31, v68
	s_delay_alu instid0(VALU_DEP_3) | instskip(SKIP_2) | instid1(VALU_DEP_2)
	v_pk_add_f32 v[74:75], v[74:75], v[76:77]
	v_dual_ashrrev_i32 v71, 31, v70 :: v_dual_ashrrev_i32 v73, 31, v72
	s_wait_loadcnt 0x0
	v_pk_add_f32 v[74:75], v[210:211], v[74:75] neg_lo:[0,1] neg_hi:[0,1]
	scratch_store_b64 off, v[74:75], off offset:8
	s_wait_xcnt 0x0
	v_cmpx_ne_u32_e32 0, v0
	s_cbranch_execz .LBB35_229
; %bb.228:
	scratch_load_b64 v[74:75], off, off
	v_mov_b64_e32 v[76:77], 0
	scratch_store_b64 off, v[76:77], off
	s_wait_loadcnt 0x0
	ds_store_b64 v1, v[74:75]
.LBB35_229:
	s_wait_xcnt 0x0
	s_or_b32 exec_lo, exec_lo, s0
	s_wait_storecnt_dscnt 0x0
	s_barrier_signal -1
	s_barrier_wait -1
	s_clause 0x12
	scratch_load_b128 v[76:79], off, off offset:8
	scratch_load_b128 v[80:83], off, off offset:24
	;; [unrolled: 1-line block ×17, first 2 shown]
	scratch_load_b64 v[0:1], off, off offset:280
	scratch_load_b64 v[212:213], off, off
	v_mov_b32_e32 v74, 0
	ds_load_2addr_b64 v[144:147], v74 offset0:63 offset1:64
	ds_load_2addr_b64 v[148:151], v74 offset0:65 offset1:66
	;; [unrolled: 1-line block ×17, first 2 shown]
	ds_load_b64 v[214:215], v74 offset:568
	s_and_b32 vcc_lo, exec_lo, s18
	s_wait_dscnt 0x11
	v_dual_mov_b32 v216, v147 :: v_dual_mov_b32 v217, v146
	s_wait_dscnt 0x10
	v_dual_mov_b32 v218, v151 :: v_dual_mov_b32 v219, v150
	;; [unrolled: 2-line block ×3, first 2 shown]
	v_dual_mov_b32 v221, v154 :: v_dual_mov_b32 v222, v163
	s_wait_loadcnt_dscnt 0x120c
	v_dual_mul_f32 v75, v164, v77 :: v_dual_mul_f32 v77, v165, v77
	s_wait_loadcnt_dscnt 0x110b
	v_dual_mul_f32 v224, v166, v79 :: v_dual_mul_f32 v226, v168, v81
	s_wait_loadcnt_dscnt 0xf09
	v_dual_mul_f32 v230, v174, v87 :: v_dual_mul_f32 v231, v176, v89
	v_dual_mul_f32 v79, v167, v79 :: v_dual_mul_f32 v89, v177, v89
	v_dual_fmac_f32 v75, v165, v76 :: v_dual_fma_f32 v76, v164, v76, -v77
	v_dual_mul_f32 v81, v169, v81 :: v_dual_mul_f32 v77, v179, v91
	s_delay_alu instid0(VALU_DEP_3) | instskip(NEXT) | instid1(VALU_DEP_3)
	v_dual_fmac_f32 v224, v167, v78 :: v_dual_fma_f32 v78, v166, v78, -v79
	v_dual_add_f32 v75, 0, v75 :: v_dual_add_f32 v76, 0, v76
	v_dual_mul_f32 v228, v170, v83 :: v_dual_mul_f32 v229, v172, v85
	s_wait_loadcnt_dscnt 0xe08
	v_dual_mul_f32 v83, v171, v83 :: v_dual_mul_f32 v79, v181, v93
	s_delay_alu instid0(VALU_DEP_3) | instskip(SKIP_1) | instid1(VALU_DEP_3)
	v_dual_fmac_f32 v226, v169, v80 :: v_dual_add_f32 v76, v76, v78
	v_fma_f32 v80, v168, v80, -v81
	v_dual_add_f32 v75, v75, v224 :: v_dual_fma_f32 v81, v170, v82, -v83
	v_dual_mul_f32 v85, v173, v85 :: v_dual_mul_f32 v87, v175, v87
	s_delay_alu instid0(VALU_DEP_3)
	v_dual_mul_f32 v78, v183, v95 :: v_dual_add_f32 v76, v76, v80
	s_wait_loadcnt_dscnt 0xd07
	v_dual_fmac_f32 v228, v171, v82 :: v_dual_mul_f32 v80, v185, v97
	v_dual_add_f32 v75, v75, v226 :: v_dual_fmac_f32 v229, v173, v84
	v_fma_f32 v82, v172, v84, -v85
	v_dual_add_f32 v76, v76, v81 :: v_dual_mul_f32 v81, v187, v99
	s_delay_alu instid0(VALU_DEP_3) | instskip(SKIP_1) | instid1(VALU_DEP_3)
	v_add_f32_e32 v75, v75, v228
	v_dual_fmac_f32 v230, v175, v86 :: v_dual_fma_f32 v83, v174, v86, -v87
	v_dual_add_f32 v76, v76, v82 :: v_dual_mul_f32 v232, v178, v91
	v_mul_f32_e32 v233, v180, v93
	s_delay_alu instid0(VALU_DEP_4)
	v_add_f32_e32 v75, v75, v229
	s_wait_loadcnt_dscnt 0xc06
	v_dual_mul_f32 v82, v189, v101 :: v_dual_fma_f32 v84, v176, v88, -v89
	v_dual_fmac_f32 v231, v177, v88 :: v_dual_add_f32 v76, v76, v83
	v_fmac_f32_e32 v232, v179, v90
	v_add_f32_e32 v75, v75, v230
	v_dual_mul_f32 v83, v191, v103 :: v_dual_fma_f32 v77, v178, v90, -v77
	s_delay_alu instid0(VALU_DEP_4) | instskip(NEXT) | instid1(VALU_DEP_3)
	v_dual_add_f32 v76, v76, v84 :: v_dual_mul_f32 v234, v182, v95
	v_dual_mul_f32 v235, v184, v97 :: v_dual_add_f32 v75, v75, v231
	s_wait_loadcnt_dscnt 0xb05
	v_dual_mul_f32 v84, v193, v105 :: v_dual_fma_f32 v79, v180, v92, -v79
	s_delay_alu instid0(VALU_DEP_3) | instskip(NEXT) | instid1(VALU_DEP_3)
	v_dual_fmac_f32 v233, v181, v92 :: v_dual_add_f32 v76, v76, v77
	v_dual_add_f32 v75, v75, v232 :: v_dual_fma_f32 v78, v182, v94, -v78
	v_dual_fmac_f32 v234, v183, v94 :: v_dual_mul_f32 v236, v186, v99
	v_mul_f32_e32 v237, v188, v101
	s_delay_alu instid0(VALU_DEP_3) | instskip(SKIP_3) | instid1(VALU_DEP_4)
	v_dual_add_f32 v75, v75, v233 :: v_dual_fmac_f32 v235, v185, v96
	v_add_f32_e32 v76, v76, v79
	v_fma_f32 v80, v184, v96, -v80
	v_dual_fmac_f32 v236, v187, v98 :: v_dual_fma_f32 v81, v186, v98, -v81
	v_add_f32_e32 v75, v75, v234
	s_wait_loadcnt_dscnt 0xa04
	v_dual_add_f32 v76, v76, v78 :: v_dual_mul_f32 v78, v199, v111
	v_dual_mul_f32 v238, v190, v103 :: v_dual_mul_f32 v239, v192, v105
	s_delay_alu instid0(VALU_DEP_2) | instskip(SKIP_3) | instid1(VALU_DEP_3)
	v_dual_add_f32 v75, v75, v235 :: v_dual_add_f32 v76, v76, v80
	s_wait_loadcnt_dscnt 0x903
	v_dual_mul_f32 v80, v201, v113 :: v_dual_fma_f32 v82, v188, v100, -v82
	v_fmac_f32_e32 v237, v189, v100
	v_dual_add_f32 v75, v75, v236 :: v_dual_fma_f32 v83, v190, v102, -v83
	v_dual_add_f32 v76, v76, v81 :: v_dual_mul_f32 v81, v203, v115
	v_fmac_f32_e32 v238, v191, v102
	s_delay_alu instid0(VALU_DEP_3) | instskip(NEXT) | instid1(VALU_DEP_3)
	v_dual_add_f32 v75, v75, v237 :: v_dual_fmac_f32 v239, v193, v104
	v_dual_add_f32 v76, v76, v82 :: v_dual_mul_f32 v240, v194, v107
	v_dual_mul_f32 v241, v196, v109 :: v_dual_mul_f32 v77, v195, v107
	v_mul_f32_e32 v79, v197, v109
	s_wait_loadcnt_dscnt 0x802
	v_dual_mul_f32 v82, v205, v117 :: v_dual_fma_f32 v84, v192, v104, -v84
	v_dual_add_f32 v75, v75, v238 :: v_dual_add_f32 v76, v76, v83
	v_fmac_f32_e32 v240, v195, v106
	v_dual_mul_f32 v83, v207, v119 :: v_dual_fma_f32 v77, v194, v106, -v77
	s_delay_alu instid0(VALU_DEP_3) | instskip(SKIP_3) | instid1(VALU_DEP_3)
	v_dual_add_f32 v75, v75, v239 :: v_dual_add_f32 v76, v76, v84
	v_dual_mul_f32 v242, v198, v111 :: v_dual_mul_f32 v243, v200, v113
	s_wait_loadcnt_dscnt 0x701
	v_dual_mul_f32 v84, v209, v121 :: v_dual_fma_f32 v79, v196, v108, -v79
	v_dual_fmac_f32 v241, v197, v108 :: v_dual_add_f32 v76, v76, v77
	v_dual_add_f32 v75, v75, v240 :: v_dual_fma_f32 v78, v198, v110, -v78
	v_dual_fmac_f32 v242, v199, v110 :: v_dual_mul_f32 v244, v202, v115
	v_mul_f32_e32 v245, v204, v117
	s_delay_alu instid0(VALU_DEP_3) | instskip(SKIP_3) | instid1(VALU_DEP_3)
	v_dual_add_f32 v75, v75, v241 :: v_dual_fmac_f32 v243, v201, v112
	v_add_f32_e32 v76, v76, v79
	s_wait_loadcnt 0x6
	v_dual_fma_f32 v79, v200, v112, -v80 :: v_dual_mul_f32 v86, v159, v127
	v_add_f32_e32 v75, v75, v242
	v_fmac_f32_e32 v244, v203, v114
	v_add_f32_e32 v76, v76, v78
	v_fma_f32 v78, v202, v114, -v81
	v_dual_mul_f32 v246, v206, v119 :: v_dual_mul_f32 v247, v208, v121
	s_wait_loadcnt 0x5
	v_dual_add_f32 v75, v75, v243 :: v_dual_mul_f32 v81, v145, v129
	v_dual_add_f32 v76, v76, v79 :: v_dual_fmac_f32 v245, v205, v116
	v_fma_f32 v79, v204, v116, -v82
	s_delay_alu instid0(VALU_DEP_3) | instskip(SKIP_1) | instid1(VALU_DEP_4)
	v_add_f32_e32 v75, v75, v244
	v_dual_fmac_f32 v246, v207, v118 :: v_dual_fma_f32 v80, v206, v118, -v83
	v_dual_add_f32 v78, v76, v78 :: v_dual_mov_b32 v76, v131
	s_delay_alu instid0(VALU_DEP_3) | instskip(NEXT) | instid1(VALU_DEP_2)
	v_dual_add_f32 v75, v75, v245 :: v_dual_mul_f32 v248, v210, v123
	v_dual_mul_f32 v249, v156, v125 :: v_dual_add_f32 v82, v78, v79
	v_dual_mul_f32 v77, v211, v123 :: v_dual_mul_f32 v85, v157, v125
	v_dual_fmac_f32 v247, v209, v120 :: v_dual_fma_f32 v83, v208, v120, -v84
	s_delay_alu instid0(VALU_DEP_3) | instskip(SKIP_1) | instid1(VALU_DEP_3)
	v_dual_add_f32 v75, v75, v246 :: v_dual_add_f32 v82, v82, v80
	s_wait_loadcnt 0x4
	v_dual_mov_b32 v80, v135 :: v_dual_fma_f32 v77, v210, v122, -v77
	v_fmac_f32_e32 v248, v211, v122
	s_delay_alu instid0(VALU_DEP_3) | instskip(SKIP_3) | instid1(VALU_DEP_3)
	v_dual_add_f32 v75, v75, v247 :: v_dual_fmac_f32 v249, v157, v124
	v_add_f32_e32 v84, v82, v83
	v_dual_mul_f32 v225, v158, v127 :: v_dual_mul_f32 v227, v144, v129
	v_dual_fma_f32 v87, v156, v124, -v85 :: v_dual_fma_f32 v224, v158, v126, -v86
	v_dual_add_f32 v75, v75, v248 :: v_dual_add_f32 v84, v84, v77
	s_delay_alu instid0(VALU_DEP_3) | instskip(SKIP_2) | instid1(VALU_DEP_4)
	v_fmac_f32_e32 v225, v159, v126
	v_pk_mul_f32 v[76:77], v[216:217], v[76:77] op_sel_hi:[1,0]
	v_pk_mul_f32 v[78:79], v[148:149], v[132:133] op_sel:[1,1] op_sel_hi:[0,1]
	v_dual_add_f32 v85, v75, v249 :: v_dual_fmac_f32 v227, v145, v128
	s_wait_loadcnt 0x3
	v_dual_add_f32 v84, v84, v87 :: v_dual_mov_b32 v86, v139
	v_fma_f32 v226, v144, v128, -v81
	v_pk_fma_f32 v[88:89], v[146:147], v[130:131], v[76:77] op_sel_hi:[1,0,1]
	v_pk_fma_f32 v[76:77], v[146:147], v[130:131], v[76:77] neg_lo:[0,0,1] neg_hi:[0,0,1]
	s_delay_alu instid0(VALU_DEP_4)
	v_pk_add_f32 v[84:85], v[84:85], v[224:225]
	v_pk_fma_f32 v[90:91], v[148:149], v[132:133], v[78:79] op_sel_hi:[1,0,1]
	v_pk_mul_f32 v[80:81], v[218:219], v[80:81] op_sel_hi:[1,0]
	v_mov_b32_e32 v77, v89
	v_pk_fma_f32 v[78:79], v[148:149], v[132:133], v[78:79] neg_lo:[0,0,1] neg_hi:[0,0,1]
	v_pk_add_f32 v[84:85], v[84:85], v[226:227]
	v_pk_mul_f32 v[82:83], v[152:153], v[136:137] op_sel:[1,1] op_sel_hi:[0,1]
	v_mov_b32_e32 v79, v91
	v_pk_fma_f32 v[90:91], v[150:151], v[134:135], v[80:81] op_sel_hi:[1,0,1]
	v_pk_fma_f32 v[80:81], v[150:151], v[134:135], v[80:81] neg_lo:[0,0,1] neg_hi:[0,0,1]
	v_pk_add_f32 v[76:77], v[84:85], v[76:77]
	v_pk_fma_f32 v[84:85], v[152:153], v[136:137], v[82:83] op_sel_hi:[1,0,1]
	v_pk_mul_f32 v[86:87], v[220:221], v[86:87] op_sel_hi:[1,0]
	v_mov_b32_e32 v81, v91
	v_pk_fma_f32 v[82:83], v[152:153], v[136:137], v[82:83] neg_lo:[0,0,1] neg_hi:[0,0,1]
	v_pk_add_f32 v[76:77], v[76:77], v[78:79]
	s_wait_loadcnt 0x2
	v_pk_mul_f32 v[88:89], v[160:161], v[140:141] op_sel:[1,1] op_sel_hi:[0,1]
	v_dual_mov_b32 v78, v143 :: v_dual_mov_b32 v83, v85
	v_pk_fma_f32 v[84:85], v[154:155], v[138:139], v[86:87] op_sel_hi:[1,0,1]
	v_pk_add_f32 v[76:77], v[76:77], v[80:81]
	v_pk_fma_f32 v[86:87], v[154:155], v[138:139], v[86:87] neg_lo:[0,0,1] neg_hi:[0,0,1]
	v_pk_fma_f32 v[80:81], v[160:161], v[140:141], v[88:89] op_sel_hi:[1,0,1]
	v_pk_mul_f32 v[78:79], v[222:223], v[78:79] op_sel_hi:[1,0]
	v_mov_b32_e32 v87, v85
	v_pk_add_f32 v[76:77], v[76:77], v[82:83]
	v_pk_fma_f32 v[84:85], v[160:161], v[140:141], v[88:89] neg_lo:[0,0,1] neg_hi:[0,0,1]
	s_wait_loadcnt_dscnt 0x100
	v_pk_mul_f32 v[82:83], v[214:215], v[0:1] op_sel:[1,1] op_sel_hi:[0,1]
	v_mov_b32_e32 v85, v81
	v_pk_fma_f32 v[80:81], v[162:163], v[142:143], v[78:79] op_sel_hi:[1,0,1]
	v_pk_add_f32 v[76:77], v[76:77], v[86:87]
	v_pk_fma_f32 v[78:79], v[162:163], v[142:143], v[78:79] neg_lo:[0,0,1] neg_hi:[0,0,1]
	v_pk_fma_f32 v[86:87], v[214:215], v[0:1], v[82:83] op_sel_hi:[1,0,1]
	v_pk_fma_f32 v[0:1], v[214:215], v[0:1], v[82:83] neg_lo:[0,0,1] neg_hi:[0,0,1]
	v_mov_b32_e32 v79, v81
	v_pk_add_f32 v[76:77], v[76:77], v[84:85]
	s_delay_alu instid0(VALU_DEP_4) | instskip(NEXT) | instid1(VALU_DEP_2)
	v_mov_b32_e32 v1, v87
	v_pk_add_f32 v[76:77], v[76:77], v[78:79]
	s_delay_alu instid0(VALU_DEP_1) | instskip(SKIP_1) | instid1(VALU_DEP_1)
	v_pk_add_f32 v[0:1], v[76:77], v[0:1]
	s_wait_loadcnt 0x0
	v_pk_add_f32 v[0:1], v[212:213], v[0:1] neg_lo:[0,1] neg_hi:[0,1]
	scratch_store_b64 off, v[0:1], off
	s_cbranch_vccz .LBB35_300
; %bb.230:
	global_load_b32 v0, v74, s[2:3] offset:136
	s_wait_loadcnt 0x0
	v_cmp_ne_u32_e32 vcc_lo, 35, v0
	s_cbranch_vccz .LBB35_232
; %bb.231:
	v_lshlrev_b32_e32 v0, 3, v0
	s_delay_alu instid0(VALU_DEP_1)
	v_mov_b32_e32 v76, v0
	scratch_load_b64 v[0:1], v76, off offset:-8
	scratch_load_b64 v[74:75], off, off offset:272
	s_wait_loadcnt 0x1
	scratch_store_b64 off, v[0:1], off offset:272
	s_wait_loadcnt 0x0
	scratch_store_b64 v76, v[74:75], off offset:-8
.LBB35_232:
	s_wait_xcnt 0x1
	v_mov_b32_e32 v0, 0
	global_load_b32 v1, v0, s[2:3] offset:132
	s_wait_loadcnt 0x0
	v_cmp_eq_u32_e32 vcc_lo, 34, v1
	s_cbranch_vccnz .LBB35_234
; %bb.233:
	v_lshlrev_b32_e32 v1, 3, v1
	scratch_load_b64 v[74:75], v1, off offset:-8
	scratch_load_b64 v[76:77], off, off offset:264
	s_wait_loadcnt 0x1
	scratch_store_b64 off, v[74:75], off offset:264
	s_wait_loadcnt 0x0
	scratch_store_b64 v1, v[76:77], off offset:-8
.LBB35_234:
	global_load_b32 v0, v0, s[2:3] offset:128
	s_wait_loadcnt 0x0
	v_cmp_eq_u32_e32 vcc_lo, 33, v0
	s_cbranch_vccnz .LBB35_236
; %bb.235:
	s_wait_xcnt 0x0
	v_lshlrev_b32_e32 v0, 3, v0
	s_delay_alu instid0(VALU_DEP_1)
	v_mov_b32_e32 v76, v0
	scratch_load_b64 v[0:1], v76, off offset:-8
	scratch_load_b64 v[74:75], off, off offset:256
	s_wait_loadcnt 0x1
	scratch_store_b64 off, v[0:1], off offset:256
	s_wait_loadcnt 0x0
	scratch_store_b64 v76, v[74:75], off offset:-8
.LBB35_236:
	s_wait_xcnt 0x0
	v_mov_b32_e32 v0, 0
	global_load_b32 v1, v0, s[2:3] offset:124
	s_wait_loadcnt 0x0
	v_cmp_eq_u32_e32 vcc_lo, 32, v1
	s_cbranch_vccnz .LBB35_238
; %bb.237:
	v_lshlrev_b32_e32 v1, 3, v1
	scratch_load_b64 v[74:75], v1, off offset:-8
	scratch_load_b64 v[76:77], off, off offset:248
	s_wait_loadcnt 0x1
	scratch_store_b64 off, v[74:75], off offset:248
	s_wait_loadcnt 0x0
	scratch_store_b64 v1, v[76:77], off offset:-8
.LBB35_238:
	global_load_b32 v0, v0, s[2:3] offset:120
	s_wait_loadcnt 0x0
	v_cmp_eq_u32_e32 vcc_lo, 31, v0
	s_cbranch_vccnz .LBB35_240
; %bb.239:
	s_wait_xcnt 0x0
	v_lshlrev_b32_e32 v0, 3, v0
	s_delay_alu instid0(VALU_DEP_1)
	v_mov_b32_e32 v76, v0
	scratch_load_b64 v[0:1], v76, off offset:-8
	scratch_load_b64 v[74:75], off, off offset:240
	s_wait_loadcnt 0x1
	scratch_store_b64 off, v[0:1], off offset:240
	s_wait_loadcnt 0x0
	scratch_store_b64 v76, v[74:75], off offset:-8
.LBB35_240:
	;; [unrolled: 31-line block ×16, first 2 shown]
	s_wait_xcnt 0x0
	v_mov_b32_e32 v0, 0
	global_load_b32 v1, v0, s[2:3] offset:4
	s_wait_loadcnt 0x0
	v_cmp_eq_u32_e32 vcc_lo, 2, v1
	s_cbranch_vccnz .LBB35_298
; %bb.297:
	v_lshlrev_b32_e32 v1, 3, v1
	scratch_load_b64 v[74:75], v1, off offset:-8
	scratch_load_b64 v[76:77], off, off offset:8
	s_wait_loadcnt 0x1
	scratch_store_b64 off, v[74:75], off offset:8
	s_wait_loadcnt 0x0
	scratch_store_b64 v1, v[76:77], off offset:-8
.LBB35_298:
	global_load_b32 v74, v0, s[2:3]
	scratch_load_b64 v[0:1], off, off
	s_wait_loadcnt 0x1
	v_cmp_eq_u32_e32 vcc_lo, 1, v74
	s_cbranch_vccnz .LBB35_300
; %bb.299:
	v_lshlrev_b32_e32 v74, 3, v74
	s_delay_alu instid0(VALU_DEP_1)
	v_mov_b32_e32 v76, v74
	scratch_load_b64 v[74:75], v76, off offset:-8
	s_wait_loadcnt 0x0
	scratch_store_b64 off, v[74:75], off
	scratch_store_b64 v76, v[0:1], off offset:-8
	scratch_load_b64 v[0:1], off, off
.LBB35_300:
	s_clause 0x11
	scratch_load_b128 v[74:77], off, off offset:8
	scratch_load_b128 v[78:81], off, off offset:24
	;; [unrolled: 1-line block ×17, first 2 shown]
	scratch_load_b64 v[142:143], off, off offset:280
	v_lshl_add_u64 v[4:5], v[4:5], 3, s[4:5]
	v_lshl_add_u64 v[6:7], v[6:7], 3, s[4:5]
	;; [unrolled: 1-line block ×34, first 2 shown]
	s_wait_loadcnt 0x12
	global_store_b64 v[2:3], v[0:1], off
	s_wait_loadcnt 0x11
	s_clause 0x1
	global_store_b64 v[8:9], v[74:75], off
	global_store_b64 v[4:5], v[76:77], off
	s_wait_loadcnt 0x10
	s_clause 0x1
	global_store_b64 v[6:7], v[78:79], off
	;; [unrolled: 4-line block ×17, first 2 shown]
	global_store_b64 v[70:71], v[140:141], off
	s_wait_loadcnt 0x0
	global_store_b64 v[72:73], v[142:143], off
	s_sendmsg sendmsg(MSG_DEALLOC_VGPRS)
	s_endpgm
	.section	.rodata,"a",@progbits
	.p2align	6, 0x0
	.amdhsa_kernel _ZN9rocsolver6v33100L18getri_kernel_smallILi36E19rocblas_complex_numIfEPS3_EEvT1_iilPiilS6_bb
		.amdhsa_group_segment_fixed_size 580
		.amdhsa_private_segment_fixed_size 304
		.amdhsa_kernarg_size 60
		.amdhsa_user_sgpr_count 2
		.amdhsa_user_sgpr_dispatch_ptr 0
		.amdhsa_user_sgpr_queue_ptr 0
		.amdhsa_user_sgpr_kernarg_segment_ptr 1
		.amdhsa_user_sgpr_dispatch_id 0
		.amdhsa_user_sgpr_kernarg_preload_length 0
		.amdhsa_user_sgpr_kernarg_preload_offset 0
		.amdhsa_user_sgpr_private_segment_size 0
		.amdhsa_wavefront_size32 1
		.amdhsa_uses_dynamic_stack 0
		.amdhsa_enable_private_segment 1
		.amdhsa_system_sgpr_workgroup_id_x 1
		.amdhsa_system_sgpr_workgroup_id_y 0
		.amdhsa_system_sgpr_workgroup_id_z 0
		.amdhsa_system_sgpr_workgroup_info 0
		.amdhsa_system_vgpr_workitem_id 0
		.amdhsa_next_free_vgpr 250
		.amdhsa_next_free_sgpr 19
		.amdhsa_named_barrier_count 0
		.amdhsa_reserve_vcc 1
		.amdhsa_float_round_mode_32 0
		.amdhsa_float_round_mode_16_64 0
		.amdhsa_float_denorm_mode_32 3
		.amdhsa_float_denorm_mode_16_64 3
		.amdhsa_fp16_overflow 0
		.amdhsa_memory_ordered 1
		.amdhsa_forward_progress 1
		.amdhsa_inst_pref_size 255
		.amdhsa_round_robin_scheduling 0
		.amdhsa_exception_fp_ieee_invalid_op 0
		.amdhsa_exception_fp_denorm_src 0
		.amdhsa_exception_fp_ieee_div_zero 0
		.amdhsa_exception_fp_ieee_overflow 0
		.amdhsa_exception_fp_ieee_underflow 0
		.amdhsa_exception_fp_ieee_inexact 0
		.amdhsa_exception_int_div_zero 0
	.end_amdhsa_kernel
	.section	.text._ZN9rocsolver6v33100L18getri_kernel_smallILi36E19rocblas_complex_numIfEPS3_EEvT1_iilPiilS6_bb,"axG",@progbits,_ZN9rocsolver6v33100L18getri_kernel_smallILi36E19rocblas_complex_numIfEPS3_EEvT1_iilPiilS6_bb,comdat
.Lfunc_end35:
	.size	_ZN9rocsolver6v33100L18getri_kernel_smallILi36E19rocblas_complex_numIfEPS3_EEvT1_iilPiilS6_bb, .Lfunc_end35-_ZN9rocsolver6v33100L18getri_kernel_smallILi36E19rocblas_complex_numIfEPS3_EEvT1_iilPiilS6_bb
                                        ; -- End function
	.set _ZN9rocsolver6v33100L18getri_kernel_smallILi36E19rocblas_complex_numIfEPS3_EEvT1_iilPiilS6_bb.num_vgpr, 250
	.set _ZN9rocsolver6v33100L18getri_kernel_smallILi36E19rocblas_complex_numIfEPS3_EEvT1_iilPiilS6_bb.num_agpr, 0
	.set _ZN9rocsolver6v33100L18getri_kernel_smallILi36E19rocblas_complex_numIfEPS3_EEvT1_iilPiilS6_bb.numbered_sgpr, 19
	.set _ZN9rocsolver6v33100L18getri_kernel_smallILi36E19rocblas_complex_numIfEPS3_EEvT1_iilPiilS6_bb.num_named_barrier, 0
	.set _ZN9rocsolver6v33100L18getri_kernel_smallILi36E19rocblas_complex_numIfEPS3_EEvT1_iilPiilS6_bb.private_seg_size, 304
	.set _ZN9rocsolver6v33100L18getri_kernel_smallILi36E19rocblas_complex_numIfEPS3_EEvT1_iilPiilS6_bb.uses_vcc, 1
	.set _ZN9rocsolver6v33100L18getri_kernel_smallILi36E19rocblas_complex_numIfEPS3_EEvT1_iilPiilS6_bb.uses_flat_scratch, 1
	.set _ZN9rocsolver6v33100L18getri_kernel_smallILi36E19rocblas_complex_numIfEPS3_EEvT1_iilPiilS6_bb.has_dyn_sized_stack, 0
	.set _ZN9rocsolver6v33100L18getri_kernel_smallILi36E19rocblas_complex_numIfEPS3_EEvT1_iilPiilS6_bb.has_recursion, 0
	.set _ZN9rocsolver6v33100L18getri_kernel_smallILi36E19rocblas_complex_numIfEPS3_EEvT1_iilPiilS6_bb.has_indirect_call, 0
	.section	.AMDGPU.csdata,"",@progbits
; Kernel info:
; codeLenInByte = 53344
; TotalNumSgprs: 21
; NumVgprs: 250
; ScratchSize: 304
; MemoryBound: 0
; FloatMode: 240
; IeeeMode: 1
; LDSByteSize: 580 bytes/workgroup (compile time only)
; SGPRBlocks: 0
; VGPRBlocks: 15
; NumSGPRsForWavesPerEU: 21
; NumVGPRsForWavesPerEU: 250
; NamedBarCnt: 0
; Occupancy: 4
; WaveLimiterHint : 1
; COMPUTE_PGM_RSRC2:SCRATCH_EN: 1
; COMPUTE_PGM_RSRC2:USER_SGPR: 2
; COMPUTE_PGM_RSRC2:TRAP_HANDLER: 0
; COMPUTE_PGM_RSRC2:TGID_X_EN: 1
; COMPUTE_PGM_RSRC2:TGID_Y_EN: 0
; COMPUTE_PGM_RSRC2:TGID_Z_EN: 0
; COMPUTE_PGM_RSRC2:TIDIG_COMP_CNT: 0
	.section	.text._ZN9rocsolver6v33100L18getri_kernel_smallILi37E19rocblas_complex_numIfEPS3_EEvT1_iilPiilS6_bb,"axG",@progbits,_ZN9rocsolver6v33100L18getri_kernel_smallILi37E19rocblas_complex_numIfEPS3_EEvT1_iilPiilS6_bb,comdat
	.globl	_ZN9rocsolver6v33100L18getri_kernel_smallILi37E19rocblas_complex_numIfEPS3_EEvT1_iilPiilS6_bb ; -- Begin function _ZN9rocsolver6v33100L18getri_kernel_smallILi37E19rocblas_complex_numIfEPS3_EEvT1_iilPiilS6_bb
	.p2align	8
	.type	_ZN9rocsolver6v33100L18getri_kernel_smallILi37E19rocblas_complex_numIfEPS3_EEvT1_iilPiilS6_bb,@function
_ZN9rocsolver6v33100L18getri_kernel_smallILi37E19rocblas_complex_numIfEPS3_EEvT1_iilPiilS6_bb: ; @_ZN9rocsolver6v33100L18getri_kernel_smallILi37E19rocblas_complex_numIfEPS3_EEvT1_iilPiilS6_bb
; %bb.0:
	s_mov_b32 s2, exec_lo
	v_cmpx_gt_u32_e32 37, v0
	s_cbranch_execz .LBB36_162
; %bb.1:
	s_clause 0x2
	s_load_b32 s2, s[0:1], 0x38
	s_load_b128 s[12:15], s[0:1], 0x10
	s_load_b128 s[4:7], s[0:1], 0x28
	s_getreg_b32 s9, hwreg(HW_REG_IB_STS2, 6, 4)
	s_wait_kmcnt 0x0
	s_bitcmp1_b32 s2, 8
	s_cselect_b32 s18, -1, 0
	s_bfe_u32 s3, ttmp6, 0x4000c
	s_and_b32 s8, ttmp6, 15
	s_add_co_i32 s3, s3, 1
	s_delay_alu instid0(SALU_CYCLE_1) | instskip(NEXT) | instid1(SALU_CYCLE_1)
	s_mul_i32 s3, ttmp9, s3
	s_add_co_i32 s8, s8, s3
	s_cmp_eq_u32 s9, 0
	s_cselect_b32 s16, ttmp9, s8
	s_bfe_u32 s2, s2, 0x10008
	s_ashr_i32 s17, s16, 31
	s_cmp_eq_u32 s2, 0
                                        ; implicit-def: $sgpr2_sgpr3
	s_cbranch_scc1 .LBB36_3
; %bb.2:
	s_load_b32 s2, s[0:1], 0x20
	s_mul_u64 s[4:5], s[4:5], s[16:17]
	s_delay_alu instid0(SALU_CYCLE_1) | instskip(NEXT) | instid1(SALU_CYCLE_1)
	s_lshl_b64 s[4:5], s[4:5], 2
	s_add_nc_u64 s[4:5], s[14:15], s[4:5]
	s_wait_kmcnt 0x0
	s_ashr_i32 s3, s2, 31
	s_delay_alu instid0(SALU_CYCLE_1) | instskip(NEXT) | instid1(SALU_CYCLE_1)
	s_lshl_b64 s[2:3], s[2:3], 2
	s_add_nc_u64 s[2:3], s[4:5], s[2:3]
.LBB36_3:
	s_clause 0x1
	s_load_b128 s[8:11], s[0:1], 0x0
	s_load_b32 s14, s[0:1], 0x38
	s_wait_xcnt 0x0
	s_mul_u64 s[0:1], s[12:13], s[16:17]
	v_lshlrev_b32_e32 v76, 3, v0
	s_lshl_b64 s[0:1], s[0:1], 3
	s_wait_kmcnt 0x0
	v_add3_u32 v4, s11, s11, v0
	s_ashr_i32 s5, s10, 31
	s_mov_b32 s4, s10
	s_add_nc_u64 s[0:1], s[8:9], s[0:1]
	s_lshl_b64 s[4:5], s[4:5], 3
	v_add_nc_u32_e32 v6, s11, v4
	s_add_nc_u64 s[4:5], s[0:1], s[4:5]
	s_ashr_i32 s1, s11, 31
	s_mov_b32 s0, s11
	s_bitcmp0_b32 s14, 0
	v_add_nc_u32_e32 v10, s11, v6
	s_delay_alu instid0(VALU_DEP_1) | instskip(NEXT) | instid1(VALU_DEP_1)
	v_add_nc_u32_e32 v12, s11, v10
	v_add_nc_u32_e32 v14, s11, v12
	s_delay_alu instid0(VALU_DEP_1) | instskip(NEXT) | instid1(VALU_DEP_1)
	v_add_nc_u32_e32 v16, s11, v14
	;; [unrolled: 3-line block ×9, first 2 shown]
	v_add_nc_u32_e32 v46, s11, v44
	s_delay_alu instid0(VALU_DEP_1) | instskip(NEXT) | instid1(VALU_DEP_1)
	v_dual_mov_b32 v77, 0 :: v_dual_add_nc_u32 v48, s11, v46
	v_add_nc_u32_e32 v50, s11, v48
	s_delay_alu instid0(VALU_DEP_2) | instskip(NEXT) | instid1(VALU_DEP_2)
	v_add_nc_u64_e32 v[2:3], s[4:5], v[76:77]
	v_add_nc_u32_e32 v52, s11, v50
	s_delay_alu instid0(VALU_DEP_2) | instskip(SKIP_1) | instid1(VALU_DEP_2)
	v_lshl_add_u64 v[8:9], s[0:1], 3, v[2:3]
	s_mov_b32 s1, -1
	v_add_nc_u32_e32 v54, s11, v52
	s_clause 0x9
	global_load_b64 v[78:79], v0, s[4:5] scale_offset
	global_load_b64 v[80:81], v[8:9], off
	global_load_b64 v[82:83], v4, s[4:5] scale_offset
	global_load_b64 v[84:85], v6, s[4:5] scale_offset
	;; [unrolled: 1-line block ×8, first 2 shown]
	v_add_nc_u32_e32 v56, s11, v54
	s_clause 0xb
	global_load_b64 v[98:99], v22, s[4:5] scale_offset
	global_load_b64 v[100:101], v24, s[4:5] scale_offset
	;; [unrolled: 1-line block ×12, first 2 shown]
	v_add_nc_u32_e32 v58, s11, v56
	s_clause 0x3
	global_load_b64 v[122:123], v46, s[4:5] scale_offset
	global_load_b64 v[124:125], v48, s[4:5] scale_offset
	;; [unrolled: 1-line block ×4, first 2 shown]
	v_add_nc_u32_e32 v60, s11, v58
	s_delay_alu instid0(VALU_DEP_1)
	v_add_nc_u32_e32 v62, s11, v60
	s_clause 0x3
	global_load_b64 v[130:131], v54, s[4:5] scale_offset
	global_load_b64 v[132:133], v56, s[4:5] scale_offset
	;; [unrolled: 1-line block ×4, first 2 shown]
	v_add_nc_u32_e32 v64, s11, v62
	s_delay_alu instid0(VALU_DEP_1) | instskip(NEXT) | instid1(VALU_DEP_1)
	v_add_nc_u32_e32 v66, s11, v64
	v_add_nc_u32_e32 v68, s11, v66
	s_delay_alu instid0(VALU_DEP_1) | instskip(NEXT) | instid1(VALU_DEP_1)
	v_add_nc_u32_e32 v70, s11, v68
	v_add_nc_u32_e32 v72, s11, v70
	s_delay_alu instid0(VALU_DEP_1)
	v_add_nc_u32_e32 v74, s11, v72
	s_clause 0x6
	global_load_b64 v[138:139], v62, s[4:5] scale_offset
	global_load_b64 v[140:141], v64, s[4:5] scale_offset
	;; [unrolled: 1-line block ×7, first 2 shown]
	s_wait_loadcnt 0x23
	scratch_store_b128 off, v[78:81], off
	s_wait_loadcnt 0x21
	scratch_store_b128 off, v[82:85], off offset:16
	s_wait_loadcnt 0x1f
	scratch_store_b128 off, v[86:89], off offset:32
	;; [unrolled: 2-line block ×17, first 2 shown]
	s_wait_loadcnt 0x0
	scratch_store_b64 off, v[150:151], off offset:288
	s_cbranch_scc1 .LBB36_160
; %bb.4:
	v_cmp_eq_u32_e64 s0, 0, v0
	s_wait_xcnt 0x0
	s_and_saveexec_b32 s1, s0
; %bb.5:
	v_mov_b32_e32 v1, 0
	ds_store_b32 v1, v1 offset:296
; %bb.6:
	s_or_b32 exec_lo, exec_lo, s1
	s_wait_storecnt_dscnt 0x0
	s_barrier_signal -1
	s_barrier_wait -1
	scratch_load_b64 v[78:79], v0, off scale_offset
	s_wait_loadcnt 0x0
	v_cmp_eq_f32_e32 vcc_lo, 0, v78
	v_cmp_eq_f32_e64 s1, 0, v79
	s_and_b32 s1, vcc_lo, s1
	s_delay_alu instid0(SALU_CYCLE_1)
	s_and_saveexec_b32 s8, s1
	s_cbranch_execz .LBB36_10
; %bb.7:
	v_mov_b32_e32 v1, 0
	s_mov_b32 s9, 0
	ds_load_b32 v5, v1 offset:296
	s_wait_dscnt 0x0
	v_readfirstlane_b32 s1, v5
	v_add_nc_u32_e32 v5, 1, v0
	s_cmp_eq_u32 s1, 0
	s_delay_alu instid0(VALU_DEP_1) | instskip(SKIP_1) | instid1(SALU_CYCLE_1)
	v_cmp_gt_i32_e32 vcc_lo, s1, v5
	s_cselect_b32 s10, -1, 0
	s_or_b32 s10, s10, vcc_lo
	s_delay_alu instid0(SALU_CYCLE_1)
	s_and_b32 exec_lo, exec_lo, s10
	s_cbranch_execz .LBB36_10
; %bb.8:
	v_mov_b32_e32 v7, s1
.LBB36_9:                               ; =>This Inner Loop Header: Depth=1
	ds_cmpstore_rtn_b32 v7, v1, v5, v7 offset:296
	s_wait_dscnt 0x0
	v_cmp_ne_u32_e32 vcc_lo, 0, v7
	v_cmp_le_i32_e64 s1, v7, v5
	s_and_b32 s1, vcc_lo, s1
	s_delay_alu instid0(SALU_CYCLE_1) | instskip(NEXT) | instid1(SALU_CYCLE_1)
	s_and_b32 s1, exec_lo, s1
	s_or_b32 s9, s1, s9
	s_delay_alu instid0(SALU_CYCLE_1)
	s_and_not1_b32 exec_lo, exec_lo, s9
	s_cbranch_execnz .LBB36_9
.LBB36_10:
	s_or_b32 exec_lo, exec_lo, s8
	v_mov_b32_e32 v1, 0
	s_barrier_signal -1
	s_barrier_wait -1
	ds_load_b32 v5, v1 offset:296
	s_and_saveexec_b32 s1, s0
	s_cbranch_execz .LBB36_12
; %bb.11:
	s_lshl_b64 s[8:9], s[16:17], 2
	s_delay_alu instid0(SALU_CYCLE_1)
	s_add_nc_u64 s[8:9], s[6:7], s[8:9]
	s_wait_dscnt 0x0
	global_store_b32 v1, v5, s[8:9]
.LBB36_12:
	s_wait_xcnt 0x0
	s_or_b32 exec_lo, exec_lo, s1
	s_wait_dscnt 0x0
	v_cmp_ne_u32_e32 vcc_lo, 0, v5
	s_mov_b32 s1, 0
	s_cbranch_vccnz .LBB36_160
; %bb.13:
	v_lshl_add_u32 v5, v0, 3, 0
                                        ; implicit-def: $vgpr81
                                        ; implicit-def: $vgpr82
	scratch_load_b64 v[78:79], v5, off
	s_wait_loadcnt 0x0
	v_cmp_ngt_f32_e64 s1, |v78|, |v79|
	s_wait_xcnt 0x0
	s_and_saveexec_b32 s8, s1
	s_delay_alu instid0(SALU_CYCLE_1)
	s_xor_b32 s1, exec_lo, s8
	s_cbranch_execz .LBB36_15
; %bb.14:
	v_div_scale_f32 v1, null, v79, v79, v78
	v_div_scale_f32 v13, vcc_lo, v78, v79, v78
	s_delay_alu instid0(VALU_DEP_2) | instskip(SKIP_1) | instid1(TRANS32_DEP_1)
	v_rcp_f32_e32 v7, v1
	v_nop
	v_fma_f32 v11, -v1, v7, 1.0
	s_delay_alu instid0(VALU_DEP_1) | instskip(NEXT) | instid1(VALU_DEP_1)
	v_fmac_f32_e32 v7, v11, v7
	v_mul_f32_e32 v11, v13, v7
	s_delay_alu instid0(VALU_DEP_1) | instskip(NEXT) | instid1(VALU_DEP_1)
	v_fma_f32 v15, -v1, v11, v13
	v_fmac_f32_e32 v11, v15, v7
	s_delay_alu instid0(VALU_DEP_1) | instskip(NEXT) | instid1(VALU_DEP_1)
	v_fma_f32 v1, -v1, v11, v13
	v_div_fmas_f32 v1, v1, v7, v11
	s_delay_alu instid0(VALU_DEP_1) | instskip(NEXT) | instid1(VALU_DEP_1)
	v_div_fixup_f32 v1, v1, v79, v78
	v_fmac_f32_e32 v79, v78, v1
	s_delay_alu instid0(VALU_DEP_1) | instskip(NEXT) | instid1(VALU_DEP_1)
	v_div_scale_f32 v7, null, v79, v79, -1.0
	v_rcp_f32_e32 v11, v7
	v_nop
	s_delay_alu instid0(TRANS32_DEP_1) | instskip(NEXT) | instid1(VALU_DEP_1)
	v_fma_f32 v13, -v7, v11, 1.0
	v_fmac_f32_e32 v11, v13, v11
	v_div_scale_f32 v13, vcc_lo, -1.0, v79, -1.0
	s_delay_alu instid0(VALU_DEP_1) | instskip(NEXT) | instid1(VALU_DEP_1)
	v_mul_f32_e32 v15, v13, v11
	v_fma_f32 v17, -v7, v15, v13
	s_delay_alu instid0(VALU_DEP_1) | instskip(NEXT) | instid1(VALU_DEP_1)
	v_fmac_f32_e32 v15, v17, v11
	v_fma_f32 v7, -v7, v15, v13
	s_delay_alu instid0(VALU_DEP_1) | instskip(NEXT) | instid1(VALU_DEP_1)
	v_div_fmas_f32 v7, v7, v11, v15
	v_div_fixup_f32 v81, v7, v79, -1.0
                                        ; implicit-def: $vgpr78_vgpr79
	s_delay_alu instid0(VALU_DEP_1) | instskip(NEXT) | instid1(VALU_DEP_1)
	v_mul_f32_e32 v82, v1, v81
	v_xor_b32_e32 v80, 0x80000000, v82
.LBB36_15:
	s_and_not1_saveexec_b32 s1, s1
	s_cbranch_execz .LBB36_17
; %bb.16:
	v_div_scale_f32 v1, null, v78, v78, v79
	v_div_scale_f32 v13, vcc_lo, v79, v78, v79
	s_delay_alu instid0(VALU_DEP_2) | instskip(SKIP_1) | instid1(TRANS32_DEP_1)
	v_rcp_f32_e32 v7, v1
	v_nop
	v_fma_f32 v11, -v1, v7, 1.0
	s_delay_alu instid0(VALU_DEP_1) | instskip(NEXT) | instid1(VALU_DEP_1)
	v_fmac_f32_e32 v7, v11, v7
	v_mul_f32_e32 v11, v13, v7
	s_delay_alu instid0(VALU_DEP_1) | instskip(NEXT) | instid1(VALU_DEP_1)
	v_fma_f32 v15, -v1, v11, v13
	v_fmac_f32_e32 v11, v15, v7
	s_delay_alu instid0(VALU_DEP_1) | instskip(NEXT) | instid1(VALU_DEP_1)
	v_fma_f32 v1, -v1, v11, v13
	v_div_fmas_f32 v1, v1, v7, v11
	s_delay_alu instid0(VALU_DEP_1) | instskip(NEXT) | instid1(VALU_DEP_1)
	v_div_fixup_f32 v1, v1, v78, v79
	v_fmac_f32_e32 v78, v79, v1
	s_delay_alu instid0(VALU_DEP_1) | instskip(SKIP_1) | instid1(VALU_DEP_2)
	v_div_scale_f32 v7, null, v78, v78, 1.0
	v_div_scale_f32 v15, vcc_lo, 1.0, v78, 1.0
	v_rcp_f32_e32 v11, v7
	v_nop
	s_delay_alu instid0(TRANS32_DEP_1) | instskip(NEXT) | instid1(VALU_DEP_1)
	v_fma_f32 v13, -v7, v11, 1.0
	v_fmac_f32_e32 v11, v13, v11
	s_delay_alu instid0(VALU_DEP_1) | instskip(NEXT) | instid1(VALU_DEP_1)
	v_mul_f32_e32 v13, v15, v11
	v_fma_f32 v17, -v7, v13, v15
	s_delay_alu instid0(VALU_DEP_1) | instskip(NEXT) | instid1(VALU_DEP_1)
	v_fmac_f32_e32 v13, v17, v11
	v_fma_f32 v7, -v7, v13, v15
	s_delay_alu instid0(VALU_DEP_1) | instskip(NEXT) | instid1(VALU_DEP_1)
	v_div_fmas_f32 v7, v7, v11, v13
	v_div_fixup_f32 v80, v7, v78, 1.0
	s_delay_alu instid0(VALU_DEP_1)
	v_xor_b32_e32 v82, 0x80000000, v80
	v_mul_f32_e64 v81, v1, -v80
.LBB36_17:
	s_or_b32 exec_lo, exec_lo, s1
	scratch_store_b64 v5, v[80:81], off
	scratch_load_b64 v[78:79], off, off offset:8
	v_xor_b32_e32 v83, 0x80000000, v81
	v_add_nc_u32_e32 v1, 0x130, v76
	s_wait_loadcnt 0x0
	ds_store_2addr_b64 v76, v[82:83], v[78:79] offset1:38
	s_wait_storecnt_dscnt 0x0
	s_barrier_signal -1
	s_barrier_wait -1
	s_wait_xcnt 0x0
	s_and_saveexec_b32 s1, s0
	s_cbranch_execz .LBB36_19
; %bb.18:
	scratch_load_b64 v[78:79], v5, off
	ds_load_b64 v[80:81], v1
	s_wait_loadcnt_dscnt 0x0
	v_pk_mul_f32 v[84:85], v[80:81], v[78:79] op_sel:[1,1] op_sel_hi:[0,1]
	s_delay_alu instid0(VALU_DEP_1) | instskip(SKIP_2) | instid1(VALU_DEP_3)
	v_pk_fma_f32 v[86:87], v[80:81], v[78:79], v[84:85] op_sel_hi:[1,0,1]
	v_mov_b32_e32 v7, 0
	v_pk_fma_f32 v[78:79], v[80:81], v[78:79], v[84:85] neg_lo:[0,0,1] neg_hi:[0,0,1]
	v_mov_b32_e32 v79, v87
	ds_load_b64 v[82:83], v7 offset:8
	v_pk_add_f32 v[78:79], v[78:79], 0 op_sel_hi:[1,0]
	s_wait_dscnt 0x0
	s_delay_alu instid0(VALU_DEP_1) | instskip(NEXT) | instid1(VALU_DEP_1)
	v_pk_mul_f32 v[80:81], v[78:79], v[82:83] op_sel:[1,1] op_sel_hi:[0,1]
	v_pk_fma_f32 v[84:85], v[78:79], v[82:83], v[80:81] op_sel_hi:[1,0,1]
	v_pk_fma_f32 v[78:79], v[78:79], v[82:83], v[80:81] neg_lo:[0,0,1] neg_hi:[0,0,1]
	s_delay_alu instid0(VALU_DEP_2)
	v_mov_b32_e32 v79, v85
	scratch_store_b64 off, v[78:79], off offset:8
.LBB36_19:
	s_wait_xcnt 0x0
	s_or_b32 exec_lo, exec_lo, s1
	s_wait_storecnt 0x0
	s_barrier_signal -1
	s_barrier_wait -1
	scratch_load_b64 v[78:79], off, off offset:16
	s_mov_b32 s1, exec_lo
	s_wait_loadcnt 0x0
	ds_store_b64 v1, v[78:79]
	s_wait_dscnt 0x0
	s_barrier_signal -1
	s_barrier_wait -1
	v_cmpx_gt_u32_e32 2, v0
	s_cbranch_execz .LBB36_23
; %bb.20:
	scratch_load_b64 v[78:79], v5, off
	ds_load_b64 v[80:81], v1
	s_wait_loadcnt_dscnt 0x0
	v_pk_mul_f32 v[82:83], v[80:81], v[78:79] op_sel:[1,1] op_sel_hi:[0,1]
	s_delay_alu instid0(VALU_DEP_1) | instskip(SKIP_1) | instid1(VALU_DEP_2)
	v_pk_fma_f32 v[84:85], v[80:81], v[78:79], v[82:83] op_sel_hi:[1,0,1]
	v_pk_fma_f32 v[78:79], v[80:81], v[78:79], v[82:83] neg_lo:[0,0,1] neg_hi:[0,0,1]
	v_mov_b32_e32 v79, v85
	s_delay_alu instid0(VALU_DEP_1)
	v_pk_add_f32 v[78:79], v[78:79], 0 op_sel_hi:[1,0]
	s_and_saveexec_b32 s8, s0
	s_cbranch_execz .LBB36_22
; %bb.21:
	scratch_load_b64 v[80:81], off, off offset:8
	v_mov_b32_e32 v5, 0
	ds_load_b64 v[82:83], v5 offset:312
	s_wait_loadcnt_dscnt 0x0
	v_pk_mul_f32 v[84:85], v[82:83], v[80:81] op_sel:[1,1] op_sel_hi:[0,1]
	s_delay_alu instid0(VALU_DEP_1) | instskip(SKIP_1) | instid1(VALU_DEP_2)
	v_pk_fma_f32 v[86:87], v[82:83], v[80:81], v[84:85] op_sel_hi:[1,0,1]
	v_pk_fma_f32 v[80:81], v[82:83], v[80:81], v[84:85] neg_lo:[0,0,1] neg_hi:[0,0,1]
	v_mov_b32_e32 v81, v87
	s_delay_alu instid0(VALU_DEP_1)
	v_pk_add_f32 v[78:79], v[78:79], v[80:81]
.LBB36_22:
	s_or_b32 exec_lo, exec_lo, s8
	v_mov_b32_e32 v5, 0
	ds_load_b64 v[80:81], v5 offset:16
	s_wait_dscnt 0x0
	v_pk_mul_f32 v[82:83], v[78:79], v[80:81] op_sel:[1,1] op_sel_hi:[0,1]
	s_delay_alu instid0(VALU_DEP_1) | instskip(SKIP_1) | instid1(VALU_DEP_2)
	v_pk_fma_f32 v[84:85], v[78:79], v[80:81], v[82:83] op_sel_hi:[1,0,1]
	v_pk_fma_f32 v[78:79], v[78:79], v[80:81], v[82:83] neg_lo:[0,0,1] neg_hi:[0,0,1]
	v_mov_b32_e32 v79, v85
	scratch_store_b64 off, v[78:79], off offset:16
.LBB36_23:
	s_wait_xcnt 0x0
	s_or_b32 exec_lo, exec_lo, s1
	s_wait_storecnt 0x0
	s_barrier_signal -1
	s_barrier_wait -1
	scratch_load_b64 v[78:79], off, off offset:24
	v_add_nc_u32_e32 v5, -1, v0
	s_mov_b32 s0, exec_lo
	s_wait_loadcnt 0x0
	ds_store_b64 v1, v[78:79]
	s_wait_dscnt 0x0
	s_barrier_signal -1
	s_barrier_wait -1
	v_cmpx_gt_u32_e32 3, v0
	s_cbranch_execz .LBB36_27
; %bb.24:
	v_dual_mov_b32 v78, 0 :: v_dual_add_nc_u32 v7, -1, v0
	v_add_nc_u32_e32 v11, 0x130, v76
	v_mov_b32_e32 v13, v76
	s_mov_b32 s1, 0
	s_delay_alu instid0(VALU_DEP_3)
	v_mov_b32_e32 v79, v78
.LBB36_25:                              ; =>This Inner Loop Header: Depth=1
	scratch_load_b64 v[80:81], v13, off
	ds_load_b64 v[82:83], v11
	s_wait_xcnt 0x0
	v_dual_add_nc_u32 v11, 8, v11 :: v_dual_add_nc_u32 v13, 8, v13
	s_wait_loadcnt_dscnt 0x0
	v_pk_mul_f32 v[84:85], v[82:83], v[80:81] op_sel:[1,1] op_sel_hi:[0,1]
	s_delay_alu instid0(VALU_DEP_1) | instskip(SKIP_2) | instid1(VALU_DEP_3)
	v_pk_fma_f32 v[86:87], v[82:83], v[80:81], v[84:85] op_sel_hi:[1,0,1]
	v_add_nc_u32_e32 v7, 1, v7
	v_pk_fma_f32 v[80:81], v[82:83], v[80:81], v[84:85] neg_lo:[0,0,1] neg_hi:[0,0,1]
	v_mov_b32_e32 v81, v87
	s_delay_alu instid0(VALU_DEP_3) | instskip(NEXT) | instid1(VALU_DEP_2)
	v_cmp_lt_u32_e32 vcc_lo, 1, v7
	v_pk_add_f32 v[78:79], v[78:79], v[80:81]
	s_or_b32 s1, vcc_lo, s1
	s_delay_alu instid0(SALU_CYCLE_1)
	s_and_not1_b32 exec_lo, exec_lo, s1
	s_cbranch_execnz .LBB36_25
; %bb.26:
	s_or_b32 exec_lo, exec_lo, s1
	v_mov_b32_e32 v7, 0
	ds_load_b64 v[80:81], v7 offset:24
	s_wait_dscnt 0x0
	v_pk_mul_f32 v[82:83], v[78:79], v[80:81] op_sel:[1,1] op_sel_hi:[0,1]
	s_delay_alu instid0(VALU_DEP_1) | instskip(SKIP_1) | instid1(VALU_DEP_2)
	v_pk_fma_f32 v[84:85], v[78:79], v[80:81], v[82:83] op_sel_hi:[1,0,1]
	v_pk_fma_f32 v[78:79], v[78:79], v[80:81], v[82:83] neg_lo:[0,0,1] neg_hi:[0,0,1]
	v_mov_b32_e32 v79, v85
	scratch_store_b64 off, v[78:79], off offset:24
.LBB36_27:
	s_wait_xcnt 0x0
	s_or_b32 exec_lo, exec_lo, s0
	s_wait_storecnt 0x0
	s_barrier_signal -1
	s_barrier_wait -1
	scratch_load_b64 v[78:79], off, off offset:32
	s_mov_b32 s0, exec_lo
	s_wait_loadcnt 0x0
	ds_store_b64 v1, v[78:79]
	s_wait_dscnt 0x0
	s_barrier_signal -1
	s_barrier_wait -1
	v_cmpx_gt_u32_e32 4, v0
	s_cbranch_execz .LBB36_31
; %bb.28:
	v_dual_mov_b32 v78, 0 :: v_dual_add_nc_u32 v7, -1, v0
	v_add_nc_u32_e32 v11, 0x130, v76
	v_mov_b32_e32 v13, v76
	s_mov_b32 s1, 0
	s_delay_alu instid0(VALU_DEP_3)
	v_mov_b32_e32 v79, v78
.LBB36_29:                              ; =>This Inner Loop Header: Depth=1
	scratch_load_b64 v[80:81], v13, off
	ds_load_b64 v[82:83], v11
	s_wait_xcnt 0x0
	v_dual_add_nc_u32 v11, 8, v11 :: v_dual_add_nc_u32 v13, 8, v13
	s_wait_loadcnt_dscnt 0x0
	v_pk_mul_f32 v[84:85], v[82:83], v[80:81] op_sel:[1,1] op_sel_hi:[0,1]
	s_delay_alu instid0(VALU_DEP_1) | instskip(SKIP_2) | instid1(VALU_DEP_3)
	v_pk_fma_f32 v[86:87], v[82:83], v[80:81], v[84:85] op_sel_hi:[1,0,1]
	v_add_nc_u32_e32 v7, 1, v7
	v_pk_fma_f32 v[80:81], v[82:83], v[80:81], v[84:85] neg_lo:[0,0,1] neg_hi:[0,0,1]
	v_mov_b32_e32 v81, v87
	s_delay_alu instid0(VALU_DEP_3) | instskip(NEXT) | instid1(VALU_DEP_2)
	v_cmp_lt_u32_e32 vcc_lo, 2, v7
	v_pk_add_f32 v[78:79], v[78:79], v[80:81]
	s_or_b32 s1, vcc_lo, s1
	s_delay_alu instid0(SALU_CYCLE_1)
	s_and_not1_b32 exec_lo, exec_lo, s1
	s_cbranch_execnz .LBB36_29
; %bb.30:
	s_or_b32 exec_lo, exec_lo, s1
	v_mov_b32_e32 v7, 0
	ds_load_b64 v[80:81], v7 offset:32
	s_wait_dscnt 0x0
	v_pk_mul_f32 v[82:83], v[78:79], v[80:81] op_sel:[1,1] op_sel_hi:[0,1]
	s_delay_alu instid0(VALU_DEP_1) | instskip(SKIP_1) | instid1(VALU_DEP_2)
	v_pk_fma_f32 v[84:85], v[78:79], v[80:81], v[82:83] op_sel_hi:[1,0,1]
	v_pk_fma_f32 v[78:79], v[78:79], v[80:81], v[82:83] neg_lo:[0,0,1] neg_hi:[0,0,1]
	v_mov_b32_e32 v79, v85
	scratch_store_b64 off, v[78:79], off offset:32
.LBB36_31:
	s_wait_xcnt 0x0
	s_or_b32 exec_lo, exec_lo, s0
	s_wait_storecnt 0x0
	s_barrier_signal -1
	s_barrier_wait -1
	scratch_load_b64 v[78:79], off, off offset:40
	;; [unrolled: 52-line block ×19, first 2 shown]
	s_mov_b32 s0, exec_lo
	s_wait_loadcnt 0x0
	ds_store_b64 v1, v[78:79]
	s_wait_dscnt 0x0
	s_barrier_signal -1
	s_barrier_wait -1
	v_cmpx_gt_u32_e32 22, v0
	s_cbranch_execz .LBB36_103
; %bb.100:
	v_dual_mov_b32 v78, 0 :: v_dual_add_nc_u32 v7, -1, v0
	v_add_nc_u32_e32 v11, 0x130, v76
	v_mov_b32_e32 v13, v76
	s_mov_b32 s1, 0
	s_delay_alu instid0(VALU_DEP_3)
	v_mov_b32_e32 v79, v78
.LBB36_101:                             ; =>This Inner Loop Header: Depth=1
	scratch_load_b64 v[80:81], v13, off
	ds_load_b64 v[82:83], v11
	s_wait_xcnt 0x0
	v_dual_add_nc_u32 v11, 8, v11 :: v_dual_add_nc_u32 v13, 8, v13
	s_wait_loadcnt_dscnt 0x0
	v_pk_mul_f32 v[84:85], v[82:83], v[80:81] op_sel:[1,1] op_sel_hi:[0,1]
	s_delay_alu instid0(VALU_DEP_1) | instskip(SKIP_2) | instid1(VALU_DEP_3)
	v_pk_fma_f32 v[86:87], v[82:83], v[80:81], v[84:85] op_sel_hi:[1,0,1]
	v_add_nc_u32_e32 v7, 1, v7
	v_pk_fma_f32 v[80:81], v[82:83], v[80:81], v[84:85] neg_lo:[0,0,1] neg_hi:[0,0,1]
	v_mov_b32_e32 v81, v87
	s_delay_alu instid0(VALU_DEP_3) | instskip(NEXT) | instid1(VALU_DEP_2)
	v_cmp_lt_u32_e32 vcc_lo, 20, v7
	v_pk_add_f32 v[78:79], v[78:79], v[80:81]
	s_or_b32 s1, vcc_lo, s1
	s_delay_alu instid0(SALU_CYCLE_1)
	s_and_not1_b32 exec_lo, exec_lo, s1
	s_cbranch_execnz .LBB36_101
; %bb.102:
	s_or_b32 exec_lo, exec_lo, s1
	v_mov_b32_e32 v7, 0
	ds_load_b64 v[80:81], v7 offset:176
	s_wait_dscnt 0x0
	v_pk_mul_f32 v[82:83], v[78:79], v[80:81] op_sel:[1,1] op_sel_hi:[0,1]
	s_delay_alu instid0(VALU_DEP_1) | instskip(SKIP_1) | instid1(VALU_DEP_2)
	v_pk_fma_f32 v[84:85], v[78:79], v[80:81], v[82:83] op_sel_hi:[1,0,1]
	v_pk_fma_f32 v[78:79], v[78:79], v[80:81], v[82:83] neg_lo:[0,0,1] neg_hi:[0,0,1]
	v_mov_b32_e32 v79, v85
	scratch_store_b64 off, v[78:79], off offset:176
.LBB36_103:
	s_wait_xcnt 0x0
	s_or_b32 exec_lo, exec_lo, s0
	s_wait_storecnt 0x0
	s_barrier_signal -1
	s_barrier_wait -1
	scratch_load_b64 v[78:79], off, off offset:184
	s_mov_b32 s0, exec_lo
	s_wait_loadcnt 0x0
	ds_store_b64 v1, v[78:79]
	s_wait_dscnt 0x0
	s_barrier_signal -1
	s_barrier_wait -1
	v_cmpx_gt_u32_e32 23, v0
	s_cbranch_execz .LBB36_107
; %bb.104:
	v_dual_mov_b32 v78, 0 :: v_dual_add_nc_u32 v7, -1, v0
	v_add_nc_u32_e32 v11, 0x130, v76
	v_mov_b32_e32 v13, v76
	s_mov_b32 s1, 0
	s_delay_alu instid0(VALU_DEP_3)
	v_mov_b32_e32 v79, v78
.LBB36_105:                             ; =>This Inner Loop Header: Depth=1
	scratch_load_b64 v[80:81], v13, off
	ds_load_b64 v[82:83], v11
	s_wait_xcnt 0x0
	v_dual_add_nc_u32 v11, 8, v11 :: v_dual_add_nc_u32 v13, 8, v13
	s_wait_loadcnt_dscnt 0x0
	v_pk_mul_f32 v[84:85], v[82:83], v[80:81] op_sel:[1,1] op_sel_hi:[0,1]
	s_delay_alu instid0(VALU_DEP_1) | instskip(SKIP_2) | instid1(VALU_DEP_3)
	v_pk_fma_f32 v[86:87], v[82:83], v[80:81], v[84:85] op_sel_hi:[1,0,1]
	v_add_nc_u32_e32 v7, 1, v7
	v_pk_fma_f32 v[80:81], v[82:83], v[80:81], v[84:85] neg_lo:[0,0,1] neg_hi:[0,0,1]
	v_mov_b32_e32 v81, v87
	s_delay_alu instid0(VALU_DEP_3) | instskip(NEXT) | instid1(VALU_DEP_2)
	v_cmp_lt_u32_e32 vcc_lo, 21, v7
	v_pk_add_f32 v[78:79], v[78:79], v[80:81]
	s_or_b32 s1, vcc_lo, s1
	s_delay_alu instid0(SALU_CYCLE_1)
	s_and_not1_b32 exec_lo, exec_lo, s1
	s_cbranch_execnz .LBB36_105
; %bb.106:
	s_or_b32 exec_lo, exec_lo, s1
	v_mov_b32_e32 v7, 0
	ds_load_b64 v[80:81], v7 offset:184
	s_wait_dscnt 0x0
	v_pk_mul_f32 v[82:83], v[78:79], v[80:81] op_sel:[1,1] op_sel_hi:[0,1]
	s_delay_alu instid0(VALU_DEP_1) | instskip(SKIP_1) | instid1(VALU_DEP_2)
	v_pk_fma_f32 v[84:85], v[78:79], v[80:81], v[82:83] op_sel_hi:[1,0,1]
	v_pk_fma_f32 v[78:79], v[78:79], v[80:81], v[82:83] neg_lo:[0,0,1] neg_hi:[0,0,1]
	v_mov_b32_e32 v79, v85
	scratch_store_b64 off, v[78:79], off offset:184
.LBB36_107:
	s_wait_xcnt 0x0
	s_or_b32 exec_lo, exec_lo, s0
	s_wait_storecnt 0x0
	s_barrier_signal -1
	s_barrier_wait -1
	scratch_load_b64 v[78:79], off, off offset:192
	;; [unrolled: 52-line block ×14, first 2 shown]
	s_mov_b32 s0, exec_lo
	s_wait_loadcnt 0x0
	ds_store_b64 v1, v[78:79]
	s_wait_dscnt 0x0
	s_barrier_signal -1
	s_barrier_wait -1
	v_cmpx_ne_u32_e32 36, v0
	s_cbranch_execz .LBB36_159
; %bb.156:
	v_dual_mov_b32 v78, 0 :: v_dual_mov_b32 v7, v76
	s_mov_b32 s1, 0
	s_delay_alu instid0(VALU_DEP_1)
	v_mov_b32_e32 v79, v78
.LBB36_157:                             ; =>This Inner Loop Header: Depth=1
	scratch_load_b64 v[76:77], v7, off
	ds_load_b64 v[80:81], v1
	s_wait_xcnt 0x0
	v_dual_add_nc_u32 v1, 8, v1 :: v_dual_add_nc_u32 v7, 8, v7
	s_wait_loadcnt_dscnt 0x0
	v_pk_mul_f32 v[82:83], v[80:81], v[76:77] op_sel:[1,1] op_sel_hi:[0,1]
	s_delay_alu instid0(VALU_DEP_1) | instskip(SKIP_2) | instid1(VALU_DEP_3)
	v_pk_fma_f32 v[84:85], v[80:81], v[76:77], v[82:83] op_sel_hi:[1,0,1]
	v_add_nc_u32_e32 v5, 1, v5
	v_pk_fma_f32 v[76:77], v[80:81], v[76:77], v[82:83] neg_lo:[0,0,1] neg_hi:[0,0,1]
	v_mov_b32_e32 v77, v85
	s_delay_alu instid0(VALU_DEP_3) | instskip(NEXT) | instid1(VALU_DEP_2)
	v_cmp_lt_u32_e32 vcc_lo, 34, v5
	v_pk_add_f32 v[78:79], v[78:79], v[76:77]
	s_or_b32 s1, vcc_lo, s1
	s_delay_alu instid0(SALU_CYCLE_1)
	s_and_not1_b32 exec_lo, exec_lo, s1
	s_cbranch_execnz .LBB36_157
; %bb.158:
	s_or_b32 exec_lo, exec_lo, s1
	v_mov_b32_e32 v1, 0
	ds_load_b64 v[76:77], v1 offset:288
	s_wait_dscnt 0x0
	v_pk_mul_f32 v[80:81], v[78:79], v[76:77] op_sel:[1,1] op_sel_hi:[0,1]
	s_delay_alu instid0(VALU_DEP_1) | instskip(SKIP_1) | instid1(VALU_DEP_2)
	v_pk_fma_f32 v[82:83], v[78:79], v[76:77], v[80:81] op_sel_hi:[1,0,1]
	v_pk_fma_f32 v[76:77], v[78:79], v[76:77], v[80:81] neg_lo:[0,0,1] neg_hi:[0,0,1]
	v_mov_b32_e32 v77, v83
	scratch_store_b64 off, v[76:77], off offset:288
.LBB36_159:
	s_wait_xcnt 0x0
	s_or_b32 exec_lo, exec_lo, s0
	s_mov_b32 s1, -1
	s_wait_storecnt 0x0
	s_barrier_signal -1
	s_barrier_wait -1
.LBB36_160:
	s_and_b32 vcc_lo, exec_lo, s1
	s_cbranch_vccz .LBB36_162
; %bb.161:
	v_mov_b32_e32 v1, 0
	s_lshl_b64 s[0:1], s[16:17], 2
	s_delay_alu instid0(SALU_CYCLE_1)
	s_add_nc_u64 s[0:1], s[6:7], s[0:1]
	global_load_b32 v1, v1, s[0:1]
	s_wait_loadcnt 0x0
	v_cmp_ne_u32_e32 vcc_lo, 0, v1
	s_cbranch_vccz .LBB36_163
.LBB36_162:
	s_sendmsg sendmsg(MSG_DEALLOC_VGPRS)
	s_endpgm
.LBB36_163:
	s_wait_xcnt 0x0
	v_lshl_add_u32 v1, v0, 3, 0x130
	s_mov_b32 s0, exec_lo
	v_cmpx_eq_u32_e32 36, v0
	s_cbranch_execz .LBB36_165
; %bb.164:
	scratch_load_b64 v[76:77], off, off offset:280
	v_mov_b64_e32 v[78:79], 0
	scratch_store_b64 off, v[78:79], off offset:280
	s_wait_loadcnt 0x0
	ds_store_b64 v1, v[76:77]
.LBB36_165:
	s_wait_xcnt 0x0
	s_or_b32 exec_lo, exec_lo, s0
	s_wait_storecnt_dscnt 0x0
	s_barrier_signal -1
	s_barrier_wait -1
	s_clause 0x1
	scratch_load_b64 v[76:77], off, off offset:288
	scratch_load_b64 v[78:79], off, off offset:280
	v_mov_b32_e32 v5, 0
	s_mov_b32 s0, exec_lo
	ds_load_b64 v[80:81], v5 offset:592
	s_wait_loadcnt_dscnt 0x100
	v_pk_mul_f32 v[82:83], v[80:81], v[76:77] op_sel:[1,1] op_sel_hi:[0,1]
	s_delay_alu instid0(VALU_DEP_1) | instskip(SKIP_1) | instid1(VALU_DEP_2)
	v_pk_fma_f32 v[84:85], v[80:81], v[76:77], v[82:83] op_sel_hi:[1,0,1]
	v_pk_fma_f32 v[76:77], v[80:81], v[76:77], v[82:83] neg_lo:[0,0,1] neg_hi:[0,0,1]
	v_mov_b32_e32 v77, v85
	s_delay_alu instid0(VALU_DEP_1) | instskip(SKIP_1) | instid1(VALU_DEP_1)
	v_pk_add_f32 v[76:77], v[76:77], 0 op_sel_hi:[1,0]
	s_wait_loadcnt 0x0
	v_pk_add_f32 v[76:77], v[78:79], v[76:77] neg_lo:[0,1] neg_hi:[0,1]
	scratch_store_b64 off, v[76:77], off offset:280
	s_wait_xcnt 0x0
	v_cmpx_lt_u32_e32 34, v0
	s_cbranch_execz .LBB36_167
; %bb.166:
	scratch_load_b64 v[76:77], off, off offset:272
	v_mov_b64_e32 v[78:79], 0
	scratch_store_b64 off, v[78:79], off offset:272
	s_wait_loadcnt 0x0
	ds_store_b64 v1, v[76:77]
.LBB36_167:
	s_wait_xcnt 0x0
	s_or_b32 exec_lo, exec_lo, s0
	s_wait_storecnt_dscnt 0x0
	s_barrier_signal -1
	s_barrier_wait -1
	s_clause 0x1
	scratch_load_b128 v[76:79], off, off offset:280
	scratch_load_b64 v[84:85], off, off offset:272
	ds_load_2addr_b64 v[80:83], v5 offset0:73 offset1:74
	s_mov_b32 s0, exec_lo
	s_wait_dscnt 0x0
	v_dual_mov_b32 v86, v83 :: v_dual_mov_b32 v87, v82
	s_wait_loadcnt 0x1
	v_pk_mul_f32 v[88:89], v[80:81], v[76:77] op_sel:[1,1] op_sel_hi:[0,1]
	s_delay_alu instid0(VALU_DEP_1) | instskip(SKIP_2) | instid1(VALU_DEP_3)
	v_pk_fma_f32 v[92:93], v[80:81], v[76:77], v[88:89] op_sel_hi:[1,0,1]
	v_mov_b32_e32 v90, v79
	v_pk_fma_f32 v[76:77], v[80:81], v[76:77], v[88:89] neg_lo:[0,0,1] neg_hi:[0,0,1]
	v_mov_b32_e32 v77, v93
	s_delay_alu instid0(VALU_DEP_3) | instskip(NEXT) | instid1(VALU_DEP_2)
	v_pk_mul_f32 v[86:87], v[86:87], v[90:91] op_sel_hi:[1,0]
	v_pk_add_f32 v[76:77], v[76:77], 0 op_sel_hi:[1,0]
	s_delay_alu instid0(VALU_DEP_2) | instskip(SKIP_1) | instid1(VALU_DEP_2)
	v_pk_fma_f32 v[80:81], v[82:83], v[78:79], v[86:87] op_sel_hi:[1,0,1]
	v_pk_fma_f32 v[78:79], v[82:83], v[78:79], v[86:87] neg_lo:[0,0,1] neg_hi:[0,0,1]
	v_mov_b32_e32 v79, v81
	s_delay_alu instid0(VALU_DEP_1) | instskip(SKIP_1) | instid1(VALU_DEP_1)
	v_pk_add_f32 v[76:77], v[76:77], v[78:79]
	s_wait_loadcnt 0x0
	v_pk_add_f32 v[76:77], v[84:85], v[76:77] neg_lo:[0,1] neg_hi:[0,1]
	scratch_store_b64 off, v[76:77], off offset:272
	s_wait_xcnt 0x0
	v_cmpx_lt_u32_e32 33, v0
	s_cbranch_execz .LBB36_169
; %bb.168:
	scratch_load_b64 v[76:77], off, off offset:264
	v_mov_b64_e32 v[78:79], 0
	scratch_store_b64 off, v[78:79], off offset:264
	s_wait_loadcnt 0x0
	ds_store_b64 v1, v[76:77]
.LBB36_169:
	s_wait_xcnt 0x0
	s_or_b32 exec_lo, exec_lo, s0
	s_wait_storecnt_dscnt 0x0
	s_barrier_signal -1
	s_barrier_wait -1
	s_clause 0x2
	scratch_load_b128 v[76:79], off, off offset:272
	scratch_load_b64 v[84:85], off, off offset:288
	scratch_load_b64 v[86:87], off, off offset:264
	v_mov_b32_e32 v5, 0
	ds_load_b128 v[80:83], v5 offset:576
	ds_load_b64 v[88:89], v5 offset:592
	s_mov_b32 s0, exec_lo
	s_wait_dscnt 0x1
	v_dual_mov_b32 v90, v83 :: v_dual_mov_b32 v91, v82
	s_wait_loadcnt 0x2
	v_mov_b32_e32 v94, v79
	v_pk_mul_f32 v[92:93], v[80:81], v[76:77] op_sel:[1,1] op_sel_hi:[0,1]
	s_delay_alu instid0(VALU_DEP_2) | instskip(NEXT) | instid1(VALU_DEP_2)
	v_pk_mul_f32 v[90:91], v[90:91], v[94:95] op_sel_hi:[1,0]
	v_pk_fma_f32 v[96:97], v[80:81], v[76:77], v[92:93] op_sel_hi:[1,0,1]
	v_pk_fma_f32 v[76:77], v[80:81], v[76:77], v[92:93] neg_lo:[0,0,1] neg_hi:[0,0,1]
	s_wait_loadcnt_dscnt 0x100
	v_pk_mul_f32 v[92:93], v[88:89], v[84:85] op_sel:[1,1] op_sel_hi:[0,1]
	v_pk_fma_f32 v[80:81], v[82:83], v[78:79], v[90:91] op_sel_hi:[1,0,1]
	v_mov_b32_e32 v77, v97
	v_pk_fma_f32 v[78:79], v[82:83], v[78:79], v[90:91] neg_lo:[0,0,1] neg_hi:[0,0,1]
	s_delay_alu instid0(VALU_DEP_4) | instskip(NEXT) | instid1(VALU_DEP_4)
	v_pk_fma_f32 v[82:83], v[88:89], v[84:85], v[92:93] neg_lo:[0,0,1] neg_hi:[0,0,1]
	v_mov_b32_e32 v79, v81
	s_delay_alu instid0(VALU_DEP_4) | instskip(SKIP_1) | instid1(VALU_DEP_2)
	v_pk_add_f32 v[76:77], v[76:77], 0 op_sel_hi:[1,0]
	v_pk_fma_f32 v[80:81], v[88:89], v[84:85], v[92:93] op_sel_hi:[1,0,1]
	v_pk_add_f32 v[76:77], v[76:77], v[78:79]
	s_delay_alu instid0(VALU_DEP_2) | instskip(NEXT) | instid1(VALU_DEP_1)
	v_mov_b32_e32 v83, v81
	v_pk_add_f32 v[76:77], v[76:77], v[82:83]
	s_wait_loadcnt 0x0
	s_delay_alu instid0(VALU_DEP_1)
	v_pk_add_f32 v[76:77], v[86:87], v[76:77] neg_lo:[0,1] neg_hi:[0,1]
	scratch_store_b64 off, v[76:77], off offset:264
	s_wait_xcnt 0x0
	v_cmpx_lt_u32_e32 32, v0
	s_cbranch_execz .LBB36_171
; %bb.170:
	scratch_load_b64 v[76:77], off, off offset:256
	v_mov_b64_e32 v[78:79], 0
	scratch_store_b64 off, v[78:79], off offset:256
	s_wait_loadcnt 0x0
	ds_store_b64 v1, v[76:77]
.LBB36_171:
	s_wait_xcnt 0x0
	s_or_b32 exec_lo, exec_lo, s0
	s_wait_storecnt_dscnt 0x0
	s_barrier_signal -1
	s_barrier_wait -1
	s_clause 0x2
	scratch_load_b128 v[76:79], off, off offset:264
	scratch_load_b128 v[80:83], off, off offset:280
	scratch_load_b64 v[92:93], off, off offset:256
	ds_load_2addr_b64 v[84:87], v5 offset0:71 offset1:72
	ds_load_2addr_b64 v[88:91], v5 offset0:73 offset1:74
	s_mov_b32 s0, exec_lo
	s_wait_dscnt 0x1
	v_dual_mov_b32 v94, v87 :: v_dual_mov_b32 v95, v86
	s_wait_loadcnt_dscnt 0x200
	v_dual_mov_b32 v100, v91 :: v_dual_mov_b32 v98, v79
	v_pk_mul_f32 v[96:97], v[84:85], v[76:77] op_sel:[1,1] op_sel_hi:[0,1]
	s_delay_alu instid0(VALU_DEP_2) | instskip(NEXT) | instid1(VALU_DEP_2)
	v_pk_mul_f32 v[94:95], v[94:95], v[98:99] op_sel_hi:[1,0]
	v_pk_fma_f32 v[102:103], v[84:85], v[76:77], v[96:97] op_sel_hi:[1,0,1]
	v_pk_fma_f32 v[76:77], v[84:85], v[76:77], v[96:97] neg_lo:[0,0,1] neg_hi:[0,0,1]
	v_mov_b32_e32 v101, v90
	s_wait_loadcnt 0x1
	v_pk_mul_f32 v[98:99], v[88:89], v[80:81] op_sel:[1,1] op_sel_hi:[0,1]
	v_pk_fma_f32 v[84:85], v[86:87], v[78:79], v[94:95] op_sel_hi:[1,0,1]
	v_dual_mov_b32 v77, v103 :: v_dual_mov_b32 v84, v83
	v_pk_fma_f32 v[78:79], v[86:87], v[78:79], v[94:95] neg_lo:[0,0,1] neg_hi:[0,0,1]
	s_delay_alu instid0(VALU_DEP_4) | instskip(NEXT) | instid1(VALU_DEP_4)
	v_pk_fma_f32 v[96:97], v[88:89], v[80:81], v[98:99] op_sel_hi:[1,0,1]
	v_mov_b32_e32 v79, v85
	s_delay_alu instid0(VALU_DEP_4) | instskip(SKIP_2) | instid1(VALU_DEP_3)
	v_pk_add_f32 v[76:77], v[76:77], 0 op_sel_hi:[1,0]
	v_pk_mul_f32 v[84:85], v[100:101], v[84:85] op_sel_hi:[1,0]
	v_pk_fma_f32 v[80:81], v[88:89], v[80:81], v[98:99] neg_lo:[0,0,1] neg_hi:[0,0,1]
	v_pk_add_f32 v[76:77], v[76:77], v[78:79]
	s_delay_alu instid0(VALU_DEP_3) | instskip(SKIP_2) | instid1(VALU_DEP_3)
	v_pk_fma_f32 v[78:79], v[90:91], v[82:83], v[84:85] op_sel_hi:[1,0,1]
	v_mov_b32_e32 v81, v97
	v_pk_fma_f32 v[82:83], v[90:91], v[82:83], v[84:85] neg_lo:[0,0,1] neg_hi:[0,0,1]
	v_mov_b32_e32 v83, v79
	s_delay_alu instid0(VALU_DEP_3) | instskip(NEXT) | instid1(VALU_DEP_1)
	v_pk_add_f32 v[76:77], v[76:77], v[80:81]
	v_pk_add_f32 v[76:77], v[76:77], v[82:83]
	s_wait_loadcnt 0x0
	s_delay_alu instid0(VALU_DEP_1)
	v_pk_add_f32 v[76:77], v[92:93], v[76:77] neg_lo:[0,1] neg_hi:[0,1]
	scratch_store_b64 off, v[76:77], off offset:256
	s_wait_xcnt 0x0
	v_cmpx_lt_u32_e32 31, v0
	s_cbranch_execz .LBB36_173
; %bb.172:
	scratch_load_b64 v[76:77], off, off offset:248
	v_mov_b64_e32 v[78:79], 0
	scratch_store_b64 off, v[78:79], off offset:248
	s_wait_loadcnt 0x0
	ds_store_b64 v1, v[76:77]
.LBB36_173:
	s_wait_xcnt 0x0
	s_or_b32 exec_lo, exec_lo, s0
	s_wait_storecnt_dscnt 0x0
	s_barrier_signal -1
	s_barrier_wait -1
	s_clause 0x3
	scratch_load_b128 v[76:79], off, off offset:256
	scratch_load_b128 v[80:83], off, off offset:272
	scratch_load_b64 v[92:93], off, off offset:288
	scratch_load_b64 v[94:95], off, off offset:248
	v_mov_b32_e32 v5, 0
	ds_load_b128 v[84:87], v5 offset:560
	ds_load_b128 v[88:91], v5 offset:576
	s_mov_b32 s0, exec_lo
	s_wait_dscnt 0x1
	v_dual_mov_b32 v96, v87 :: v_dual_mov_b32 v97, v86
	ds_load_b64 v[102:103], v5 offset:592
	s_wait_dscnt 0x1
	v_dual_mov_b32 v104, v91 :: v_dual_mov_b32 v105, v90
	s_wait_loadcnt 0x3
	v_pk_mul_f32 v[98:99], v[84:85], v[76:77] op_sel:[1,1] op_sel_hi:[0,1]
	v_mov_b32_e32 v100, v79
	s_delay_alu instid0(VALU_DEP_2) | instskip(NEXT) | instid1(VALU_DEP_2)
	v_pk_fma_f32 v[106:107], v[84:85], v[76:77], v[98:99] op_sel_hi:[1,0,1]
	v_pk_mul_f32 v[96:97], v[96:97], v[100:101] op_sel_hi:[1,0]
	v_pk_fma_f32 v[76:77], v[84:85], v[76:77], v[98:99] neg_lo:[0,0,1] neg_hi:[0,0,1]
	s_wait_loadcnt 0x2
	v_pk_mul_f32 v[100:101], v[88:89], v[80:81] op_sel:[1,1] op_sel_hi:[0,1]
	v_dual_mov_b32 v106, v83 :: v_dual_mov_b32 v77, v107
	v_pk_fma_f32 v[84:85], v[86:87], v[78:79], v[96:97] op_sel_hi:[1,0,1]
	v_pk_fma_f32 v[78:79], v[86:87], v[78:79], v[96:97] neg_lo:[0,0,1] neg_hi:[0,0,1]
	s_delay_alu instid0(VALU_DEP_4) | instskip(NEXT) | instid1(VALU_DEP_4)
	v_pk_fma_f32 v[98:99], v[88:89], v[80:81], v[100:101] op_sel_hi:[1,0,1]
	v_pk_mul_f32 v[104:105], v[104:105], v[106:107] op_sel_hi:[1,0]
	v_pk_add_f32 v[76:77], v[76:77], 0 op_sel_hi:[1,0]
	v_mov_b32_e32 v79, v85
	v_pk_fma_f32 v[80:81], v[88:89], v[80:81], v[100:101] neg_lo:[0,0,1] neg_hi:[0,0,1]
	v_mov_b32_e32 v81, v99
	v_pk_fma_f32 v[84:85], v[90:91], v[82:83], v[104:105] op_sel_hi:[1,0,1]
	v_pk_fma_f32 v[82:83], v[90:91], v[82:83], v[104:105] neg_lo:[0,0,1] neg_hi:[0,0,1]
	v_pk_add_f32 v[76:77], v[76:77], v[78:79]
	s_wait_loadcnt_dscnt 0x100
	v_pk_mul_f32 v[78:79], v[102:103], v[92:93] op_sel:[1,1] op_sel_hi:[0,1]
	s_delay_alu instid0(VALU_DEP_2) | instskip(NEXT) | instid1(VALU_DEP_2)
	v_pk_add_f32 v[76:77], v[76:77], v[80:81]
	v_pk_fma_f32 v[80:81], v[102:103], v[92:93], v[78:79] op_sel_hi:[1,0,1]
	v_mov_b32_e32 v83, v85
	v_pk_fma_f32 v[78:79], v[102:103], v[92:93], v[78:79] neg_lo:[0,0,1] neg_hi:[0,0,1]
	s_delay_alu instid0(VALU_DEP_3) | instskip(NEXT) | instid1(VALU_DEP_3)
	v_mov_b32_e32 v79, v81
	v_pk_add_f32 v[76:77], v[76:77], v[82:83]
	s_delay_alu instid0(VALU_DEP_1) | instskip(SKIP_1) | instid1(VALU_DEP_1)
	v_pk_add_f32 v[76:77], v[76:77], v[78:79]
	s_wait_loadcnt 0x0
	v_pk_add_f32 v[76:77], v[94:95], v[76:77] neg_lo:[0,1] neg_hi:[0,1]
	scratch_store_b64 off, v[76:77], off offset:248
	s_wait_xcnt 0x0
	v_cmpx_lt_u32_e32 30, v0
	s_cbranch_execz .LBB36_175
; %bb.174:
	scratch_load_b64 v[76:77], off, off offset:240
	v_mov_b64_e32 v[78:79], 0
	scratch_store_b64 off, v[78:79], off offset:240
	s_wait_loadcnt 0x0
	ds_store_b64 v1, v[76:77]
.LBB36_175:
	s_wait_xcnt 0x0
	s_or_b32 exec_lo, exec_lo, s0
	s_wait_storecnt_dscnt 0x0
	s_barrier_signal -1
	s_barrier_wait -1
	s_clause 0x3
	scratch_load_b128 v[76:79], off, off offset:248
	scratch_load_b128 v[80:83], off, off offset:264
	;; [unrolled: 1-line block ×3, first 2 shown]
	scratch_load_b64 v[100:101], off, off offset:240
	ds_load_2addr_b64 v[88:91], v5 offset0:69 offset1:70
	ds_load_2addr_b64 v[92:95], v5 offset0:71 offset1:72
	;; [unrolled: 1-line block ×3, first 2 shown]
	s_mov_b32 s0, exec_lo
	s_wait_dscnt 0x2
	v_dual_mov_b32 v102, v91 :: v_dual_mov_b32 v103, v90
	s_wait_dscnt 0x1
	v_dual_mov_b32 v104, v95 :: v_dual_mov_b32 v105, v94
	s_wait_dscnt 0x0
	v_dual_mov_b32 v110, v99 :: v_dual_mov_b32 v111, v98
	s_wait_loadcnt 0x3
	v_pk_mul_f32 v[106:107], v[88:89], v[76:77] op_sel:[1,1] op_sel_hi:[0,1]
	v_mov_b32_e32 v108, v79
	s_delay_alu instid0(VALU_DEP_2) | instskip(NEXT) | instid1(VALU_DEP_2)
	v_pk_fma_f32 v[112:113], v[88:89], v[76:77], v[106:107] op_sel_hi:[1,0,1]
	v_pk_mul_f32 v[102:103], v[102:103], v[108:109] op_sel_hi:[1,0]
	v_pk_fma_f32 v[76:77], v[88:89], v[76:77], v[106:107] neg_lo:[0,0,1] neg_hi:[0,0,1]
	s_wait_loadcnt 0x2
	v_pk_mul_f32 v[108:109], v[92:93], v[80:81] op_sel:[1,1] op_sel_hi:[0,1]
	v_mov_b32_e32 v112, v83
	v_pk_fma_f32 v[88:89], v[90:91], v[78:79], v[102:103] op_sel_hi:[1,0,1]
	v_mov_b32_e32 v77, v113
	v_pk_fma_f32 v[78:79], v[90:91], v[78:79], v[102:103] neg_lo:[0,0,1] neg_hi:[0,0,1]
	v_pk_fma_f32 v[106:107], v[92:93], v[80:81], v[108:109] op_sel_hi:[1,0,1]
	v_pk_mul_f32 v[104:105], v[104:105], v[112:113] op_sel_hi:[1,0]
	v_mov_b32_e32 v79, v89
	v_pk_add_f32 v[76:77], v[76:77], 0 op_sel_hi:[1,0]
	v_pk_fma_f32 v[80:81], v[92:93], v[80:81], v[108:109] neg_lo:[0,0,1] neg_hi:[0,0,1]
	s_wait_loadcnt 0x1
	v_pk_mul_f32 v[88:89], v[96:97], v[84:85] op_sel:[1,1] op_sel_hi:[0,1]
	v_mov_b32_e32 v81, v107
	v_pk_fma_f32 v[90:91], v[94:95], v[82:83], v[104:105] op_sel_hi:[1,0,1]
	v_pk_add_f32 v[76:77], v[76:77], v[78:79]
	v_mov_b32_e32 v78, v87
	v_pk_fma_f32 v[82:83], v[94:95], v[82:83], v[104:105] neg_lo:[0,0,1] neg_hi:[0,0,1]
	v_pk_fma_f32 v[92:93], v[96:97], v[84:85], v[88:89] op_sel_hi:[1,0,1]
	v_mov_b32_e32 v83, v91
	v_pk_add_f32 v[76:77], v[76:77], v[80:81]
	v_pk_mul_f32 v[78:79], v[110:111], v[78:79] op_sel_hi:[1,0]
	v_pk_fma_f32 v[80:81], v[96:97], v[84:85], v[88:89] neg_lo:[0,0,1] neg_hi:[0,0,1]
	v_mov_b32_e32 v81, v93
	s_delay_alu instid0(VALU_DEP_4) | instskip(NEXT) | instid1(VALU_DEP_4)
	v_pk_add_f32 v[76:77], v[76:77], v[82:83]
	v_pk_fma_f32 v[82:83], v[98:99], v[86:87], v[78:79] op_sel_hi:[1,0,1]
	v_pk_fma_f32 v[78:79], v[98:99], v[86:87], v[78:79] neg_lo:[0,0,1] neg_hi:[0,0,1]
	s_delay_alu instid0(VALU_DEP_3) | instskip(NEXT) | instid1(VALU_DEP_3)
	v_pk_add_f32 v[76:77], v[76:77], v[80:81]
	v_mov_b32_e32 v79, v83
	s_delay_alu instid0(VALU_DEP_1) | instskip(SKIP_1) | instid1(VALU_DEP_1)
	v_pk_add_f32 v[76:77], v[76:77], v[78:79]
	s_wait_loadcnt 0x0
	v_pk_add_f32 v[76:77], v[100:101], v[76:77] neg_lo:[0,1] neg_hi:[0,1]
	scratch_store_b64 off, v[76:77], off offset:240
	s_wait_xcnt 0x0
	v_cmpx_lt_u32_e32 29, v0
	s_cbranch_execz .LBB36_177
; %bb.176:
	scratch_load_b64 v[76:77], off, off offset:232
	v_mov_b64_e32 v[78:79], 0
	scratch_store_b64 off, v[78:79], off offset:232
	s_wait_loadcnt 0x0
	ds_store_b64 v1, v[76:77]
.LBB36_177:
	s_wait_xcnt 0x0
	s_or_b32 exec_lo, exec_lo, s0
	s_wait_storecnt_dscnt 0x0
	s_barrier_signal -1
	s_barrier_wait -1
	s_clause 0x4
	scratch_load_b128 v[76:79], off, off offset:240
	scratch_load_b128 v[80:83], off, off offset:256
	;; [unrolled: 1-line block ×3, first 2 shown]
	scratch_load_b64 v[100:101], off, off offset:288
	scratch_load_b64 v[102:103], off, off offset:232
	v_mov_b32_e32 v5, 0
	ds_load_b128 v[88:91], v5 offset:544
	ds_load_b128 v[92:95], v5 offset:560
	;; [unrolled: 1-line block ×3, first 2 shown]
	ds_load_b64 v[104:105], v5 offset:592
	s_mov_b32 s0, exec_lo
	s_wait_dscnt 0x3
	v_dual_mov_b32 v106, v91 :: v_dual_mov_b32 v107, v90
	s_wait_dscnt 0x2
	v_dual_mov_b32 v108, v95 :: v_dual_mov_b32 v109, v94
	;; [unrolled: 2-line block ×3, first 2 shown]
	s_wait_loadcnt 0x4
	v_pk_mul_f32 v[110:111], v[88:89], v[76:77] op_sel:[1,1] op_sel_hi:[0,1]
	v_mov_b32_e32 v112, v79
	s_wait_loadcnt 0x3
	v_pk_mul_f32 v[116:117], v[92:93], v[80:81] op_sel:[1,1] op_sel_hi:[0,1]
	s_wait_loadcnt 0x2
	v_pk_mul_f32 v[120:121], v[96:97], v[84:85] op_sel:[1,1] op_sel_hi:[0,1]
	v_pk_fma_f32 v[118:119], v[88:89], v[76:77], v[110:111] op_sel_hi:[1,0,1]
	v_pk_mul_f32 v[106:107], v[106:107], v[112:113] op_sel_hi:[1,0]
	v_pk_fma_f32 v[76:77], v[88:89], v[76:77], v[110:111] neg_lo:[0,0,1] neg_hi:[0,0,1]
	v_mov_b32_e32 v112, v83
	v_pk_fma_f32 v[110:111], v[92:93], v[80:81], v[116:117] op_sel_hi:[1,0,1]
	v_mov_b32_e32 v77, v119
	v_pk_fma_f32 v[88:89], v[90:91], v[78:79], v[106:107] op_sel_hi:[1,0,1]
	v_pk_fma_f32 v[78:79], v[90:91], v[78:79], v[106:107] neg_lo:[0,0,1] neg_hi:[0,0,1]
	v_pk_mul_f32 v[108:109], v[108:109], v[112:113] op_sel_hi:[1,0]
	v_pk_fma_f32 v[80:81], v[92:93], v[80:81], v[116:117] neg_lo:[0,0,1] neg_hi:[0,0,1]
	v_pk_add_f32 v[76:77], v[76:77], 0 op_sel_hi:[1,0]
	v_dual_mov_b32 v79, v89 :: v_dual_mov_b32 v88, v87
	s_delay_alu instid0(VALU_DEP_4) | instskip(SKIP_2) | instid1(VALU_DEP_4)
	v_pk_fma_f32 v[90:91], v[94:95], v[82:83], v[108:109] op_sel_hi:[1,0,1]
	v_mov_b32_e32 v81, v111
	v_pk_fma_f32 v[82:83], v[94:95], v[82:83], v[108:109] neg_lo:[0,0,1] neg_hi:[0,0,1]
	v_pk_add_f32 v[76:77], v[76:77], v[78:79]
	v_pk_fma_f32 v[78:79], v[96:97], v[84:85], v[120:121] op_sel_hi:[1,0,1]
	v_pk_mul_f32 v[88:89], v[114:115], v[88:89] op_sel_hi:[1,0]
	v_mov_b32_e32 v83, v91
	s_delay_alu instid0(VALU_DEP_4)
	v_pk_add_f32 v[76:77], v[76:77], v[80:81]
	v_pk_fma_f32 v[80:81], v[96:97], v[84:85], v[120:121] neg_lo:[0,0,1] neg_hi:[0,0,1]
	v_mov_b32_e32 v81, v79
	v_pk_fma_f32 v[78:79], v[98:99], v[86:87], v[88:89] op_sel_hi:[1,0,1]
	v_pk_fma_f32 v[84:85], v[98:99], v[86:87], v[88:89] neg_lo:[0,0,1] neg_hi:[0,0,1]
	v_pk_add_f32 v[76:77], v[76:77], v[82:83]
	s_wait_loadcnt_dscnt 0x100
	v_pk_mul_f32 v[82:83], v[104:105], v[100:101] op_sel:[1,1] op_sel_hi:[0,1]
	v_mov_b32_e32 v85, v79
	s_delay_alu instid0(VALU_DEP_3) | instskip(NEXT) | instid1(VALU_DEP_3)
	v_pk_add_f32 v[76:77], v[76:77], v[80:81]
	v_pk_fma_f32 v[78:79], v[104:105], v[100:101], v[82:83] op_sel_hi:[1,0,1]
	v_pk_fma_f32 v[80:81], v[104:105], v[100:101], v[82:83] neg_lo:[0,0,1] neg_hi:[0,0,1]
	s_delay_alu instid0(VALU_DEP_3) | instskip(NEXT) | instid1(VALU_DEP_3)
	v_pk_add_f32 v[76:77], v[76:77], v[84:85]
	v_mov_b32_e32 v81, v79
	s_delay_alu instid0(VALU_DEP_1) | instskip(SKIP_1) | instid1(VALU_DEP_1)
	v_pk_add_f32 v[76:77], v[76:77], v[80:81]
	s_wait_loadcnt 0x0
	v_pk_add_f32 v[76:77], v[102:103], v[76:77] neg_lo:[0,1] neg_hi:[0,1]
	scratch_store_b64 off, v[76:77], off offset:232
	s_wait_xcnt 0x0
	v_cmpx_lt_u32_e32 28, v0
	s_cbranch_execz .LBB36_179
; %bb.178:
	scratch_load_b64 v[76:77], off, off offset:224
	v_mov_b64_e32 v[78:79], 0
	scratch_store_b64 off, v[78:79], off offset:224
	s_wait_loadcnt 0x0
	ds_store_b64 v1, v[76:77]
.LBB36_179:
	s_wait_xcnt 0x0
	s_or_b32 exec_lo, exec_lo, s0
	s_wait_storecnt_dscnt 0x0
	s_barrier_signal -1
	s_barrier_wait -1
	s_clause 0x4
	scratch_load_b128 v[76:79], off, off offset:232
	scratch_load_b128 v[80:83], off, off offset:248
	scratch_load_b128 v[84:87], off, off offset:264
	scratch_load_b128 v[88:91], off, off offset:280
	scratch_load_b64 v[108:109], off, off offset:224
	ds_load_2addr_b64 v[92:95], v5 offset0:67 offset1:68
	ds_load_2addr_b64 v[96:99], v5 offset0:69 offset1:70
	;; [unrolled: 1-line block ×4, first 2 shown]
	s_mov_b32 s0, exec_lo
	s_wait_dscnt 0x3
	v_dual_mov_b32 v110, v95 :: v_dual_mov_b32 v111, v94
	s_wait_dscnt 0x2
	v_dual_mov_b32 v112, v99 :: v_dual_mov_b32 v113, v98
	;; [unrolled: 2-line block ×3, first 2 shown]
	v_dual_mov_b32 v115, v102 :: v_dual_mov_b32 v120, v107
	s_wait_loadcnt 0x4
	v_mov_b32_e32 v118, v79
	v_pk_mul_f32 v[116:117], v[92:93], v[76:77] op_sel:[1,1] op_sel_hi:[0,1]
	s_wait_loadcnt 0x3
	v_pk_mul_f32 v[122:123], v[96:97], v[80:81] op_sel:[1,1] op_sel_hi:[0,1]
	s_wait_loadcnt 0x2
	v_pk_mul_f32 v[126:127], v[100:101], v[84:85] op_sel:[1,1] op_sel_hi:[0,1]
	v_pk_mul_f32 v[110:111], v[110:111], v[118:119] op_sel_hi:[1,0]
	v_pk_fma_f32 v[124:125], v[92:93], v[76:77], v[116:117] op_sel_hi:[1,0,1]
	v_pk_fma_f32 v[76:77], v[92:93], v[76:77], v[116:117] neg_lo:[0,0,1] neg_hi:[0,0,1]
	v_mov_b32_e32 v118, v83
	v_pk_fma_f32 v[116:117], v[96:97], v[80:81], v[122:123] op_sel_hi:[1,0,1]
	v_pk_fma_f32 v[92:93], v[94:95], v[78:79], v[110:111] op_sel_hi:[1,0,1]
	v_mov_b32_e32 v77, v125
	v_pk_fma_f32 v[78:79], v[94:95], v[78:79], v[110:111] neg_lo:[0,0,1] neg_hi:[0,0,1]
	v_pk_mul_f32 v[112:113], v[112:113], v[118:119] op_sel_hi:[1,0]
	s_delay_alu instid0(VALU_DEP_4) | instskip(NEXT) | instid1(VALU_DEP_4)
	v_dual_mov_b32 v92, v87 :: v_dual_mov_b32 v79, v93
	v_pk_add_f32 v[76:77], v[76:77], 0 op_sel_hi:[1,0]
	v_pk_fma_f32 v[80:81], v[96:97], v[80:81], v[122:123] neg_lo:[0,0,1] neg_hi:[0,0,1]
	v_mov_b32_e32 v81, v117
	v_pk_fma_f32 v[94:95], v[98:99], v[82:83], v[112:113] op_sel_hi:[1,0,1]
	v_pk_mul_f32 v[92:93], v[114:115], v[92:93] op_sel_hi:[1,0]
	v_pk_add_f32 v[76:77], v[76:77], v[78:79]
	v_pk_fma_f32 v[78:79], v[100:101], v[84:85], v[126:127] op_sel_hi:[1,0,1]
	v_pk_fma_f32 v[82:83], v[98:99], v[82:83], v[112:113] neg_lo:[0,0,1] neg_hi:[0,0,1]
	v_mov_b32_e32 v83, v95
	v_pk_fma_f32 v[84:85], v[100:101], v[84:85], v[126:127] neg_lo:[0,0,1] neg_hi:[0,0,1]
	v_pk_add_f32 v[76:77], v[76:77], v[80:81]
	v_mov_b32_e32 v85, v79
	v_pk_fma_f32 v[78:79], v[102:103], v[86:87], v[92:93] op_sel_hi:[1,0,1]
	s_wait_loadcnt 0x1
	v_pk_mul_f32 v[80:81], v[104:105], v[88:89] op_sel:[1,1] op_sel_hi:[0,1]
	v_mov_b32_e32 v78, v91
	v_pk_add_f32 v[76:77], v[76:77], v[82:83]
	v_pk_fma_f32 v[86:87], v[102:103], v[86:87], v[92:93] neg_lo:[0,0,1] neg_hi:[0,0,1]
	v_mov_b32_e32 v87, v79
	v_pk_fma_f32 v[82:83], v[104:105], v[88:89], v[80:81] op_sel_hi:[1,0,1]
	v_pk_mul_f32 v[78:79], v[120:121], v[78:79] op_sel_hi:[1,0]
	v_pk_add_f32 v[76:77], v[76:77], v[84:85]
	v_pk_fma_f32 v[80:81], v[104:105], v[88:89], v[80:81] neg_lo:[0,0,1] neg_hi:[0,0,1]
	s_delay_alu instid0(VALU_DEP_4) | instskip(NEXT) | instid1(VALU_DEP_4)
	v_mov_b32_e32 v81, v83
	v_pk_fma_f32 v[82:83], v[106:107], v[90:91], v[78:79] op_sel_hi:[1,0,1]
	s_delay_alu instid0(VALU_DEP_4) | instskip(SKIP_1) | instid1(VALU_DEP_3)
	v_pk_add_f32 v[76:77], v[76:77], v[86:87]
	v_pk_fma_f32 v[78:79], v[106:107], v[90:91], v[78:79] neg_lo:[0,0,1] neg_hi:[0,0,1]
	v_mov_b32_e32 v79, v83
	s_delay_alu instid0(VALU_DEP_3) | instskip(NEXT) | instid1(VALU_DEP_1)
	v_pk_add_f32 v[76:77], v[76:77], v[80:81]
	v_pk_add_f32 v[76:77], v[76:77], v[78:79]
	s_wait_loadcnt 0x0
	s_delay_alu instid0(VALU_DEP_1)
	v_pk_add_f32 v[76:77], v[108:109], v[76:77] neg_lo:[0,1] neg_hi:[0,1]
	scratch_store_b64 off, v[76:77], off offset:224
	s_wait_xcnt 0x0
	v_cmpx_lt_u32_e32 27, v0
	s_cbranch_execz .LBB36_181
; %bb.180:
	scratch_load_b64 v[76:77], off, off offset:216
	v_mov_b64_e32 v[78:79], 0
	scratch_store_b64 off, v[78:79], off offset:216
	s_wait_loadcnt 0x0
	ds_store_b64 v1, v[76:77]
.LBB36_181:
	s_wait_xcnt 0x0
	s_or_b32 exec_lo, exec_lo, s0
	s_wait_storecnt_dscnt 0x0
	s_barrier_signal -1
	s_barrier_wait -1
	s_clause 0x5
	scratch_load_b128 v[76:79], off, off offset:224
	scratch_load_b128 v[80:83], off, off offset:240
	scratch_load_b128 v[84:87], off, off offset:256
	scratch_load_b128 v[88:91], off, off offset:272
	scratch_load_b64 v[108:109], off, off offset:288
	scratch_load_b64 v[110:111], off, off offset:216
	v_mov_b32_e32 v5, 0
	ds_load_b128 v[92:95], v5 offset:528
	ds_load_b128 v[96:99], v5 offset:544
	;; [unrolled: 1-line block ×4, first 2 shown]
	ds_load_b64 v[112:113], v5 offset:592
	s_mov_b32 s0, exec_lo
	s_wait_dscnt 0x4
	v_dual_mov_b32 v114, v95 :: v_dual_mov_b32 v115, v94
	s_wait_dscnt 0x1
	v_dual_mov_b32 v116, v99 :: v_dual_mov_b32 v121, v106
	v_dual_mov_b32 v117, v98 :: v_dual_mov_b32 v118, v103
	;; [unrolled: 1-line block ×3, first 2 shown]
	s_wait_loadcnt 0x5
	v_dual_mov_b32 v122, v79 :: v_dual_mul_f32 v123, v92, v77
	v_mul_f32_e32 v7, v93, v77
	s_wait_loadcnt 0x4
	v_pk_mul_f32 v[124:125], v[96:97], v[80:81] op_sel:[1,1] op_sel_hi:[0,1]
	v_mov_b32_e32 v126, v83
	s_wait_loadcnt 0x3
	v_pk_mul_f32 v[128:129], v[100:101], v[84:85] op_sel:[1,1] op_sel_hi:[0,1]
	v_pk_mul_f32 v[114:115], v[114:115], v[122:123] op_sel_hi:[1,0]
	v_fmac_f32_e32 v123, v93, v76
	v_dual_fma_f32 v122, v92, v76, -v7 :: v_dual_mov_b32 v76, v87
	v_pk_fma_f32 v[130:131], v[96:97], v[80:81], v[124:125] op_sel_hi:[1,0,1]
	s_delay_alu instid0(VALU_DEP_4)
	v_pk_fma_f32 v[92:93], v[94:95], v[78:79], v[114:115] op_sel_hi:[1,0,1]
	v_pk_fma_f32 v[78:79], v[94:95], v[78:79], v[114:115] neg_lo:[0,0,1] neg_hi:[0,0,1]
	v_pk_mul_f32 v[116:117], v[116:117], v[126:127] op_sel_hi:[1,0]
	v_pk_add_f32 v[122:123], v[122:123], 0 op_sel_hi:[1,0]
	v_pk_fma_f32 v[80:81], v[96:97], v[80:81], v[124:125] neg_lo:[0,0,1] neg_hi:[0,0,1]
	v_dual_mov_b32 v79, v93 :: v_dual_mov_b32 v81, v131
	s_delay_alu instid0(VALU_DEP_4) | instskip(SKIP_2) | instid1(VALU_DEP_4)
	v_pk_fma_f32 v[94:95], v[98:99], v[82:83], v[116:117] op_sel_hi:[1,0,1]
	v_pk_fma_f32 v[82:83], v[98:99], v[82:83], v[116:117] neg_lo:[0,0,1] neg_hi:[0,0,1]
	v_pk_fma_f32 v[96:97], v[100:101], v[84:85], v[128:129] op_sel_hi:[1,0,1]
	v_pk_add_f32 v[78:79], v[122:123], v[78:79]
	v_pk_mul_f32 v[76:77], v[118:119], v[76:77] op_sel_hi:[1,0]
	v_mov_b32_e32 v83, v95
	v_pk_fma_f32 v[84:85], v[100:101], v[84:85], v[128:129] neg_lo:[0,0,1] neg_hi:[0,0,1]
	s_wait_loadcnt 0x2
	v_pk_mul_f32 v[92:93], v[104:105], v[88:89] op_sel:[1,1] op_sel_hi:[0,1]
	v_pk_add_f32 v[78:79], v[78:79], v[80:81]
	v_mov_b32_e32 v80, v91
	v_pk_fma_f32 v[94:95], v[102:103], v[86:87], v[76:77] op_sel_hi:[1,0,1]
	v_mov_b32_e32 v85, v97
	v_pk_fma_f32 v[76:77], v[102:103], v[86:87], v[76:77] neg_lo:[0,0,1] neg_hi:[0,0,1]
	v_pk_add_f32 v[78:79], v[78:79], v[82:83]
	v_pk_fma_f32 v[82:83], v[104:105], v[88:89], v[92:93] op_sel_hi:[1,0,1]
	v_pk_mul_f32 v[80:81], v[120:121], v[80:81] op_sel_hi:[1,0]
	v_mov_b32_e32 v77, v95
	s_delay_alu instid0(VALU_DEP_4)
	v_pk_add_f32 v[78:79], v[78:79], v[84:85]
	v_pk_fma_f32 v[84:85], v[104:105], v[88:89], v[92:93] neg_lo:[0,0,1] neg_hi:[0,0,1]
	v_mov_b32_e32 v85, v83
	v_pk_fma_f32 v[82:83], v[106:107], v[90:91], v[80:81] op_sel_hi:[1,0,1]
	v_pk_fma_f32 v[80:81], v[106:107], v[90:91], v[80:81] neg_lo:[0,0,1] neg_hi:[0,0,1]
	v_pk_add_f32 v[76:77], v[78:79], v[76:77]
	s_wait_loadcnt_dscnt 0x100
	v_pk_mul_f32 v[78:79], v[112:113], v[108:109] op_sel:[1,1] op_sel_hi:[0,1]
	v_mov_b32_e32 v81, v83
	s_delay_alu instid0(VALU_DEP_3) | instskip(NEXT) | instid1(VALU_DEP_3)
	v_pk_add_f32 v[76:77], v[76:77], v[84:85]
	v_pk_fma_f32 v[82:83], v[112:113], v[108:109], v[78:79] op_sel_hi:[1,0,1]
	v_pk_fma_f32 v[78:79], v[112:113], v[108:109], v[78:79] neg_lo:[0,0,1] neg_hi:[0,0,1]
	s_delay_alu instid0(VALU_DEP_3) | instskip(NEXT) | instid1(VALU_DEP_3)
	v_pk_add_f32 v[76:77], v[76:77], v[80:81]
	v_mov_b32_e32 v79, v83
	s_delay_alu instid0(VALU_DEP_1) | instskip(SKIP_1) | instid1(VALU_DEP_1)
	v_pk_add_f32 v[76:77], v[76:77], v[78:79]
	s_wait_loadcnt 0x0
	v_pk_add_f32 v[76:77], v[110:111], v[76:77] neg_lo:[0,1] neg_hi:[0,1]
	scratch_store_b64 off, v[76:77], off offset:216
	s_wait_xcnt 0x0
	v_cmpx_lt_u32_e32 26, v0
	s_cbranch_execz .LBB36_183
; %bb.182:
	scratch_load_b64 v[76:77], off, off offset:208
	v_mov_b64_e32 v[78:79], 0
	scratch_store_b64 off, v[78:79], off offset:208
	s_wait_loadcnt 0x0
	ds_store_b64 v1, v[76:77]
.LBB36_183:
	s_wait_xcnt 0x0
	s_or_b32 exec_lo, exec_lo, s0
	s_wait_storecnt_dscnt 0x0
	s_barrier_signal -1
	s_barrier_wait -1
	s_clause 0x5
	scratch_load_b128 v[76:79], off, off offset:216
	scratch_load_b128 v[80:83], off, off offset:232
	scratch_load_b128 v[84:87], off, off offset:248
	scratch_load_b128 v[88:91], off, off offset:264
	scratch_load_b128 v[92:95], off, off offset:280
	scratch_load_b64 v[116:117], off, off offset:208
	ds_load_2addr_b64 v[96:99], v5 offset0:67 offset1:68
	ds_load_2addr_b64 v[100:103], v5 offset0:69 offset1:70
	;; [unrolled: 1-line block ×5, first 2 shown]
	s_mov_b32 s0, exec_lo
	s_wait_dscnt 0x4
	v_dual_mov_b32 v118, v99 :: v_dual_mov_b32 v119, v98
	s_wait_dscnt 0x3
	v_dual_mov_b32 v120, v103 :: v_dual_mov_b32 v121, v102
	;; [unrolled: 2-line block ×4, first 2 shown]
	s_wait_loadcnt_dscnt 0x500
	v_dual_mul_f32 v127, v112, v77 :: v_dual_mul_f32 v129, v114, v79
	v_dual_mul_f32 v5, v113, v77 :: v_dual_mul_f32 v7, v115, v79
	s_wait_loadcnt 0x4
	v_pk_mul_f32 v[130:131], v[96:97], v[80:81] op_sel:[1,1] op_sel_hi:[0,1]
	s_wait_loadcnt 0x3
	v_dual_mov_b32 v132, v83 :: v_dual_mov_b32 v136, v87
	v_dual_fmac_f32 v127, v113, v76 :: v_dual_fma_f32 v126, v112, v76, -v5
	v_dual_fmac_f32 v129, v115, v78 :: v_dual_fma_f32 v128, v114, v78, -v7
	v_pk_fma_f32 v[76:77], v[96:97], v[80:81], v[130:131] op_sel_hi:[1,0,1]
	s_delay_alu instid0(VALU_DEP_4) | instskip(NEXT) | instid1(VALU_DEP_4)
	v_pk_mul_f32 v[78:79], v[118:119], v[132:133] op_sel_hi:[1,0]
	v_pk_add_f32 v[112:113], v[126:127], 0 op_sel_hi:[1,0]
	v_pk_fma_f32 v[80:81], v[96:97], v[80:81], v[130:131] neg_lo:[0,0,1] neg_hi:[0,0,1]
	v_pk_mul_f32 v[134:135], v[100:101], v[84:85] op_sel:[1,1] op_sel_hi:[0,1]
	v_mov_b32_e32 v81, v77
	v_pk_fma_f32 v[76:77], v[98:99], v[82:83], v[78:79] op_sel_hi:[1,0,1]
	v_pk_add_f32 v[96:97], v[112:113], v[128:129]
	v_pk_fma_f32 v[78:79], v[98:99], v[82:83], v[78:79] neg_lo:[0,0,1] neg_hi:[0,0,1]
	v_pk_fma_f32 v[112:113], v[100:101], v[84:85], v[134:135] op_sel_hi:[1,0,1]
	v_pk_mul_f32 v[118:119], v[120:121], v[136:137] op_sel_hi:[1,0]
	v_mov_b32_e32 v79, v77
	v_pk_add_f32 v[76:77], v[96:97], v[80:81]
	s_wait_loadcnt 0x2
	v_pk_mul_f32 v[114:115], v[104:105], v[88:89] op_sel:[1,1] op_sel_hi:[0,1]
	v_mov_b32_e32 v80, v91
	v_pk_fma_f32 v[82:83], v[100:101], v[84:85], v[134:135] neg_lo:[0,0,1] neg_hi:[0,0,1]
	v_mov_b32_e32 v83, v113
	v_pk_fma_f32 v[84:85], v[102:103], v[86:87], v[118:119] op_sel_hi:[1,0,1]
	v_pk_add_f32 v[76:77], v[76:77], v[78:79]
	v_pk_fma_f32 v[78:79], v[104:105], v[88:89], v[114:115] op_sel_hi:[1,0,1]
	v_pk_mul_f32 v[80:81], v[122:123], v[80:81] op_sel_hi:[1,0]
	v_pk_fma_f32 v[86:87], v[102:103], v[86:87], v[118:119] neg_lo:[0,0,1] neg_hi:[0,0,1]
	v_mov_b32_e32 v87, v85
	v_pk_add_f32 v[76:77], v[76:77], v[82:83]
	v_pk_fma_f32 v[84:85], v[104:105], v[88:89], v[114:115] neg_lo:[0,0,1] neg_hi:[0,0,1]
	v_mov_b32_e32 v85, v79
	v_pk_fma_f32 v[78:79], v[106:107], v[90:91], v[80:81] op_sel_hi:[1,0,1]
	s_wait_loadcnt 0x1
	v_pk_mul_f32 v[82:83], v[108:109], v[92:93] op_sel:[1,1] op_sel_hi:[0,1]
	v_pk_add_f32 v[76:77], v[76:77], v[86:87]
	v_mov_b32_e32 v78, v95
	v_pk_fma_f32 v[80:81], v[106:107], v[90:91], v[80:81] neg_lo:[0,0,1] neg_hi:[0,0,1]
	v_mov_b32_e32 v81, v79
	v_pk_fma_f32 v[86:87], v[108:109], v[92:93], v[82:83] op_sel_hi:[1,0,1]
	v_pk_add_f32 v[76:77], v[76:77], v[84:85]
	v_pk_mul_f32 v[78:79], v[124:125], v[78:79] op_sel_hi:[1,0]
	v_pk_fma_f32 v[82:83], v[108:109], v[92:93], v[82:83] neg_lo:[0,0,1] neg_hi:[0,0,1]
	s_delay_alu instid0(VALU_DEP_3) | instskip(NEXT) | instid1(VALU_DEP_3)
	v_pk_add_f32 v[76:77], v[76:77], v[80:81]
	v_pk_fma_f32 v[80:81], v[110:111], v[94:95], v[78:79] op_sel_hi:[1,0,1]
	v_mov_b32_e32 v83, v87
	v_pk_fma_f32 v[78:79], v[110:111], v[94:95], v[78:79] neg_lo:[0,0,1] neg_hi:[0,0,1]
	s_delay_alu instid0(VALU_DEP_3) | instskip(NEXT) | instid1(VALU_DEP_3)
	v_mov_b32_e32 v79, v81
	v_pk_add_f32 v[76:77], v[76:77], v[82:83]
	s_delay_alu instid0(VALU_DEP_1) | instskip(SKIP_1) | instid1(VALU_DEP_1)
	v_pk_add_f32 v[76:77], v[76:77], v[78:79]
	s_wait_loadcnt 0x0
	v_pk_add_f32 v[76:77], v[116:117], v[76:77] neg_lo:[0,1] neg_hi:[0,1]
	scratch_store_b64 off, v[76:77], off offset:208
	s_wait_xcnt 0x0
	v_cmpx_lt_u32_e32 25, v0
	s_cbranch_execz .LBB36_185
; %bb.184:
	scratch_load_b64 v[76:77], off, off offset:200
	v_mov_b64_e32 v[78:79], 0
	scratch_store_b64 off, v[78:79], off offset:200
	s_wait_loadcnt 0x0
	ds_store_b64 v1, v[76:77]
.LBB36_185:
	s_wait_xcnt 0x0
	s_or_b32 exec_lo, exec_lo, s0
	s_wait_storecnt_dscnt 0x0
	s_barrier_signal -1
	s_barrier_wait -1
	s_clause 0x6
	scratch_load_b128 v[76:79], off, off offset:208
	scratch_load_b128 v[80:83], off, off offset:224
	;; [unrolled: 1-line block ×5, first 2 shown]
	scratch_load_b64 v[116:117], off, off offset:288
	scratch_load_b64 v[118:119], off, off offset:200
	v_mov_b32_e32 v5, 0
	ds_load_b128 v[96:99], v5 offset:528
	ds_load_b128 v[100:103], v5 offset:544
	ds_load_b128 v[104:107], v5 offset:560
	ds_load_b128 v[108:111], v5 offset:576
	ds_load_b128 v[112:115], v5 offset:512
	ds_load_b64 v[120:121], v5 offset:592
	s_mov_b32 s0, exec_lo
	s_wait_dscnt 0x5
	v_dual_mov_b32 v122, v99 :: v_dual_mov_b32 v123, v98
	s_wait_dscnt 0x2
	v_dual_mov_b32 v124, v103 :: v_dual_mov_b32 v129, v110
	v_dual_mov_b32 v125, v102 :: v_dual_mov_b32 v126, v107
	;; [unrolled: 1-line block ×3, first 2 shown]
	s_wait_loadcnt_dscnt 0x601
	v_dual_mul_f32 v7, v112, v77 :: v_dual_mul_f32 v11, v113, v77
	v_dual_mul_f32 v13, v115, v79 :: v_dual_mul_f32 v131, v114, v79
	s_wait_loadcnt 0x5
	v_dual_mul_f32 v133, v96, v81 :: v_dual_mul_f32 v15, v97, v81
	s_wait_loadcnt 0x4
	v_dual_mov_b32 v132, v83 :: v_dual_mov_b32 v136, v87
	v_fmac_f32_e32 v7, v113, v76
	v_dual_fma_f32 v11, v112, v76, -v11 :: v_dual_fma_f32 v130, v114, v78, -v13
	v_fmac_f32_e32 v131, v115, v78
	s_delay_alu instid0(VALU_DEP_4) | instskip(NEXT) | instid1(VALU_DEP_4)
	v_pk_mul_f32 v[76:77], v[122:123], v[132:133] op_sel_hi:[1,0]
	v_add_f32_e32 v79, 0, v7
	s_wait_loadcnt 0x3
	v_dual_add_f32 v78, 0, v11 :: v_dual_mov_b32 v112, v91
	v_pk_mul_f32 v[134:135], v[100:101], v[84:85] op_sel:[1,1] op_sel_hi:[0,1]
	v_dual_fmac_f32 v133, v97, v80 :: v_dual_fma_f32 v132, v96, v80, -v15
	v_pk_fma_f32 v[80:81], v[98:99], v[82:83], v[76:77] op_sel_hi:[1,0,1]
	s_delay_alu instid0(VALU_DEP_4)
	v_pk_add_f32 v[78:79], v[78:79], v[130:131]
	v_pk_fma_f32 v[76:77], v[98:99], v[82:83], v[76:77] neg_lo:[0,0,1] neg_hi:[0,0,1]
	v_pk_fma_f32 v[96:97], v[100:101], v[84:85], v[134:135] op_sel_hi:[1,0,1]
	v_pk_mul_f32 v[114:115], v[124:125], v[136:137] op_sel_hi:[1,0]
	v_mov_b32_e32 v77, v81
	v_pk_add_f32 v[78:79], v[78:79], v[132:133]
	v_pk_fma_f32 v[82:83], v[100:101], v[84:85], v[134:135] neg_lo:[0,0,1] neg_hi:[0,0,1]
	v_pk_mul_f32 v[138:139], v[104:105], v[88:89] op_sel:[1,1] op_sel_hi:[0,1]
	v_mov_b32_e32 v83, v97
	v_pk_fma_f32 v[84:85], v[102:103], v[86:87], v[114:115] op_sel_hi:[1,0,1]
	v_pk_add_f32 v[76:77], v[78:79], v[76:77]
	v_pk_fma_f32 v[86:87], v[102:103], v[86:87], v[114:115] neg_lo:[0,0,1] neg_hi:[0,0,1]
	v_pk_fma_f32 v[78:79], v[104:105], v[88:89], v[138:139] op_sel_hi:[1,0,1]
	v_pk_mul_f32 v[96:97], v[126:127], v[112:113] op_sel_hi:[1,0]
	s_wait_loadcnt 0x2
	v_dual_mov_b32 v87, v85 :: v_dual_mov_b32 v78, v95
	v_pk_add_f32 v[76:77], v[76:77], v[82:83]
	v_pk_fma_f32 v[82:83], v[104:105], v[88:89], v[138:139] neg_lo:[0,0,1] neg_hi:[0,0,1]
	v_pk_mul_f32 v[80:81], v[108:109], v[92:93] op_sel:[1,1] op_sel_hi:[0,1]
	v_pk_fma_f32 v[84:85], v[106:107], v[90:91], v[96:97] op_sel_hi:[1,0,1]
	v_mov_b32_e32 v83, v79
	v_pk_add_f32 v[76:77], v[76:77], v[86:87]
	v_pk_fma_f32 v[88:89], v[106:107], v[90:91], v[96:97] neg_lo:[0,0,1] neg_hi:[0,0,1]
	v_pk_fma_f32 v[86:87], v[108:109], v[92:93], v[80:81] op_sel_hi:[1,0,1]
	v_pk_mul_f32 v[78:79], v[128:129], v[78:79] op_sel_hi:[1,0]
	v_mov_b32_e32 v89, v85
	v_pk_add_f32 v[76:77], v[76:77], v[82:83]
	v_pk_fma_f32 v[80:81], v[108:109], v[92:93], v[80:81] neg_lo:[0,0,1] neg_hi:[0,0,1]
	s_wait_loadcnt_dscnt 0x100
	v_pk_mul_f32 v[84:85], v[120:121], v[116:117] op_sel:[1,1] op_sel_hi:[0,1]
	v_pk_fma_f32 v[82:83], v[110:111], v[94:95], v[78:79] op_sel_hi:[1,0,1]
	v_mov_b32_e32 v81, v87
	v_pk_add_f32 v[76:77], v[76:77], v[88:89]
	v_pk_fma_f32 v[78:79], v[110:111], v[94:95], v[78:79] neg_lo:[0,0,1] neg_hi:[0,0,1]
	s_delay_alu instid0(VALU_DEP_4) | instskip(SKIP_1) | instid1(VALU_DEP_4)
	v_mov_b32_e32 v79, v83
	v_pk_fma_f32 v[82:83], v[120:121], v[116:117], v[84:85] neg_lo:[0,0,1] neg_hi:[0,0,1]
	v_pk_add_f32 v[76:77], v[76:77], v[80:81]
	v_pk_fma_f32 v[80:81], v[120:121], v[116:117], v[84:85] op_sel_hi:[1,0,1]
	s_delay_alu instid0(VALU_DEP_2) | instskip(NEXT) | instid1(VALU_DEP_2)
	v_pk_add_f32 v[76:77], v[76:77], v[78:79]
	v_mov_b32_e32 v83, v81
	s_delay_alu instid0(VALU_DEP_1) | instskip(SKIP_1) | instid1(VALU_DEP_1)
	v_pk_add_f32 v[76:77], v[76:77], v[82:83]
	s_wait_loadcnt 0x0
	v_pk_add_f32 v[76:77], v[118:119], v[76:77] neg_lo:[0,1] neg_hi:[0,1]
	scratch_store_b64 off, v[76:77], off offset:200
	s_wait_xcnt 0x0
	v_cmpx_lt_u32_e32 24, v0
	s_cbranch_execz .LBB36_187
; %bb.186:
	scratch_load_b64 v[76:77], off, off offset:192
	v_mov_b64_e32 v[78:79], 0
	scratch_store_b64 off, v[78:79], off offset:192
	s_wait_loadcnt 0x0
	ds_store_b64 v1, v[76:77]
.LBB36_187:
	s_wait_xcnt 0x0
	s_or_b32 exec_lo, exec_lo, s0
	s_wait_storecnt_dscnt 0x0
	s_barrier_signal -1
	s_barrier_wait -1
	s_clause 0x6
	scratch_load_b128 v[76:79], off, off offset:200
	scratch_load_b128 v[80:83], off, off offset:216
	scratch_load_b128 v[84:87], off, off offset:232
	scratch_load_b128 v[88:91], off, off offset:248
	scratch_load_b128 v[92:95], off, off offset:264
	scratch_load_b128 v[96:99], off, off offset:280
	scratch_load_b64 v[124:125], off, off offset:192
	ds_load_2addr_b64 v[100:103], v5 offset0:67 offset1:68
	ds_load_2addr_b64 v[104:107], v5 offset0:69 offset1:70
	;; [unrolled: 1-line block ×6, first 2 shown]
	s_mov_b32 s0, exec_lo
	s_wait_dscnt 0x5
	v_dual_mov_b32 v126, v103 :: v_dual_mov_b32 v127, v102
	s_wait_dscnt 0x4
	v_dual_mov_b32 v128, v107 :: v_dual_mov_b32 v129, v106
	;; [unrolled: 2-line block ×4, first 2 shown]
	s_wait_loadcnt_dscnt 0x601
	v_dual_mul_f32 v5, v116, v77 :: v_dual_mul_f32 v7, v118, v79
	v_dual_mul_f32 v11, v117, v77 :: v_dual_mul_f32 v13, v119, v79
	s_wait_loadcnt 0x4
	s_delay_alu instid0(VALU_DEP_2)
	v_dual_mov_b32 v140, v87 :: v_dual_fmac_f32 v5, v117, v76
	s_wait_dscnt 0x0
	v_dual_mul_f32 v135, v120, v81 :: v_dual_mul_f32 v137, v122, v83
	v_dual_fma_f32 v11, v116, v76, -v11 :: v_dual_fma_f32 v13, v118, v78, -v13
	v_dual_mul_f32 v15, v121, v81 :: v_dual_mul_f32 v17, v123, v83
	v_dual_fmac_f32 v7, v119, v78 :: v_dual_add_f32 v5, 0, v5
	s_wait_loadcnt 0x3
	s_delay_alu instid0(VALU_DEP_3)
	v_dual_add_f32 v11, 0, v11 :: v_dual_mov_b32 v78, v91
	v_pk_mul_f32 v[138:139], v[100:101], v[84:85] op_sel:[1,1] op_sel_hi:[0,1]
	v_pk_mul_f32 v[76:77], v[104:105], v[88:89] op_sel:[1,1] op_sel_hi:[0,1]
	v_fmac_f32_e32 v135, v121, v80
	v_dual_fma_f32 v134, v120, v80, -v15 :: v_dual_add_f32 v81, v5, v7
	v_add_f32_e32 v80, v11, v13
	v_fmac_f32_e32 v137, v123, v82
	v_fma_f32 v136, v122, v82, -v17
	v_pk_fma_f32 v[82:83], v[100:101], v[84:85], v[138:139] op_sel_hi:[1,0,1]
	v_pk_mul_f32 v[116:117], v[126:127], v[140:141] op_sel_hi:[1,0]
	v_pk_add_f32 v[80:81], v[80:81], v[134:135]
	v_pk_fma_f32 v[84:85], v[100:101], v[84:85], v[138:139] neg_lo:[0,0,1] neg_hi:[0,0,1]
	v_pk_fma_f32 v[100:101], v[104:105], v[88:89], v[76:77] op_sel_hi:[1,0,1]
	v_pk_fma_f32 v[76:77], v[104:105], v[88:89], v[76:77] neg_lo:[0,0,1] neg_hi:[0,0,1]
	v_mov_b32_e32 v85, v83
	v_pk_fma_f32 v[82:83], v[102:103], v[86:87], v[116:117] op_sel_hi:[1,0,1]
	v_pk_fma_f32 v[86:87], v[102:103], v[86:87], v[116:117] neg_lo:[0,0,1] neg_hi:[0,0,1]
	v_mov_b32_e32 v77, v101
	v_pk_add_f32 v[80:81], v[80:81], v[136:137]
	v_pk_mul_f32 v[78:79], v[128:129], v[78:79] op_sel_hi:[1,0]
	s_wait_loadcnt 0x2
	v_dual_mov_b32 v87, v83 :: v_dual_mov_b32 v82, v95
	v_pk_mul_f32 v[118:119], v[108:109], v[92:93] op_sel:[1,1] op_sel_hi:[0,1]
	v_pk_add_f32 v[80:81], v[80:81], v[84:85]
	v_pk_fma_f32 v[84:85], v[106:107], v[90:91], v[78:79] op_sel_hi:[1,0,1]
	v_pk_fma_f32 v[78:79], v[106:107], v[90:91], v[78:79] neg_lo:[0,0,1] neg_hi:[0,0,1]
	v_pk_mul_f32 v[82:83], v[130:131], v[82:83] op_sel_hi:[1,0]
	s_delay_alu instid0(VALU_DEP_4) | instskip(SKIP_3) | instid1(VALU_DEP_4)
	v_pk_add_f32 v[80:81], v[80:81], v[86:87]
	v_pk_fma_f32 v[86:87], v[108:109], v[92:93], v[118:119] op_sel_hi:[1,0,1]
	v_mov_b32_e32 v79, v85
	v_pk_fma_f32 v[84:85], v[108:109], v[92:93], v[118:119] neg_lo:[0,0,1] neg_hi:[0,0,1]
	v_pk_add_f32 v[76:77], v[80:81], v[76:77]
	s_wait_loadcnt 0x1
	v_pk_mul_f32 v[80:81], v[112:113], v[96:97] op_sel:[1,1] op_sel_hi:[0,1]
	v_mov_b32_e32 v85, v87
	v_pk_fma_f32 v[86:87], v[110:111], v[94:95], v[82:83] op_sel_hi:[1,0,1]
	v_pk_fma_f32 v[82:83], v[110:111], v[94:95], v[82:83] neg_lo:[0,0,1] neg_hi:[0,0,1]
	v_pk_add_f32 v[76:77], v[76:77], v[78:79]
	v_mov_b32_e32 v78, v99
	v_pk_fma_f32 v[88:89], v[112:113], v[96:97], v[80:81] op_sel_hi:[1,0,1]
	v_mov_b32_e32 v83, v87
	v_pk_fma_f32 v[80:81], v[112:113], v[96:97], v[80:81] neg_lo:[0,0,1] neg_hi:[0,0,1]
	v_pk_add_f32 v[76:77], v[76:77], v[84:85]
	v_pk_mul_f32 v[78:79], v[132:133], v[78:79] op_sel_hi:[1,0]
	s_delay_alu instid0(VALU_DEP_2) | instskip(NEXT) | instid1(VALU_DEP_2)
	v_pk_add_f32 v[76:77], v[76:77], v[82:83]
	v_pk_fma_f32 v[82:83], v[114:115], v[98:99], v[78:79] op_sel_hi:[1,0,1]
	v_mov_b32_e32 v81, v89
	v_pk_fma_f32 v[78:79], v[114:115], v[98:99], v[78:79] neg_lo:[0,0,1] neg_hi:[0,0,1]
	s_delay_alu instid0(VALU_DEP_3) | instskip(NEXT) | instid1(VALU_DEP_3)
	v_mov_b32_e32 v79, v83
	v_pk_add_f32 v[76:77], v[76:77], v[80:81]
	s_delay_alu instid0(VALU_DEP_1) | instskip(SKIP_1) | instid1(VALU_DEP_1)
	v_pk_add_f32 v[76:77], v[76:77], v[78:79]
	s_wait_loadcnt 0x0
	v_pk_add_f32 v[76:77], v[124:125], v[76:77] neg_lo:[0,1] neg_hi:[0,1]
	scratch_store_b64 off, v[76:77], off offset:192
	s_wait_xcnt 0x0
	v_cmpx_lt_u32_e32 23, v0
	s_cbranch_execz .LBB36_189
; %bb.188:
	scratch_load_b64 v[76:77], off, off offset:184
	v_mov_b64_e32 v[78:79], 0
	scratch_store_b64 off, v[78:79], off offset:184
	s_wait_loadcnt 0x0
	ds_store_b64 v1, v[76:77]
.LBB36_189:
	s_wait_xcnt 0x0
	s_or_b32 exec_lo, exec_lo, s0
	s_wait_storecnt_dscnt 0x0
	s_barrier_signal -1
	s_barrier_wait -1
	s_clause 0x7
	scratch_load_b128 v[76:79], off, off offset:192
	scratch_load_b128 v[80:83], off, off offset:208
	;; [unrolled: 1-line block ×6, first 2 shown]
	scratch_load_b64 v[124:125], off, off offset:288
	scratch_load_b64 v[126:127], off, off offset:184
	v_mov_b32_e32 v5, 0
	ds_load_b128 v[100:103], v5 offset:528
	ds_load_b128 v[104:107], v5 offset:544
	;; [unrolled: 1-line block ×6, first 2 shown]
	ds_load_b64 v[128:129], v5 offset:592
	s_mov_b32 s0, exec_lo
	s_wait_dscnt 0x6
	v_dual_mov_b32 v130, v103 :: v_dual_mov_b32 v131, v102
	s_wait_dscnt 0x3
	v_dual_mov_b32 v132, v107 :: v_dual_mov_b32 v137, v114
	v_dual_mov_b32 v133, v106 :: v_dual_mov_b32 v134, v111
	v_dual_mov_b32 v135, v110 :: v_dual_mov_b32 v136, v115
	s_wait_loadcnt_dscnt 0x702
	v_dual_mul_f32 v7, v116, v77 :: v_dual_mul_f32 v15, v117, v77
	v_dual_mul_f32 v17, v119, v79 :: v_dual_mul_f32 v11, v118, v79
	s_wait_loadcnt_dscnt 0x601
	s_delay_alu instid0(VALU_DEP_2) | instskip(NEXT) | instid1(VALU_DEP_2)
	v_dual_mul_f32 v13, v120, v81 :: v_dual_fmac_f32 v7, v117, v76
	v_dual_fma_f32 v15, v116, v76, -v15 :: v_dual_fma_f32 v17, v118, v78, -v17
	s_wait_loadcnt 0x5
	v_dual_mul_f32 v139, v122, v83 :: v_dual_mul_f32 v141, v100, v85
	v_dual_mul_f32 v19, v121, v81 :: v_dual_mul_f32 v21, v123, v83
	v_dual_mul_f32 v23, v101, v85 :: v_dual_mov_b32 v140, v87
	s_wait_loadcnt 0x4
	v_mov_b32_e32 v76, v91
	v_dual_fmac_f32 v11, v119, v78 :: v_dual_add_f32 v7, 0, v7
	v_dual_add_f32 v15, 0, v15 :: v_dual_fmac_f32 v13, v121, v80
	v_fma_f32 v19, v120, v80, -v19
	v_pk_mul_f32 v[80:81], v[130:131], v[140:141] op_sel_hi:[1,0]
	s_delay_alu instid0(VALU_DEP_4) | instskip(NEXT) | instid1(VALU_DEP_4)
	v_add_f32_e32 v7, v7, v11
	v_dual_add_f32 v11, v15, v17 :: v_dual_fma_f32 v138, v122, v82, -v21
	v_dual_fmac_f32 v139, v123, v82 :: v_dual_fmac_f32 v141, v101, v84
	s_delay_alu instid0(VALU_DEP_3) | instskip(SKIP_1) | instid1(VALU_DEP_4)
	v_dual_add_f32 v83, v7, v13 :: v_dual_fma_f32 v140, v100, v84, -v23
	v_pk_fma_f32 v[84:85], v[102:103], v[86:87], v[80:81] op_sel_hi:[1,0,1]
	v_add_f32_e32 v82, v11, v19
	v_pk_fma_f32 v[80:81], v[102:103], v[86:87], v[80:81] neg_lo:[0,0,1] neg_hi:[0,0,1]
	v_pk_mul_f32 v[142:143], v[104:105], v[88:89] op_sel:[1,1] op_sel_hi:[0,1]
	v_pk_mul_f32 v[76:77], v[132:133], v[76:77] op_sel_hi:[1,0]
	v_mov_b32_e32 v81, v85
	v_pk_add_f32 v[82:83], v[82:83], v[138:139]
	s_wait_loadcnt 0x3
	v_pk_mul_f32 v[78:79], v[108:109], v[92:93] op_sel:[1,1] op_sel_hi:[0,1]
	v_pk_fma_f32 v[100:101], v[104:105], v[88:89], v[142:143] op_sel_hi:[1,0,1]
	v_pk_fma_f32 v[86:87], v[104:105], v[88:89], v[142:143] neg_lo:[0,0,1] neg_hi:[0,0,1]
	v_mov_b32_e32 v116, v95
	v_pk_add_f32 v[82:83], v[82:83], v[140:141]
	v_pk_fma_f32 v[88:89], v[106:107], v[90:91], v[76:77] op_sel_hi:[1,0,1]
	v_mov_b32_e32 v87, v101
	v_pk_fma_f32 v[76:77], v[106:107], v[90:91], v[76:77] neg_lo:[0,0,1] neg_hi:[0,0,1]
	v_pk_mul_f32 v[100:101], v[134:135], v[116:117] op_sel_hi:[1,0]
	v_pk_add_f32 v[80:81], v[82:83], v[80:81]
	v_pk_fma_f32 v[82:83], v[108:109], v[92:93], v[78:79] op_sel_hi:[1,0,1]
	s_wait_loadcnt 0x2
	v_dual_mov_b32 v77, v89 :: v_dual_mov_b32 v82, v99
	v_pk_fma_f32 v[78:79], v[108:109], v[92:93], v[78:79] neg_lo:[0,0,1] neg_hi:[0,0,1]
	v_pk_add_f32 v[80:81], v[80:81], v[86:87]
	v_pk_mul_f32 v[84:85], v[112:113], v[96:97] op_sel:[1,1] op_sel_hi:[0,1]
	v_pk_fma_f32 v[86:87], v[110:111], v[94:95], v[100:101] op_sel_hi:[1,0,1]
	v_mov_b32_e32 v79, v83
	v_pk_fma_f32 v[88:89], v[110:111], v[94:95], v[100:101] neg_lo:[0,0,1] neg_hi:[0,0,1]
	v_pk_add_f32 v[76:77], v[80:81], v[76:77]
	v_pk_fma_f32 v[80:81], v[112:113], v[96:97], v[84:85] op_sel_hi:[1,0,1]
	v_pk_mul_f32 v[82:83], v[136:137], v[82:83] op_sel_hi:[1,0]
	v_mov_b32_e32 v89, v87
	s_delay_alu instid0(VALU_DEP_4)
	v_pk_add_f32 v[76:77], v[76:77], v[78:79]
	v_pk_fma_f32 v[78:79], v[112:113], v[96:97], v[84:85] neg_lo:[0,0,1] neg_hi:[0,0,1]
	v_mov_b32_e32 v79, v81
	v_pk_fma_f32 v[80:81], v[114:115], v[98:99], v[82:83] op_sel_hi:[1,0,1]
	s_wait_loadcnt_dscnt 0x100
	v_pk_mul_f32 v[84:85], v[128:129], v[124:125] op_sel:[1,1] op_sel_hi:[0,1]
	v_pk_add_f32 v[76:77], v[76:77], v[88:89]
	v_pk_fma_f32 v[82:83], v[114:115], v[98:99], v[82:83] neg_lo:[0,0,1] neg_hi:[0,0,1]
	v_mov_b32_e32 v83, v81
	s_delay_alu instid0(VALU_DEP_4) | instskip(NEXT) | instid1(VALU_DEP_4)
	v_pk_fma_f32 v[80:81], v[128:129], v[124:125], v[84:85] neg_lo:[0,0,1] neg_hi:[0,0,1]
	v_pk_add_f32 v[76:77], v[76:77], v[78:79]
	v_pk_fma_f32 v[78:79], v[128:129], v[124:125], v[84:85] op_sel_hi:[1,0,1]
	s_delay_alu instid0(VALU_DEP_2) | instskip(NEXT) | instid1(VALU_DEP_2)
	v_pk_add_f32 v[76:77], v[76:77], v[82:83]
	v_mov_b32_e32 v81, v79
	s_delay_alu instid0(VALU_DEP_1) | instskip(SKIP_1) | instid1(VALU_DEP_1)
	v_pk_add_f32 v[76:77], v[76:77], v[80:81]
	s_wait_loadcnt 0x0
	v_pk_add_f32 v[76:77], v[126:127], v[76:77] neg_lo:[0,1] neg_hi:[0,1]
	scratch_store_b64 off, v[76:77], off offset:184
	s_wait_xcnt 0x0
	v_cmpx_lt_u32_e32 22, v0
	s_cbranch_execz .LBB36_191
; %bb.190:
	scratch_load_b64 v[76:77], off, off offset:176
	v_mov_b64_e32 v[78:79], 0
	scratch_store_b64 off, v[78:79], off offset:176
	s_wait_loadcnt 0x0
	ds_store_b64 v1, v[76:77]
.LBB36_191:
	s_wait_xcnt 0x0
	s_or_b32 exec_lo, exec_lo, s0
	s_wait_storecnt_dscnt 0x0
	s_barrier_signal -1
	s_barrier_wait -1
	s_clause 0x7
	scratch_load_b128 v[76:79], off, off offset:184
	scratch_load_b128 v[80:83], off, off offset:200
	;; [unrolled: 1-line block ×7, first 2 shown]
	scratch_load_b64 v[132:133], off, off offset:176
	ds_load_2addr_b64 v[104:107], v5 offset0:67 offset1:68
	ds_load_2addr_b64 v[108:111], v5 offset0:69 offset1:70
	;; [unrolled: 1-line block ×7, first 2 shown]
	s_mov_b32 s0, exec_lo
	s_wait_dscnt 0x6
	v_dual_mov_b32 v134, v107 :: v_dual_mov_b32 v135, v106
	s_wait_dscnt 0x5
	v_dual_mov_b32 v136, v111 :: v_dual_mov_b32 v137, v110
	s_wait_dscnt 0x4
	v_dual_mov_b32 v138, v115 :: v_dual_mov_b32 v139, v114
	s_wait_dscnt 0x3
	v_dual_mov_b32 v140, v119 :: v_dual_mov_b32 v141, v118
	s_wait_loadcnt_dscnt 0x702
	v_dual_mul_f32 v5, v120, v77 :: v_dual_mul_f32 v7, v122, v79
	v_dual_mul_f32 v15, v121, v77 :: v_dual_mul_f32 v17, v123, v79
	s_wait_loadcnt_dscnt 0x601
	v_dual_mul_f32 v11, v124, v81 :: v_dual_mul_f32 v13, v126, v83
	s_delay_alu instid0(VALU_DEP_2) | instskip(SKIP_2) | instid1(VALU_DEP_3)
	v_dual_fmac_f32 v5, v121, v76 :: v_dual_fma_f32 v15, v120, v76, -v15
	v_dual_mul_f32 v19, v125, v81 :: v_dual_mul_f32 v21, v127, v83
	v_dual_fmac_f32 v7, v123, v78 :: v_dual_fma_f32 v17, v122, v78, -v17
	v_dual_add_f32 v5, 0, v5 :: v_dual_add_f32 v15, 0, v15
	s_wait_loadcnt 0x4
	v_dual_mov_b32 v78, v91 :: v_dual_fmac_f32 v11, v125, v80
	s_delay_alu instid0(VALU_DEP_2) | instskip(NEXT) | instid1(VALU_DEP_3)
	v_dual_fma_f32 v19, v124, v80, -v19 :: v_dual_add_f32 v5, v5, v7
	v_dual_add_f32 v7, v15, v17 :: v_dual_fma_f32 v15, v126, v82, -v21
	s_wait_dscnt 0x0
	v_dual_mul_f32 v143, v128, v85 :: v_dual_mul_f32 v145, v130, v87
	v_dual_mul_f32 v23, v129, v85 :: v_dual_mul_f32 v25, v131, v87
	v_dual_fmac_f32 v13, v127, v82 :: v_dual_add_f32 v5, v5, v11
	s_delay_alu instid0(VALU_DEP_3)
	v_dual_add_f32 v7, v7, v19 :: v_dual_fmac_f32 v143, v129, v84
	v_pk_mul_f32 v[76:77], v[104:105], v[88:89] op_sel:[1,1] op_sel_hi:[0,1]
	s_wait_loadcnt 0x3
	v_pk_mul_f32 v[80:81], v[108:109], v[92:93] op_sel:[1,1] op_sel_hi:[0,1]
	v_dual_mov_b32 v82, v95 :: v_dual_fma_f32 v142, v128, v84, -v23
	v_dual_add_f32 v85, v5, v13 :: v_dual_add_f32 v84, v7, v15
	v_fmac_f32_e32 v145, v131, v86
	v_fma_f32 v144, v130, v86, -v25
	v_pk_fma_f32 v[86:87], v[104:105], v[88:89], v[76:77] op_sel_hi:[1,0,1]
	v_pk_mul_f32 v[78:79], v[134:135], v[78:79] op_sel_hi:[1,0]
	v_pk_add_f32 v[84:85], v[84:85], v[142:143]
	v_pk_fma_f32 v[76:77], v[104:105], v[88:89], v[76:77] neg_lo:[0,0,1] neg_hi:[0,0,1]
	v_pk_fma_f32 v[88:89], v[108:109], v[92:93], v[80:81] op_sel_hi:[1,0,1]
	v_pk_fma_f32 v[80:81], v[108:109], v[92:93], v[80:81] neg_lo:[0,0,1] neg_hi:[0,0,1]
	v_mov_b32_e32 v77, v87
	v_pk_fma_f32 v[86:87], v[106:107], v[90:91], v[78:79] op_sel_hi:[1,0,1]
	v_pk_fma_f32 v[78:79], v[106:107], v[90:91], v[78:79] neg_lo:[0,0,1] neg_hi:[0,0,1]
	v_mov_b32_e32 v81, v89
	v_pk_add_f32 v[84:85], v[84:85], v[144:145]
	v_pk_mul_f32 v[82:83], v[136:137], v[82:83] op_sel_hi:[1,0]
	v_mov_b32_e32 v79, v87
	s_wait_loadcnt 0x2
	v_pk_mul_f32 v[120:121], v[112:113], v[96:97] op_sel:[1,1] op_sel_hi:[0,1]
	v_pk_add_f32 v[76:77], v[84:85], v[76:77]
	v_mov_b32_e32 v84, v99
	v_pk_fma_f32 v[86:87], v[110:111], v[94:95], v[82:83] op_sel_hi:[1,0,1]
	v_pk_fma_f32 v[82:83], v[110:111], v[94:95], v[82:83] neg_lo:[0,0,1] neg_hi:[0,0,1]
	s_delay_alu instid0(VALU_DEP_4)
	v_pk_add_f32 v[76:77], v[76:77], v[78:79]
	v_pk_fma_f32 v[78:79], v[112:113], v[96:97], v[120:121] op_sel_hi:[1,0,1]
	v_pk_mul_f32 v[84:85], v[138:139], v[84:85] op_sel_hi:[1,0]
	v_mov_b32_e32 v83, v87
	v_pk_fma_f32 v[86:87], v[112:113], v[96:97], v[120:121] neg_lo:[0,0,1] neg_hi:[0,0,1]
	v_pk_add_f32 v[76:77], v[76:77], v[80:81]
	v_mov_b32_e32 v87, v79
	v_pk_fma_f32 v[78:79], v[114:115], v[98:99], v[84:85] op_sel_hi:[1,0,1]
	s_wait_loadcnt 0x1
	v_pk_mul_f32 v[80:81], v[116:117], v[100:101] op_sel:[1,1] op_sel_hi:[0,1]
	v_mov_b32_e32 v78, v103
	v_pk_add_f32 v[76:77], v[76:77], v[82:83]
	v_pk_fma_f32 v[84:85], v[114:115], v[98:99], v[84:85] neg_lo:[0,0,1] neg_hi:[0,0,1]
	v_mov_b32_e32 v85, v79
	v_pk_fma_f32 v[82:83], v[116:117], v[100:101], v[80:81] op_sel_hi:[1,0,1]
	v_pk_mul_f32 v[78:79], v[140:141], v[78:79] op_sel_hi:[1,0]
	v_pk_add_f32 v[76:77], v[76:77], v[86:87]
	v_pk_fma_f32 v[80:81], v[116:117], v[100:101], v[80:81] neg_lo:[0,0,1] neg_hi:[0,0,1]
	s_delay_alu instid0(VALU_DEP_4) | instskip(NEXT) | instid1(VALU_DEP_4)
	v_mov_b32_e32 v81, v83
	v_pk_fma_f32 v[82:83], v[118:119], v[102:103], v[78:79] op_sel_hi:[1,0,1]
	s_delay_alu instid0(VALU_DEP_4) | instskip(SKIP_1) | instid1(VALU_DEP_3)
	v_pk_add_f32 v[76:77], v[76:77], v[84:85]
	v_pk_fma_f32 v[78:79], v[118:119], v[102:103], v[78:79] neg_lo:[0,0,1] neg_hi:[0,0,1]
	v_mov_b32_e32 v79, v83
	s_delay_alu instid0(VALU_DEP_3) | instskip(NEXT) | instid1(VALU_DEP_1)
	v_pk_add_f32 v[76:77], v[76:77], v[80:81]
	v_pk_add_f32 v[76:77], v[76:77], v[78:79]
	s_wait_loadcnt 0x0
	s_delay_alu instid0(VALU_DEP_1)
	v_pk_add_f32 v[76:77], v[132:133], v[76:77] neg_lo:[0,1] neg_hi:[0,1]
	scratch_store_b64 off, v[76:77], off offset:176
	s_wait_xcnt 0x0
	v_cmpx_lt_u32_e32 21, v0
	s_cbranch_execz .LBB36_193
; %bb.192:
	scratch_load_b64 v[76:77], off, off offset:168
	v_mov_b64_e32 v[78:79], 0
	scratch_store_b64 off, v[78:79], off offset:168
	s_wait_loadcnt 0x0
	ds_store_b64 v1, v[76:77]
.LBB36_193:
	s_wait_xcnt 0x0
	s_or_b32 exec_lo, exec_lo, s0
	s_wait_storecnt_dscnt 0x0
	s_barrier_signal -1
	s_barrier_wait -1
	s_clause 0x8
	scratch_load_b128 v[76:79], off, off offset:176
	scratch_load_b128 v[80:83], off, off offset:192
	;; [unrolled: 1-line block ×7, first 2 shown]
	scratch_load_b64 v[132:133], off, off offset:288
	scratch_load_b64 v[134:135], off, off offset:168
	v_mov_b32_e32 v5, 0
	ds_load_b128 v[104:107], v5 offset:528
	ds_load_b128 v[108:111], v5 offset:544
	;; [unrolled: 1-line block ×7, first 2 shown]
	ds_load_b64 v[136:137], v5 offset:592
	s_mov_b32 s0, exec_lo
	s_wait_dscnt 0x7
	v_dual_mov_b32 v138, v107 :: v_dual_mov_b32 v139, v106
	s_wait_dscnt 0x4
	v_dual_mov_b32 v140, v111 :: v_dual_mov_b32 v145, v118
	v_dual_mov_b32 v141, v110 :: v_dual_mov_b32 v142, v115
	v_dual_mov_b32 v143, v114 :: v_dual_mov_b32 v144, v119
	s_wait_loadcnt_dscnt 0x803
	v_dual_mul_f32 v7, v120, v77 :: v_dual_mul_f32 v19, v121, v77
	v_dual_mul_f32 v21, v123, v79 :: v_dual_mul_f32 v11, v122, v79
	s_wait_loadcnt_dscnt 0x702
	v_mul_f32_e32 v13, v124, v81
	s_wait_loadcnt 0x5
	v_dual_mul_f32 v31, v105, v89 :: v_dual_fma_f32 v19, v120, v76, -v19
	v_dual_fmac_f32 v7, v121, v76 :: v_dual_mov_b32 v76, v91
	v_dual_mul_f32 v23, v125, v81 :: v_dual_mul_f32 v25, v127, v83
	v_dual_fmac_f32 v11, v123, v78 :: v_dual_fma_f32 v21, v122, v78, -v21
	s_delay_alu instid0(VALU_DEP_3) | instskip(NEXT) | instid1(VALU_DEP_3)
	v_dual_add_f32 v7, 0, v7 :: v_dual_fmac_f32 v13, v125, v80
	v_dual_add_f32 v19, 0, v19 :: v_dual_fma_f32 v23, v124, v80, -v23
	s_wait_dscnt 0x1
	v_dual_mul_f32 v15, v126, v83 :: v_dual_mul_f32 v17, v128, v85
	s_delay_alu instid0(VALU_DEP_3) | instskip(NEXT) | instid1(VALU_DEP_3)
	v_add_f32_e32 v7, v7, v11
	v_dual_add_f32 v11, v19, v21 :: v_dual_mul_f32 v147, v130, v87
	v_mul_f32_e32 v149, v104, v89
	v_dual_mul_f32 v27, v129, v85 :: v_dual_mul_f32 v29, v131, v87
	s_wait_loadcnt 0x4
	v_pk_mul_f32 v[78:79], v[108:109], v[92:93] op_sel:[1,1] op_sel_hi:[0,1]
	s_delay_alu instid0(VALU_DEP_3)
	v_dual_fmac_f32 v15, v127, v82 :: v_dual_fmac_f32 v149, v105, v88
	v_dual_fma_f32 v19, v126, v82, -v25 :: v_dual_add_f32 v7, v7, v13
	v_fma_f32 v146, v130, v86, -v29
	v_dual_fmac_f32 v17, v129, v84 :: v_dual_add_f32 v11, v11, v23
	v_fma_f32 v148, v104, v88, -v31
	v_pk_mul_f32 v[76:77], v[138:139], v[76:77] op_sel_hi:[1,0]
	v_dual_mov_b32 v80, v95 :: v_dual_fma_f32 v13, v128, v84, -v27
	v_pk_fma_f32 v[104:105], v[108:109], v[92:93], v[78:79] op_sel_hi:[1,0,1]
	v_add_f32_e32 v11, v11, v19
	s_delay_alu instid0(VALU_DEP_4) | instskip(SKIP_3) | instid1(VALU_DEP_4)
	v_pk_fma_f32 v[88:89], v[106:107], v[90:91], v[76:77] op_sel_hi:[1,0,1]
	v_add_f32_e32 v7, v7, v15
	v_pk_fma_f32 v[76:77], v[106:107], v[90:91], v[76:77] neg_lo:[0,0,1] neg_hi:[0,0,1]
	v_pk_fma_f32 v[78:79], v[108:109], v[92:93], v[78:79] neg_lo:[0,0,1] neg_hi:[0,0,1]
	v_dual_fmac_f32 v147, v131, v86 :: v_dual_mov_b32 v77, v89
	s_delay_alu instid0(VALU_DEP_4)
	v_dual_add_f32 v85, v7, v17 :: v_dual_mov_b32 v79, v105
	v_add_f32_e32 v84, v11, v13
	v_pk_mul_f32 v[80:81], v[140:141], v[80:81] op_sel_hi:[1,0]
	s_wait_loadcnt 0x3
	v_pk_mul_f32 v[82:83], v[112:113], v[96:97] op_sel:[1,1] op_sel_hi:[0,1]
	s_wait_loadcnt 0x2
	v_pk_mul_f32 v[88:89], v[116:117], v[100:101] op_sel:[1,1] op_sel_hi:[0,1]
	v_pk_add_f32 v[84:85], v[84:85], v[146:147]
	v_pk_fma_f32 v[90:91], v[110:111], v[94:95], v[80:81] op_sel_hi:[1,0,1]
	v_mov_b32_e32 v86, v99
	v_pk_fma_f32 v[80:81], v[110:111], v[94:95], v[80:81] neg_lo:[0,0,1] neg_hi:[0,0,1]
	s_delay_alu instid0(VALU_DEP_4) | instskip(NEXT) | instid1(VALU_DEP_4)
	v_pk_add_f32 v[84:85], v[84:85], v[148:149]
	v_mov_b32_e32 v81, v91
	s_delay_alu instid0(VALU_DEP_4) | instskip(NEXT) | instid1(VALU_DEP_3)
	v_pk_mul_f32 v[86:87], v[142:143], v[86:87] op_sel_hi:[1,0]
	v_pk_add_f32 v[76:77], v[84:85], v[76:77]
	v_pk_fma_f32 v[84:85], v[112:113], v[96:97], v[82:83] op_sel_hi:[1,0,1]
	v_pk_fma_f32 v[82:83], v[112:113], v[96:97], v[82:83] neg_lo:[0,0,1] neg_hi:[0,0,1]
	s_delay_alu instid0(VALU_DEP_3) | instskip(NEXT) | instid1(VALU_DEP_3)
	v_pk_add_f32 v[76:77], v[76:77], v[78:79]
	v_dual_mov_b32 v78, v103 :: v_dual_mov_b32 v83, v85
	v_pk_fma_f32 v[84:85], v[114:115], v[98:99], v[86:87] op_sel_hi:[1,0,1]
	v_pk_fma_f32 v[86:87], v[114:115], v[98:99], v[86:87] neg_lo:[0,0,1] neg_hi:[0,0,1]
	s_delay_alu instid0(VALU_DEP_4)
	v_pk_add_f32 v[76:77], v[76:77], v[80:81]
	v_pk_fma_f32 v[80:81], v[116:117], v[100:101], v[88:89] op_sel_hi:[1,0,1]
	v_pk_mul_f32 v[78:79], v[144:145], v[78:79] op_sel_hi:[1,0]
	v_mov_b32_e32 v87, v85
	s_wait_loadcnt_dscnt 0x100
	v_pk_mul_f32 v[84:85], v[136:137], v[132:133] op_sel:[1,1] op_sel_hi:[0,1]
	v_pk_add_f32 v[76:77], v[76:77], v[82:83]
	v_pk_fma_f32 v[82:83], v[116:117], v[100:101], v[88:89] neg_lo:[0,0,1] neg_hi:[0,0,1]
	v_mov_b32_e32 v83, v81
	v_pk_fma_f32 v[80:81], v[118:119], v[102:103], v[78:79] op_sel_hi:[1,0,1]
	v_pk_fma_f32 v[78:79], v[118:119], v[102:103], v[78:79] neg_lo:[0,0,1] neg_hi:[0,0,1]
	v_pk_add_f32 v[76:77], v[76:77], v[86:87]
	s_delay_alu instid0(VALU_DEP_3) | instskip(SKIP_1) | instid1(VALU_DEP_3)
	v_mov_b32_e32 v79, v81
	v_pk_fma_f32 v[80:81], v[136:137], v[132:133], v[84:85] op_sel_hi:[1,0,1]
	v_pk_add_f32 v[76:77], v[76:77], v[82:83]
	v_pk_fma_f32 v[82:83], v[136:137], v[132:133], v[84:85] neg_lo:[0,0,1] neg_hi:[0,0,1]
	s_delay_alu instid0(VALU_DEP_3) | instskip(NEXT) | instid1(VALU_DEP_3)
	v_mov_b32_e32 v83, v81
	v_pk_add_f32 v[76:77], v[76:77], v[78:79]
	s_delay_alu instid0(VALU_DEP_1) | instskip(SKIP_1) | instid1(VALU_DEP_1)
	v_pk_add_f32 v[76:77], v[76:77], v[82:83]
	s_wait_loadcnt 0x0
	v_pk_add_f32 v[76:77], v[134:135], v[76:77] neg_lo:[0,1] neg_hi:[0,1]
	scratch_store_b64 off, v[76:77], off offset:168
	s_wait_xcnt 0x0
	v_cmpx_lt_u32_e32 20, v0
	s_cbranch_execz .LBB36_195
; %bb.194:
	scratch_load_b64 v[76:77], off, off offset:160
	v_mov_b64_e32 v[78:79], 0
	scratch_store_b64 off, v[78:79], off offset:160
	s_wait_loadcnt 0x0
	ds_store_b64 v1, v[76:77]
.LBB36_195:
	s_wait_xcnt 0x0
	s_or_b32 exec_lo, exec_lo, s0
	s_wait_storecnt_dscnt 0x0
	s_barrier_signal -1
	s_barrier_wait -1
	s_clause 0x8
	scratch_load_b128 v[76:79], off, off offset:168
	scratch_load_b128 v[80:83], off, off offset:184
	;; [unrolled: 1-line block ×8, first 2 shown]
	scratch_load_b64 v[140:141], off, off offset:160
	ds_load_2addr_b64 v[108:111], v5 offset0:67 offset1:68
	ds_load_2addr_b64 v[112:115], v5 offset0:69 offset1:70
	;; [unrolled: 1-line block ×8, first 2 shown]
	s_mov_b32 s0, exec_lo
	s_wait_dscnt 0x7
	v_dual_mov_b32 v142, v111 :: v_dual_mov_b32 v143, v110
	s_wait_dscnt 0x6
	v_dual_mov_b32 v144, v115 :: v_dual_mov_b32 v145, v114
	;; [unrolled: 2-line block ×4, first 2 shown]
	s_wait_loadcnt_dscnt 0x803
	v_dual_mul_f32 v5, v124, v77 :: v_dual_mul_f32 v7, v126, v79
	v_dual_mul_f32 v19, v125, v77 :: v_dual_mul_f32 v21, v127, v79
	s_wait_loadcnt_dscnt 0x702
	v_dual_mul_f32 v11, v128, v81 :: v_dual_mul_f32 v13, v130, v83
	s_delay_alu instid0(VALU_DEP_2) | instskip(SKIP_3) | instid1(VALU_DEP_3)
	v_dual_fmac_f32 v5, v125, v76 :: v_dual_fma_f32 v19, v124, v76, -v19
	v_dual_mul_f32 v23, v129, v81 :: v_dual_mul_f32 v25, v131, v83
	s_wait_loadcnt_dscnt 0x500
	v_dual_mul_f32 v31, v137, v89 :: v_dual_fmac_f32 v7, v127, v78
	v_dual_fma_f32 v21, v126, v78, -v21 :: v_dual_add_f32 v5, 0, v5
	v_dual_add_f32 v19, 0, v19 :: v_dual_fmac_f32 v11, v129, v80
	v_dual_mul_f32 v33, v139, v91 :: v_dual_fma_f32 v23, v128, v80, -v23
	s_delay_alu instid0(VALU_DEP_2) | instskip(SKIP_2) | instid1(VALU_DEP_3)
	v_dual_add_f32 v5, v5, v7 :: v_dual_add_f32 v7, v19, v21
	v_dual_mul_f32 v15, v132, v85 :: v_dual_mul_f32 v17, v134, v87
	v_dual_mul_f32 v27, v133, v85 :: v_dual_mul_f32 v29, v135, v87
	v_dual_fmac_f32 v13, v131, v82 :: v_dual_add_f32 v5, v5, v11
	s_delay_alu instid0(VALU_DEP_4) | instskip(SKIP_2) | instid1(VALU_DEP_3)
	v_dual_fma_f32 v19, v130, v82, -v25 :: v_dual_add_f32 v7, v7, v23
	s_wait_loadcnt 0x4
	v_dual_mov_b32 v78, v95 :: v_dual_fmac_f32 v15, v133, v84
	v_dual_fma_f32 v11, v132, v84, -v27 :: v_dual_add_f32 v5, v5, v13
	s_delay_alu instid0(VALU_DEP_3) | instskip(SKIP_1) | instid1(VALU_DEP_3)
	v_dual_add_f32 v7, v7, v19 :: v_dual_fma_f32 v13, v134, v86, -v29
	v_dual_mul_f32 v151, v136, v89 :: v_dual_mul_f32 v153, v138, v91
	v_dual_fmac_f32 v17, v135, v86 :: v_dual_add_f32 v5, v5, v15
	s_delay_alu instid0(VALU_DEP_2)
	v_dual_add_f32 v7, v7, v11 :: v_dual_fmac_f32 v151, v137, v88
	v_pk_mul_f32 v[76:77], v[108:109], v[92:93] op_sel:[1,1] op_sel_hi:[0,1]
	s_wait_loadcnt 0x3
	v_dual_mov_b32 v82, v99 :: v_dual_fma_f32 v150, v136, v88, -v31
	v_dual_add_f32 v85, v5, v17 :: v_dual_fmac_f32 v153, v139, v90
	v_dual_add_f32 v84, v7, v13 :: v_dual_fma_f32 v152, v138, v90, -v33
	v_pk_fma_f32 v[86:87], v[108:109], v[92:93], v[76:77] op_sel_hi:[1,0,1]
	v_pk_mul_f32 v[78:79], v[142:143], v[78:79] op_sel_hi:[1,0]
	v_pk_fma_f32 v[76:77], v[108:109], v[92:93], v[76:77] neg_lo:[0,0,1] neg_hi:[0,0,1]
	s_delay_alu instid0(VALU_DEP_4)
	v_pk_add_f32 v[84:85], v[84:85], v[150:151]
	v_pk_mul_f32 v[80:81], v[112:113], v[96:97] op_sel:[1,1] op_sel_hi:[0,1]
	v_mov_b32_e32 v77, v87
	v_pk_fma_f32 v[86:87], v[110:111], v[94:95], v[78:79] op_sel_hi:[1,0,1]
	v_pk_fma_f32 v[78:79], v[110:111], v[94:95], v[78:79] neg_lo:[0,0,1] neg_hi:[0,0,1]
	v_pk_add_f32 v[84:85], v[84:85], v[152:153]
	v_pk_fma_f32 v[90:91], v[112:113], v[96:97], v[80:81] op_sel_hi:[1,0,1]
	v_pk_mul_f32 v[82:83], v[144:145], v[82:83] op_sel_hi:[1,0]
	v_mov_b32_e32 v79, v87
	s_wait_loadcnt 0x2
	v_pk_mul_f32 v[88:89], v[116:117], v[100:101] op_sel:[1,1] op_sel_hi:[0,1]
	v_pk_add_f32 v[76:77], v[84:85], v[76:77]
	v_mov_b32_e32 v84, v103
	v_pk_fma_f32 v[80:81], v[112:113], v[96:97], v[80:81] neg_lo:[0,0,1] neg_hi:[0,0,1]
	v_mov_b32_e32 v81, v91
	v_pk_fma_f32 v[86:87], v[114:115], v[98:99], v[82:83] op_sel_hi:[1,0,1]
	v_pk_add_f32 v[76:77], v[76:77], v[78:79]
	v_pk_fma_f32 v[78:79], v[116:117], v[100:101], v[88:89] op_sel_hi:[1,0,1]
	v_pk_mul_f32 v[84:85], v[146:147], v[84:85] op_sel_hi:[1,0]
	v_pk_fma_f32 v[82:83], v[114:115], v[98:99], v[82:83] neg_lo:[0,0,1] neg_hi:[0,0,1]
	v_mov_b32_e32 v83, v87
	v_pk_add_f32 v[76:77], v[76:77], v[80:81]
	v_pk_fma_f32 v[86:87], v[116:117], v[100:101], v[88:89] neg_lo:[0,0,1] neg_hi:[0,0,1]
	v_mov_b32_e32 v87, v79
	v_pk_fma_f32 v[78:79], v[118:119], v[102:103], v[84:85] op_sel_hi:[1,0,1]
	s_wait_loadcnt 0x1
	v_pk_mul_f32 v[80:81], v[120:121], v[104:105] op_sel:[1,1] op_sel_hi:[0,1]
	v_pk_add_f32 v[76:77], v[76:77], v[82:83]
	v_mov_b32_e32 v78, v107
	v_pk_fma_f32 v[84:85], v[118:119], v[102:103], v[84:85] neg_lo:[0,0,1] neg_hi:[0,0,1]
	v_mov_b32_e32 v85, v79
	v_pk_fma_f32 v[82:83], v[120:121], v[104:105], v[80:81] op_sel_hi:[1,0,1]
	v_pk_add_f32 v[76:77], v[76:77], v[86:87]
	v_pk_mul_f32 v[78:79], v[148:149], v[78:79] op_sel_hi:[1,0]
	v_pk_fma_f32 v[80:81], v[120:121], v[104:105], v[80:81] neg_lo:[0,0,1] neg_hi:[0,0,1]
	s_delay_alu instid0(VALU_DEP_4) | instskip(NEXT) | instid1(VALU_DEP_4)
	v_mov_b32_e32 v81, v83
	v_pk_add_f32 v[76:77], v[76:77], v[84:85]
	s_delay_alu instid0(VALU_DEP_4) | instskip(SKIP_1) | instid1(VALU_DEP_2)
	v_pk_fma_f32 v[82:83], v[122:123], v[106:107], v[78:79] op_sel_hi:[1,0,1]
	v_pk_fma_f32 v[78:79], v[122:123], v[106:107], v[78:79] neg_lo:[0,0,1] neg_hi:[0,0,1]
	v_mov_b32_e32 v79, v83
	s_delay_alu instid0(VALU_DEP_4) | instskip(NEXT) | instid1(VALU_DEP_1)
	v_pk_add_f32 v[76:77], v[76:77], v[80:81]
	v_pk_add_f32 v[76:77], v[76:77], v[78:79]
	s_wait_loadcnt 0x0
	s_delay_alu instid0(VALU_DEP_1)
	v_pk_add_f32 v[76:77], v[140:141], v[76:77] neg_lo:[0,1] neg_hi:[0,1]
	scratch_store_b64 off, v[76:77], off offset:160
	s_wait_xcnt 0x0
	v_cmpx_lt_u32_e32 19, v0
	s_cbranch_execz .LBB36_197
; %bb.196:
	scratch_load_b64 v[76:77], off, off offset:152
	v_mov_b64_e32 v[78:79], 0
	scratch_store_b64 off, v[78:79], off offset:152
	s_wait_loadcnt 0x0
	ds_store_b64 v1, v[76:77]
.LBB36_197:
	s_wait_xcnt 0x0
	s_or_b32 exec_lo, exec_lo, s0
	s_wait_storecnt_dscnt 0x0
	s_barrier_signal -1
	s_barrier_wait -1
	s_clause 0x9
	scratch_load_b128 v[76:79], off, off offset:160
	scratch_load_b128 v[80:83], off, off offset:176
	scratch_load_b128 v[84:87], off, off offset:192
	scratch_load_b128 v[88:91], off, off offset:208
	scratch_load_b128 v[92:95], off, off offset:224
	scratch_load_b128 v[96:99], off, off offset:240
	scratch_load_b128 v[100:103], off, off offset:256
	scratch_load_b128 v[104:107], off, off offset:272
	scratch_load_b64 v[140:141], off, off offset:288
	scratch_load_b64 v[142:143], off, off offset:152
	v_mov_b32_e32 v5, 0
	ds_load_b128 v[108:111], v5 offset:528
	ds_load_b128 v[112:115], v5 offset:544
	;; [unrolled: 1-line block ×8, first 2 shown]
	ds_load_b64 v[144:145], v5 offset:592
	s_mov_b32 s0, exec_lo
	s_wait_dscnt 0x8
	v_dual_mov_b32 v146, v111 :: v_dual_mov_b32 v147, v110
	s_wait_dscnt 0x5
	v_dual_mov_b32 v148, v115 :: v_dual_mov_b32 v153, v122
	v_dual_mov_b32 v149, v114 :: v_dual_mov_b32 v150, v119
	v_dual_mov_b32 v151, v118 :: v_dual_mov_b32 v152, v123
	s_wait_loadcnt_dscnt 0x904
	v_dual_mul_f32 v7, v124, v77 :: v_dual_mul_f32 v23, v125, v77
	v_dual_mul_f32 v25, v127, v79 :: v_dual_mul_f32 v11, v126, v79
	s_wait_loadcnt_dscnt 0x803
	v_mul_f32_e32 v13, v128, v81
	s_wait_loadcnt_dscnt 0x601
	v_dual_mul_f32 v35, v137, v89 :: v_dual_fma_f32 v23, v124, v76, -v23
	v_dual_fmac_f32 v7, v125, v76 :: v_dual_mul_f32 v37, v139, v91
	v_dual_mul_f32 v27, v129, v81 :: v_dual_mul_f32 v29, v131, v83
	v_dual_fmac_f32 v11, v127, v78 :: v_dual_fma_f32 v25, v126, v78, -v25
	s_wait_loadcnt 0x5
	s_delay_alu instid0(VALU_DEP_3) | instskip(SKIP_2) | instid1(VALU_DEP_3)
	v_dual_add_f32 v7, 0, v7 :: v_dual_mul_f32 v39, v109, v93
	v_dual_add_f32 v23, 0, v23 :: v_dual_fmac_f32 v13, v129, v80
	v_dual_mul_f32 v15, v130, v83 :: v_dual_mul_f32 v17, v132, v85
	v_dual_fma_f32 v27, v128, v80, -v27 :: v_dual_add_f32 v7, v7, v11
	s_delay_alu instid0(VALU_DEP_3) | instskip(SKIP_3) | instid1(VALU_DEP_3)
	v_dual_add_f32 v11, v23, v25 :: v_dual_fma_f32 v23, v130, v82, -v29
	v_dual_mul_f32 v19, v134, v87 :: v_dual_mul_f32 v21, v136, v89
	v_dual_mul_f32 v31, v133, v85 :: v_dual_mul_f32 v33, v135, v87
	v_dual_mov_b32 v76, v95 :: v_dual_fmac_f32 v17, v133, v84
	v_dual_fmac_f32 v15, v131, v82 :: v_dual_fmac_f32 v21, v137, v88
	s_delay_alu instid0(VALU_DEP_3) | instskip(SKIP_1) | instid1(VALU_DEP_4)
	v_dual_add_f32 v7, v7, v13 :: v_dual_fma_f32 v13, v132, v84, -v31
	v_add_f32_e32 v11, v11, v27
	v_pk_mul_f32 v[76:77], v[146:147], v[76:77] op_sel_hi:[1,0]
	v_dual_mul_f32 v155, v138, v91 :: v_dual_mul_f32 v157, v108, v93
	s_delay_alu instid0(VALU_DEP_4) | instskip(NEXT) | instid1(VALU_DEP_4)
	v_dual_add_f32 v7, v7, v15 :: v_dual_fma_f32 v15, v134, v86, -v33
	v_dual_add_f32 v11, v11, v23 :: v_dual_fma_f32 v154, v138, v90, -v37
	s_delay_alu instid0(VALU_DEP_3) | instskip(NEXT) | instid1(VALU_DEP_2)
	v_dual_fmac_f32 v19, v135, v86 :: v_dual_fmac_f32 v157, v109, v92
	v_dual_fma_f32 v156, v108, v92, -v39 :: v_dual_add_f32 v11, v11, v13
	s_delay_alu instid0(VALU_DEP_4)
	v_dual_fma_f32 v13, v136, v88, -v35 :: v_dual_add_f32 v7, v7, v17
	v_pk_fma_f32 v[88:89], v[110:111], v[94:95], v[76:77] op_sel_hi:[1,0,1]
	v_pk_fma_f32 v[76:77], v[110:111], v[94:95], v[76:77] neg_lo:[0,0,1] neg_hi:[0,0,1]
	v_fmac_f32_e32 v155, v139, v90
	s_wait_loadcnt 0x4
	v_pk_mul_f32 v[78:79], v[112:113], v[96:97] op_sel:[1,1] op_sel_hi:[0,1]
	v_dual_add_f32 v7, v7, v19 :: v_dual_mov_b32 v77, v89
	v_add_f32_e32 v11, v11, v15
	s_wait_loadcnt 0x3
	v_dual_mov_b32 v80, v99 :: v_dual_mov_b32 v86, v103
	s_delay_alu instid0(VALU_DEP_3) | instskip(SKIP_2) | instid1(VALU_DEP_4)
	v_add_f32_e32 v85, v7, v21
	v_pk_fma_f32 v[90:91], v[112:113], v[96:97], v[78:79] op_sel_hi:[1,0,1]
	v_add_f32_e32 v84, v11, v13
	v_pk_mul_f32 v[80:81], v[148:149], v[80:81] op_sel_hi:[1,0]
	v_pk_fma_f32 v[78:79], v[112:113], v[96:97], v[78:79] neg_lo:[0,0,1] neg_hi:[0,0,1]
	v_pk_mul_f32 v[82:83], v[116:117], v[100:101] op_sel:[1,1] op_sel_hi:[0,1]
	v_mov_b32_e32 v79, v91
	v_pk_add_f32 v[84:85], v[84:85], v[154:155]
	v_pk_fma_f32 v[90:91], v[114:115], v[98:99], v[80:81] op_sel_hi:[1,0,1]
	v_pk_fma_f32 v[80:81], v[114:115], v[98:99], v[80:81] neg_lo:[0,0,1] neg_hi:[0,0,1]
	v_pk_mul_f32 v[86:87], v[150:151], v[86:87] op_sel_hi:[1,0]
	s_wait_loadcnt 0x2
	v_pk_mul_f32 v[88:89], v[120:121], v[104:105] op_sel:[1,1] op_sel_hi:[0,1]
	v_pk_add_f32 v[84:85], v[84:85], v[156:157]
	v_mov_b32_e32 v81, v91
	s_delay_alu instid0(VALU_DEP_2) | instskip(SKIP_2) | instid1(VALU_DEP_3)
	v_pk_add_f32 v[76:77], v[84:85], v[76:77]
	v_pk_fma_f32 v[84:85], v[116:117], v[100:101], v[82:83] op_sel_hi:[1,0,1]
	v_pk_fma_f32 v[82:83], v[116:117], v[100:101], v[82:83] neg_lo:[0,0,1] neg_hi:[0,0,1]
	v_pk_add_f32 v[76:77], v[76:77], v[78:79]
	s_delay_alu instid0(VALU_DEP_3) | instskip(SKIP_2) | instid1(VALU_DEP_4)
	v_dual_mov_b32 v78, v107 :: v_dual_mov_b32 v83, v85
	v_pk_fma_f32 v[84:85], v[118:119], v[102:103], v[86:87] op_sel_hi:[1,0,1]
	v_pk_fma_f32 v[86:87], v[118:119], v[102:103], v[86:87] neg_lo:[0,0,1] neg_hi:[0,0,1]
	v_pk_add_f32 v[76:77], v[76:77], v[80:81]
	v_pk_fma_f32 v[80:81], v[120:121], v[104:105], v[88:89] op_sel_hi:[1,0,1]
	v_pk_mul_f32 v[78:79], v[152:153], v[78:79] op_sel_hi:[1,0]
	v_mov_b32_e32 v87, v85
	s_wait_loadcnt_dscnt 0x100
	v_pk_mul_f32 v[84:85], v[144:145], v[140:141] op_sel:[1,1] op_sel_hi:[0,1]
	v_pk_add_f32 v[76:77], v[76:77], v[82:83]
	v_pk_fma_f32 v[82:83], v[120:121], v[104:105], v[88:89] neg_lo:[0,0,1] neg_hi:[0,0,1]
	v_mov_b32_e32 v83, v81
	v_pk_fma_f32 v[80:81], v[122:123], v[106:107], v[78:79] op_sel_hi:[1,0,1]
	v_pk_fma_f32 v[78:79], v[122:123], v[106:107], v[78:79] neg_lo:[0,0,1] neg_hi:[0,0,1]
	v_pk_add_f32 v[76:77], v[76:77], v[86:87]
	s_delay_alu instid0(VALU_DEP_3) | instskip(SKIP_1) | instid1(VALU_DEP_3)
	v_mov_b32_e32 v79, v81
	v_pk_fma_f32 v[80:81], v[144:145], v[140:141], v[84:85] op_sel_hi:[1,0,1]
	v_pk_add_f32 v[76:77], v[76:77], v[82:83]
	v_pk_fma_f32 v[82:83], v[144:145], v[140:141], v[84:85] neg_lo:[0,0,1] neg_hi:[0,0,1]
	s_delay_alu instid0(VALU_DEP_3) | instskip(NEXT) | instid1(VALU_DEP_3)
	v_mov_b32_e32 v83, v81
	v_pk_add_f32 v[76:77], v[76:77], v[78:79]
	s_delay_alu instid0(VALU_DEP_1) | instskip(SKIP_1) | instid1(VALU_DEP_1)
	v_pk_add_f32 v[76:77], v[76:77], v[82:83]
	s_wait_loadcnt 0x0
	v_pk_add_f32 v[76:77], v[142:143], v[76:77] neg_lo:[0,1] neg_hi:[0,1]
	scratch_store_b64 off, v[76:77], off offset:152
	s_wait_xcnt 0x0
	v_cmpx_lt_u32_e32 18, v0
	s_cbranch_execz .LBB36_199
; %bb.198:
	scratch_load_b64 v[76:77], off, off offset:144
	v_mov_b64_e32 v[78:79], 0
	scratch_store_b64 off, v[78:79], off offset:144
	s_wait_loadcnt 0x0
	ds_store_b64 v1, v[76:77]
.LBB36_199:
	s_wait_xcnt 0x0
	s_or_b32 exec_lo, exec_lo, s0
	s_wait_storecnt_dscnt 0x0
	s_barrier_signal -1
	s_barrier_wait -1
	s_clause 0x9
	scratch_load_b128 v[76:79], off, off offset:152
	scratch_load_b128 v[80:83], off, off offset:168
	;; [unrolled: 1-line block ×9, first 2 shown]
	scratch_load_b64 v[148:149], off, off offset:144
	ds_load_2addr_b64 v[112:115], v5 offset0:67 offset1:68
	ds_load_2addr_b64 v[116:119], v5 offset0:69 offset1:70
	ds_load_2addr_b64 v[120:123], v5 offset0:71 offset1:72
	ds_load_2addr_b64 v[124:127], v5 offset0:73 offset1:74
	ds_load_2addr_b64 v[128:131], v5 offset0:57 offset1:58
	ds_load_2addr_b64 v[132:135], v5 offset0:59 offset1:60
	ds_load_2addr_b64 v[136:139], v5 offset0:61 offset1:62
	ds_load_2addr_b64 v[140:143], v5 offset0:63 offset1:64
	ds_load_2addr_b64 v[144:147], v5 offset0:65 offset1:66
	s_mov_b32 s0, exec_lo
	s_wait_dscnt 0x8
	v_dual_mov_b32 v150, v115 :: v_dual_mov_b32 v151, v114
	s_wait_dscnt 0x7
	v_dual_mov_b32 v152, v119 :: v_dual_mov_b32 v153, v118
	s_wait_dscnt 0x6
	v_dual_mov_b32 v154, v123 :: v_dual_mov_b32 v155, v122
	s_wait_dscnt 0x5
	v_dual_mov_b32 v156, v127 :: v_dual_mov_b32 v157, v126
	s_wait_loadcnt_dscnt 0x904
	v_dual_mul_f32 v5, v128, v77 :: v_dual_mul_f32 v7, v130, v79
	v_dual_mul_f32 v23, v129, v77 :: v_dual_mul_f32 v25, v131, v79
	s_wait_loadcnt_dscnt 0x803
	v_dual_mul_f32 v11, v132, v81 :: v_dual_mul_f32 v13, v134, v83
	s_delay_alu instid0(VALU_DEP_2) | instskip(SKIP_3) | instid1(VALU_DEP_3)
	v_dual_fmac_f32 v5, v129, v76 :: v_dual_fma_f32 v23, v128, v76, -v23
	v_dual_mul_f32 v27, v133, v81 :: v_dual_mul_f32 v29, v135, v83
	s_wait_loadcnt_dscnt 0x601
	v_dual_mul_f32 v35, v141, v89 :: v_dual_fmac_f32 v7, v131, v78
	v_dual_fma_f32 v25, v130, v78, -v25 :: v_dual_add_f32 v5, 0, v5
	v_dual_add_f32 v23, 0, v23 :: v_dual_fmac_f32 v11, v133, v80
	v_dual_mul_f32 v37, v143, v91 :: v_dual_fma_f32 v27, v132, v80, -v27
	s_delay_alu instid0(VALU_DEP_2)
	v_dual_add_f32 v5, v5, v7 :: v_dual_add_f32 v7, v23, v25
	v_dual_mul_f32 v15, v136, v85 :: v_dual_mul_f32 v17, v138, v87
	v_dual_mul_f32 v31, v137, v85 :: v_dual_mul_f32 v33, v139, v87
	s_wait_loadcnt_dscnt 0x500
	v_dual_mul_f32 v23, v145, v93 :: v_dual_fmac_f32 v13, v135, v82
	v_dual_fma_f32 v25, v134, v82, -v29 :: v_dual_add_f32 v5, v5, v11
	v_dual_add_f32 v7, v7, v27 :: v_dual_fmac_f32 v15, v137, v84
	v_dual_mul_f32 v11, v147, v95 :: v_dual_fma_f32 v27, v136, v84, -v31
	s_delay_alu instid0(VALU_DEP_3) | instskip(NEXT) | instid1(VALU_DEP_3)
	v_dual_add_f32 v5, v5, v13 :: v_dual_fmac_f32 v17, v139, v86
	v_dual_add_f32 v7, v7, v25 :: v_dual_fma_f32 v13, v138, v86, -v33
	v_dual_mul_f32 v19, v140, v89 :: v_dual_mul_f32 v21, v142, v91
	s_wait_loadcnt 0x4
	s_delay_alu instid0(VALU_DEP_3) | instskip(NEXT) | instid1(VALU_DEP_2)
	v_dual_add_f32 v5, v5, v15 :: v_dual_mov_b32 v78, v99
	v_dual_add_f32 v7, v7, v27 :: v_dual_fmac_f32 v19, v141, v88
	s_delay_alu instid0(VALU_DEP_2) | instskip(SKIP_1) | instid1(VALU_DEP_3)
	v_dual_fma_f32 v15, v140, v88, -v35 :: v_dual_add_f32 v5, v5, v17
	v_dual_mul_f32 v159, v144, v93 :: v_dual_mul_f32 v161, v146, v95
	v_dual_add_f32 v7, v7, v13 :: v_dual_fma_f32 v13, v142, v90, -v37
	s_delay_alu instid0(VALU_DEP_3) | instskip(SKIP_1) | instid1(VALU_DEP_3)
	v_dual_fmac_f32 v21, v143, v90 :: v_dual_add_f32 v5, v5, v19
	v_pk_mul_f32 v[76:77], v[112:113], v[96:97] op_sel:[1,1] op_sel_hi:[0,1]
	v_dual_add_f32 v7, v7, v15 :: v_dual_fmac_f32 v159, v145, v92
	s_wait_loadcnt 0x3
	v_dual_mov_b32 v82, v103 :: v_dual_fma_f32 v158, v144, v92, -v23
	v_dual_add_f32 v85, v5, v21 :: v_dual_fmac_f32 v161, v147, v94
	s_delay_alu instid0(VALU_DEP_3) | instskip(SKIP_3) | instid1(VALU_DEP_4)
	v_dual_add_f32 v84, v7, v13 :: v_dual_fma_f32 v160, v146, v94, -v11
	v_pk_fma_f32 v[86:87], v[112:113], v[96:97], v[76:77] op_sel_hi:[1,0,1]
	v_pk_mul_f32 v[78:79], v[150:151], v[78:79] op_sel_hi:[1,0]
	v_pk_fma_f32 v[76:77], v[112:113], v[96:97], v[76:77] neg_lo:[0,0,1] neg_hi:[0,0,1]
	v_pk_add_f32 v[84:85], v[84:85], v[158:159]
	v_pk_mul_f32 v[80:81], v[116:117], v[100:101] op_sel:[1,1] op_sel_hi:[0,1]
	v_mov_b32_e32 v77, v87
	v_pk_fma_f32 v[86:87], v[114:115], v[98:99], v[78:79] op_sel_hi:[1,0,1]
	v_pk_fma_f32 v[78:79], v[114:115], v[98:99], v[78:79] neg_lo:[0,0,1] neg_hi:[0,0,1]
	v_pk_add_f32 v[84:85], v[84:85], v[160:161]
	v_pk_fma_f32 v[90:91], v[116:117], v[100:101], v[80:81] op_sel_hi:[1,0,1]
	v_pk_mul_f32 v[82:83], v[152:153], v[82:83] op_sel_hi:[1,0]
	v_mov_b32_e32 v79, v87
	s_wait_loadcnt 0x2
	v_pk_mul_f32 v[88:89], v[120:121], v[104:105] op_sel:[1,1] op_sel_hi:[0,1]
	v_pk_add_f32 v[76:77], v[84:85], v[76:77]
	v_mov_b32_e32 v84, v107
	v_pk_fma_f32 v[80:81], v[116:117], v[100:101], v[80:81] neg_lo:[0,0,1] neg_hi:[0,0,1]
	v_mov_b32_e32 v81, v91
	v_pk_fma_f32 v[86:87], v[118:119], v[102:103], v[82:83] op_sel_hi:[1,0,1]
	v_pk_add_f32 v[76:77], v[76:77], v[78:79]
	v_pk_fma_f32 v[78:79], v[120:121], v[104:105], v[88:89] op_sel_hi:[1,0,1]
	v_pk_mul_f32 v[84:85], v[154:155], v[84:85] op_sel_hi:[1,0]
	v_pk_fma_f32 v[82:83], v[118:119], v[102:103], v[82:83] neg_lo:[0,0,1] neg_hi:[0,0,1]
	v_mov_b32_e32 v83, v87
	v_pk_add_f32 v[76:77], v[76:77], v[80:81]
	v_pk_fma_f32 v[86:87], v[120:121], v[104:105], v[88:89] neg_lo:[0,0,1] neg_hi:[0,0,1]
	v_mov_b32_e32 v87, v79
	v_pk_fma_f32 v[78:79], v[122:123], v[106:107], v[84:85] op_sel_hi:[1,0,1]
	s_wait_loadcnt 0x1
	v_pk_mul_f32 v[80:81], v[124:125], v[108:109] op_sel:[1,1] op_sel_hi:[0,1]
	v_pk_add_f32 v[76:77], v[76:77], v[82:83]
	v_mov_b32_e32 v78, v111
	v_pk_fma_f32 v[84:85], v[122:123], v[106:107], v[84:85] neg_lo:[0,0,1] neg_hi:[0,0,1]
	v_mov_b32_e32 v85, v79
	v_pk_fma_f32 v[82:83], v[124:125], v[108:109], v[80:81] op_sel_hi:[1,0,1]
	v_pk_add_f32 v[76:77], v[76:77], v[86:87]
	v_pk_mul_f32 v[78:79], v[156:157], v[78:79] op_sel_hi:[1,0]
	v_pk_fma_f32 v[80:81], v[124:125], v[108:109], v[80:81] neg_lo:[0,0,1] neg_hi:[0,0,1]
	s_delay_alu instid0(VALU_DEP_4) | instskip(NEXT) | instid1(VALU_DEP_4)
	v_mov_b32_e32 v81, v83
	v_pk_add_f32 v[76:77], v[76:77], v[84:85]
	s_delay_alu instid0(VALU_DEP_4) | instskip(SKIP_1) | instid1(VALU_DEP_2)
	v_pk_fma_f32 v[82:83], v[126:127], v[110:111], v[78:79] op_sel_hi:[1,0,1]
	v_pk_fma_f32 v[78:79], v[126:127], v[110:111], v[78:79] neg_lo:[0,0,1] neg_hi:[0,0,1]
	v_mov_b32_e32 v79, v83
	s_delay_alu instid0(VALU_DEP_4) | instskip(NEXT) | instid1(VALU_DEP_1)
	v_pk_add_f32 v[76:77], v[76:77], v[80:81]
	v_pk_add_f32 v[76:77], v[76:77], v[78:79]
	s_wait_loadcnt 0x0
	s_delay_alu instid0(VALU_DEP_1)
	v_pk_add_f32 v[76:77], v[148:149], v[76:77] neg_lo:[0,1] neg_hi:[0,1]
	scratch_store_b64 off, v[76:77], off offset:144
	s_wait_xcnt 0x0
	v_cmpx_lt_u32_e32 17, v0
	s_cbranch_execz .LBB36_201
; %bb.200:
	scratch_load_b64 v[76:77], off, off offset:136
	v_mov_b64_e32 v[78:79], 0
	scratch_store_b64 off, v[78:79], off offset:136
	s_wait_loadcnt 0x0
	ds_store_b64 v1, v[76:77]
.LBB36_201:
	s_wait_xcnt 0x0
	s_or_b32 exec_lo, exec_lo, s0
	s_wait_storecnt_dscnt 0x0
	s_barrier_signal -1
	s_barrier_wait -1
	s_clause 0xa
	scratch_load_b128 v[76:79], off, off offset:144
	scratch_load_b128 v[80:83], off, off offset:160
	;; [unrolled: 1-line block ×9, first 2 shown]
	scratch_load_b64 v[148:149], off, off offset:288
	scratch_load_b64 v[150:151], off, off offset:136
	v_mov_b32_e32 v5, 0
	ds_load_b128 v[112:115], v5 offset:528
	ds_load_b128 v[116:119], v5 offset:544
	;; [unrolled: 1-line block ×9, first 2 shown]
	ds_load_b64 v[152:153], v5 offset:592
	s_mov_b32 s0, exec_lo
	s_wait_dscnt 0x9
	v_dual_mov_b32 v154, v115 :: v_dual_mov_b32 v155, v114
	s_wait_dscnt 0x6
	v_dual_mov_b32 v156, v119 :: v_dual_mov_b32 v161, v126
	v_dual_mov_b32 v157, v118 :: v_dual_mov_b32 v158, v123
	;; [unrolled: 1-line block ×3, first 2 shown]
	s_wait_loadcnt_dscnt 0xa05
	v_dual_mul_f32 v7, v128, v77 :: v_dual_mul_f32 v27, v129, v77
	v_dual_mul_f32 v29, v131, v79 :: v_dual_mul_f32 v11, v130, v79
	s_wait_loadcnt_dscnt 0x904
	v_mul_f32_e32 v13, v132, v81
	s_wait_loadcnt_dscnt 0x702
	v_dual_mul_f32 v39, v141, v89 :: v_dual_fma_f32 v27, v128, v76, -v27
	v_dual_fmac_f32 v7, v129, v76 :: v_dual_mul_f32 v41, v143, v91
	v_dual_mul_f32 v31, v133, v81 :: v_dual_mul_f32 v33, v135, v83
	v_dual_fmac_f32 v11, v131, v78 :: v_dual_fma_f32 v29, v130, v78, -v29
	s_wait_loadcnt_dscnt 0x601
	s_delay_alu instid0(VALU_DEP_3) | instskip(SKIP_2) | instid1(VALU_DEP_3)
	v_dual_add_f32 v7, 0, v7 :: v_dual_mul_f32 v43, v145, v93
	v_dual_add_f32 v27, 0, v27 :: v_dual_fmac_f32 v13, v133, v80
	v_dual_mul_f32 v15, v134, v83 :: v_dual_mul_f32 v17, v136, v85
	v_dual_fma_f32 v31, v132, v80, -v31 :: v_dual_add_f32 v7, v7, v11
	s_delay_alu instid0(VALU_DEP_3) | instskip(SKIP_1) | instid1(VALU_DEP_4)
	v_dual_add_f32 v11, v27, v29 :: v_dual_fma_f32 v29, v134, v82, -v33
	v_dual_mul_f32 v35, v137, v85 :: v_dual_mul_f32 v37, v139, v87
	v_dual_fmac_f32 v15, v135, v82 :: v_dual_fmac_f32 v17, v137, v84
	s_delay_alu instid0(VALU_DEP_4) | instskip(NEXT) | instid1(VALU_DEP_4)
	v_add_f32_e32 v7, v7, v13
	v_add_f32_e32 v11, v11, v31
	v_dual_mul_f32 v19, v138, v87 :: v_dual_mul_f32 v21, v140, v89
	s_delay_alu instid0(VALU_DEP_3) | instskip(NEXT) | instid1(VALU_DEP_3)
	v_dual_fma_f32 v31, v136, v84, -v35 :: v_dual_add_f32 v7, v7, v15
	v_dual_fma_f32 v15, v138, v86, -v37 :: v_dual_add_f32 v11, v11, v29
	v_dual_mul_f32 v23, v142, v91 :: v_dual_mul_f32 v25, v144, v93
	s_wait_loadcnt 0x4
	v_dual_mov_b32 v76, v99 :: v_dual_mov_b32 v80, v103
	v_dual_fmac_f32 v19, v139, v86 :: v_dual_fmac_f32 v21, v141, v88
	v_dual_add_f32 v7, v7, v17 :: v_dual_fma_f32 v17, v140, v88, -v39
	v_add_f32_e32 v11, v11, v31
	v_dual_mul_f32 v163, v146, v95 :: v_dual_mul_f32 v165, v112, v97
	v_dual_mul_f32 v27, v147, v95 :: v_dual_mul_f32 v13, v113, v97
	s_delay_alu instid0(VALU_DEP_3) | instskip(SKIP_1) | instid1(VALU_DEP_3)
	v_dual_add_f32 v11, v11, v15 :: v_dual_fma_f32 v15, v142, v90, -v41
	v_dual_fmac_f32 v25, v145, v92 :: v_dual_add_f32 v7, v7, v19
	v_fma_f32 v162, v146, v94, -v27
	v_pk_mul_f32 v[76:77], v[154:155], v[76:77] op_sel_hi:[1,0]
	v_dual_fmac_f32 v23, v143, v90 :: v_dual_fma_f32 v164, v112, v96, -v13
	v_dual_fmac_f32 v165, v113, v96 :: v_dual_add_f32 v11, v11, v17
	s_delay_alu instid0(VALU_DEP_3) | instskip(SKIP_2) | instid1(VALU_DEP_4)
	v_pk_fma_f32 v[88:89], v[114:115], v[98:99], v[76:77] op_sel_hi:[1,0,1]
	v_add_f32_e32 v7, v7, v21
	v_pk_fma_f32 v[76:77], v[114:115], v[98:99], v[76:77] neg_lo:[0,0,1] neg_hi:[0,0,1]
	v_dual_fma_f32 v17, v144, v92, -v43 :: v_dual_add_f32 v11, v11, v15
	s_delay_alu instid0(VALU_DEP_3) | instskip(SKIP_2) | instid1(VALU_DEP_4)
	v_dual_mov_b32 v77, v89 :: v_dual_add_f32 v7, v7, v23
	v_fmac_f32_e32 v163, v147, v94
	v_pk_mul_f32 v[78:79], v[116:117], v[100:101] op_sel:[1,1] op_sel_hi:[0,1]
	v_add_f32_e32 v84, v11, v17
	v_pk_mul_f32 v[80:81], v[156:157], v[80:81] op_sel_hi:[1,0]
	v_add_f32_e32 v85, v7, v25
	s_wait_loadcnt 0x3
	v_pk_mul_f32 v[82:83], v[120:121], v[104:105] op_sel:[1,1] op_sel_hi:[0,1]
	v_pk_fma_f32 v[90:91], v[116:117], v[100:101], v[78:79] op_sel_hi:[1,0,1]
	v_pk_fma_f32 v[78:79], v[116:117], v[100:101], v[78:79] neg_lo:[0,0,1] neg_hi:[0,0,1]
	v_mov_b32_e32 v86, v107
	v_pk_add_f32 v[84:85], v[84:85], v[162:163]
	s_wait_loadcnt 0x2
	v_pk_mul_f32 v[88:89], v[124:125], v[108:109] op_sel:[1,1] op_sel_hi:[0,1]
	v_mov_b32_e32 v79, v91
	v_pk_fma_f32 v[90:91], v[118:119], v[102:103], v[80:81] op_sel_hi:[1,0,1]
	v_pk_fma_f32 v[80:81], v[118:119], v[102:103], v[80:81] neg_lo:[0,0,1] neg_hi:[0,0,1]
	v_pk_add_f32 v[84:85], v[84:85], v[164:165]
	v_pk_mul_f32 v[86:87], v[158:159], v[86:87] op_sel_hi:[1,0]
	s_delay_alu instid0(VALU_DEP_4) | instskip(NEXT) | instid1(VALU_DEP_3)
	v_mov_b32_e32 v81, v91
	v_pk_add_f32 v[76:77], v[84:85], v[76:77]
	v_pk_fma_f32 v[84:85], v[120:121], v[104:105], v[82:83] op_sel_hi:[1,0,1]
	v_pk_fma_f32 v[82:83], v[120:121], v[104:105], v[82:83] neg_lo:[0,0,1] neg_hi:[0,0,1]
	s_delay_alu instid0(VALU_DEP_3) | instskip(NEXT) | instid1(VALU_DEP_3)
	v_pk_add_f32 v[76:77], v[76:77], v[78:79]
	v_dual_mov_b32 v78, v111 :: v_dual_mov_b32 v83, v85
	v_pk_fma_f32 v[84:85], v[122:123], v[106:107], v[86:87] op_sel_hi:[1,0,1]
	v_pk_fma_f32 v[86:87], v[122:123], v[106:107], v[86:87] neg_lo:[0,0,1] neg_hi:[0,0,1]
	s_delay_alu instid0(VALU_DEP_4)
	v_pk_add_f32 v[76:77], v[76:77], v[80:81]
	v_pk_fma_f32 v[80:81], v[124:125], v[108:109], v[88:89] op_sel_hi:[1,0,1]
	v_pk_mul_f32 v[78:79], v[160:161], v[78:79] op_sel_hi:[1,0]
	v_mov_b32_e32 v87, v85
	s_wait_loadcnt_dscnt 0x100
	v_pk_mul_f32 v[84:85], v[152:153], v[148:149] op_sel:[1,1] op_sel_hi:[0,1]
	v_pk_add_f32 v[76:77], v[76:77], v[82:83]
	v_pk_fma_f32 v[82:83], v[124:125], v[108:109], v[88:89] neg_lo:[0,0,1] neg_hi:[0,0,1]
	v_mov_b32_e32 v83, v81
	v_pk_fma_f32 v[80:81], v[126:127], v[110:111], v[78:79] op_sel_hi:[1,0,1]
	v_pk_fma_f32 v[78:79], v[126:127], v[110:111], v[78:79] neg_lo:[0,0,1] neg_hi:[0,0,1]
	v_pk_add_f32 v[76:77], v[76:77], v[86:87]
	s_delay_alu instid0(VALU_DEP_3) | instskip(SKIP_1) | instid1(VALU_DEP_3)
	v_mov_b32_e32 v79, v81
	v_pk_fma_f32 v[80:81], v[152:153], v[148:149], v[84:85] op_sel_hi:[1,0,1]
	v_pk_add_f32 v[76:77], v[76:77], v[82:83]
	v_pk_fma_f32 v[82:83], v[152:153], v[148:149], v[84:85] neg_lo:[0,0,1] neg_hi:[0,0,1]
	s_delay_alu instid0(VALU_DEP_3) | instskip(NEXT) | instid1(VALU_DEP_3)
	v_mov_b32_e32 v83, v81
	v_pk_add_f32 v[76:77], v[76:77], v[78:79]
	s_delay_alu instid0(VALU_DEP_1) | instskip(SKIP_1) | instid1(VALU_DEP_1)
	v_pk_add_f32 v[76:77], v[76:77], v[82:83]
	s_wait_loadcnt 0x0
	v_pk_add_f32 v[76:77], v[150:151], v[76:77] neg_lo:[0,1] neg_hi:[0,1]
	scratch_store_b64 off, v[76:77], off offset:136
	s_wait_xcnt 0x0
	v_cmpx_lt_u32_e32 16, v0
	s_cbranch_execz .LBB36_203
; %bb.202:
	scratch_load_b64 v[76:77], off, off offset:128
	v_mov_b64_e32 v[78:79], 0
	scratch_store_b64 off, v[78:79], off offset:128
	s_wait_loadcnt 0x0
	ds_store_b64 v1, v[76:77]
.LBB36_203:
	s_wait_xcnt 0x0
	s_or_b32 exec_lo, exec_lo, s0
	s_wait_storecnt_dscnt 0x0
	s_barrier_signal -1
	s_barrier_wait -1
	s_clause 0xa
	scratch_load_b128 v[76:79], off, off offset:136
	scratch_load_b128 v[80:83], off, off offset:152
	;; [unrolled: 1-line block ×10, first 2 shown]
	scratch_load_b64 v[156:157], off, off offset:128
	ds_load_2addr_b64 v[116:119], v5 offset0:67 offset1:68
	ds_load_2addr_b64 v[120:123], v5 offset0:69 offset1:70
	;; [unrolled: 1-line block ×10, first 2 shown]
	s_mov_b32 s0, exec_lo
	s_wait_dscnt 0x9
	v_dual_mov_b32 v158, v119 :: v_dual_mov_b32 v159, v118
	s_wait_dscnt 0x8
	v_dual_mov_b32 v160, v123 :: v_dual_mov_b32 v161, v122
	;; [unrolled: 2-line block ×4, first 2 shown]
	s_wait_loadcnt_dscnt 0xa05
	v_dual_mul_f32 v5, v132, v77 :: v_dual_mul_f32 v7, v134, v79
	v_dual_mul_f32 v27, v133, v77 :: v_dual_mul_f32 v29, v135, v79
	s_wait_loadcnt_dscnt 0x904
	v_dual_mul_f32 v11, v136, v81 :: v_dual_mul_f32 v13, v138, v83
	s_delay_alu instid0(VALU_DEP_2) | instskip(SKIP_3) | instid1(VALU_DEP_3)
	v_dual_fmac_f32 v5, v133, v76 :: v_dual_fma_f32 v27, v132, v76, -v27
	v_dual_mul_f32 v31, v137, v81 :: v_dual_mul_f32 v33, v139, v83
	s_wait_loadcnt_dscnt 0x702
	v_dual_mul_f32 v39, v145, v89 :: v_dual_fmac_f32 v7, v135, v78
	v_dual_fma_f32 v29, v134, v78, -v29 :: v_dual_add_f32 v5, 0, v5
	v_dual_add_f32 v27, 0, v27 :: v_dual_fmac_f32 v11, v137, v80
	v_dual_mul_f32 v41, v147, v91 :: v_dual_fma_f32 v31, v136, v80, -v31
	s_delay_alu instid0(VALU_DEP_2)
	v_dual_add_f32 v5, v5, v7 :: v_dual_add_f32 v7, v27, v29
	v_dual_mul_f32 v15, v140, v85 :: v_dual_mul_f32 v17, v142, v87
	v_dual_mul_f32 v35, v141, v85 :: v_dual_mul_f32 v37, v143, v87
	s_wait_loadcnt_dscnt 0x601
	v_dual_mul_f32 v27, v149, v93 :: v_dual_fmac_f32 v13, v139, v82
	v_dual_fma_f32 v29, v138, v82, -v33 :: v_dual_add_f32 v5, v5, v11
	v_dual_add_f32 v7, v7, v31 :: v_dual_fmac_f32 v15, v141, v84
	v_dual_mul_f32 v11, v151, v95 :: v_dual_fma_f32 v31, v140, v84, -v35
	s_delay_alu instid0(VALU_DEP_3) | instskip(NEXT) | instid1(VALU_DEP_3)
	v_dual_add_f32 v5, v5, v13 :: v_dual_fmac_f32 v17, v143, v86
	v_dual_add_f32 v7, v7, v29 :: v_dual_fma_f32 v29, v142, v86, -v37
	v_dual_mul_f32 v19, v144, v89 :: v_dual_mul_f32 v21, v146, v91
	s_wait_loadcnt_dscnt 0x500
	s_delay_alu instid0(VALU_DEP_2) | instskip(SKIP_1) | instid1(VALU_DEP_3)
	v_dual_mul_f32 v13, v153, v97 :: v_dual_add_f32 v7, v7, v31
	v_dual_add_f32 v5, v5, v15 :: v_dual_fma_f32 v31, v144, v88, -v39
	v_dual_mul_f32 v15, v155, v99 :: v_dual_fmac_f32 v19, v145, v88
	s_delay_alu instid0(VALU_DEP_3) | instskip(NEXT) | instid1(VALU_DEP_3)
	v_add_f32_e32 v7, v7, v29
	v_dual_add_f32 v5, v5, v17 :: v_dual_fmac_f32 v21, v147, v90
	v_dual_mul_f32 v23, v148, v93 :: v_dual_mul_f32 v25, v150, v95
	s_delay_alu instid0(VALU_DEP_2) | instskip(SKIP_2) | instid1(VALU_DEP_3)
	v_dual_fma_f32 v17, v146, v90, -v41 :: v_dual_add_f32 v5, v5, v19
	s_wait_loadcnt 0x4
	v_mov_b32_e32 v78, v103
	v_dual_add_f32 v7, v7, v31 :: v_dual_fmac_f32 v23, v149, v92
	s_delay_alu instid0(VALU_DEP_3) | instskip(SKIP_1) | instid1(VALU_DEP_3)
	v_dual_fma_f32 v19, v148, v92, -v27 :: v_dual_add_f32 v5, v5, v21
	v_dual_mul_f32 v167, v152, v97 :: v_dual_mul_f32 v169, v154, v99
	v_dual_add_f32 v7, v7, v17 :: v_dual_fma_f32 v11, v150, v94, -v11
	s_delay_alu instid0(VALU_DEP_3) | instskip(SKIP_1) | instid1(VALU_DEP_3)
	v_dual_fmac_f32 v25, v151, v94 :: v_dual_add_f32 v5, v5, v23
	v_pk_mul_f32 v[76:77], v[116:117], v[100:101] op_sel:[1,1] op_sel_hi:[0,1]
	v_dual_add_f32 v7, v7, v19 :: v_dual_fmac_f32 v167, v153, v96
	s_wait_loadcnt 0x3
	v_dual_mov_b32 v82, v107 :: v_dual_fma_f32 v166, v152, v96, -v13
	s_delay_alu instid0(VALU_DEP_2) | instskip(SKIP_3) | instid1(VALU_DEP_4)
	v_dual_add_f32 v85, v5, v25 :: v_dual_add_f32 v84, v7, v11
	v_dual_fmac_f32 v169, v155, v98 :: v_dual_fma_f32 v168, v154, v98, -v15
	v_pk_fma_f32 v[86:87], v[116:117], v[100:101], v[76:77] op_sel_hi:[1,0,1]
	v_pk_mul_f32 v[78:79], v[158:159], v[78:79] op_sel_hi:[1,0]
	v_pk_add_f32 v[84:85], v[84:85], v[166:167]
	v_pk_fma_f32 v[76:77], v[116:117], v[100:101], v[76:77] neg_lo:[0,0,1] neg_hi:[0,0,1]
	v_pk_mul_f32 v[80:81], v[120:121], v[104:105] op_sel:[1,1] op_sel_hi:[0,1]
	v_mov_b32_e32 v77, v87
	v_pk_fma_f32 v[86:87], v[118:119], v[102:103], v[78:79] op_sel_hi:[1,0,1]
	v_pk_add_f32 v[84:85], v[84:85], v[168:169]
	v_pk_fma_f32 v[78:79], v[118:119], v[102:103], v[78:79] neg_lo:[0,0,1] neg_hi:[0,0,1]
	v_pk_fma_f32 v[90:91], v[120:121], v[104:105], v[80:81] op_sel_hi:[1,0,1]
	v_pk_mul_f32 v[82:83], v[160:161], v[82:83] op_sel_hi:[1,0]
	v_mov_b32_e32 v79, v87
	v_pk_add_f32 v[76:77], v[84:85], v[76:77]
	s_wait_loadcnt 0x2
	v_pk_mul_f32 v[88:89], v[124:125], v[108:109] op_sel:[1,1] op_sel_hi:[0,1]
	v_mov_b32_e32 v84, v111
	v_pk_fma_f32 v[80:81], v[120:121], v[104:105], v[80:81] neg_lo:[0,0,1] neg_hi:[0,0,1]
	v_mov_b32_e32 v81, v91
	v_pk_fma_f32 v[86:87], v[122:123], v[106:107], v[82:83] op_sel_hi:[1,0,1]
	v_pk_add_f32 v[76:77], v[76:77], v[78:79]
	v_pk_fma_f32 v[78:79], v[124:125], v[108:109], v[88:89] op_sel_hi:[1,0,1]
	v_pk_mul_f32 v[84:85], v[162:163], v[84:85] op_sel_hi:[1,0]
	v_pk_fma_f32 v[82:83], v[122:123], v[106:107], v[82:83] neg_lo:[0,0,1] neg_hi:[0,0,1]
	v_mov_b32_e32 v83, v87
	v_pk_add_f32 v[76:77], v[76:77], v[80:81]
	v_pk_fma_f32 v[86:87], v[124:125], v[108:109], v[88:89] neg_lo:[0,0,1] neg_hi:[0,0,1]
	v_mov_b32_e32 v87, v79
	v_pk_fma_f32 v[78:79], v[126:127], v[110:111], v[84:85] op_sel_hi:[1,0,1]
	s_wait_loadcnt 0x1
	v_pk_mul_f32 v[80:81], v[128:129], v[112:113] op_sel:[1,1] op_sel_hi:[0,1]
	v_pk_add_f32 v[76:77], v[76:77], v[82:83]
	v_mov_b32_e32 v78, v115
	v_pk_fma_f32 v[84:85], v[126:127], v[110:111], v[84:85] neg_lo:[0,0,1] neg_hi:[0,0,1]
	v_mov_b32_e32 v85, v79
	v_pk_fma_f32 v[82:83], v[128:129], v[112:113], v[80:81] op_sel_hi:[1,0,1]
	v_pk_add_f32 v[76:77], v[76:77], v[86:87]
	v_pk_mul_f32 v[78:79], v[164:165], v[78:79] op_sel_hi:[1,0]
	v_pk_fma_f32 v[80:81], v[128:129], v[112:113], v[80:81] neg_lo:[0,0,1] neg_hi:[0,0,1]
	s_delay_alu instid0(VALU_DEP_4) | instskip(NEXT) | instid1(VALU_DEP_4)
	v_mov_b32_e32 v81, v83
	v_pk_add_f32 v[76:77], v[76:77], v[84:85]
	s_delay_alu instid0(VALU_DEP_4) | instskip(SKIP_1) | instid1(VALU_DEP_2)
	v_pk_fma_f32 v[82:83], v[130:131], v[114:115], v[78:79] op_sel_hi:[1,0,1]
	v_pk_fma_f32 v[78:79], v[130:131], v[114:115], v[78:79] neg_lo:[0,0,1] neg_hi:[0,0,1]
	v_mov_b32_e32 v79, v83
	s_delay_alu instid0(VALU_DEP_4) | instskip(NEXT) | instid1(VALU_DEP_1)
	v_pk_add_f32 v[76:77], v[76:77], v[80:81]
	v_pk_add_f32 v[76:77], v[76:77], v[78:79]
	s_wait_loadcnt 0x0
	s_delay_alu instid0(VALU_DEP_1)
	v_pk_add_f32 v[76:77], v[156:157], v[76:77] neg_lo:[0,1] neg_hi:[0,1]
	scratch_store_b64 off, v[76:77], off offset:128
	s_wait_xcnt 0x0
	v_cmpx_lt_u32_e32 15, v0
	s_cbranch_execz .LBB36_205
; %bb.204:
	scratch_load_b64 v[76:77], off, off offset:120
	v_mov_b64_e32 v[78:79], 0
	scratch_store_b64 off, v[78:79], off offset:120
	s_wait_loadcnt 0x0
	ds_store_b64 v1, v[76:77]
.LBB36_205:
	s_wait_xcnt 0x0
	s_or_b32 exec_lo, exec_lo, s0
	s_wait_storecnt_dscnt 0x0
	s_barrier_signal -1
	s_barrier_wait -1
	s_clause 0xb
	scratch_load_b128 v[76:79], off, off offset:128
	scratch_load_b128 v[80:83], off, off offset:144
	;; [unrolled: 1-line block ×10, first 2 shown]
	scratch_load_b64 v[156:157], off, off offset:288
	scratch_load_b64 v[158:159], off, off offset:120
	v_mov_b32_e32 v5, 0
	ds_load_b128 v[116:119], v5 offset:528
	ds_load_b128 v[120:123], v5 offset:544
	;; [unrolled: 1-line block ×10, first 2 shown]
	ds_load_b64 v[160:161], v5 offset:592
	s_mov_b32 s0, exec_lo
	s_wait_dscnt 0xa
	v_dual_mov_b32 v162, v119 :: v_dual_mov_b32 v163, v118
	s_wait_dscnt 0x7
	v_dual_mov_b32 v164, v123 :: v_dual_mov_b32 v169, v130
	v_dual_mov_b32 v165, v122 :: v_dual_mov_b32 v166, v127
	;; [unrolled: 1-line block ×3, first 2 shown]
	s_wait_loadcnt_dscnt 0xb06
	v_dual_mul_f32 v7, v132, v77 :: v_dual_mul_f32 v11, v134, v79
	s_wait_loadcnt_dscnt 0xa05
	v_mul_f32_e32 v13, v136, v81
	v_dual_mul_f32 v31, v133, v77 :: v_dual_mul_f32 v33, v135, v79
	s_wait_loadcnt_dscnt 0x803
	v_dual_fmac_f32 v7, v133, v76 :: v_dual_mul_f32 v45, v147, v91
	v_dual_mul_f32 v35, v137, v81 :: v_dual_mul_f32 v37, v139, v83
	s_delay_alu instid0(VALU_DEP_3)
	v_dual_mul_f32 v43, v145, v89 :: v_dual_fma_f32 v31, v132, v76, -v31
	v_dual_fmac_f32 v11, v135, v78 :: v_dual_fma_f32 v33, v134, v78, -v33
	s_wait_loadcnt_dscnt 0x702
	v_dual_add_f32 v7, 0, v7 :: v_dual_mul_f32 v47, v149, v93
	v_dual_mul_f32 v15, v138, v83 :: v_dual_mul_f32 v17, v140, v85
	v_dual_add_f32 v31, 0, v31 :: v_dual_fmac_f32 v13, v137, v80
	s_delay_alu instid0(VALU_DEP_3) | instskip(SKIP_1) | instid1(VALU_DEP_3)
	v_dual_fma_f32 v35, v136, v80, -v35 :: v_dual_add_f32 v7, v7, v11
	v_dual_mul_f32 v39, v141, v85 :: v_dual_mul_f32 v41, v143, v87
	v_dual_add_f32 v11, v31, v33 :: v_dual_fma_f32 v33, v138, v82, -v37
	v_dual_fmac_f32 v15, v139, v82 :: v_dual_fmac_f32 v17, v141, v84
	s_delay_alu instid0(VALU_DEP_4) | instskip(NEXT) | instid1(VALU_DEP_3)
	v_dual_add_f32 v7, v7, v13 :: v_dual_mul_f32 v19, v142, v87
	v_dual_mul_f32 v21, v144, v89 :: v_dual_add_f32 v11, v11, v35
	s_delay_alu instid0(VALU_DEP_2) | instskip(SKIP_1) | instid1(VALU_DEP_3)
	v_dual_fma_f32 v35, v140, v84, -v39 :: v_dual_add_f32 v7, v7, v15
	v_dual_mul_f32 v23, v146, v91 :: v_dual_mul_f32 v25, v148, v93
	v_dual_add_f32 v11, v11, v33 :: v_dual_fmac_f32 v21, v145, v88
	v_fmac_f32_e32 v19, v143, v86
	s_delay_alu instid0(VALU_DEP_4) | instskip(SKIP_3) | instid1(VALU_DEP_3)
	v_add_f32_e32 v7, v7, v17
	s_wait_loadcnt_dscnt 0x601
	v_dual_mul_f32 v31, v151, v95 :: v_dual_mul_f32 v13, v153, v97
	v_dual_fma_f32 v33, v142, v86, -v41 :: v_dual_add_f32 v11, v11, v35
	v_dual_fmac_f32 v25, v149, v92 :: v_dual_add_f32 v7, v7, v19
	v_dual_mul_f32 v27, v150, v95 :: v_dual_mul_f32 v29, v152, v97
	v_dual_mul_f32 v15, v155, v99 :: v_dual_fma_f32 v35, v144, v88, -v43
	s_wait_loadcnt 0x4
	v_dual_mov_b32 v76, v103 :: v_dual_mov_b32 v80, v107
	s_delay_alu instid0(VALU_DEP_2) | instskip(SKIP_4) | instid1(VALU_DEP_4)
	v_dual_add_f32 v7, v7, v21 :: v_dual_fma_f32 v170, v154, v98, -v15
	v_dual_fma_f32 v21, v148, v92, -v47 :: v_dual_add_f32 v11, v11, v33
	v_dual_fmac_f32 v29, v153, v96 :: v_dual_mul_f32 v171, v154, v99
	v_dual_mul_f32 v173, v116, v101 :: v_dual_fmac_f32 v23, v147, v90
	v_fma_f32 v13, v152, v96, -v13
	v_dual_fma_f32 v19, v146, v90, -v45 :: v_dual_add_f32 v11, v11, v35
	s_delay_alu instid0(VALU_DEP_3) | instskip(SKIP_4) | instid1(VALU_DEP_4)
	v_fmac_f32_e32 v173, v117, v100
	v_pk_mul_f32 v[76:77], v[162:163], v[76:77] op_sel_hi:[1,0]
	v_dual_mul_f32 v17, v117, v101 :: v_dual_add_f32 v7, v7, v23
	v_fmac_f32_e32 v27, v151, v94
	v_fmac_f32_e32 v171, v155, v98
	v_pk_fma_f32 v[88:89], v[118:119], v[102:103], v[76:77] op_sel_hi:[1,0,1]
	v_add_f32_e32 v11, v11, v19
	v_pk_fma_f32 v[76:77], v[118:119], v[102:103], v[76:77] neg_lo:[0,0,1] neg_hi:[0,0,1]
	v_dual_fma_f32 v19, v150, v94, -v31 :: v_dual_fma_f32 v172, v116, v100, -v17
	s_delay_alu instid0(VALU_DEP_4) | instskip(NEXT) | instid1(VALU_DEP_4)
	v_dual_add_f32 v7, v7, v25 :: v_dual_mov_b32 v77, v89
	v_add_f32_e32 v11, v11, v21
	v_pk_mul_f32 v[78:79], v[120:121], v[104:105] op_sel:[1,1] op_sel_hi:[0,1]
	v_pk_mul_f32 v[80:81], v[164:165], v[80:81] op_sel_hi:[1,0]
	s_delay_alu instid0(VALU_DEP_4)
	v_add_f32_e32 v7, v7, v27
	s_wait_loadcnt 0x3
	v_pk_mul_f32 v[82:83], v[124:125], v[108:109] op_sel:[1,1] op_sel_hi:[0,1]
	v_add_f32_e32 v11, v11, v19
	v_pk_fma_f32 v[90:91], v[120:121], v[104:105], v[78:79] op_sel_hi:[1,0,1]
	v_pk_fma_f32 v[78:79], v[120:121], v[104:105], v[78:79] neg_lo:[0,0,1] neg_hi:[0,0,1]
	v_add_f32_e32 v85, v7, v29
	v_mov_b32_e32 v86, v111
	v_add_f32_e32 v84, v11, v13
	v_mov_b32_e32 v79, v91
	v_pk_fma_f32 v[90:91], v[122:123], v[106:107], v[80:81] op_sel_hi:[1,0,1]
	v_pk_fma_f32 v[80:81], v[122:123], v[106:107], v[80:81] neg_lo:[0,0,1] neg_hi:[0,0,1]
	v_pk_mul_f32 v[86:87], v[166:167], v[86:87] op_sel_hi:[1,0]
	v_pk_add_f32 v[84:85], v[84:85], v[170:171]
	s_wait_loadcnt 0x2
	v_pk_mul_f32 v[88:89], v[128:129], v[112:113] op_sel:[1,1] op_sel_hi:[0,1]
	v_mov_b32_e32 v81, v91
	s_delay_alu instid0(VALU_DEP_3) | instskip(NEXT) | instid1(VALU_DEP_1)
	v_pk_add_f32 v[84:85], v[84:85], v[172:173]
	v_pk_add_f32 v[76:77], v[84:85], v[76:77]
	v_pk_fma_f32 v[84:85], v[124:125], v[108:109], v[82:83] op_sel_hi:[1,0,1]
	v_pk_fma_f32 v[82:83], v[124:125], v[108:109], v[82:83] neg_lo:[0,0,1] neg_hi:[0,0,1]
	s_delay_alu instid0(VALU_DEP_3) | instskip(NEXT) | instid1(VALU_DEP_3)
	v_pk_add_f32 v[76:77], v[76:77], v[78:79]
	v_dual_mov_b32 v78, v115 :: v_dual_mov_b32 v83, v85
	v_pk_fma_f32 v[84:85], v[126:127], v[110:111], v[86:87] op_sel_hi:[1,0,1]
	v_pk_fma_f32 v[86:87], v[126:127], v[110:111], v[86:87] neg_lo:[0,0,1] neg_hi:[0,0,1]
	s_delay_alu instid0(VALU_DEP_4)
	v_pk_add_f32 v[76:77], v[76:77], v[80:81]
	v_pk_fma_f32 v[80:81], v[128:129], v[112:113], v[88:89] op_sel_hi:[1,0,1]
	v_pk_mul_f32 v[78:79], v[168:169], v[78:79] op_sel_hi:[1,0]
	v_mov_b32_e32 v87, v85
	s_wait_loadcnt_dscnt 0x100
	v_pk_mul_f32 v[84:85], v[160:161], v[156:157] op_sel:[1,1] op_sel_hi:[0,1]
	v_pk_add_f32 v[76:77], v[76:77], v[82:83]
	v_pk_fma_f32 v[82:83], v[128:129], v[112:113], v[88:89] neg_lo:[0,0,1] neg_hi:[0,0,1]
	v_mov_b32_e32 v83, v81
	v_pk_fma_f32 v[80:81], v[130:131], v[114:115], v[78:79] op_sel_hi:[1,0,1]
	v_pk_fma_f32 v[78:79], v[130:131], v[114:115], v[78:79] neg_lo:[0,0,1] neg_hi:[0,0,1]
	v_pk_add_f32 v[76:77], v[76:77], v[86:87]
	s_delay_alu instid0(VALU_DEP_3) | instskip(SKIP_1) | instid1(VALU_DEP_3)
	v_mov_b32_e32 v79, v81
	v_pk_fma_f32 v[80:81], v[160:161], v[156:157], v[84:85] op_sel_hi:[1,0,1]
	v_pk_add_f32 v[76:77], v[76:77], v[82:83]
	v_pk_fma_f32 v[82:83], v[160:161], v[156:157], v[84:85] neg_lo:[0,0,1] neg_hi:[0,0,1]
	s_delay_alu instid0(VALU_DEP_3) | instskip(NEXT) | instid1(VALU_DEP_3)
	v_mov_b32_e32 v83, v81
	v_pk_add_f32 v[76:77], v[76:77], v[78:79]
	s_delay_alu instid0(VALU_DEP_1) | instskip(SKIP_1) | instid1(VALU_DEP_1)
	v_pk_add_f32 v[76:77], v[76:77], v[82:83]
	s_wait_loadcnt 0x0
	v_pk_add_f32 v[76:77], v[158:159], v[76:77] neg_lo:[0,1] neg_hi:[0,1]
	scratch_store_b64 off, v[76:77], off offset:120
	s_wait_xcnt 0x0
	v_cmpx_lt_u32_e32 14, v0
	s_cbranch_execz .LBB36_207
; %bb.206:
	scratch_load_b64 v[76:77], off, off offset:112
	v_mov_b64_e32 v[78:79], 0
	scratch_store_b64 off, v[78:79], off offset:112
	s_wait_loadcnt 0x0
	ds_store_b64 v1, v[76:77]
.LBB36_207:
	s_wait_xcnt 0x0
	s_or_b32 exec_lo, exec_lo, s0
	s_wait_storecnt_dscnt 0x0
	s_barrier_signal -1
	s_barrier_wait -1
	s_clause 0xb
	scratch_load_b128 v[76:79], off, off offset:120
	scratch_load_b128 v[80:83], off, off offset:136
	;; [unrolled: 1-line block ×11, first 2 shown]
	scratch_load_b64 v[164:165], off, off offset:112
	ds_load_2addr_b64 v[120:123], v5 offset0:67 offset1:68
	ds_load_2addr_b64 v[124:127], v5 offset0:69 offset1:70
	;; [unrolled: 1-line block ×11, first 2 shown]
	s_mov_b32 s0, exec_lo
	s_wait_dscnt 0xa
	v_dual_mov_b32 v166, v123 :: v_dual_mov_b32 v167, v122
	s_wait_dscnt 0x9
	v_dual_mov_b32 v168, v127 :: v_dual_mov_b32 v169, v126
	;; [unrolled: 2-line block ×4, first 2 shown]
	s_wait_loadcnt_dscnt 0xb06
	v_dual_mul_f32 v5, v136, v77 :: v_dual_mul_f32 v7, v138, v79
	v_dual_mul_f32 v31, v137, v77 :: v_dual_mul_f32 v33, v139, v79
	s_wait_loadcnt_dscnt 0xa05
	v_dual_mul_f32 v11, v140, v81 :: v_dual_mul_f32 v13, v142, v83
	s_delay_alu instid0(VALU_DEP_2) | instskip(SKIP_3) | instid1(VALU_DEP_3)
	v_dual_fmac_f32 v5, v137, v76 :: v_dual_fma_f32 v31, v136, v76, -v31
	v_dual_mul_f32 v35, v141, v81 :: v_dual_mul_f32 v37, v143, v83
	s_wait_loadcnt_dscnt 0x803
	v_dual_mul_f32 v43, v149, v89 :: v_dual_fmac_f32 v7, v139, v78
	v_dual_fma_f32 v33, v138, v78, -v33 :: v_dual_add_f32 v5, 0, v5
	v_dual_add_f32 v31, 0, v31 :: v_dual_fmac_f32 v11, v141, v80
	v_dual_mul_f32 v45, v151, v91 :: v_dual_fma_f32 v35, v140, v80, -v35
	s_delay_alu instid0(VALU_DEP_2)
	v_dual_add_f32 v5, v5, v7 :: v_dual_add_f32 v7, v31, v33
	v_dual_mul_f32 v15, v144, v85 :: v_dual_mul_f32 v17, v146, v87
	v_dual_mul_f32 v39, v145, v85 :: v_dual_mul_f32 v41, v147, v87
	s_wait_loadcnt_dscnt 0x702
	v_dual_mul_f32 v31, v153, v93 :: v_dual_fmac_f32 v13, v143, v82
	v_dual_fma_f32 v33, v142, v82, -v37 :: v_dual_add_f32 v5, v5, v11
	v_dual_add_f32 v7, v7, v35 :: v_dual_fmac_f32 v15, v145, v84
	v_dual_mul_f32 v11, v155, v95 :: v_dual_fma_f32 v35, v144, v84, -v39
	s_delay_alu instid0(VALU_DEP_3) | instskip(NEXT) | instid1(VALU_DEP_3)
	v_dual_add_f32 v5, v5, v13 :: v_dual_fmac_f32 v17, v147, v86
	v_dual_add_f32 v7, v7, v33 :: v_dual_fma_f32 v33, v146, v86, -v41
	v_dual_mul_f32 v19, v148, v89 :: v_dual_mul_f32 v21, v150, v91
	s_wait_loadcnt_dscnt 0x601
	s_delay_alu instid0(VALU_DEP_2) | instskip(SKIP_1) | instid1(VALU_DEP_3)
	v_dual_mul_f32 v13, v157, v97 :: v_dual_add_f32 v7, v7, v35
	v_dual_add_f32 v5, v5, v15 :: v_dual_fma_f32 v35, v148, v88, -v43
	v_dual_mul_f32 v15, v159, v99 :: v_dual_fmac_f32 v19, v149, v88
	s_delay_alu instid0(VALU_DEP_3) | instskip(NEXT) | instid1(VALU_DEP_3)
	v_dual_add_f32 v7, v7, v33 :: v_dual_fma_f32 v33, v150, v90, -v45
	v_dual_add_f32 v5, v5, v17 :: v_dual_fmac_f32 v21, v151, v90
	v_dual_mul_f32 v23, v152, v93 :: v_dual_mul_f32 v25, v154, v95
	s_wait_loadcnt_dscnt 0x500
	s_delay_alu instid0(VALU_DEP_3) | instskip(NEXT) | instid1(VALU_DEP_3)
	v_dual_mul_f32 v17, v161, v101 :: v_dual_add_f32 v7, v7, v35
	v_dual_add_f32 v5, v5, v19 :: v_dual_fma_f32 v31, v152, v92, -v31
	s_delay_alu instid0(VALU_DEP_3) | instskip(NEXT) | instid1(VALU_DEP_3)
	v_dual_mul_f32 v19, v163, v103 :: v_dual_fmac_f32 v23, v153, v92
	v_dual_add_f32 v7, v7, v33 :: v_dual_fma_f32 v11, v154, v94, -v11
	s_delay_alu instid0(VALU_DEP_3) | instskip(SKIP_1) | instid1(VALU_DEP_3)
	v_dual_add_f32 v5, v5, v21 :: v_dual_fmac_f32 v25, v155, v94
	v_dual_mul_f32 v27, v156, v97 :: v_dual_mul_f32 v29, v158, v99
	v_add_f32_e32 v7, v7, v31
	s_wait_loadcnt 0x4
	s_delay_alu instid0(VALU_DEP_3) | instskip(NEXT) | instid1(VALU_DEP_3)
	v_dual_add_f32 v5, v5, v23 :: v_dual_mov_b32 v78, v107
	v_dual_fmac_f32 v27, v157, v96 :: v_dual_fma_f32 v13, v156, v96, -v13
	s_delay_alu instid0(VALU_DEP_3) | instskip(NEXT) | instid1(VALU_DEP_3)
	v_dual_add_f32 v7, v7, v11 :: v_dual_fma_f32 v11, v158, v98, -v15
	v_add_f32_e32 v5, v5, v25
	v_dual_mul_f32 v175, v160, v101 :: v_dual_mul_f32 v177, v162, v103
	v_fmac_f32_e32 v29, v159, v98
	s_delay_alu instid0(VALU_DEP_3)
	v_dual_add_f32 v7, v7, v13 :: v_dual_add_f32 v5, v5, v27
	v_pk_mul_f32 v[76:77], v[120:121], v[104:105] op_sel:[1,1] op_sel_hi:[0,1]
	s_wait_loadcnt 0x3
	v_dual_mov_b32 v82, v111 :: v_dual_fma_f32 v174, v160, v100, -v17
	v_fmac_f32_e32 v175, v161, v100
	v_dual_add_f32 v85, v5, v29 :: v_dual_add_f32 v84, v7, v11
	v_dual_fmac_f32 v177, v163, v102 :: v_dual_fma_f32 v176, v162, v102, -v19
	v_pk_fma_f32 v[86:87], v[120:121], v[104:105], v[76:77] op_sel_hi:[1,0,1]
	v_pk_mul_f32 v[78:79], v[166:167], v[78:79] op_sel_hi:[1,0]
	s_delay_alu instid0(VALU_DEP_4)
	v_pk_add_f32 v[84:85], v[84:85], v[174:175]
	v_pk_fma_f32 v[76:77], v[120:121], v[104:105], v[76:77] neg_lo:[0,0,1] neg_hi:[0,0,1]
	v_pk_mul_f32 v[80:81], v[124:125], v[108:109] op_sel:[1,1] op_sel_hi:[0,1]
	v_mov_b32_e32 v77, v87
	v_pk_fma_f32 v[86:87], v[122:123], v[106:107], v[78:79] op_sel_hi:[1,0,1]
	v_pk_add_f32 v[84:85], v[84:85], v[176:177]
	v_pk_fma_f32 v[78:79], v[122:123], v[106:107], v[78:79] neg_lo:[0,0,1] neg_hi:[0,0,1]
	v_pk_fma_f32 v[90:91], v[124:125], v[108:109], v[80:81] op_sel_hi:[1,0,1]
	v_pk_mul_f32 v[82:83], v[168:169], v[82:83] op_sel_hi:[1,0]
	v_mov_b32_e32 v79, v87
	v_pk_add_f32 v[76:77], v[84:85], v[76:77]
	s_wait_loadcnt 0x2
	v_pk_mul_f32 v[88:89], v[128:129], v[112:113] op_sel:[1,1] op_sel_hi:[0,1]
	v_mov_b32_e32 v84, v115
	v_pk_fma_f32 v[80:81], v[124:125], v[108:109], v[80:81] neg_lo:[0,0,1] neg_hi:[0,0,1]
	v_mov_b32_e32 v81, v91
	v_pk_fma_f32 v[86:87], v[126:127], v[110:111], v[82:83] op_sel_hi:[1,0,1]
	v_pk_add_f32 v[76:77], v[76:77], v[78:79]
	v_pk_fma_f32 v[78:79], v[128:129], v[112:113], v[88:89] op_sel_hi:[1,0,1]
	v_pk_mul_f32 v[84:85], v[170:171], v[84:85] op_sel_hi:[1,0]
	v_pk_fma_f32 v[82:83], v[126:127], v[110:111], v[82:83] neg_lo:[0,0,1] neg_hi:[0,0,1]
	v_mov_b32_e32 v83, v87
	v_pk_add_f32 v[76:77], v[76:77], v[80:81]
	v_pk_fma_f32 v[86:87], v[128:129], v[112:113], v[88:89] neg_lo:[0,0,1] neg_hi:[0,0,1]
	v_mov_b32_e32 v87, v79
	v_pk_fma_f32 v[78:79], v[130:131], v[114:115], v[84:85] op_sel_hi:[1,0,1]
	s_wait_loadcnt 0x1
	v_pk_mul_f32 v[80:81], v[132:133], v[116:117] op_sel:[1,1] op_sel_hi:[0,1]
	v_pk_add_f32 v[76:77], v[76:77], v[82:83]
	v_mov_b32_e32 v78, v119
	v_pk_fma_f32 v[84:85], v[130:131], v[114:115], v[84:85] neg_lo:[0,0,1] neg_hi:[0,0,1]
	v_mov_b32_e32 v85, v79
	v_pk_fma_f32 v[82:83], v[132:133], v[116:117], v[80:81] op_sel_hi:[1,0,1]
	v_pk_add_f32 v[76:77], v[76:77], v[86:87]
	v_pk_mul_f32 v[78:79], v[172:173], v[78:79] op_sel_hi:[1,0]
	v_pk_fma_f32 v[80:81], v[132:133], v[116:117], v[80:81] neg_lo:[0,0,1] neg_hi:[0,0,1]
	s_delay_alu instid0(VALU_DEP_4) | instskip(NEXT) | instid1(VALU_DEP_4)
	v_mov_b32_e32 v81, v83
	v_pk_add_f32 v[76:77], v[76:77], v[84:85]
	s_delay_alu instid0(VALU_DEP_4) | instskip(SKIP_1) | instid1(VALU_DEP_2)
	v_pk_fma_f32 v[82:83], v[134:135], v[118:119], v[78:79] op_sel_hi:[1,0,1]
	v_pk_fma_f32 v[78:79], v[134:135], v[118:119], v[78:79] neg_lo:[0,0,1] neg_hi:[0,0,1]
	v_mov_b32_e32 v79, v83
	s_delay_alu instid0(VALU_DEP_4) | instskip(NEXT) | instid1(VALU_DEP_1)
	v_pk_add_f32 v[76:77], v[76:77], v[80:81]
	v_pk_add_f32 v[76:77], v[76:77], v[78:79]
	s_wait_loadcnt 0x0
	s_delay_alu instid0(VALU_DEP_1)
	v_pk_add_f32 v[76:77], v[164:165], v[76:77] neg_lo:[0,1] neg_hi:[0,1]
	scratch_store_b64 off, v[76:77], off offset:112
	s_wait_xcnt 0x0
	v_cmpx_lt_u32_e32 13, v0
	s_cbranch_execz .LBB36_209
; %bb.208:
	scratch_load_b64 v[76:77], off, off offset:104
	v_mov_b64_e32 v[78:79], 0
	scratch_store_b64 off, v[78:79], off offset:104
	s_wait_loadcnt 0x0
	ds_store_b64 v1, v[76:77]
.LBB36_209:
	s_wait_xcnt 0x0
	s_or_b32 exec_lo, exec_lo, s0
	s_wait_storecnt_dscnt 0x0
	s_barrier_signal -1
	s_barrier_wait -1
	s_clause 0xc
	scratch_load_b128 v[76:79], off, off offset:112
	scratch_load_b128 v[80:83], off, off offset:128
	;; [unrolled: 1-line block ×11, first 2 shown]
	scratch_load_b64 v[164:165], off, off offset:288
	scratch_load_b64 v[166:167], off, off offset:104
	v_mov_b32_e32 v5, 0
	ds_load_b128 v[120:123], v5 offset:528
	ds_load_b128 v[124:127], v5 offset:544
	ds_load_b128 v[128:131], v5 offset:560
	ds_load_b128 v[132:135], v5 offset:576
	ds_load_b128 v[136:139], v5 offset:416
	ds_load_b128 v[140:143], v5 offset:432
	ds_load_b128 v[144:147], v5 offset:448
	ds_load_b128 v[148:151], v5 offset:464
	ds_load_b128 v[152:155], v5 offset:480
	ds_load_b128 v[156:159], v5 offset:512
	ds_load_b128 v[160:163], v5 offset:496
	ds_load_b64 v[168:169], v5 offset:592
	s_mov_b32 s0, exec_lo
	s_wait_dscnt 0xb
	v_dual_mov_b32 v170, v123 :: v_dual_mov_b32 v171, v122
	s_wait_dscnt 0x8
	v_dual_mov_b32 v172, v127 :: v_dual_mov_b32 v177, v134
	v_dual_mov_b32 v173, v126 :: v_dual_mov_b32 v174, v131
	;; [unrolled: 1-line block ×3, first 2 shown]
	s_wait_loadcnt_dscnt 0xc07
	v_dual_mul_f32 v7, v136, v77 :: v_dual_mul_f32 v35, v137, v77
	v_dual_mul_f32 v37, v139, v79 :: v_dual_mul_f32 v11, v138, v79
	s_wait_loadcnt_dscnt 0xb06
	v_mul_f32_e32 v13, v140, v81
	s_wait_loadcnt_dscnt 0x904
	v_dual_mul_f32 v47, v149, v89 :: v_dual_fma_f32 v35, v136, v76, -v35
	v_dual_fmac_f32 v7, v137, v76 :: v_dual_mul_f32 v49, v151, v91
	v_dual_mul_f32 v39, v141, v81 :: v_dual_mul_f32 v41, v143, v83
	v_dual_fmac_f32 v11, v139, v78 :: v_dual_fma_f32 v37, v138, v78, -v37
	s_wait_loadcnt_dscnt 0x803
	s_delay_alu instid0(VALU_DEP_3) | instskip(SKIP_1) | instid1(VALU_DEP_2)
	v_dual_add_f32 v7, 0, v7 :: v_dual_mul_f32 v51, v153, v93
	v_dual_add_f32 v35, 0, v35 :: v_dual_fmac_f32 v13, v141, v80
	v_dual_fma_f32 v39, v140, v80, -v39 :: v_dual_add_f32 v7, v7, v11
	v_dual_mul_f32 v15, v142, v83 :: v_dual_mul_f32 v17, v144, v85
	s_delay_alu instid0(VALU_DEP_3) | instskip(SKIP_2) | instid1(VALU_DEP_3)
	v_dual_add_f32 v11, v35, v37 :: v_dual_fma_f32 v37, v142, v82, -v41
	v_dual_mul_f32 v43, v145, v85 :: v_dual_mul_f32 v45, v147, v87
	v_dual_mul_f32 v19, v146, v87 :: v_dual_mul_f32 v21, v148, v89
	v_add_f32_e32 v11, v11, v39
	v_dual_fmac_f32 v15, v143, v82 :: v_dual_fmac_f32 v17, v145, v84
	s_delay_alu instid0(VALU_DEP_4) | instskip(NEXT) | instid1(VALU_DEP_3)
	v_dual_add_f32 v7, v7, v13 :: v_dual_fma_f32 v39, v144, v84, -v43
	v_dual_add_f32 v11, v11, v37 :: v_dual_fmac_f32 v21, v149, v88
	v_dual_mul_f32 v23, v150, v91 :: v_dual_mul_f32 v25, v152, v93
	s_delay_alu instid0(VALU_DEP_3) | instskip(NEXT) | instid1(VALU_DEP_3)
	v_dual_add_f32 v7, v7, v15 :: v_dual_fma_f32 v37, v146, v86, -v45
	v_add_f32_e32 v11, v11, v39
	s_wait_loadcnt_dscnt 0x701
	v_dual_mul_f32 v35, v155, v95 :: v_dual_mul_f32 v13, v161, v97
	v_dual_mul_f32 v15, v163, v99 :: v_dual_fma_f32 v39, v148, v88, -v47
	v_fmac_f32_e32 v19, v147, v86
	v_dual_add_f32 v7, v7, v17 :: v_dual_fmac_f32 v25, v153, v92
	v_dual_add_f32 v11, v11, v37 :: v_dual_mul_f32 v27, v154, v95
	v_dual_mul_f32 v29, v160, v97 :: v_dual_mul_f32 v31, v162, v99
	s_wait_loadcnt 0x6
	v_dual_mul_f32 v33, v156, v101 :: v_dual_fma_f32 v37, v150, v90, -v49
	v_add_f32_e32 v7, v7, v19
	v_add_f32_e32 v11, v11, v39
	s_wait_loadcnt 0x4
	v_dual_mov_b32 v76, v107 :: v_dual_mov_b32 v80, v111
	v_dual_mul_f32 v19, v159, v103 :: v_dual_fmac_f32 v29, v161, v96
	v_dual_fmac_f32 v23, v151, v90 :: v_dual_fma_f32 v13, v160, v96, -v13
	v_dual_fma_f32 v39, v152, v92, -v51 :: v_dual_add_f32 v7, v7, v21
	v_dual_fma_f32 v15, v162, v98, -v15 :: v_dual_fmac_f32 v33, v157, v100
	s_delay_alu instid0(VALU_DEP_4) | instskip(SKIP_1) | instid1(VALU_DEP_4)
	v_dual_add_f32 v11, v11, v37 :: v_dual_fma_f32 v178, v158, v102, -v19
	v_pk_mul_f32 v[76:77], v[170:171], v[76:77] op_sel_hi:[1,0]
	v_dual_mul_f32 v17, v157, v101 :: v_dual_add_f32 v7, v7, v23
	v_fma_f32 v23, v154, v94, -v35
	v_dual_mul_f32 v179, v158, v103 :: v_dual_mul_f32 v181, v120, v105
	s_delay_alu instid0(VALU_DEP_4) | instskip(SKIP_4) | instid1(VALU_DEP_4)
	v_pk_fma_f32 v[88:89], v[122:123], v[106:107], v[76:77] op_sel_hi:[1,0,1]
	v_add_f32_e32 v11, v11, v39
	v_pk_fma_f32 v[76:77], v[122:123], v[106:107], v[76:77] neg_lo:[0,0,1] neg_hi:[0,0,1]
	v_dual_mul_f32 v21, v121, v105 :: v_dual_fmac_f32 v27, v155, v94
	v_fmac_f32_e32 v181, v121, v104
	v_dual_mov_b32 v77, v89 :: v_dual_add_f32 v11, v11, v23
	s_delay_alu instid0(VALU_DEP_3) | instskip(SKIP_2) | instid1(VALU_DEP_4)
	v_dual_fma_f32 v180, v120, v104, -v21 :: v_dual_fmac_f32 v31, v163, v98
	v_fmac_f32_e32 v179, v159, v102
	v_pk_mul_f32 v[78:79], v[124:125], v[108:109] op_sel:[1,1] op_sel_hi:[0,1]
	v_dual_add_f32 v11, v11, v13 :: v_dual_fma_f32 v13, v156, v100, -v17
	v_add_f32_e32 v7, v7, v25
	v_pk_mul_f32 v[80:81], v[172:173], v[80:81] op_sel_hi:[1,0]
	s_delay_alu instid0(VALU_DEP_4) | instskip(NEXT) | instid1(VALU_DEP_4)
	v_pk_fma_f32 v[90:91], v[124:125], v[108:109], v[78:79] op_sel_hi:[1,0,1]
	v_add_f32_e32 v11, v11, v15
	v_pk_fma_f32 v[78:79], v[124:125], v[108:109], v[78:79] neg_lo:[0,0,1] neg_hi:[0,0,1]
	v_add_f32_e32 v7, v7, v27
	s_wait_loadcnt 0x3
	v_pk_mul_f32 v[82:83], v[128:129], v[112:113] op_sel:[1,1] op_sel_hi:[0,1]
	v_dual_mov_b32 v86, v115 :: v_dual_mov_b32 v79, v91
	v_add_f32_e32 v84, v11, v13
	v_add_f32_e32 v7, v7, v29
	v_pk_fma_f32 v[90:91], v[126:127], v[110:111], v[80:81] op_sel_hi:[1,0,1]
	v_pk_fma_f32 v[80:81], v[126:127], v[110:111], v[80:81] neg_lo:[0,0,1] neg_hi:[0,0,1]
	v_pk_mul_f32 v[86:87], v[174:175], v[86:87] op_sel_hi:[1,0]
	s_wait_loadcnt 0x2
	v_pk_mul_f32 v[88:89], v[132:133], v[116:117] op_sel:[1,1] op_sel_hi:[0,1]
	v_add_f32_e32 v7, v7, v31
	v_mov_b32_e32 v81, v91
	s_delay_alu instid0(VALU_DEP_2) | instskip(NEXT) | instid1(VALU_DEP_1)
	v_add_f32_e32 v85, v7, v33
	v_pk_add_f32 v[84:85], v[84:85], v[178:179]
	s_delay_alu instid0(VALU_DEP_1) | instskip(NEXT) | instid1(VALU_DEP_1)
	v_pk_add_f32 v[84:85], v[84:85], v[180:181]
	v_pk_add_f32 v[76:77], v[84:85], v[76:77]
	v_pk_fma_f32 v[84:85], v[128:129], v[112:113], v[82:83] op_sel_hi:[1,0,1]
	v_pk_fma_f32 v[82:83], v[128:129], v[112:113], v[82:83] neg_lo:[0,0,1] neg_hi:[0,0,1]
	s_delay_alu instid0(VALU_DEP_3) | instskip(NEXT) | instid1(VALU_DEP_3)
	v_pk_add_f32 v[76:77], v[76:77], v[78:79]
	v_dual_mov_b32 v78, v119 :: v_dual_mov_b32 v83, v85
	v_pk_fma_f32 v[84:85], v[130:131], v[114:115], v[86:87] op_sel_hi:[1,0,1]
	v_pk_fma_f32 v[86:87], v[130:131], v[114:115], v[86:87] neg_lo:[0,0,1] neg_hi:[0,0,1]
	s_delay_alu instid0(VALU_DEP_4)
	v_pk_add_f32 v[76:77], v[76:77], v[80:81]
	v_pk_fma_f32 v[80:81], v[132:133], v[116:117], v[88:89] op_sel_hi:[1,0,1]
	v_pk_mul_f32 v[78:79], v[176:177], v[78:79] op_sel_hi:[1,0]
	v_mov_b32_e32 v87, v85
	s_wait_loadcnt_dscnt 0x100
	v_pk_mul_f32 v[84:85], v[168:169], v[164:165] op_sel:[1,1] op_sel_hi:[0,1]
	v_pk_add_f32 v[76:77], v[76:77], v[82:83]
	v_pk_fma_f32 v[82:83], v[132:133], v[116:117], v[88:89] neg_lo:[0,0,1] neg_hi:[0,0,1]
	v_mov_b32_e32 v83, v81
	v_pk_fma_f32 v[80:81], v[134:135], v[118:119], v[78:79] op_sel_hi:[1,0,1]
	v_pk_fma_f32 v[78:79], v[134:135], v[118:119], v[78:79] neg_lo:[0,0,1] neg_hi:[0,0,1]
	v_pk_add_f32 v[76:77], v[76:77], v[86:87]
	s_delay_alu instid0(VALU_DEP_3) | instskip(SKIP_1) | instid1(VALU_DEP_3)
	v_mov_b32_e32 v79, v81
	v_pk_fma_f32 v[80:81], v[168:169], v[164:165], v[84:85] op_sel_hi:[1,0,1]
	v_pk_add_f32 v[76:77], v[76:77], v[82:83]
	v_pk_fma_f32 v[82:83], v[168:169], v[164:165], v[84:85] neg_lo:[0,0,1] neg_hi:[0,0,1]
	s_delay_alu instid0(VALU_DEP_3) | instskip(NEXT) | instid1(VALU_DEP_3)
	v_mov_b32_e32 v83, v81
	v_pk_add_f32 v[76:77], v[76:77], v[78:79]
	s_delay_alu instid0(VALU_DEP_1) | instskip(SKIP_1) | instid1(VALU_DEP_1)
	v_pk_add_f32 v[76:77], v[76:77], v[82:83]
	s_wait_loadcnt 0x0
	v_pk_add_f32 v[76:77], v[166:167], v[76:77] neg_lo:[0,1] neg_hi:[0,1]
	scratch_store_b64 off, v[76:77], off offset:104
	s_wait_xcnt 0x0
	v_cmpx_lt_u32_e32 12, v0
	s_cbranch_execz .LBB36_211
; %bb.210:
	scratch_load_b64 v[76:77], off, off offset:96
	v_mov_b64_e32 v[78:79], 0
	scratch_store_b64 off, v[78:79], off offset:96
	s_wait_loadcnt 0x0
	ds_store_b64 v1, v[76:77]
.LBB36_211:
	s_wait_xcnt 0x0
	s_or_b32 exec_lo, exec_lo, s0
	s_wait_storecnt_dscnt 0x0
	s_barrier_signal -1
	s_barrier_wait -1
	s_clause 0xc
	scratch_load_b128 v[76:79], off, off offset:104
	scratch_load_b128 v[80:83], off, off offset:120
	;; [unrolled: 1-line block ×12, first 2 shown]
	scratch_load_b64 v[172:173], off, off offset:96
	ds_load_2addr_b64 v[124:127], v5 offset0:67 offset1:68
	ds_load_2addr_b64 v[128:131], v5 offset0:69 offset1:70
	;; [unrolled: 1-line block ×12, first 2 shown]
	s_mov_b32 s0, exec_lo
	s_wait_dscnt 0xb
	v_dual_mov_b32 v174, v127 :: v_dual_mov_b32 v175, v126
	s_wait_dscnt 0xa
	v_dual_mov_b32 v176, v131 :: v_dual_mov_b32 v177, v130
	;; [unrolled: 2-line block ×4, first 2 shown]
	s_wait_loadcnt_dscnt 0xc07
	v_dual_mul_f32 v5, v140, v77 :: v_dual_mul_f32 v7, v142, v79
	v_dual_mul_f32 v35, v141, v77 :: v_dual_mul_f32 v37, v143, v79
	s_wait_loadcnt_dscnt 0xb06
	v_dual_mul_f32 v11, v144, v81 :: v_dual_mul_f32 v13, v146, v83
	s_delay_alu instid0(VALU_DEP_2) | instskip(SKIP_3) | instid1(VALU_DEP_3)
	v_dual_fmac_f32 v5, v141, v76 :: v_dual_fma_f32 v35, v140, v76, -v35
	v_dual_mul_f32 v39, v145, v81 :: v_dual_mul_f32 v41, v147, v83
	s_wait_loadcnt_dscnt 0x904
	v_dual_mul_f32 v47, v153, v89 :: v_dual_fmac_f32 v7, v143, v78
	v_dual_fma_f32 v37, v142, v78, -v37 :: v_dual_add_f32 v5, 0, v5
	v_dual_add_f32 v35, 0, v35 :: v_dual_fmac_f32 v11, v145, v80
	v_dual_mul_f32 v49, v155, v91 :: v_dual_fma_f32 v39, v144, v80, -v39
	s_delay_alu instid0(VALU_DEP_2)
	v_dual_add_f32 v5, v5, v7 :: v_dual_add_f32 v7, v35, v37
	v_dual_mul_f32 v15, v148, v85 :: v_dual_mul_f32 v17, v150, v87
	v_dual_mul_f32 v43, v149, v85 :: v_dual_mul_f32 v45, v151, v87
	s_wait_loadcnt_dscnt 0x803
	v_dual_mul_f32 v35, v157, v93 :: v_dual_fmac_f32 v13, v147, v82
	v_dual_fma_f32 v37, v146, v82, -v41 :: v_dual_add_f32 v5, v5, v11
	v_dual_add_f32 v7, v7, v39 :: v_dual_fmac_f32 v15, v149, v84
	v_dual_mul_f32 v11, v159, v95 :: v_dual_fma_f32 v39, v148, v84, -v43
	s_delay_alu instid0(VALU_DEP_3) | instskip(NEXT) | instid1(VALU_DEP_3)
	v_dual_add_f32 v5, v5, v13 :: v_dual_fmac_f32 v17, v151, v86
	v_dual_add_f32 v7, v7, v37 :: v_dual_fma_f32 v37, v150, v86, -v45
	v_dual_mul_f32 v19, v152, v89 :: v_dual_mul_f32 v21, v154, v91
	s_wait_loadcnt_dscnt 0x702
	s_delay_alu instid0(VALU_DEP_2) | instskip(SKIP_1) | instid1(VALU_DEP_3)
	v_dual_mul_f32 v13, v161, v97 :: v_dual_add_f32 v7, v7, v39
	v_dual_add_f32 v5, v5, v15 :: v_dual_fma_f32 v39, v152, v88, -v47
	v_dual_mul_f32 v15, v163, v99 :: v_dual_fmac_f32 v19, v153, v88
	s_delay_alu instid0(VALU_DEP_3) | instskip(NEXT) | instid1(VALU_DEP_3)
	v_dual_add_f32 v7, v7, v37 :: v_dual_fma_f32 v37, v154, v90, -v49
	v_dual_add_f32 v5, v5, v17 :: v_dual_fmac_f32 v21, v155, v90
	v_dual_mul_f32 v23, v156, v93 :: v_dual_mul_f32 v25, v158, v95
	s_wait_loadcnt_dscnt 0x601
	s_delay_alu instid0(VALU_DEP_3) | instskip(NEXT) | instid1(VALU_DEP_3)
	v_dual_mul_f32 v17, v165, v101 :: v_dual_add_f32 v7, v7, v39
	v_dual_add_f32 v5, v5, v19 :: v_dual_fma_f32 v35, v156, v92, -v35
	s_delay_alu instid0(VALU_DEP_3) | instskip(NEXT) | instid1(VALU_DEP_3)
	v_dual_mul_f32 v19, v167, v103 :: v_dual_fmac_f32 v23, v157, v92
	v_dual_add_f32 v7, v7, v37 :: v_dual_fma_f32 v11, v158, v94, -v11
	s_delay_alu instid0(VALU_DEP_3) | instskip(SKIP_2) | instid1(VALU_DEP_3)
	v_dual_add_f32 v5, v5, v21 :: v_dual_fmac_f32 v25, v159, v94
	v_dual_mul_f32 v27, v160, v97 :: v_dual_mul_f32 v29, v162, v99
	s_wait_loadcnt_dscnt 0x500
	v_dual_mul_f32 v21, v169, v105 :: v_dual_add_f32 v7, v7, v35
	s_delay_alu instid0(VALU_DEP_3) | instskip(NEXT) | instid1(VALU_DEP_3)
	v_dual_add_f32 v5, v5, v23 :: v_dual_fma_f32 v13, v160, v96, -v13
	v_dual_mul_f32 v23, v171, v107 :: v_dual_fmac_f32 v27, v161, v96
	s_delay_alu instid0(VALU_DEP_2) | instskip(SKIP_2) | instid1(VALU_DEP_3)
	v_dual_add_f32 v7, v7, v11 :: v_dual_add_f32 v5, v5, v25
	v_dual_mul_f32 v31, v164, v101 :: v_dual_mul_f32 v33, v166, v103
	v_dual_fmac_f32 v29, v163, v98 :: v_dual_fma_f32 v11, v162, v98, -v15
	v_dual_add_f32 v5, v5, v27 :: v_dual_add_f32 v7, v7, v13
	s_wait_loadcnt 0x4
	s_delay_alu instid0(VALU_DEP_3) | instskip(NEXT) | instid1(VALU_DEP_2)
	v_dual_mov_b32 v78, v111 :: v_dual_fmac_f32 v31, v165, v100
	v_dual_fma_f32 v13, v164, v100, -v17 :: v_dual_add_f32 v5, v5, v29
	s_delay_alu instid0(VALU_DEP_3) | instskip(SKIP_1) | instid1(VALU_DEP_3)
	v_dual_add_f32 v7, v7, v11 :: v_dual_fma_f32 v11, v166, v102, -v19
	v_dual_mul_f32 v183, v168, v105 :: v_dual_mul_f32 v185, v170, v107
	v_dual_fmac_f32 v33, v167, v102 :: v_dual_add_f32 v5, v5, v31
	s_delay_alu instid0(VALU_DEP_2) | instskip(SKIP_3) | instid1(VALU_DEP_3)
	v_dual_add_f32 v7, v7, v13 :: v_dual_fmac_f32 v183, v169, v104
	v_pk_mul_f32 v[76:77], v[124:125], v[108:109] op_sel:[1,1] op_sel_hi:[0,1]
	s_wait_loadcnt 0x3
	v_dual_mov_b32 v82, v115 :: v_dual_fma_f32 v182, v168, v104, -v21
	v_dual_add_f32 v85, v5, v33 :: v_dual_add_f32 v84, v7, v11
	v_dual_fmac_f32 v185, v171, v106 :: v_dual_fma_f32 v184, v170, v106, -v23
	v_pk_fma_f32 v[86:87], v[124:125], v[108:109], v[76:77] op_sel_hi:[1,0,1]
	v_pk_mul_f32 v[78:79], v[174:175], v[78:79] op_sel_hi:[1,0]
	s_delay_alu instid0(VALU_DEP_4)
	v_pk_add_f32 v[84:85], v[84:85], v[182:183]
	v_pk_fma_f32 v[76:77], v[124:125], v[108:109], v[76:77] neg_lo:[0,0,1] neg_hi:[0,0,1]
	v_pk_mul_f32 v[80:81], v[128:129], v[112:113] op_sel:[1,1] op_sel_hi:[0,1]
	v_mov_b32_e32 v77, v87
	v_pk_fma_f32 v[86:87], v[126:127], v[110:111], v[78:79] op_sel_hi:[1,0,1]
	v_pk_add_f32 v[84:85], v[84:85], v[184:185]
	v_pk_fma_f32 v[78:79], v[126:127], v[110:111], v[78:79] neg_lo:[0,0,1] neg_hi:[0,0,1]
	v_pk_fma_f32 v[90:91], v[128:129], v[112:113], v[80:81] op_sel_hi:[1,0,1]
	v_pk_mul_f32 v[82:83], v[176:177], v[82:83] op_sel_hi:[1,0]
	v_mov_b32_e32 v79, v87
	v_pk_add_f32 v[76:77], v[84:85], v[76:77]
	s_wait_loadcnt 0x2
	v_pk_mul_f32 v[88:89], v[132:133], v[116:117] op_sel:[1,1] op_sel_hi:[0,1]
	v_mov_b32_e32 v84, v119
	v_pk_fma_f32 v[80:81], v[128:129], v[112:113], v[80:81] neg_lo:[0,0,1] neg_hi:[0,0,1]
	v_mov_b32_e32 v81, v91
	v_pk_fma_f32 v[86:87], v[130:131], v[114:115], v[82:83] op_sel_hi:[1,0,1]
	v_pk_add_f32 v[76:77], v[76:77], v[78:79]
	v_pk_fma_f32 v[78:79], v[132:133], v[116:117], v[88:89] op_sel_hi:[1,0,1]
	v_pk_mul_f32 v[84:85], v[178:179], v[84:85] op_sel_hi:[1,0]
	v_pk_fma_f32 v[82:83], v[130:131], v[114:115], v[82:83] neg_lo:[0,0,1] neg_hi:[0,0,1]
	v_mov_b32_e32 v83, v87
	v_pk_add_f32 v[76:77], v[76:77], v[80:81]
	v_pk_fma_f32 v[86:87], v[132:133], v[116:117], v[88:89] neg_lo:[0,0,1] neg_hi:[0,0,1]
	v_mov_b32_e32 v87, v79
	v_pk_fma_f32 v[78:79], v[134:135], v[118:119], v[84:85] op_sel_hi:[1,0,1]
	s_wait_loadcnt 0x1
	v_pk_mul_f32 v[80:81], v[136:137], v[120:121] op_sel:[1,1] op_sel_hi:[0,1]
	v_pk_add_f32 v[76:77], v[76:77], v[82:83]
	v_mov_b32_e32 v78, v123
	v_pk_fma_f32 v[84:85], v[134:135], v[118:119], v[84:85] neg_lo:[0,0,1] neg_hi:[0,0,1]
	v_mov_b32_e32 v85, v79
	v_pk_fma_f32 v[82:83], v[136:137], v[120:121], v[80:81] op_sel_hi:[1,0,1]
	v_pk_add_f32 v[76:77], v[76:77], v[86:87]
	v_pk_mul_f32 v[78:79], v[180:181], v[78:79] op_sel_hi:[1,0]
	v_pk_fma_f32 v[80:81], v[136:137], v[120:121], v[80:81] neg_lo:[0,0,1] neg_hi:[0,0,1]
	s_delay_alu instid0(VALU_DEP_4) | instskip(NEXT) | instid1(VALU_DEP_4)
	v_mov_b32_e32 v81, v83
	v_pk_add_f32 v[76:77], v[76:77], v[84:85]
	s_delay_alu instid0(VALU_DEP_4) | instskip(SKIP_1) | instid1(VALU_DEP_2)
	v_pk_fma_f32 v[82:83], v[138:139], v[122:123], v[78:79] op_sel_hi:[1,0,1]
	v_pk_fma_f32 v[78:79], v[138:139], v[122:123], v[78:79] neg_lo:[0,0,1] neg_hi:[0,0,1]
	v_mov_b32_e32 v79, v83
	s_delay_alu instid0(VALU_DEP_4) | instskip(NEXT) | instid1(VALU_DEP_1)
	v_pk_add_f32 v[76:77], v[76:77], v[80:81]
	v_pk_add_f32 v[76:77], v[76:77], v[78:79]
	s_wait_loadcnt 0x0
	s_delay_alu instid0(VALU_DEP_1)
	v_pk_add_f32 v[76:77], v[172:173], v[76:77] neg_lo:[0,1] neg_hi:[0,1]
	scratch_store_b64 off, v[76:77], off offset:96
	s_wait_xcnt 0x0
	v_cmpx_lt_u32_e32 11, v0
	s_cbranch_execz .LBB36_213
; %bb.212:
	scratch_load_b64 v[76:77], off, off offset:88
	v_mov_b64_e32 v[78:79], 0
	scratch_store_b64 off, v[78:79], off offset:88
	s_wait_loadcnt 0x0
	ds_store_b64 v1, v[76:77]
.LBB36_213:
	s_wait_xcnt 0x0
	s_or_b32 exec_lo, exec_lo, s0
	s_wait_storecnt_dscnt 0x0
	s_barrier_signal -1
	s_barrier_wait -1
	s_clause 0xd
	scratch_load_b128 v[76:79], off, off offset:96
	scratch_load_b128 v[80:83], off, off offset:112
	scratch_load_b128 v[84:87], off, off offset:128
	scratch_load_b128 v[88:91], off, off offset:144
	scratch_load_b128 v[92:95], off, off offset:160
	scratch_load_b128 v[96:99], off, off offset:176
	scratch_load_b128 v[100:103], off, off offset:192
	scratch_load_b128 v[104:107], off, off offset:208
	scratch_load_b128 v[108:111], off, off offset:224
	scratch_load_b128 v[112:115], off, off offset:240
	scratch_load_b128 v[116:119], off, off offset:256
	scratch_load_b128 v[120:123], off, off offset:272
	scratch_load_b64 v[172:173], off, off offset:288
	scratch_load_b64 v[174:175], off, off offset:88
	v_mov_b32_e32 v5, 0
	ds_load_b128 v[124:127], v5 offset:528
	ds_load_b128 v[128:131], v5 offset:544
	;; [unrolled: 1-line block ×12, first 2 shown]
	ds_load_b64 v[176:177], v5 offset:592
	s_mov_b32 s0, exec_lo
	s_wait_dscnt 0xc
	v_dual_mov_b32 v178, v127 :: v_dual_mov_b32 v179, v126
	s_wait_dscnt 0x9
	v_dual_mov_b32 v180, v131 :: v_dual_mov_b32 v185, v138
	v_dual_mov_b32 v181, v130 :: v_dual_mov_b32 v182, v135
	;; [unrolled: 1-line block ×3, first 2 shown]
	s_wait_loadcnt_dscnt 0xd08
	v_dual_mul_f32 v7, v140, v77 :: v_dual_mul_f32 v39, v141, v77
	v_dual_mul_f32 v41, v143, v79 :: v_dual_mul_f32 v11, v142, v79
	s_wait_loadcnt_dscnt 0xc07
	v_mul_f32_e32 v13, v144, v81
	s_wait_loadcnt_dscnt 0xa05
	v_dual_mul_f32 v51, v153, v89 :: v_dual_fma_f32 v39, v140, v76, -v39
	v_dual_fmac_f32 v7, v141, v76 :: v_dual_mul_f32 v53, v155, v91
	v_dual_mul_f32 v43, v145, v81 :: v_dual_mul_f32 v45, v147, v83
	v_dual_fmac_f32 v11, v143, v78 :: v_dual_fma_f32 v41, v142, v78, -v41
	s_wait_loadcnt_dscnt 0x904
	s_delay_alu instid0(VALU_DEP_3) | instskip(SKIP_2) | instid1(VALU_DEP_3)
	v_dual_add_f32 v7, 0, v7 :: v_dual_mul_f32 v55, v157, v93
	v_dual_add_f32 v39, 0, v39 :: v_dual_fmac_f32 v13, v145, v80
	v_dual_mul_f32 v15, v146, v83 :: v_dual_mul_f32 v17, v148, v85
	v_dual_fma_f32 v43, v144, v80, -v43 :: v_dual_add_f32 v7, v7, v11
	s_delay_alu instid0(VALU_DEP_3) | instskip(SKIP_1) | instid1(VALU_DEP_4)
	v_dual_add_f32 v11, v39, v41 :: v_dual_fma_f32 v41, v146, v82, -v45
	v_dual_mul_f32 v47, v149, v85 :: v_dual_mul_f32 v49, v151, v87
	v_dual_fmac_f32 v15, v147, v82 :: v_dual_fmac_f32 v17, v149, v84
	s_delay_alu instid0(VALU_DEP_4) | instskip(NEXT) | instid1(VALU_DEP_4)
	v_add_f32_e32 v7, v7, v13
	v_add_f32_e32 v11, v11, v43
	v_dual_mul_f32 v19, v150, v87 :: v_dual_mul_f32 v21, v152, v89
	s_delay_alu instid0(VALU_DEP_3) | instskip(NEXT) | instid1(VALU_DEP_3)
	v_dual_fma_f32 v43, v148, v84, -v47 :: v_dual_add_f32 v7, v7, v15
	v_dual_add_f32 v11, v11, v41 :: v_dual_mul_f32 v23, v154, v91
	s_delay_alu instid0(VALU_DEP_3) | instskip(NEXT) | instid1(VALU_DEP_3)
	v_dual_mul_f32 v25, v156, v93 :: v_dual_fmac_f32 v19, v151, v86
	v_dual_fma_f32 v41, v150, v86, -v49 :: v_dual_add_f32 v7, v7, v17
	s_delay_alu instid0(VALU_DEP_3) | instskip(NEXT) | instid1(VALU_DEP_3)
	v_dual_fmac_f32 v21, v153, v88 :: v_dual_add_f32 v11, v11, v43
	v_dual_fmac_f32 v25, v157, v92 :: v_dual_mul_f32 v39, v159, v95
	s_wait_loadcnt_dscnt 0x803
	v_dual_mul_f32 v13, v161, v97 :: v_dual_mul_f32 v15, v163, v99
	s_delay_alu instid0(VALU_DEP_3) | instskip(NEXT) | instid1(VALU_DEP_3)
	v_dual_fma_f32 v43, v152, v88, -v51 :: v_dual_add_f32 v11, v11, v41
	v_fma_f32 v39, v158, v94, -v39
	v_dual_fma_f32 v41, v154, v90, -v53 :: v_dual_add_f32 v7, v7, v19
	v_dual_mul_f32 v27, v158, v95 :: v_dual_mul_f32 v29, v160, v97
	v_fmac_f32_e32 v23, v155, v90
	v_dual_add_f32 v11, v11, v43 :: v_dual_fma_f32 v15, v162, v98, -v15
	s_delay_alu instid0(VALU_DEP_4) | instskip(SKIP_4) | instid1(VALU_DEP_2)
	v_dual_fma_f32 v43, v156, v92, -v55 :: v_dual_add_f32 v7, v7, v21
	v_dual_fma_f32 v13, v160, v96, -v13 :: v_dual_mul_f32 v31, v162, v99
	s_wait_loadcnt_dscnt 0x702
	v_dual_mul_f32 v33, v164, v101 :: v_dual_mul_f32 v17, v165, v101
	v_dual_add_f32 v11, v11, v41 :: v_dual_fmac_f32 v29, v161, v96
	v_dual_add_f32 v7, v7, v23 :: v_dual_fmac_f32 v33, v165, v100
	s_wait_loadcnt_dscnt 0x601
	v_dual_mul_f32 v19, v167, v103 :: v_dual_mul_f32 v21, v169, v105
	v_dual_mul_f32 v35, v166, v103 :: v_dual_mul_f32 v37, v168, v105
	s_delay_alu instid0(VALU_DEP_3) | instskip(SKIP_4) | instid1(VALU_DEP_3)
	v_add_f32_e32 v7, v7, v25
	s_wait_loadcnt 0x5
	v_dual_mul_f32 v25, v125, v109 :: v_dual_mul_f32 v23, v171, v107
	v_add_f32_e32 v11, v11, v43
	v_dual_fmac_f32 v27, v159, v94 :: v_dual_fmac_f32 v37, v169, v104
	v_dual_fma_f32 v188, v124, v108, -v25 :: v_dual_mov_b32 v76, v111
	s_wait_loadcnt 0x4
	v_mov_b32_e32 v80, v115
	v_add_f32_e32 v11, v11, v39
	v_dual_mul_f32 v187, v170, v107 :: v_dual_mul_f32 v189, v124, v109
	v_pk_mul_f32 v[76:77], v[178:179], v[76:77] op_sel_hi:[1,0]
	v_fmac_f32_e32 v35, v167, v102
	s_delay_alu instid0(VALU_DEP_4) | instskip(NEXT) | instid1(VALU_DEP_4)
	v_dual_add_f32 v11, v11, v13 :: v_dual_fma_f32 v13, v164, v100, -v17
	v_fmac_f32_e32 v189, v125, v108
	s_delay_alu instid0(VALU_DEP_4) | instskip(SKIP_1) | instid1(VALU_DEP_4)
	v_pk_fma_f32 v[88:89], v[126:127], v[110:111], v[76:77] op_sel_hi:[1,0,1]
	v_fmac_f32_e32 v31, v163, v98
	v_add_f32_e32 v11, v11, v15
	v_pk_fma_f32 v[76:77], v[126:127], v[110:111], v[76:77] neg_lo:[0,0,1] neg_hi:[0,0,1]
	s_delay_alu instid0(VALU_DEP_4) | instskip(SKIP_1) | instid1(VALU_DEP_4)
	v_dual_fma_f32 v15, v166, v102, -v19 :: v_dual_mov_b32 v77, v89
	v_fmac_f32_e32 v187, v171, v106
	v_dual_add_f32 v11, v11, v13 :: v_dual_fma_f32 v13, v168, v104, -v21
	v_dual_add_f32 v7, v7, v27 :: v_dual_fma_f32 v186, v170, v106, -v23
	v_pk_mul_f32 v[78:79], v[128:129], v[112:113] op_sel:[1,1] op_sel_hi:[0,1]
	s_delay_alu instid0(VALU_DEP_3) | instskip(SKIP_1) | instid1(VALU_DEP_4)
	v_add_f32_e32 v11, v11, v15
	v_pk_mul_f32 v[80:81], v[180:181], v[80:81] op_sel_hi:[1,0]
	v_add_f32_e32 v7, v7, v29
	s_wait_loadcnt 0x3
	v_pk_mul_f32 v[82:83], v[132:133], v[116:117] op_sel:[1,1] op_sel_hi:[0,1]
	v_pk_fma_f32 v[90:91], v[128:129], v[112:113], v[78:79] op_sel_hi:[1,0,1]
	v_add_f32_e32 v84, v11, v13
	v_pk_fma_f32 v[78:79], v[128:129], v[112:113], v[78:79] neg_lo:[0,0,1] neg_hi:[0,0,1]
	v_add_f32_e32 v7, v7, v31
	s_delay_alu instid0(VALU_DEP_4) | instskip(SKIP_2) | instid1(VALU_DEP_4)
	v_dual_mov_b32 v86, v119 :: v_dual_mov_b32 v79, v91
	v_pk_fma_f32 v[90:91], v[130:131], v[114:115], v[80:81] op_sel_hi:[1,0,1]
	v_pk_fma_f32 v[80:81], v[130:131], v[114:115], v[80:81] neg_lo:[0,0,1] neg_hi:[0,0,1]
	v_add_f32_e32 v7, v7, v33
	s_delay_alu instid0(VALU_DEP_4) | instskip(SKIP_4) | instid1(VALU_DEP_1)
	v_pk_mul_f32 v[86:87], v[182:183], v[86:87] op_sel_hi:[1,0]
	s_wait_loadcnt 0x2
	v_pk_mul_f32 v[88:89], v[136:137], v[120:121] op_sel:[1,1] op_sel_hi:[0,1]
	v_mov_b32_e32 v81, v91
	v_add_f32_e32 v7, v7, v35
	v_add_f32_e32 v85, v7, v37
	s_delay_alu instid0(VALU_DEP_1) | instskip(NEXT) | instid1(VALU_DEP_1)
	v_pk_add_f32 v[84:85], v[84:85], v[186:187]
	v_pk_add_f32 v[84:85], v[84:85], v[188:189]
	s_delay_alu instid0(VALU_DEP_1) | instskip(SKIP_2) | instid1(VALU_DEP_3)
	v_pk_add_f32 v[76:77], v[84:85], v[76:77]
	v_pk_fma_f32 v[84:85], v[132:133], v[116:117], v[82:83] op_sel_hi:[1,0,1]
	v_pk_fma_f32 v[82:83], v[132:133], v[116:117], v[82:83] neg_lo:[0,0,1] neg_hi:[0,0,1]
	v_pk_add_f32 v[76:77], v[76:77], v[78:79]
	s_delay_alu instid0(VALU_DEP_3) | instskip(SKIP_2) | instid1(VALU_DEP_4)
	v_dual_mov_b32 v78, v123 :: v_dual_mov_b32 v83, v85
	v_pk_fma_f32 v[84:85], v[134:135], v[118:119], v[86:87] op_sel_hi:[1,0,1]
	v_pk_fma_f32 v[86:87], v[134:135], v[118:119], v[86:87] neg_lo:[0,0,1] neg_hi:[0,0,1]
	v_pk_add_f32 v[76:77], v[76:77], v[80:81]
	v_pk_fma_f32 v[80:81], v[136:137], v[120:121], v[88:89] op_sel_hi:[1,0,1]
	v_pk_mul_f32 v[78:79], v[184:185], v[78:79] op_sel_hi:[1,0]
	v_mov_b32_e32 v87, v85
	s_wait_loadcnt_dscnt 0x100
	v_pk_mul_f32 v[84:85], v[176:177], v[172:173] op_sel:[1,1] op_sel_hi:[0,1]
	v_pk_add_f32 v[76:77], v[76:77], v[82:83]
	v_pk_fma_f32 v[82:83], v[136:137], v[120:121], v[88:89] neg_lo:[0,0,1] neg_hi:[0,0,1]
	v_mov_b32_e32 v83, v81
	v_pk_fma_f32 v[80:81], v[138:139], v[122:123], v[78:79] op_sel_hi:[1,0,1]
	v_pk_fma_f32 v[78:79], v[138:139], v[122:123], v[78:79] neg_lo:[0,0,1] neg_hi:[0,0,1]
	v_pk_add_f32 v[76:77], v[76:77], v[86:87]
	s_delay_alu instid0(VALU_DEP_3) | instskip(SKIP_1) | instid1(VALU_DEP_3)
	v_mov_b32_e32 v79, v81
	v_pk_fma_f32 v[80:81], v[176:177], v[172:173], v[84:85] op_sel_hi:[1,0,1]
	v_pk_add_f32 v[76:77], v[76:77], v[82:83]
	v_pk_fma_f32 v[82:83], v[176:177], v[172:173], v[84:85] neg_lo:[0,0,1] neg_hi:[0,0,1]
	s_delay_alu instid0(VALU_DEP_3) | instskip(NEXT) | instid1(VALU_DEP_3)
	v_mov_b32_e32 v83, v81
	v_pk_add_f32 v[76:77], v[76:77], v[78:79]
	s_delay_alu instid0(VALU_DEP_1) | instskip(SKIP_1) | instid1(VALU_DEP_1)
	v_pk_add_f32 v[76:77], v[76:77], v[82:83]
	s_wait_loadcnt 0x0
	v_pk_add_f32 v[76:77], v[174:175], v[76:77] neg_lo:[0,1] neg_hi:[0,1]
	scratch_store_b64 off, v[76:77], off offset:88
	s_wait_xcnt 0x0
	v_cmpx_lt_u32_e32 10, v0
	s_cbranch_execz .LBB36_215
; %bb.214:
	scratch_load_b64 v[76:77], off, off offset:80
	v_mov_b64_e32 v[78:79], 0
	scratch_store_b64 off, v[78:79], off offset:80
	s_wait_loadcnt 0x0
	ds_store_b64 v1, v[76:77]
.LBB36_215:
	s_wait_xcnt 0x0
	s_or_b32 exec_lo, exec_lo, s0
	s_wait_storecnt_dscnt 0x0
	s_barrier_signal -1
	s_barrier_wait -1
	s_clause 0xd
	scratch_load_b128 v[76:79], off, off offset:88
	scratch_load_b128 v[80:83], off, off offset:104
	;; [unrolled: 1-line block ×13, first 2 shown]
	scratch_load_b64 v[180:181], off, off offset:80
	ds_load_2addr_b64 v[128:131], v5 offset0:67 offset1:68
	ds_load_2addr_b64 v[132:135], v5 offset0:69 offset1:70
	;; [unrolled: 1-line block ×13, first 2 shown]
	s_mov_b32 s0, exec_lo
	s_wait_dscnt 0xc
	v_dual_mov_b32 v182, v131 :: v_dual_mov_b32 v183, v130
	s_wait_dscnt 0xb
	v_dual_mov_b32 v184, v135 :: v_dual_mov_b32 v185, v134
	;; [unrolled: 2-line block ×4, first 2 shown]
	s_wait_loadcnt_dscnt 0xd08
	v_dual_mul_f32 v5, v144, v77 :: v_dual_mul_f32 v7, v146, v79
	v_dual_mul_f32 v39, v145, v77 :: v_dual_mul_f32 v41, v147, v79
	s_wait_loadcnt_dscnt 0xc07
	v_dual_mul_f32 v11, v148, v81 :: v_dual_mul_f32 v13, v150, v83
	s_delay_alu instid0(VALU_DEP_2) | instskip(SKIP_3) | instid1(VALU_DEP_3)
	v_dual_fmac_f32 v5, v145, v76 :: v_dual_fma_f32 v39, v144, v76, -v39
	v_dual_mul_f32 v43, v149, v81 :: v_dual_mul_f32 v45, v151, v83
	s_wait_loadcnt_dscnt 0xa05
	v_dual_mul_f32 v51, v157, v89 :: v_dual_fmac_f32 v7, v147, v78
	v_dual_fma_f32 v41, v146, v78, -v41 :: v_dual_add_f32 v5, 0, v5
	v_dual_add_f32 v39, 0, v39 :: v_dual_fmac_f32 v11, v149, v80
	v_dual_mul_f32 v53, v159, v91 :: v_dual_fma_f32 v43, v148, v80, -v43
	s_delay_alu instid0(VALU_DEP_2)
	v_dual_add_f32 v5, v5, v7 :: v_dual_add_f32 v7, v39, v41
	v_dual_mul_f32 v15, v152, v85 :: v_dual_mul_f32 v17, v154, v87
	v_dual_mul_f32 v47, v153, v85 :: v_dual_mul_f32 v49, v155, v87
	s_wait_loadcnt_dscnt 0x903
	v_dual_mul_f32 v39, v165, v93 :: v_dual_fmac_f32 v13, v151, v82
	v_dual_fma_f32 v41, v150, v82, -v45 :: v_dual_add_f32 v5, v5, v11
	v_dual_add_f32 v7, v7, v43 :: v_dual_fmac_f32 v15, v153, v84
	v_dual_mul_f32 v11, v167, v95 :: v_dual_fma_f32 v43, v152, v84, -v47
	s_delay_alu instid0(VALU_DEP_3) | instskip(NEXT) | instid1(VALU_DEP_3)
	v_dual_add_f32 v5, v5, v13 :: v_dual_fmac_f32 v17, v155, v86
	v_dual_add_f32 v7, v7, v41 :: v_dual_fma_f32 v41, v154, v86, -v49
	v_dual_mul_f32 v19, v156, v89 :: v_dual_mul_f32 v21, v158, v91
	s_wait_loadcnt_dscnt 0x802
	s_delay_alu instid0(VALU_DEP_2) | instskip(SKIP_1) | instid1(VALU_DEP_3)
	v_dual_mul_f32 v13, v169, v97 :: v_dual_add_f32 v7, v7, v43
	v_dual_add_f32 v5, v5, v15 :: v_dual_fma_f32 v43, v156, v88, -v51
	v_dual_mul_f32 v15, v171, v99 :: v_dual_fmac_f32 v19, v157, v88
	s_delay_alu instid0(VALU_DEP_3) | instskip(NEXT) | instid1(VALU_DEP_3)
	v_dual_add_f32 v7, v7, v41 :: v_dual_fma_f32 v41, v158, v90, -v53
	v_dual_add_f32 v5, v5, v17 :: v_dual_fmac_f32 v21, v159, v90
	v_dual_mul_f32 v23, v164, v93 :: v_dual_mul_f32 v25, v166, v95
	s_wait_loadcnt_dscnt 0x701
	s_delay_alu instid0(VALU_DEP_3) | instskip(NEXT) | instid1(VALU_DEP_3)
	v_dual_mul_f32 v17, v173, v101 :: v_dual_add_f32 v7, v7, v43
	v_dual_add_f32 v5, v5, v19 :: v_dual_fma_f32 v39, v164, v92, -v39
	s_delay_alu instid0(VALU_DEP_3) | instskip(NEXT) | instid1(VALU_DEP_3)
	v_dual_mul_f32 v19, v175, v103 :: v_dual_fmac_f32 v23, v165, v92
	v_dual_add_f32 v7, v7, v41 :: v_dual_fma_f32 v11, v166, v94, -v11
	s_delay_alu instid0(VALU_DEP_3) | instskip(SKIP_2) | instid1(VALU_DEP_3)
	v_dual_add_f32 v5, v5, v21 :: v_dual_fmac_f32 v25, v167, v94
	v_dual_mul_f32 v27, v168, v97 :: v_dual_mul_f32 v29, v170, v99
	s_wait_loadcnt_dscnt 0x600
	v_dual_mul_f32 v21, v177, v105 :: v_dual_add_f32 v7, v7, v39
	s_delay_alu instid0(VALU_DEP_3) | instskip(NEXT) | instid1(VALU_DEP_3)
	v_dual_add_f32 v5, v5, v23 :: v_dual_fma_f32 v13, v168, v96, -v13
	v_dual_mul_f32 v23, v179, v107 :: v_dual_fmac_f32 v27, v169, v96
	s_delay_alu instid0(VALU_DEP_2) | instskip(SKIP_3) | instid1(VALU_DEP_3)
	v_dual_add_f32 v7, v7, v11 :: v_dual_add_f32 v5, v5, v25
	v_dual_mul_f32 v31, v172, v101 :: v_dual_mul_f32 v33, v174, v103
	s_wait_loadcnt 0x5
	v_dual_mul_f32 v11, v161, v109 :: v_dual_fmac_f32 v29, v171, v98
	v_dual_fma_f32 v15, v170, v98, -v15 :: v_dual_add_f32 v5, v5, v27
	s_delay_alu instid0(VALU_DEP_3) | instskip(SKIP_1) | instid1(VALU_DEP_2)
	v_dual_add_f32 v7, v7, v13 :: v_dual_fmac_f32 v31, v173, v100
	v_dual_mul_f32 v13, v163, v111 :: v_dual_fma_f32 v17, v172, v100, -v17
	v_dual_add_f32 v5, v5, v29 :: v_dual_add_f32 v7, v7, v15
	v_dual_mul_f32 v35, v176, v105 :: v_dual_mul_f32 v37, v178, v107
	v_dual_fmac_f32 v33, v175, v102 :: v_dual_fma_f32 v15, v174, v102, -v19
	s_delay_alu instid0(VALU_DEP_3) | instskip(SKIP_1) | instid1(VALU_DEP_3)
	v_dual_add_f32 v5, v5, v31 :: v_dual_add_f32 v7, v7, v17
	s_wait_loadcnt 0x4
	v_dual_mov_b32 v78, v115 :: v_dual_fmac_f32 v35, v177, v104
	s_delay_alu instid0(VALU_DEP_2) | instskip(NEXT) | instid1(VALU_DEP_3)
	v_dual_fma_f32 v17, v176, v104, -v21 :: v_dual_add_f32 v5, v5, v33
	v_dual_add_f32 v7, v7, v15 :: v_dual_fma_f32 v15, v178, v106, -v23
	v_dual_mul_f32 v191, v160, v109 :: v_dual_mul_f32 v193, v162, v111
	s_delay_alu instid0(VALU_DEP_3) | instskip(NEXT) | instid1(VALU_DEP_2)
	v_dual_fmac_f32 v37, v179, v106 :: v_dual_add_f32 v5, v5, v35
	v_dual_add_f32 v7, v7, v17 :: v_dual_fmac_f32 v191, v161, v108
	v_pk_mul_f32 v[76:77], v[128:129], v[112:113] op_sel:[1,1] op_sel_hi:[0,1]
	s_wait_loadcnt 0x3
	v_dual_mov_b32 v82, v119 :: v_dual_fma_f32 v190, v160, v108, -v11
	s_delay_alu instid0(VALU_DEP_3)
	v_dual_add_f32 v85, v5, v37 :: v_dual_add_f32 v84, v7, v15
	v_fmac_f32_e32 v193, v163, v110
	v_pk_fma_f32 v[86:87], v[128:129], v[112:113], v[76:77] op_sel_hi:[1,0,1]
	v_fma_f32 v192, v162, v110, -v13
	v_pk_mul_f32 v[78:79], v[182:183], v[78:79] op_sel_hi:[1,0]
	v_pk_add_f32 v[84:85], v[84:85], v[190:191]
	v_pk_fma_f32 v[76:77], v[128:129], v[112:113], v[76:77] neg_lo:[0,0,1] neg_hi:[0,0,1]
	v_pk_mul_f32 v[80:81], v[132:133], v[116:117] op_sel:[1,1] op_sel_hi:[0,1]
	v_mov_b32_e32 v77, v87
	v_pk_fma_f32 v[86:87], v[130:131], v[114:115], v[78:79] op_sel_hi:[1,0,1]
	v_pk_add_f32 v[84:85], v[84:85], v[192:193]
	v_pk_fma_f32 v[78:79], v[130:131], v[114:115], v[78:79] neg_lo:[0,0,1] neg_hi:[0,0,1]
	v_pk_fma_f32 v[90:91], v[132:133], v[116:117], v[80:81] op_sel_hi:[1,0,1]
	v_pk_mul_f32 v[82:83], v[184:185], v[82:83] op_sel_hi:[1,0]
	v_mov_b32_e32 v79, v87
	v_pk_add_f32 v[76:77], v[84:85], v[76:77]
	s_wait_loadcnt 0x2
	v_pk_mul_f32 v[88:89], v[136:137], v[120:121] op_sel:[1,1] op_sel_hi:[0,1]
	v_mov_b32_e32 v84, v123
	v_pk_fma_f32 v[80:81], v[132:133], v[116:117], v[80:81] neg_lo:[0,0,1] neg_hi:[0,0,1]
	v_pk_fma_f32 v[86:87], v[134:135], v[118:119], v[82:83] op_sel_hi:[1,0,1]
	v_mov_b32_e32 v81, v91
	v_pk_add_f32 v[76:77], v[76:77], v[78:79]
	v_pk_fma_f32 v[78:79], v[136:137], v[120:121], v[88:89] op_sel_hi:[1,0,1]
	v_pk_mul_f32 v[84:85], v[186:187], v[84:85] op_sel_hi:[1,0]
	v_pk_fma_f32 v[82:83], v[134:135], v[118:119], v[82:83] neg_lo:[0,0,1] neg_hi:[0,0,1]
	v_mov_b32_e32 v83, v87
	v_pk_add_f32 v[76:77], v[76:77], v[80:81]
	v_pk_fma_f32 v[86:87], v[136:137], v[120:121], v[88:89] neg_lo:[0,0,1] neg_hi:[0,0,1]
	v_mov_b32_e32 v87, v79
	v_pk_fma_f32 v[78:79], v[138:139], v[122:123], v[84:85] op_sel_hi:[1,0,1]
	s_wait_loadcnt 0x1
	v_pk_mul_f32 v[80:81], v[140:141], v[124:125] op_sel:[1,1] op_sel_hi:[0,1]
	v_pk_add_f32 v[76:77], v[76:77], v[82:83]
	v_mov_b32_e32 v78, v127
	v_pk_fma_f32 v[84:85], v[138:139], v[122:123], v[84:85] neg_lo:[0,0,1] neg_hi:[0,0,1]
	s_delay_alu instid0(VALU_DEP_4)
	v_pk_fma_f32 v[82:83], v[140:141], v[124:125], v[80:81] op_sel_hi:[1,0,1]
	v_mov_b32_e32 v85, v79
	v_pk_add_f32 v[76:77], v[76:77], v[86:87]
	v_pk_mul_f32 v[78:79], v[188:189], v[78:79] op_sel_hi:[1,0]
	v_pk_fma_f32 v[80:81], v[140:141], v[124:125], v[80:81] neg_lo:[0,0,1] neg_hi:[0,0,1]
	v_mov_b32_e32 v81, v83
	s_delay_alu instid0(VALU_DEP_4) | instskip(NEXT) | instid1(VALU_DEP_4)
	v_pk_add_f32 v[76:77], v[76:77], v[84:85]
	v_pk_fma_f32 v[82:83], v[142:143], v[126:127], v[78:79] op_sel_hi:[1,0,1]
	v_pk_fma_f32 v[78:79], v[142:143], v[126:127], v[78:79] neg_lo:[0,0,1] neg_hi:[0,0,1]
	s_delay_alu instid0(VALU_DEP_3) | instskip(NEXT) | instid1(VALU_DEP_3)
	v_pk_add_f32 v[76:77], v[76:77], v[80:81]
	v_mov_b32_e32 v79, v83
	s_delay_alu instid0(VALU_DEP_1) | instskip(SKIP_1) | instid1(VALU_DEP_1)
	v_pk_add_f32 v[76:77], v[76:77], v[78:79]
	s_wait_loadcnt 0x0
	v_pk_add_f32 v[76:77], v[180:181], v[76:77] neg_lo:[0,1] neg_hi:[0,1]
	scratch_store_b64 off, v[76:77], off offset:80
	s_wait_xcnt 0x0
	v_cmpx_lt_u32_e32 9, v0
	s_cbranch_execz .LBB36_217
; %bb.216:
	scratch_load_b64 v[76:77], off, off offset:72
	v_mov_b64_e32 v[78:79], 0
	scratch_store_b64 off, v[78:79], off offset:72
	s_wait_loadcnt 0x0
	ds_store_b64 v1, v[76:77]
.LBB36_217:
	s_wait_xcnt 0x0
	s_or_b32 exec_lo, exec_lo, s0
	s_wait_storecnt_dscnt 0x0
	s_barrier_signal -1
	s_barrier_wait -1
	s_clause 0xe
	scratch_load_b128 v[76:79], off, off offset:80
	scratch_load_b128 v[80:83], off, off offset:96
	scratch_load_b128 v[84:87], off, off offset:112
	scratch_load_b128 v[88:91], off, off offset:128
	scratch_load_b128 v[92:95], off, off offset:144
	scratch_load_b128 v[96:99], off, off offset:160
	scratch_load_b128 v[100:103], off, off offset:176
	scratch_load_b128 v[104:107], off, off offset:192
	scratch_load_b128 v[108:111], off, off offset:208
	scratch_load_b128 v[112:115], off, off offset:224
	scratch_load_b128 v[116:119], off, off offset:240
	scratch_load_b128 v[120:123], off, off offset:256
	scratch_load_b128 v[124:127], off, off offset:272
	scratch_load_b64 v[180:181], off, off offset:288
	scratch_load_b64 v[182:183], off, off offset:72
	v_mov_b32_e32 v5, 0
	ds_load_b128 v[128:131], v5 offset:528
	ds_load_b128 v[132:135], v5 offset:544
	;; [unrolled: 1-line block ×13, first 2 shown]
	ds_load_b64 v[184:185], v5 offset:592
	s_mov_b32 s0, exec_lo
	s_wait_dscnt 0xd
	v_dual_mov_b32 v186, v131 :: v_dual_mov_b32 v187, v130
	s_wait_dscnt 0xa
	v_dual_mov_b32 v188, v135 :: v_dual_mov_b32 v193, v142
	v_dual_mov_b32 v189, v134 :: v_dual_mov_b32 v190, v139
	;; [unrolled: 1-line block ×3, first 2 shown]
	s_wait_loadcnt_dscnt 0xe09
	v_dual_mul_f32 v7, v144, v77 :: v_dual_mul_f32 v43, v145, v77
	v_dual_mul_f32 v45, v147, v79 :: v_dual_mul_f32 v11, v146, v79
	s_wait_loadcnt_dscnt 0xd08
	v_mul_f32_e32 v13, v148, v81
	s_wait_loadcnt_dscnt 0xb05
	v_dual_mul_f32 v55, v161, v89 :: v_dual_fma_f32 v43, v144, v76, -v43
	v_dual_fmac_f32 v7, v145, v76 :: v_dual_mul_f32 v57, v163, v91
	v_dual_mul_f32 v47, v149, v81 :: v_dual_mul_f32 v49, v151, v83
	v_dual_fmac_f32 v11, v147, v78 :: v_dual_fma_f32 v45, v146, v78, -v45
	s_wait_loadcnt_dscnt 0xa04
	s_delay_alu instid0(VALU_DEP_3) | instskip(SKIP_1) | instid1(VALU_DEP_2)
	v_dual_add_f32 v7, 0, v7 :: v_dual_mul_f32 v59, v165, v93
	v_dual_add_f32 v43, 0, v43 :: v_dual_fmac_f32 v13, v149, v80
	v_dual_fma_f32 v47, v148, v80, -v47 :: v_dual_add_f32 v7, v7, v11
	v_dual_mul_f32 v51, v153, v85 :: v_dual_mul_f32 v53, v155, v87
	s_delay_alu instid0(VALU_DEP_3) | instskip(SKIP_2) | instid1(VALU_DEP_3)
	v_dual_add_f32 v11, v43, v45 :: v_dual_fma_f32 v45, v150, v82, -v49
	v_dual_mul_f32 v15, v150, v83 :: v_dual_mul_f32 v17, v152, v85
	v_dual_mul_f32 v19, v154, v87 :: v_dual_mul_f32 v21, v160, v89
	v_add_f32_e32 v11, v11, v47
	v_dual_add_f32 v7, v7, v13 :: v_dual_fma_f32 v47, v152, v84, -v51
	v_dual_mul_f32 v23, v162, v91 :: v_dual_mul_f32 v25, v164, v93
	s_delay_alu instid0(VALU_DEP_3) | instskip(SKIP_1) | instid1(VALU_DEP_2)
	v_dual_add_f32 v11, v11, v45 :: v_dual_fmac_f32 v21, v161, v88
	v_dual_fmac_f32 v15, v151, v82 :: v_dual_fmac_f32 v17, v153, v84
	v_dual_fma_f32 v45, v154, v86, -v53 :: v_dual_add_f32 v11, v11, v47
	s_delay_alu instid0(VALU_DEP_4) | instskip(SKIP_1) | instid1(VALU_DEP_3)
	v_dual_fmac_f32 v25, v165, v92 :: v_dual_mul_f32 v43, v167, v95
	s_wait_loadcnt_dscnt 0x903
	v_dual_mul_f32 v13, v169, v97 :: v_dual_add_f32 v7, v7, v15
	v_dual_mul_f32 v15, v171, v99 :: v_dual_fma_f32 v47, v160, v88, -v55
	s_delay_alu instid0(VALU_DEP_3) | instskip(SKIP_1) | instid1(VALU_DEP_4)
	v_dual_add_f32 v11, v11, v45 :: v_dual_fma_f32 v43, v166, v94, -v43
	v_fmac_f32_e32 v19, v155, v86
	v_dual_add_f32 v7, v7, v17 :: v_dual_fma_f32 v45, v162, v90, -v57
	s_delay_alu instid0(VALU_DEP_3) | instskip(SKIP_2) | instid1(VALU_DEP_3)
	v_dual_add_f32 v11, v11, v47 :: v_dual_fma_f32 v15, v170, v98, -v15
	s_wait_loadcnt_dscnt 0x802
	v_dual_mul_f32 v31, v170, v99 :: v_dual_mul_f32 v33, v172, v101
	v_dual_add_f32 v7, v7, v19 :: v_dual_fma_f32 v47, v164, v92, -v59
	s_delay_alu instid0(VALU_DEP_3) | instskip(SKIP_1) | instid1(VALU_DEP_3)
	v_dual_add_f32 v11, v11, v45 :: v_dual_mul_f32 v27, v166, v95
	v_mul_f32_e32 v29, v168, v97
	v_dual_add_f32 v7, v7, v21 :: v_dual_fma_f32 v13, v168, v96, -v13
	s_wait_loadcnt_dscnt 0x701
	v_mul_f32_e32 v21, v177, v105
	v_dual_fmac_f32 v33, v173, v100 :: v_dual_add_f32 v11, v11, v47
	s_wait_loadcnt 0x6
	v_dual_mul_f32 v39, v178, v107 :: v_dual_mul_f32 v41, v156, v109
	v_dual_fmac_f32 v23, v163, v90 :: v_dual_fmac_f32 v29, v169, v96
	s_delay_alu instid0(VALU_DEP_3) | instskip(NEXT) | instid1(VALU_DEP_2)
	v_dual_add_f32 v11, v11, v43 :: v_dual_mul_f32 v17, v173, v101
	v_dual_fmac_f32 v41, v157, v108 :: v_dual_add_f32 v7, v7, v23
	v_mul_f32_e32 v19, v175, v103
	s_delay_alu instid0(VALU_DEP_3) | instskip(SKIP_4) | instid1(VALU_DEP_3)
	v_add_f32_e32 v11, v11, v13
	s_wait_loadcnt 0x5
	v_dual_mul_f32 v13, v129, v113 :: v_dual_mul_f32 v23, v179, v107
	v_dual_fma_f32 v17, v172, v100, -v17 :: v_dual_mul_f32 v35, v174, v103
	v_mul_f32_e32 v37, v176, v105
	v_dual_fma_f32 v196, v128, v112, -v13 :: v_dual_add_f32 v11, v11, v15
	v_fmac_f32_e32 v27, v167, v94
	v_add_f32_e32 v7, v7, v25
	v_dual_mul_f32 v25, v157, v109 :: v_dual_fma_f32 v15, v174, v102, -v19
	s_delay_alu instid0(VALU_DEP_4) | instskip(SKIP_3) | instid1(VALU_DEP_3)
	v_add_f32_e32 v11, v11, v17
	s_wait_loadcnt 0x4
	v_dual_mov_b32 v76, v115 :: v_dual_mov_b32 v80, v119
	v_dual_fmac_f32 v37, v177, v104 :: v_dual_add_f32 v7, v7, v27
	v_dual_fma_f32 v17, v176, v104, -v21 :: v_dual_add_f32 v11, v11, v15
	v_dual_mul_f32 v195, v158, v111 :: v_dual_mul_f32 v197, v128, v113
	v_mul_f32_e32 v27, v159, v111
	v_fmac_f32_e32 v31, v171, v98
	s_delay_alu instid0(VALU_DEP_4) | instskip(SKIP_1) | instid1(VALU_DEP_4)
	v_dual_fma_f32 v15, v178, v106, -v23 :: v_dual_add_f32 v11, v11, v17
	v_dual_fma_f32 v17, v156, v108, -v25 :: v_dual_add_f32 v7, v7, v29
	v_fma_f32 v194, v158, v110, -v27
	v_pk_mul_f32 v[76:77], v[186:187], v[76:77] op_sel_hi:[1,0]
	v_dual_fmac_f32 v197, v129, v112 :: v_dual_fmac_f32 v35, v175, v102
	v_fmac_f32_e32 v39, v179, v106
	v_add_f32_e32 v11, v11, v15
	s_delay_alu instid0(VALU_DEP_4) | instskip(SKIP_3) | instid1(VALU_DEP_4)
	v_pk_fma_f32 v[88:89], v[130:131], v[114:115], v[76:77] op_sel_hi:[1,0,1]
	v_add_f32_e32 v7, v7, v31
	v_pk_fma_f32 v[76:77], v[130:131], v[114:115], v[76:77] neg_lo:[0,0,1] neg_hi:[0,0,1]
	v_fmac_f32_e32 v195, v159, v110
	v_dual_add_f32 v84, v11, v17 :: v_dual_mov_b32 v77, v89
	s_delay_alu instid0(VALU_DEP_4)
	v_add_f32_e32 v7, v7, v33
	v_pk_mul_f32 v[78:79], v[132:133], v[116:117] op_sel:[1,1] op_sel_hi:[0,1]
	v_pk_mul_f32 v[80:81], v[188:189], v[80:81] op_sel_hi:[1,0]
	s_wait_loadcnt 0x3
	v_pk_mul_f32 v[82:83], v[136:137], v[120:121] op_sel:[1,1] op_sel_hi:[0,1]
	s_wait_loadcnt 0x2
	v_pk_mul_f32 v[88:89], v[140:141], v[124:125] op_sel:[1,1] op_sel_hi:[0,1]
	v_add_f32_e32 v7, v7, v35
	v_pk_fma_f32 v[90:91], v[132:133], v[116:117], v[78:79] op_sel_hi:[1,0,1]
	v_pk_fma_f32 v[78:79], v[132:133], v[116:117], v[78:79] neg_lo:[0,0,1] neg_hi:[0,0,1]
	v_mov_b32_e32 v86, v123
	s_delay_alu instid0(VALU_DEP_4) | instskip(NEXT) | instid1(VALU_DEP_4)
	v_add_f32_e32 v7, v7, v37
	v_mov_b32_e32 v79, v91
	v_pk_fma_f32 v[90:91], v[134:135], v[118:119], v[80:81] op_sel_hi:[1,0,1]
	v_pk_fma_f32 v[80:81], v[134:135], v[118:119], v[80:81] neg_lo:[0,0,1] neg_hi:[0,0,1]
	v_pk_mul_f32 v[86:87], v[190:191], v[86:87] op_sel_hi:[1,0]
	v_add_f32_e32 v7, v7, v39
	s_delay_alu instid0(VALU_DEP_4) | instskip(NEXT) | instid1(VALU_DEP_2)
	v_mov_b32_e32 v81, v91
	v_add_f32_e32 v85, v7, v41
	s_delay_alu instid0(VALU_DEP_1) | instskip(NEXT) | instid1(VALU_DEP_1)
	v_pk_add_f32 v[84:85], v[84:85], v[194:195]
	v_pk_add_f32 v[84:85], v[84:85], v[196:197]
	s_delay_alu instid0(VALU_DEP_1) | instskip(SKIP_2) | instid1(VALU_DEP_3)
	v_pk_add_f32 v[76:77], v[84:85], v[76:77]
	v_pk_fma_f32 v[84:85], v[136:137], v[120:121], v[82:83] op_sel_hi:[1,0,1]
	v_pk_fma_f32 v[82:83], v[136:137], v[120:121], v[82:83] neg_lo:[0,0,1] neg_hi:[0,0,1]
	v_pk_add_f32 v[76:77], v[76:77], v[78:79]
	s_delay_alu instid0(VALU_DEP_3) | instskip(SKIP_2) | instid1(VALU_DEP_4)
	v_dual_mov_b32 v78, v127 :: v_dual_mov_b32 v83, v85
	v_pk_fma_f32 v[84:85], v[138:139], v[122:123], v[86:87] op_sel_hi:[1,0,1]
	v_pk_fma_f32 v[86:87], v[138:139], v[122:123], v[86:87] neg_lo:[0,0,1] neg_hi:[0,0,1]
	v_pk_add_f32 v[76:77], v[76:77], v[80:81]
	v_pk_fma_f32 v[80:81], v[140:141], v[124:125], v[88:89] op_sel_hi:[1,0,1]
	v_pk_mul_f32 v[78:79], v[192:193], v[78:79] op_sel_hi:[1,0]
	v_mov_b32_e32 v87, v85
	s_wait_loadcnt_dscnt 0x100
	v_pk_mul_f32 v[84:85], v[184:185], v[180:181] op_sel:[1,1] op_sel_hi:[0,1]
	v_pk_add_f32 v[76:77], v[76:77], v[82:83]
	v_pk_fma_f32 v[82:83], v[140:141], v[124:125], v[88:89] neg_lo:[0,0,1] neg_hi:[0,0,1]
	v_mov_b32_e32 v83, v81
	v_pk_fma_f32 v[80:81], v[142:143], v[126:127], v[78:79] op_sel_hi:[1,0,1]
	v_pk_fma_f32 v[78:79], v[142:143], v[126:127], v[78:79] neg_lo:[0,0,1] neg_hi:[0,0,1]
	v_pk_add_f32 v[76:77], v[76:77], v[86:87]
	s_delay_alu instid0(VALU_DEP_3) | instskip(SKIP_1) | instid1(VALU_DEP_3)
	v_mov_b32_e32 v79, v81
	v_pk_fma_f32 v[80:81], v[184:185], v[180:181], v[84:85] op_sel_hi:[1,0,1]
	v_pk_add_f32 v[76:77], v[76:77], v[82:83]
	v_pk_fma_f32 v[82:83], v[184:185], v[180:181], v[84:85] neg_lo:[0,0,1] neg_hi:[0,0,1]
	s_delay_alu instid0(VALU_DEP_3) | instskip(NEXT) | instid1(VALU_DEP_3)
	v_mov_b32_e32 v83, v81
	v_pk_add_f32 v[76:77], v[76:77], v[78:79]
	s_delay_alu instid0(VALU_DEP_1) | instskip(SKIP_1) | instid1(VALU_DEP_1)
	v_pk_add_f32 v[76:77], v[76:77], v[82:83]
	s_wait_loadcnt 0x0
	v_pk_add_f32 v[76:77], v[182:183], v[76:77] neg_lo:[0,1] neg_hi:[0,1]
	scratch_store_b64 off, v[76:77], off offset:72
	s_wait_xcnt 0x0
	v_cmpx_lt_u32_e32 8, v0
	s_cbranch_execz .LBB36_219
; %bb.218:
	scratch_load_b64 v[76:77], off, off offset:64
	v_mov_b64_e32 v[78:79], 0
	scratch_store_b64 off, v[78:79], off offset:64
	s_wait_loadcnt 0x0
	ds_store_b64 v1, v[76:77]
.LBB36_219:
	s_wait_xcnt 0x0
	s_or_b32 exec_lo, exec_lo, s0
	s_wait_storecnt_dscnt 0x0
	s_barrier_signal -1
	s_barrier_wait -1
	s_clause 0xe
	scratch_load_b128 v[76:79], off, off offset:72
	scratch_load_b128 v[80:83], off, off offset:88
	;; [unrolled: 1-line block ×14, first 2 shown]
	scratch_load_b64 v[188:189], off, off offset:64
	ds_load_2addr_b64 v[132:135], v5 offset0:67 offset1:68
	ds_load_2addr_b64 v[136:139], v5 offset0:69 offset1:70
	;; [unrolled: 1-line block ×14, first 2 shown]
	s_mov_b32 s0, exec_lo
	s_wait_dscnt 0xd
	v_dual_mov_b32 v190, v135 :: v_dual_mov_b32 v191, v134
	s_wait_dscnt 0xc
	v_dual_mov_b32 v192, v139 :: v_dual_mov_b32 v193, v138
	;; [unrolled: 2-line block ×4, first 2 shown]
	s_wait_loadcnt_dscnt 0xe09
	v_dual_mul_f32 v5, v148, v77 :: v_dual_mul_f32 v7, v150, v79
	v_dual_mul_f32 v43, v149, v77 :: v_dual_mul_f32 v45, v151, v79
	s_wait_loadcnt_dscnt 0xd08
	v_dual_mul_f32 v11, v152, v81 :: v_dual_mul_f32 v13, v154, v83
	s_delay_alu instid0(VALU_DEP_2) | instskip(SKIP_3) | instid1(VALU_DEP_3)
	v_dual_fmac_f32 v5, v149, v76 :: v_dual_fma_f32 v43, v148, v76, -v43
	v_dual_mul_f32 v47, v153, v81 :: v_dual_mul_f32 v49, v155, v83
	s_wait_loadcnt_dscnt 0xb06
	v_dual_mul_f32 v55, v161, v89 :: v_dual_fmac_f32 v7, v151, v78
	v_dual_fma_f32 v45, v150, v78, -v45 :: v_dual_add_f32 v5, 0, v5
	v_dual_add_f32 v43, 0, v43 :: v_dual_fmac_f32 v11, v153, v80
	v_dual_mul_f32 v57, v163, v91 :: v_dual_fma_f32 v47, v152, v80, -v47
	s_delay_alu instid0(VALU_DEP_2)
	v_dual_add_f32 v5, v5, v7 :: v_dual_add_f32 v7, v43, v45
	v_dual_mul_f32 v15, v156, v85 :: v_dual_mul_f32 v17, v158, v87
	v_dual_mul_f32 v51, v157, v85 :: v_dual_mul_f32 v53, v159, v87
	s_wait_loadcnt_dscnt 0xa05
	v_dual_mul_f32 v43, v165, v93 :: v_dual_fmac_f32 v13, v155, v82
	v_dual_fma_f32 v45, v154, v82, -v49 :: v_dual_add_f32 v5, v5, v11
	v_dual_add_f32 v7, v7, v47 :: v_dual_fmac_f32 v15, v157, v84
	v_dual_mul_f32 v11, v167, v95 :: v_dual_fma_f32 v47, v156, v84, -v51
	s_delay_alu instid0(VALU_DEP_3) | instskip(NEXT) | instid1(VALU_DEP_3)
	v_dual_add_f32 v5, v5, v13 :: v_dual_fmac_f32 v17, v159, v86
	v_dual_add_f32 v7, v7, v45 :: v_dual_fma_f32 v45, v158, v86, -v53
	v_dual_mul_f32 v19, v160, v89 :: v_dual_mul_f32 v21, v162, v91
	s_wait_loadcnt_dscnt 0x904
	s_delay_alu instid0(VALU_DEP_2) | instskip(SKIP_1) | instid1(VALU_DEP_3)
	v_dual_mul_f32 v13, v169, v97 :: v_dual_add_f32 v7, v7, v47
	v_dual_add_f32 v5, v5, v15 :: v_dual_fma_f32 v47, v160, v88, -v55
	v_dual_mul_f32 v15, v171, v99 :: v_dual_fmac_f32 v19, v161, v88
	s_delay_alu instid0(VALU_DEP_3) | instskip(NEXT) | instid1(VALU_DEP_3)
	v_dual_add_f32 v7, v7, v45 :: v_dual_fma_f32 v45, v162, v90, -v57
	v_dual_add_f32 v5, v5, v17 :: v_dual_fmac_f32 v21, v163, v90
	v_dual_mul_f32 v23, v164, v93 :: v_dual_mul_f32 v25, v166, v95
	s_wait_loadcnt_dscnt 0x803
	s_delay_alu instid0(VALU_DEP_3) | instskip(NEXT) | instid1(VALU_DEP_3)
	v_dual_mul_f32 v17, v173, v101 :: v_dual_add_f32 v7, v7, v47
	v_dual_add_f32 v5, v5, v19 :: v_dual_fma_f32 v43, v164, v92, -v43
	s_delay_alu instid0(VALU_DEP_3) | instskip(NEXT) | instid1(VALU_DEP_3)
	v_dual_mul_f32 v19, v175, v103 :: v_dual_fmac_f32 v23, v165, v92
	v_dual_add_f32 v7, v7, v45 :: v_dual_fma_f32 v11, v166, v94, -v11
	s_delay_alu instid0(VALU_DEP_3) | instskip(SKIP_2) | instid1(VALU_DEP_3)
	v_dual_add_f32 v5, v5, v21 :: v_dual_fmac_f32 v25, v167, v94
	v_dual_mul_f32 v27, v168, v97 :: v_dual_mul_f32 v29, v170, v99
	s_wait_loadcnt_dscnt 0x702
	v_dual_mul_f32 v21, v177, v105 :: v_dual_add_f32 v7, v7, v43
	s_delay_alu instid0(VALU_DEP_3) | instskip(NEXT) | instid1(VALU_DEP_3)
	v_dual_add_f32 v5, v5, v23 :: v_dual_fma_f32 v13, v168, v96, -v13
	v_dual_mul_f32 v23, v179, v107 :: v_dual_fmac_f32 v27, v169, v96
	s_delay_alu instid0(VALU_DEP_2) | instskip(SKIP_3) | instid1(VALU_DEP_3)
	v_dual_add_f32 v7, v7, v11 :: v_dual_add_f32 v5, v5, v25
	v_dual_mul_f32 v31, v172, v101 :: v_dual_mul_f32 v33, v174, v103
	s_wait_loadcnt_dscnt 0x601
	v_dual_mul_f32 v11, v181, v109 :: v_dual_fmac_f32 v29, v171, v98
	v_dual_fma_f32 v15, v170, v98, -v15 :: v_dual_add_f32 v5, v5, v27
	s_delay_alu instid0(VALU_DEP_3) | instskip(SKIP_1) | instid1(VALU_DEP_2)
	v_dual_add_f32 v7, v7, v13 :: v_dual_fmac_f32 v31, v173, v100
	v_dual_mul_f32 v13, v183, v111 :: v_dual_fma_f32 v17, v172, v100, -v17
	v_dual_add_f32 v5, v5, v29 :: v_dual_add_f32 v7, v7, v15
	v_dual_mul_f32 v35, v176, v105 :: v_dual_mul_f32 v37, v178, v107
	s_wait_loadcnt_dscnt 0x500
	v_dual_mul_f32 v15, v185, v113 :: v_dual_fmac_f32 v33, v175, v102
	s_delay_alu instid0(VALU_DEP_3) | instskip(NEXT) | instid1(VALU_DEP_3)
	v_dual_fma_f32 v19, v174, v102, -v19 :: v_dual_add_f32 v5, v5, v31
	v_dual_add_f32 v7, v7, v17 :: v_dual_fmac_f32 v35, v177, v104
	v_dual_mul_f32 v17, v187, v115 :: v_dual_fma_f32 v21, v176, v104, -v21
	s_delay_alu instid0(VALU_DEP_2) | instskip(SKIP_2) | instid1(VALU_DEP_3)
	v_dual_add_f32 v5, v5, v33 :: v_dual_add_f32 v7, v7, v19
	v_dual_mul_f32 v39, v180, v109 :: v_dual_mul_f32 v41, v182, v111
	v_dual_fmac_f32 v37, v179, v106 :: v_dual_fma_f32 v19, v178, v106, -v23
	v_dual_add_f32 v5, v5, v35 :: v_dual_add_f32 v7, v7, v21
	s_wait_loadcnt 0x4
	s_delay_alu instid0(VALU_DEP_3) | instskip(NEXT) | instid1(VALU_DEP_2)
	v_dual_mov_b32 v78, v119 :: v_dual_fmac_f32 v39, v181, v108
	v_dual_fma_f32 v11, v180, v108, -v11 :: v_dual_add_f32 v5, v5, v37
	s_delay_alu instid0(VALU_DEP_3) | instskip(SKIP_1) | instid1(VALU_DEP_3)
	v_dual_add_f32 v7, v7, v19 :: v_dual_fma_f32 v13, v182, v110, -v13
	v_dual_mul_f32 v199, v184, v113 :: v_dual_mul_f32 v201, v186, v115
	v_dual_fmac_f32 v41, v183, v110 :: v_dual_add_f32 v5, v5, v39
	s_delay_alu instid0(VALU_DEP_2)
	v_dual_add_f32 v7, v7, v11 :: v_dual_fmac_f32 v199, v185, v112
	v_pk_mul_f32 v[76:77], v[132:133], v[116:117] op_sel:[1,1] op_sel_hi:[0,1]
	s_wait_loadcnt 0x3
	v_dual_mov_b32 v82, v123 :: v_dual_fma_f32 v198, v184, v112, -v15
	v_dual_add_f32 v85, v5, v41 :: v_dual_fmac_f32 v201, v187, v114
	v_dual_add_f32 v84, v7, v13 :: v_dual_fma_f32 v200, v186, v114, -v17
	v_pk_fma_f32 v[86:87], v[132:133], v[116:117], v[76:77] op_sel_hi:[1,0,1]
	v_pk_mul_f32 v[78:79], v[190:191], v[78:79] op_sel_hi:[1,0]
	v_pk_fma_f32 v[76:77], v[132:133], v[116:117], v[76:77] neg_lo:[0,0,1] neg_hi:[0,0,1]
	s_delay_alu instid0(VALU_DEP_4)
	v_pk_add_f32 v[84:85], v[84:85], v[198:199]
	v_pk_mul_f32 v[80:81], v[136:137], v[120:121] op_sel:[1,1] op_sel_hi:[0,1]
	v_mov_b32_e32 v77, v87
	v_pk_fma_f32 v[86:87], v[134:135], v[118:119], v[78:79] op_sel_hi:[1,0,1]
	v_pk_fma_f32 v[78:79], v[134:135], v[118:119], v[78:79] neg_lo:[0,0,1] neg_hi:[0,0,1]
	v_pk_add_f32 v[84:85], v[84:85], v[200:201]
	v_pk_fma_f32 v[90:91], v[136:137], v[120:121], v[80:81] op_sel_hi:[1,0,1]
	v_pk_mul_f32 v[82:83], v[192:193], v[82:83] op_sel_hi:[1,0]
	v_mov_b32_e32 v79, v87
	s_wait_loadcnt 0x2
	v_pk_mul_f32 v[88:89], v[140:141], v[124:125] op_sel:[1,1] op_sel_hi:[0,1]
	v_pk_add_f32 v[76:77], v[84:85], v[76:77]
	v_mov_b32_e32 v84, v127
	v_pk_fma_f32 v[80:81], v[136:137], v[120:121], v[80:81] neg_lo:[0,0,1] neg_hi:[0,0,1]
	v_mov_b32_e32 v81, v91
	v_pk_fma_f32 v[86:87], v[138:139], v[122:123], v[82:83] op_sel_hi:[1,0,1]
	v_pk_add_f32 v[76:77], v[76:77], v[78:79]
	v_pk_fma_f32 v[78:79], v[140:141], v[124:125], v[88:89] op_sel_hi:[1,0,1]
	v_pk_mul_f32 v[84:85], v[194:195], v[84:85] op_sel_hi:[1,0]
	v_pk_fma_f32 v[82:83], v[138:139], v[122:123], v[82:83] neg_lo:[0,0,1] neg_hi:[0,0,1]
	v_mov_b32_e32 v83, v87
	v_pk_add_f32 v[76:77], v[76:77], v[80:81]
	v_pk_fma_f32 v[86:87], v[140:141], v[124:125], v[88:89] neg_lo:[0,0,1] neg_hi:[0,0,1]
	v_mov_b32_e32 v87, v79
	v_pk_fma_f32 v[78:79], v[142:143], v[126:127], v[84:85] op_sel_hi:[1,0,1]
	s_wait_loadcnt 0x1
	v_pk_mul_f32 v[80:81], v[144:145], v[128:129] op_sel:[1,1] op_sel_hi:[0,1]
	v_pk_add_f32 v[76:77], v[76:77], v[82:83]
	v_mov_b32_e32 v78, v131
	v_pk_fma_f32 v[84:85], v[142:143], v[126:127], v[84:85] neg_lo:[0,0,1] neg_hi:[0,0,1]
	v_mov_b32_e32 v85, v79
	v_pk_fma_f32 v[82:83], v[144:145], v[128:129], v[80:81] op_sel_hi:[1,0,1]
	v_pk_add_f32 v[76:77], v[76:77], v[86:87]
	v_pk_mul_f32 v[78:79], v[196:197], v[78:79] op_sel_hi:[1,0]
	v_pk_fma_f32 v[80:81], v[144:145], v[128:129], v[80:81] neg_lo:[0,0,1] neg_hi:[0,0,1]
	s_delay_alu instid0(VALU_DEP_4) | instskip(NEXT) | instid1(VALU_DEP_4)
	v_mov_b32_e32 v81, v83
	v_pk_add_f32 v[76:77], v[76:77], v[84:85]
	s_delay_alu instid0(VALU_DEP_4) | instskip(SKIP_1) | instid1(VALU_DEP_2)
	v_pk_fma_f32 v[82:83], v[146:147], v[130:131], v[78:79] op_sel_hi:[1,0,1]
	v_pk_fma_f32 v[78:79], v[146:147], v[130:131], v[78:79] neg_lo:[0,0,1] neg_hi:[0,0,1]
	v_mov_b32_e32 v79, v83
	s_delay_alu instid0(VALU_DEP_4) | instskip(NEXT) | instid1(VALU_DEP_1)
	v_pk_add_f32 v[76:77], v[76:77], v[80:81]
	v_pk_add_f32 v[76:77], v[76:77], v[78:79]
	s_wait_loadcnt 0x0
	s_delay_alu instid0(VALU_DEP_1)
	v_pk_add_f32 v[76:77], v[188:189], v[76:77] neg_lo:[0,1] neg_hi:[0,1]
	scratch_store_b64 off, v[76:77], off offset:64
	s_wait_xcnt 0x0
	v_cmpx_lt_u32_e32 7, v0
	s_cbranch_execz .LBB36_221
; %bb.220:
	scratch_load_b64 v[76:77], off, off offset:56
	v_mov_b64_e32 v[78:79], 0
	scratch_store_b64 off, v[78:79], off offset:56
	s_wait_loadcnt 0x0
	ds_store_b64 v1, v[76:77]
.LBB36_221:
	s_wait_xcnt 0x0
	s_or_b32 exec_lo, exec_lo, s0
	s_wait_storecnt_dscnt 0x0
	s_barrier_signal -1
	s_barrier_wait -1
	s_clause 0xf
	scratch_load_b128 v[76:79], off, off offset:64
	scratch_load_b128 v[80:83], off, off offset:80
	;; [unrolled: 1-line block ×14, first 2 shown]
	scratch_load_b64 v[188:189], off, off offset:288
	scratch_load_b64 v[190:191], off, off offset:56
	v_mov_b32_e32 v5, 0
	ds_load_b128 v[132:135], v5 offset:528
	ds_load_b128 v[136:139], v5 offset:544
	;; [unrolled: 1-line block ×14, first 2 shown]
	ds_load_b64 v[192:193], v5 offset:592
	s_mov_b32 s0, exec_lo
	s_wait_dscnt 0xe
	v_dual_mov_b32 v194, v135 :: v_dual_mov_b32 v195, v134
	s_wait_dscnt 0xb
	v_dual_mov_b32 v196, v139 :: v_dual_mov_b32 v201, v146
	v_dual_mov_b32 v197, v138 :: v_dual_mov_b32 v198, v143
	;; [unrolled: 1-line block ×3, first 2 shown]
	s_wait_loadcnt_dscnt 0xf0a
	v_dual_mul_f32 v7, v148, v77 :: v_dual_mul_f32 v47, v149, v77
	v_dual_mul_f32 v49, v151, v79 :: v_dual_mul_f32 v11, v150, v79
	s_wait_loadcnt_dscnt 0xe09
	v_mul_f32_e32 v13, v152, v81
	s_wait_loadcnt_dscnt 0xc07
	v_dual_mul_f32 v59, v161, v89 :: v_dual_fma_f32 v47, v148, v76, -v47
	v_dual_fmac_f32 v7, v149, v76 :: v_dual_mul_f32 v61, v163, v91
	v_dual_mul_f32 v51, v153, v81 :: v_dual_mul_f32 v53, v155, v83
	v_dual_fmac_f32 v11, v151, v78 :: v_dual_fma_f32 v49, v150, v78, -v49
	s_wait_loadcnt_dscnt 0xb06
	s_delay_alu instid0(VALU_DEP_3) | instskip(SKIP_1) | instid1(VALU_DEP_2)
	v_dual_add_f32 v7, 0, v7 :: v_dual_mul_f32 v63, v165, v93
	v_dual_add_f32 v47, 0, v47 :: v_dual_fmac_f32 v13, v153, v80
	v_dual_fma_f32 v51, v152, v80, -v51 :: v_dual_add_f32 v7, v7, v11
	v_dual_mul_f32 v55, v157, v85 :: v_dual_mul_f32 v57, v159, v87
	s_delay_alu instid0(VALU_DEP_3) | instskip(SKIP_2) | instid1(VALU_DEP_3)
	v_dual_add_f32 v11, v47, v49 :: v_dual_fma_f32 v49, v154, v82, -v53
	v_dual_mul_f32 v15, v154, v83 :: v_dual_mul_f32 v17, v156, v85
	v_dual_mul_f32 v19, v158, v87 :: v_dual_mul_f32 v21, v160, v89
	v_add_f32_e32 v11, v11, v51
	v_dual_add_f32 v7, v7, v13 :: v_dual_fma_f32 v51, v156, v84, -v55
	v_dual_mul_f32 v23, v162, v91 :: v_dual_mul_f32 v25, v164, v93
	s_delay_alu instid0(VALU_DEP_3) | instskip(SKIP_1) | instid1(VALU_DEP_2)
	v_dual_add_f32 v11, v11, v49 :: v_dual_fmac_f32 v21, v161, v88
	v_dual_fmac_f32 v15, v155, v82 :: v_dual_fmac_f32 v17, v157, v84
	v_dual_fma_f32 v49, v158, v86, -v57 :: v_dual_add_f32 v11, v11, v51
	s_delay_alu instid0(VALU_DEP_4) | instskip(SKIP_1) | instid1(VALU_DEP_3)
	v_dual_fmac_f32 v25, v165, v92 :: v_dual_mul_f32 v47, v167, v95
	s_wait_loadcnt_dscnt 0xa05
	v_dual_mul_f32 v13, v169, v97 :: v_dual_add_f32 v7, v7, v15
	v_dual_mul_f32 v15, v171, v99 :: v_dual_fma_f32 v51, v160, v88, -v59
	s_delay_alu instid0(VALU_DEP_3) | instskip(SKIP_1) | instid1(VALU_DEP_4)
	v_dual_add_f32 v11, v11, v49 :: v_dual_fma_f32 v47, v166, v94, -v47
	v_fmac_f32_e32 v19, v159, v86
	v_dual_add_f32 v7, v7, v17 :: v_dual_fma_f32 v49, v162, v90, -v61
	s_delay_alu instid0(VALU_DEP_3) | instskip(SKIP_2) | instid1(VALU_DEP_3)
	v_dual_add_f32 v11, v11, v51 :: v_dual_fma_f32 v15, v170, v98, -v15
	s_wait_loadcnt_dscnt 0x904
	v_dual_mul_f32 v31, v170, v99 :: v_dual_mul_f32 v33, v172, v101
	v_dual_add_f32 v7, v7, v19 :: v_dual_fma_f32 v51, v164, v92, -v63
	s_delay_alu instid0(VALU_DEP_3) | instskip(SKIP_4) | instid1(VALU_DEP_3)
	v_dual_add_f32 v11, v11, v49 :: v_dual_mul_f32 v27, v166, v95
	v_dual_mul_f32 v29, v168, v97 :: v_dual_mul_f32 v35, v174, v103
	s_wait_loadcnt_dscnt 0x803
	v_mul_f32_e32 v37, v176, v105
	v_dual_mul_f32 v17, v173, v101 :: v_dual_fmac_f32 v23, v163, v90
	v_dual_fmac_f32 v29, v169, v96 :: v_dual_add_f32 v7, v7, v21
	v_fma_f32 v13, v168, v96, -v13
	v_dual_fmac_f32 v33, v173, v100 :: v_dual_add_f32 v11, v11, v51
	s_delay_alu instid0(VALU_DEP_3) | instskip(SKIP_1) | instid1(VALU_DEP_3)
	v_dual_fmac_f32 v37, v177, v104 :: v_dual_add_f32 v7, v7, v23
	v_dual_mul_f32 v23, v179, v107 :: v_dual_fma_f32 v17, v172, v100, -v17
	v_add_f32_e32 v11, v11, v47
	s_wait_loadcnt_dscnt 0x601
	v_dual_mul_f32 v43, v182, v111 :: v_dual_mul_f32 v45, v184, v113
	s_wait_loadcnt 0x4
	v_dual_mov_b32 v76, v119 :: v_dual_mov_b32 v80, v123
	v_dual_add_f32 v11, v11, v13 :: v_dual_mul_f32 v203, v186, v115
	v_dual_mul_f32 v205, v132, v117 :: v_dual_mul_f32 v19, v175, v103
	s_delay_alu instid0(VALU_DEP_2) | instskip(NEXT) | instid1(VALU_DEP_3)
	v_dual_fmac_f32 v45, v185, v112 :: v_dual_add_f32 v11, v11, v15
	v_dual_mul_f32 v15, v187, v115 :: v_dual_fmac_f32 v203, v187, v114
	v_pk_mul_f32 v[76:77], v[194:195], v[76:77] op_sel_hi:[1,0]
	v_dual_mul_f32 v21, v177, v105 :: v_dual_fmac_f32 v27, v167, v94
	v_mul_f32_e32 v13, v185, v113
	v_add_f32_e32 v7, v7, v25
	v_dual_mul_f32 v25, v181, v109 :: v_dual_fma_f32 v19, v174, v102, -v19
	v_fma_f32 v202, v186, v114, -v15
	v_pk_fma_f32 v[88:89], v[134:135], v[118:119], v[76:77] op_sel_hi:[1,0,1]
	v_add_f32_e32 v11, v11, v17
	v_pk_fma_f32 v[76:77], v[134:135], v[118:119], v[76:77] neg_lo:[0,0,1] neg_hi:[0,0,1]
	v_dual_mul_f32 v39, v178, v107 :: v_dual_mul_f32 v41, v180, v109
	v_dual_mul_f32 v17, v133, v117 :: v_dual_add_f32 v7, v7, v27
	v_dual_fma_f32 v21, v176, v104, -v21 :: v_dual_mov_b32 v77, v89
	v_add_f32_e32 v11, v11, v19
	s_delay_alu instid0(VALU_DEP_4) | instskip(SKIP_2) | instid1(VALU_DEP_4)
	v_dual_mul_f32 v27, v183, v111 :: v_dual_fmac_f32 v41, v181, v108
	v_fmac_f32_e32 v31, v171, v98
	v_dual_add_f32 v7, v7, v29 :: v_dual_fma_f32 v19, v178, v106, -v23
	v_dual_add_f32 v11, v11, v21 :: v_dual_fma_f32 v21, v180, v108, -v25
	v_dual_fmac_f32 v35, v175, v102 :: v_dual_fmac_f32 v205, v133, v116
	s_delay_alu instid0(VALU_DEP_2) | instskip(NEXT) | instid1(VALU_DEP_4)
	v_dual_fma_f32 v13, v184, v112, -v13 :: v_dual_add_f32 v11, v11, v19
	v_dual_fma_f32 v19, v182, v110, -v27 :: v_dual_add_f32 v7, v7, v31
	v_dual_fma_f32 v204, v132, v116, -v17 :: v_dual_fmac_f32 v39, v179, v106
	v_fmac_f32_e32 v43, v183, v110
	s_delay_alu instid0(VALU_DEP_4) | instskip(NEXT) | instid1(VALU_DEP_4)
	v_add_f32_e32 v11, v11, v21
	v_add_f32_e32 v7, v7, v33
	v_pk_mul_f32 v[78:79], v[136:137], v[120:121] op_sel:[1,1] op_sel_hi:[0,1]
	v_pk_mul_f32 v[80:81], v[196:197], v[80:81] op_sel_hi:[1,0]
	s_wait_loadcnt 0x3
	v_pk_mul_f32 v[82:83], v[140:141], v[124:125] op_sel:[1,1] op_sel_hi:[0,1]
	v_add_f32_e32 v11, v11, v19
	v_add_f32_e32 v7, v7, v35
	v_pk_fma_f32 v[90:91], v[136:137], v[120:121], v[78:79] op_sel_hi:[1,0,1]
	v_pk_fma_f32 v[78:79], v[136:137], v[120:121], v[78:79] neg_lo:[0,0,1] neg_hi:[0,0,1]
	v_mov_b32_e32 v86, v127
	v_add_f32_e32 v84, v11, v13
	v_add_f32_e32 v7, v7, v37
	v_mov_b32_e32 v79, v91
	v_pk_fma_f32 v[90:91], v[138:139], v[122:123], v[80:81] op_sel_hi:[1,0,1]
	v_pk_fma_f32 v[80:81], v[138:139], v[122:123], v[80:81] neg_lo:[0,0,1] neg_hi:[0,0,1]
	v_pk_mul_f32 v[86:87], v[198:199], v[86:87] op_sel_hi:[1,0]
	v_add_f32_e32 v7, v7, v39
	s_wait_loadcnt 0x2
	v_pk_mul_f32 v[88:89], v[144:145], v[128:129] op_sel:[1,1] op_sel_hi:[0,1]
	v_mov_b32_e32 v81, v91
	s_delay_alu instid0(VALU_DEP_3) | instskip(NEXT) | instid1(VALU_DEP_1)
	v_add_f32_e32 v7, v7, v41
	v_add_f32_e32 v7, v7, v43
	s_delay_alu instid0(VALU_DEP_1) | instskip(NEXT) | instid1(VALU_DEP_1)
	v_add_f32_e32 v85, v7, v45
	v_pk_add_f32 v[84:85], v[84:85], v[202:203]
	s_delay_alu instid0(VALU_DEP_1) | instskip(NEXT) | instid1(VALU_DEP_1)
	v_pk_add_f32 v[84:85], v[84:85], v[204:205]
	v_pk_add_f32 v[76:77], v[84:85], v[76:77]
	v_pk_fma_f32 v[84:85], v[140:141], v[124:125], v[82:83] op_sel_hi:[1,0,1]
	v_pk_fma_f32 v[82:83], v[140:141], v[124:125], v[82:83] neg_lo:[0,0,1] neg_hi:[0,0,1]
	s_delay_alu instid0(VALU_DEP_3) | instskip(NEXT) | instid1(VALU_DEP_3)
	v_pk_add_f32 v[76:77], v[76:77], v[78:79]
	v_dual_mov_b32 v78, v131 :: v_dual_mov_b32 v83, v85
	v_pk_fma_f32 v[84:85], v[142:143], v[126:127], v[86:87] op_sel_hi:[1,0,1]
	v_pk_fma_f32 v[86:87], v[142:143], v[126:127], v[86:87] neg_lo:[0,0,1] neg_hi:[0,0,1]
	s_delay_alu instid0(VALU_DEP_4)
	v_pk_add_f32 v[76:77], v[76:77], v[80:81]
	v_pk_fma_f32 v[80:81], v[144:145], v[128:129], v[88:89] op_sel_hi:[1,0,1]
	v_pk_mul_f32 v[78:79], v[200:201], v[78:79] op_sel_hi:[1,0]
	v_mov_b32_e32 v87, v85
	s_wait_loadcnt_dscnt 0x100
	v_pk_mul_f32 v[84:85], v[192:193], v[188:189] op_sel:[1,1] op_sel_hi:[0,1]
	v_pk_add_f32 v[76:77], v[76:77], v[82:83]
	v_pk_fma_f32 v[82:83], v[144:145], v[128:129], v[88:89] neg_lo:[0,0,1] neg_hi:[0,0,1]
	v_mov_b32_e32 v83, v81
	v_pk_fma_f32 v[80:81], v[146:147], v[130:131], v[78:79] op_sel_hi:[1,0,1]
	v_pk_fma_f32 v[78:79], v[146:147], v[130:131], v[78:79] neg_lo:[0,0,1] neg_hi:[0,0,1]
	v_pk_add_f32 v[76:77], v[76:77], v[86:87]
	s_delay_alu instid0(VALU_DEP_3) | instskip(SKIP_1) | instid1(VALU_DEP_3)
	v_mov_b32_e32 v79, v81
	v_pk_fma_f32 v[80:81], v[192:193], v[188:189], v[84:85] op_sel_hi:[1,0,1]
	v_pk_add_f32 v[76:77], v[76:77], v[82:83]
	v_pk_fma_f32 v[82:83], v[192:193], v[188:189], v[84:85] neg_lo:[0,0,1] neg_hi:[0,0,1]
	s_delay_alu instid0(VALU_DEP_3) | instskip(NEXT) | instid1(VALU_DEP_3)
	v_mov_b32_e32 v83, v81
	v_pk_add_f32 v[76:77], v[76:77], v[78:79]
	s_delay_alu instid0(VALU_DEP_1) | instskip(SKIP_1) | instid1(VALU_DEP_1)
	v_pk_add_f32 v[76:77], v[76:77], v[82:83]
	s_wait_loadcnt 0x0
	v_pk_add_f32 v[76:77], v[190:191], v[76:77] neg_lo:[0,1] neg_hi:[0,1]
	scratch_store_b64 off, v[76:77], off offset:56
	s_wait_xcnt 0x0
	v_cmpx_lt_u32_e32 6, v0
	s_cbranch_execz .LBB36_223
; %bb.222:
	scratch_load_b64 v[76:77], off, off offset:48
	v_mov_b64_e32 v[78:79], 0
	scratch_store_b64 off, v[78:79], off offset:48
	s_wait_loadcnt 0x0
	ds_store_b64 v1, v[76:77]
.LBB36_223:
	s_wait_xcnt 0x0
	s_or_b32 exec_lo, exec_lo, s0
	s_wait_storecnt_dscnt 0x0
	s_barrier_signal -1
	s_barrier_wait -1
	s_clause 0xf
	scratch_load_b128 v[76:79], off, off offset:56
	scratch_load_b128 v[80:83], off, off offset:72
	;; [unrolled: 1-line block ×15, first 2 shown]
	scratch_load_b64 v[196:197], off, off offset:48
	ds_load_2addr_b64 v[136:139], v5 offset0:67 offset1:68
	ds_load_2addr_b64 v[140:143], v5 offset0:69 offset1:70
	;; [unrolled: 1-line block ×15, first 2 shown]
	s_mov_b32 s0, exec_lo
	s_wait_dscnt 0xe
	v_dual_mov_b32 v198, v139 :: v_dual_mov_b32 v199, v138
	s_wait_dscnt 0xd
	v_dual_mov_b32 v200, v143 :: v_dual_mov_b32 v201, v142
	;; [unrolled: 2-line block ×4, first 2 shown]
	s_wait_loadcnt_dscnt 0xf0a
	v_dual_mul_f32 v5, v152, v77 :: v_dual_mul_f32 v7, v154, v79
	v_dual_mul_f32 v47, v153, v77 :: v_dual_mul_f32 v49, v155, v79
	s_wait_loadcnt_dscnt 0xe09
	v_dual_mul_f32 v11, v156, v81 :: v_dual_mul_f32 v13, v158, v83
	s_delay_alu instid0(VALU_DEP_2) | instskip(SKIP_3) | instid1(VALU_DEP_3)
	v_dual_fmac_f32 v5, v153, v76 :: v_dual_fma_f32 v47, v152, v76, -v47
	v_dual_mul_f32 v51, v157, v81 :: v_dual_mul_f32 v53, v159, v83
	s_wait_loadcnt_dscnt 0xc06
	v_dual_mul_f32 v59, v169, v89 :: v_dual_fmac_f32 v7, v155, v78
	v_dual_fma_f32 v49, v154, v78, -v49 :: v_dual_add_f32 v5, 0, v5
	v_dual_add_f32 v47, 0, v47 :: v_dual_fmac_f32 v11, v157, v80
	v_dual_mul_f32 v61, v171, v91 :: v_dual_fma_f32 v51, v156, v80, -v51
	s_delay_alu instid0(VALU_DEP_2)
	v_dual_add_f32 v5, v5, v7 :: v_dual_add_f32 v7, v47, v49
	v_dual_mul_f32 v15, v164, v85 :: v_dual_mul_f32 v17, v166, v87
	v_dual_mul_f32 v55, v165, v85 :: v_dual_mul_f32 v57, v167, v87
	s_wait_loadcnt_dscnt 0xb05
	v_dual_mul_f32 v47, v173, v93 :: v_dual_fmac_f32 v13, v159, v82
	v_dual_fma_f32 v49, v158, v82, -v53 :: v_dual_add_f32 v5, v5, v11
	v_dual_add_f32 v7, v7, v51 :: v_dual_fmac_f32 v15, v165, v84
	v_dual_mul_f32 v11, v175, v95 :: v_dual_fma_f32 v51, v164, v84, -v55
	s_delay_alu instid0(VALU_DEP_3) | instskip(NEXT) | instid1(VALU_DEP_3)
	v_dual_add_f32 v5, v5, v13 :: v_dual_fmac_f32 v17, v167, v86
	v_dual_add_f32 v7, v7, v49 :: v_dual_fma_f32 v49, v166, v86, -v57
	v_dual_mul_f32 v19, v168, v89 :: v_dual_mul_f32 v21, v170, v91
	s_wait_loadcnt_dscnt 0xa04
	s_delay_alu instid0(VALU_DEP_2) | instskip(SKIP_1) | instid1(VALU_DEP_3)
	v_dual_mul_f32 v13, v177, v97 :: v_dual_add_f32 v7, v7, v51
	v_dual_add_f32 v5, v5, v15 :: v_dual_fma_f32 v51, v168, v88, -v59
	v_dual_mul_f32 v15, v179, v99 :: v_dual_fmac_f32 v19, v169, v88
	s_delay_alu instid0(VALU_DEP_3) | instskip(NEXT) | instid1(VALU_DEP_3)
	v_dual_add_f32 v7, v7, v49 :: v_dual_fma_f32 v49, v170, v90, -v61
	v_dual_add_f32 v5, v5, v17 :: v_dual_fmac_f32 v21, v171, v90
	v_dual_mul_f32 v23, v172, v93 :: v_dual_mul_f32 v25, v174, v95
	s_wait_loadcnt_dscnt 0x903
	s_delay_alu instid0(VALU_DEP_3) | instskip(NEXT) | instid1(VALU_DEP_3)
	v_dual_mul_f32 v17, v181, v101 :: v_dual_add_f32 v7, v7, v51
	v_dual_add_f32 v5, v5, v19 :: v_dual_fma_f32 v47, v172, v92, -v47
	s_delay_alu instid0(VALU_DEP_3) | instskip(NEXT) | instid1(VALU_DEP_3)
	v_dual_mul_f32 v19, v183, v103 :: v_dual_fmac_f32 v23, v173, v92
	v_dual_add_f32 v7, v7, v49 :: v_dual_fma_f32 v11, v174, v94, -v11
	s_delay_alu instid0(VALU_DEP_3) | instskip(SKIP_2) | instid1(VALU_DEP_3)
	v_dual_add_f32 v5, v5, v21 :: v_dual_fmac_f32 v25, v175, v94
	v_dual_mul_f32 v27, v176, v97 :: v_dual_mul_f32 v29, v178, v99
	s_wait_loadcnt_dscnt 0x802
	v_dual_mul_f32 v21, v185, v105 :: v_dual_add_f32 v7, v7, v47
	s_delay_alu instid0(VALU_DEP_3) | instskip(NEXT) | instid1(VALU_DEP_3)
	v_dual_add_f32 v5, v5, v23 :: v_dual_fma_f32 v13, v176, v96, -v13
	v_dual_mul_f32 v23, v187, v107 :: v_dual_fmac_f32 v27, v177, v96
	s_delay_alu instid0(VALU_DEP_2) | instskip(SKIP_3) | instid1(VALU_DEP_3)
	v_dual_add_f32 v7, v7, v11 :: v_dual_add_f32 v5, v5, v25
	v_dual_mul_f32 v31, v180, v101 :: v_dual_mul_f32 v33, v182, v103
	s_wait_loadcnt_dscnt 0x701
	v_dual_mul_f32 v11, v189, v109 :: v_dual_fmac_f32 v29, v179, v98
	v_dual_fma_f32 v15, v178, v98, -v15 :: v_dual_add_f32 v5, v5, v27
	s_delay_alu instid0(VALU_DEP_3) | instskip(SKIP_1) | instid1(VALU_DEP_2)
	v_dual_add_f32 v7, v7, v13 :: v_dual_fmac_f32 v31, v181, v100
	v_dual_mul_f32 v13, v191, v111 :: v_dual_fma_f32 v17, v180, v100, -v17
	v_dual_add_f32 v5, v5, v29 :: v_dual_add_f32 v7, v7, v15
	v_dual_mul_f32 v35, v184, v105 :: v_dual_mul_f32 v37, v186, v107
	s_wait_loadcnt_dscnt 0x600
	v_dual_mul_f32 v15, v193, v113 :: v_dual_fmac_f32 v33, v183, v102
	s_delay_alu instid0(VALU_DEP_3) | instskip(NEXT) | instid1(VALU_DEP_3)
	v_dual_fma_f32 v19, v182, v102, -v19 :: v_dual_add_f32 v5, v5, v31
	v_dual_add_f32 v7, v7, v17 :: v_dual_fmac_f32 v35, v185, v104
	v_dual_mul_f32 v17, v195, v115 :: v_dual_fma_f32 v21, v184, v104, -v21
	s_delay_alu instid0(VALU_DEP_2) | instskip(SKIP_3) | instid1(VALU_DEP_3)
	v_dual_add_f32 v5, v5, v33 :: v_dual_add_f32 v7, v7, v19
	v_dual_mul_f32 v39, v188, v109 :: v_dual_mul_f32 v41, v190, v111
	s_wait_loadcnt 0x5
	v_dual_mul_f32 v19, v161, v117 :: v_dual_fmac_f32 v37, v187, v106
	v_dual_fma_f32 v23, v186, v106, -v23 :: v_dual_add_f32 v5, v5, v35
	s_delay_alu instid0(VALU_DEP_3) | instskip(SKIP_1) | instid1(VALU_DEP_2)
	v_dual_add_f32 v7, v7, v21 :: v_dual_fmac_f32 v39, v189, v108
	v_dual_mul_f32 v21, v163, v119 :: v_dual_fma_f32 v11, v188, v108, -v11
	v_dual_add_f32 v5, v5, v37 :: v_dual_add_f32 v7, v7, v23
	v_dual_mul_f32 v43, v192, v113 :: v_dual_mul_f32 v45, v194, v115
	s_delay_alu instid0(VALU_DEP_2) | instskip(NEXT) | instid1(VALU_DEP_3)
	v_dual_fmac_f32 v41, v191, v110 :: v_dual_add_f32 v5, v5, v39
	v_dual_fma_f32 v13, v190, v110, -v13 :: v_dual_add_f32 v7, v7, v11
	s_wait_loadcnt 0x4
	s_delay_alu instid0(VALU_DEP_3) | instskip(NEXT) | instid1(VALU_DEP_3)
	v_dual_mov_b32 v78, v123 :: v_dual_fmac_f32 v43, v193, v112
	v_dual_fma_f32 v11, v192, v112, -v15 :: v_dual_add_f32 v5, v5, v41
	s_delay_alu instid0(VALU_DEP_3) | instskip(SKIP_1) | instid1(VALU_DEP_3)
	v_dual_add_f32 v7, v7, v13 :: v_dual_fma_f32 v13, v194, v114, -v17
	v_dual_mul_f32 v207, v160, v117 :: v_dual_mul_f32 v209, v162, v119
	v_dual_fmac_f32 v45, v195, v114 :: v_dual_add_f32 v5, v5, v43
	s_delay_alu instid0(VALU_DEP_2)
	v_dual_add_f32 v7, v7, v11 :: v_dual_fmac_f32 v207, v161, v116
	v_pk_mul_f32 v[76:77], v[136:137], v[120:121] op_sel:[1,1] op_sel_hi:[0,1]
	s_wait_loadcnt 0x3
	v_dual_mov_b32 v82, v127 :: v_dual_fma_f32 v206, v160, v116, -v19
	v_dual_add_f32 v85, v5, v45 :: v_dual_fmac_f32 v209, v163, v118
	v_dual_add_f32 v84, v7, v13 :: v_dual_fma_f32 v208, v162, v118, -v21
	v_pk_fma_f32 v[86:87], v[136:137], v[120:121], v[76:77] op_sel_hi:[1,0,1]
	v_pk_mul_f32 v[78:79], v[198:199], v[78:79] op_sel_hi:[1,0]
	v_pk_fma_f32 v[76:77], v[136:137], v[120:121], v[76:77] neg_lo:[0,0,1] neg_hi:[0,0,1]
	s_delay_alu instid0(VALU_DEP_4)
	v_pk_add_f32 v[84:85], v[84:85], v[206:207]
	v_pk_mul_f32 v[80:81], v[140:141], v[124:125] op_sel:[1,1] op_sel_hi:[0,1]
	v_mov_b32_e32 v77, v87
	v_pk_fma_f32 v[86:87], v[138:139], v[122:123], v[78:79] op_sel_hi:[1,0,1]
	v_pk_fma_f32 v[78:79], v[138:139], v[122:123], v[78:79] neg_lo:[0,0,1] neg_hi:[0,0,1]
	v_pk_add_f32 v[84:85], v[84:85], v[208:209]
	v_pk_fma_f32 v[90:91], v[140:141], v[124:125], v[80:81] op_sel_hi:[1,0,1]
	v_pk_mul_f32 v[82:83], v[200:201], v[82:83] op_sel_hi:[1,0]
	v_mov_b32_e32 v79, v87
	s_wait_loadcnt 0x2
	v_pk_mul_f32 v[88:89], v[144:145], v[128:129] op_sel:[1,1] op_sel_hi:[0,1]
	v_pk_add_f32 v[76:77], v[84:85], v[76:77]
	v_mov_b32_e32 v84, v131
	v_pk_fma_f32 v[80:81], v[140:141], v[124:125], v[80:81] neg_lo:[0,0,1] neg_hi:[0,0,1]
	v_mov_b32_e32 v81, v91
	v_pk_fma_f32 v[86:87], v[142:143], v[126:127], v[82:83] op_sel_hi:[1,0,1]
	v_pk_add_f32 v[76:77], v[76:77], v[78:79]
	v_pk_fma_f32 v[78:79], v[144:145], v[128:129], v[88:89] op_sel_hi:[1,0,1]
	v_pk_mul_f32 v[84:85], v[202:203], v[84:85] op_sel_hi:[1,0]
	v_pk_fma_f32 v[82:83], v[142:143], v[126:127], v[82:83] neg_lo:[0,0,1] neg_hi:[0,0,1]
	v_mov_b32_e32 v83, v87
	v_pk_add_f32 v[76:77], v[76:77], v[80:81]
	v_pk_fma_f32 v[86:87], v[144:145], v[128:129], v[88:89] neg_lo:[0,0,1] neg_hi:[0,0,1]
	v_mov_b32_e32 v87, v79
	v_pk_fma_f32 v[78:79], v[146:147], v[130:131], v[84:85] op_sel_hi:[1,0,1]
	s_wait_loadcnt 0x1
	v_pk_mul_f32 v[80:81], v[148:149], v[132:133] op_sel:[1,1] op_sel_hi:[0,1]
	v_pk_add_f32 v[76:77], v[76:77], v[82:83]
	v_mov_b32_e32 v78, v135
	v_pk_fma_f32 v[84:85], v[146:147], v[130:131], v[84:85] neg_lo:[0,0,1] neg_hi:[0,0,1]
	v_mov_b32_e32 v85, v79
	v_pk_fma_f32 v[82:83], v[148:149], v[132:133], v[80:81] op_sel_hi:[1,0,1]
	v_pk_add_f32 v[76:77], v[76:77], v[86:87]
	v_pk_mul_f32 v[78:79], v[204:205], v[78:79] op_sel_hi:[1,0]
	v_pk_fma_f32 v[80:81], v[148:149], v[132:133], v[80:81] neg_lo:[0,0,1] neg_hi:[0,0,1]
	s_delay_alu instid0(VALU_DEP_4) | instskip(NEXT) | instid1(VALU_DEP_4)
	v_mov_b32_e32 v81, v83
	v_pk_add_f32 v[76:77], v[76:77], v[84:85]
	s_delay_alu instid0(VALU_DEP_4) | instskip(SKIP_1) | instid1(VALU_DEP_2)
	v_pk_fma_f32 v[82:83], v[150:151], v[134:135], v[78:79] op_sel_hi:[1,0,1]
	v_pk_fma_f32 v[78:79], v[150:151], v[134:135], v[78:79] neg_lo:[0,0,1] neg_hi:[0,0,1]
	v_mov_b32_e32 v79, v83
	s_delay_alu instid0(VALU_DEP_4) | instskip(NEXT) | instid1(VALU_DEP_1)
	v_pk_add_f32 v[76:77], v[76:77], v[80:81]
	v_pk_add_f32 v[76:77], v[76:77], v[78:79]
	s_wait_loadcnt 0x0
	s_delay_alu instid0(VALU_DEP_1)
	v_pk_add_f32 v[76:77], v[196:197], v[76:77] neg_lo:[0,1] neg_hi:[0,1]
	scratch_store_b64 off, v[76:77], off offset:48
	s_wait_xcnt 0x0
	v_cmpx_lt_u32_e32 5, v0
	s_cbranch_execz .LBB36_225
; %bb.224:
	scratch_load_b64 v[76:77], off, off offset:40
	v_mov_b64_e32 v[78:79], 0
	scratch_store_b64 off, v[78:79], off offset:40
	s_wait_loadcnt 0x0
	ds_store_b64 v1, v[76:77]
.LBB36_225:
	s_wait_xcnt 0x0
	s_or_b32 exec_lo, exec_lo, s0
	s_wait_storecnt_dscnt 0x0
	s_barrier_signal -1
	s_barrier_wait -1
	s_clause 0x10
	scratch_load_b128 v[76:79], off, off offset:48
	scratch_load_b128 v[80:83], off, off offset:64
	;; [unrolled: 1-line block ×15, first 2 shown]
	scratch_load_b64 v[196:197], off, off offset:288
	scratch_load_b64 v[198:199], off, off offset:40
	v_mov_b32_e32 v5, 0
	ds_load_b128 v[136:139], v5 offset:528
	ds_load_b128 v[140:143], v5 offset:544
	;; [unrolled: 1-line block ×15, first 2 shown]
	ds_load_b64 v[200:201], v5 offset:592
	s_mov_b32 s0, exec_lo
	s_wait_dscnt 0xf
	v_dual_mov_b32 v202, v139 :: v_dual_mov_b32 v203, v138
	s_wait_dscnt 0xc
	v_dual_mov_b32 v204, v143 :: v_dual_mov_b32 v209, v150
	v_dual_mov_b32 v205, v142 :: v_dual_mov_b32 v206, v147
	;; [unrolled: 1-line block ×3, first 2 shown]
	s_wait_loadcnt_dscnt 0x100b
	v_dual_mul_f32 v7, v152, v77 :: v_dual_mul_f32 v51, v153, v77
	v_dual_mul_f32 v53, v155, v79 :: v_dual_mul_f32 v11, v154, v79
	s_wait_loadcnt_dscnt 0xf09
	v_mul_f32_e32 v13, v160, v81
	s_wait_loadcnt_dscnt 0xd07
	v_dual_mul_f32 v63, v169, v89 :: v_dual_fma_f32 v51, v152, v76, -v51
	v_dual_fmac_f32 v7, v153, v76 :: v_dual_mul_f32 v65, v171, v91
	v_dual_mul_f32 v55, v161, v81 :: v_dual_mul_f32 v57, v163, v83
	v_dual_fmac_f32 v11, v155, v78 :: v_dual_fma_f32 v53, v154, v78, -v53
	s_wait_loadcnt_dscnt 0xc06
	s_delay_alu instid0(VALU_DEP_3) | instskip(SKIP_1) | instid1(VALU_DEP_2)
	v_dual_add_f32 v7, 0, v7 :: v_dual_mul_f32 v67, v173, v93
	v_dual_add_f32 v51, 0, v51 :: v_dual_fmac_f32 v13, v161, v80
	v_dual_fma_f32 v55, v160, v80, -v55 :: v_dual_add_f32 v7, v7, v11
	v_dual_mul_f32 v59, v165, v85 :: v_dual_mul_f32 v61, v167, v87
	s_delay_alu instid0(VALU_DEP_3) | instskip(SKIP_2) | instid1(VALU_DEP_3)
	v_dual_add_f32 v11, v51, v53 :: v_dual_fma_f32 v53, v162, v82, -v57
	v_dual_mul_f32 v15, v162, v83 :: v_dual_mul_f32 v17, v164, v85
	v_dual_mul_f32 v19, v166, v87 :: v_dual_mul_f32 v21, v168, v89
	v_add_f32_e32 v11, v11, v55
	v_dual_add_f32 v7, v7, v13 :: v_dual_fma_f32 v55, v164, v84, -v59
	v_dual_mul_f32 v23, v170, v91 :: v_dual_mul_f32 v25, v172, v93
	s_delay_alu instid0(VALU_DEP_3) | instskip(SKIP_1) | instid1(VALU_DEP_2)
	v_dual_add_f32 v11, v11, v53 :: v_dual_fmac_f32 v21, v169, v88
	v_dual_fmac_f32 v15, v163, v82 :: v_dual_fmac_f32 v17, v165, v84
	v_dual_fma_f32 v53, v166, v86, -v61 :: v_dual_add_f32 v11, v11, v55
	s_delay_alu instid0(VALU_DEP_4) | instskip(SKIP_1) | instid1(VALU_DEP_3)
	v_dual_fmac_f32 v25, v173, v92 :: v_dual_mul_f32 v51, v175, v95
	s_wait_loadcnt_dscnt 0xb05
	v_dual_mul_f32 v13, v177, v97 :: v_dual_add_f32 v7, v7, v15
	v_dual_mul_f32 v15, v179, v99 :: v_dual_fma_f32 v55, v168, v88, -v63
	s_delay_alu instid0(VALU_DEP_3) | instskip(SKIP_1) | instid1(VALU_DEP_4)
	v_dual_add_f32 v11, v11, v53 :: v_dual_fma_f32 v51, v174, v94, -v51
	v_fmac_f32_e32 v19, v167, v86
	v_dual_add_f32 v7, v7, v17 :: v_dual_fma_f32 v53, v170, v90, -v65
	s_delay_alu instid0(VALU_DEP_3) | instskip(SKIP_2) | instid1(VALU_DEP_3)
	v_dual_add_f32 v11, v11, v55 :: v_dual_fma_f32 v15, v178, v98, -v15
	s_wait_loadcnt_dscnt 0xa04
	v_dual_mul_f32 v31, v178, v99 :: v_dual_mul_f32 v33, v180, v101
	v_dual_add_f32 v7, v7, v19 :: v_dual_fma_f32 v55, v172, v92, -v67
	s_delay_alu instid0(VALU_DEP_3) | instskip(SKIP_4) | instid1(VALU_DEP_3)
	v_dual_add_f32 v11, v11, v53 :: v_dual_mul_f32 v27, v174, v95
	v_dual_mul_f32 v29, v176, v97 :: v_dual_mul_f32 v35, v182, v103
	s_wait_loadcnt_dscnt 0x903
	v_mul_f32_e32 v37, v184, v105
	v_dual_mul_f32 v17, v181, v101 :: v_dual_fmac_f32 v23, v171, v90
	v_dual_fmac_f32 v29, v177, v96 :: v_dual_add_f32 v7, v7, v21
	v_fma_f32 v13, v176, v96, -v13
	v_dual_fmac_f32 v33, v181, v100 :: v_dual_add_f32 v11, v11, v55
	s_delay_alu instid0(VALU_DEP_3) | instskip(SKIP_1) | instid1(VALU_DEP_3)
	v_dual_fmac_f32 v37, v185, v104 :: v_dual_add_f32 v7, v7, v23
	v_dual_mul_f32 v23, v187, v107 :: v_dual_fma_f32 v17, v180, v100, -v17
	v_add_f32_e32 v11, v11, v51
	v_mul_f32_e32 v19, v183, v103
	v_fmac_f32_e32 v27, v175, v94
	s_delay_alu instid0(VALU_DEP_4) | instskip(NEXT) | instid1(VALU_DEP_4)
	v_dual_fma_f32 v23, v186, v106, -v23 :: v_dual_mul_f32 v21, v185, v105
	v_add_f32_e32 v11, v11, v13
	s_wait_loadcnt_dscnt 0x701
	v_mul_f32_e32 v13, v193, v113
	v_add_f32_e32 v7, v7, v25
	v_dual_mul_f32 v25, v189, v109 :: v_dual_fma_f32 v19, v182, v102, -v19
	s_delay_alu instid0(VALU_DEP_3) | instskip(SKIP_2) | instid1(VALU_DEP_3)
	v_dual_add_f32 v11, v11, v15 :: v_dual_fma_f32 v13, v192, v112, -v13
	v_dual_mul_f32 v39, v186, v107 :: v_dual_mul_f32 v41, v188, v109
	v_fmac_f32_e32 v31, v179, v98
	v_add_f32_e32 v11, v11, v17
	s_wait_loadcnt 0x6
	v_dual_mul_f32 v17, v157, v117 :: v_dual_add_f32 v7, v7, v27
	v_dual_fma_f32 v21, v184, v104, -v21 :: v_dual_mul_f32 v43, v190, v111
	v_dual_mul_f32 v45, v192, v113 :: v_dual_mul_f32 v47, v194, v115
	v_mul_f32_e32 v49, v156, v117
	s_delay_alu instid0(VALU_DEP_4) | instskip(SKIP_2) | instid1(VALU_DEP_2)
	v_dual_add_f32 v7, v7, v29 :: v_dual_fma_f32 v25, v188, v108, -v25
	v_dual_fmac_f32 v41, v189, v108 :: v_dual_mul_f32 v211, v158, v119
	s_wait_loadcnt 0x5
	v_dual_mul_f32 v213, v136, v121 :: v_dual_add_f32 v7, v7, v31
	v_dual_fmac_f32 v45, v193, v112 :: v_dual_mul_f32 v15, v195, v115
	v_fmac_f32_e32 v47, v195, v114
	v_dual_fmac_f32 v35, v183, v102 :: v_dual_fmac_f32 v49, v157, v116
	s_delay_alu instid0(VALU_DEP_3)
	v_dual_add_f32 v7, v7, v33 :: v_dual_fma_f32 v15, v194, v114, -v15
	s_wait_loadcnt 0x4
	v_dual_mov_b32 v76, v123 :: v_dual_mov_b32 v80, v127
	v_dual_add_f32 v11, v11, v19 :: v_dual_fmac_f32 v213, v137, v120
	v_dual_mul_f32 v19, v159, v119 :: v_dual_fmac_f32 v211, v159, v118
	v_add_f32_e32 v7, v7, v35
	s_delay_alu instid0(VALU_DEP_4)
	v_pk_mul_f32 v[76:77], v[202:203], v[76:77] op_sel_hi:[1,0]
	v_mul_f32_e32 v27, v191, v111
	v_add_f32_e32 v11, v11, v21
	v_dual_mul_f32 v21, v137, v121 :: v_dual_fmac_f32 v39, v187, v106
	v_fma_f32 v210, v158, v118, -v19
	v_pk_fma_f32 v[88:89], v[138:139], v[122:123], v[76:77] op_sel_hi:[1,0,1]
	v_add_f32_e32 v7, v7, v37
	v_pk_fma_f32 v[76:77], v[138:139], v[122:123], v[76:77] neg_lo:[0,0,1] neg_hi:[0,0,1]
	v_dual_add_f32 v11, v11, v23 :: v_dual_fma_f32 v212, v136, v120, -v21
	s_delay_alu instid0(VALU_DEP_3) | instskip(SKIP_1) | instid1(VALU_DEP_3)
	v_dual_mov_b32 v77, v89 :: v_dual_add_f32 v7, v7, v39
	v_fmac_f32_e32 v43, v191, v110
	v_dual_fma_f32 v23, v190, v110, -v27 :: v_dual_add_f32 v11, v11, v25
	v_pk_mul_f32 v[78:79], v[140:141], v[124:125] op_sel:[1,1] op_sel_hi:[0,1]
	s_delay_alu instid0(VALU_DEP_4)
	v_add_f32_e32 v7, v7, v41
	v_pk_mul_f32 v[80:81], v[204:205], v[80:81] op_sel_hi:[1,0]
	s_wait_loadcnt 0x3
	v_pk_mul_f32 v[82:83], v[144:145], v[128:129] op_sel:[1,1] op_sel_hi:[0,1]
	v_add_f32_e32 v11, v11, v23
	v_pk_fma_f32 v[90:91], v[140:141], v[124:125], v[78:79] op_sel_hi:[1,0,1]
	v_add_f32_e32 v7, v7, v43
	v_pk_fma_f32 v[78:79], v[140:141], v[124:125], v[78:79] neg_lo:[0,0,1] neg_hi:[0,0,1]
	v_mov_b32_e32 v86, v131
	v_dual_add_f32 v11, v11, v13 :: v_dual_fma_f32 v13, v156, v116, -v17
	s_delay_alu instid0(VALU_DEP_4) | instskip(SKIP_2) | instid1(VALU_DEP_4)
	v_add_f32_e32 v7, v7, v45
	v_mov_b32_e32 v79, v91
	v_pk_fma_f32 v[90:91], v[142:143], v[126:127], v[80:81] op_sel_hi:[1,0,1]
	v_add_f32_e32 v11, v11, v15
	v_pk_fma_f32 v[80:81], v[142:143], v[126:127], v[80:81] neg_lo:[0,0,1] neg_hi:[0,0,1]
	v_add_f32_e32 v7, v7, v47
	v_pk_mul_f32 v[86:87], v[206:207], v[86:87] op_sel_hi:[1,0]
	v_mov_b32_e32 v81, v91
	v_add_f32_e32 v84, v11, v13
	s_wait_loadcnt 0x2
	v_pk_mul_f32 v[88:89], v[148:149], v[132:133] op_sel:[1,1] op_sel_hi:[0,1]
	v_add_f32_e32 v85, v7, v49
	s_delay_alu instid0(VALU_DEP_1) | instskip(NEXT) | instid1(VALU_DEP_1)
	v_pk_add_f32 v[84:85], v[84:85], v[210:211]
	v_pk_add_f32 v[84:85], v[84:85], v[212:213]
	s_delay_alu instid0(VALU_DEP_1) | instskip(SKIP_2) | instid1(VALU_DEP_3)
	v_pk_add_f32 v[76:77], v[84:85], v[76:77]
	v_pk_fma_f32 v[84:85], v[144:145], v[128:129], v[82:83] op_sel_hi:[1,0,1]
	v_pk_fma_f32 v[82:83], v[144:145], v[128:129], v[82:83] neg_lo:[0,0,1] neg_hi:[0,0,1]
	v_pk_add_f32 v[76:77], v[76:77], v[78:79]
	s_delay_alu instid0(VALU_DEP_3) | instskip(SKIP_2) | instid1(VALU_DEP_4)
	v_dual_mov_b32 v78, v135 :: v_dual_mov_b32 v83, v85
	v_pk_fma_f32 v[84:85], v[146:147], v[130:131], v[86:87] op_sel_hi:[1,0,1]
	v_pk_fma_f32 v[86:87], v[146:147], v[130:131], v[86:87] neg_lo:[0,0,1] neg_hi:[0,0,1]
	v_pk_add_f32 v[76:77], v[76:77], v[80:81]
	v_pk_fma_f32 v[80:81], v[148:149], v[132:133], v[88:89] op_sel_hi:[1,0,1]
	v_pk_mul_f32 v[78:79], v[208:209], v[78:79] op_sel_hi:[1,0]
	v_mov_b32_e32 v87, v85
	s_wait_loadcnt_dscnt 0x100
	v_pk_mul_f32 v[84:85], v[200:201], v[196:197] op_sel:[1,1] op_sel_hi:[0,1]
	v_pk_add_f32 v[76:77], v[76:77], v[82:83]
	v_pk_fma_f32 v[82:83], v[148:149], v[132:133], v[88:89] neg_lo:[0,0,1] neg_hi:[0,0,1]
	v_mov_b32_e32 v83, v81
	v_pk_fma_f32 v[80:81], v[150:151], v[134:135], v[78:79] op_sel_hi:[1,0,1]
	v_pk_fma_f32 v[78:79], v[150:151], v[134:135], v[78:79] neg_lo:[0,0,1] neg_hi:[0,0,1]
	v_pk_add_f32 v[76:77], v[76:77], v[86:87]
	s_delay_alu instid0(VALU_DEP_3) | instskip(SKIP_1) | instid1(VALU_DEP_3)
	v_mov_b32_e32 v79, v81
	v_pk_fma_f32 v[80:81], v[200:201], v[196:197], v[84:85] op_sel_hi:[1,0,1]
	v_pk_add_f32 v[76:77], v[76:77], v[82:83]
	v_pk_fma_f32 v[82:83], v[200:201], v[196:197], v[84:85] neg_lo:[0,0,1] neg_hi:[0,0,1]
	s_delay_alu instid0(VALU_DEP_3) | instskip(NEXT) | instid1(VALU_DEP_3)
	v_mov_b32_e32 v83, v81
	v_pk_add_f32 v[76:77], v[76:77], v[78:79]
	s_delay_alu instid0(VALU_DEP_1) | instskip(SKIP_1) | instid1(VALU_DEP_1)
	v_pk_add_f32 v[76:77], v[76:77], v[82:83]
	s_wait_loadcnt 0x0
	v_pk_add_f32 v[76:77], v[198:199], v[76:77] neg_lo:[0,1] neg_hi:[0,1]
	scratch_store_b64 off, v[76:77], off offset:40
	s_wait_xcnt 0x0
	v_cmpx_lt_u32_e32 4, v0
	s_cbranch_execz .LBB36_227
; %bb.226:
	scratch_load_b64 v[76:77], off, off offset:32
	v_mov_b64_e32 v[78:79], 0
	scratch_store_b64 off, v[78:79], off offset:32
	s_wait_loadcnt 0x0
	ds_store_b64 v1, v[76:77]
.LBB36_227:
	s_wait_xcnt 0x0
	s_or_b32 exec_lo, exec_lo, s0
	s_wait_storecnt_dscnt 0x0
	s_barrier_signal -1
	s_barrier_wait -1
	s_clause 0x10
	scratch_load_b128 v[76:79], off, off offset:40
	scratch_load_b128 v[80:83], off, off offset:56
	;; [unrolled: 1-line block ×16, first 2 shown]
	scratch_load_b64 v[204:205], off, off offset:32
	ds_load_2addr_b64 v[140:143], v5 offset0:67 offset1:68
	ds_load_2addr_b64 v[144:147], v5 offset0:69 offset1:70
	;; [unrolled: 1-line block ×16, first 2 shown]
	s_mov_b32 s0, exec_lo
	s_wait_dscnt 0xf
	v_dual_mov_b32 v206, v143 :: v_dual_mov_b32 v207, v142
	s_wait_dscnt 0xe
	v_dual_mov_b32 v208, v147 :: v_dual_mov_b32 v209, v146
	;; [unrolled: 2-line block ×4, first 2 shown]
	s_wait_loadcnt_dscnt 0x100b
	v_dual_mul_f32 v5, v156, v77 :: v_dual_mul_f32 v7, v158, v79
	v_dual_mul_f32 v51, v157, v77 :: v_dual_mul_f32 v53, v159, v79
	s_wait_loadcnt_dscnt 0xf0a
	v_dual_mul_f32 v11, v160, v81 :: v_dual_mul_f32 v13, v162, v83
	s_delay_alu instid0(VALU_DEP_2) | instskip(SKIP_3) | instid1(VALU_DEP_3)
	v_dual_fmac_f32 v5, v157, v76 :: v_dual_fma_f32 v51, v156, v76, -v51
	v_dual_mul_f32 v55, v161, v81 :: v_dual_mul_f32 v57, v163, v83
	s_wait_loadcnt_dscnt 0xd08
	v_dual_mul_f32 v63, v169, v89 :: v_dual_fmac_f32 v7, v159, v78
	v_dual_fma_f32 v53, v158, v78, -v53 :: v_dual_add_f32 v5, 0, v5
	v_dual_add_f32 v51, 0, v51 :: v_dual_fmac_f32 v11, v161, v80
	v_dual_mul_f32 v65, v171, v91 :: v_dual_fma_f32 v55, v160, v80, -v55
	s_delay_alu instid0(VALU_DEP_2)
	v_dual_add_f32 v5, v5, v7 :: v_dual_add_f32 v7, v51, v53
	v_dual_mul_f32 v15, v164, v85 :: v_dual_mul_f32 v17, v166, v87
	v_dual_mul_f32 v59, v165, v85 :: v_dual_mul_f32 v61, v167, v87
	s_wait_loadcnt_dscnt 0xc07
	v_dual_mul_f32 v51, v173, v93 :: v_dual_fmac_f32 v13, v163, v82
	v_dual_fma_f32 v53, v162, v82, -v57 :: v_dual_add_f32 v5, v5, v11
	v_dual_add_f32 v7, v7, v55 :: v_dual_fmac_f32 v15, v165, v84
	v_dual_mul_f32 v11, v175, v95 :: v_dual_fma_f32 v55, v164, v84, -v59
	s_delay_alu instid0(VALU_DEP_3) | instskip(NEXT) | instid1(VALU_DEP_3)
	v_dual_add_f32 v5, v5, v13 :: v_dual_fmac_f32 v17, v167, v86
	v_dual_add_f32 v7, v7, v53 :: v_dual_fma_f32 v53, v166, v86, -v61
	v_dual_mul_f32 v19, v168, v89 :: v_dual_mul_f32 v21, v170, v91
	s_wait_loadcnt_dscnt 0xb06
	s_delay_alu instid0(VALU_DEP_2) | instskip(SKIP_1) | instid1(VALU_DEP_3)
	v_dual_mul_f32 v13, v177, v97 :: v_dual_add_f32 v7, v7, v55
	v_dual_add_f32 v5, v5, v15 :: v_dual_fma_f32 v55, v168, v88, -v63
	v_dual_mul_f32 v15, v179, v99 :: v_dual_fmac_f32 v19, v169, v88
	s_delay_alu instid0(VALU_DEP_3) | instskip(NEXT) | instid1(VALU_DEP_3)
	v_dual_add_f32 v7, v7, v53 :: v_dual_fma_f32 v53, v170, v90, -v65
	v_dual_add_f32 v5, v5, v17 :: v_dual_fmac_f32 v21, v171, v90
	v_dual_mul_f32 v23, v172, v93 :: v_dual_mul_f32 v25, v174, v95
	s_wait_loadcnt_dscnt 0xa05
	s_delay_alu instid0(VALU_DEP_3) | instskip(NEXT) | instid1(VALU_DEP_3)
	v_dual_mul_f32 v17, v181, v101 :: v_dual_add_f32 v7, v7, v55
	v_dual_add_f32 v5, v5, v19 :: v_dual_fma_f32 v51, v172, v92, -v51
	s_delay_alu instid0(VALU_DEP_3) | instskip(NEXT) | instid1(VALU_DEP_3)
	v_dual_mul_f32 v19, v183, v103 :: v_dual_fmac_f32 v23, v173, v92
	v_dual_add_f32 v7, v7, v53 :: v_dual_fma_f32 v11, v174, v94, -v11
	s_delay_alu instid0(VALU_DEP_3) | instskip(SKIP_2) | instid1(VALU_DEP_3)
	v_dual_add_f32 v5, v5, v21 :: v_dual_fmac_f32 v25, v175, v94
	v_dual_mul_f32 v27, v176, v97 :: v_dual_mul_f32 v29, v178, v99
	s_wait_loadcnt_dscnt 0x904
	v_dual_mul_f32 v21, v185, v105 :: v_dual_add_f32 v7, v7, v51
	s_delay_alu instid0(VALU_DEP_3) | instskip(NEXT) | instid1(VALU_DEP_3)
	v_dual_add_f32 v5, v5, v23 :: v_dual_fma_f32 v13, v176, v96, -v13
	v_dual_mul_f32 v23, v187, v107 :: v_dual_fmac_f32 v27, v177, v96
	s_delay_alu instid0(VALU_DEP_2) | instskip(SKIP_3) | instid1(VALU_DEP_3)
	v_dual_add_f32 v7, v7, v11 :: v_dual_add_f32 v5, v5, v25
	v_dual_mul_f32 v31, v180, v101 :: v_dual_mul_f32 v33, v182, v103
	s_wait_loadcnt_dscnt 0x803
	v_dual_mul_f32 v11, v189, v109 :: v_dual_fmac_f32 v29, v179, v98
	v_dual_fma_f32 v15, v178, v98, -v15 :: v_dual_add_f32 v5, v5, v27
	s_delay_alu instid0(VALU_DEP_3) | instskip(SKIP_1) | instid1(VALU_DEP_2)
	v_dual_add_f32 v7, v7, v13 :: v_dual_fmac_f32 v31, v181, v100
	v_dual_mul_f32 v13, v191, v111 :: v_dual_fma_f32 v17, v180, v100, -v17
	v_dual_add_f32 v5, v5, v29 :: v_dual_add_f32 v7, v7, v15
	v_dual_mul_f32 v35, v184, v105 :: v_dual_mul_f32 v37, v186, v107
	s_wait_loadcnt_dscnt 0x702
	v_dual_mul_f32 v15, v193, v113 :: v_dual_fmac_f32 v33, v183, v102
	s_delay_alu instid0(VALU_DEP_3) | instskip(NEXT) | instid1(VALU_DEP_3)
	v_dual_fma_f32 v19, v182, v102, -v19 :: v_dual_add_f32 v5, v5, v31
	v_dual_add_f32 v7, v7, v17 :: v_dual_fmac_f32 v35, v185, v104
	v_dual_mul_f32 v17, v195, v115 :: v_dual_fma_f32 v21, v184, v104, -v21
	s_delay_alu instid0(VALU_DEP_2) | instskip(SKIP_3) | instid1(VALU_DEP_3)
	v_dual_add_f32 v5, v5, v33 :: v_dual_add_f32 v7, v7, v19
	v_dual_mul_f32 v39, v188, v109 :: v_dual_mul_f32 v41, v190, v111
	s_wait_loadcnt_dscnt 0x601
	v_dual_mul_f32 v19, v197, v117 :: v_dual_fmac_f32 v37, v187, v106
	v_dual_fma_f32 v23, v186, v106, -v23 :: v_dual_add_f32 v5, v5, v35
	s_delay_alu instid0(VALU_DEP_3) | instskip(SKIP_1) | instid1(VALU_DEP_2)
	v_dual_add_f32 v7, v7, v21 :: v_dual_fmac_f32 v39, v189, v108
	v_dual_mul_f32 v21, v199, v119 :: v_dual_fma_f32 v11, v188, v108, -v11
	v_dual_add_f32 v5, v5, v37 :: v_dual_add_f32 v7, v7, v23
	v_dual_mul_f32 v43, v192, v113 :: v_dual_mul_f32 v45, v194, v115
	s_wait_loadcnt_dscnt 0x500
	v_dual_mul_f32 v23, v201, v121 :: v_dual_fmac_f32 v41, v191, v110
	s_delay_alu instid0(VALU_DEP_3) | instskip(NEXT) | instid1(VALU_DEP_3)
	v_dual_fma_f32 v13, v190, v110, -v13 :: v_dual_add_f32 v5, v5, v39
	v_dual_add_f32 v7, v7, v11 :: v_dual_fmac_f32 v43, v193, v112
	v_dual_mul_f32 v11, v203, v123 :: v_dual_fma_f32 v15, v192, v112, -v15
	s_delay_alu instid0(VALU_DEP_3) | instskip(NEXT) | instid1(VALU_DEP_3)
	v_dual_add_f32 v5, v5, v41 :: v_dual_fmac_f32 v45, v195, v114
	v_dual_add_f32 v7, v7, v13 :: v_dual_fma_f32 v13, v194, v114, -v17
	v_dual_mul_f32 v47, v196, v117 :: v_dual_mul_f32 v49, v198, v119
	s_wait_loadcnt 0x4
	s_delay_alu instid0(VALU_DEP_3) | instskip(NEXT) | instid1(VALU_DEP_2)
	v_dual_add_f32 v5, v5, v43 :: v_dual_mov_b32 v78, v127
	v_dual_add_f32 v7, v7, v15 :: v_dual_fmac_f32 v47, v197, v116
	s_delay_alu instid0(VALU_DEP_2) | instskip(SKIP_1) | instid1(VALU_DEP_3)
	v_dual_fma_f32 v15, v196, v116, -v19 :: v_dual_add_f32 v5, v5, v45
	v_dual_mul_f32 v215, v200, v121 :: v_dual_mul_f32 v217, v202, v123
	v_dual_add_f32 v7, v7, v13 :: v_dual_fma_f32 v13, v198, v118, -v21
	s_delay_alu instid0(VALU_DEP_3) | instskip(SKIP_1) | instid1(VALU_DEP_3)
	v_dual_fmac_f32 v49, v199, v118 :: v_dual_add_f32 v5, v5, v47
	v_pk_mul_f32 v[76:77], v[140:141], v[124:125] op_sel:[1,1] op_sel_hi:[0,1]
	v_dual_add_f32 v7, v7, v15 :: v_dual_fmac_f32 v215, v201, v120
	s_wait_loadcnt 0x3
	v_dual_mov_b32 v82, v131 :: v_dual_fma_f32 v214, v200, v120, -v23
	v_dual_add_f32 v85, v5, v49 :: v_dual_fmac_f32 v217, v203, v122
	s_delay_alu instid0(VALU_DEP_3) | instskip(SKIP_3) | instid1(VALU_DEP_4)
	v_dual_add_f32 v84, v7, v13 :: v_dual_fma_f32 v216, v202, v122, -v11
	v_pk_fma_f32 v[86:87], v[140:141], v[124:125], v[76:77] op_sel_hi:[1,0,1]
	v_pk_mul_f32 v[78:79], v[206:207], v[78:79] op_sel_hi:[1,0]
	v_pk_fma_f32 v[76:77], v[140:141], v[124:125], v[76:77] neg_lo:[0,0,1] neg_hi:[0,0,1]
	v_pk_add_f32 v[84:85], v[84:85], v[214:215]
	v_pk_mul_f32 v[80:81], v[144:145], v[128:129] op_sel:[1,1] op_sel_hi:[0,1]
	v_mov_b32_e32 v77, v87
	v_pk_fma_f32 v[86:87], v[142:143], v[126:127], v[78:79] op_sel_hi:[1,0,1]
	v_pk_fma_f32 v[78:79], v[142:143], v[126:127], v[78:79] neg_lo:[0,0,1] neg_hi:[0,0,1]
	v_pk_add_f32 v[84:85], v[84:85], v[216:217]
	v_pk_fma_f32 v[90:91], v[144:145], v[128:129], v[80:81] op_sel_hi:[1,0,1]
	v_pk_mul_f32 v[82:83], v[208:209], v[82:83] op_sel_hi:[1,0]
	v_mov_b32_e32 v79, v87
	s_wait_loadcnt 0x2
	v_pk_mul_f32 v[88:89], v[148:149], v[132:133] op_sel:[1,1] op_sel_hi:[0,1]
	v_pk_add_f32 v[76:77], v[84:85], v[76:77]
	v_mov_b32_e32 v84, v135
	v_pk_fma_f32 v[80:81], v[144:145], v[128:129], v[80:81] neg_lo:[0,0,1] neg_hi:[0,0,1]
	v_mov_b32_e32 v81, v91
	v_pk_fma_f32 v[86:87], v[146:147], v[130:131], v[82:83] op_sel_hi:[1,0,1]
	v_pk_add_f32 v[76:77], v[76:77], v[78:79]
	v_pk_fma_f32 v[78:79], v[148:149], v[132:133], v[88:89] op_sel_hi:[1,0,1]
	v_pk_mul_f32 v[84:85], v[210:211], v[84:85] op_sel_hi:[1,0]
	v_pk_fma_f32 v[82:83], v[146:147], v[130:131], v[82:83] neg_lo:[0,0,1] neg_hi:[0,0,1]
	v_mov_b32_e32 v83, v87
	v_pk_add_f32 v[76:77], v[76:77], v[80:81]
	v_pk_fma_f32 v[86:87], v[148:149], v[132:133], v[88:89] neg_lo:[0,0,1] neg_hi:[0,0,1]
	v_mov_b32_e32 v87, v79
	v_pk_fma_f32 v[78:79], v[150:151], v[134:135], v[84:85] op_sel_hi:[1,0,1]
	s_wait_loadcnt 0x1
	v_pk_mul_f32 v[80:81], v[152:153], v[136:137] op_sel:[1,1] op_sel_hi:[0,1]
	v_pk_add_f32 v[76:77], v[76:77], v[82:83]
	v_mov_b32_e32 v78, v139
	v_pk_fma_f32 v[84:85], v[150:151], v[134:135], v[84:85] neg_lo:[0,0,1] neg_hi:[0,0,1]
	v_mov_b32_e32 v85, v79
	v_pk_fma_f32 v[82:83], v[152:153], v[136:137], v[80:81] op_sel_hi:[1,0,1]
	v_pk_add_f32 v[76:77], v[76:77], v[86:87]
	v_pk_mul_f32 v[78:79], v[212:213], v[78:79] op_sel_hi:[1,0]
	v_pk_fma_f32 v[80:81], v[152:153], v[136:137], v[80:81] neg_lo:[0,0,1] neg_hi:[0,0,1]
	s_delay_alu instid0(VALU_DEP_4) | instskip(NEXT) | instid1(VALU_DEP_4)
	v_mov_b32_e32 v81, v83
	v_pk_add_f32 v[76:77], v[76:77], v[84:85]
	s_delay_alu instid0(VALU_DEP_4) | instskip(SKIP_1) | instid1(VALU_DEP_2)
	v_pk_fma_f32 v[82:83], v[154:155], v[138:139], v[78:79] op_sel_hi:[1,0,1]
	v_pk_fma_f32 v[78:79], v[154:155], v[138:139], v[78:79] neg_lo:[0,0,1] neg_hi:[0,0,1]
	v_mov_b32_e32 v79, v83
	s_delay_alu instid0(VALU_DEP_4) | instskip(NEXT) | instid1(VALU_DEP_1)
	v_pk_add_f32 v[76:77], v[76:77], v[80:81]
	v_pk_add_f32 v[76:77], v[76:77], v[78:79]
	s_wait_loadcnt 0x0
	s_delay_alu instid0(VALU_DEP_1)
	v_pk_add_f32 v[76:77], v[204:205], v[76:77] neg_lo:[0,1] neg_hi:[0,1]
	scratch_store_b64 off, v[76:77], off offset:32
	s_wait_xcnt 0x0
	v_cmpx_lt_u32_e32 3, v0
	s_cbranch_execz .LBB36_229
; %bb.228:
	scratch_load_b64 v[76:77], off, off offset:24
	v_mov_b64_e32 v[78:79], 0
	scratch_store_b64 off, v[78:79], off offset:24
	s_wait_loadcnt 0x0
	ds_store_b64 v1, v[76:77]
.LBB36_229:
	s_wait_xcnt 0x0
	s_or_b32 exec_lo, exec_lo, s0
	s_wait_storecnt_dscnt 0x0
	s_barrier_signal -1
	s_barrier_wait -1
	s_clause 0x11
	scratch_load_b128 v[76:79], off, off offset:32
	scratch_load_b128 v[80:83], off, off offset:48
	scratch_load_b128 v[84:87], off, off offset:64
	scratch_load_b128 v[88:91], off, off offset:80
	scratch_load_b128 v[92:95], off, off offset:96
	scratch_load_b128 v[96:99], off, off offset:112
	scratch_load_b128 v[100:103], off, off offset:128
	scratch_load_b128 v[104:107], off, off offset:144
	scratch_load_b128 v[108:111], off, off offset:160
	scratch_load_b128 v[112:115], off, off offset:176
	scratch_load_b128 v[116:119], off, off offset:192
	scratch_load_b128 v[120:123], off, off offset:208
	scratch_load_b128 v[124:127], off, off offset:224
	scratch_load_b128 v[128:131], off, off offset:240
	scratch_load_b128 v[132:135], off, off offset:256
	scratch_load_b128 v[136:139], off, off offset:272
	scratch_load_b64 v[204:205], off, off offset:288
	scratch_load_b64 v[206:207], off, off offset:24
	v_mov_b32_e32 v5, 0
	ds_load_b128 v[140:143], v5 offset:528
	ds_load_b128 v[144:147], v5 offset:544
	;; [unrolled: 1-line block ×16, first 2 shown]
	ds_load_b64 v[208:209], v5 offset:592
	s_mov_b32 s0, exec_lo
	s_wait_dscnt 0x10
	v_dual_mov_b32 v210, v143 :: v_dual_mov_b32 v211, v142
	s_wait_dscnt 0xd
	v_dual_mov_b32 v212, v147 :: v_dual_mov_b32 v217, v154
	v_dual_mov_b32 v213, v146 :: v_dual_mov_b32 v214, v151
	;; [unrolled: 1-line block ×3, first 2 shown]
	s_wait_loadcnt_dscnt 0x110c
	v_dual_mul_f32 v7, v156, v77 :: v_dual_mul_f32 v55, v157, v77
	v_dual_mul_f32 v57, v159, v79 :: v_dual_mul_f32 v11, v158, v79
	s_wait_loadcnt_dscnt 0x100b
	v_mul_f32_e32 v13, v160, v81
	s_wait_loadcnt_dscnt 0xe09
	v_dual_mul_f32 v67, v169, v89 :: v_dual_fma_f32 v55, v156, v76, -v55
	v_dual_fmac_f32 v7, v157, v76 :: v_dual_mul_f32 v69, v171, v91
	v_dual_mul_f32 v59, v161, v81 :: v_dual_mul_f32 v61, v163, v83
	v_dual_fmac_f32 v11, v159, v78 :: v_dual_fma_f32 v57, v158, v78, -v57
	s_wait_loadcnt_dscnt 0xd08
	s_delay_alu instid0(VALU_DEP_3) | instskip(SKIP_1) | instid1(VALU_DEP_2)
	v_dual_add_f32 v7, 0, v7 :: v_dual_mul_f32 v71, v173, v93
	v_dual_add_f32 v55, 0, v55 :: v_dual_fmac_f32 v13, v161, v80
	v_dual_fma_f32 v59, v160, v80, -v59 :: v_dual_add_f32 v7, v7, v11
	v_dual_mul_f32 v63, v165, v85 :: v_dual_mul_f32 v65, v167, v87
	s_delay_alu instid0(VALU_DEP_3) | instskip(SKIP_2) | instid1(VALU_DEP_3)
	v_dual_add_f32 v11, v55, v57 :: v_dual_fma_f32 v57, v162, v82, -v61
	v_dual_mul_f32 v15, v162, v83 :: v_dual_mul_f32 v17, v164, v85
	v_dual_mul_f32 v19, v166, v87 :: v_dual_mul_f32 v21, v168, v89
	v_add_f32_e32 v11, v11, v59
	v_dual_add_f32 v7, v7, v13 :: v_dual_fma_f32 v59, v164, v84, -v63
	v_dual_mul_f32 v23, v170, v91 :: v_dual_mul_f32 v25, v172, v93
	s_delay_alu instid0(VALU_DEP_3) | instskip(SKIP_1) | instid1(VALU_DEP_2)
	v_dual_add_f32 v11, v11, v57 :: v_dual_fmac_f32 v21, v169, v88
	v_dual_fmac_f32 v15, v163, v82 :: v_dual_fmac_f32 v17, v165, v84
	v_dual_fma_f32 v57, v166, v86, -v65 :: v_dual_add_f32 v11, v11, v59
	s_delay_alu instid0(VALU_DEP_4) | instskip(SKIP_1) | instid1(VALU_DEP_3)
	v_dual_fmac_f32 v25, v173, v92 :: v_dual_mul_f32 v55, v175, v95
	s_wait_loadcnt_dscnt 0xc07
	v_dual_mul_f32 v13, v177, v97 :: v_dual_add_f32 v7, v7, v15
	v_dual_mul_f32 v15, v179, v99 :: v_dual_fma_f32 v59, v168, v88, -v67
	s_delay_alu instid0(VALU_DEP_3) | instskip(SKIP_1) | instid1(VALU_DEP_4)
	v_dual_add_f32 v11, v11, v57 :: v_dual_fma_f32 v55, v174, v94, -v55
	v_fmac_f32_e32 v19, v167, v86
	v_dual_add_f32 v7, v7, v17 :: v_dual_fma_f32 v57, v170, v90, -v69
	s_delay_alu instid0(VALU_DEP_3) | instskip(SKIP_2) | instid1(VALU_DEP_3)
	v_dual_add_f32 v11, v11, v59 :: v_dual_fma_f32 v15, v178, v98, -v15
	s_wait_loadcnt_dscnt 0xb06
	v_dual_mul_f32 v31, v178, v99 :: v_dual_mul_f32 v33, v180, v101
	v_dual_add_f32 v7, v7, v19 :: v_dual_fma_f32 v59, v172, v92, -v71
	s_delay_alu instid0(VALU_DEP_3) | instskip(SKIP_4) | instid1(VALU_DEP_3)
	v_dual_add_f32 v11, v11, v57 :: v_dual_mul_f32 v27, v174, v95
	v_dual_mul_f32 v29, v176, v97 :: v_dual_mul_f32 v35, v182, v103
	s_wait_loadcnt_dscnt 0xa05
	v_mul_f32_e32 v37, v184, v105
	v_dual_mul_f32 v17, v181, v101 :: v_dual_fmac_f32 v23, v171, v90
	v_dual_fmac_f32 v29, v177, v96 :: v_dual_add_f32 v7, v7, v21
	v_fma_f32 v13, v176, v96, -v13
	v_dual_fmac_f32 v33, v181, v100 :: v_dual_add_f32 v11, v11, v59
	s_delay_alu instid0(VALU_DEP_3) | instskip(SKIP_1) | instid1(VALU_DEP_3)
	v_dual_fmac_f32 v37, v185, v104 :: v_dual_add_f32 v7, v7, v23
	v_dual_mul_f32 v23, v187, v107 :: v_dual_fma_f32 v17, v180, v100, -v17
	v_add_f32_e32 v11, v11, v55
	s_wait_loadcnt_dscnt 0x803
	v_dual_mul_f32 v43, v190, v111 :: v_dual_mul_f32 v45, v192, v113
	s_delay_alu instid0(VALU_DEP_3) | instskip(NEXT) | instid1(VALU_DEP_3)
	v_dual_fma_f32 v23, v186, v106, -v23 :: v_dual_mul_f32 v19, v183, v103
	v_add_f32_e32 v11, v11, v13
	v_dual_mul_f32 v21, v185, v105 :: v_dual_fmac_f32 v27, v175, v94
	v_mul_f32_e32 v13, v193, v113
	v_add_f32_e32 v7, v7, v25
	s_delay_alu instid0(VALU_DEP_4) | instskip(SKIP_3) | instid1(VALU_DEP_3)
	v_dual_add_f32 v11, v11, v15 :: v_dual_fmac_f32 v45, v193, v112
	v_dual_mul_f32 v25, v189, v109 :: v_dual_fma_f32 v19, v182, v102, -v19
	s_wait_loadcnt_dscnt 0x601
	v_dual_mul_f32 v51, v198, v119 :: v_dual_mul_f32 v53, v200, v121
	v_add_f32_e32 v11, v11, v17
	v_dual_mul_f32 v17, v197, v117 :: v_dual_add_f32 v7, v7, v27
	s_wait_loadcnt 0x5
	v_dual_fma_f32 v21, v184, v104, -v21 :: v_dual_mov_b32 v76, v127
	s_wait_loadcnt 0x4
	v_mov_b32_e32 v80, v131
	v_dual_add_f32 v11, v11, v19 :: v_dual_fmac_f32 v53, v201, v120
	v_dual_mul_f32 v219, v202, v123 :: v_dual_mul_f32 v221, v140, v125
	v_pk_mul_f32 v[76:77], v[210:211], v[76:77] op_sel_hi:[1,0]
	s_delay_alu instid0(VALU_DEP_3)
	v_dual_add_f32 v11, v11, v21 :: v_dual_mul_f32 v39, v186, v107
	v_dual_mul_f32 v41, v188, v109 :: v_dual_mul_f32 v27, v191, v111
	v_dual_mul_f32 v21, v201, v121 :: v_dual_fmac_f32 v31, v179, v98
	v_dual_add_f32 v7, v7, v29 :: v_dual_fma_f32 v25, v188, v108, -v25
	v_fmac_f32_e32 v221, v141, v124
	v_pk_fma_f32 v[88:89], v[142:143], v[126:127], v[76:77] op_sel_hi:[1,0,1]
	v_add_f32_e32 v11, v11, v23
	v_pk_fma_f32 v[76:77], v[142:143], v[126:127], v[76:77] neg_lo:[0,0,1] neg_hi:[0,0,1]
	v_dual_fmac_f32 v41, v189, v108 :: v_dual_add_f32 v7, v7, v31
	s_delay_alu instid0(VALU_DEP_4) | instskip(NEXT) | instid1(VALU_DEP_4)
	v_dual_fma_f32 v27, v190, v110, -v27 :: v_dual_mov_b32 v77, v89
	v_dual_add_f32 v11, v11, v25 :: v_dual_mul_f32 v47, v194, v115
	v_dual_mul_f32 v49, v196, v117 :: v_dual_mul_f32 v15, v195, v115
	v_dual_fma_f32 v13, v192, v112, -v13 :: v_dual_fmac_f32 v35, v183, v102
	v_mul_f32_e32 v25, v141, v125
	s_delay_alu instid0(VALU_DEP_3) | instskip(SKIP_2) | instid1(VALU_DEP_3)
	v_dual_add_f32 v7, v7, v33 :: v_dual_fma_f32 v15, v194, v114, -v15
	v_add_f32_e32 v11, v11, v27
	v_dual_mul_f32 v19, v199, v119 :: v_dual_fmac_f32 v51, v199, v118
	v_dual_fmac_f32 v49, v197, v116 :: v_dual_add_f32 v7, v7, v35
	s_delay_alu instid0(VALU_DEP_3) | instskip(SKIP_2) | instid1(VALU_DEP_3)
	v_add_f32_e32 v11, v11, v13
	v_fmac_f32_e32 v39, v187, v106
	v_dual_mul_f32 v23, v203, v123 :: v_dual_fmac_f32 v219, v203, v122
	v_dual_fma_f32 v13, v196, v116, -v17 :: v_dual_add_f32 v11, v11, v15
	v_dual_fma_f32 v15, v198, v118, -v19 :: v_dual_add_f32 v7, v7, v37
	s_delay_alu instid0(VALU_DEP_3) | instskip(SKIP_1) | instid1(VALU_DEP_4)
	v_fma_f32 v218, v202, v122, -v23
	v_fmac_f32_e32 v43, v191, v110
	v_dual_add_f32 v11, v11, v13 :: v_dual_fma_f32 v13, v200, v120, -v21
	s_delay_alu instid0(VALU_DEP_4) | instskip(SKIP_1) | instid1(VALU_DEP_3)
	v_dual_add_f32 v7, v7, v39 :: v_dual_fma_f32 v220, v140, v124, -v25
	v_fmac_f32_e32 v47, v195, v114
	v_add_f32_e32 v11, v11, v15
	v_pk_mul_f32 v[78:79], v[144:145], v[128:129] op_sel:[1,1] op_sel_hi:[0,1]
	s_delay_alu instid0(VALU_DEP_4)
	v_add_f32_e32 v7, v7, v41
	v_pk_mul_f32 v[80:81], v[212:213], v[80:81] op_sel_hi:[1,0]
	s_wait_loadcnt 0x3
	v_pk_mul_f32 v[82:83], v[148:149], v[132:133] op_sel:[1,1] op_sel_hi:[0,1]
	v_add_f32_e32 v84, v11, v13
	v_pk_fma_f32 v[90:91], v[144:145], v[128:129], v[78:79] op_sel_hi:[1,0,1]
	v_add_f32_e32 v7, v7, v43
	v_pk_fma_f32 v[78:79], v[144:145], v[128:129], v[78:79] neg_lo:[0,0,1] neg_hi:[0,0,1]
	v_mov_b32_e32 v86, v135
	s_wait_loadcnt 0x2
	v_pk_mul_f32 v[88:89], v[152:153], v[136:137] op_sel:[1,1] op_sel_hi:[0,1]
	v_mov_b32_e32 v79, v91
	v_add_f32_e32 v7, v7, v45
	v_pk_fma_f32 v[90:91], v[146:147], v[130:131], v[80:81] op_sel_hi:[1,0,1]
	v_pk_fma_f32 v[80:81], v[146:147], v[130:131], v[80:81] neg_lo:[0,0,1] neg_hi:[0,0,1]
	v_pk_mul_f32 v[86:87], v[214:215], v[86:87] op_sel_hi:[1,0]
	s_delay_alu instid0(VALU_DEP_4) | instskip(NEXT) | instid1(VALU_DEP_4)
	v_add_f32_e32 v7, v7, v47
	v_mov_b32_e32 v81, v91
	s_delay_alu instid0(VALU_DEP_2) | instskip(NEXT) | instid1(VALU_DEP_1)
	v_add_f32_e32 v7, v7, v49
	v_add_f32_e32 v7, v7, v51
	s_delay_alu instid0(VALU_DEP_1) | instskip(NEXT) | instid1(VALU_DEP_1)
	v_add_f32_e32 v85, v7, v53
	v_pk_add_f32 v[84:85], v[84:85], v[218:219]
	s_delay_alu instid0(VALU_DEP_1) | instskip(NEXT) | instid1(VALU_DEP_1)
	v_pk_add_f32 v[84:85], v[84:85], v[220:221]
	v_pk_add_f32 v[76:77], v[84:85], v[76:77]
	v_pk_fma_f32 v[84:85], v[148:149], v[132:133], v[82:83] op_sel_hi:[1,0,1]
	v_pk_fma_f32 v[82:83], v[148:149], v[132:133], v[82:83] neg_lo:[0,0,1] neg_hi:[0,0,1]
	s_delay_alu instid0(VALU_DEP_3) | instskip(NEXT) | instid1(VALU_DEP_3)
	v_pk_add_f32 v[76:77], v[76:77], v[78:79]
	v_dual_mov_b32 v78, v139 :: v_dual_mov_b32 v83, v85
	v_pk_fma_f32 v[84:85], v[150:151], v[134:135], v[86:87] op_sel_hi:[1,0,1]
	v_pk_fma_f32 v[86:87], v[150:151], v[134:135], v[86:87] neg_lo:[0,0,1] neg_hi:[0,0,1]
	s_delay_alu instid0(VALU_DEP_4)
	v_pk_add_f32 v[76:77], v[76:77], v[80:81]
	v_pk_fma_f32 v[80:81], v[152:153], v[136:137], v[88:89] op_sel_hi:[1,0,1]
	v_pk_mul_f32 v[78:79], v[216:217], v[78:79] op_sel_hi:[1,0]
	v_mov_b32_e32 v87, v85
	s_wait_loadcnt_dscnt 0x100
	v_pk_mul_f32 v[84:85], v[208:209], v[204:205] op_sel:[1,1] op_sel_hi:[0,1]
	v_pk_add_f32 v[76:77], v[76:77], v[82:83]
	v_pk_fma_f32 v[82:83], v[152:153], v[136:137], v[88:89] neg_lo:[0,0,1] neg_hi:[0,0,1]
	v_mov_b32_e32 v83, v81
	v_pk_fma_f32 v[80:81], v[154:155], v[138:139], v[78:79] op_sel_hi:[1,0,1]
	v_pk_fma_f32 v[78:79], v[154:155], v[138:139], v[78:79] neg_lo:[0,0,1] neg_hi:[0,0,1]
	v_pk_add_f32 v[76:77], v[76:77], v[86:87]
	s_delay_alu instid0(VALU_DEP_3) | instskip(SKIP_1) | instid1(VALU_DEP_3)
	v_mov_b32_e32 v79, v81
	v_pk_fma_f32 v[80:81], v[208:209], v[204:205], v[84:85] op_sel_hi:[1,0,1]
	v_pk_add_f32 v[76:77], v[76:77], v[82:83]
	v_pk_fma_f32 v[82:83], v[208:209], v[204:205], v[84:85] neg_lo:[0,0,1] neg_hi:[0,0,1]
	s_delay_alu instid0(VALU_DEP_3) | instskip(NEXT) | instid1(VALU_DEP_3)
	v_mov_b32_e32 v83, v81
	v_pk_add_f32 v[76:77], v[76:77], v[78:79]
	s_delay_alu instid0(VALU_DEP_1) | instskip(SKIP_1) | instid1(VALU_DEP_1)
	v_pk_add_f32 v[76:77], v[76:77], v[82:83]
	s_wait_loadcnt 0x0
	v_pk_add_f32 v[76:77], v[206:207], v[76:77] neg_lo:[0,1] neg_hi:[0,1]
	scratch_store_b64 off, v[76:77], off offset:24
	s_wait_xcnt 0x0
	v_cmpx_lt_u32_e32 2, v0
	s_cbranch_execz .LBB36_231
; %bb.230:
	scratch_load_b64 v[76:77], off, off offset:16
	v_mov_b64_e32 v[78:79], 0
	scratch_store_b64 off, v[78:79], off offset:16
	s_wait_loadcnt 0x0
	ds_store_b64 v1, v[76:77]
.LBB36_231:
	s_wait_xcnt 0x0
	s_or_b32 exec_lo, exec_lo, s0
	s_wait_storecnt_dscnt 0x0
	s_barrier_signal -1
	s_barrier_wait -1
	s_clause 0x11
	scratch_load_b128 v[76:79], off, off offset:24
	scratch_load_b128 v[80:83], off, off offset:40
	;; [unrolled: 1-line block ×17, first 2 shown]
	scratch_load_b64 v[212:213], off, off offset:16
	ds_load_2addr_b64 v[144:147], v5 offset0:67 offset1:68
	ds_load_2addr_b64 v[148:151], v5 offset0:69 offset1:70
	ds_load_2addr_b64 v[152:155], v5 offset0:71 offset1:72
	ds_load_2addr_b64 v[156:159], v5 offset0:73 offset1:74
	ds_load_2addr_b64 v[160:163], v5 offset0:65 offset1:66
	ds_load_2addr_b64 v[164:167], v5 offset0:41 offset1:42
	ds_load_2addr_b64 v[168:171], v5 offset0:43 offset1:44
	ds_load_2addr_b64 v[172:175], v5 offset0:45 offset1:46
	ds_load_2addr_b64 v[176:179], v5 offset0:47 offset1:48
	ds_load_2addr_b64 v[180:183], v5 offset0:49 offset1:50
	ds_load_2addr_b64 v[184:187], v5 offset0:51 offset1:52
	ds_load_2addr_b64 v[188:191], v5 offset0:53 offset1:54
	ds_load_2addr_b64 v[192:195], v5 offset0:55 offset1:56
	ds_load_2addr_b64 v[196:199], v5 offset0:57 offset1:58
	ds_load_2addr_b64 v[200:203], v5 offset0:59 offset1:60
	ds_load_2addr_b64 v[204:207], v5 offset0:61 offset1:62
	ds_load_2addr_b64 v[208:211], v5 offset0:63 offset1:64
	s_mov_b32 s0, exec_lo
	s_wait_dscnt 0x10
	v_dual_mov_b32 v214, v147 :: v_dual_mov_b32 v215, v146
	s_wait_dscnt 0xf
	v_dual_mov_b32 v216, v151 :: v_dual_mov_b32 v217, v150
	s_wait_dscnt 0xe
	v_dual_mov_b32 v218, v155 :: v_dual_mov_b32 v219, v154
	s_wait_dscnt 0xd
	v_dual_mov_b32 v220, v159 :: v_dual_mov_b32 v221, v158
	s_wait_loadcnt_dscnt 0x110b
	v_dual_mul_f32 v5, v164, v77 :: v_dual_mul_f32 v7, v166, v79
	v_dual_mul_f32 v55, v165, v77 :: v_dual_mul_f32 v57, v167, v79
	s_wait_loadcnt_dscnt 0x100a
	v_dual_mul_f32 v11, v168, v81 :: v_dual_mul_f32 v13, v170, v83
	s_delay_alu instid0(VALU_DEP_2) | instskip(SKIP_3) | instid1(VALU_DEP_3)
	v_dual_fmac_f32 v5, v165, v76 :: v_dual_fma_f32 v55, v164, v76, -v55
	v_dual_mul_f32 v59, v169, v81 :: v_dual_mul_f32 v61, v171, v83
	s_wait_loadcnt_dscnt 0xe08
	v_dual_mul_f32 v67, v177, v89 :: v_dual_fmac_f32 v7, v167, v78
	v_dual_fma_f32 v57, v166, v78, -v57 :: v_dual_add_f32 v5, 0, v5
	v_dual_add_f32 v55, 0, v55 :: v_dual_fmac_f32 v11, v169, v80
	v_dual_mul_f32 v69, v179, v91 :: v_dual_fma_f32 v59, v168, v80, -v59
	s_delay_alu instid0(VALU_DEP_2)
	v_dual_add_f32 v5, v5, v7 :: v_dual_add_f32 v7, v55, v57
	v_dual_mul_f32 v15, v172, v85 :: v_dual_mul_f32 v17, v174, v87
	v_dual_mul_f32 v63, v173, v85 :: v_dual_mul_f32 v65, v175, v87
	s_wait_loadcnt_dscnt 0xd07
	v_dual_mul_f32 v55, v181, v93 :: v_dual_fmac_f32 v13, v171, v82
	v_dual_fma_f32 v57, v170, v82, -v61 :: v_dual_add_f32 v5, v5, v11
	v_dual_add_f32 v7, v7, v59 :: v_dual_fmac_f32 v15, v173, v84
	v_dual_mul_f32 v11, v183, v95 :: v_dual_fma_f32 v59, v172, v84, -v63
	s_delay_alu instid0(VALU_DEP_3) | instskip(NEXT) | instid1(VALU_DEP_3)
	v_dual_add_f32 v5, v5, v13 :: v_dual_fmac_f32 v17, v175, v86
	v_dual_add_f32 v7, v7, v57 :: v_dual_fma_f32 v57, v174, v86, -v65
	v_dual_mul_f32 v19, v176, v89 :: v_dual_mul_f32 v21, v178, v91
	s_wait_loadcnt_dscnt 0xc06
	s_delay_alu instid0(VALU_DEP_2) | instskip(SKIP_1) | instid1(VALU_DEP_3)
	v_dual_mul_f32 v13, v185, v97 :: v_dual_add_f32 v7, v7, v59
	v_dual_add_f32 v5, v5, v15 :: v_dual_fma_f32 v59, v176, v88, -v67
	v_dual_mul_f32 v15, v187, v99 :: v_dual_fmac_f32 v19, v177, v88
	s_delay_alu instid0(VALU_DEP_3) | instskip(NEXT) | instid1(VALU_DEP_3)
	v_dual_add_f32 v7, v7, v57 :: v_dual_fma_f32 v57, v178, v90, -v69
	v_dual_add_f32 v5, v5, v17 :: v_dual_fmac_f32 v21, v179, v90
	v_dual_mul_f32 v23, v180, v93 :: v_dual_mul_f32 v25, v182, v95
	s_wait_loadcnt_dscnt 0xb05
	s_delay_alu instid0(VALU_DEP_3) | instskip(NEXT) | instid1(VALU_DEP_3)
	v_dual_mul_f32 v17, v189, v101 :: v_dual_add_f32 v7, v7, v59
	v_dual_add_f32 v5, v5, v19 :: v_dual_fma_f32 v55, v180, v92, -v55
	s_delay_alu instid0(VALU_DEP_3) | instskip(NEXT) | instid1(VALU_DEP_3)
	v_dual_mul_f32 v19, v191, v103 :: v_dual_fmac_f32 v23, v181, v92
	v_dual_add_f32 v7, v7, v57 :: v_dual_fma_f32 v11, v182, v94, -v11
	s_delay_alu instid0(VALU_DEP_3) | instskip(SKIP_2) | instid1(VALU_DEP_3)
	v_dual_add_f32 v5, v5, v21 :: v_dual_fmac_f32 v25, v183, v94
	v_dual_mul_f32 v27, v184, v97 :: v_dual_mul_f32 v29, v186, v99
	s_wait_loadcnt_dscnt 0xa04
	v_dual_mul_f32 v21, v193, v105 :: v_dual_add_f32 v7, v7, v55
	s_delay_alu instid0(VALU_DEP_3) | instskip(NEXT) | instid1(VALU_DEP_3)
	v_dual_add_f32 v5, v5, v23 :: v_dual_fma_f32 v13, v184, v96, -v13
	v_dual_mul_f32 v23, v195, v107 :: v_dual_fmac_f32 v27, v185, v96
	s_delay_alu instid0(VALU_DEP_2) | instskip(SKIP_3) | instid1(VALU_DEP_3)
	v_dual_add_f32 v7, v7, v11 :: v_dual_add_f32 v5, v5, v25
	v_dual_mul_f32 v31, v188, v101 :: v_dual_mul_f32 v33, v190, v103
	s_wait_loadcnt_dscnt 0x903
	v_dual_mul_f32 v11, v197, v109 :: v_dual_fmac_f32 v29, v187, v98
	v_dual_fma_f32 v15, v186, v98, -v15 :: v_dual_add_f32 v5, v5, v27
	s_delay_alu instid0(VALU_DEP_3) | instskip(SKIP_1) | instid1(VALU_DEP_2)
	v_dual_add_f32 v7, v7, v13 :: v_dual_fmac_f32 v31, v189, v100
	v_dual_mul_f32 v13, v199, v111 :: v_dual_fma_f32 v17, v188, v100, -v17
	v_dual_add_f32 v5, v5, v29 :: v_dual_add_f32 v7, v7, v15
	v_dual_mul_f32 v35, v192, v105 :: v_dual_mul_f32 v37, v194, v107
	s_wait_loadcnt_dscnt 0x802
	v_dual_mul_f32 v15, v201, v113 :: v_dual_fmac_f32 v33, v191, v102
	s_delay_alu instid0(VALU_DEP_3) | instskip(NEXT) | instid1(VALU_DEP_3)
	v_dual_fma_f32 v19, v190, v102, -v19 :: v_dual_add_f32 v5, v5, v31
	v_dual_add_f32 v7, v7, v17 :: v_dual_fmac_f32 v35, v193, v104
	v_dual_mul_f32 v17, v203, v115 :: v_dual_fma_f32 v21, v192, v104, -v21
	s_delay_alu instid0(VALU_DEP_2) | instskip(SKIP_3) | instid1(VALU_DEP_3)
	v_dual_add_f32 v5, v5, v33 :: v_dual_add_f32 v7, v7, v19
	v_dual_mul_f32 v39, v196, v109 :: v_dual_mul_f32 v41, v198, v111
	s_wait_loadcnt_dscnt 0x701
	v_dual_mul_f32 v19, v205, v117 :: v_dual_fmac_f32 v37, v195, v106
	v_dual_fma_f32 v23, v194, v106, -v23 :: v_dual_add_f32 v5, v5, v35
	s_delay_alu instid0(VALU_DEP_3) | instskip(SKIP_1) | instid1(VALU_DEP_2)
	v_dual_add_f32 v7, v7, v21 :: v_dual_fmac_f32 v39, v197, v108
	v_dual_mul_f32 v21, v207, v119 :: v_dual_fma_f32 v11, v196, v108, -v11
	v_dual_add_f32 v5, v5, v37 :: v_dual_add_f32 v7, v7, v23
	v_dual_mul_f32 v43, v200, v113 :: v_dual_mul_f32 v45, v202, v115
	s_wait_loadcnt_dscnt 0x600
	v_dual_mul_f32 v23, v209, v121 :: v_dual_fmac_f32 v41, v199, v110
	s_delay_alu instid0(VALU_DEP_3) | instskip(NEXT) | instid1(VALU_DEP_3)
	v_dual_fma_f32 v13, v198, v110, -v13 :: v_dual_add_f32 v5, v5, v39
	v_dual_add_f32 v7, v7, v11 :: v_dual_fmac_f32 v43, v201, v112
	v_dual_mul_f32 v11, v211, v123 :: v_dual_fma_f32 v15, v200, v112, -v15
	s_delay_alu instid0(VALU_DEP_3) | instskip(NEXT) | instid1(VALU_DEP_3)
	v_dual_add_f32 v5, v5, v41 :: v_dual_fmac_f32 v45, v203, v114
	v_dual_add_f32 v7, v7, v13 :: v_dual_fma_f32 v17, v202, v114, -v17
	v_dual_mul_f32 v47, v204, v117 :: v_dual_mul_f32 v49, v206, v119
	s_wait_loadcnt 0x5
	s_delay_alu instid0(VALU_DEP_2) | instskip(SKIP_1) | instid1(VALU_DEP_3)
	v_dual_mul_f32 v13, v161, v125 :: v_dual_add_f32 v7, v7, v15
	v_dual_add_f32 v5, v5, v43 :: v_dual_fma_f32 v19, v204, v116, -v19
	v_dual_mul_f32 v15, v163, v127 :: v_dual_fmac_f32 v47, v205, v116
	s_delay_alu instid0(VALU_DEP_3) | instskip(NEXT) | instid1(VALU_DEP_3)
	v_dual_add_f32 v7, v7, v17 :: v_dual_fma_f32 v17, v206, v118, -v21
	v_dual_add_f32 v5, v5, v45 :: v_dual_fmac_f32 v49, v207, v118
	v_dual_mul_f32 v51, v208, v121 :: v_dual_mul_f32 v53, v210, v123
	s_delay_alu instid0(VALU_DEP_3) | instskip(SKIP_1) | instid1(VALU_DEP_3)
	v_add_f32_e32 v7, v7, v19
	s_wait_loadcnt 0x4
	v_dual_add_f32 v5, v5, v47 :: v_dual_mov_b32 v78, v131
	s_delay_alu instid0(VALU_DEP_3) | instskip(NEXT) | instid1(VALU_DEP_3)
	v_fmac_f32_e32 v51, v209, v120
	v_dual_fma_f32 v19, v208, v120, -v23 :: v_dual_add_f32 v7, v7, v17
	s_delay_alu instid0(VALU_DEP_3) | instskip(SKIP_2) | instid1(VALU_DEP_4)
	v_dual_fma_f32 v11, v210, v122, -v11 :: v_dual_add_f32 v5, v5, v49
	v_dual_mul_f32 v223, v160, v125 :: v_dual_mul_f32 v225, v162, v127
	v_fmac_f32_e32 v53, v211, v122
	v_add_f32_e32 v7, v7, v19
	s_delay_alu instid0(VALU_DEP_4)
	v_add_f32_e32 v5, v5, v51
	v_pk_mul_f32 v[76:77], v[144:145], v[128:129] op_sel:[1,1] op_sel_hi:[0,1]
	s_wait_loadcnt 0x3
	v_dual_mov_b32 v82, v135 :: v_dual_fma_f32 v222, v160, v124, -v13
	v_fmac_f32_e32 v223, v161, v124
	v_dual_add_f32 v85, v5, v53 :: v_dual_add_f32 v84, v7, v11
	v_dual_fmac_f32 v225, v163, v126 :: v_dual_fma_f32 v224, v162, v126, -v15
	v_pk_fma_f32 v[86:87], v[144:145], v[128:129], v[76:77] op_sel_hi:[1,0,1]
	v_pk_mul_f32 v[78:79], v[214:215], v[78:79] op_sel_hi:[1,0]
	s_delay_alu instid0(VALU_DEP_4)
	v_pk_add_f32 v[84:85], v[84:85], v[222:223]
	v_pk_fma_f32 v[76:77], v[144:145], v[128:129], v[76:77] neg_lo:[0,0,1] neg_hi:[0,0,1]
	v_pk_mul_f32 v[80:81], v[148:149], v[132:133] op_sel:[1,1] op_sel_hi:[0,1]
	v_mov_b32_e32 v77, v87
	v_pk_fma_f32 v[86:87], v[146:147], v[130:131], v[78:79] op_sel_hi:[1,0,1]
	v_pk_add_f32 v[84:85], v[84:85], v[224:225]
	v_pk_fma_f32 v[78:79], v[146:147], v[130:131], v[78:79] neg_lo:[0,0,1] neg_hi:[0,0,1]
	v_pk_fma_f32 v[90:91], v[148:149], v[132:133], v[80:81] op_sel_hi:[1,0,1]
	v_pk_mul_f32 v[82:83], v[216:217], v[82:83] op_sel_hi:[1,0]
	v_mov_b32_e32 v79, v87
	v_pk_add_f32 v[76:77], v[84:85], v[76:77]
	s_wait_loadcnt 0x2
	v_pk_mul_f32 v[88:89], v[152:153], v[136:137] op_sel:[1,1] op_sel_hi:[0,1]
	v_mov_b32_e32 v84, v139
	v_pk_fma_f32 v[80:81], v[148:149], v[132:133], v[80:81] neg_lo:[0,0,1] neg_hi:[0,0,1]
	v_mov_b32_e32 v81, v91
	v_pk_fma_f32 v[86:87], v[150:151], v[134:135], v[82:83] op_sel_hi:[1,0,1]
	v_pk_add_f32 v[76:77], v[76:77], v[78:79]
	v_pk_fma_f32 v[78:79], v[152:153], v[136:137], v[88:89] op_sel_hi:[1,0,1]
	v_pk_mul_f32 v[84:85], v[218:219], v[84:85] op_sel_hi:[1,0]
	v_pk_fma_f32 v[82:83], v[150:151], v[134:135], v[82:83] neg_lo:[0,0,1] neg_hi:[0,0,1]
	v_mov_b32_e32 v83, v87
	v_pk_add_f32 v[76:77], v[76:77], v[80:81]
	v_pk_fma_f32 v[86:87], v[152:153], v[136:137], v[88:89] neg_lo:[0,0,1] neg_hi:[0,0,1]
	v_mov_b32_e32 v87, v79
	v_pk_fma_f32 v[78:79], v[154:155], v[138:139], v[84:85] op_sel_hi:[1,0,1]
	s_wait_loadcnt 0x1
	v_pk_mul_f32 v[80:81], v[156:157], v[140:141] op_sel:[1,1] op_sel_hi:[0,1]
	v_pk_add_f32 v[76:77], v[76:77], v[82:83]
	v_mov_b32_e32 v78, v143
	v_pk_fma_f32 v[84:85], v[154:155], v[138:139], v[84:85] neg_lo:[0,0,1] neg_hi:[0,0,1]
	v_mov_b32_e32 v85, v79
	v_pk_fma_f32 v[82:83], v[156:157], v[140:141], v[80:81] op_sel_hi:[1,0,1]
	v_pk_add_f32 v[76:77], v[76:77], v[86:87]
	v_pk_mul_f32 v[78:79], v[220:221], v[78:79] op_sel_hi:[1,0]
	v_pk_fma_f32 v[80:81], v[156:157], v[140:141], v[80:81] neg_lo:[0,0,1] neg_hi:[0,0,1]
	s_delay_alu instid0(VALU_DEP_4) | instskip(NEXT) | instid1(VALU_DEP_4)
	v_mov_b32_e32 v81, v83
	v_pk_add_f32 v[76:77], v[76:77], v[84:85]
	s_delay_alu instid0(VALU_DEP_4) | instskip(SKIP_1) | instid1(VALU_DEP_2)
	v_pk_fma_f32 v[82:83], v[158:159], v[142:143], v[78:79] op_sel_hi:[1,0,1]
	v_pk_fma_f32 v[78:79], v[158:159], v[142:143], v[78:79] neg_lo:[0,0,1] neg_hi:[0,0,1]
	v_mov_b32_e32 v79, v83
	s_delay_alu instid0(VALU_DEP_4) | instskip(NEXT) | instid1(VALU_DEP_1)
	v_pk_add_f32 v[76:77], v[76:77], v[80:81]
	v_pk_add_f32 v[76:77], v[76:77], v[78:79]
	s_wait_loadcnt 0x0
	s_delay_alu instid0(VALU_DEP_1)
	v_pk_add_f32 v[76:77], v[212:213], v[76:77] neg_lo:[0,1] neg_hi:[0,1]
	scratch_store_b64 off, v[76:77], off offset:16
	s_wait_xcnt 0x0
	v_cmpx_lt_u32_e32 1, v0
	s_cbranch_execz .LBB36_233
; %bb.232:
	scratch_load_b64 v[76:77], off, off offset:8
	v_mov_b64_e32 v[78:79], 0
	scratch_store_b64 off, v[78:79], off offset:8
	s_wait_loadcnt 0x0
	ds_store_b64 v1, v[76:77]
.LBB36_233:
	s_wait_xcnt 0x0
	s_or_b32 exec_lo, exec_lo, s0
	s_wait_storecnt_dscnt 0x0
	s_barrier_signal -1
	s_barrier_wait -1
	s_clause 0x12
	scratch_load_b128 v[78:81], off, off offset:16
	scratch_load_b128 v[82:85], off, off offset:32
	;; [unrolled: 1-line block ×17, first 2 shown]
	scratch_load_b64 v[214:215], off, off offset:288
	scratch_load_b64 v[216:217], off, off offset:8
	v_dual_mov_b32 v76, 0 :: v_dual_ashrrev_i32 v39, 31, v38
	ds_load_b128 v[146:149], v76 offset:512
	ds_load_b128 v[150:153], v76 offset:528
	;; [unrolled: 1-line block ×17, first 2 shown]
	ds_load_b64 v[218:219], v76 offset:592
	v_dual_ashrrev_i32 v5, 31, v4 :: v_dual_ashrrev_i32 v7, 31, v6
	v_dual_ashrrev_i32 v11, 31, v10 :: v_dual_ashrrev_i32 v13, 31, v12
	;; [unrolled: 1-line block ×3, first 2 shown]
	s_wait_dscnt 0xd
	v_dual_mov_b32 v226, v165 :: v_dual_mov_b32 v227, v164
	v_dual_ashrrev_i32 v19, 31, v18 :: v_dual_ashrrev_i32 v21, 31, v20
	v_dual_ashrrev_i32 v23, 31, v22 :: v_dual_ashrrev_i32 v25, 31, v24
	;; [unrolled: 1-line block ×4, first 2 shown]
	v_dual_mov_b32 v220, v153 :: v_dual_mov_b32 v221, v152
	v_dual_mov_b32 v222, v157 :: v_dual_mov_b32 v223, v156
	;; [unrolled: 1-line block ×3, first 2 shown]
	v_dual_ashrrev_i32 v35, 31, v34 :: v_dual_ashrrev_i32 v37, 31, v36
	v_dual_ashrrev_i32 v41, 31, v40 :: v_dual_ashrrev_i32 v43, 31, v42
	;; [unrolled: 1-line block ×4, first 2 shown]
	s_mov_b32 s0, exec_lo
	s_wait_loadcnt_dscnt 0x120c
	v_dual_mul_f32 v53, v166, v79 :: v_dual_mul_f32 v55, v168, v81
	v_mul_f32_e32 v240, v167, v79
	s_wait_loadcnt_dscnt 0x110b
	v_dual_mul_f32 v57, v170, v83 :: v_dual_mul_f32 v59, v172, v85
	s_delay_alu instid0(VALU_DEP_3) | instskip(SKIP_3) | instid1(VALU_DEP_3)
	v_dual_fmac_f32 v53, v167, v78 :: v_dual_fmac_f32 v55, v169, v80
	s_wait_loadcnt_dscnt 0xf09
	v_dual_mul_f32 v65, v178, v91 :: v_dual_mul_f32 v67, v180, v93
	v_dual_mul_f32 v81, v169, v81 :: v_dual_mul_f32 v83, v171, v83
	v_dual_mul_f32 v91, v179, v91 :: v_dual_add_f32 v53, 0, v53
	s_wait_loadcnt 0x6
	v_dual_mul_f32 v239, v146, v127 :: v_dual_mul_f32 v79, v148, v129
	s_delay_alu instid0(VALU_DEP_3) | instskip(SKIP_3) | instid1(VALU_DEP_3)
	v_dual_fma_f32 v78, v166, v78, -v240 :: v_dual_fma_f32 v80, v168, v80, -v81
	v_dual_mul_f32 v61, v174, v87 :: v_dual_mul_f32 v63, v176, v89
	s_wait_dscnt 0x8
	v_dual_mul_f32 v69, v182, v95 :: v_dual_mul_f32 v71, v184, v97
	v_dual_add_f32 v78, 0, v78 :: v_dual_mul_f32 v95, v183, v95
	s_wait_loadcnt 0x5
	v_dual_mul_f32 v81, v150, v131 :: v_dual_mul_f32 v85, v173, v85
	v_dual_mul_f32 v89, v177, v89 :: v_dual_fmac_f32 v57, v171, v82
	v_dual_fma_f32 v82, v170, v82, -v83 :: v_dual_add_f32 v53, v53, v55
	v_dual_add_f32 v55, v78, v80 :: v_dual_mul_f32 v87, v175, v87
	v_mul_f32_e32 v93, v181, v93
	v_dual_mul_f32 v78, v185, v97 :: v_dual_fma_f32 v80, v172, v84, -v85
	s_delay_alu instid0(VALU_DEP_3) | instskip(SKIP_3) | instid1(VALU_DEP_2)
	v_dual_fmac_f32 v59, v173, v84 :: v_dual_add_f32 v55, v55, v82
	s_wait_dscnt 0x7
	v_dual_add_f32 v53, v53, v57 :: v_dual_mul_f32 v57, v187, v99
	v_dual_fmac_f32 v61, v175, v86 :: v_dual_fma_f32 v82, v174, v86, -v87
	v_dual_add_f32 v55, v55, v80 :: v_dual_add_f32 v53, v53, v59
	v_dual_mul_f32 v59, v189, v101 :: v_dual_fma_f32 v80, v176, v88, -v89
	s_delay_alu instid0(VALU_DEP_2) | instskip(SKIP_1) | instid1(VALU_DEP_3)
	v_dual_fmac_f32 v63, v177, v88 :: v_dual_add_f32 v55, v55, v82
	s_wait_dscnt 0x6
	v_dual_add_f32 v53, v53, v61 :: v_dual_mul_f32 v61, v191, v103
	v_dual_fmac_f32 v65, v179, v90 :: v_dual_fma_f32 v82, v178, v90, -v91
	s_delay_alu instid0(VALU_DEP_2) | instskip(SKIP_1) | instid1(VALU_DEP_2)
	v_dual_add_f32 v55, v55, v80 :: v_dual_add_f32 v53, v53, v63
	v_dual_mul_f32 v63, v193, v105 :: v_dual_fma_f32 v80, v180, v92, -v93
	v_dual_fmac_f32 v67, v181, v92 :: v_dual_add_f32 v55, v55, v82
	s_wait_dscnt 0x5
	s_delay_alu instid0(VALU_DEP_3) | instskip(SKIP_1) | instid1(VALU_DEP_2)
	v_dual_add_f32 v53, v53, v65 :: v_dual_mul_f32 v65, v195, v107
	v_dual_fmac_f32 v69, v183, v94 :: v_dual_fma_f32 v82, v182, v94, -v95
	v_dual_add_f32 v55, v55, v80 :: v_dual_add_f32 v53, v53, v67
	v_dual_mul_f32 v73, v186, v99 :: v_dual_mul_f32 v75, v188, v101
	v_dual_mul_f32 v67, v197, v109 :: v_dual_fma_f32 v78, v184, v96, -v78
	s_delay_alu instid0(VALU_DEP_3)
	v_dual_fmac_f32 v71, v185, v96 :: v_dual_add_f32 v55, v55, v82
	s_wait_dscnt 0x4
	v_dual_add_f32 v53, v53, v69 :: v_dual_mul_f32 v69, v199, v111
	v_fmac_f32_e32 v73, v187, v98
	v_fma_f32 v57, v186, v98, -v57
	v_dual_add_f32 v55, v55, v78 :: v_dual_fmac_f32 v75, v189, v100
	s_delay_alu instid0(VALU_DEP_4) | instskip(SKIP_2) | instid1(VALU_DEP_3)
	v_add_f32_e32 v53, v53, v71
	v_dual_mul_f32 v77, v190, v103 :: v_dual_mul_f32 v228, v192, v105
	v_dual_mul_f32 v71, v201, v113 :: v_dual_fma_f32 v59, v188, v100, -v59
	v_add_f32_e32 v53, v53, v73
	v_dual_add_f32 v55, v55, v57 :: v_dual_fma_f32 v61, v190, v102, -v61
	s_delay_alu instid0(VALU_DEP_4) | instskip(NEXT) | instid1(VALU_DEP_3)
	v_dual_fmac_f32 v77, v191, v102 :: v_dual_mul_f32 v229, v194, v107
	v_dual_mul_f32 v230, v196, v109 :: v_dual_add_f32 v53, v53, v75
	s_delay_alu instid0(VALU_DEP_3) | instskip(NEXT) | instid1(VALU_DEP_3)
	v_dual_add_f32 v55, v55, v59 :: v_dual_fmac_f32 v228, v193, v104
	v_dual_fma_f32 v63, v192, v104, -v63 :: v_dual_fmac_f32 v229, v195, v106
	s_delay_alu instid0(VALU_DEP_3) | instskip(NEXT) | instid1(VALU_DEP_3)
	v_add_f32_e32 v53, v53, v77
	v_dual_add_f32 v55, v55, v61 :: v_dual_fma_f32 v65, v194, v106, -v65
	s_wait_dscnt 0x2
	v_mul_f32_e32 v61, v207, v119
	v_dual_mul_f32 v231, v198, v111 :: v_dual_mul_f32 v232, v200, v113
	s_delay_alu instid0(VALU_DEP_3) | instskip(SKIP_2) | instid1(VALU_DEP_3)
	v_dual_add_f32 v53, v53, v228 :: v_dual_add_f32 v55, v55, v63
	v_fmac_f32_e32 v230, v197, v108
	v_dual_mul_f32 v63, v209, v121 :: v_dual_fma_f32 v67, v196, v108, -v67
	v_add_f32_e32 v53, v53, v229
	s_delay_alu instid0(VALU_DEP_4) | instskip(SKIP_3) | instid1(VALU_DEP_3)
	v_dual_add_f32 v55, v55, v65 :: v_dual_fma_f32 v69, v198, v110, -v69
	s_wait_dscnt 0x1
	v_mul_f32_e32 v65, v211, v123
	v_fmac_f32_e32 v231, v199, v110
	v_dual_add_f32 v53, v53, v230 :: v_dual_add_f32 v55, v55, v67
	v_dual_fmac_f32 v232, v201, v112 :: v_dual_mul_f32 v233, v202, v115
	v_dual_mul_f32 v234, v204, v117 :: v_dual_mul_f32 v57, v203, v115
	v_mul_f32_e32 v59, v205, v117
	v_dual_mul_f32 v67, v213, v125 :: v_dual_fma_f32 v71, v200, v112, -v71
	v_dual_add_f32 v53, v53, v231 :: v_dual_add_f32 v55, v55, v69
	s_delay_alu instid0(VALU_DEP_4) | instskip(NEXT) | instid1(VALU_DEP_2)
	v_dual_fma_f32 v57, v202, v114, -v57 :: v_dual_mul_f32 v69, v147, v127
	v_dual_fmac_f32 v233, v203, v114 :: v_dual_add_f32 v53, v53, v232
	s_delay_alu instid0(VALU_DEP_3) | instskip(SKIP_2) | instid1(VALU_DEP_4)
	v_dual_add_f32 v55, v55, v71 :: v_dual_fmac_f32 v234, v205, v116
	v_dual_mul_f32 v235, v206, v119 :: v_dual_mul_f32 v236, v208, v121
	v_dual_mul_f32 v71, v149, v129 :: v_dual_fma_f32 v59, v204, v116, -v59
	v_add_f32_e32 v53, v53, v233
	s_delay_alu instid0(VALU_DEP_4) | instskip(SKIP_2) | instid1(VALU_DEP_3)
	v_dual_add_f32 v55, v55, v57 :: v_dual_fma_f32 v61, v206, v118, -v61
	v_mul_f32_e32 v57, v151, v131
	v_dual_fmac_f32 v235, v207, v118 :: v_dual_mov_b32 v80, v133
	v_dual_add_f32 v53, v53, v234 :: v_dual_add_f32 v55, v55, v59
	v_dual_fmac_f32 v236, v209, v120 :: v_dual_mul_f32 v237, v210, v123
	v_mul_f32_e32 v238, v212, v125
	s_delay_alu instid0(VALU_DEP_3) | instskip(NEXT) | instid1(VALU_DEP_4)
	v_dual_fma_f32 v59, v208, v120, -v63 :: v_dual_add_f32 v53, v53, v235
	v_dual_add_f32 v55, v55, v61 :: v_dual_fma_f32 v61, v210, v122, -v65
	s_wait_loadcnt 0x4
	v_dual_fmac_f32 v237, v211, v122 :: v_dual_mov_b32 v84, v137
	s_delay_alu instid0(VALU_DEP_2) | instskip(SKIP_1) | instid1(VALU_DEP_2)
	v_dual_add_f32 v53, v53, v236 :: v_dual_add_f32 v55, v55, v59
	v_dual_fmac_f32 v238, v213, v124 :: v_dual_fma_f32 v59, v212, v124, -v67
	v_dual_fmac_f32 v239, v147, v126 :: v_dual_add_f32 v53, v53, v237
	s_delay_alu instid0(VALU_DEP_3) | instskip(SKIP_2) | instid1(VALU_DEP_3)
	v_dual_add_f32 v55, v55, v61 :: v_dual_fma_f32 v61, v146, v126, -v69
	v_pk_mul_f32 v[88:89], v[220:221], v[80:81] op_sel_hi:[1,0]
	v_pk_mul_f32 v[82:83], v[154:155], v[134:135] op_sel:[1,1] op_sel_hi:[0,1]
	v_dual_add_f32 v53, v53, v238 :: v_dual_add_f32 v55, v55, v59
	v_fmac_f32_e32 v79, v149, v128
	s_wait_loadcnt 0x3
	v_dual_fma_f32 v78, v148, v128, -v71 :: v_dual_mov_b32 v92, v141
	s_delay_alu instid0(VALU_DEP_3)
	v_dual_fmac_f32 v81, v151, v130 :: v_dual_add_f32 v91, v53, v239
	v_add_f32_e32 v90, v55, v61
	v_pk_fma_f32 v[94:95], v[152:153], v[132:133], v[88:89] op_sel_hi:[1,0,1]
	v_fma_f32 v80, v150, v130, -v57
	v_pk_fma_f32 v[88:89], v[152:153], v[132:133], v[88:89] neg_lo:[0,0,1] neg_hi:[0,0,1]
	v_pk_mul_f32 v[84:85], v[222:223], v[84:85] op_sel_hi:[1,0]
	v_pk_add_f32 v[78:79], v[90:91], v[78:79]
	v_pk_fma_f32 v[90:91], v[154:155], v[134:135], v[82:83] op_sel_hi:[1,0,1]
	v_mov_b32_e32 v89, v95
	v_pk_fma_f32 v[82:83], v[154:155], v[134:135], v[82:83] neg_lo:[0,0,1] neg_hi:[0,0,1]
	v_pk_mul_f32 v[86:87], v[158:159], v[138:139] op_sel:[1,1] op_sel_hi:[0,1]
	v_pk_add_f32 v[78:79], v[78:79], v[80:81]
	v_mov_b32_e32 v83, v91
	v_pk_fma_f32 v[90:91], v[156:157], v[136:137], v[84:85] op_sel_hi:[1,0,1]
	v_pk_fma_f32 v[84:85], v[156:157], v[136:137], v[84:85] neg_lo:[0,0,1] neg_hi:[0,0,1]
	v_pk_mul_f32 v[92:93], v[224:225], v[92:93] op_sel_hi:[1,0]
	v_pk_add_f32 v[78:79], v[78:79], v[88:89]
	v_pk_fma_f32 v[88:89], v[158:159], v[138:139], v[86:87] op_sel_hi:[1,0,1]
	v_mov_b32_e32 v85, v91
	v_pk_fma_f32 v[86:87], v[158:159], v[138:139], v[86:87] neg_lo:[0,0,1] neg_hi:[0,0,1]
	s_wait_loadcnt 0x2
	v_pk_mul_f32 v[80:81], v[162:163], v[142:143] op_sel:[1,1] op_sel_hi:[0,1]
	v_pk_add_f32 v[78:79], v[78:79], v[82:83]
	v_dual_mov_b32 v82, v145 :: v_dual_mov_b32 v87, v89
	v_pk_fma_f32 v[88:89], v[160:161], v[140:141], v[92:93] op_sel_hi:[1,0,1]
	v_pk_fma_f32 v[90:91], v[160:161], v[140:141], v[92:93] neg_lo:[0,0,1] neg_hi:[0,0,1]
	s_delay_alu instid0(VALU_DEP_4) | instskip(SKIP_3) | instid1(VALU_DEP_4)
	v_pk_add_f32 v[78:79], v[78:79], v[84:85]
	v_pk_fma_f32 v[84:85], v[162:163], v[142:143], v[80:81] op_sel_hi:[1,0,1]
	v_pk_mul_f32 v[82:83], v[226:227], v[82:83] op_sel_hi:[1,0]
	v_dual_mov_b32 v91, v89 :: v_dual_ashrrev_i32 v53, 31, v52
	v_pk_add_f32 v[78:79], v[78:79], v[86:87]
	v_pk_fma_f32 v[80:81], v[162:163], v[142:143], v[80:81] neg_lo:[0,0,1] neg_hi:[0,0,1]
	v_dual_mov_b32 v81, v85 :: v_dual_ashrrev_i32 v55, 31, v54
	v_pk_fma_f32 v[84:85], v[164:165], v[144:145], v[82:83] op_sel_hi:[1,0,1]
	s_delay_alu instid0(VALU_DEP_4)
	v_pk_add_f32 v[78:79], v[78:79], v[90:91]
	s_wait_loadcnt_dscnt 0x100
	v_pk_mul_f32 v[86:87], v[218:219], v[214:215] op_sel:[1,1] op_sel_hi:[0,1]
	v_pk_fma_f32 v[82:83], v[164:165], v[144:145], v[82:83] neg_lo:[0,0,1] neg_hi:[0,0,1]
	v_dual_ashrrev_i32 v57, 31, v56 :: v_dual_mov_b32 v83, v85
	v_pk_add_f32 v[78:79], v[78:79], v[80:81]
	s_delay_alu instid0(VALU_DEP_4)
	v_pk_fma_f32 v[80:81], v[218:219], v[214:215], v[86:87] op_sel_hi:[1,0,1]
	v_pk_fma_f32 v[84:85], v[218:219], v[214:215], v[86:87] neg_lo:[0,0,1] neg_hi:[0,0,1]
	v_dual_ashrrev_i32 v59, 31, v58 :: v_dual_ashrrev_i32 v61, 31, v60
	v_ashrrev_i32_e32 v63, 31, v62
	v_pk_add_f32 v[78:79], v[78:79], v[82:83]
	v_dual_mov_b32 v85, v81 :: v_dual_ashrrev_i32 v65, 31, v64
	v_dual_ashrrev_i32 v67, 31, v66 :: v_dual_ashrrev_i32 v69, 31, v68
	v_ashrrev_i32_e32 v71, 31, v70
	s_delay_alu instid0(VALU_DEP_3) | instskip(SKIP_2) | instid1(VALU_DEP_2)
	v_pk_add_f32 v[78:79], v[78:79], v[84:85]
	v_dual_ashrrev_i32 v73, 31, v72 :: v_dual_ashrrev_i32 v75, 31, v74
	s_wait_loadcnt 0x0
	v_pk_add_f32 v[78:79], v[216:217], v[78:79] neg_lo:[0,1] neg_hi:[0,1]
	scratch_store_b64 off, v[78:79], off offset:8
	s_wait_xcnt 0x0
	v_cmpx_ne_u32_e32 0, v0
	s_cbranch_execz .LBB36_235
; %bb.234:
	scratch_load_b64 v[78:79], off, off
	v_mov_b64_e32 v[80:81], 0
	scratch_store_b64 off, v[80:81], off
	s_wait_loadcnt 0x0
	ds_store_b64 v1, v[78:79]
.LBB36_235:
	s_wait_xcnt 0x0
	s_or_b32 exec_lo, exec_lo, s0
	s_wait_storecnt_dscnt 0x0
	s_barrier_signal -1
	s_barrier_wait -1
	s_clause 0xd
	scratch_load_b128 v[82:85], off, off offset:8
	scratch_load_b128 v[90:93], off, off offset:24
	;; [unrolled: 1-line block ×14, first 2 shown]
	ds_load_2addr_b64 v[78:81], v76 offset0:39 offset1:40
	ds_load_2addr_b64 v[86:89], v76 offset0:41 offset1:42
	;; [unrolled: 1-line block ×14, first 2 shown]
	s_clause 0x3
	scratch_load_b128 v[190:193], off, off offset:232
	scratch_load_b128 v[194:197], off, off offset:248
	scratch_load_b128 v[198:201], off, off offset:264
	scratch_load_b128 v[202:205], off, off offset:280
	s_and_b32 vcc_lo, exec_lo, s18
	s_wait_loadcnt_dscnt 0x110d
	v_dual_mul_f32 v0, v78, v83 :: v_dual_mul_f32 v1, v80, v85
	s_wait_loadcnt_dscnt 0xe0a
	v_dual_mul_f32 v77, v81, v85 :: v_dual_mul_f32 v207, v182, v187
	s_delay_alu instid0(VALU_DEP_2) | instskip(NEXT) | instid1(VALU_DEP_3)
	v_dual_mul_f32 v209, v184, v189 :: v_dual_fmac_f32 v0, v79, v82
	v_fmac_f32_e32 v1, v81, v84
	s_delay_alu instid0(VALU_DEP_3) | instskip(NEXT) | instid1(VALU_DEP_3)
	v_dual_fma_f32 v77, v80, v84, -v77 :: v_dual_fmac_f32 v207, v183, v186
	v_fmac_f32_e32 v209, v185, v188
	s_delay_alu instid0(VALU_DEP_4) | instskip(NEXT) | instid1(VALU_DEP_1)
	v_add_f32_e32 v0, 0, v0
	v_dual_add_f32 v0, v0, v1 :: v_dual_mul_f32 v1, v86, v91
	s_delay_alu instid0(VALU_DEP_1) | instskip(NEXT) | instid1(VALU_DEP_1)
	v_fmac_f32_e32 v1, v87, v90
	v_add_f32_e32 v0, v0, v1
	v_mul_f32_e32 v1, v88, v93
	s_delay_alu instid0(VALU_DEP_1) | instskip(SKIP_1) | instid1(VALU_DEP_1)
	v_fmac_f32_e32 v1, v89, v92
	s_wait_loadcnt_dscnt 0xd09
	v_dual_add_f32 v0, v0, v1 :: v_dual_mul_f32 v1, v94, v99
	s_delay_alu instid0(VALU_DEP_1) | instskip(NEXT) | instid1(VALU_DEP_1)
	v_fmac_f32_e32 v1, v95, v98
	v_add_f32_e32 v0, v0, v1
	v_mul_f32_e32 v1, v96, v101
	s_delay_alu instid0(VALU_DEP_1) | instskip(SKIP_1) | instid1(VALU_DEP_1)
	v_fmac_f32_e32 v1, v97, v100
	s_wait_loadcnt_dscnt 0xc08
	;; [unrolled: 8-line block ×10, first 2 shown]
	v_dual_add_f32 v0, v0, v1 :: v_dual_mul_f32 v1, v166, v171
	s_delay_alu instid0(VALU_DEP_1) | instskip(NEXT) | instid1(VALU_DEP_1)
	v_fmac_f32_e32 v1, v167, v170
	v_add_f32_e32 v0, v0, v1
	v_mul_f32_e32 v1, v168, v173
	s_delay_alu instid0(VALU_DEP_1) | instskip(NEXT) | instid1(VALU_DEP_1)
	v_fmac_f32_e32 v1, v169, v172
	v_dual_add_f32 v0, v0, v1 :: v_dual_mul_f32 v1, v174, v179
	s_delay_alu instid0(VALU_DEP_1) | instskip(NEXT) | instid1(VALU_DEP_1)
	v_fmac_f32_e32 v1, v175, v178
	v_add_f32_e32 v0, v0, v1
	v_mul_f32_e32 v1, v176, v181
	s_delay_alu instid0(VALU_DEP_1) | instskip(NEXT) | instid1(VALU_DEP_1)
	v_fmac_f32_e32 v1, v177, v180
	v_dual_add_f32 v1, v0, v1 :: v_dual_mul_f32 v0, v79, v83
	s_delay_alu instid0(VALU_DEP_1) | instskip(NEXT) | instid1(VALU_DEP_1)
	v_fma_f32 v0, v78, v82, -v0
	v_add_f32_e32 v0, 0, v0
	s_delay_alu instid0(VALU_DEP_1) | instskip(NEXT) | instid1(VALU_DEP_1)
	v_dual_add_f32 v0, v0, v77 :: v_dual_mul_f32 v77, v87, v91
	v_fma_f32 v77, v86, v90, -v77
	s_delay_alu instid0(VALU_DEP_1) | instskip(SKIP_1) | instid1(VALU_DEP_1)
	v_add_f32_e32 v0, v0, v77
	v_mul_f32_e32 v77, v89, v93
	v_fma_f32 v77, v88, v92, -v77
	ds_load_2addr_b64 v[78:81], v76 offset0:67 offset1:68
	ds_load_2addr_b64 v[82:85], v76 offset0:69 offset1:70
	;; [unrolled: 1-line block ×4, first 2 shown]
	v_dual_add_f32 v0, v0, v77 :: v_dual_mul_f32 v77, v95, v99
	s_delay_alu instid0(VALU_DEP_1) | instskip(NEXT) | instid1(VALU_DEP_1)
	v_fma_f32 v77, v94, v98, -v77
	v_add_f32_e32 v0, v0, v77
	v_mul_f32_e32 v77, v97, v101
	s_delay_alu instid0(VALU_DEP_1) | instskip(NEXT) | instid1(VALU_DEP_1)
	v_fma_f32 v77, v96, v100, -v77
	v_dual_add_f32 v0, v0, v77 :: v_dual_mul_f32 v77, v103, v107
	s_delay_alu instid0(VALU_DEP_1) | instskip(NEXT) | instid1(VALU_DEP_1)
	v_fma_f32 v77, v102, v106, -v77
	v_add_f32_e32 v0, v0, v77
	v_mul_f32_e32 v77, v105, v109
	s_delay_alu instid0(VALU_DEP_1) | instskip(NEXT) | instid1(VALU_DEP_1)
	v_fma_f32 v77, v104, v108, -v77
	;; [unrolled: 7-line block ×11, first 2 shown]
	v_dual_add_f32 v0, v0, v77 :: v_dual_mul_f32 v77, v183, v187
	s_delay_alu instid0(VALU_DEP_1) | instskip(NEXT) | instid1(VALU_DEP_1)
	v_dual_fma_f32 v206, v182, v186, -v77 :: v_dual_mul_f32 v77, v185, v189
	v_fma_f32 v208, v184, v188, -v77
	s_wait_loadcnt_dscnt 0x303
	v_pk_mul_f32 v[76:77], v[78:79], v[190:191] op_sel:[1,1] op_sel_hi:[0,1]
	s_delay_alu instid0(VALU_DEP_1) | instskip(SKIP_2) | instid1(VALU_DEP_2)
	v_pk_fma_f32 v[94:95], v[78:79], v[190:191], v[76:77] neg_lo:[0,0,1] neg_hi:[0,0,1]
	v_pk_fma_f32 v[76:77], v[78:79], v[190:191], v[76:77] op_sel_hi:[1,0,1]
	v_dual_mov_b32 v76, v81 :: v_dual_mov_b32 v78, v193
	v_dual_mov_b32 v95, v77 :: v_dual_mov_b32 v77, v80
	v_pk_add_f32 v[0:1], v[0:1], v[206:207]
	s_delay_alu instid0(VALU_DEP_2) | instskip(NEXT) | instid1(VALU_DEP_1)
	v_pk_mul_f32 v[76:77], v[76:77], v[78:79] op_sel_hi:[1,0]
	v_pk_fma_f32 v[78:79], v[80:81], v[192:193], v[76:77] neg_lo:[0,0,1] neg_hi:[0,0,1]
	v_pk_fma_f32 v[76:77], v[80:81], v[192:193], v[76:77] op_sel_hi:[1,0,1]
	s_delay_alu instid0(VALU_DEP_1) | instskip(SKIP_3) | instid1(VALU_DEP_2)
	v_mov_b32_e32 v79, v77
	v_pk_add_f32 v[0:1], v[0:1], v[208:209]
	s_wait_loadcnt_dscnt 0x202
	v_pk_mul_f32 v[76:77], v[82:83], v[194:195] op_sel:[1,1] op_sel_hi:[0,1]
	v_pk_add_f32 v[0:1], v[0:1], v[94:95]
	s_delay_alu instid0(VALU_DEP_1) | instskip(NEXT) | instid1(VALU_DEP_3)
	v_pk_add_f32 v[0:1], v[0:1], v[78:79]
	v_pk_fma_f32 v[78:79], v[82:83], v[194:195], v[76:77] neg_lo:[0,0,1] neg_hi:[0,0,1]
	v_pk_fma_f32 v[76:77], v[82:83], v[194:195], v[76:77] op_sel_hi:[1,0,1]
	s_delay_alu instid0(VALU_DEP_1) | instskip(SKIP_1) | instid1(VALU_DEP_2)
	v_dual_mov_b32 v76, v85 :: v_dual_mov_b32 v79, v77
	v_mov_b32_e32 v77, v84
	v_pk_add_f32 v[0:1], v[0:1], v[78:79]
	v_mov_b32_e32 v78, v197
	s_delay_alu instid0(VALU_DEP_1) | instskip(NEXT) | instid1(VALU_DEP_1)
	v_pk_mul_f32 v[76:77], v[76:77], v[78:79] op_sel_hi:[1,0]
	v_pk_fma_f32 v[78:79], v[84:85], v[196:197], v[76:77] neg_lo:[0,0,1] neg_hi:[0,0,1]
	v_pk_fma_f32 v[76:77], v[84:85], v[196:197], v[76:77] op_sel_hi:[1,0,1]
	s_delay_alu instid0(VALU_DEP_1) | instskip(SKIP_2) | instid1(VALU_DEP_2)
	v_mov_b32_e32 v79, v77
	s_wait_loadcnt_dscnt 0x101
	v_pk_mul_f32 v[76:77], v[86:87], v[198:199] op_sel:[1,1] op_sel_hi:[0,1]
	v_pk_add_f32 v[0:1], v[0:1], v[78:79]
	s_delay_alu instid0(VALU_DEP_2) | instskip(SKIP_1) | instid1(VALU_DEP_1)
	v_pk_fma_f32 v[78:79], v[86:87], v[198:199], v[76:77] neg_lo:[0,0,1] neg_hi:[0,0,1]
	v_pk_fma_f32 v[76:77], v[86:87], v[198:199], v[76:77] op_sel_hi:[1,0,1]
	v_dual_mov_b32 v76, v89 :: v_dual_mov_b32 v79, v77
	v_mov_b32_e32 v77, v88
	s_delay_alu instid0(VALU_DEP_2) | instskip(SKIP_1) | instid1(VALU_DEP_1)
	v_pk_add_f32 v[0:1], v[0:1], v[78:79]
	v_mov_b32_e32 v78, v201
	v_pk_mul_f32 v[76:77], v[76:77], v[78:79] op_sel_hi:[1,0]
	s_delay_alu instid0(VALU_DEP_1) | instskip(SKIP_1) | instid1(VALU_DEP_1)
	v_pk_fma_f32 v[78:79], v[88:89], v[200:201], v[76:77] neg_lo:[0,0,1] neg_hi:[0,0,1]
	v_pk_fma_f32 v[76:77], v[88:89], v[200:201], v[76:77] op_sel_hi:[1,0,1]
	v_mov_b32_e32 v79, v77
	s_wait_loadcnt_dscnt 0x0
	v_pk_mul_f32 v[76:77], v[90:91], v[202:203] op_sel:[1,1] op_sel_hi:[0,1]
	s_delay_alu instid0(VALU_DEP_2) | instskip(NEXT) | instid1(VALU_DEP_2)
	v_pk_add_f32 v[0:1], v[0:1], v[78:79]
	v_pk_fma_f32 v[78:79], v[90:91], v[202:203], v[76:77] neg_lo:[0,0,1] neg_hi:[0,0,1]
	v_pk_fma_f32 v[76:77], v[90:91], v[202:203], v[76:77] op_sel_hi:[1,0,1]
	s_delay_alu instid0(VALU_DEP_1) | instskip(SKIP_1) | instid1(VALU_DEP_2)
	v_dual_mov_b32 v76, v93 :: v_dual_mov_b32 v79, v77
	v_mov_b32_e32 v77, v92
	v_pk_add_f32 v[0:1], v[0:1], v[78:79]
	v_mov_b32_e32 v78, v205
	s_delay_alu instid0(VALU_DEP_1) | instskip(NEXT) | instid1(VALU_DEP_1)
	v_pk_mul_f32 v[76:77], v[76:77], v[78:79] op_sel_hi:[1,0]
	v_pk_fma_f32 v[78:79], v[92:93], v[204:205], v[76:77] neg_lo:[0,0,1] neg_hi:[0,0,1]
	v_pk_fma_f32 v[76:77], v[92:93], v[204:205], v[76:77] op_sel_hi:[1,0,1]
	s_delay_alu instid0(VALU_DEP_1) | instskip(SKIP_3) | instid1(VALU_DEP_1)
	v_mov_b32_e32 v79, v77
	scratch_load_b64 v[76:77], off, off
	v_pk_add_f32 v[0:1], v[0:1], v[78:79]
	s_wait_loadcnt 0x0
	v_pk_add_f32 v[0:1], v[76:77], v[0:1] neg_lo:[0,1] neg_hi:[0,1]
	scratch_store_b64 off, v[0:1], off
	s_cbranch_vccz .LBB36_308
; %bb.236:
	s_wait_xcnt 0x0
	v_mov_b32_e32 v0, 0
	global_load_b32 v1, v0, s[2:3] offset:140
	s_wait_loadcnt 0x0
	v_cmp_ne_u32_e32 vcc_lo, 36, v1
	s_cbranch_vccz .LBB36_238
; %bb.237:
	v_lshlrev_b32_e32 v1, 3, v1
	scratch_load_b64 v[76:77], v1, off offset:-8
	scratch_load_b64 v[78:79], off, off offset:280
	s_wait_loadcnt 0x1
	scratch_store_b64 off, v[76:77], off offset:280
	s_wait_loadcnt 0x0
	scratch_store_b64 v1, v[78:79], off offset:-8
.LBB36_238:
	global_load_b32 v0, v0, s[2:3] offset:136
	s_wait_loadcnt 0x0
	v_cmp_eq_u32_e32 vcc_lo, 35, v0
	s_cbranch_vccnz .LBB36_240
; %bb.239:
	s_wait_xcnt 0x0
	v_lshlrev_b32_e32 v0, 3, v0
	s_delay_alu instid0(VALU_DEP_1)
	v_mov_b32_e32 v78, v0
	scratch_load_b64 v[0:1], v78, off offset:-8
	scratch_load_b64 v[76:77], off, off offset:272
	s_wait_loadcnt 0x1
	scratch_store_b64 off, v[0:1], off offset:272
	s_wait_loadcnt 0x0
	scratch_store_b64 v78, v[76:77], off offset:-8
.LBB36_240:
	s_wait_xcnt 0x0
	v_mov_b32_e32 v0, 0
	global_load_b32 v1, v0, s[2:3] offset:132
	s_wait_loadcnt 0x0
	v_cmp_eq_u32_e32 vcc_lo, 34, v1
	s_cbranch_vccnz .LBB36_242
; %bb.241:
	v_lshlrev_b32_e32 v1, 3, v1
	scratch_load_b64 v[76:77], v1, off offset:-8
	scratch_load_b64 v[78:79], off, off offset:264
	s_wait_loadcnt 0x1
	scratch_store_b64 off, v[76:77], off offset:264
	s_wait_loadcnt 0x0
	scratch_store_b64 v1, v[78:79], off offset:-8
.LBB36_242:
	global_load_b32 v0, v0, s[2:3] offset:128
	s_wait_loadcnt 0x0
	v_cmp_eq_u32_e32 vcc_lo, 33, v0
	s_cbranch_vccnz .LBB36_244
; %bb.243:
	s_wait_xcnt 0x0
	v_lshlrev_b32_e32 v0, 3, v0
	s_delay_alu instid0(VALU_DEP_1)
	v_mov_b32_e32 v78, v0
	scratch_load_b64 v[0:1], v78, off offset:-8
	scratch_load_b64 v[76:77], off, off offset:256
	s_wait_loadcnt 0x1
	scratch_store_b64 off, v[0:1], off offset:256
	s_wait_loadcnt 0x0
	scratch_store_b64 v78, v[76:77], off offset:-8
.LBB36_244:
	s_wait_xcnt 0x0
	v_mov_b32_e32 v0, 0
	global_load_b32 v1, v0, s[2:3] offset:124
	s_wait_loadcnt 0x0
	v_cmp_eq_u32_e32 vcc_lo, 32, v1
	s_cbranch_vccnz .LBB36_246
; %bb.245:
	v_lshlrev_b32_e32 v1, 3, v1
	scratch_load_b64 v[76:77], v1, off offset:-8
	scratch_load_b64 v[78:79], off, off offset:248
	s_wait_loadcnt 0x1
	scratch_store_b64 off, v[76:77], off offset:248
	s_wait_loadcnt 0x0
	scratch_store_b64 v1, v[78:79], off offset:-8
.LBB36_246:
	;; [unrolled: 31-line block ×17, first 2 shown]
	global_load_b32 v76, v0, s[2:3]
	scratch_load_b64 v[0:1], off, off
	s_wait_loadcnt 0x1
	v_cmp_eq_u32_e32 vcc_lo, 1, v76
	s_cbranch_vccnz .LBB36_308
; %bb.307:
	v_lshlrev_b32_e32 v76, 3, v76
	s_delay_alu instid0(VALU_DEP_1)
	v_mov_b32_e32 v78, v76
	scratch_load_b64 v[76:77], v78, off offset:-8
	s_wait_loadcnt 0x0
	scratch_store_b64 off, v[76:77], off
	scratch_store_b64 v78, v[0:1], off offset:-8
	scratch_load_b64 v[0:1], off, off
.LBB36_308:
	v_lshl_add_u64 v[76:77], v[4:5], 3, s[4:5]
	v_lshl_add_u64 v[78:79], v[6:7], 3, s[4:5]
	;; [unrolled: 1-line block ×4, first 2 shown]
	s_clause 0x11
	scratch_load_b128 v[72:75], off, off offset:8
	scratch_load_b128 v[80:83], off, off offset:24
	;; [unrolled: 1-line block ×18, first 2 shown]
	v_lshl_add_u64 v[10:11], v[10:11], 3, s[4:5]
	v_lshl_add_u64 v[12:13], v[12:13], 3, s[4:5]
	;; [unrolled: 1-line block ×31, first 2 shown]
	s_wait_loadcnt 0x12
	global_store_b64 v[2:3], v[0:1], off
	s_wait_loadcnt 0x11
	s_clause 0x1
	global_store_b64 v[8:9], v[72:73], off
	global_store_b64 v[76:77], v[74:75], off
	s_wait_loadcnt 0x10
	s_clause 0x1
	global_store_b64 v[78:79], v[80:81], off
	;; [unrolled: 4-line block ×18, first 2 shown]
	global_store_b64 v[6:7], v[146:147], off
	s_sendmsg sendmsg(MSG_DEALLOC_VGPRS)
	s_endpgm
	.section	.rodata,"a",@progbits
	.p2align	6, 0x0
	.amdhsa_kernel _ZN9rocsolver6v33100L18getri_kernel_smallILi37E19rocblas_complex_numIfEPS3_EEvT1_iilPiilS6_bb
		.amdhsa_group_segment_fixed_size 600
		.amdhsa_private_segment_fixed_size 304
		.amdhsa_kernarg_size 60
		.amdhsa_user_sgpr_count 2
		.amdhsa_user_sgpr_dispatch_ptr 0
		.amdhsa_user_sgpr_queue_ptr 0
		.amdhsa_user_sgpr_kernarg_segment_ptr 1
		.amdhsa_user_sgpr_dispatch_id 0
		.amdhsa_user_sgpr_kernarg_preload_length 0
		.amdhsa_user_sgpr_kernarg_preload_offset 0
		.amdhsa_user_sgpr_private_segment_size 0
		.amdhsa_wavefront_size32 1
		.amdhsa_uses_dynamic_stack 0
		.amdhsa_enable_private_segment 1
		.amdhsa_system_sgpr_workgroup_id_x 1
		.amdhsa_system_sgpr_workgroup_id_y 0
		.amdhsa_system_sgpr_workgroup_id_z 0
		.amdhsa_system_sgpr_workgroup_info 0
		.amdhsa_system_vgpr_workitem_id 0
		.amdhsa_next_free_vgpr 241
		.amdhsa_next_free_sgpr 19
		.amdhsa_named_barrier_count 0
		.amdhsa_reserve_vcc 1
		.amdhsa_float_round_mode_32 0
		.amdhsa_float_round_mode_16_64 0
		.amdhsa_float_denorm_mode_32 3
		.amdhsa_float_denorm_mode_16_64 3
		.amdhsa_fp16_overflow 0
		.amdhsa_memory_ordered 1
		.amdhsa_forward_progress 1
		.amdhsa_inst_pref_size 255
		.amdhsa_round_robin_scheduling 0
		.amdhsa_exception_fp_ieee_invalid_op 0
		.amdhsa_exception_fp_denorm_src 0
		.amdhsa_exception_fp_ieee_div_zero 0
		.amdhsa_exception_fp_ieee_overflow 0
		.amdhsa_exception_fp_ieee_underflow 0
		.amdhsa_exception_fp_ieee_inexact 0
		.amdhsa_exception_int_div_zero 0
	.end_amdhsa_kernel
	.section	.text._ZN9rocsolver6v33100L18getri_kernel_smallILi37E19rocblas_complex_numIfEPS3_EEvT1_iilPiilS6_bb,"axG",@progbits,_ZN9rocsolver6v33100L18getri_kernel_smallILi37E19rocblas_complex_numIfEPS3_EEvT1_iilPiilS6_bb,comdat
.Lfunc_end36:
	.size	_ZN9rocsolver6v33100L18getri_kernel_smallILi37E19rocblas_complex_numIfEPS3_EEvT1_iilPiilS6_bb, .Lfunc_end36-_ZN9rocsolver6v33100L18getri_kernel_smallILi37E19rocblas_complex_numIfEPS3_EEvT1_iilPiilS6_bb
                                        ; -- End function
	.set _ZN9rocsolver6v33100L18getri_kernel_smallILi37E19rocblas_complex_numIfEPS3_EEvT1_iilPiilS6_bb.num_vgpr, 241
	.set _ZN9rocsolver6v33100L18getri_kernel_smallILi37E19rocblas_complex_numIfEPS3_EEvT1_iilPiilS6_bb.num_agpr, 0
	.set _ZN9rocsolver6v33100L18getri_kernel_smallILi37E19rocblas_complex_numIfEPS3_EEvT1_iilPiilS6_bb.numbered_sgpr, 19
	.set _ZN9rocsolver6v33100L18getri_kernel_smallILi37E19rocblas_complex_numIfEPS3_EEvT1_iilPiilS6_bb.num_named_barrier, 0
	.set _ZN9rocsolver6v33100L18getri_kernel_smallILi37E19rocblas_complex_numIfEPS3_EEvT1_iilPiilS6_bb.private_seg_size, 304
	.set _ZN9rocsolver6v33100L18getri_kernel_smallILi37E19rocblas_complex_numIfEPS3_EEvT1_iilPiilS6_bb.uses_vcc, 1
	.set _ZN9rocsolver6v33100L18getri_kernel_smallILi37E19rocblas_complex_numIfEPS3_EEvT1_iilPiilS6_bb.uses_flat_scratch, 1
	.set _ZN9rocsolver6v33100L18getri_kernel_smallILi37E19rocblas_complex_numIfEPS3_EEvT1_iilPiilS6_bb.has_dyn_sized_stack, 0
	.set _ZN9rocsolver6v33100L18getri_kernel_smallILi37E19rocblas_complex_numIfEPS3_EEvT1_iilPiilS6_bb.has_recursion, 0
	.set _ZN9rocsolver6v33100L18getri_kernel_smallILi37E19rocblas_complex_numIfEPS3_EEvT1_iilPiilS6_bb.has_indirect_call, 0
	.section	.AMDGPU.csdata,"",@progbits
; Kernel info:
; codeLenInByte = 56044
; TotalNumSgprs: 21
; NumVgprs: 241
; ScratchSize: 304
; MemoryBound: 0
; FloatMode: 240
; IeeeMode: 1
; LDSByteSize: 600 bytes/workgroup (compile time only)
; SGPRBlocks: 0
; VGPRBlocks: 15
; NumSGPRsForWavesPerEU: 21
; NumVGPRsForWavesPerEU: 241
; NamedBarCnt: 0
; Occupancy: 4
; WaveLimiterHint : 1
; COMPUTE_PGM_RSRC2:SCRATCH_EN: 1
; COMPUTE_PGM_RSRC2:USER_SGPR: 2
; COMPUTE_PGM_RSRC2:TRAP_HANDLER: 0
; COMPUTE_PGM_RSRC2:TGID_X_EN: 1
; COMPUTE_PGM_RSRC2:TGID_Y_EN: 0
; COMPUTE_PGM_RSRC2:TGID_Z_EN: 0
; COMPUTE_PGM_RSRC2:TIDIG_COMP_CNT: 0
	.section	.text._ZN9rocsolver6v33100L18getri_kernel_smallILi38E19rocblas_complex_numIfEPS3_EEvT1_iilPiilS6_bb,"axG",@progbits,_ZN9rocsolver6v33100L18getri_kernel_smallILi38E19rocblas_complex_numIfEPS3_EEvT1_iilPiilS6_bb,comdat
	.globl	_ZN9rocsolver6v33100L18getri_kernel_smallILi38E19rocblas_complex_numIfEPS3_EEvT1_iilPiilS6_bb ; -- Begin function _ZN9rocsolver6v33100L18getri_kernel_smallILi38E19rocblas_complex_numIfEPS3_EEvT1_iilPiilS6_bb
	.p2align	8
	.type	_ZN9rocsolver6v33100L18getri_kernel_smallILi38E19rocblas_complex_numIfEPS3_EEvT1_iilPiilS6_bb,@function
_ZN9rocsolver6v33100L18getri_kernel_smallILi38E19rocblas_complex_numIfEPS3_EEvT1_iilPiilS6_bb: ; @_ZN9rocsolver6v33100L18getri_kernel_smallILi38E19rocblas_complex_numIfEPS3_EEvT1_iilPiilS6_bb
; %bb.0:
	s_mov_b32 s2, exec_lo
	v_cmpx_gt_u32_e32 38, v0
	s_cbranch_execz .LBB37_166
; %bb.1:
	s_clause 0x2
	s_load_b32 s2, s[0:1], 0x38
	s_load_b128 s[12:15], s[0:1], 0x10
	s_load_b128 s[4:7], s[0:1], 0x28
	s_getreg_b32 s9, hwreg(HW_REG_IB_STS2, 6, 4)
	s_wait_kmcnt 0x0
	s_bitcmp1_b32 s2, 8
	s_cselect_b32 s18, -1, 0
	s_bfe_u32 s3, ttmp6, 0x4000c
	s_and_b32 s8, ttmp6, 15
	s_add_co_i32 s3, s3, 1
	s_delay_alu instid0(SALU_CYCLE_1) | instskip(NEXT) | instid1(SALU_CYCLE_1)
	s_mul_i32 s3, ttmp9, s3
	s_add_co_i32 s8, s8, s3
	s_cmp_eq_u32 s9, 0
	s_cselect_b32 s16, ttmp9, s8
	s_bfe_u32 s2, s2, 0x10008
	s_ashr_i32 s17, s16, 31
	s_cmp_eq_u32 s2, 0
                                        ; implicit-def: $sgpr2_sgpr3
	s_cbranch_scc1 .LBB37_3
; %bb.2:
	s_load_b32 s2, s[0:1], 0x20
	s_mul_u64 s[4:5], s[4:5], s[16:17]
	s_delay_alu instid0(SALU_CYCLE_1) | instskip(NEXT) | instid1(SALU_CYCLE_1)
	s_lshl_b64 s[4:5], s[4:5], 2
	s_add_nc_u64 s[4:5], s[14:15], s[4:5]
	s_wait_kmcnt 0x0
	s_ashr_i32 s3, s2, 31
	s_delay_alu instid0(SALU_CYCLE_1) | instskip(NEXT) | instid1(SALU_CYCLE_1)
	s_lshl_b64 s[2:3], s[2:3], 2
	s_add_nc_u64 s[2:3], s[4:5], s[2:3]
.LBB37_3:
	s_clause 0x1
	s_load_b128 s[8:11], s[0:1], 0x0
	s_load_b32 s14, s[0:1], 0x38
	s_wait_xcnt 0x0
	s_mul_u64 s[0:1], s[12:13], s[16:17]
	v_mov_b32_e32 v79, 0
	s_lshl_b64 s[0:1], s[0:1], 3
	s_wait_kmcnt 0x0
	v_add3_u32 v4, s11, s11, v0
	s_ashr_i32 s5, s10, 31
	s_mov_b32 s4, s10
	s_add_nc_u64 s[0:1], s[8:9], s[0:1]
	s_lshl_b64 s[4:5], s[4:5], 3
	v_add_nc_u32_e32 v8, s11, v4
	s_add_nc_u64 s[4:5], s[0:1], s[4:5]
	s_ashr_i32 s1, s11, 31
	s_mov_b32 s0, s11
	s_bitcmp0_b32 s14, 0
	v_add_nc_u32_e32 v10, s11, v8
	s_delay_alu instid0(VALU_DEP_1) | instskip(NEXT) | instid1(VALU_DEP_1)
	v_add_nc_u32_e32 v12, s11, v10
	v_add_nc_u32_e32 v14, s11, v12
	s_delay_alu instid0(VALU_DEP_1) | instskip(NEXT) | instid1(VALU_DEP_1)
	v_add_nc_u32_e32 v16, s11, v14
	v_add_nc_u32_e32 v18, s11, v16
	s_delay_alu instid0(VALU_DEP_1) | instskip(NEXT) | instid1(VALU_DEP_1)
	v_add_nc_u32_e32 v20, s11, v18
	v_add_nc_u32_e32 v22, s11, v20
	s_delay_alu instid0(VALU_DEP_1) | instskip(NEXT) | instid1(VALU_DEP_1)
	v_add_nc_u32_e32 v24, s11, v22
	v_add_nc_u32_e32 v26, s11, v24
	s_delay_alu instid0(VALU_DEP_1) | instskip(NEXT) | instid1(VALU_DEP_1)
	v_add_nc_u32_e32 v28, s11, v26
	v_add_nc_u32_e32 v30, s11, v28
	s_delay_alu instid0(VALU_DEP_1) | instskip(NEXT) | instid1(VALU_DEP_1)
	v_add_nc_u32_e32 v32, s11, v30
	v_add_nc_u32_e32 v34, s11, v32
	s_delay_alu instid0(VALU_DEP_1) | instskip(NEXT) | instid1(VALU_DEP_1)
	v_add_nc_u32_e32 v36, s11, v34
	v_add_nc_u32_e32 v38, s11, v36
	s_delay_alu instid0(VALU_DEP_1) | instskip(NEXT) | instid1(VALU_DEP_1)
	v_add_nc_u32_e32 v40, s11, v38
	v_add_nc_u32_e32 v42, s11, v40
	s_delay_alu instid0(VALU_DEP_1) | instskip(NEXT) | instid1(VALU_DEP_1)
	v_add_nc_u32_e32 v44, s11, v42
	v_add_nc_u32_e32 v46, s11, v44
	s_delay_alu instid0(VALU_DEP_1) | instskip(NEXT) | instid1(VALU_DEP_1)
	v_add_nc_u32_e32 v48, s11, v46
	v_add_nc_u32_e32 v50, s11, v48
	s_delay_alu instid0(VALU_DEP_1) | instskip(NEXT) | instid1(VALU_DEP_1)
	v_dual_lshlrev_b32 v78, 3, v0 :: v_dual_add_nc_u32 v52, s11, v50
	v_add_nc_u64_e32 v[2:3], s[4:5], v[78:79]
	s_delay_alu instid0(VALU_DEP_2) | instskip(NEXT) | instid1(VALU_DEP_2)
	v_add_nc_u32_e32 v54, s11, v52
	v_lshl_add_u64 v[6:7], s[0:1], 3, v[2:3]
	s_mov_b32 s1, -1
	s_delay_alu instid0(VALU_DEP_2)
	v_add_nc_u32_e32 v56, s11, v54
	s_clause 0x9
	global_load_b64 v[80:81], v0, s[4:5] scale_offset
	global_load_b64 v[82:83], v[6:7], off
	global_load_b64 v[84:85], v4, s[4:5] scale_offset
	global_load_b64 v[86:87], v8, s[4:5] scale_offset
	;; [unrolled: 1-line block ×8, first 2 shown]
	v_add_nc_u32_e32 v58, s11, v56
	s_clause 0xf
	global_load_b64 v[100:101], v22, s[4:5] scale_offset
	global_load_b64 v[102:103], v24, s[4:5] scale_offset
	;; [unrolled: 1-line block ×16, first 2 shown]
	v_add_nc_u32_e32 v60, s11, v58
	s_delay_alu instid0(VALU_DEP_1) | instskip(NEXT) | instid1(VALU_DEP_1)
	v_add_nc_u32_e32 v62, s11, v60
	v_add_nc_u32_e32 v64, s11, v62
	s_clause 0x3
	global_load_b64 v[132:133], v54, s[4:5] scale_offset
	global_load_b64 v[134:135], v56, s[4:5] scale_offset
	;; [unrolled: 1-line block ×4, first 2 shown]
	v_add_nc_u32_e32 v66, s11, v64
	s_delay_alu instid0(VALU_DEP_1) | instskip(NEXT) | instid1(VALU_DEP_1)
	v_add_nc_u32_e32 v68, s11, v66
	v_add_nc_u32_e32 v70, s11, v68
	s_delay_alu instid0(VALU_DEP_1)
	v_add_nc_u32_e32 v72, s11, v70
	s_clause 0x3
	global_load_b64 v[140:141], v62, s[4:5] scale_offset
	global_load_b64 v[142:143], v64, s[4:5] scale_offset
	;; [unrolled: 1-line block ×4, first 2 shown]
	v_add_nc_u32_e32 v74, s11, v72
	s_delay_alu instid0(VALU_DEP_1)
	v_add_nc_u32_e32 v76, s11, v74
	s_clause 0x3
	global_load_b64 v[148:149], v70, s[4:5] scale_offset
	global_load_b64 v[150:151], v72, s[4:5] scale_offset
	;; [unrolled: 1-line block ×4, first 2 shown]
	s_wait_loadcnt 0x24
	scratch_store_b128 off, v[80:83], off
	s_wait_loadcnt 0x22
	scratch_store_b128 off, v[84:87], off offset:16
	s_wait_loadcnt 0x20
	scratch_store_b128 off, v[88:91], off offset:32
	;; [unrolled: 2-line block ×18, first 2 shown]
	s_cbranch_scc1 .LBB37_164
; %bb.4:
	v_cmp_eq_u32_e64 s0, 0, v0
	s_wait_xcnt 0x0
	s_and_saveexec_b32 s1, s0
; %bb.5:
	v_mov_b32_e32 v1, 0
	ds_store_b32 v1, v1 offset:608
; %bb.6:
	s_or_b32 exec_lo, exec_lo, s1
	s_wait_storecnt_dscnt 0x0
	s_barrier_signal -1
	s_barrier_wait -1
	scratch_load_b64 v[80:81], v0, off scale_offset
	s_wait_loadcnt 0x0
	v_cmp_eq_f32_e32 vcc_lo, 0, v80
	v_cmp_eq_f32_e64 s1, 0, v81
	s_and_b32 s1, vcc_lo, s1
	s_delay_alu instid0(SALU_CYCLE_1)
	s_and_saveexec_b32 s8, s1
	s_cbranch_execz .LBB37_10
; %bb.7:
	v_mov_b32_e32 v1, 0
	s_mov_b32 s9, 0
	ds_load_b32 v5, v1 offset:608
	s_wait_dscnt 0x0
	v_readfirstlane_b32 s1, v5
	v_add_nc_u32_e32 v5, 1, v0
	s_cmp_eq_u32 s1, 0
	s_delay_alu instid0(VALU_DEP_1) | instskip(SKIP_1) | instid1(SALU_CYCLE_1)
	v_cmp_gt_i32_e32 vcc_lo, s1, v5
	s_cselect_b32 s10, -1, 0
	s_or_b32 s10, s10, vcc_lo
	s_delay_alu instid0(SALU_CYCLE_1)
	s_and_b32 exec_lo, exec_lo, s10
	s_cbranch_execz .LBB37_10
; %bb.8:
	v_mov_b32_e32 v9, s1
.LBB37_9:                               ; =>This Inner Loop Header: Depth=1
	ds_cmpstore_rtn_b32 v9, v1, v5, v9 offset:608
	s_wait_dscnt 0x0
	v_cmp_ne_u32_e32 vcc_lo, 0, v9
	v_cmp_le_i32_e64 s1, v9, v5
	s_and_b32 s1, vcc_lo, s1
	s_delay_alu instid0(SALU_CYCLE_1) | instskip(NEXT) | instid1(SALU_CYCLE_1)
	s_and_b32 s1, exec_lo, s1
	s_or_b32 s9, s1, s9
	s_delay_alu instid0(SALU_CYCLE_1)
	s_and_not1_b32 exec_lo, exec_lo, s9
	s_cbranch_execnz .LBB37_9
.LBB37_10:
	s_or_b32 exec_lo, exec_lo, s8
	v_mov_b32_e32 v1, 0
	s_barrier_signal -1
	s_barrier_wait -1
	ds_load_b32 v5, v1 offset:608
	s_and_saveexec_b32 s1, s0
	s_cbranch_execz .LBB37_12
; %bb.11:
	s_lshl_b64 s[8:9], s[16:17], 2
	s_delay_alu instid0(SALU_CYCLE_1)
	s_add_nc_u64 s[8:9], s[6:7], s[8:9]
	s_wait_dscnt 0x0
	global_store_b32 v1, v5, s[8:9]
.LBB37_12:
	s_wait_xcnt 0x0
	s_or_b32 exec_lo, exec_lo, s1
	s_wait_dscnt 0x0
	v_cmp_ne_u32_e32 vcc_lo, 0, v5
	s_mov_b32 s1, 0
	s_cbranch_vccnz .LBB37_164
; %bb.13:
	v_lshl_add_u32 v5, v0, 3, 0
                                        ; implicit-def: $vgpr83
                                        ; implicit-def: $vgpr84
	scratch_load_b64 v[80:81], v5, off
	s_wait_loadcnt 0x0
	v_cmp_ngt_f32_e64 s1, |v80|, |v81|
	s_wait_xcnt 0x0
	s_and_saveexec_b32 s8, s1
	s_delay_alu instid0(SALU_CYCLE_1)
	s_xor_b32 s1, exec_lo, s8
	s_cbranch_execz .LBB37_15
; %bb.14:
	v_div_scale_f32 v1, null, v81, v81, v80
	v_div_scale_f32 v13, vcc_lo, v80, v81, v80
	s_delay_alu instid0(VALU_DEP_2) | instskip(SKIP_1) | instid1(TRANS32_DEP_1)
	v_rcp_f32_e32 v9, v1
	v_nop
	v_fma_f32 v11, -v1, v9, 1.0
	s_delay_alu instid0(VALU_DEP_1) | instskip(NEXT) | instid1(VALU_DEP_1)
	v_fmac_f32_e32 v9, v11, v9
	v_mul_f32_e32 v11, v13, v9
	s_delay_alu instid0(VALU_DEP_1) | instskip(NEXT) | instid1(VALU_DEP_1)
	v_fma_f32 v15, -v1, v11, v13
	v_fmac_f32_e32 v11, v15, v9
	s_delay_alu instid0(VALU_DEP_1) | instskip(NEXT) | instid1(VALU_DEP_1)
	v_fma_f32 v1, -v1, v11, v13
	v_div_fmas_f32 v1, v1, v9, v11
	s_delay_alu instid0(VALU_DEP_1) | instskip(NEXT) | instid1(VALU_DEP_1)
	v_div_fixup_f32 v1, v1, v81, v80
	v_fmac_f32_e32 v81, v80, v1
	s_delay_alu instid0(VALU_DEP_1) | instskip(NEXT) | instid1(VALU_DEP_1)
	v_div_scale_f32 v9, null, v81, v81, -1.0
	v_rcp_f32_e32 v11, v9
	v_nop
	s_delay_alu instid0(TRANS32_DEP_1) | instskip(NEXT) | instid1(VALU_DEP_1)
	v_fma_f32 v13, -v9, v11, 1.0
	v_fmac_f32_e32 v11, v13, v11
	v_div_scale_f32 v13, vcc_lo, -1.0, v81, -1.0
	s_delay_alu instid0(VALU_DEP_1) | instskip(NEXT) | instid1(VALU_DEP_1)
	v_mul_f32_e32 v15, v13, v11
	v_fma_f32 v17, -v9, v15, v13
	s_delay_alu instid0(VALU_DEP_1) | instskip(NEXT) | instid1(VALU_DEP_1)
	v_fmac_f32_e32 v15, v17, v11
	v_fma_f32 v9, -v9, v15, v13
	s_delay_alu instid0(VALU_DEP_1) | instskip(NEXT) | instid1(VALU_DEP_1)
	v_div_fmas_f32 v9, v9, v11, v15
	v_div_fixup_f32 v83, v9, v81, -1.0
                                        ; implicit-def: $vgpr80_vgpr81
	s_delay_alu instid0(VALU_DEP_1) | instskip(NEXT) | instid1(VALU_DEP_1)
	v_mul_f32_e32 v84, v1, v83
	v_xor_b32_e32 v82, 0x80000000, v84
.LBB37_15:
	s_and_not1_saveexec_b32 s1, s1
	s_cbranch_execz .LBB37_17
; %bb.16:
	v_div_scale_f32 v1, null, v80, v80, v81
	v_div_scale_f32 v13, vcc_lo, v81, v80, v81
	s_delay_alu instid0(VALU_DEP_2) | instskip(SKIP_1) | instid1(TRANS32_DEP_1)
	v_rcp_f32_e32 v9, v1
	v_nop
	v_fma_f32 v11, -v1, v9, 1.0
	s_delay_alu instid0(VALU_DEP_1) | instskip(NEXT) | instid1(VALU_DEP_1)
	v_fmac_f32_e32 v9, v11, v9
	v_mul_f32_e32 v11, v13, v9
	s_delay_alu instid0(VALU_DEP_1) | instskip(NEXT) | instid1(VALU_DEP_1)
	v_fma_f32 v15, -v1, v11, v13
	v_fmac_f32_e32 v11, v15, v9
	s_delay_alu instid0(VALU_DEP_1) | instskip(NEXT) | instid1(VALU_DEP_1)
	v_fma_f32 v1, -v1, v11, v13
	v_div_fmas_f32 v1, v1, v9, v11
	s_delay_alu instid0(VALU_DEP_1) | instskip(NEXT) | instid1(VALU_DEP_1)
	v_div_fixup_f32 v1, v1, v80, v81
	v_fmac_f32_e32 v80, v81, v1
	s_delay_alu instid0(VALU_DEP_1) | instskip(SKIP_1) | instid1(VALU_DEP_2)
	v_div_scale_f32 v9, null, v80, v80, 1.0
	v_div_scale_f32 v15, vcc_lo, 1.0, v80, 1.0
	v_rcp_f32_e32 v11, v9
	v_nop
	s_delay_alu instid0(TRANS32_DEP_1) | instskip(NEXT) | instid1(VALU_DEP_1)
	v_fma_f32 v13, -v9, v11, 1.0
	v_fmac_f32_e32 v11, v13, v11
	s_delay_alu instid0(VALU_DEP_1) | instskip(NEXT) | instid1(VALU_DEP_1)
	v_mul_f32_e32 v13, v15, v11
	v_fma_f32 v17, -v9, v13, v15
	s_delay_alu instid0(VALU_DEP_1) | instskip(NEXT) | instid1(VALU_DEP_1)
	v_fmac_f32_e32 v13, v17, v11
	v_fma_f32 v9, -v9, v13, v15
	s_delay_alu instid0(VALU_DEP_1) | instskip(NEXT) | instid1(VALU_DEP_1)
	v_div_fmas_f32 v9, v9, v11, v13
	v_div_fixup_f32 v82, v9, v80, 1.0
	s_delay_alu instid0(VALU_DEP_1)
	v_xor_b32_e32 v84, 0x80000000, v82
	v_mul_f32_e64 v83, v1, -v82
.LBB37_17:
	s_or_b32 exec_lo, exec_lo, s1
	scratch_store_b64 v5, v[82:83], off
	scratch_load_b64 v[80:81], off, off offset:8
	v_xor_b32_e32 v85, 0x80000000, v83
	v_add_nc_u32_e32 v1, 0x130, v78
	s_wait_loadcnt 0x0
	ds_store_2addr_b64 v78, v[84:85], v[80:81] offset1:38
	s_wait_storecnt_dscnt 0x0
	s_barrier_signal -1
	s_barrier_wait -1
	s_wait_xcnt 0x0
	s_and_saveexec_b32 s1, s0
	s_cbranch_execz .LBB37_19
; %bb.18:
	scratch_load_b64 v[80:81], v5, off
	ds_load_b64 v[82:83], v1
	s_wait_loadcnt_dscnt 0x0
	v_pk_mul_f32 v[86:87], v[82:83], v[80:81] op_sel:[1,1] op_sel_hi:[0,1]
	s_delay_alu instid0(VALU_DEP_1) | instskip(SKIP_2) | instid1(VALU_DEP_3)
	v_pk_fma_f32 v[88:89], v[82:83], v[80:81], v[86:87] op_sel_hi:[1,0,1]
	v_mov_b32_e32 v9, 0
	v_pk_fma_f32 v[80:81], v[82:83], v[80:81], v[86:87] neg_lo:[0,0,1] neg_hi:[0,0,1]
	v_mov_b32_e32 v81, v89
	ds_load_b64 v[84:85], v9 offset:8
	v_pk_add_f32 v[80:81], v[80:81], 0 op_sel_hi:[1,0]
	s_wait_dscnt 0x0
	s_delay_alu instid0(VALU_DEP_1) | instskip(NEXT) | instid1(VALU_DEP_1)
	v_pk_mul_f32 v[82:83], v[80:81], v[84:85] op_sel:[1,1] op_sel_hi:[0,1]
	v_pk_fma_f32 v[86:87], v[80:81], v[84:85], v[82:83] op_sel_hi:[1,0,1]
	v_pk_fma_f32 v[80:81], v[80:81], v[84:85], v[82:83] neg_lo:[0,0,1] neg_hi:[0,0,1]
	s_delay_alu instid0(VALU_DEP_2)
	v_mov_b32_e32 v81, v87
	scratch_store_b64 off, v[80:81], off offset:8
.LBB37_19:
	s_wait_xcnt 0x0
	s_or_b32 exec_lo, exec_lo, s1
	s_wait_storecnt 0x0
	s_barrier_signal -1
	s_barrier_wait -1
	scratch_load_b64 v[80:81], off, off offset:16
	s_mov_b32 s1, exec_lo
	s_wait_loadcnt 0x0
	ds_store_b64 v1, v[80:81]
	s_wait_dscnt 0x0
	s_barrier_signal -1
	s_barrier_wait -1
	v_cmpx_gt_u32_e32 2, v0
	s_cbranch_execz .LBB37_23
; %bb.20:
	scratch_load_b64 v[80:81], v5, off
	ds_load_b64 v[82:83], v1
	s_wait_loadcnt_dscnt 0x0
	v_pk_mul_f32 v[84:85], v[82:83], v[80:81] op_sel:[1,1] op_sel_hi:[0,1]
	s_delay_alu instid0(VALU_DEP_1) | instskip(SKIP_1) | instid1(VALU_DEP_2)
	v_pk_fma_f32 v[86:87], v[82:83], v[80:81], v[84:85] op_sel_hi:[1,0,1]
	v_pk_fma_f32 v[80:81], v[82:83], v[80:81], v[84:85] neg_lo:[0,0,1] neg_hi:[0,0,1]
	v_mov_b32_e32 v81, v87
	s_delay_alu instid0(VALU_DEP_1)
	v_pk_add_f32 v[80:81], v[80:81], 0 op_sel_hi:[1,0]
	s_and_saveexec_b32 s8, s0
	s_cbranch_execz .LBB37_22
; %bb.21:
	scratch_load_b64 v[82:83], off, off offset:8
	v_mov_b32_e32 v5, 0
	ds_load_b64 v[84:85], v5 offset:312
	s_wait_loadcnt_dscnt 0x0
	v_pk_mul_f32 v[86:87], v[84:85], v[82:83] op_sel:[1,1] op_sel_hi:[0,1]
	s_delay_alu instid0(VALU_DEP_1) | instskip(SKIP_1) | instid1(VALU_DEP_2)
	v_pk_fma_f32 v[88:89], v[84:85], v[82:83], v[86:87] op_sel_hi:[1,0,1]
	v_pk_fma_f32 v[82:83], v[84:85], v[82:83], v[86:87] neg_lo:[0,0,1] neg_hi:[0,0,1]
	v_mov_b32_e32 v83, v89
	s_delay_alu instid0(VALU_DEP_1)
	v_pk_add_f32 v[80:81], v[80:81], v[82:83]
.LBB37_22:
	s_or_b32 exec_lo, exec_lo, s8
	v_mov_b32_e32 v5, 0
	ds_load_b64 v[82:83], v5 offset:16
	s_wait_dscnt 0x0
	v_pk_mul_f32 v[84:85], v[80:81], v[82:83] op_sel:[1,1] op_sel_hi:[0,1]
	s_delay_alu instid0(VALU_DEP_1) | instskip(SKIP_1) | instid1(VALU_DEP_2)
	v_pk_fma_f32 v[86:87], v[80:81], v[82:83], v[84:85] op_sel_hi:[1,0,1]
	v_pk_fma_f32 v[80:81], v[80:81], v[82:83], v[84:85] neg_lo:[0,0,1] neg_hi:[0,0,1]
	v_mov_b32_e32 v81, v87
	scratch_store_b64 off, v[80:81], off offset:16
.LBB37_23:
	s_wait_xcnt 0x0
	s_or_b32 exec_lo, exec_lo, s1
	s_wait_storecnt 0x0
	s_barrier_signal -1
	s_barrier_wait -1
	scratch_load_b64 v[80:81], off, off offset:24
	v_add_nc_u32_e32 v5, -1, v0
	s_mov_b32 s0, exec_lo
	s_wait_loadcnt 0x0
	ds_store_b64 v1, v[80:81]
	s_wait_dscnt 0x0
	s_barrier_signal -1
	s_barrier_wait -1
	v_cmpx_gt_u32_e32 3, v0
	s_cbranch_execz .LBB37_27
; %bb.24:
	v_dual_mov_b32 v80, 0 :: v_dual_add_nc_u32 v9, -1, v0
	v_add_nc_u32_e32 v11, 0x130, v78
	v_mov_b32_e32 v13, v78
	s_mov_b32 s1, 0
	s_delay_alu instid0(VALU_DEP_3)
	v_mov_b32_e32 v81, v80
.LBB37_25:                              ; =>This Inner Loop Header: Depth=1
	scratch_load_b64 v[82:83], v13, off
	ds_load_b64 v[84:85], v11
	s_wait_xcnt 0x0
	v_dual_add_nc_u32 v11, 8, v11 :: v_dual_add_nc_u32 v13, 8, v13
	s_wait_loadcnt_dscnt 0x0
	v_pk_mul_f32 v[86:87], v[84:85], v[82:83] op_sel:[1,1] op_sel_hi:[0,1]
	s_delay_alu instid0(VALU_DEP_1) | instskip(SKIP_2) | instid1(VALU_DEP_3)
	v_pk_fma_f32 v[88:89], v[84:85], v[82:83], v[86:87] op_sel_hi:[1,0,1]
	v_add_nc_u32_e32 v9, 1, v9
	v_pk_fma_f32 v[82:83], v[84:85], v[82:83], v[86:87] neg_lo:[0,0,1] neg_hi:[0,0,1]
	v_mov_b32_e32 v83, v89
	s_delay_alu instid0(VALU_DEP_3) | instskip(NEXT) | instid1(VALU_DEP_2)
	v_cmp_lt_u32_e32 vcc_lo, 1, v9
	v_pk_add_f32 v[80:81], v[80:81], v[82:83]
	s_or_b32 s1, vcc_lo, s1
	s_delay_alu instid0(SALU_CYCLE_1)
	s_and_not1_b32 exec_lo, exec_lo, s1
	s_cbranch_execnz .LBB37_25
; %bb.26:
	s_or_b32 exec_lo, exec_lo, s1
	v_mov_b32_e32 v9, 0
	ds_load_b64 v[82:83], v9 offset:24
	s_wait_dscnt 0x0
	v_pk_mul_f32 v[84:85], v[80:81], v[82:83] op_sel:[1,1] op_sel_hi:[0,1]
	s_delay_alu instid0(VALU_DEP_1) | instskip(SKIP_1) | instid1(VALU_DEP_2)
	v_pk_fma_f32 v[86:87], v[80:81], v[82:83], v[84:85] op_sel_hi:[1,0,1]
	v_pk_fma_f32 v[80:81], v[80:81], v[82:83], v[84:85] neg_lo:[0,0,1] neg_hi:[0,0,1]
	v_mov_b32_e32 v81, v87
	scratch_store_b64 off, v[80:81], off offset:24
.LBB37_27:
	s_wait_xcnt 0x0
	s_or_b32 exec_lo, exec_lo, s0
	s_wait_storecnt 0x0
	s_barrier_signal -1
	s_barrier_wait -1
	scratch_load_b64 v[80:81], off, off offset:32
	s_mov_b32 s0, exec_lo
	s_wait_loadcnt 0x0
	ds_store_b64 v1, v[80:81]
	s_wait_dscnt 0x0
	s_barrier_signal -1
	s_barrier_wait -1
	v_cmpx_gt_u32_e32 4, v0
	s_cbranch_execz .LBB37_31
; %bb.28:
	v_dual_mov_b32 v80, 0 :: v_dual_add_nc_u32 v9, -1, v0
	v_add_nc_u32_e32 v11, 0x130, v78
	v_mov_b32_e32 v13, v78
	s_mov_b32 s1, 0
	s_delay_alu instid0(VALU_DEP_3)
	v_mov_b32_e32 v81, v80
.LBB37_29:                              ; =>This Inner Loop Header: Depth=1
	scratch_load_b64 v[82:83], v13, off
	ds_load_b64 v[84:85], v11
	s_wait_xcnt 0x0
	v_dual_add_nc_u32 v11, 8, v11 :: v_dual_add_nc_u32 v13, 8, v13
	s_wait_loadcnt_dscnt 0x0
	v_pk_mul_f32 v[86:87], v[84:85], v[82:83] op_sel:[1,1] op_sel_hi:[0,1]
	s_delay_alu instid0(VALU_DEP_1) | instskip(SKIP_2) | instid1(VALU_DEP_3)
	v_pk_fma_f32 v[88:89], v[84:85], v[82:83], v[86:87] op_sel_hi:[1,0,1]
	v_add_nc_u32_e32 v9, 1, v9
	v_pk_fma_f32 v[82:83], v[84:85], v[82:83], v[86:87] neg_lo:[0,0,1] neg_hi:[0,0,1]
	v_mov_b32_e32 v83, v89
	s_delay_alu instid0(VALU_DEP_3) | instskip(NEXT) | instid1(VALU_DEP_2)
	v_cmp_lt_u32_e32 vcc_lo, 2, v9
	v_pk_add_f32 v[80:81], v[80:81], v[82:83]
	s_or_b32 s1, vcc_lo, s1
	s_delay_alu instid0(SALU_CYCLE_1)
	s_and_not1_b32 exec_lo, exec_lo, s1
	s_cbranch_execnz .LBB37_29
; %bb.30:
	s_or_b32 exec_lo, exec_lo, s1
	v_mov_b32_e32 v9, 0
	ds_load_b64 v[82:83], v9 offset:32
	s_wait_dscnt 0x0
	v_pk_mul_f32 v[84:85], v[80:81], v[82:83] op_sel:[1,1] op_sel_hi:[0,1]
	s_delay_alu instid0(VALU_DEP_1) | instskip(SKIP_1) | instid1(VALU_DEP_2)
	v_pk_fma_f32 v[86:87], v[80:81], v[82:83], v[84:85] op_sel_hi:[1,0,1]
	v_pk_fma_f32 v[80:81], v[80:81], v[82:83], v[84:85] neg_lo:[0,0,1] neg_hi:[0,0,1]
	v_mov_b32_e32 v81, v87
	scratch_store_b64 off, v[80:81], off offset:32
.LBB37_31:
	s_wait_xcnt 0x0
	s_or_b32 exec_lo, exec_lo, s0
	s_wait_storecnt 0x0
	s_barrier_signal -1
	s_barrier_wait -1
	scratch_load_b64 v[80:81], off, off offset:40
	;; [unrolled: 52-line block ×19, first 2 shown]
	s_mov_b32 s0, exec_lo
	s_wait_loadcnt 0x0
	ds_store_b64 v1, v[80:81]
	s_wait_dscnt 0x0
	s_barrier_signal -1
	s_barrier_wait -1
	v_cmpx_gt_u32_e32 22, v0
	s_cbranch_execz .LBB37_103
; %bb.100:
	v_dual_mov_b32 v80, 0 :: v_dual_add_nc_u32 v9, -1, v0
	v_add_nc_u32_e32 v11, 0x130, v78
	v_mov_b32_e32 v13, v78
	s_mov_b32 s1, 0
	s_delay_alu instid0(VALU_DEP_3)
	v_mov_b32_e32 v81, v80
.LBB37_101:                             ; =>This Inner Loop Header: Depth=1
	scratch_load_b64 v[82:83], v13, off
	ds_load_b64 v[84:85], v11
	s_wait_xcnt 0x0
	v_dual_add_nc_u32 v11, 8, v11 :: v_dual_add_nc_u32 v13, 8, v13
	s_wait_loadcnt_dscnt 0x0
	v_pk_mul_f32 v[86:87], v[84:85], v[82:83] op_sel:[1,1] op_sel_hi:[0,1]
	s_delay_alu instid0(VALU_DEP_1) | instskip(SKIP_2) | instid1(VALU_DEP_3)
	v_pk_fma_f32 v[88:89], v[84:85], v[82:83], v[86:87] op_sel_hi:[1,0,1]
	v_add_nc_u32_e32 v9, 1, v9
	v_pk_fma_f32 v[82:83], v[84:85], v[82:83], v[86:87] neg_lo:[0,0,1] neg_hi:[0,0,1]
	v_mov_b32_e32 v83, v89
	s_delay_alu instid0(VALU_DEP_3) | instskip(NEXT) | instid1(VALU_DEP_2)
	v_cmp_lt_u32_e32 vcc_lo, 20, v9
	v_pk_add_f32 v[80:81], v[80:81], v[82:83]
	s_or_b32 s1, vcc_lo, s1
	s_delay_alu instid0(SALU_CYCLE_1)
	s_and_not1_b32 exec_lo, exec_lo, s1
	s_cbranch_execnz .LBB37_101
; %bb.102:
	s_or_b32 exec_lo, exec_lo, s1
	v_mov_b32_e32 v9, 0
	ds_load_b64 v[82:83], v9 offset:176
	s_wait_dscnt 0x0
	v_pk_mul_f32 v[84:85], v[80:81], v[82:83] op_sel:[1,1] op_sel_hi:[0,1]
	s_delay_alu instid0(VALU_DEP_1) | instskip(SKIP_1) | instid1(VALU_DEP_2)
	v_pk_fma_f32 v[86:87], v[80:81], v[82:83], v[84:85] op_sel_hi:[1,0,1]
	v_pk_fma_f32 v[80:81], v[80:81], v[82:83], v[84:85] neg_lo:[0,0,1] neg_hi:[0,0,1]
	v_mov_b32_e32 v81, v87
	scratch_store_b64 off, v[80:81], off offset:176
.LBB37_103:
	s_wait_xcnt 0x0
	s_or_b32 exec_lo, exec_lo, s0
	s_wait_storecnt 0x0
	s_barrier_signal -1
	s_barrier_wait -1
	scratch_load_b64 v[80:81], off, off offset:184
	s_mov_b32 s0, exec_lo
	s_wait_loadcnt 0x0
	ds_store_b64 v1, v[80:81]
	s_wait_dscnt 0x0
	s_barrier_signal -1
	s_barrier_wait -1
	v_cmpx_gt_u32_e32 23, v0
	s_cbranch_execz .LBB37_107
; %bb.104:
	v_dual_mov_b32 v80, 0 :: v_dual_add_nc_u32 v9, -1, v0
	v_add_nc_u32_e32 v11, 0x130, v78
	v_mov_b32_e32 v13, v78
	s_mov_b32 s1, 0
	s_delay_alu instid0(VALU_DEP_3)
	v_mov_b32_e32 v81, v80
.LBB37_105:                             ; =>This Inner Loop Header: Depth=1
	scratch_load_b64 v[82:83], v13, off
	ds_load_b64 v[84:85], v11
	s_wait_xcnt 0x0
	v_dual_add_nc_u32 v11, 8, v11 :: v_dual_add_nc_u32 v13, 8, v13
	s_wait_loadcnt_dscnt 0x0
	v_pk_mul_f32 v[86:87], v[84:85], v[82:83] op_sel:[1,1] op_sel_hi:[0,1]
	s_delay_alu instid0(VALU_DEP_1) | instskip(SKIP_2) | instid1(VALU_DEP_3)
	v_pk_fma_f32 v[88:89], v[84:85], v[82:83], v[86:87] op_sel_hi:[1,0,1]
	v_add_nc_u32_e32 v9, 1, v9
	v_pk_fma_f32 v[82:83], v[84:85], v[82:83], v[86:87] neg_lo:[0,0,1] neg_hi:[0,0,1]
	v_mov_b32_e32 v83, v89
	s_delay_alu instid0(VALU_DEP_3) | instskip(NEXT) | instid1(VALU_DEP_2)
	v_cmp_lt_u32_e32 vcc_lo, 21, v9
	v_pk_add_f32 v[80:81], v[80:81], v[82:83]
	s_or_b32 s1, vcc_lo, s1
	s_delay_alu instid0(SALU_CYCLE_1)
	s_and_not1_b32 exec_lo, exec_lo, s1
	s_cbranch_execnz .LBB37_105
; %bb.106:
	s_or_b32 exec_lo, exec_lo, s1
	v_mov_b32_e32 v9, 0
	ds_load_b64 v[82:83], v9 offset:184
	s_wait_dscnt 0x0
	v_pk_mul_f32 v[84:85], v[80:81], v[82:83] op_sel:[1,1] op_sel_hi:[0,1]
	s_delay_alu instid0(VALU_DEP_1) | instskip(SKIP_1) | instid1(VALU_DEP_2)
	v_pk_fma_f32 v[86:87], v[80:81], v[82:83], v[84:85] op_sel_hi:[1,0,1]
	v_pk_fma_f32 v[80:81], v[80:81], v[82:83], v[84:85] neg_lo:[0,0,1] neg_hi:[0,0,1]
	v_mov_b32_e32 v81, v87
	scratch_store_b64 off, v[80:81], off offset:184
.LBB37_107:
	s_wait_xcnt 0x0
	s_or_b32 exec_lo, exec_lo, s0
	s_wait_storecnt 0x0
	s_barrier_signal -1
	s_barrier_wait -1
	scratch_load_b64 v[80:81], off, off offset:192
	;; [unrolled: 52-line block ×15, first 2 shown]
	s_mov_b32 s0, exec_lo
	s_wait_loadcnt 0x0
	ds_store_b64 v1, v[80:81]
	s_wait_dscnt 0x0
	s_barrier_signal -1
	s_barrier_wait -1
	v_cmpx_ne_u32_e32 37, v0
	s_cbranch_execz .LBB37_163
; %bb.160:
	v_dual_mov_b32 v80, 0 :: v_dual_mov_b32 v9, v78
	s_mov_b32 s1, 0
	s_delay_alu instid0(VALU_DEP_1)
	v_mov_b32_e32 v81, v80
.LBB37_161:                             ; =>This Inner Loop Header: Depth=1
	scratch_load_b64 v[78:79], v9, off
	ds_load_b64 v[82:83], v1
	v_add_nc_u32_e32 v1, 8, v1
	s_wait_xcnt 0x0
	v_add_nc_u32_e32 v9, 8, v9
	s_wait_loadcnt_dscnt 0x0
	v_pk_mul_f32 v[84:85], v[82:83], v[78:79] op_sel:[1,1] op_sel_hi:[0,1]
	s_delay_alu instid0(VALU_DEP_1) | instskip(SKIP_2) | instid1(VALU_DEP_3)
	v_pk_fma_f32 v[86:87], v[82:83], v[78:79], v[84:85] op_sel_hi:[1,0,1]
	v_add_nc_u32_e32 v5, 1, v5
	v_pk_fma_f32 v[78:79], v[82:83], v[78:79], v[84:85] neg_lo:[0,0,1] neg_hi:[0,0,1]
	v_mov_b32_e32 v79, v87
	s_delay_alu instid0(VALU_DEP_3) | instskip(NEXT) | instid1(VALU_DEP_2)
	v_cmp_lt_u32_e32 vcc_lo, 35, v5
	v_pk_add_f32 v[80:81], v[80:81], v[78:79]
	s_or_b32 s1, vcc_lo, s1
	s_delay_alu instid0(SALU_CYCLE_1)
	s_and_not1_b32 exec_lo, exec_lo, s1
	s_cbranch_execnz .LBB37_161
; %bb.162:
	s_or_b32 exec_lo, exec_lo, s1
	v_mov_b32_e32 v1, 0
	ds_load_b64 v[78:79], v1 offset:296
	s_wait_dscnt 0x0
	v_pk_mul_f32 v[82:83], v[80:81], v[78:79] op_sel:[1,1] op_sel_hi:[0,1]
	s_delay_alu instid0(VALU_DEP_1) | instskip(SKIP_1) | instid1(VALU_DEP_2)
	v_pk_fma_f32 v[84:85], v[80:81], v[78:79], v[82:83] op_sel_hi:[1,0,1]
	v_pk_fma_f32 v[78:79], v[80:81], v[78:79], v[82:83] neg_lo:[0,0,1] neg_hi:[0,0,1]
	v_mov_b32_e32 v79, v85
	scratch_store_b64 off, v[78:79], off offset:296
.LBB37_163:
	s_wait_xcnt 0x0
	s_or_b32 exec_lo, exec_lo, s0
	s_mov_b32 s1, -1
	s_wait_storecnt 0x0
	s_barrier_signal -1
	s_barrier_wait -1
.LBB37_164:
	s_and_b32 vcc_lo, exec_lo, s1
	s_cbranch_vccz .LBB37_166
; %bb.165:
	v_mov_b32_e32 v1, 0
	s_lshl_b64 s[0:1], s[16:17], 2
	s_delay_alu instid0(SALU_CYCLE_1)
	s_add_nc_u64 s[0:1], s[6:7], s[0:1]
	global_load_b32 v1, v1, s[0:1]
	s_wait_loadcnt 0x0
	v_cmp_ne_u32_e32 vcc_lo, 0, v1
	s_cbranch_vccz .LBB37_167
.LBB37_166:
	s_sendmsg sendmsg(MSG_DEALLOC_VGPRS)
	s_endpgm
.LBB37_167:
	s_wait_xcnt 0x0
	v_lshl_add_u32 v1, v0, 3, 0x130
	s_mov_b32 s0, exec_lo
	v_cmpx_eq_u32_e32 37, v0
	s_cbranch_execz .LBB37_169
; %bb.168:
	scratch_load_b64 v[78:79], off, off offset:288
	v_mov_b64_e32 v[80:81], 0
	scratch_store_b64 off, v[80:81], off offset:288
	s_wait_loadcnt 0x0
	ds_store_b64 v1, v[78:79]
.LBB37_169:
	s_wait_xcnt 0x0
	s_or_b32 exec_lo, exec_lo, s0
	s_wait_storecnt_dscnt 0x0
	s_barrier_signal -1
	s_barrier_wait -1
	s_clause 0x1
	scratch_load_b64 v[78:79], off, off offset:296
	scratch_load_b64 v[80:81], off, off offset:288
	v_mov_b32_e32 v5, 0
	s_mov_b32 s0, exec_lo
	ds_load_b64 v[82:83], v5 offset:600
	s_wait_loadcnt_dscnt 0x100
	v_pk_mul_f32 v[84:85], v[82:83], v[78:79] op_sel:[1,1] op_sel_hi:[0,1]
	s_delay_alu instid0(VALU_DEP_1) | instskip(SKIP_1) | instid1(VALU_DEP_2)
	v_pk_fma_f32 v[86:87], v[82:83], v[78:79], v[84:85] op_sel_hi:[1,0,1]
	v_pk_fma_f32 v[78:79], v[82:83], v[78:79], v[84:85] neg_lo:[0,0,1] neg_hi:[0,0,1]
	v_mov_b32_e32 v79, v87
	s_delay_alu instid0(VALU_DEP_1) | instskip(SKIP_1) | instid1(VALU_DEP_1)
	v_pk_add_f32 v[78:79], v[78:79], 0 op_sel_hi:[1,0]
	s_wait_loadcnt 0x0
	v_pk_add_f32 v[78:79], v[80:81], v[78:79] neg_lo:[0,1] neg_hi:[0,1]
	scratch_store_b64 off, v[78:79], off offset:288
	s_wait_xcnt 0x0
	v_cmpx_lt_u32_e32 35, v0
	s_cbranch_execz .LBB37_171
; %bb.170:
	scratch_load_b64 v[78:79], off, off offset:280
	v_mov_b64_e32 v[80:81], 0
	scratch_store_b64 off, v[80:81], off offset:280
	s_wait_loadcnt 0x0
	ds_store_b64 v1, v[78:79]
.LBB37_171:
	s_wait_xcnt 0x0
	s_or_b32 exec_lo, exec_lo, s0
	s_wait_storecnt_dscnt 0x0
	s_barrier_signal -1
	s_barrier_wait -1
	s_clause 0x1
	scratch_load_b128 v[78:81], off, off offset:288
	scratch_load_b64 v[86:87], off, off offset:280
	ds_load_b128 v[82:85], v5 offset:592
	s_mov_b32 s0, exec_lo
	s_wait_dscnt 0x0
	v_dual_mov_b32 v88, v85 :: v_dual_mov_b32 v89, v84
	s_wait_loadcnt 0x1
	v_pk_mul_f32 v[90:91], v[82:83], v[78:79] op_sel:[1,1] op_sel_hi:[0,1]
	s_delay_alu instid0(VALU_DEP_1) | instskip(SKIP_2) | instid1(VALU_DEP_3)
	v_pk_fma_f32 v[94:95], v[82:83], v[78:79], v[90:91] op_sel_hi:[1,0,1]
	v_mov_b32_e32 v92, v81
	v_pk_fma_f32 v[78:79], v[82:83], v[78:79], v[90:91] neg_lo:[0,0,1] neg_hi:[0,0,1]
	v_mov_b32_e32 v79, v95
	s_delay_alu instid0(VALU_DEP_3) | instskip(NEXT) | instid1(VALU_DEP_2)
	v_pk_mul_f32 v[88:89], v[88:89], v[92:93] op_sel_hi:[1,0]
	v_pk_add_f32 v[78:79], v[78:79], 0 op_sel_hi:[1,0]
	s_delay_alu instid0(VALU_DEP_2) | instskip(SKIP_1) | instid1(VALU_DEP_2)
	v_pk_fma_f32 v[82:83], v[84:85], v[80:81], v[88:89] op_sel_hi:[1,0,1]
	v_pk_fma_f32 v[80:81], v[84:85], v[80:81], v[88:89] neg_lo:[0,0,1] neg_hi:[0,0,1]
	v_mov_b32_e32 v81, v83
	s_delay_alu instid0(VALU_DEP_1) | instskip(SKIP_1) | instid1(VALU_DEP_1)
	v_pk_add_f32 v[78:79], v[78:79], v[80:81]
	s_wait_loadcnt 0x0
	v_pk_add_f32 v[78:79], v[86:87], v[78:79] neg_lo:[0,1] neg_hi:[0,1]
	scratch_store_b64 off, v[78:79], off offset:280
	s_wait_xcnt 0x0
	v_cmpx_lt_u32_e32 34, v0
	s_cbranch_execz .LBB37_173
; %bb.172:
	scratch_load_b64 v[78:79], off, off offset:272
	v_mov_b64_e32 v[80:81], 0
	scratch_store_b64 off, v[80:81], off offset:272
	s_wait_loadcnt 0x0
	ds_store_b64 v1, v[78:79]
.LBB37_173:
	s_wait_xcnt 0x0
	s_or_b32 exec_lo, exec_lo, s0
	s_wait_storecnt_dscnt 0x0
	s_barrier_signal -1
	s_barrier_wait -1
	s_clause 0x2
	scratch_load_b128 v[78:81], off, off offset:280
	scratch_load_b64 v[86:87], off, off offset:296
	scratch_load_b64 v[88:89], off, off offset:272
	v_mov_b32_e32 v5, 0
	ds_load_2addr_b64 v[82:85], v5 offset0:73 offset1:74
	ds_load_b64 v[90:91], v5 offset:600
	s_mov_b32 s0, exec_lo
	s_wait_dscnt 0x1
	v_dual_mov_b32 v92, v85 :: v_dual_mov_b32 v93, v84
	s_wait_loadcnt 0x2
	v_mov_b32_e32 v96, v81
	v_pk_mul_f32 v[94:95], v[82:83], v[78:79] op_sel:[1,1] op_sel_hi:[0,1]
	s_delay_alu instid0(VALU_DEP_2) | instskip(NEXT) | instid1(VALU_DEP_2)
	v_pk_mul_f32 v[92:93], v[92:93], v[96:97] op_sel_hi:[1,0]
	v_pk_fma_f32 v[98:99], v[82:83], v[78:79], v[94:95] op_sel_hi:[1,0,1]
	v_pk_fma_f32 v[78:79], v[82:83], v[78:79], v[94:95] neg_lo:[0,0,1] neg_hi:[0,0,1]
	s_wait_loadcnt_dscnt 0x100
	v_pk_mul_f32 v[94:95], v[90:91], v[86:87] op_sel:[1,1] op_sel_hi:[0,1]
	v_pk_fma_f32 v[82:83], v[84:85], v[80:81], v[92:93] op_sel_hi:[1,0,1]
	v_mov_b32_e32 v79, v99
	v_pk_fma_f32 v[80:81], v[84:85], v[80:81], v[92:93] neg_lo:[0,0,1] neg_hi:[0,0,1]
	s_delay_alu instid0(VALU_DEP_4) | instskip(NEXT) | instid1(VALU_DEP_4)
	v_pk_fma_f32 v[84:85], v[90:91], v[86:87], v[94:95] neg_lo:[0,0,1] neg_hi:[0,0,1]
	v_mov_b32_e32 v81, v83
	s_delay_alu instid0(VALU_DEP_4) | instskip(SKIP_1) | instid1(VALU_DEP_2)
	v_pk_add_f32 v[78:79], v[78:79], 0 op_sel_hi:[1,0]
	v_pk_fma_f32 v[82:83], v[90:91], v[86:87], v[94:95] op_sel_hi:[1,0,1]
	v_pk_add_f32 v[78:79], v[78:79], v[80:81]
	s_delay_alu instid0(VALU_DEP_2) | instskip(NEXT) | instid1(VALU_DEP_1)
	v_mov_b32_e32 v85, v83
	v_pk_add_f32 v[78:79], v[78:79], v[84:85]
	s_wait_loadcnt 0x0
	s_delay_alu instid0(VALU_DEP_1)
	v_pk_add_f32 v[78:79], v[88:89], v[78:79] neg_lo:[0,1] neg_hi:[0,1]
	scratch_store_b64 off, v[78:79], off offset:272
	s_wait_xcnt 0x0
	v_cmpx_lt_u32_e32 33, v0
	s_cbranch_execz .LBB37_175
; %bb.174:
	scratch_load_b64 v[78:79], off, off offset:264
	v_mov_b64_e32 v[80:81], 0
	scratch_store_b64 off, v[80:81], off offset:264
	s_wait_loadcnt 0x0
	ds_store_b64 v1, v[78:79]
.LBB37_175:
	s_wait_xcnt 0x0
	s_or_b32 exec_lo, exec_lo, s0
	s_wait_storecnt_dscnt 0x0
	s_barrier_signal -1
	s_barrier_wait -1
	s_clause 0x2
	scratch_load_b128 v[78:81], off, off offset:272
	scratch_load_b128 v[82:85], off, off offset:288
	scratch_load_b64 v[94:95], off, off offset:264
	ds_load_b128 v[86:89], v5 offset:576
	ds_load_b128 v[90:93], v5 offset:592
	s_mov_b32 s0, exec_lo
	s_wait_dscnt 0x1
	v_dual_mov_b32 v96, v89 :: v_dual_mov_b32 v97, v88
	s_wait_loadcnt_dscnt 0x200
	v_dual_mov_b32 v102, v93 :: v_dual_mov_b32 v100, v81
	v_pk_mul_f32 v[98:99], v[86:87], v[78:79] op_sel:[1,1] op_sel_hi:[0,1]
	s_delay_alu instid0(VALU_DEP_2) | instskip(NEXT) | instid1(VALU_DEP_2)
	v_pk_mul_f32 v[96:97], v[96:97], v[100:101] op_sel_hi:[1,0]
	v_pk_fma_f32 v[104:105], v[86:87], v[78:79], v[98:99] op_sel_hi:[1,0,1]
	v_pk_fma_f32 v[78:79], v[86:87], v[78:79], v[98:99] neg_lo:[0,0,1] neg_hi:[0,0,1]
	v_mov_b32_e32 v103, v92
	s_wait_loadcnt 0x1
	v_pk_mul_f32 v[100:101], v[90:91], v[82:83] op_sel:[1,1] op_sel_hi:[0,1]
	v_pk_fma_f32 v[86:87], v[88:89], v[80:81], v[96:97] op_sel_hi:[1,0,1]
	v_dual_mov_b32 v79, v105 :: v_dual_mov_b32 v86, v85
	v_pk_fma_f32 v[80:81], v[88:89], v[80:81], v[96:97] neg_lo:[0,0,1] neg_hi:[0,0,1]
	s_delay_alu instid0(VALU_DEP_4) | instskip(NEXT) | instid1(VALU_DEP_4)
	v_pk_fma_f32 v[98:99], v[90:91], v[82:83], v[100:101] op_sel_hi:[1,0,1]
	v_mov_b32_e32 v81, v87
	s_delay_alu instid0(VALU_DEP_4) | instskip(SKIP_2) | instid1(VALU_DEP_3)
	v_pk_add_f32 v[78:79], v[78:79], 0 op_sel_hi:[1,0]
	v_pk_mul_f32 v[86:87], v[102:103], v[86:87] op_sel_hi:[1,0]
	v_pk_fma_f32 v[82:83], v[90:91], v[82:83], v[100:101] neg_lo:[0,0,1] neg_hi:[0,0,1]
	v_pk_add_f32 v[78:79], v[78:79], v[80:81]
	s_delay_alu instid0(VALU_DEP_3) | instskip(SKIP_2) | instid1(VALU_DEP_3)
	v_pk_fma_f32 v[80:81], v[92:93], v[84:85], v[86:87] op_sel_hi:[1,0,1]
	v_mov_b32_e32 v83, v99
	v_pk_fma_f32 v[84:85], v[92:93], v[84:85], v[86:87] neg_lo:[0,0,1] neg_hi:[0,0,1]
	v_mov_b32_e32 v85, v81
	s_delay_alu instid0(VALU_DEP_3) | instskip(NEXT) | instid1(VALU_DEP_1)
	v_pk_add_f32 v[78:79], v[78:79], v[82:83]
	v_pk_add_f32 v[78:79], v[78:79], v[84:85]
	s_wait_loadcnt 0x0
	s_delay_alu instid0(VALU_DEP_1)
	v_pk_add_f32 v[78:79], v[94:95], v[78:79] neg_lo:[0,1] neg_hi:[0,1]
	scratch_store_b64 off, v[78:79], off offset:264
	s_wait_xcnt 0x0
	v_cmpx_lt_u32_e32 32, v0
	s_cbranch_execz .LBB37_177
; %bb.176:
	scratch_load_b64 v[78:79], off, off offset:256
	v_mov_b64_e32 v[80:81], 0
	scratch_store_b64 off, v[80:81], off offset:256
	s_wait_loadcnt 0x0
	ds_store_b64 v1, v[78:79]
.LBB37_177:
	s_wait_xcnt 0x0
	s_or_b32 exec_lo, exec_lo, s0
	s_wait_storecnt_dscnt 0x0
	s_barrier_signal -1
	s_barrier_wait -1
	s_clause 0x3
	scratch_load_b128 v[78:81], off, off offset:264
	scratch_load_b128 v[82:85], off, off offset:280
	scratch_load_b64 v[94:95], off, off offset:296
	scratch_load_b64 v[96:97], off, off offset:256
	v_mov_b32_e32 v5, 0
	ds_load_2addr_b64 v[86:89], v5 offset0:71 offset1:72
	ds_load_2addr_b64 v[90:93], v5 offset0:73 offset1:74
	s_mov_b32 s0, exec_lo
	s_wait_dscnt 0x1
	v_dual_mov_b32 v98, v89 :: v_dual_mov_b32 v99, v88
	ds_load_b64 v[104:105], v5 offset:600
	s_wait_dscnt 0x1
	v_dual_mov_b32 v106, v93 :: v_dual_mov_b32 v107, v92
	s_wait_loadcnt 0x3
	v_pk_mul_f32 v[100:101], v[86:87], v[78:79] op_sel:[1,1] op_sel_hi:[0,1]
	v_mov_b32_e32 v102, v81
	s_delay_alu instid0(VALU_DEP_2) | instskip(NEXT) | instid1(VALU_DEP_2)
	v_pk_fma_f32 v[108:109], v[86:87], v[78:79], v[100:101] op_sel_hi:[1,0,1]
	v_pk_mul_f32 v[98:99], v[98:99], v[102:103] op_sel_hi:[1,0]
	v_pk_fma_f32 v[78:79], v[86:87], v[78:79], v[100:101] neg_lo:[0,0,1] neg_hi:[0,0,1]
	s_wait_loadcnt 0x2
	v_pk_mul_f32 v[102:103], v[90:91], v[82:83] op_sel:[1,1] op_sel_hi:[0,1]
	v_dual_mov_b32 v108, v85 :: v_dual_mov_b32 v79, v109
	v_pk_fma_f32 v[86:87], v[88:89], v[80:81], v[98:99] op_sel_hi:[1,0,1]
	v_pk_fma_f32 v[80:81], v[88:89], v[80:81], v[98:99] neg_lo:[0,0,1] neg_hi:[0,0,1]
	s_delay_alu instid0(VALU_DEP_4) | instskip(NEXT) | instid1(VALU_DEP_4)
	v_pk_fma_f32 v[100:101], v[90:91], v[82:83], v[102:103] op_sel_hi:[1,0,1]
	v_pk_mul_f32 v[106:107], v[106:107], v[108:109] op_sel_hi:[1,0]
	v_pk_add_f32 v[78:79], v[78:79], 0 op_sel_hi:[1,0]
	v_mov_b32_e32 v81, v87
	v_pk_fma_f32 v[82:83], v[90:91], v[82:83], v[102:103] neg_lo:[0,0,1] neg_hi:[0,0,1]
	v_mov_b32_e32 v83, v101
	v_pk_fma_f32 v[86:87], v[92:93], v[84:85], v[106:107] op_sel_hi:[1,0,1]
	v_pk_fma_f32 v[84:85], v[92:93], v[84:85], v[106:107] neg_lo:[0,0,1] neg_hi:[0,0,1]
	v_pk_add_f32 v[78:79], v[78:79], v[80:81]
	s_wait_loadcnt_dscnt 0x100
	v_pk_mul_f32 v[80:81], v[104:105], v[94:95] op_sel:[1,1] op_sel_hi:[0,1]
	s_delay_alu instid0(VALU_DEP_2) | instskip(NEXT) | instid1(VALU_DEP_2)
	v_pk_add_f32 v[78:79], v[78:79], v[82:83]
	v_pk_fma_f32 v[82:83], v[104:105], v[94:95], v[80:81] op_sel_hi:[1,0,1]
	v_mov_b32_e32 v85, v87
	v_pk_fma_f32 v[80:81], v[104:105], v[94:95], v[80:81] neg_lo:[0,0,1] neg_hi:[0,0,1]
	s_delay_alu instid0(VALU_DEP_3) | instskip(NEXT) | instid1(VALU_DEP_3)
	v_mov_b32_e32 v81, v83
	v_pk_add_f32 v[78:79], v[78:79], v[84:85]
	s_delay_alu instid0(VALU_DEP_1) | instskip(SKIP_1) | instid1(VALU_DEP_1)
	v_pk_add_f32 v[78:79], v[78:79], v[80:81]
	s_wait_loadcnt 0x0
	v_pk_add_f32 v[78:79], v[96:97], v[78:79] neg_lo:[0,1] neg_hi:[0,1]
	scratch_store_b64 off, v[78:79], off offset:256
	s_wait_xcnt 0x0
	v_cmpx_lt_u32_e32 31, v0
	s_cbranch_execz .LBB37_179
; %bb.178:
	scratch_load_b64 v[78:79], off, off offset:248
	v_mov_b64_e32 v[80:81], 0
	scratch_store_b64 off, v[80:81], off offset:248
	s_wait_loadcnt 0x0
	ds_store_b64 v1, v[78:79]
.LBB37_179:
	s_wait_xcnt 0x0
	s_or_b32 exec_lo, exec_lo, s0
	s_wait_storecnt_dscnt 0x0
	s_barrier_signal -1
	s_barrier_wait -1
	s_clause 0x3
	scratch_load_b128 v[78:81], off, off offset:256
	scratch_load_b128 v[82:85], off, off offset:272
	;; [unrolled: 1-line block ×3, first 2 shown]
	scratch_load_b64 v[102:103], off, off offset:248
	ds_load_b128 v[90:93], v5 offset:560
	ds_load_b128 v[94:97], v5 offset:576
	;; [unrolled: 1-line block ×3, first 2 shown]
	s_mov_b32 s0, exec_lo
	s_wait_dscnt 0x2
	v_dual_mov_b32 v104, v93 :: v_dual_mov_b32 v105, v92
	s_wait_dscnt 0x1
	v_dual_mov_b32 v106, v97 :: v_dual_mov_b32 v107, v96
	;; [unrolled: 2-line block ×3, first 2 shown]
	s_wait_loadcnt 0x3
	v_pk_mul_f32 v[108:109], v[90:91], v[78:79] op_sel:[1,1] op_sel_hi:[0,1]
	v_mov_b32_e32 v110, v81
	s_delay_alu instid0(VALU_DEP_2) | instskip(NEXT) | instid1(VALU_DEP_2)
	v_pk_fma_f32 v[114:115], v[90:91], v[78:79], v[108:109] op_sel_hi:[1,0,1]
	v_pk_mul_f32 v[104:105], v[104:105], v[110:111] op_sel_hi:[1,0]
	v_pk_fma_f32 v[78:79], v[90:91], v[78:79], v[108:109] neg_lo:[0,0,1] neg_hi:[0,0,1]
	s_wait_loadcnt 0x2
	v_pk_mul_f32 v[110:111], v[94:95], v[82:83] op_sel:[1,1] op_sel_hi:[0,1]
	v_mov_b32_e32 v114, v85
	v_pk_fma_f32 v[90:91], v[92:93], v[80:81], v[104:105] op_sel_hi:[1,0,1]
	v_mov_b32_e32 v79, v115
	v_pk_fma_f32 v[80:81], v[92:93], v[80:81], v[104:105] neg_lo:[0,0,1] neg_hi:[0,0,1]
	v_pk_fma_f32 v[108:109], v[94:95], v[82:83], v[110:111] op_sel_hi:[1,0,1]
	v_pk_mul_f32 v[106:107], v[106:107], v[114:115] op_sel_hi:[1,0]
	v_mov_b32_e32 v81, v91
	v_pk_add_f32 v[78:79], v[78:79], 0 op_sel_hi:[1,0]
	v_pk_fma_f32 v[82:83], v[94:95], v[82:83], v[110:111] neg_lo:[0,0,1] neg_hi:[0,0,1]
	s_wait_loadcnt 0x1
	v_pk_mul_f32 v[90:91], v[98:99], v[86:87] op_sel:[1,1] op_sel_hi:[0,1]
	v_mov_b32_e32 v83, v109
	v_pk_fma_f32 v[92:93], v[96:97], v[84:85], v[106:107] op_sel_hi:[1,0,1]
	v_pk_add_f32 v[78:79], v[78:79], v[80:81]
	v_mov_b32_e32 v80, v89
	v_pk_fma_f32 v[84:85], v[96:97], v[84:85], v[106:107] neg_lo:[0,0,1] neg_hi:[0,0,1]
	v_pk_fma_f32 v[94:95], v[98:99], v[86:87], v[90:91] op_sel_hi:[1,0,1]
	v_mov_b32_e32 v85, v93
	v_pk_add_f32 v[78:79], v[78:79], v[82:83]
	v_pk_mul_f32 v[80:81], v[112:113], v[80:81] op_sel_hi:[1,0]
	v_pk_fma_f32 v[82:83], v[98:99], v[86:87], v[90:91] neg_lo:[0,0,1] neg_hi:[0,0,1]
	v_mov_b32_e32 v83, v95
	s_delay_alu instid0(VALU_DEP_4) | instskip(NEXT) | instid1(VALU_DEP_4)
	v_pk_add_f32 v[78:79], v[78:79], v[84:85]
	v_pk_fma_f32 v[84:85], v[100:101], v[88:89], v[80:81] op_sel_hi:[1,0,1]
	v_pk_fma_f32 v[80:81], v[100:101], v[88:89], v[80:81] neg_lo:[0,0,1] neg_hi:[0,0,1]
	s_delay_alu instid0(VALU_DEP_3) | instskip(NEXT) | instid1(VALU_DEP_3)
	v_pk_add_f32 v[78:79], v[78:79], v[82:83]
	v_mov_b32_e32 v81, v85
	s_delay_alu instid0(VALU_DEP_1) | instskip(SKIP_1) | instid1(VALU_DEP_1)
	v_pk_add_f32 v[78:79], v[78:79], v[80:81]
	s_wait_loadcnt 0x0
	v_pk_add_f32 v[78:79], v[102:103], v[78:79] neg_lo:[0,1] neg_hi:[0,1]
	scratch_store_b64 off, v[78:79], off offset:248
	s_wait_xcnt 0x0
	v_cmpx_lt_u32_e32 30, v0
	s_cbranch_execz .LBB37_181
; %bb.180:
	scratch_load_b64 v[78:79], off, off offset:240
	v_mov_b64_e32 v[80:81], 0
	scratch_store_b64 off, v[80:81], off offset:240
	s_wait_loadcnt 0x0
	ds_store_b64 v1, v[78:79]
.LBB37_181:
	s_wait_xcnt 0x0
	s_or_b32 exec_lo, exec_lo, s0
	s_wait_storecnt_dscnt 0x0
	s_barrier_signal -1
	s_barrier_wait -1
	s_clause 0x4
	scratch_load_b128 v[78:81], off, off offset:248
	scratch_load_b128 v[82:85], off, off offset:264
	;; [unrolled: 1-line block ×3, first 2 shown]
	scratch_load_b64 v[102:103], off, off offset:296
	scratch_load_b64 v[104:105], off, off offset:240
	v_mov_b32_e32 v5, 0
	ds_load_2addr_b64 v[90:93], v5 offset0:69 offset1:70
	ds_load_2addr_b64 v[94:97], v5 offset0:71 offset1:72
	;; [unrolled: 1-line block ×3, first 2 shown]
	ds_load_b64 v[106:107], v5 offset:600
	s_mov_b32 s0, exec_lo
	s_wait_dscnt 0x3
	v_dual_mov_b32 v108, v93 :: v_dual_mov_b32 v109, v92
	s_wait_dscnt 0x2
	v_dual_mov_b32 v110, v97 :: v_dual_mov_b32 v111, v96
	;; [unrolled: 2-line block ×3, first 2 shown]
	s_wait_loadcnt 0x4
	v_pk_mul_f32 v[112:113], v[90:91], v[78:79] op_sel:[1,1] op_sel_hi:[0,1]
	v_mov_b32_e32 v114, v81
	s_wait_loadcnt 0x3
	v_pk_mul_f32 v[118:119], v[94:95], v[82:83] op_sel:[1,1] op_sel_hi:[0,1]
	s_wait_loadcnt 0x2
	v_pk_mul_f32 v[122:123], v[98:99], v[86:87] op_sel:[1,1] op_sel_hi:[0,1]
	v_pk_fma_f32 v[120:121], v[90:91], v[78:79], v[112:113] op_sel_hi:[1,0,1]
	v_pk_mul_f32 v[108:109], v[108:109], v[114:115] op_sel_hi:[1,0]
	v_pk_fma_f32 v[78:79], v[90:91], v[78:79], v[112:113] neg_lo:[0,0,1] neg_hi:[0,0,1]
	v_mov_b32_e32 v114, v85
	v_pk_fma_f32 v[112:113], v[94:95], v[82:83], v[118:119] op_sel_hi:[1,0,1]
	v_mov_b32_e32 v79, v121
	v_pk_fma_f32 v[90:91], v[92:93], v[80:81], v[108:109] op_sel_hi:[1,0,1]
	v_pk_fma_f32 v[80:81], v[92:93], v[80:81], v[108:109] neg_lo:[0,0,1] neg_hi:[0,0,1]
	v_pk_mul_f32 v[110:111], v[110:111], v[114:115] op_sel_hi:[1,0]
	v_pk_fma_f32 v[82:83], v[94:95], v[82:83], v[118:119] neg_lo:[0,0,1] neg_hi:[0,0,1]
	v_pk_add_f32 v[78:79], v[78:79], 0 op_sel_hi:[1,0]
	v_dual_mov_b32 v81, v91 :: v_dual_mov_b32 v90, v89
	s_delay_alu instid0(VALU_DEP_4) | instskip(SKIP_2) | instid1(VALU_DEP_4)
	v_pk_fma_f32 v[92:93], v[96:97], v[84:85], v[110:111] op_sel_hi:[1,0,1]
	v_mov_b32_e32 v83, v113
	v_pk_fma_f32 v[84:85], v[96:97], v[84:85], v[110:111] neg_lo:[0,0,1] neg_hi:[0,0,1]
	v_pk_add_f32 v[78:79], v[78:79], v[80:81]
	v_pk_fma_f32 v[80:81], v[98:99], v[86:87], v[122:123] op_sel_hi:[1,0,1]
	v_pk_mul_f32 v[90:91], v[116:117], v[90:91] op_sel_hi:[1,0]
	v_mov_b32_e32 v85, v93
	s_delay_alu instid0(VALU_DEP_4)
	v_pk_add_f32 v[78:79], v[78:79], v[82:83]
	v_pk_fma_f32 v[82:83], v[98:99], v[86:87], v[122:123] neg_lo:[0,0,1] neg_hi:[0,0,1]
	v_mov_b32_e32 v83, v81
	v_pk_fma_f32 v[80:81], v[100:101], v[88:89], v[90:91] op_sel_hi:[1,0,1]
	v_pk_fma_f32 v[86:87], v[100:101], v[88:89], v[90:91] neg_lo:[0,0,1] neg_hi:[0,0,1]
	v_pk_add_f32 v[78:79], v[78:79], v[84:85]
	s_wait_loadcnt_dscnt 0x100
	v_pk_mul_f32 v[84:85], v[106:107], v[102:103] op_sel:[1,1] op_sel_hi:[0,1]
	v_mov_b32_e32 v87, v81
	s_delay_alu instid0(VALU_DEP_3) | instskip(NEXT) | instid1(VALU_DEP_3)
	v_pk_add_f32 v[78:79], v[78:79], v[82:83]
	v_pk_fma_f32 v[80:81], v[106:107], v[102:103], v[84:85] op_sel_hi:[1,0,1]
	v_pk_fma_f32 v[82:83], v[106:107], v[102:103], v[84:85] neg_lo:[0,0,1] neg_hi:[0,0,1]
	s_delay_alu instid0(VALU_DEP_3) | instskip(NEXT) | instid1(VALU_DEP_3)
	v_pk_add_f32 v[78:79], v[78:79], v[86:87]
	v_mov_b32_e32 v83, v81
	s_delay_alu instid0(VALU_DEP_1) | instskip(SKIP_1) | instid1(VALU_DEP_1)
	v_pk_add_f32 v[78:79], v[78:79], v[82:83]
	s_wait_loadcnt 0x0
	v_pk_add_f32 v[78:79], v[104:105], v[78:79] neg_lo:[0,1] neg_hi:[0,1]
	scratch_store_b64 off, v[78:79], off offset:240
	s_wait_xcnt 0x0
	v_cmpx_lt_u32_e32 29, v0
	s_cbranch_execz .LBB37_183
; %bb.182:
	scratch_load_b64 v[78:79], off, off offset:232
	v_mov_b64_e32 v[80:81], 0
	scratch_store_b64 off, v[80:81], off offset:232
	s_wait_loadcnt 0x0
	ds_store_b64 v1, v[78:79]
.LBB37_183:
	s_wait_xcnt 0x0
	s_or_b32 exec_lo, exec_lo, s0
	s_wait_storecnt_dscnt 0x0
	s_barrier_signal -1
	s_barrier_wait -1
	s_clause 0x4
	scratch_load_b128 v[78:81], off, off offset:240
	scratch_load_b128 v[82:85], off, off offset:256
	;; [unrolled: 1-line block ×4, first 2 shown]
	scratch_load_b64 v[110:111], off, off offset:232
	ds_load_b128 v[94:97], v5 offset:544
	ds_load_b128 v[98:101], v5 offset:560
	;; [unrolled: 1-line block ×4, first 2 shown]
	s_mov_b32 s0, exec_lo
	s_wait_dscnt 0x3
	v_dual_mov_b32 v112, v97 :: v_dual_mov_b32 v113, v96
	s_wait_dscnt 0x2
	v_dual_mov_b32 v114, v101 :: v_dual_mov_b32 v115, v100
	;; [unrolled: 2-line block ×3, first 2 shown]
	v_dual_mov_b32 v117, v104 :: v_dual_mov_b32 v122, v109
	s_wait_loadcnt 0x4
	v_mov_b32_e32 v120, v81
	v_pk_mul_f32 v[118:119], v[94:95], v[78:79] op_sel:[1,1] op_sel_hi:[0,1]
	s_wait_loadcnt 0x3
	v_pk_mul_f32 v[124:125], v[98:99], v[82:83] op_sel:[1,1] op_sel_hi:[0,1]
	s_wait_loadcnt 0x2
	v_pk_mul_f32 v[128:129], v[102:103], v[86:87] op_sel:[1,1] op_sel_hi:[0,1]
	v_pk_mul_f32 v[112:113], v[112:113], v[120:121] op_sel_hi:[1,0]
	v_pk_fma_f32 v[126:127], v[94:95], v[78:79], v[118:119] op_sel_hi:[1,0,1]
	v_pk_fma_f32 v[78:79], v[94:95], v[78:79], v[118:119] neg_lo:[0,0,1] neg_hi:[0,0,1]
	v_mov_b32_e32 v120, v85
	v_pk_fma_f32 v[118:119], v[98:99], v[82:83], v[124:125] op_sel_hi:[1,0,1]
	v_pk_fma_f32 v[94:95], v[96:97], v[80:81], v[112:113] op_sel_hi:[1,0,1]
	v_mov_b32_e32 v79, v127
	v_pk_fma_f32 v[80:81], v[96:97], v[80:81], v[112:113] neg_lo:[0,0,1] neg_hi:[0,0,1]
	v_pk_mul_f32 v[114:115], v[114:115], v[120:121] op_sel_hi:[1,0]
	s_delay_alu instid0(VALU_DEP_4) | instskip(NEXT) | instid1(VALU_DEP_4)
	v_dual_mov_b32 v94, v89 :: v_dual_mov_b32 v81, v95
	v_pk_add_f32 v[78:79], v[78:79], 0 op_sel_hi:[1,0]
	v_pk_fma_f32 v[82:83], v[98:99], v[82:83], v[124:125] neg_lo:[0,0,1] neg_hi:[0,0,1]
	v_mov_b32_e32 v83, v119
	v_pk_fma_f32 v[96:97], v[100:101], v[84:85], v[114:115] op_sel_hi:[1,0,1]
	v_pk_mul_f32 v[94:95], v[116:117], v[94:95] op_sel_hi:[1,0]
	v_pk_add_f32 v[78:79], v[78:79], v[80:81]
	v_pk_fma_f32 v[80:81], v[102:103], v[86:87], v[128:129] op_sel_hi:[1,0,1]
	v_pk_fma_f32 v[84:85], v[100:101], v[84:85], v[114:115] neg_lo:[0,0,1] neg_hi:[0,0,1]
	v_mov_b32_e32 v85, v97
	v_pk_fma_f32 v[86:87], v[102:103], v[86:87], v[128:129] neg_lo:[0,0,1] neg_hi:[0,0,1]
	v_pk_add_f32 v[78:79], v[78:79], v[82:83]
	v_mov_b32_e32 v87, v81
	v_pk_fma_f32 v[80:81], v[104:105], v[88:89], v[94:95] op_sel_hi:[1,0,1]
	s_wait_loadcnt 0x1
	v_pk_mul_f32 v[82:83], v[106:107], v[90:91] op_sel:[1,1] op_sel_hi:[0,1]
	v_mov_b32_e32 v80, v93
	v_pk_add_f32 v[78:79], v[78:79], v[84:85]
	v_pk_fma_f32 v[88:89], v[104:105], v[88:89], v[94:95] neg_lo:[0,0,1] neg_hi:[0,0,1]
	v_mov_b32_e32 v89, v81
	v_pk_fma_f32 v[84:85], v[106:107], v[90:91], v[82:83] op_sel_hi:[1,0,1]
	v_pk_mul_f32 v[80:81], v[122:123], v[80:81] op_sel_hi:[1,0]
	v_pk_add_f32 v[78:79], v[78:79], v[86:87]
	v_pk_fma_f32 v[82:83], v[106:107], v[90:91], v[82:83] neg_lo:[0,0,1] neg_hi:[0,0,1]
	s_delay_alu instid0(VALU_DEP_4) | instskip(NEXT) | instid1(VALU_DEP_4)
	v_mov_b32_e32 v83, v85
	v_pk_fma_f32 v[84:85], v[108:109], v[92:93], v[80:81] op_sel_hi:[1,0,1]
	s_delay_alu instid0(VALU_DEP_4) | instskip(SKIP_1) | instid1(VALU_DEP_3)
	v_pk_add_f32 v[78:79], v[78:79], v[88:89]
	v_pk_fma_f32 v[80:81], v[108:109], v[92:93], v[80:81] neg_lo:[0,0,1] neg_hi:[0,0,1]
	v_mov_b32_e32 v81, v85
	s_delay_alu instid0(VALU_DEP_3) | instskip(NEXT) | instid1(VALU_DEP_1)
	v_pk_add_f32 v[78:79], v[78:79], v[82:83]
	v_pk_add_f32 v[78:79], v[78:79], v[80:81]
	s_wait_loadcnt 0x0
	s_delay_alu instid0(VALU_DEP_1)
	v_pk_add_f32 v[78:79], v[110:111], v[78:79] neg_lo:[0,1] neg_hi:[0,1]
	scratch_store_b64 off, v[78:79], off offset:232
	s_wait_xcnt 0x0
	v_cmpx_lt_u32_e32 28, v0
	s_cbranch_execz .LBB37_185
; %bb.184:
	scratch_load_b64 v[78:79], off, off offset:224
	v_mov_b64_e32 v[80:81], 0
	scratch_store_b64 off, v[80:81], off offset:224
	s_wait_loadcnt 0x0
	ds_store_b64 v1, v[78:79]
.LBB37_185:
	s_wait_xcnt 0x0
	s_or_b32 exec_lo, exec_lo, s0
	s_wait_storecnt_dscnt 0x0
	s_barrier_signal -1
	s_barrier_wait -1
	s_clause 0x5
	scratch_load_b128 v[78:81], off, off offset:232
	scratch_load_b128 v[82:85], off, off offset:248
	;; [unrolled: 1-line block ×4, first 2 shown]
	scratch_load_b64 v[110:111], off, off offset:296
	scratch_load_b64 v[112:113], off, off offset:224
	v_mov_b32_e32 v5, 0
	ds_load_2addr_b64 v[94:97], v5 offset0:67 offset1:68
	ds_load_2addr_b64 v[98:101], v5 offset0:69 offset1:70
	;; [unrolled: 1-line block ×4, first 2 shown]
	ds_load_b64 v[114:115], v5 offset:600
	s_mov_b32 s0, exec_lo
	s_wait_dscnt 0x4
	v_dual_mov_b32 v116, v97 :: v_dual_mov_b32 v117, v96
	s_wait_dscnt 0x1
	v_dual_mov_b32 v118, v101 :: v_dual_mov_b32 v123, v108
	v_dual_mov_b32 v119, v100 :: v_dual_mov_b32 v120, v105
	;; [unrolled: 1-line block ×3, first 2 shown]
	s_wait_loadcnt 0x5
	v_dual_mov_b32 v124, v81 :: v_dual_mul_f32 v125, v94, v79
	v_mul_f32_e32 v9, v95, v79
	s_wait_loadcnt 0x4
	v_pk_mul_f32 v[126:127], v[98:99], v[82:83] op_sel:[1,1] op_sel_hi:[0,1]
	v_mov_b32_e32 v128, v85
	s_wait_loadcnt 0x3
	v_pk_mul_f32 v[130:131], v[102:103], v[86:87] op_sel:[1,1] op_sel_hi:[0,1]
	v_pk_mul_f32 v[116:117], v[116:117], v[124:125] op_sel_hi:[1,0]
	v_fmac_f32_e32 v125, v95, v78
	v_dual_fma_f32 v124, v94, v78, -v9 :: v_dual_mov_b32 v78, v89
	v_pk_fma_f32 v[132:133], v[98:99], v[82:83], v[126:127] op_sel_hi:[1,0,1]
	s_delay_alu instid0(VALU_DEP_4)
	v_pk_fma_f32 v[94:95], v[96:97], v[80:81], v[116:117] op_sel_hi:[1,0,1]
	v_pk_fma_f32 v[80:81], v[96:97], v[80:81], v[116:117] neg_lo:[0,0,1] neg_hi:[0,0,1]
	v_pk_mul_f32 v[118:119], v[118:119], v[128:129] op_sel_hi:[1,0]
	v_pk_add_f32 v[124:125], v[124:125], 0 op_sel_hi:[1,0]
	v_pk_fma_f32 v[82:83], v[98:99], v[82:83], v[126:127] neg_lo:[0,0,1] neg_hi:[0,0,1]
	v_dual_mov_b32 v81, v95 :: v_dual_mov_b32 v83, v133
	s_delay_alu instid0(VALU_DEP_4) | instskip(SKIP_2) | instid1(VALU_DEP_4)
	v_pk_fma_f32 v[96:97], v[100:101], v[84:85], v[118:119] op_sel_hi:[1,0,1]
	v_pk_fma_f32 v[84:85], v[100:101], v[84:85], v[118:119] neg_lo:[0,0,1] neg_hi:[0,0,1]
	v_pk_fma_f32 v[98:99], v[102:103], v[86:87], v[130:131] op_sel_hi:[1,0,1]
	v_pk_add_f32 v[80:81], v[124:125], v[80:81]
	v_pk_mul_f32 v[78:79], v[120:121], v[78:79] op_sel_hi:[1,0]
	v_mov_b32_e32 v85, v97
	v_pk_fma_f32 v[86:87], v[102:103], v[86:87], v[130:131] neg_lo:[0,0,1] neg_hi:[0,0,1]
	s_wait_loadcnt 0x2
	v_pk_mul_f32 v[94:95], v[106:107], v[90:91] op_sel:[1,1] op_sel_hi:[0,1]
	v_pk_add_f32 v[80:81], v[80:81], v[82:83]
	v_mov_b32_e32 v82, v93
	v_pk_fma_f32 v[96:97], v[104:105], v[88:89], v[78:79] op_sel_hi:[1,0,1]
	v_mov_b32_e32 v87, v99
	v_pk_fma_f32 v[78:79], v[104:105], v[88:89], v[78:79] neg_lo:[0,0,1] neg_hi:[0,0,1]
	v_pk_add_f32 v[80:81], v[80:81], v[84:85]
	v_pk_fma_f32 v[84:85], v[106:107], v[90:91], v[94:95] op_sel_hi:[1,0,1]
	v_pk_mul_f32 v[82:83], v[122:123], v[82:83] op_sel_hi:[1,0]
	v_mov_b32_e32 v79, v97
	s_delay_alu instid0(VALU_DEP_4)
	v_pk_add_f32 v[80:81], v[80:81], v[86:87]
	v_pk_fma_f32 v[86:87], v[106:107], v[90:91], v[94:95] neg_lo:[0,0,1] neg_hi:[0,0,1]
	v_mov_b32_e32 v87, v85
	v_pk_fma_f32 v[84:85], v[108:109], v[92:93], v[82:83] op_sel_hi:[1,0,1]
	v_pk_fma_f32 v[82:83], v[108:109], v[92:93], v[82:83] neg_lo:[0,0,1] neg_hi:[0,0,1]
	v_pk_add_f32 v[78:79], v[80:81], v[78:79]
	s_wait_loadcnt_dscnt 0x100
	v_pk_mul_f32 v[80:81], v[114:115], v[110:111] op_sel:[1,1] op_sel_hi:[0,1]
	v_mov_b32_e32 v83, v85
	s_delay_alu instid0(VALU_DEP_3) | instskip(NEXT) | instid1(VALU_DEP_3)
	v_pk_add_f32 v[78:79], v[78:79], v[86:87]
	v_pk_fma_f32 v[84:85], v[114:115], v[110:111], v[80:81] op_sel_hi:[1,0,1]
	v_pk_fma_f32 v[80:81], v[114:115], v[110:111], v[80:81] neg_lo:[0,0,1] neg_hi:[0,0,1]
	s_delay_alu instid0(VALU_DEP_3) | instskip(NEXT) | instid1(VALU_DEP_3)
	v_pk_add_f32 v[78:79], v[78:79], v[82:83]
	v_mov_b32_e32 v81, v85
	s_delay_alu instid0(VALU_DEP_1) | instskip(SKIP_1) | instid1(VALU_DEP_1)
	v_pk_add_f32 v[78:79], v[78:79], v[80:81]
	s_wait_loadcnt 0x0
	v_pk_add_f32 v[78:79], v[112:113], v[78:79] neg_lo:[0,1] neg_hi:[0,1]
	scratch_store_b64 off, v[78:79], off offset:224
	s_wait_xcnt 0x0
	v_cmpx_lt_u32_e32 27, v0
	s_cbranch_execz .LBB37_187
; %bb.186:
	scratch_load_b64 v[78:79], off, off offset:216
	v_mov_b64_e32 v[80:81], 0
	scratch_store_b64 off, v[80:81], off offset:216
	s_wait_loadcnt 0x0
	ds_store_b64 v1, v[78:79]
.LBB37_187:
	s_wait_xcnt 0x0
	s_or_b32 exec_lo, exec_lo, s0
	s_wait_storecnt_dscnt 0x0
	s_barrier_signal -1
	s_barrier_wait -1
	s_clause 0x5
	scratch_load_b128 v[78:81], off, off offset:224
	scratch_load_b128 v[82:85], off, off offset:240
	;; [unrolled: 1-line block ×5, first 2 shown]
	scratch_load_b64 v[118:119], off, off offset:216
	ds_load_b128 v[98:101], v5 offset:544
	ds_load_b128 v[102:105], v5 offset:560
	;; [unrolled: 1-line block ×5, first 2 shown]
	s_mov_b32 s0, exec_lo
	s_wait_dscnt 0x4
	v_dual_mov_b32 v120, v101 :: v_dual_mov_b32 v121, v100
	s_wait_dscnt 0x3
	v_dual_mov_b32 v122, v105 :: v_dual_mov_b32 v123, v104
	s_wait_dscnt 0x2
	v_dual_mov_b32 v124, v109 :: v_dual_mov_b32 v125, v108
	s_wait_dscnt 0x1
	v_dual_mov_b32 v126, v113 :: v_dual_mov_b32 v127, v112
	s_wait_loadcnt_dscnt 0x500
	v_dual_mul_f32 v129, v114, v79 :: v_dual_mul_f32 v131, v116, v81
	v_dual_mul_f32 v5, v115, v79 :: v_dual_mul_f32 v9, v117, v81
	s_wait_loadcnt 0x4
	v_pk_mul_f32 v[132:133], v[98:99], v[82:83] op_sel:[1,1] op_sel_hi:[0,1]
	s_wait_loadcnt 0x3
	v_dual_mov_b32 v134, v85 :: v_dual_mov_b32 v138, v89
	v_dual_fmac_f32 v129, v115, v78 :: v_dual_fmac_f32 v131, v117, v80
	v_fma_f32 v128, v114, v78, -v5
	v_fma_f32 v130, v116, v80, -v9
	v_pk_fma_f32 v[78:79], v[98:99], v[82:83], v[132:133] op_sel_hi:[1,0,1]
	v_pk_mul_f32 v[80:81], v[120:121], v[134:135] op_sel_hi:[1,0]
	v_pk_fma_f32 v[82:83], v[98:99], v[82:83], v[132:133] neg_lo:[0,0,1] neg_hi:[0,0,1]
	v_pk_mul_f32 v[136:137], v[102:103], v[86:87] op_sel:[1,1] op_sel_hi:[0,1]
	v_pk_mul_f32 v[120:121], v[122:123], v[138:139] op_sel_hi:[1,0]
	v_mov_b32_e32 v83, v79
	v_pk_add_f32 v[114:115], v[128:129], 0 op_sel_hi:[1,0]
	v_pk_fma_f32 v[78:79], v[100:101], v[84:85], v[80:81] op_sel_hi:[1,0,1]
	v_pk_fma_f32 v[80:81], v[100:101], v[84:85], v[80:81] neg_lo:[0,0,1] neg_hi:[0,0,1]
	s_wait_loadcnt 0x2
	v_pk_mul_f32 v[116:117], v[106:107], v[90:91] op_sel:[1,1] op_sel_hi:[0,1]
	v_pk_fma_f32 v[84:85], v[102:103], v[86:87], v[136:137] neg_lo:[0,0,1] neg_hi:[0,0,1]
	v_mov_b32_e32 v81, v79
	v_pk_add_f32 v[98:99], v[114:115], v[130:131]
	v_pk_fma_f32 v[114:115], v[102:103], v[86:87], v[136:137] op_sel_hi:[1,0,1]
	v_pk_fma_f32 v[86:87], v[104:105], v[88:89], v[120:121] op_sel_hi:[1,0,1]
	v_pk_fma_f32 v[88:89], v[104:105], v[88:89], v[120:121] neg_lo:[0,0,1] neg_hi:[0,0,1]
	s_delay_alu instid0(VALU_DEP_4) | instskip(NEXT) | instid1(VALU_DEP_4)
	v_pk_add_f32 v[78:79], v[98:99], v[82:83]
	v_dual_mov_b32 v82, v93 :: v_dual_mov_b32 v85, v115
	s_delay_alu instid0(VALU_DEP_2) | instskip(SKIP_1) | instid1(VALU_DEP_3)
	v_pk_add_f32 v[78:79], v[78:79], v[80:81]
	v_pk_fma_f32 v[80:81], v[106:107], v[90:91], v[116:117] op_sel_hi:[1,0,1]
	v_pk_mul_f32 v[82:83], v[124:125], v[82:83] op_sel_hi:[1,0]
	v_mov_b32_e32 v89, v87
	v_pk_fma_f32 v[86:87], v[106:107], v[90:91], v[116:117] neg_lo:[0,0,1] neg_hi:[0,0,1]
	v_pk_add_f32 v[78:79], v[78:79], v[84:85]
	v_mov_b32_e32 v87, v81
	v_pk_fma_f32 v[80:81], v[108:109], v[92:93], v[82:83] op_sel_hi:[1,0,1]
	s_wait_loadcnt 0x1
	v_pk_mul_f32 v[84:85], v[110:111], v[94:95] op_sel:[1,1] op_sel_hi:[0,1]
	v_mov_b32_e32 v80, v97
	v_pk_add_f32 v[78:79], v[78:79], v[88:89]
	v_pk_fma_f32 v[82:83], v[108:109], v[92:93], v[82:83] neg_lo:[0,0,1] neg_hi:[0,0,1]
	v_mov_b32_e32 v83, v81
	v_pk_fma_f32 v[88:89], v[110:111], v[94:95], v[84:85] op_sel_hi:[1,0,1]
	v_pk_mul_f32 v[80:81], v[126:127], v[80:81] op_sel_hi:[1,0]
	v_pk_add_f32 v[78:79], v[78:79], v[86:87]
	v_pk_fma_f32 v[84:85], v[110:111], v[94:95], v[84:85] neg_lo:[0,0,1] neg_hi:[0,0,1]
	s_delay_alu instid0(VALU_DEP_2) | instskip(NEXT) | instid1(VALU_DEP_4)
	v_pk_add_f32 v[78:79], v[78:79], v[82:83]
	v_pk_fma_f32 v[82:83], v[112:113], v[96:97], v[80:81] op_sel_hi:[1,0,1]
	v_mov_b32_e32 v85, v89
	v_pk_fma_f32 v[80:81], v[112:113], v[96:97], v[80:81] neg_lo:[0,0,1] neg_hi:[0,0,1]
	s_delay_alu instid0(VALU_DEP_3) | instskip(NEXT) | instid1(VALU_DEP_3)
	v_mov_b32_e32 v81, v83
	v_pk_add_f32 v[78:79], v[78:79], v[84:85]
	s_delay_alu instid0(VALU_DEP_1) | instskip(SKIP_1) | instid1(VALU_DEP_1)
	v_pk_add_f32 v[78:79], v[78:79], v[80:81]
	s_wait_loadcnt 0x0
	v_pk_add_f32 v[78:79], v[118:119], v[78:79] neg_lo:[0,1] neg_hi:[0,1]
	scratch_store_b64 off, v[78:79], off offset:216
	s_wait_xcnt 0x0
	v_cmpx_lt_u32_e32 26, v0
	s_cbranch_execz .LBB37_189
; %bb.188:
	scratch_load_b64 v[78:79], off, off offset:208
	v_mov_b64_e32 v[80:81], 0
	scratch_store_b64 off, v[80:81], off offset:208
	s_wait_loadcnt 0x0
	ds_store_b64 v1, v[78:79]
.LBB37_189:
	s_wait_xcnt 0x0
	s_or_b32 exec_lo, exec_lo, s0
	s_wait_storecnt_dscnt 0x0
	s_barrier_signal -1
	s_barrier_wait -1
	s_clause 0x6
	scratch_load_b128 v[78:81], off, off offset:216
	scratch_load_b128 v[82:85], off, off offset:232
	;; [unrolled: 1-line block ×5, first 2 shown]
	scratch_load_b64 v[118:119], off, off offset:296
	scratch_load_b64 v[120:121], off, off offset:208
	v_mov_b32_e32 v5, 0
	ds_load_2addr_b64 v[98:101], v5 offset0:67 offset1:68
	ds_load_2addr_b64 v[102:105], v5 offset0:69 offset1:70
	ds_load_2addr_b64 v[106:109], v5 offset0:71 offset1:72
	ds_load_2addr_b64 v[110:113], v5 offset0:73 offset1:74
	ds_load_2addr_b64 v[114:117], v5 offset0:65 offset1:66
	ds_load_b64 v[122:123], v5 offset:600
	s_mov_b32 s0, exec_lo
	s_wait_dscnt 0x5
	v_dual_mov_b32 v124, v101 :: v_dual_mov_b32 v125, v100
	s_wait_dscnt 0x2
	v_dual_mov_b32 v126, v105 :: v_dual_mov_b32 v131, v112
	v_dual_mov_b32 v127, v104 :: v_dual_mov_b32 v128, v109
	;; [unrolled: 1-line block ×3, first 2 shown]
	s_wait_loadcnt_dscnt 0x601
	v_dual_mul_f32 v9, v114, v79 :: v_dual_mul_f32 v11, v115, v79
	v_dual_mul_f32 v13, v117, v81 :: v_dual_mul_f32 v133, v116, v81
	s_wait_loadcnt 0x5
	v_dual_mul_f32 v135, v98, v83 :: v_dual_mul_f32 v15, v99, v83
	s_wait_loadcnt 0x4
	v_dual_mov_b32 v134, v85 :: v_dual_mov_b32 v138, v89
	v_dual_fmac_f32 v9, v115, v78 :: v_dual_fma_f32 v11, v114, v78, -v11
	v_fmac_f32_e32 v133, v117, v80
	v_pk_mul_f32 v[136:137], v[102:103], v[86:87] op_sel:[1,1] op_sel_hi:[0,1]
	s_delay_alu instid0(VALU_DEP_3)
	v_dual_fma_f32 v132, v116, v80, -v13 :: v_dual_add_f32 v81, 0, v9
	v_pk_mul_f32 v[78:79], v[124:125], v[134:135] op_sel_hi:[1,0]
	s_wait_loadcnt 0x3
	v_dual_add_f32 v80, 0, v11 :: v_dual_mov_b32 v114, v93
	v_fmac_f32_e32 v135, v99, v82
	v_fma_f32 v134, v98, v82, -v15
	v_pk_fma_f32 v[82:83], v[100:101], v[84:85], v[78:79] op_sel_hi:[1,0,1]
	s_delay_alu instid0(VALU_DEP_4) | instskip(SKIP_4) | instid1(VALU_DEP_4)
	v_pk_add_f32 v[80:81], v[80:81], v[132:133]
	v_pk_fma_f32 v[98:99], v[102:103], v[86:87], v[136:137] op_sel_hi:[1,0,1]
	v_pk_fma_f32 v[78:79], v[100:101], v[84:85], v[78:79] neg_lo:[0,0,1] neg_hi:[0,0,1]
	v_pk_fma_f32 v[84:85], v[102:103], v[86:87], v[136:137] neg_lo:[0,0,1] neg_hi:[0,0,1]
	v_pk_mul_f32 v[116:117], v[126:127], v[138:139] op_sel_hi:[1,0]
	v_dual_mov_b32 v79, v83 :: v_dual_mov_b32 v85, v99
	v_pk_add_f32 v[80:81], v[80:81], v[134:135]
	v_pk_mul_f32 v[140:141], v[106:107], v[90:91] op_sel:[1,1] op_sel_hi:[0,1]
	s_delay_alu instid0(VALU_DEP_4)
	v_pk_fma_f32 v[86:87], v[104:105], v[88:89], v[116:117] op_sel_hi:[1,0,1]
	v_pk_fma_f32 v[88:89], v[104:105], v[88:89], v[116:117] neg_lo:[0,0,1] neg_hi:[0,0,1]
	v_pk_mul_f32 v[98:99], v[128:129], v[114:115] op_sel_hi:[1,0]
	v_pk_add_f32 v[78:79], v[80:81], v[78:79]
	v_pk_fma_f32 v[80:81], v[106:107], v[90:91], v[140:141] op_sel_hi:[1,0,1]
	s_wait_loadcnt 0x2
	v_dual_mov_b32 v89, v87 :: v_dual_mov_b32 v80, v97
	v_pk_mul_f32 v[82:83], v[110:111], v[94:95] op_sel:[1,1] op_sel_hi:[0,1]
	v_pk_add_f32 v[78:79], v[78:79], v[84:85]
	v_pk_fma_f32 v[84:85], v[106:107], v[90:91], v[140:141] neg_lo:[0,0,1] neg_hi:[0,0,1]
	v_pk_fma_f32 v[86:87], v[108:109], v[92:93], v[98:99] op_sel_hi:[1,0,1]
	v_mov_b32_e32 v85, v81
	v_pk_fma_f32 v[90:91], v[108:109], v[92:93], v[98:99] neg_lo:[0,0,1] neg_hi:[0,0,1]
	v_pk_add_f32 v[78:79], v[78:79], v[88:89]
	v_pk_fma_f32 v[88:89], v[110:111], v[94:95], v[82:83] op_sel_hi:[1,0,1]
	v_pk_mul_f32 v[80:81], v[130:131], v[80:81] op_sel_hi:[1,0]
	v_mov_b32_e32 v91, v87
	v_pk_fma_f32 v[82:83], v[110:111], v[94:95], v[82:83] neg_lo:[0,0,1] neg_hi:[0,0,1]
	v_pk_add_f32 v[78:79], v[78:79], v[84:85]
	s_wait_loadcnt_dscnt 0x100
	v_pk_mul_f32 v[86:87], v[122:123], v[118:119] op_sel:[1,1] op_sel_hi:[0,1]
	v_pk_fma_f32 v[84:85], v[112:113], v[96:97], v[80:81] op_sel_hi:[1,0,1]
	v_mov_b32_e32 v83, v89
	v_pk_fma_f32 v[80:81], v[112:113], v[96:97], v[80:81] neg_lo:[0,0,1] neg_hi:[0,0,1]
	v_pk_add_f32 v[78:79], v[78:79], v[90:91]
	s_delay_alu instid0(VALU_DEP_4) | instskip(SKIP_1) | instid1(VALU_DEP_3)
	v_mov_b32_e32 v81, v85
	v_pk_fma_f32 v[84:85], v[122:123], v[118:119], v[86:87] neg_lo:[0,0,1] neg_hi:[0,0,1]
	v_pk_add_f32 v[78:79], v[78:79], v[82:83]
	v_pk_fma_f32 v[82:83], v[122:123], v[118:119], v[86:87] op_sel_hi:[1,0,1]
	s_delay_alu instid0(VALU_DEP_2) | instskip(NEXT) | instid1(VALU_DEP_2)
	v_pk_add_f32 v[78:79], v[78:79], v[80:81]
	v_mov_b32_e32 v85, v83
	s_delay_alu instid0(VALU_DEP_1) | instskip(SKIP_1) | instid1(VALU_DEP_1)
	v_pk_add_f32 v[78:79], v[78:79], v[84:85]
	s_wait_loadcnt 0x0
	v_pk_add_f32 v[78:79], v[120:121], v[78:79] neg_lo:[0,1] neg_hi:[0,1]
	scratch_store_b64 off, v[78:79], off offset:208
	s_wait_xcnt 0x0
	v_cmpx_lt_u32_e32 25, v0
	s_cbranch_execz .LBB37_191
; %bb.190:
	scratch_load_b64 v[78:79], off, off offset:200
	v_mov_b64_e32 v[80:81], 0
	scratch_store_b64 off, v[80:81], off offset:200
	s_wait_loadcnt 0x0
	ds_store_b64 v1, v[78:79]
.LBB37_191:
	s_wait_xcnt 0x0
	s_or_b32 exec_lo, exec_lo, s0
	s_wait_storecnt_dscnt 0x0
	s_barrier_signal -1
	s_barrier_wait -1
	s_clause 0x6
	scratch_load_b128 v[78:81], off, off offset:208
	scratch_load_b128 v[82:85], off, off offset:224
	;; [unrolled: 1-line block ×6, first 2 shown]
	scratch_load_b64 v[126:127], off, off offset:200
	ds_load_b128 v[102:105], v5 offset:544
	ds_load_b128 v[106:109], v5 offset:560
	ds_load_b128 v[110:113], v5 offset:576
	ds_load_b128 v[114:117], v5 offset:592
	ds_load_b128 v[118:121], v5 offset:512
	ds_load_b128 v[122:125], v5 offset:528
	s_mov_b32 s0, exec_lo
	s_wait_dscnt 0x5
	v_dual_mov_b32 v128, v105 :: v_dual_mov_b32 v129, v104
	s_wait_dscnt 0x4
	v_dual_mov_b32 v130, v109 :: v_dual_mov_b32 v131, v108
	;; [unrolled: 2-line block ×4, first 2 shown]
	s_wait_loadcnt_dscnt 0x601
	v_dual_mul_f32 v5, v118, v79 :: v_dual_mul_f32 v9, v120, v81
	v_dual_mul_f32 v11, v119, v79 :: v_dual_mul_f32 v13, v121, v81
	s_wait_loadcnt 0x4
	s_delay_alu instid0(VALU_DEP_2)
	v_dual_mov_b32 v142, v89 :: v_dual_fmac_f32 v5, v119, v78
	s_wait_dscnt 0x0
	v_dual_mul_f32 v137, v122, v83 :: v_dual_mul_f32 v139, v124, v85
	v_dual_fma_f32 v11, v118, v78, -v11 :: v_dual_fmac_f32 v9, v121, v80
	v_dual_mul_f32 v15, v123, v83 :: v_dual_mul_f32 v17, v125, v85
	v_dual_fma_f32 v13, v120, v80, -v13 :: v_dual_add_f32 v5, 0, v5
	s_wait_loadcnt 0x3
	s_delay_alu instid0(VALU_DEP_3) | instskip(SKIP_3) | instid1(VALU_DEP_4)
	v_dual_add_f32 v11, 0, v11 :: v_dual_mov_b32 v80, v93
	v_pk_mul_f32 v[140:141], v[102:103], v[86:87] op_sel:[1,1] op_sel_hi:[0,1]
	v_dual_fmac_f32 v137, v123, v82 :: v_dual_fma_f32 v136, v122, v82, -v15
	v_dual_add_f32 v83, v5, v9 :: v_dual_fma_f32 v138, v124, v84, -v17
	v_dual_add_f32 v82, v11, v13 :: v_dual_fmac_f32 v139, v125, v84
	s_delay_alu instid0(VALU_DEP_4) | instskip(SKIP_2) | instid1(VALU_DEP_4)
	v_pk_fma_f32 v[84:85], v[102:103], v[86:87], v[140:141] op_sel_hi:[1,0,1]
	v_pk_mul_f32 v[118:119], v[128:129], v[142:143] op_sel_hi:[1,0]
	v_pk_fma_f32 v[86:87], v[102:103], v[86:87], v[140:141] neg_lo:[0,0,1] neg_hi:[0,0,1]
	v_pk_add_f32 v[82:83], v[82:83], v[136:137]
	v_pk_mul_f32 v[78:79], v[106:107], v[90:91] op_sel:[1,1] op_sel_hi:[0,1]
	v_mov_b32_e32 v87, v85
	v_pk_fma_f32 v[84:85], v[104:105], v[88:89], v[118:119] op_sel_hi:[1,0,1]
	v_pk_fma_f32 v[88:89], v[104:105], v[88:89], v[118:119] neg_lo:[0,0,1] neg_hi:[0,0,1]
	v_pk_add_f32 v[82:83], v[82:83], v[138:139]
	v_pk_fma_f32 v[102:103], v[106:107], v[90:91], v[78:79] op_sel_hi:[1,0,1]
	v_pk_mul_f32 v[80:81], v[130:131], v[80:81] op_sel_hi:[1,0]
	v_mov_b32_e32 v89, v85
	v_pk_fma_f32 v[78:79], v[106:107], v[90:91], v[78:79] neg_lo:[0,0,1] neg_hi:[0,0,1]
	v_pk_add_f32 v[82:83], v[82:83], v[86:87]
	s_wait_loadcnt 0x2
	v_pk_mul_f32 v[120:121], v[110:111], v[94:95] op_sel:[1,1] op_sel_hi:[0,1]
	v_dual_mov_b32 v84, v97 :: v_dual_mov_b32 v79, v103
	v_pk_fma_f32 v[86:87], v[108:109], v[92:93], v[80:81] op_sel_hi:[1,0,1]
	v_pk_add_f32 v[82:83], v[82:83], v[88:89]
	v_pk_fma_f32 v[80:81], v[108:109], v[92:93], v[80:81] neg_lo:[0,0,1] neg_hi:[0,0,1]
	v_pk_fma_f32 v[88:89], v[110:111], v[94:95], v[120:121] op_sel_hi:[1,0,1]
	v_pk_mul_f32 v[84:85], v[132:133], v[84:85] op_sel_hi:[1,0]
	v_mov_b32_e32 v81, v87
	v_pk_add_f32 v[78:79], v[82:83], v[78:79]
	v_pk_fma_f32 v[86:87], v[110:111], v[94:95], v[120:121] neg_lo:[0,0,1] neg_hi:[0,0,1]
	s_wait_loadcnt 0x1
	v_pk_mul_f32 v[82:83], v[114:115], v[98:99] op_sel:[1,1] op_sel_hi:[0,1]
	v_mov_b32_e32 v87, v89
	v_pk_fma_f32 v[88:89], v[112:113], v[96:97], v[84:85] op_sel_hi:[1,0,1]
	v_pk_add_f32 v[78:79], v[78:79], v[80:81]
	v_mov_b32_e32 v80, v101
	v_pk_fma_f32 v[84:85], v[112:113], v[96:97], v[84:85] neg_lo:[0,0,1] neg_hi:[0,0,1]
	v_pk_fma_f32 v[90:91], v[114:115], v[98:99], v[82:83] op_sel_hi:[1,0,1]
	v_mov_b32_e32 v85, v89
	v_pk_add_f32 v[78:79], v[78:79], v[86:87]
	v_pk_mul_f32 v[80:81], v[134:135], v[80:81] op_sel_hi:[1,0]
	v_pk_fma_f32 v[82:83], v[114:115], v[98:99], v[82:83] neg_lo:[0,0,1] neg_hi:[0,0,1]
	s_delay_alu instid0(VALU_DEP_3) | instskip(NEXT) | instid1(VALU_DEP_3)
	v_pk_add_f32 v[78:79], v[78:79], v[84:85]
	v_pk_fma_f32 v[84:85], v[116:117], v[100:101], v[80:81] op_sel_hi:[1,0,1]
	v_mov_b32_e32 v83, v91
	v_pk_fma_f32 v[80:81], v[116:117], v[100:101], v[80:81] neg_lo:[0,0,1] neg_hi:[0,0,1]
	s_delay_alu instid0(VALU_DEP_3) | instskip(NEXT) | instid1(VALU_DEP_3)
	v_mov_b32_e32 v81, v85
	v_pk_add_f32 v[78:79], v[78:79], v[82:83]
	s_delay_alu instid0(VALU_DEP_1) | instskip(SKIP_1) | instid1(VALU_DEP_1)
	v_pk_add_f32 v[78:79], v[78:79], v[80:81]
	s_wait_loadcnt 0x0
	v_pk_add_f32 v[78:79], v[126:127], v[78:79] neg_lo:[0,1] neg_hi:[0,1]
	scratch_store_b64 off, v[78:79], off offset:200
	s_wait_xcnt 0x0
	v_cmpx_lt_u32_e32 24, v0
	s_cbranch_execz .LBB37_193
; %bb.192:
	scratch_load_b64 v[78:79], off, off offset:192
	v_mov_b64_e32 v[80:81], 0
	scratch_store_b64 off, v[80:81], off offset:192
	s_wait_loadcnt 0x0
	ds_store_b64 v1, v[78:79]
.LBB37_193:
	s_wait_xcnt 0x0
	s_or_b32 exec_lo, exec_lo, s0
	s_wait_storecnt_dscnt 0x0
	s_barrier_signal -1
	s_barrier_wait -1
	s_clause 0x7
	scratch_load_b128 v[78:81], off, off offset:200
	scratch_load_b128 v[82:85], off, off offset:216
	;; [unrolled: 1-line block ×6, first 2 shown]
	scratch_load_b64 v[126:127], off, off offset:296
	scratch_load_b64 v[128:129], off, off offset:192
	v_mov_b32_e32 v5, 0
	ds_load_2addr_b64 v[102:105], v5 offset0:67 offset1:68
	ds_load_2addr_b64 v[106:109], v5 offset0:69 offset1:70
	ds_load_2addr_b64 v[110:113], v5 offset0:71 offset1:72
	ds_load_2addr_b64 v[114:117], v5 offset0:73 offset1:74
	ds_load_2addr_b64 v[118:121], v5 offset0:63 offset1:64
	ds_load_2addr_b64 v[122:125], v5 offset0:65 offset1:66
	ds_load_b64 v[130:131], v5 offset:600
	s_mov_b32 s0, exec_lo
	s_wait_dscnt 0x6
	v_dual_mov_b32 v132, v105 :: v_dual_mov_b32 v133, v104
	s_wait_dscnt 0x3
	v_dual_mov_b32 v134, v109 :: v_dual_mov_b32 v139, v116
	v_dual_mov_b32 v135, v108 :: v_dual_mov_b32 v136, v113
	;; [unrolled: 1-line block ×3, first 2 shown]
	s_wait_loadcnt_dscnt 0x702
	v_dual_mul_f32 v9, v118, v79 :: v_dual_mul_f32 v15, v119, v79
	v_dual_mul_f32 v17, v121, v81 :: v_dual_mul_f32 v11, v120, v81
	s_wait_loadcnt_dscnt 0x601
	s_delay_alu instid0(VALU_DEP_2) | instskip(NEXT) | instid1(VALU_DEP_3)
	v_dual_mul_f32 v13, v122, v83 :: v_dual_fmac_f32 v9, v119, v78
	v_dual_fma_f32 v15, v118, v78, -v15 :: v_dual_mul_f32 v19, v123, v83
	v_mul_f32_e32 v21, v125, v85
	s_wait_loadcnt 0x4
	v_dual_mov_b32 v78, v93 :: v_dual_fma_f32 v17, v120, v80, -v17
	v_dual_fmac_f32 v11, v121, v80 :: v_dual_add_f32 v9, 0, v9
	v_dual_add_f32 v15, 0, v15 :: v_dual_fmac_f32 v13, v123, v82
	v_dual_mul_f32 v141, v124, v85 :: v_dual_mul_f32 v143, v102, v87
	v_dual_mul_f32 v23, v103, v87 :: v_dual_mov_b32 v142, v89
	s_delay_alu instid0(VALU_DEP_4) | instskip(NEXT) | instid1(VALU_DEP_3)
	v_dual_fma_f32 v19, v122, v82, -v19 :: v_dual_add_f32 v9, v9, v11
	v_dual_add_f32 v11, v15, v17 :: v_dual_fmac_f32 v141, v125, v84
	v_pk_mul_f32 v[144:145], v[106:107], v[90:91] op_sel:[1,1] op_sel_hi:[0,1]
	s_delay_alu instid0(VALU_DEP_3)
	v_dual_fma_f32 v140, v124, v84, -v21 :: v_dual_add_f32 v85, v9, v13
	v_pk_mul_f32 v[82:83], v[132:133], v[142:143] op_sel_hi:[1,0]
	s_wait_loadcnt 0x3
	v_dual_add_f32 v84, v11, v19 :: v_dual_mov_b32 v118, v97
	v_fmac_f32_e32 v143, v103, v86
	v_fma_f32 v142, v102, v86, -v23
	v_pk_fma_f32 v[86:87], v[104:105], v[88:89], v[82:83] op_sel_hi:[1,0,1]
	s_delay_alu instid0(VALU_DEP_4) | instskip(SKIP_4) | instid1(VALU_DEP_4)
	v_pk_add_f32 v[84:85], v[84:85], v[140:141]
	v_pk_fma_f32 v[102:103], v[106:107], v[90:91], v[144:145] op_sel_hi:[1,0,1]
	v_pk_fma_f32 v[82:83], v[104:105], v[88:89], v[82:83] neg_lo:[0,0,1] neg_hi:[0,0,1]
	v_pk_fma_f32 v[88:89], v[106:107], v[90:91], v[144:145] neg_lo:[0,0,1] neg_hi:[0,0,1]
	v_pk_mul_f32 v[78:79], v[134:135], v[78:79] op_sel_hi:[1,0]
	v_dual_mov_b32 v83, v87 :: v_dual_mov_b32 v89, v103
	v_pk_add_f32 v[84:85], v[84:85], v[142:143]
	v_pk_mul_f32 v[80:81], v[110:111], v[94:95] op_sel:[1,1] op_sel_hi:[0,1]
	s_delay_alu instid0(VALU_DEP_4)
	v_pk_fma_f32 v[90:91], v[108:109], v[92:93], v[78:79] op_sel_hi:[1,0,1]
	v_pk_fma_f32 v[78:79], v[108:109], v[92:93], v[78:79] neg_lo:[0,0,1] neg_hi:[0,0,1]
	v_pk_mul_f32 v[102:103], v[136:137], v[118:119] op_sel_hi:[1,0]
	v_pk_add_f32 v[82:83], v[84:85], v[82:83]
	v_pk_fma_f32 v[84:85], v[110:111], v[94:95], v[80:81] op_sel_hi:[1,0,1]
	s_wait_loadcnt 0x2
	v_dual_mov_b32 v79, v91 :: v_dual_mov_b32 v84, v101
	v_pk_fma_f32 v[80:81], v[110:111], v[94:95], v[80:81] neg_lo:[0,0,1] neg_hi:[0,0,1]
	v_pk_add_f32 v[82:83], v[82:83], v[88:89]
	v_pk_mul_f32 v[86:87], v[114:115], v[98:99] op_sel:[1,1] op_sel_hi:[0,1]
	v_pk_fma_f32 v[88:89], v[112:113], v[96:97], v[102:103] op_sel_hi:[1,0,1]
	v_mov_b32_e32 v81, v85
	v_pk_fma_f32 v[90:91], v[112:113], v[96:97], v[102:103] neg_lo:[0,0,1] neg_hi:[0,0,1]
	v_pk_add_f32 v[78:79], v[82:83], v[78:79]
	v_pk_fma_f32 v[82:83], v[114:115], v[98:99], v[86:87] op_sel_hi:[1,0,1]
	v_pk_mul_f32 v[84:85], v[138:139], v[84:85] op_sel_hi:[1,0]
	v_mov_b32_e32 v91, v89
	s_delay_alu instid0(VALU_DEP_4)
	v_pk_add_f32 v[78:79], v[78:79], v[80:81]
	v_pk_fma_f32 v[80:81], v[114:115], v[98:99], v[86:87] neg_lo:[0,0,1] neg_hi:[0,0,1]
	v_mov_b32_e32 v81, v83
	v_pk_fma_f32 v[82:83], v[116:117], v[100:101], v[84:85] op_sel_hi:[1,0,1]
	s_wait_loadcnt_dscnt 0x100
	v_pk_mul_f32 v[86:87], v[130:131], v[126:127] op_sel:[1,1] op_sel_hi:[0,1]
	v_pk_add_f32 v[78:79], v[78:79], v[90:91]
	v_pk_fma_f32 v[84:85], v[116:117], v[100:101], v[84:85] neg_lo:[0,0,1] neg_hi:[0,0,1]
	v_mov_b32_e32 v85, v83
	s_delay_alu instid0(VALU_DEP_4) | instskip(NEXT) | instid1(VALU_DEP_4)
	v_pk_fma_f32 v[82:83], v[130:131], v[126:127], v[86:87] neg_lo:[0,0,1] neg_hi:[0,0,1]
	v_pk_add_f32 v[78:79], v[78:79], v[80:81]
	v_pk_fma_f32 v[80:81], v[130:131], v[126:127], v[86:87] op_sel_hi:[1,0,1]
	s_delay_alu instid0(VALU_DEP_2) | instskip(NEXT) | instid1(VALU_DEP_2)
	v_pk_add_f32 v[78:79], v[78:79], v[84:85]
	v_mov_b32_e32 v83, v81
	s_delay_alu instid0(VALU_DEP_1) | instskip(SKIP_1) | instid1(VALU_DEP_1)
	v_pk_add_f32 v[78:79], v[78:79], v[82:83]
	s_wait_loadcnt 0x0
	v_pk_add_f32 v[78:79], v[128:129], v[78:79] neg_lo:[0,1] neg_hi:[0,1]
	scratch_store_b64 off, v[78:79], off offset:192
	s_wait_xcnt 0x0
	v_cmpx_lt_u32_e32 23, v0
	s_cbranch_execz .LBB37_195
; %bb.194:
	scratch_load_b64 v[78:79], off, off offset:184
	v_mov_b64_e32 v[80:81], 0
	scratch_store_b64 off, v[80:81], off offset:184
	s_wait_loadcnt 0x0
	ds_store_b64 v1, v[78:79]
.LBB37_195:
	s_wait_xcnt 0x0
	s_or_b32 exec_lo, exec_lo, s0
	s_wait_storecnt_dscnt 0x0
	s_barrier_signal -1
	s_barrier_wait -1
	s_clause 0x7
	scratch_load_b128 v[78:81], off, off offset:192
	scratch_load_b128 v[82:85], off, off offset:208
	;; [unrolled: 1-line block ×7, first 2 shown]
	scratch_load_b64 v[134:135], off, off offset:184
	ds_load_b128 v[106:109], v5 offset:544
	ds_load_b128 v[110:113], v5 offset:560
	;; [unrolled: 1-line block ×7, first 2 shown]
	s_mov_b32 s0, exec_lo
	s_wait_dscnt 0x6
	v_dual_mov_b32 v136, v109 :: v_dual_mov_b32 v137, v108
	s_wait_dscnt 0x5
	v_dual_mov_b32 v138, v113 :: v_dual_mov_b32 v139, v112
	;; [unrolled: 2-line block ×4, first 2 shown]
	s_wait_loadcnt_dscnt 0x702
	v_dual_mul_f32 v5, v122, v79 :: v_dual_mul_f32 v9, v124, v81
	v_dual_mul_f32 v15, v123, v79 :: v_dual_mul_f32 v17, v125, v81
	s_wait_loadcnt_dscnt 0x601
	v_dual_mul_f32 v11, v126, v83 :: v_dual_mul_f32 v13, v128, v85
	s_delay_alu instid0(VALU_DEP_2) | instskip(SKIP_1) | instid1(VALU_DEP_2)
	v_dual_fmac_f32 v5, v123, v78 :: v_dual_fma_f32 v15, v122, v78, -v15
	v_dual_mul_f32 v19, v127, v83 :: v_dual_mul_f32 v21, v129, v85
	v_dual_fmac_f32 v9, v125, v80 :: v_dual_add_f32 v5, 0, v5
	s_delay_alu instid0(VALU_DEP_3) | instskip(SKIP_2) | instid1(VALU_DEP_3)
	v_dual_fma_f32 v17, v124, v80, -v17 :: v_dual_add_f32 v15, 0, v15
	s_wait_loadcnt 0x4
	v_dual_mov_b32 v80, v93 :: v_dual_fmac_f32 v11, v127, v82
	v_dual_fma_f32 v19, v126, v82, -v19 :: v_dual_add_f32 v5, v5, v9
	s_delay_alu instid0(VALU_DEP_3)
	v_dual_add_f32 v9, v15, v17 :: v_dual_fmac_f32 v13, v129, v84
	s_wait_dscnt 0x0
	v_dual_mul_f32 v145, v130, v87 :: v_dual_mul_f32 v147, v132, v89
	v_dual_mul_f32 v23, v131, v87 :: v_dual_mul_f32 v25, v133, v89
	v_pk_mul_f32 v[78:79], v[106:107], v[90:91] op_sel:[1,1] op_sel_hi:[0,1]
	s_wait_loadcnt 0x3
	v_pk_mul_f32 v[82:83], v[110:111], v[94:95] op_sel:[1,1] op_sel_hi:[0,1]
	v_dual_fma_f32 v15, v128, v84, -v21 :: v_dual_add_f32 v5, v5, v11
	v_dual_add_f32 v9, v9, v19 :: v_dual_fmac_f32 v145, v131, v86
	v_dual_mov_b32 v84, v97 :: v_dual_fma_f32 v144, v130, v86, -v23
	s_delay_alu instid0(VALU_DEP_3)
	v_dual_add_f32 v87, v5, v13 :: v_dual_fma_f32 v146, v132, v88, -v25
	v_fmac_f32_e32 v147, v133, v88
	v_pk_fma_f32 v[88:89], v[106:107], v[90:91], v[78:79] op_sel_hi:[1,0,1]
	v_pk_fma_f32 v[78:79], v[106:107], v[90:91], v[78:79] neg_lo:[0,0,1] neg_hi:[0,0,1]
	v_pk_fma_f32 v[90:91], v[110:111], v[94:95], v[82:83] op_sel_hi:[1,0,1]
	v_add_f32_e32 v86, v9, v15
	v_pk_fma_f32 v[82:83], v[110:111], v[94:95], v[82:83] neg_lo:[0,0,1] neg_hi:[0,0,1]
	v_pk_mul_f32 v[80:81], v[136:137], v[80:81] op_sel_hi:[1,0]
	s_delay_alu instid0(VALU_DEP_4) | instskip(NEXT) | instid1(VALU_DEP_4)
	v_dual_mov_b32 v79, v89 :: v_dual_mov_b32 v83, v91
	v_pk_add_f32 v[86:87], v[86:87], v[144:145]
	v_pk_mul_f32 v[84:85], v[138:139], v[84:85] op_sel_hi:[1,0]
	s_delay_alu instid0(VALU_DEP_4)
	v_pk_fma_f32 v[88:89], v[108:109], v[92:93], v[80:81] op_sel_hi:[1,0,1]
	v_pk_fma_f32 v[80:81], v[108:109], v[92:93], v[80:81] neg_lo:[0,0,1] neg_hi:[0,0,1]
	s_wait_loadcnt 0x2
	v_pk_mul_f32 v[122:123], v[114:115], v[98:99] op_sel:[1,1] op_sel_hi:[0,1]
	v_pk_add_f32 v[86:87], v[86:87], v[146:147]
	v_mov_b32_e32 v81, v89
	v_pk_fma_f32 v[88:89], v[112:113], v[96:97], v[84:85] op_sel_hi:[1,0,1]
	v_pk_fma_f32 v[84:85], v[112:113], v[96:97], v[84:85] neg_lo:[0,0,1] neg_hi:[0,0,1]
	s_delay_alu instid0(VALU_DEP_4) | instskip(NEXT) | instid1(VALU_DEP_3)
	v_pk_add_f32 v[78:79], v[86:87], v[78:79]
	v_dual_mov_b32 v86, v101 :: v_dual_mov_b32 v85, v89
	v_pk_fma_f32 v[88:89], v[114:115], v[98:99], v[122:123] neg_lo:[0,0,1] neg_hi:[0,0,1]
	s_delay_alu instid0(VALU_DEP_3) | instskip(SKIP_1) | instid1(VALU_DEP_4)
	v_pk_add_f32 v[78:79], v[78:79], v[80:81]
	v_pk_fma_f32 v[80:81], v[114:115], v[98:99], v[122:123] op_sel_hi:[1,0,1]
	v_pk_mul_f32 v[86:87], v[140:141], v[86:87] op_sel_hi:[1,0]
	s_delay_alu instid0(VALU_DEP_3) | instskip(NEXT) | instid1(VALU_DEP_3)
	v_pk_add_f32 v[78:79], v[78:79], v[82:83]
	v_mov_b32_e32 v89, v81
	s_delay_alu instid0(VALU_DEP_3)
	v_pk_fma_f32 v[80:81], v[116:117], v[100:101], v[86:87] op_sel_hi:[1,0,1]
	s_wait_loadcnt 0x1
	v_pk_mul_f32 v[82:83], v[118:119], v[102:103] op_sel:[1,1] op_sel_hi:[0,1]
	v_mov_b32_e32 v80, v105
	v_pk_add_f32 v[78:79], v[78:79], v[84:85]
	v_pk_fma_f32 v[86:87], v[116:117], v[100:101], v[86:87] neg_lo:[0,0,1] neg_hi:[0,0,1]
	s_delay_alu instid0(VALU_DEP_4) | instskip(SKIP_1) | instid1(VALU_DEP_4)
	v_pk_fma_f32 v[84:85], v[118:119], v[102:103], v[82:83] op_sel_hi:[1,0,1]
	v_mov_b32_e32 v87, v81
	v_pk_add_f32 v[78:79], v[78:79], v[88:89]
	v_pk_mul_f32 v[80:81], v[142:143], v[80:81] op_sel_hi:[1,0]
	v_pk_fma_f32 v[82:83], v[118:119], v[102:103], v[82:83] neg_lo:[0,0,1] neg_hi:[0,0,1]
	v_mov_b32_e32 v83, v85
	s_delay_alu instid0(VALU_DEP_4) | instskip(NEXT) | instid1(VALU_DEP_4)
	v_pk_add_f32 v[78:79], v[78:79], v[86:87]
	v_pk_fma_f32 v[84:85], v[120:121], v[104:105], v[80:81] op_sel_hi:[1,0,1]
	v_pk_fma_f32 v[80:81], v[120:121], v[104:105], v[80:81] neg_lo:[0,0,1] neg_hi:[0,0,1]
	s_delay_alu instid0(VALU_DEP_3) | instskip(NEXT) | instid1(VALU_DEP_3)
	v_pk_add_f32 v[78:79], v[78:79], v[82:83]
	v_mov_b32_e32 v81, v85
	s_delay_alu instid0(VALU_DEP_1) | instskip(SKIP_1) | instid1(VALU_DEP_1)
	v_pk_add_f32 v[78:79], v[78:79], v[80:81]
	s_wait_loadcnt 0x0
	v_pk_add_f32 v[78:79], v[134:135], v[78:79] neg_lo:[0,1] neg_hi:[0,1]
	scratch_store_b64 off, v[78:79], off offset:184
	s_wait_xcnt 0x0
	v_cmpx_lt_u32_e32 22, v0
	s_cbranch_execz .LBB37_197
; %bb.196:
	scratch_load_b64 v[78:79], off, off offset:176
	v_mov_b64_e32 v[80:81], 0
	scratch_store_b64 off, v[80:81], off offset:176
	s_wait_loadcnt 0x0
	ds_store_b64 v1, v[78:79]
.LBB37_197:
	s_wait_xcnt 0x0
	s_or_b32 exec_lo, exec_lo, s0
	s_wait_storecnt_dscnt 0x0
	s_barrier_signal -1
	s_barrier_wait -1
	s_clause 0x8
	scratch_load_b128 v[78:81], off, off offset:184
	scratch_load_b128 v[82:85], off, off offset:200
	;; [unrolled: 1-line block ×7, first 2 shown]
	scratch_load_b64 v[134:135], off, off offset:296
	scratch_load_b64 v[136:137], off, off offset:176
	v_mov_b32_e32 v5, 0
	ds_load_2addr_b64 v[106:109], v5 offset0:67 offset1:68
	ds_load_2addr_b64 v[110:113], v5 offset0:69 offset1:70
	;; [unrolled: 1-line block ×7, first 2 shown]
	ds_load_b64 v[138:139], v5 offset:600
	s_mov_b32 s0, exec_lo
	s_wait_dscnt 0x7
	v_dual_mov_b32 v140, v109 :: v_dual_mov_b32 v141, v108
	s_wait_dscnt 0x4
	v_dual_mov_b32 v142, v113 :: v_dual_mov_b32 v147, v120
	v_dual_mov_b32 v143, v112 :: v_dual_mov_b32 v144, v117
	;; [unrolled: 1-line block ×3, first 2 shown]
	s_wait_loadcnt_dscnt 0x803
	v_dual_mul_f32 v9, v122, v79 :: v_dual_mul_f32 v19, v123, v79
	v_dual_mul_f32 v21, v125, v81 :: v_dual_mul_f32 v11, v124, v81
	s_wait_loadcnt_dscnt 0x702
	v_mul_f32_e32 v13, v126, v83
	s_wait_loadcnt 0x5
	v_dual_mul_f32 v31, v107, v91 :: v_dual_fma_f32 v19, v122, v78, -v19
	v_dual_fmac_f32 v9, v123, v78 :: v_dual_mov_b32 v78, v93
	v_dual_mul_f32 v23, v127, v83 :: v_dual_mul_f32 v25, v129, v85
	v_dual_fmac_f32 v11, v125, v80 :: v_dual_fma_f32 v21, v124, v80, -v21
	s_delay_alu instid0(VALU_DEP_3) | instskip(SKIP_3) | instid1(VALU_DEP_3)
	v_dual_add_f32 v9, 0, v9 :: v_dual_add_f32 v19, 0, v19
	s_wait_dscnt 0x1
	v_dual_mul_f32 v15, v128, v85 :: v_dual_mul_f32 v17, v130, v87
	v_dual_fmac_f32 v13, v127, v82 :: v_dual_fma_f32 v23, v126, v82, -v23
	v_dual_add_f32 v9, v9, v11 :: v_dual_add_f32 v11, v19, v21
	v_dual_mul_f32 v27, v131, v87 :: v_dual_mul_f32 v29, v133, v89
	s_wait_loadcnt 0x4
	v_dual_mov_b32 v82, v97 :: v_dual_fma_f32 v19, v128, v84, -v25
	s_delay_alu instid0(VALU_DEP_3) | instskip(SKIP_2) | instid1(VALU_DEP_2)
	v_dual_fmac_f32 v15, v129, v84 :: v_dual_add_f32 v11, v11, v23
	v_dual_add_f32 v9, v9, v13 :: v_dual_fmac_f32 v17, v131, v86
	v_dual_mul_f32 v149, v132, v89 :: v_dual_mul_f32 v151, v106, v91
	v_dual_fma_f32 v13, v130, v86, -v27 :: v_dual_add_f32 v9, v9, v15
	s_delay_alu instid0(VALU_DEP_2) | instskip(SKIP_1) | instid1(VALU_DEP_3)
	v_dual_add_f32 v11, v11, v19 :: v_dual_fmac_f32 v149, v133, v88
	v_pk_mul_f32 v[80:81], v[110:111], v[94:95] op_sel:[1,1] op_sel_hi:[0,1]
	v_dual_fma_f32 v148, v132, v88, -v29 :: v_dual_add_f32 v87, v9, v17
	v_pk_mul_f32 v[78:79], v[140:141], v[78:79] op_sel_hi:[1,0]
	s_wait_loadcnt 0x3
	v_dual_add_f32 v86, v11, v13 :: v_dual_mov_b32 v88, v101
	v_fmac_f32_e32 v151, v107, v90
	v_fma_f32 v150, v106, v90, -v31
	v_pk_fma_f32 v[90:91], v[108:109], v[92:93], v[78:79] op_sel_hi:[1,0,1]
	s_delay_alu instid0(VALU_DEP_4) | instskip(SKIP_4) | instid1(VALU_DEP_4)
	v_pk_add_f32 v[86:87], v[86:87], v[148:149]
	v_pk_fma_f32 v[106:107], v[110:111], v[94:95], v[80:81] op_sel_hi:[1,0,1]
	v_pk_fma_f32 v[78:79], v[108:109], v[92:93], v[78:79] neg_lo:[0,0,1] neg_hi:[0,0,1]
	v_pk_fma_f32 v[80:81], v[110:111], v[94:95], v[80:81] neg_lo:[0,0,1] neg_hi:[0,0,1]
	v_pk_mul_f32 v[82:83], v[142:143], v[82:83] op_sel_hi:[1,0]
	v_dual_mov_b32 v79, v91 :: v_dual_mov_b32 v81, v107
	v_pk_add_f32 v[86:87], v[86:87], v[150:151]
	v_pk_mul_f32 v[84:85], v[114:115], v[98:99] op_sel:[1,1] op_sel_hi:[0,1]
	s_delay_alu instid0(VALU_DEP_4)
	v_pk_fma_f32 v[92:93], v[112:113], v[96:97], v[82:83] op_sel_hi:[1,0,1]
	v_pk_fma_f32 v[82:83], v[112:113], v[96:97], v[82:83] neg_lo:[0,0,1] neg_hi:[0,0,1]
	v_pk_mul_f32 v[88:89], v[144:145], v[88:89] op_sel_hi:[1,0]
	v_pk_add_f32 v[78:79], v[86:87], v[78:79]
	v_pk_fma_f32 v[86:87], v[114:115], v[98:99], v[84:85] op_sel_hi:[1,0,1]
	v_mov_b32_e32 v83, v93
	v_pk_fma_f32 v[84:85], v[114:115], v[98:99], v[84:85] neg_lo:[0,0,1] neg_hi:[0,0,1]
	s_wait_loadcnt 0x2
	v_pk_mul_f32 v[90:91], v[118:119], v[102:103] op_sel:[1,1] op_sel_hi:[0,1]
	v_pk_add_f32 v[78:79], v[78:79], v[80:81]
	v_dual_mov_b32 v80, v105 :: v_dual_mov_b32 v85, v87
	v_pk_fma_f32 v[86:87], v[116:117], v[100:101], v[88:89] op_sel_hi:[1,0,1]
	v_pk_fma_f32 v[88:89], v[116:117], v[100:101], v[88:89] neg_lo:[0,0,1] neg_hi:[0,0,1]
	s_delay_alu instid0(VALU_DEP_4)
	v_pk_add_f32 v[78:79], v[78:79], v[82:83]
	v_pk_fma_f32 v[82:83], v[118:119], v[102:103], v[90:91] op_sel_hi:[1,0,1]
	v_pk_mul_f32 v[80:81], v[146:147], v[80:81] op_sel_hi:[1,0]
	v_mov_b32_e32 v89, v87
	s_wait_loadcnt_dscnt 0x100
	v_pk_mul_f32 v[86:87], v[138:139], v[134:135] op_sel:[1,1] op_sel_hi:[0,1]
	v_pk_add_f32 v[78:79], v[78:79], v[84:85]
	v_pk_fma_f32 v[84:85], v[118:119], v[102:103], v[90:91] neg_lo:[0,0,1] neg_hi:[0,0,1]
	v_mov_b32_e32 v85, v83
	v_pk_fma_f32 v[82:83], v[120:121], v[104:105], v[80:81] op_sel_hi:[1,0,1]
	v_pk_fma_f32 v[80:81], v[120:121], v[104:105], v[80:81] neg_lo:[0,0,1] neg_hi:[0,0,1]
	v_pk_add_f32 v[78:79], v[78:79], v[88:89]
	s_delay_alu instid0(VALU_DEP_3) | instskip(SKIP_1) | instid1(VALU_DEP_3)
	v_mov_b32_e32 v81, v83
	v_pk_fma_f32 v[82:83], v[138:139], v[134:135], v[86:87] op_sel_hi:[1,0,1]
	v_pk_add_f32 v[78:79], v[78:79], v[84:85]
	v_pk_fma_f32 v[84:85], v[138:139], v[134:135], v[86:87] neg_lo:[0,0,1] neg_hi:[0,0,1]
	s_delay_alu instid0(VALU_DEP_3) | instskip(NEXT) | instid1(VALU_DEP_3)
	v_mov_b32_e32 v85, v83
	v_pk_add_f32 v[78:79], v[78:79], v[80:81]
	s_delay_alu instid0(VALU_DEP_1) | instskip(SKIP_1) | instid1(VALU_DEP_1)
	v_pk_add_f32 v[78:79], v[78:79], v[84:85]
	s_wait_loadcnt 0x0
	v_pk_add_f32 v[78:79], v[136:137], v[78:79] neg_lo:[0,1] neg_hi:[0,1]
	scratch_store_b64 off, v[78:79], off offset:176
	s_wait_xcnt 0x0
	v_cmpx_lt_u32_e32 21, v0
	s_cbranch_execz .LBB37_199
; %bb.198:
	scratch_load_b64 v[78:79], off, off offset:168
	v_mov_b64_e32 v[80:81], 0
	scratch_store_b64 off, v[80:81], off offset:168
	s_wait_loadcnt 0x0
	ds_store_b64 v1, v[78:79]
.LBB37_199:
	s_wait_xcnt 0x0
	s_or_b32 exec_lo, exec_lo, s0
	s_wait_storecnt_dscnt 0x0
	s_barrier_signal -1
	s_barrier_wait -1
	s_clause 0x8
	scratch_load_b128 v[78:81], off, off offset:176
	scratch_load_b128 v[82:85], off, off offset:192
	;; [unrolled: 1-line block ×8, first 2 shown]
	scratch_load_b64 v[142:143], off, off offset:168
	ds_load_b128 v[110:113], v5 offset:544
	ds_load_b128 v[114:117], v5 offset:560
	;; [unrolled: 1-line block ×8, first 2 shown]
	s_mov_b32 s0, exec_lo
	s_wait_dscnt 0x7
	v_dual_mov_b32 v144, v113 :: v_dual_mov_b32 v145, v112
	s_wait_dscnt 0x6
	v_dual_mov_b32 v146, v117 :: v_dual_mov_b32 v147, v116
	s_wait_dscnt 0x5
	v_dual_mov_b32 v148, v121 :: v_dual_mov_b32 v149, v120
	s_wait_dscnt 0x4
	v_dual_mov_b32 v150, v125 :: v_dual_mov_b32 v151, v124
	s_wait_loadcnt_dscnt 0x803
	v_dual_mul_f32 v5, v126, v79 :: v_dual_mul_f32 v9, v128, v81
	v_dual_mul_f32 v19, v127, v79 :: v_dual_mul_f32 v21, v129, v81
	s_wait_loadcnt_dscnt 0x702
	v_dual_mul_f32 v11, v130, v83 :: v_dual_mul_f32 v13, v132, v85
	s_delay_alu instid0(VALU_DEP_2) | instskip(SKIP_3) | instid1(VALU_DEP_3)
	v_dual_fmac_f32 v5, v127, v78 :: v_dual_fma_f32 v19, v126, v78, -v19
	v_dual_mul_f32 v23, v131, v83 :: v_dual_mul_f32 v25, v133, v85
	s_wait_loadcnt_dscnt 0x500
	v_dual_mul_f32 v31, v139, v91 :: v_dual_fmac_f32 v9, v129, v80
	v_dual_fma_f32 v21, v128, v80, -v21 :: v_dual_add_f32 v5, 0, v5
	v_dual_add_f32 v19, 0, v19 :: v_dual_mul_f32 v33, v141, v93
	v_fmac_f32_e32 v11, v131, v82
	s_delay_alu instid0(VALU_DEP_3) | instskip(NEXT) | instid1(VALU_DEP_3)
	v_dual_fma_f32 v23, v130, v82, -v23 :: v_dual_add_f32 v5, v5, v9
	v_dual_add_f32 v9, v19, v21 :: v_dual_mul_f32 v15, v134, v87
	v_dual_mul_f32 v17, v136, v89 :: v_dual_mul_f32 v27, v135, v87
	v_mul_f32_e32 v29, v137, v89
	s_delay_alu instid0(VALU_DEP_3) | instskip(SKIP_1) | instid1(VALU_DEP_4)
	v_dual_fmac_f32 v13, v133, v84 :: v_dual_fmac_f32 v15, v135, v86
	v_dual_fma_f32 v19, v132, v84, -v25 :: v_dual_add_f32 v5, v5, v11
	v_dual_add_f32 v9, v9, v23 :: v_dual_fma_f32 v11, v134, v86, -v27
	v_dual_mul_f32 v153, v138, v91 :: v_dual_mul_f32 v155, v140, v93
	s_delay_alu instid0(VALU_DEP_3) | instskip(NEXT) | instid1(VALU_DEP_3)
	v_add_f32_e32 v5, v5, v13
	v_dual_add_f32 v9, v9, v19 :: v_dual_fma_f32 v152, v138, v90, -v31
	s_wait_loadcnt 0x4
	v_dual_mov_b32 v80, v97 :: v_dual_fma_f32 v13, v136, v88, -v29
	v_fmac_f32_e32 v17, v137, v88
	s_delay_alu instid0(VALU_DEP_3) | instskip(SKIP_2) | instid1(VALU_DEP_3)
	v_dual_add_f32 v9, v9, v11 :: v_dual_fmac_f32 v153, v139, v90
	v_dual_add_f32 v5, v5, v15 :: v_dual_fma_f32 v154, v140, v92, -v33
	v_pk_mul_f32 v[78:79], v[110:111], v[94:95] op_sel:[1,1] op_sel_hi:[0,1]
	v_add_f32_e32 v86, v9, v13
	v_fmac_f32_e32 v155, v141, v92
	s_delay_alu instid0(VALU_DEP_4)
	v_add_f32_e32 v87, v5, v17
	v_pk_mul_f32 v[80:81], v[144:145], v[80:81] op_sel_hi:[1,0]
	v_pk_fma_f32 v[88:89], v[110:111], v[94:95], v[78:79] op_sel_hi:[1,0,1]
	v_pk_fma_f32 v[78:79], v[110:111], v[94:95], v[78:79] neg_lo:[0,0,1] neg_hi:[0,0,1]
	s_wait_loadcnt 0x3
	v_pk_mul_f32 v[82:83], v[114:115], v[98:99] op_sel:[1,1] op_sel_hi:[0,1]
	v_pk_add_f32 v[86:87], v[86:87], v[152:153]
	v_dual_mov_b32 v84, v101 :: v_dual_mov_b32 v79, v89
	v_pk_fma_f32 v[88:89], v[112:113], v[96:97], v[80:81] op_sel_hi:[1,0,1]
	v_pk_fma_f32 v[80:81], v[112:113], v[96:97], v[80:81] neg_lo:[0,0,1] neg_hi:[0,0,1]
	s_delay_alu instid0(VALU_DEP_4)
	v_pk_add_f32 v[86:87], v[86:87], v[154:155]
	v_pk_fma_f32 v[92:93], v[114:115], v[98:99], v[82:83] op_sel_hi:[1,0,1]
	v_pk_mul_f32 v[84:85], v[146:147], v[84:85] op_sel_hi:[1,0]
	v_mov_b32_e32 v81, v89
	s_wait_loadcnt 0x2
	v_pk_mul_f32 v[90:91], v[118:119], v[102:103] op_sel:[1,1] op_sel_hi:[0,1]
	v_pk_add_f32 v[78:79], v[86:87], v[78:79]
	v_mov_b32_e32 v86, v105
	v_pk_fma_f32 v[82:83], v[114:115], v[98:99], v[82:83] neg_lo:[0,0,1] neg_hi:[0,0,1]
	v_pk_fma_f32 v[88:89], v[116:117], v[100:101], v[84:85] op_sel_hi:[1,0,1]
	v_mov_b32_e32 v83, v93
	v_pk_add_f32 v[78:79], v[78:79], v[80:81]
	v_pk_fma_f32 v[80:81], v[118:119], v[102:103], v[90:91] op_sel_hi:[1,0,1]
	v_pk_mul_f32 v[86:87], v[148:149], v[86:87] op_sel_hi:[1,0]
	v_pk_fma_f32 v[84:85], v[116:117], v[100:101], v[84:85] neg_lo:[0,0,1] neg_hi:[0,0,1]
	v_mov_b32_e32 v85, v89
	v_pk_add_f32 v[78:79], v[78:79], v[82:83]
	v_pk_fma_f32 v[88:89], v[118:119], v[102:103], v[90:91] neg_lo:[0,0,1] neg_hi:[0,0,1]
	v_mov_b32_e32 v89, v81
	v_pk_fma_f32 v[80:81], v[120:121], v[104:105], v[86:87] op_sel_hi:[1,0,1]
	s_wait_loadcnt 0x1
	v_pk_mul_f32 v[82:83], v[122:123], v[106:107] op_sel:[1,1] op_sel_hi:[0,1]
	v_pk_add_f32 v[78:79], v[78:79], v[84:85]
	v_mov_b32_e32 v80, v109
	v_pk_fma_f32 v[86:87], v[120:121], v[104:105], v[86:87] neg_lo:[0,0,1] neg_hi:[0,0,1]
	s_delay_alu instid0(VALU_DEP_4)
	v_pk_fma_f32 v[84:85], v[122:123], v[106:107], v[82:83] op_sel_hi:[1,0,1]
	v_mov_b32_e32 v87, v81
	v_pk_add_f32 v[78:79], v[78:79], v[88:89]
	v_pk_mul_f32 v[80:81], v[150:151], v[80:81] op_sel_hi:[1,0]
	v_pk_fma_f32 v[82:83], v[122:123], v[106:107], v[82:83] neg_lo:[0,0,1] neg_hi:[0,0,1]
	v_mov_b32_e32 v83, v85
	s_delay_alu instid0(VALU_DEP_4) | instskip(NEXT) | instid1(VALU_DEP_4)
	v_pk_add_f32 v[78:79], v[78:79], v[86:87]
	v_pk_fma_f32 v[84:85], v[124:125], v[108:109], v[80:81] op_sel_hi:[1,0,1]
	v_pk_fma_f32 v[80:81], v[124:125], v[108:109], v[80:81] neg_lo:[0,0,1] neg_hi:[0,0,1]
	s_delay_alu instid0(VALU_DEP_3) | instskip(NEXT) | instid1(VALU_DEP_3)
	v_pk_add_f32 v[78:79], v[78:79], v[82:83]
	v_mov_b32_e32 v81, v85
	s_delay_alu instid0(VALU_DEP_1) | instskip(SKIP_1) | instid1(VALU_DEP_1)
	v_pk_add_f32 v[78:79], v[78:79], v[80:81]
	s_wait_loadcnt 0x0
	v_pk_add_f32 v[78:79], v[142:143], v[78:79] neg_lo:[0,1] neg_hi:[0,1]
	scratch_store_b64 off, v[78:79], off offset:168
	s_wait_xcnt 0x0
	v_cmpx_lt_u32_e32 20, v0
	s_cbranch_execz .LBB37_201
; %bb.200:
	scratch_load_b64 v[78:79], off, off offset:160
	v_mov_b64_e32 v[80:81], 0
	scratch_store_b64 off, v[80:81], off offset:160
	s_wait_loadcnt 0x0
	ds_store_b64 v1, v[78:79]
.LBB37_201:
	s_wait_xcnt 0x0
	s_or_b32 exec_lo, exec_lo, s0
	s_wait_storecnt_dscnt 0x0
	s_barrier_signal -1
	s_barrier_wait -1
	s_clause 0x9
	scratch_load_b128 v[78:81], off, off offset:168
	scratch_load_b128 v[82:85], off, off offset:184
	scratch_load_b128 v[86:89], off, off offset:200
	scratch_load_b128 v[90:93], off, off offset:216
	scratch_load_b128 v[94:97], off, off offset:232
	scratch_load_b128 v[98:101], off, off offset:248
	scratch_load_b128 v[102:105], off, off offset:264
	scratch_load_b128 v[106:109], off, off offset:280
	scratch_load_b64 v[142:143], off, off offset:296
	scratch_load_b64 v[144:145], off, off offset:160
	v_mov_b32_e32 v5, 0
	ds_load_2addr_b64 v[110:113], v5 offset0:67 offset1:68
	ds_load_2addr_b64 v[114:117], v5 offset0:69 offset1:70
	;; [unrolled: 1-line block ×8, first 2 shown]
	ds_load_b64 v[146:147], v5 offset:600
	s_mov_b32 s0, exec_lo
	s_wait_dscnt 0x8
	v_dual_mov_b32 v148, v113 :: v_dual_mov_b32 v149, v112
	s_wait_dscnt 0x5
	v_dual_mov_b32 v150, v117 :: v_dual_mov_b32 v155, v124
	v_dual_mov_b32 v151, v116 :: v_dual_mov_b32 v152, v121
	;; [unrolled: 1-line block ×3, first 2 shown]
	s_wait_loadcnt_dscnt 0x904
	v_dual_mul_f32 v9, v126, v79 :: v_dual_mul_f32 v23, v127, v79
	v_dual_mul_f32 v25, v129, v81 :: v_dual_mul_f32 v11, v128, v81
	s_wait_loadcnt_dscnt 0x803
	v_mul_f32_e32 v13, v130, v83
	s_wait_loadcnt_dscnt 0x601
	v_dual_mul_f32 v35, v139, v91 :: v_dual_fma_f32 v23, v126, v78, -v23
	v_dual_fmac_f32 v9, v127, v78 :: v_dual_mul_f32 v37, v141, v93
	v_dual_mul_f32 v27, v131, v83 :: v_dual_mul_f32 v29, v133, v85
	v_dual_fmac_f32 v11, v129, v80 :: v_dual_fma_f32 v25, v128, v80, -v25
	s_delay_alu instid0(VALU_DEP_3) | instskip(SKIP_3) | instid1(VALU_DEP_3)
	v_dual_add_f32 v9, 0, v9 :: v_dual_add_f32 v23, 0, v23
	v_dual_mul_f32 v15, v132, v85 :: v_dual_mul_f32 v17, v134, v87
	s_wait_loadcnt 0x5
	v_dual_mul_f32 v39, v111, v95 :: v_dual_fma_f32 v27, v130, v82, -v27
	v_dual_fmac_f32 v13, v131, v82 :: v_dual_add_f32 v9, v9, v11
	v_dual_add_f32 v11, v23, v25 :: v_dual_mov_b32 v78, v97
	v_dual_mul_f32 v31, v135, v87 :: v_dual_mul_f32 v33, v137, v89
	v_dual_fmac_f32 v15, v133, v84 :: v_dual_fma_f32 v23, v132, v84, -v29
	s_delay_alu instid0(VALU_DEP_3) | instskip(SKIP_1) | instid1(VALU_DEP_4)
	v_dual_add_f32 v9, v9, v13 :: v_dual_add_f32 v11, v11, v27
	v_dual_mul_f32 v19, v136, v89 :: v_dual_mul_f32 v21, v138, v91
	v_dual_fmac_f32 v17, v135, v86 :: v_dual_fma_f32 v13, v134, v86, -v31
	s_delay_alu instid0(VALU_DEP_3) | instskip(SKIP_3) | instid1(VALU_DEP_3)
	v_dual_add_f32 v9, v9, v15 :: v_dual_fma_f32 v15, v136, v88, -v33
	s_wait_loadcnt 0x4
	v_dual_add_f32 v11, v11, v23 :: v_dual_mov_b32 v82, v101
	v_fmac_f32_e32 v19, v137, v88
	v_dual_add_f32 v9, v9, v17 :: v_dual_fmac_f32 v21, v139, v90
	s_delay_alu instid0(VALU_DEP_3) | instskip(SKIP_1) | instid1(VALU_DEP_3)
	v_add_f32_e32 v11, v11, v13
	v_dual_mul_f32 v157, v140, v93 :: v_dual_mul_f32 v159, v110, v95
	v_dual_fma_f32 v13, v138, v90, -v35 :: v_dual_add_f32 v9, v9, v19
	s_delay_alu instid0(VALU_DEP_2) | instskip(SKIP_1) | instid1(VALU_DEP_3)
	v_dual_add_f32 v11, v11, v15 :: v_dual_fmac_f32 v157, v141, v92
	v_pk_mul_f32 v[80:81], v[114:115], v[98:99] op_sel:[1,1] op_sel_hi:[0,1]
	v_dual_fma_f32 v156, v140, v92, -v37 :: v_dual_add_f32 v87, v9, v21
	v_pk_mul_f32 v[78:79], v[148:149], v[78:79] op_sel_hi:[1,0]
	s_wait_loadcnt 0x3
	v_dual_add_f32 v86, v11, v13 :: v_dual_mov_b32 v88, v105
	v_pk_fma_f32 v[92:93], v[114:115], v[98:99], v[80:81] op_sel_hi:[1,0,1]
	v_fmac_f32_e32 v159, v111, v94
	v_pk_fma_f32 v[90:91], v[112:113], v[96:97], v[78:79] op_sel_hi:[1,0,1]
	v_fma_f32 v158, v110, v94, -v39
	v_pk_add_f32 v[86:87], v[86:87], v[156:157]
	v_pk_fma_f32 v[78:79], v[112:113], v[96:97], v[78:79] neg_lo:[0,0,1] neg_hi:[0,0,1]
	v_pk_fma_f32 v[80:81], v[114:115], v[98:99], v[80:81] neg_lo:[0,0,1] neg_hi:[0,0,1]
	v_pk_mul_f32 v[82:83], v[150:151], v[82:83] op_sel_hi:[1,0]
	v_dual_mov_b32 v79, v91 :: v_dual_mov_b32 v81, v93
	v_pk_add_f32 v[86:87], v[86:87], v[158:159]
	v_pk_mul_f32 v[84:85], v[118:119], v[102:103] op_sel:[1,1] op_sel_hi:[0,1]
	s_delay_alu instid0(VALU_DEP_4)
	v_pk_fma_f32 v[92:93], v[116:117], v[100:101], v[82:83] op_sel_hi:[1,0,1]
	v_pk_fma_f32 v[82:83], v[116:117], v[100:101], v[82:83] neg_lo:[0,0,1] neg_hi:[0,0,1]
	v_pk_mul_f32 v[88:89], v[152:153], v[88:89] op_sel_hi:[1,0]
	v_pk_add_f32 v[78:79], v[86:87], v[78:79]
	v_pk_fma_f32 v[86:87], v[118:119], v[102:103], v[84:85] op_sel_hi:[1,0,1]
	v_mov_b32_e32 v83, v93
	v_pk_fma_f32 v[84:85], v[118:119], v[102:103], v[84:85] neg_lo:[0,0,1] neg_hi:[0,0,1]
	s_wait_loadcnt 0x2
	v_pk_mul_f32 v[90:91], v[122:123], v[106:107] op_sel:[1,1] op_sel_hi:[0,1]
	v_pk_add_f32 v[78:79], v[78:79], v[80:81]
	v_dual_mov_b32 v80, v109 :: v_dual_mov_b32 v85, v87
	v_pk_fma_f32 v[86:87], v[120:121], v[104:105], v[88:89] op_sel_hi:[1,0,1]
	v_pk_fma_f32 v[88:89], v[120:121], v[104:105], v[88:89] neg_lo:[0,0,1] neg_hi:[0,0,1]
	s_delay_alu instid0(VALU_DEP_4)
	v_pk_add_f32 v[78:79], v[78:79], v[82:83]
	v_pk_fma_f32 v[82:83], v[122:123], v[106:107], v[90:91] op_sel_hi:[1,0,1]
	v_pk_mul_f32 v[80:81], v[154:155], v[80:81] op_sel_hi:[1,0]
	v_mov_b32_e32 v89, v87
	s_wait_loadcnt_dscnt 0x100
	v_pk_mul_f32 v[86:87], v[146:147], v[142:143] op_sel:[1,1] op_sel_hi:[0,1]
	v_pk_add_f32 v[78:79], v[78:79], v[84:85]
	v_pk_fma_f32 v[84:85], v[122:123], v[106:107], v[90:91] neg_lo:[0,0,1] neg_hi:[0,0,1]
	v_mov_b32_e32 v85, v83
	v_pk_fma_f32 v[82:83], v[124:125], v[108:109], v[80:81] op_sel_hi:[1,0,1]
	v_pk_fma_f32 v[80:81], v[124:125], v[108:109], v[80:81] neg_lo:[0,0,1] neg_hi:[0,0,1]
	v_pk_add_f32 v[78:79], v[78:79], v[88:89]
	s_delay_alu instid0(VALU_DEP_3) | instskip(SKIP_1) | instid1(VALU_DEP_3)
	v_mov_b32_e32 v81, v83
	v_pk_fma_f32 v[82:83], v[146:147], v[142:143], v[86:87] op_sel_hi:[1,0,1]
	v_pk_add_f32 v[78:79], v[78:79], v[84:85]
	v_pk_fma_f32 v[84:85], v[146:147], v[142:143], v[86:87] neg_lo:[0,0,1] neg_hi:[0,0,1]
	s_delay_alu instid0(VALU_DEP_3) | instskip(NEXT) | instid1(VALU_DEP_3)
	v_mov_b32_e32 v85, v83
	v_pk_add_f32 v[78:79], v[78:79], v[80:81]
	s_delay_alu instid0(VALU_DEP_1) | instskip(SKIP_1) | instid1(VALU_DEP_1)
	v_pk_add_f32 v[78:79], v[78:79], v[84:85]
	s_wait_loadcnt 0x0
	v_pk_add_f32 v[78:79], v[144:145], v[78:79] neg_lo:[0,1] neg_hi:[0,1]
	scratch_store_b64 off, v[78:79], off offset:160
	s_wait_xcnt 0x0
	v_cmpx_lt_u32_e32 19, v0
	s_cbranch_execz .LBB37_203
; %bb.202:
	scratch_load_b64 v[78:79], off, off offset:152
	v_mov_b64_e32 v[80:81], 0
	scratch_store_b64 off, v[80:81], off offset:152
	s_wait_loadcnt 0x0
	ds_store_b64 v1, v[78:79]
.LBB37_203:
	s_wait_xcnt 0x0
	s_or_b32 exec_lo, exec_lo, s0
	s_wait_storecnt_dscnt 0x0
	s_barrier_signal -1
	s_barrier_wait -1
	s_clause 0x9
	scratch_load_b128 v[78:81], off, off offset:160
	scratch_load_b128 v[82:85], off, off offset:176
	;; [unrolled: 1-line block ×9, first 2 shown]
	scratch_load_b64 v[150:151], off, off offset:152
	ds_load_b128 v[114:117], v5 offset:544
	ds_load_b128 v[118:121], v5 offset:560
	ds_load_b128 v[122:125], v5 offset:576
	ds_load_b128 v[126:129], v5 offset:592
	ds_load_b128 v[130:133], v5 offset:464
	ds_load_b128 v[134:137], v5 offset:480
	ds_load_b128 v[138:141], v5 offset:496
	ds_load_b128 v[142:145], v5 offset:512
	ds_load_b128 v[146:149], v5 offset:528
	s_mov_b32 s0, exec_lo
	s_wait_dscnt 0x8
	v_dual_mov_b32 v152, v117 :: v_dual_mov_b32 v153, v116
	s_wait_dscnt 0x7
	v_dual_mov_b32 v154, v121 :: v_dual_mov_b32 v155, v120
	;; [unrolled: 2-line block ×4, first 2 shown]
	s_wait_loadcnt_dscnt 0x904
	v_dual_mul_f32 v5, v130, v79 :: v_dual_mul_f32 v9, v132, v81
	v_dual_mul_f32 v23, v131, v79 :: v_dual_mul_f32 v25, v133, v81
	s_wait_loadcnt_dscnt 0x803
	v_dual_mul_f32 v11, v134, v83 :: v_dual_mul_f32 v13, v136, v85
	s_delay_alu instid0(VALU_DEP_2) | instskip(SKIP_3) | instid1(VALU_DEP_3)
	v_dual_fmac_f32 v5, v131, v78 :: v_dual_fma_f32 v23, v130, v78, -v23
	v_dual_mul_f32 v27, v135, v83 :: v_dual_mul_f32 v29, v137, v85
	s_wait_loadcnt_dscnt 0x601
	v_dual_mul_f32 v35, v143, v91 :: v_dual_fmac_f32 v9, v133, v80
	v_dual_fma_f32 v25, v132, v80, -v25 :: v_dual_add_f32 v5, 0, v5
	v_dual_add_f32 v23, 0, v23 :: v_dual_mul_f32 v37, v145, v93
	v_fmac_f32_e32 v11, v135, v82
	s_delay_alu instid0(VALU_DEP_3) | instskip(NEXT) | instid1(VALU_DEP_3)
	v_dual_fma_f32 v27, v134, v82, -v27 :: v_dual_add_f32 v5, v5, v9
	v_dual_add_f32 v9, v23, v25 :: v_dual_mul_f32 v15, v138, v87
	v_dual_mul_f32 v17, v140, v89 :: v_dual_mul_f32 v31, v139, v87
	s_wait_loadcnt_dscnt 0x500
	v_dual_mul_f32 v33, v141, v89 :: v_dual_mul_f32 v23, v147, v95
	v_fmac_f32_e32 v13, v137, v84
	v_dual_fma_f32 v25, v136, v84, -v29 :: v_dual_add_f32 v5, v5, v11
	v_dual_add_f32 v9, v9, v27 :: v_dual_fmac_f32 v15, v139, v86
	v_dual_mul_f32 v19, v142, v91 :: v_dual_mul_f32 v21, v144, v93
	v_dual_mul_f32 v11, v149, v97 :: v_dual_fma_f32 v27, v138, v86, -v31
	s_delay_alu instid0(VALU_DEP_4) | instskip(NEXT) | instid1(VALU_DEP_3)
	v_dual_add_f32 v5, v5, v13 :: v_dual_fma_f32 v13, v140, v88, -v33
	v_dual_add_f32 v9, v9, v25 :: v_dual_fmac_f32 v19, v143, v90
	v_dual_mul_f32 v161, v146, v95 :: v_dual_mul_f32 v163, v148, v97
	v_fmac_f32_e32 v17, v141, v88
	s_delay_alu instid0(VALU_DEP_4) | instskip(NEXT) | instid1(VALU_DEP_3)
	v_add_f32_e32 v5, v5, v15
	v_dual_add_f32 v9, v9, v27 :: v_dual_fmac_f32 v161, v147, v94
	v_dual_fma_f32 v15, v142, v90, -v35 :: v_dual_fmac_f32 v21, v145, v92
	s_delay_alu instid0(VALU_DEP_2)
	v_dual_fma_f32 v160, v146, v94, -v23 :: v_dual_add_f32 v9, v9, v13
	v_fma_f32 v162, v148, v96, -v11
	v_dual_fma_f32 v13, v144, v92, -v37 :: v_dual_add_f32 v5, v5, v17
	s_wait_loadcnt 0x4
	v_pk_mul_f32 v[78:79], v[114:115], v[98:99] op_sel:[1,1] op_sel_hi:[0,1]
	v_add_f32_e32 v9, v9, v15
	s_wait_loadcnt 0x3
	v_dual_mov_b32 v80, v101 :: v_dual_mov_b32 v84, v105
	v_add_f32_e32 v5, v5, v19
	v_fmac_f32_e32 v163, v149, v96
	v_add_f32_e32 v86, v9, v13
	v_pk_fma_f32 v[88:89], v[114:115], v[98:99], v[78:79] op_sel_hi:[1,0,1]
	v_pk_mul_f32 v[80:81], v[152:153], v[80:81] op_sel_hi:[1,0]
	v_add_f32_e32 v87, v5, v21
	v_pk_fma_f32 v[78:79], v[114:115], v[98:99], v[78:79] neg_lo:[0,0,1] neg_hi:[0,0,1]
	v_pk_mul_f32 v[82:83], v[118:119], v[102:103] op_sel:[1,1] op_sel_hi:[0,1]
	v_mov_b32_e32 v79, v89
	v_pk_fma_f32 v[88:89], v[116:117], v[100:101], v[80:81] op_sel_hi:[1,0,1]
	v_pk_add_f32 v[86:87], v[86:87], v[160:161]
	v_pk_fma_f32 v[80:81], v[116:117], v[100:101], v[80:81] neg_lo:[0,0,1] neg_hi:[0,0,1]
	v_pk_fma_f32 v[92:93], v[118:119], v[102:103], v[82:83] op_sel_hi:[1,0,1]
	v_pk_mul_f32 v[84:85], v[154:155], v[84:85] op_sel_hi:[1,0]
	v_mov_b32_e32 v81, v89
	v_pk_add_f32 v[86:87], v[86:87], v[162:163]
	s_wait_loadcnt 0x2
	v_pk_mul_f32 v[90:91], v[122:123], v[106:107] op_sel:[1,1] op_sel_hi:[0,1]
	v_pk_fma_f32 v[82:83], v[118:119], v[102:103], v[82:83] neg_lo:[0,0,1] neg_hi:[0,0,1]
	v_mov_b32_e32 v83, v93
	v_pk_fma_f32 v[88:89], v[120:121], v[104:105], v[84:85] op_sel_hi:[1,0,1]
	v_pk_add_f32 v[78:79], v[86:87], v[78:79]
	v_mov_b32_e32 v86, v109
	v_pk_fma_f32 v[84:85], v[120:121], v[104:105], v[84:85] neg_lo:[0,0,1] neg_hi:[0,0,1]
	s_delay_alu instid0(VALU_DEP_3) | instskip(SKIP_1) | instid1(VALU_DEP_4)
	v_pk_add_f32 v[78:79], v[78:79], v[80:81]
	v_pk_fma_f32 v[80:81], v[122:123], v[106:107], v[90:91] op_sel_hi:[1,0,1]
	v_pk_mul_f32 v[86:87], v[156:157], v[86:87] op_sel_hi:[1,0]
	v_mov_b32_e32 v85, v89
	v_pk_fma_f32 v[88:89], v[122:123], v[106:107], v[90:91] neg_lo:[0,0,1] neg_hi:[0,0,1]
	v_pk_add_f32 v[78:79], v[78:79], v[82:83]
	v_mov_b32_e32 v89, v81
	v_pk_fma_f32 v[80:81], v[124:125], v[108:109], v[86:87] op_sel_hi:[1,0,1]
	s_wait_loadcnt 0x1
	v_pk_mul_f32 v[82:83], v[126:127], v[110:111] op_sel:[1,1] op_sel_hi:[0,1]
	v_mov_b32_e32 v80, v113
	v_pk_add_f32 v[78:79], v[78:79], v[84:85]
	v_pk_fma_f32 v[86:87], v[124:125], v[108:109], v[86:87] neg_lo:[0,0,1] neg_hi:[0,0,1]
	v_mov_b32_e32 v87, v81
	v_pk_fma_f32 v[84:85], v[126:127], v[110:111], v[82:83] op_sel_hi:[1,0,1]
	v_pk_mul_f32 v[80:81], v[158:159], v[80:81] op_sel_hi:[1,0]
	v_pk_add_f32 v[78:79], v[78:79], v[88:89]
	v_pk_fma_f32 v[82:83], v[126:127], v[110:111], v[82:83] neg_lo:[0,0,1] neg_hi:[0,0,1]
	s_delay_alu instid0(VALU_DEP_4) | instskip(NEXT) | instid1(VALU_DEP_4)
	v_mov_b32_e32 v83, v85
	v_pk_fma_f32 v[84:85], v[128:129], v[112:113], v[80:81] op_sel_hi:[1,0,1]
	s_delay_alu instid0(VALU_DEP_4) | instskip(SKIP_1) | instid1(VALU_DEP_3)
	v_pk_add_f32 v[78:79], v[78:79], v[86:87]
	v_pk_fma_f32 v[80:81], v[128:129], v[112:113], v[80:81] neg_lo:[0,0,1] neg_hi:[0,0,1]
	v_mov_b32_e32 v81, v85
	s_delay_alu instid0(VALU_DEP_3) | instskip(NEXT) | instid1(VALU_DEP_1)
	v_pk_add_f32 v[78:79], v[78:79], v[82:83]
	v_pk_add_f32 v[78:79], v[78:79], v[80:81]
	s_wait_loadcnt 0x0
	s_delay_alu instid0(VALU_DEP_1)
	v_pk_add_f32 v[78:79], v[150:151], v[78:79] neg_lo:[0,1] neg_hi:[0,1]
	scratch_store_b64 off, v[78:79], off offset:152
	s_wait_xcnt 0x0
	v_cmpx_lt_u32_e32 18, v0
	s_cbranch_execz .LBB37_205
; %bb.204:
	scratch_load_b64 v[78:79], off, off offset:144
	v_mov_b64_e32 v[80:81], 0
	scratch_store_b64 off, v[80:81], off offset:144
	s_wait_loadcnt 0x0
	ds_store_b64 v1, v[78:79]
.LBB37_205:
	s_wait_xcnt 0x0
	s_or_b32 exec_lo, exec_lo, s0
	s_wait_storecnt_dscnt 0x0
	s_barrier_signal -1
	s_barrier_wait -1
	s_clause 0xa
	scratch_load_b128 v[78:81], off, off offset:152
	scratch_load_b128 v[82:85], off, off offset:168
	;; [unrolled: 1-line block ×9, first 2 shown]
	scratch_load_b64 v[150:151], off, off offset:296
	scratch_load_b64 v[152:153], off, off offset:144
	v_mov_b32_e32 v5, 0
	ds_load_2addr_b64 v[114:117], v5 offset0:67 offset1:68
	ds_load_2addr_b64 v[118:121], v5 offset0:69 offset1:70
	;; [unrolled: 1-line block ×9, first 2 shown]
	ds_load_b64 v[154:155], v5 offset:600
	s_mov_b32 s0, exec_lo
	s_wait_dscnt 0x9
	v_dual_mov_b32 v156, v117 :: v_dual_mov_b32 v157, v116
	s_wait_dscnt 0x6
	v_dual_mov_b32 v158, v121 :: v_dual_mov_b32 v163, v128
	v_dual_mov_b32 v159, v120 :: v_dual_mov_b32 v160, v125
	;; [unrolled: 1-line block ×3, first 2 shown]
	s_wait_loadcnt_dscnt 0xa05
	v_dual_mul_f32 v9, v130, v79 :: v_dual_mul_f32 v27, v131, v79
	v_dual_mul_f32 v29, v133, v81 :: v_dual_mul_f32 v11, v132, v81
	s_wait_loadcnt_dscnt 0x904
	v_mul_f32_e32 v13, v134, v83
	s_wait_loadcnt_dscnt 0x702
	v_dual_mul_f32 v39, v143, v91 :: v_dual_fma_f32 v27, v130, v78, -v27
	v_dual_fmac_f32 v9, v131, v78 :: v_dual_mul_f32 v41, v145, v93
	v_dual_mul_f32 v31, v135, v83 :: v_dual_mul_f32 v33, v137, v85
	v_dual_fmac_f32 v11, v133, v80 :: v_dual_fma_f32 v29, v132, v80, -v29
	s_delay_alu instid0(VALU_DEP_3) | instskip(SKIP_3) | instid1(VALU_DEP_3)
	v_dual_add_f32 v9, 0, v9 :: v_dual_add_f32 v27, 0, v27
	v_dual_mul_f32 v15, v136, v85 :: v_dual_mul_f32 v17, v138, v87
	s_wait_loadcnt_dscnt 0x601
	v_dual_mul_f32 v43, v147, v95 :: v_dual_fma_f32 v31, v134, v82, -v31
	v_dual_fmac_f32 v13, v135, v82 :: v_dual_add_f32 v9, v9, v11
	s_delay_alu instid0(VALU_DEP_3) | instskip(SKIP_2) | instid1(VALU_DEP_3)
	v_dual_add_f32 v11, v27, v29 :: v_dual_fmac_f32 v15, v137, v84
	v_dual_mul_f32 v35, v139, v87 :: v_dual_mul_f32 v37, v141, v89
	v_dual_mul_f32 v27, v149, v97 :: v_dual_fma_f32 v29, v136, v84, -v33
	v_dual_add_f32 v9, v9, v13 :: v_dual_add_f32 v11, v11, v31
	v_dual_mul_f32 v19, v140, v89 :: v_dual_mul_f32 v21, v142, v91
	s_wait_loadcnt 0x5
	v_dual_mul_f32 v13, v115, v99 :: v_dual_fma_f32 v31, v138, v86, -v35
	s_delay_alu instid0(VALU_DEP_3) | instskip(SKIP_2) | instid1(VALU_DEP_2)
	v_dual_fmac_f32 v17, v139, v86 :: v_dual_add_f32 v9, v9, v15
	v_dual_add_f32 v11, v11, v29 :: v_dual_mov_b32 v78, v101
	v_dual_fmac_f32 v19, v141, v88 :: v_dual_fma_f32 v15, v140, v88, -v37
	v_dual_add_f32 v9, v9, v17 :: v_dual_add_f32 v11, v11, v31
	v_dual_mul_f32 v23, v144, v93 :: v_dual_mul_f32 v25, v146, v95
	v_dual_fmac_f32 v21, v143, v90 :: v_dual_fma_f32 v17, v142, v90, -v39
	s_delay_alu instid0(VALU_DEP_3) | instskip(SKIP_3) | instid1(VALU_DEP_3)
	v_add_f32_e32 v9, v9, v19
	s_wait_loadcnt 0x4
	v_dual_add_f32 v11, v11, v15 :: v_dual_mov_b32 v82, v105
	v_dual_fmac_f32 v23, v145, v92 :: v_dual_fma_f32 v15, v144, v92, -v41
	v_dual_add_f32 v9, v9, v21 :: v_dual_fmac_f32 v25, v147, v94
	s_delay_alu instid0(VALU_DEP_3) | instskip(SKIP_1) | instid1(VALU_DEP_3)
	v_add_f32_e32 v11, v11, v17
	v_dual_mul_f32 v165, v148, v97 :: v_dual_mul_f32 v167, v114, v99
	v_dual_fma_f32 v17, v146, v94, -v43 :: v_dual_add_f32 v9, v9, v23
	s_delay_alu instid0(VALU_DEP_2) | instskip(SKIP_2) | instid1(VALU_DEP_4)
	v_dual_add_f32 v11, v11, v15 :: v_dual_fmac_f32 v165, v149, v96
	v_fma_f32 v164, v148, v96, -v27
	v_pk_mul_f32 v[78:79], v[156:157], v[78:79] op_sel_hi:[1,0]
	v_add_f32_e32 v87, v9, v25
	s_wait_loadcnt 0x3
	v_dual_add_f32 v86, v11, v17 :: v_dual_mov_b32 v88, v109
	v_pk_mul_f32 v[80:81], v[118:119], v[102:103] op_sel:[1,1] op_sel_hi:[0,1]
	v_dual_fmac_f32 v167, v115, v98 :: v_dual_fma_f32 v166, v114, v98, -v13
	v_pk_fma_f32 v[90:91], v[116:117], v[100:101], v[78:79] op_sel_hi:[1,0,1]
	s_delay_alu instid0(VALU_DEP_4)
	v_pk_add_f32 v[86:87], v[86:87], v[164:165]
	v_pk_fma_f32 v[78:79], v[116:117], v[100:101], v[78:79] neg_lo:[0,0,1] neg_hi:[0,0,1]
	v_pk_fma_f32 v[92:93], v[118:119], v[102:103], v[80:81] op_sel_hi:[1,0,1]
	v_pk_mul_f32 v[82:83], v[158:159], v[82:83] op_sel_hi:[1,0]
	v_mov_b32_e32 v79, v91
	v_pk_add_f32 v[86:87], v[86:87], v[166:167]
	v_pk_fma_f32 v[80:81], v[118:119], v[102:103], v[80:81] neg_lo:[0,0,1] neg_hi:[0,0,1]
	v_pk_mul_f32 v[84:85], v[122:123], v[106:107] op_sel:[1,1] op_sel_hi:[0,1]
	v_mov_b32_e32 v81, v93
	v_pk_fma_f32 v[92:93], v[120:121], v[104:105], v[82:83] op_sel_hi:[1,0,1]
	v_pk_add_f32 v[78:79], v[86:87], v[78:79]
	v_pk_fma_f32 v[82:83], v[120:121], v[104:105], v[82:83] neg_lo:[0,0,1] neg_hi:[0,0,1]
	v_pk_fma_f32 v[86:87], v[122:123], v[106:107], v[84:85] op_sel_hi:[1,0,1]
	v_pk_mul_f32 v[88:89], v[160:161], v[88:89] op_sel_hi:[1,0]
	v_mov_b32_e32 v83, v93
	v_pk_add_f32 v[78:79], v[78:79], v[80:81]
	v_pk_fma_f32 v[84:85], v[122:123], v[106:107], v[84:85] neg_lo:[0,0,1] neg_hi:[0,0,1]
	s_wait_loadcnt 0x2
	v_pk_mul_f32 v[90:91], v[126:127], v[110:111] op_sel:[1,1] op_sel_hi:[0,1]
	v_dual_mov_b32 v80, v113 :: v_dual_mov_b32 v85, v87
	v_pk_fma_f32 v[86:87], v[124:125], v[108:109], v[88:89] op_sel_hi:[1,0,1]
	v_pk_add_f32 v[78:79], v[78:79], v[82:83]
	v_pk_fma_f32 v[88:89], v[124:125], v[108:109], v[88:89] neg_lo:[0,0,1] neg_hi:[0,0,1]
	v_pk_fma_f32 v[82:83], v[126:127], v[110:111], v[90:91] op_sel_hi:[1,0,1]
	v_pk_mul_f32 v[80:81], v[162:163], v[80:81] op_sel_hi:[1,0]
	v_mov_b32_e32 v89, v87
	v_pk_add_f32 v[78:79], v[78:79], v[84:85]
	v_pk_fma_f32 v[84:85], v[126:127], v[110:111], v[90:91] neg_lo:[0,0,1] neg_hi:[0,0,1]
	v_mov_b32_e32 v85, v83
	v_pk_fma_f32 v[82:83], v[128:129], v[112:113], v[80:81] op_sel_hi:[1,0,1]
	s_wait_loadcnt_dscnt 0x100
	v_pk_mul_f32 v[86:87], v[154:155], v[150:151] op_sel:[1,1] op_sel_hi:[0,1]
	v_pk_add_f32 v[78:79], v[78:79], v[88:89]
	v_pk_fma_f32 v[80:81], v[128:129], v[112:113], v[80:81] neg_lo:[0,0,1] neg_hi:[0,0,1]
	v_mov_b32_e32 v81, v83
	s_delay_alu instid0(VALU_DEP_4) | instskip(NEXT) | instid1(VALU_DEP_4)
	v_pk_fma_f32 v[82:83], v[154:155], v[150:151], v[86:87] op_sel_hi:[1,0,1]
	v_pk_add_f32 v[78:79], v[78:79], v[84:85]
	v_pk_fma_f32 v[84:85], v[154:155], v[150:151], v[86:87] neg_lo:[0,0,1] neg_hi:[0,0,1]
	s_delay_alu instid0(VALU_DEP_3) | instskip(NEXT) | instid1(VALU_DEP_3)
	v_mov_b32_e32 v85, v83
	v_pk_add_f32 v[78:79], v[78:79], v[80:81]
	s_delay_alu instid0(VALU_DEP_1) | instskip(SKIP_1) | instid1(VALU_DEP_1)
	v_pk_add_f32 v[78:79], v[78:79], v[84:85]
	s_wait_loadcnt 0x0
	v_pk_add_f32 v[78:79], v[152:153], v[78:79] neg_lo:[0,1] neg_hi:[0,1]
	scratch_store_b64 off, v[78:79], off offset:144
	s_wait_xcnt 0x0
	v_cmpx_lt_u32_e32 17, v0
	s_cbranch_execz .LBB37_207
; %bb.206:
	scratch_load_b64 v[78:79], off, off offset:136
	v_mov_b64_e32 v[80:81], 0
	scratch_store_b64 off, v[80:81], off offset:136
	s_wait_loadcnt 0x0
	ds_store_b64 v1, v[78:79]
.LBB37_207:
	s_wait_xcnt 0x0
	s_or_b32 exec_lo, exec_lo, s0
	s_wait_storecnt_dscnt 0x0
	s_barrier_signal -1
	s_barrier_wait -1
	s_clause 0xa
	scratch_load_b128 v[78:81], off, off offset:144
	scratch_load_b128 v[82:85], off, off offset:160
	;; [unrolled: 1-line block ×10, first 2 shown]
	scratch_load_b64 v[158:159], off, off offset:136
	ds_load_b128 v[118:121], v5 offset:544
	ds_load_b128 v[122:125], v5 offset:560
	;; [unrolled: 1-line block ×10, first 2 shown]
	s_mov_b32 s0, exec_lo
	s_wait_dscnt 0x9
	v_dual_mov_b32 v160, v121 :: v_dual_mov_b32 v161, v120
	s_wait_dscnt 0x8
	v_dual_mov_b32 v162, v125 :: v_dual_mov_b32 v163, v124
	;; [unrolled: 2-line block ×4, first 2 shown]
	s_wait_loadcnt_dscnt 0xa05
	v_dual_mul_f32 v5, v134, v79 :: v_dual_mul_f32 v9, v136, v81
	v_dual_mul_f32 v27, v135, v79 :: v_dual_mul_f32 v29, v137, v81
	s_wait_loadcnt_dscnt 0x904
	v_dual_mul_f32 v11, v138, v83 :: v_dual_mul_f32 v13, v140, v85
	s_delay_alu instid0(VALU_DEP_2) | instskip(SKIP_3) | instid1(VALU_DEP_3)
	v_dual_fmac_f32 v5, v135, v78 :: v_dual_fma_f32 v27, v134, v78, -v27
	v_dual_mul_f32 v31, v139, v83 :: v_dual_mul_f32 v33, v141, v85
	s_wait_loadcnt_dscnt 0x702
	v_dual_mul_f32 v39, v147, v91 :: v_dual_fmac_f32 v9, v137, v80
	v_dual_fma_f32 v29, v136, v80, -v29 :: v_dual_add_f32 v5, 0, v5
	v_dual_add_f32 v27, 0, v27 :: v_dual_mul_f32 v41, v149, v93
	v_fmac_f32_e32 v11, v139, v82
	s_delay_alu instid0(VALU_DEP_3) | instskip(NEXT) | instid1(VALU_DEP_3)
	v_dual_fma_f32 v31, v138, v82, -v31 :: v_dual_add_f32 v5, v5, v9
	v_dual_add_f32 v9, v27, v29 :: v_dual_mul_f32 v15, v142, v87
	v_dual_mul_f32 v17, v144, v89 :: v_dual_mul_f32 v35, v143, v87
	s_wait_loadcnt_dscnt 0x601
	v_dual_mul_f32 v37, v145, v89 :: v_dual_mul_f32 v27, v151, v95
	v_fmac_f32_e32 v13, v141, v84
	v_dual_fma_f32 v29, v140, v84, -v33 :: v_dual_add_f32 v5, v5, v11
	v_dual_add_f32 v9, v9, v31 :: v_dual_fmac_f32 v15, v143, v86
	v_dual_mul_f32 v11, v153, v97 :: v_dual_fma_f32 v31, v142, v86, -v35
	s_wait_loadcnt_dscnt 0x500
	s_delay_alu instid0(VALU_DEP_3) | instskip(NEXT) | instid1(VALU_DEP_3)
	v_dual_add_f32 v5, v5, v13 :: v_dual_mul_f32 v13, v155, v99
	v_dual_add_f32 v9, v9, v29 :: v_dual_fma_f32 v29, v144, v88, -v37
	v_dual_mul_f32 v19, v146, v91 :: v_dual_mul_f32 v21, v148, v93
	v_fmac_f32_e32 v17, v145, v88
	s_delay_alu instid0(VALU_DEP_4) | instskip(NEXT) | instid1(VALU_DEP_3)
	v_add_f32_e32 v5, v5, v15
	v_dual_add_f32 v9, v9, v31 :: v_dual_fmac_f32 v19, v147, v90
	v_fma_f32 v31, v146, v90, -v39
	v_dual_mul_f32 v23, v150, v95 :: v_dual_mul_f32 v25, v152, v97
	s_delay_alu instid0(VALU_DEP_4) | instskip(NEXT) | instid1(VALU_DEP_4)
	v_dual_add_f32 v5, v5, v17 :: v_dual_fma_f32 v17, v148, v92, -v41
	v_dual_add_f32 v9, v9, v29 :: v_dual_fma_f32 v11, v152, v96, -v11
	v_dual_mul_f32 v169, v154, v99 :: v_dual_mul_f32 v171, v156, v101
	v_fmac_f32_e32 v21, v149, v92
	s_delay_alu instid0(VALU_DEP_4) | instskip(NEXT) | instid1(VALU_DEP_4)
	v_add_f32_e32 v5, v5, v19
	v_dual_add_f32 v9, v9, v31 :: v_dual_fma_f32 v168, v154, v98, -v13
	v_dual_mul_f32 v15, v157, v101 :: v_dual_fmac_f32 v23, v151, v94
	s_delay_alu instid0(VALU_DEP_2) | instskip(NEXT) | instid1(VALU_DEP_4)
	v_dual_fma_f32 v19, v150, v94, -v27 :: v_dual_add_f32 v9, v9, v17
	v_dual_fmac_f32 v169, v155, v98 :: v_dual_add_f32 v5, v5, v21
	s_delay_alu instid0(VALU_DEP_3) | instskip(SKIP_1) | instid1(VALU_DEP_4)
	v_fma_f32 v170, v156, v100, -v15
	v_fmac_f32_e32 v25, v153, v96
	v_add_f32_e32 v9, v9, v19
	s_wait_loadcnt 0x4
	v_pk_mul_f32 v[78:79], v[118:119], v[102:103] op_sel:[1,1] op_sel_hi:[0,1]
	v_add_f32_e32 v5, v5, v23
	s_wait_loadcnt 0x3
	v_dual_mov_b32 v80, v105 :: v_dual_mov_b32 v84, v109
	v_add_f32_e32 v86, v9, v11
	v_fmac_f32_e32 v171, v157, v100
	v_add_f32_e32 v87, v5, v25
	v_pk_fma_f32 v[88:89], v[118:119], v[102:103], v[78:79] op_sel_hi:[1,0,1]
	v_pk_mul_f32 v[80:81], v[160:161], v[80:81] op_sel_hi:[1,0]
	v_pk_fma_f32 v[78:79], v[118:119], v[102:103], v[78:79] neg_lo:[0,0,1] neg_hi:[0,0,1]
	v_pk_mul_f32 v[82:83], v[122:123], v[106:107] op_sel:[1,1] op_sel_hi:[0,1]
	v_pk_add_f32 v[86:87], v[86:87], v[168:169]
	v_mov_b32_e32 v79, v89
	v_pk_fma_f32 v[88:89], v[120:121], v[104:105], v[80:81] op_sel_hi:[1,0,1]
	v_pk_fma_f32 v[80:81], v[120:121], v[104:105], v[80:81] neg_lo:[0,0,1] neg_hi:[0,0,1]
	v_pk_fma_f32 v[92:93], v[122:123], v[106:107], v[82:83] op_sel_hi:[1,0,1]
	v_pk_add_f32 v[86:87], v[86:87], v[170:171]
	v_pk_mul_f32 v[84:85], v[162:163], v[84:85] op_sel_hi:[1,0]
	v_mov_b32_e32 v81, v89
	s_wait_loadcnt 0x2
	v_pk_mul_f32 v[90:91], v[126:127], v[110:111] op_sel:[1,1] op_sel_hi:[0,1]
	v_pk_fma_f32 v[82:83], v[122:123], v[106:107], v[82:83] neg_lo:[0,0,1] neg_hi:[0,0,1]
	v_pk_add_f32 v[78:79], v[86:87], v[78:79]
	v_dual_mov_b32 v86, v113 :: v_dual_mov_b32 v83, v93
	v_pk_fma_f32 v[88:89], v[124:125], v[108:109], v[84:85] op_sel_hi:[1,0,1]
	v_pk_fma_f32 v[84:85], v[124:125], v[108:109], v[84:85] neg_lo:[0,0,1] neg_hi:[0,0,1]
	s_delay_alu instid0(VALU_DEP_4)
	v_pk_add_f32 v[78:79], v[78:79], v[80:81]
	v_pk_fma_f32 v[80:81], v[126:127], v[110:111], v[90:91] op_sel_hi:[1,0,1]
	v_pk_mul_f32 v[86:87], v[164:165], v[86:87] op_sel_hi:[1,0]
	v_mov_b32_e32 v85, v89
	v_pk_fma_f32 v[88:89], v[126:127], v[110:111], v[90:91] neg_lo:[0,0,1] neg_hi:[0,0,1]
	v_pk_add_f32 v[78:79], v[78:79], v[82:83]
	v_mov_b32_e32 v89, v81
	v_pk_fma_f32 v[80:81], v[128:129], v[112:113], v[86:87] op_sel_hi:[1,0,1]
	s_wait_loadcnt 0x1
	v_pk_mul_f32 v[82:83], v[130:131], v[114:115] op_sel:[1,1] op_sel_hi:[0,1]
	v_mov_b32_e32 v80, v117
	v_pk_add_f32 v[78:79], v[78:79], v[84:85]
	v_pk_fma_f32 v[86:87], v[128:129], v[112:113], v[86:87] neg_lo:[0,0,1] neg_hi:[0,0,1]
	v_mov_b32_e32 v87, v81
	v_pk_fma_f32 v[84:85], v[130:131], v[114:115], v[82:83] op_sel_hi:[1,0,1]
	v_pk_mul_f32 v[80:81], v[166:167], v[80:81] op_sel_hi:[1,0]
	v_pk_add_f32 v[78:79], v[78:79], v[88:89]
	v_pk_fma_f32 v[82:83], v[130:131], v[114:115], v[82:83] neg_lo:[0,0,1] neg_hi:[0,0,1]
	s_delay_alu instid0(VALU_DEP_4) | instskip(NEXT) | instid1(VALU_DEP_4)
	v_mov_b32_e32 v83, v85
	v_pk_fma_f32 v[84:85], v[132:133], v[116:117], v[80:81] op_sel_hi:[1,0,1]
	s_delay_alu instid0(VALU_DEP_4) | instskip(SKIP_1) | instid1(VALU_DEP_3)
	v_pk_add_f32 v[78:79], v[78:79], v[86:87]
	v_pk_fma_f32 v[80:81], v[132:133], v[116:117], v[80:81] neg_lo:[0,0,1] neg_hi:[0,0,1]
	v_mov_b32_e32 v81, v85
	s_delay_alu instid0(VALU_DEP_3) | instskip(NEXT) | instid1(VALU_DEP_1)
	v_pk_add_f32 v[78:79], v[78:79], v[82:83]
	v_pk_add_f32 v[78:79], v[78:79], v[80:81]
	s_wait_loadcnt 0x0
	s_delay_alu instid0(VALU_DEP_1)
	v_pk_add_f32 v[78:79], v[158:159], v[78:79] neg_lo:[0,1] neg_hi:[0,1]
	scratch_store_b64 off, v[78:79], off offset:136
	s_wait_xcnt 0x0
	v_cmpx_lt_u32_e32 16, v0
	s_cbranch_execz .LBB37_209
; %bb.208:
	scratch_load_b64 v[78:79], off, off offset:128
	v_mov_b64_e32 v[80:81], 0
	scratch_store_b64 off, v[80:81], off offset:128
	s_wait_loadcnt 0x0
	ds_store_b64 v1, v[78:79]
.LBB37_209:
	s_wait_xcnt 0x0
	s_or_b32 exec_lo, exec_lo, s0
	s_wait_storecnt_dscnt 0x0
	s_barrier_signal -1
	s_barrier_wait -1
	s_clause 0xb
	scratch_load_b128 v[78:81], off, off offset:136
	scratch_load_b128 v[82:85], off, off offset:152
	;; [unrolled: 1-line block ×10, first 2 shown]
	scratch_load_b64 v[158:159], off, off offset:296
	scratch_load_b64 v[160:161], off, off offset:128
	v_mov_b32_e32 v5, 0
	ds_load_2addr_b64 v[118:121], v5 offset0:67 offset1:68
	ds_load_2addr_b64 v[122:125], v5 offset0:69 offset1:70
	;; [unrolled: 1-line block ×10, first 2 shown]
	ds_load_b64 v[162:163], v5 offset:600
	s_mov_b32 s0, exec_lo
	s_wait_dscnt 0xa
	v_dual_mov_b32 v164, v121 :: v_dual_mov_b32 v165, v120
	s_wait_dscnt 0x7
	v_dual_mov_b32 v166, v125 :: v_dual_mov_b32 v171, v132
	v_dual_mov_b32 v167, v124 :: v_dual_mov_b32 v168, v129
	;; [unrolled: 1-line block ×3, first 2 shown]
	s_wait_loadcnt_dscnt 0xb06
	v_dual_mul_f32 v9, v134, v79 :: v_dual_mul_f32 v31, v135, v79
	v_dual_mul_f32 v33, v137, v81 :: v_dual_mul_f32 v11, v136, v81
	s_wait_loadcnt_dscnt 0xa05
	v_mul_f32_e32 v13, v138, v83
	s_wait_loadcnt_dscnt 0x803
	v_dual_mul_f32 v43, v147, v91 :: v_dual_fma_f32 v31, v134, v78, -v31
	v_dual_fmac_f32 v9, v135, v78 :: v_dual_mul_f32 v45, v149, v93
	v_dual_mul_f32 v35, v139, v83 :: v_dual_mul_f32 v37, v141, v85
	v_dual_fmac_f32 v11, v137, v80 :: v_dual_fma_f32 v33, v136, v80, -v33
	s_delay_alu instid0(VALU_DEP_3) | instskip(SKIP_3) | instid1(VALU_DEP_3)
	v_dual_add_f32 v9, 0, v9 :: v_dual_add_f32 v31, 0, v31
	v_dual_mul_f32 v15, v140, v85 :: v_dual_mul_f32 v17, v142, v87
	s_wait_loadcnt_dscnt 0x702
	v_dual_mul_f32 v47, v151, v95 :: v_dual_fma_f32 v35, v138, v82, -v35
	v_dual_fmac_f32 v13, v139, v82 :: v_dual_add_f32 v9, v9, v11
	s_delay_alu instid0(VALU_DEP_3) | instskip(SKIP_2) | instid1(VALU_DEP_3)
	v_dual_add_f32 v11, v31, v33 :: v_dual_fmac_f32 v15, v141, v84
	v_dual_mul_f32 v39, v143, v87 :: v_dual_mul_f32 v41, v145, v89
	v_dual_mul_f32 v31, v153, v97 :: v_dual_fma_f32 v33, v140, v84, -v37
	v_dual_add_f32 v9, v9, v13 :: v_dual_add_f32 v11, v11, v35
	v_dual_mul_f32 v19, v144, v89 :: v_dual_mul_f32 v21, v146, v91
	s_wait_loadcnt_dscnt 0x601
	v_dual_mul_f32 v13, v155, v99 :: v_dual_fma_f32 v35, v142, v86, -v39
	s_delay_alu instid0(VALU_DEP_3) | instskip(NEXT) | instid1(VALU_DEP_3)
	v_dual_fmac_f32 v17, v143, v86 :: v_dual_add_f32 v9, v9, v15
	v_dual_add_f32 v11, v11, v33 :: v_dual_fmac_f32 v19, v145, v88
	v_dual_mul_f32 v15, v157, v101 :: v_dual_fma_f32 v33, v144, v88, -v41
	s_delay_alu instid0(VALU_DEP_2) | instskip(SKIP_3) | instid1(VALU_DEP_3)
	v_dual_add_f32 v9, v9, v17 :: v_dual_add_f32 v11, v11, v35
	v_dual_mul_f32 v23, v148, v93 :: v_dual_mul_f32 v25, v150, v95
	s_wait_loadcnt 0x5
	v_dual_mul_f32 v17, v119, v103 :: v_dual_fma_f32 v35, v146, v90, -v43
	v_dual_fmac_f32 v21, v147, v90 :: v_dual_add_f32 v9, v9, v19
	v_dual_add_f32 v11, v11, v33 :: v_dual_mov_b32 v78, v105
	v_dual_fmac_f32 v23, v149, v92 :: v_dual_fma_f32 v19, v148, v92, -v45
	s_delay_alu instid0(VALU_DEP_2) | instskip(SKIP_2) | instid1(VALU_DEP_3)
	v_dual_add_f32 v9, v9, v21 :: v_dual_add_f32 v11, v11, v35
	v_dual_mul_f32 v27, v152, v97 :: v_dual_mul_f32 v29, v154, v99
	v_dual_fmac_f32 v25, v151, v94 :: v_dual_fma_f32 v21, v150, v94, -v47
	v_add_f32_e32 v9, v9, v23
	s_wait_loadcnt 0x4
	v_dual_add_f32 v11, v11, v19 :: v_dual_mov_b32 v82, v109
	v_fmac_f32_e32 v27, v153, v96
	s_delay_alu instid0(VALU_DEP_3) | instskip(SKIP_1) | instid1(VALU_DEP_4)
	v_dual_fma_f32 v19, v152, v96, -v31 :: v_dual_add_f32 v9, v9, v25
	v_fmac_f32_e32 v29, v155, v98
	v_add_f32_e32 v11, v11, v21
	v_dual_mul_f32 v173, v156, v101 :: v_dual_mul_f32 v175, v118, v103
	s_delay_alu instid0(VALU_DEP_4) | instskip(NEXT) | instid1(VALU_DEP_2)
	v_dual_fma_f32 v13, v154, v98, -v13 :: v_dual_add_f32 v9, v9, v27
	v_dual_add_f32 v11, v11, v19 :: v_dual_fmac_f32 v173, v157, v100
	v_fma_f32 v172, v156, v100, -v15
	v_pk_mul_f32 v[78:79], v[164:165], v[78:79] op_sel_hi:[1,0]
	s_delay_alu instid0(VALU_DEP_4)
	v_add_f32_e32 v87, v9, v29
	s_wait_loadcnt 0x3
	v_dual_add_f32 v86, v11, v13 :: v_dual_mov_b32 v88, v113
	v_pk_mul_f32 v[80:81], v[122:123], v[106:107] op_sel:[1,1] op_sel_hi:[0,1]
	v_dual_fmac_f32 v175, v119, v102 :: v_dual_fma_f32 v174, v118, v102, -v17
	v_pk_fma_f32 v[90:91], v[120:121], v[104:105], v[78:79] op_sel_hi:[1,0,1]
	s_delay_alu instid0(VALU_DEP_4)
	v_pk_add_f32 v[86:87], v[86:87], v[172:173]
	v_pk_fma_f32 v[78:79], v[120:121], v[104:105], v[78:79] neg_lo:[0,0,1] neg_hi:[0,0,1]
	v_pk_fma_f32 v[92:93], v[122:123], v[106:107], v[80:81] op_sel_hi:[1,0,1]
	v_pk_mul_f32 v[82:83], v[166:167], v[82:83] op_sel_hi:[1,0]
	v_mov_b32_e32 v79, v91
	v_pk_add_f32 v[86:87], v[86:87], v[174:175]
	v_pk_fma_f32 v[80:81], v[122:123], v[106:107], v[80:81] neg_lo:[0,0,1] neg_hi:[0,0,1]
	v_pk_mul_f32 v[84:85], v[126:127], v[110:111] op_sel:[1,1] op_sel_hi:[0,1]
	v_mov_b32_e32 v81, v93
	v_pk_fma_f32 v[92:93], v[124:125], v[108:109], v[82:83] op_sel_hi:[1,0,1]
	v_pk_add_f32 v[78:79], v[86:87], v[78:79]
	v_pk_fma_f32 v[82:83], v[124:125], v[108:109], v[82:83] neg_lo:[0,0,1] neg_hi:[0,0,1]
	v_pk_fma_f32 v[86:87], v[126:127], v[110:111], v[84:85] op_sel_hi:[1,0,1]
	v_pk_mul_f32 v[88:89], v[168:169], v[88:89] op_sel_hi:[1,0]
	v_mov_b32_e32 v83, v93
	v_pk_add_f32 v[78:79], v[78:79], v[80:81]
	v_pk_fma_f32 v[84:85], v[126:127], v[110:111], v[84:85] neg_lo:[0,0,1] neg_hi:[0,0,1]
	s_wait_loadcnt 0x2
	v_pk_mul_f32 v[90:91], v[130:131], v[114:115] op_sel:[1,1] op_sel_hi:[0,1]
	v_dual_mov_b32 v80, v117 :: v_dual_mov_b32 v85, v87
	v_pk_fma_f32 v[86:87], v[128:129], v[112:113], v[88:89] op_sel_hi:[1,0,1]
	v_pk_add_f32 v[78:79], v[78:79], v[82:83]
	v_pk_fma_f32 v[88:89], v[128:129], v[112:113], v[88:89] neg_lo:[0,0,1] neg_hi:[0,0,1]
	v_pk_fma_f32 v[82:83], v[130:131], v[114:115], v[90:91] op_sel_hi:[1,0,1]
	v_pk_mul_f32 v[80:81], v[170:171], v[80:81] op_sel_hi:[1,0]
	v_mov_b32_e32 v89, v87
	v_pk_add_f32 v[78:79], v[78:79], v[84:85]
	v_pk_fma_f32 v[84:85], v[130:131], v[114:115], v[90:91] neg_lo:[0,0,1] neg_hi:[0,0,1]
	v_mov_b32_e32 v85, v83
	v_pk_fma_f32 v[82:83], v[132:133], v[116:117], v[80:81] op_sel_hi:[1,0,1]
	s_wait_loadcnt_dscnt 0x100
	v_pk_mul_f32 v[86:87], v[162:163], v[158:159] op_sel:[1,1] op_sel_hi:[0,1]
	v_pk_add_f32 v[78:79], v[78:79], v[88:89]
	v_pk_fma_f32 v[80:81], v[132:133], v[116:117], v[80:81] neg_lo:[0,0,1] neg_hi:[0,0,1]
	v_mov_b32_e32 v81, v83
	s_delay_alu instid0(VALU_DEP_4) | instskip(NEXT) | instid1(VALU_DEP_4)
	v_pk_fma_f32 v[82:83], v[162:163], v[158:159], v[86:87] op_sel_hi:[1,0,1]
	v_pk_add_f32 v[78:79], v[78:79], v[84:85]
	v_pk_fma_f32 v[84:85], v[162:163], v[158:159], v[86:87] neg_lo:[0,0,1] neg_hi:[0,0,1]
	s_delay_alu instid0(VALU_DEP_3) | instskip(NEXT) | instid1(VALU_DEP_3)
	v_mov_b32_e32 v85, v83
	v_pk_add_f32 v[78:79], v[78:79], v[80:81]
	s_delay_alu instid0(VALU_DEP_1) | instskip(SKIP_1) | instid1(VALU_DEP_1)
	v_pk_add_f32 v[78:79], v[78:79], v[84:85]
	s_wait_loadcnt 0x0
	v_pk_add_f32 v[78:79], v[160:161], v[78:79] neg_lo:[0,1] neg_hi:[0,1]
	scratch_store_b64 off, v[78:79], off offset:128
	s_wait_xcnt 0x0
	v_cmpx_lt_u32_e32 15, v0
	s_cbranch_execz .LBB37_211
; %bb.210:
	scratch_load_b64 v[78:79], off, off offset:120
	v_mov_b64_e32 v[80:81], 0
	scratch_store_b64 off, v[80:81], off offset:120
	s_wait_loadcnt 0x0
	ds_store_b64 v1, v[78:79]
.LBB37_211:
	s_wait_xcnt 0x0
	s_or_b32 exec_lo, exec_lo, s0
	s_wait_storecnt_dscnt 0x0
	s_barrier_signal -1
	s_barrier_wait -1
	s_clause 0xb
	scratch_load_b128 v[78:81], off, off offset:128
	scratch_load_b128 v[82:85], off, off offset:144
	;; [unrolled: 1-line block ×11, first 2 shown]
	scratch_load_b64 v[166:167], off, off offset:120
	ds_load_b128 v[122:125], v5 offset:544
	ds_load_b128 v[126:129], v5 offset:560
	;; [unrolled: 1-line block ×11, first 2 shown]
	s_mov_b32 s0, exec_lo
	s_wait_dscnt 0xa
	v_dual_mov_b32 v168, v125 :: v_dual_mov_b32 v169, v124
	s_wait_dscnt 0x9
	v_dual_mov_b32 v170, v129 :: v_dual_mov_b32 v171, v128
	;; [unrolled: 2-line block ×4, first 2 shown]
	s_wait_loadcnt_dscnt 0xb06
	v_dual_mul_f32 v5, v138, v79 :: v_dual_mul_f32 v9, v140, v81
	v_dual_mul_f32 v31, v139, v79 :: v_dual_mul_f32 v33, v141, v81
	s_wait_loadcnt_dscnt 0xa05
	v_dual_mul_f32 v11, v142, v83 :: v_dual_mul_f32 v13, v144, v85
	s_delay_alu instid0(VALU_DEP_2) | instskip(SKIP_3) | instid1(VALU_DEP_3)
	v_dual_fmac_f32 v5, v139, v78 :: v_dual_fma_f32 v31, v138, v78, -v31
	v_dual_mul_f32 v35, v143, v83 :: v_dual_mul_f32 v37, v145, v85
	s_wait_loadcnt_dscnt 0x803
	v_dual_mul_f32 v43, v151, v91 :: v_dual_fmac_f32 v9, v141, v80
	v_dual_fma_f32 v33, v140, v80, -v33 :: v_dual_add_f32 v5, 0, v5
	v_dual_add_f32 v31, 0, v31 :: v_dual_mul_f32 v45, v153, v93
	v_fmac_f32_e32 v11, v143, v82
	s_delay_alu instid0(VALU_DEP_3) | instskip(NEXT) | instid1(VALU_DEP_3)
	v_dual_fma_f32 v35, v142, v82, -v35 :: v_dual_add_f32 v5, v5, v9
	v_dual_add_f32 v9, v31, v33 :: v_dual_mul_f32 v15, v146, v87
	v_dual_mul_f32 v17, v148, v89 :: v_dual_mul_f32 v39, v147, v87
	v_dual_mul_f32 v41, v149, v89 :: v_dual_fma_f32 v33, v144, v84, -v37
	s_delay_alu instid0(VALU_DEP_4) | instskip(NEXT) | instid1(VALU_DEP_4)
	v_add_f32_e32 v5, v5, v11
	v_dual_add_f32 v9, v9, v35 :: v_dual_fmac_f32 v15, v147, v86
	s_wait_loadcnt_dscnt 0x702
	v_dual_mul_f32 v31, v155, v95 :: v_dual_fmac_f32 v13, v145, v84
	v_dual_mul_f32 v11, v157, v97 :: v_dual_fma_f32 v35, v146, v86, -v39
	s_delay_alu instid0(VALU_DEP_3) | instskip(SKIP_1) | instid1(VALU_DEP_3)
	v_dual_add_f32 v9, v9, v33 :: v_dual_fma_f32 v33, v148, v88, -v41
	s_wait_loadcnt_dscnt 0x601
	v_dual_add_f32 v5, v5, v13 :: v_dual_mul_f32 v13, v159, v99
	v_dual_mul_f32 v19, v150, v91 :: v_dual_mul_f32 v21, v152, v93
	s_delay_alu instid0(VALU_DEP_3) | instskip(SKIP_1) | instid1(VALU_DEP_4)
	v_add_f32_e32 v9, v9, v35
	v_fmac_f32_e32 v17, v149, v88
	v_dual_add_f32 v5, v5, v15 :: v_dual_fma_f32 v35, v150, v90, -v43
	v_dual_mul_f32 v23, v154, v95 :: v_dual_mul_f32 v25, v156, v97
	s_delay_alu instid0(VALU_DEP_4) | instskip(NEXT) | instid1(VALU_DEP_3)
	v_dual_add_f32 v9, v9, v33 :: v_dual_fma_f32 v31, v154, v94, -v31
	v_dual_fmac_f32 v19, v151, v90 :: v_dual_add_f32 v5, v5, v17
	s_delay_alu instid0(VALU_DEP_3) | instskip(NEXT) | instid1(VALU_DEP_3)
	v_dual_fmac_f32 v23, v155, v94 :: v_dual_fma_f32 v33, v152, v92, -v45
	v_dual_add_f32 v9, v9, v35 :: v_dual_fma_f32 v13, v158, v98, -v13
	v_dual_mul_f32 v27, v158, v99 :: v_dual_mul_f32 v29, v160, v101
	s_wait_loadcnt_dscnt 0x500
	v_dual_mul_f32 v15, v161, v101 :: v_dual_mul_f32 v17, v163, v103
	s_delay_alu instid0(VALU_DEP_2) | instskip(SKIP_1) | instid1(VALU_DEP_3)
	v_dual_fmac_f32 v21, v153, v92 :: v_dual_fmac_f32 v27, v159, v98
	v_dual_add_f32 v5, v5, v19 :: v_dual_fma_f32 v11, v156, v96, -v11
	v_dual_add_f32 v9, v9, v33 :: v_dual_fma_f32 v176, v162, v102, -v17
	v_dual_mul_f32 v177, v162, v103 :: v_dual_mul_f32 v179, v164, v105
	s_delay_alu instid0(VALU_DEP_3) | instskip(NEXT) | instid1(VALU_DEP_3)
	v_add_f32_e32 v5, v5, v21
	v_add_f32_e32 v9, v9, v31
	v_mul_f32_e32 v19, v165, v105
	v_fmac_f32_e32 v25, v157, v96
	v_fmac_f32_e32 v177, v163, v102
	;; [unrolled: 1-line block ×3, first 2 shown]
	v_dual_add_f32 v9, v9, v11 :: v_dual_fma_f32 v11, v160, v100, -v15
	v_dual_add_f32 v5, v5, v23 :: v_dual_fma_f32 v178, v164, v104, -v19
	s_wait_loadcnt 0x4
	v_pk_mul_f32 v[78:79], v[122:123], v[106:107] op_sel:[1,1] op_sel_hi:[0,1]
	s_delay_alu instid0(VALU_DEP_3)
	v_add_f32_e32 v9, v9, v13
	s_wait_loadcnt 0x3
	v_dual_mov_b32 v80, v109 :: v_dual_mov_b32 v84, v113
	v_add_f32_e32 v5, v5, v25
	v_fmac_f32_e32 v179, v165, v104
	v_add_f32_e32 v86, v9, v11
	v_pk_fma_f32 v[88:89], v[122:123], v[106:107], v[78:79] op_sel_hi:[1,0,1]
	v_pk_mul_f32 v[80:81], v[168:169], v[80:81] op_sel_hi:[1,0]
	v_add_f32_e32 v5, v5, v27
	v_pk_fma_f32 v[78:79], v[122:123], v[106:107], v[78:79] neg_lo:[0,0,1] neg_hi:[0,0,1]
	v_pk_mul_f32 v[82:83], v[126:127], v[110:111] op_sel:[1,1] op_sel_hi:[0,1]
	v_mov_b32_e32 v79, v89
	v_pk_fma_f32 v[88:89], v[124:125], v[108:109], v[80:81] op_sel_hi:[1,0,1]
	v_add_f32_e32 v87, v5, v29
	v_pk_fma_f32 v[80:81], v[124:125], v[108:109], v[80:81] neg_lo:[0,0,1] neg_hi:[0,0,1]
	v_pk_fma_f32 v[92:93], v[126:127], v[110:111], v[82:83] op_sel_hi:[1,0,1]
	v_pk_mul_f32 v[84:85], v[170:171], v[84:85] op_sel_hi:[1,0]
	v_mov_b32_e32 v81, v89
	v_pk_add_f32 v[86:87], v[86:87], v[176:177]
	s_wait_loadcnt 0x2
	v_pk_mul_f32 v[90:91], v[130:131], v[114:115] op_sel:[1,1] op_sel_hi:[0,1]
	v_pk_fma_f32 v[82:83], v[126:127], v[110:111], v[82:83] neg_lo:[0,0,1] neg_hi:[0,0,1]
	v_mov_b32_e32 v83, v93
	v_pk_fma_f32 v[88:89], v[128:129], v[112:113], v[84:85] op_sel_hi:[1,0,1]
	v_pk_add_f32 v[86:87], v[86:87], v[178:179]
	v_pk_fma_f32 v[84:85], v[128:129], v[112:113], v[84:85] neg_lo:[0,0,1] neg_hi:[0,0,1]
	s_delay_alu instid0(VALU_DEP_2) | instskip(SKIP_1) | instid1(VALU_DEP_2)
	v_pk_add_f32 v[78:79], v[86:87], v[78:79]
	v_mov_b32_e32 v86, v117
	v_pk_add_f32 v[78:79], v[78:79], v[80:81]
	v_pk_fma_f32 v[80:81], v[130:131], v[114:115], v[90:91] op_sel_hi:[1,0,1]
	s_delay_alu instid0(VALU_DEP_3)
	v_pk_mul_f32 v[86:87], v[172:173], v[86:87] op_sel_hi:[1,0]
	v_mov_b32_e32 v85, v89
	v_pk_fma_f32 v[88:89], v[130:131], v[114:115], v[90:91] neg_lo:[0,0,1] neg_hi:[0,0,1]
	v_pk_add_f32 v[78:79], v[78:79], v[82:83]
	v_mov_b32_e32 v89, v81
	v_pk_fma_f32 v[80:81], v[132:133], v[116:117], v[86:87] op_sel_hi:[1,0,1]
	s_wait_loadcnt 0x1
	v_pk_mul_f32 v[82:83], v[134:135], v[118:119] op_sel:[1,1] op_sel_hi:[0,1]
	v_mov_b32_e32 v80, v121
	v_pk_add_f32 v[78:79], v[78:79], v[84:85]
	v_pk_fma_f32 v[86:87], v[132:133], v[116:117], v[86:87] neg_lo:[0,0,1] neg_hi:[0,0,1]
	v_mov_b32_e32 v87, v81
	v_pk_fma_f32 v[84:85], v[134:135], v[118:119], v[82:83] op_sel_hi:[1,0,1]
	v_pk_mul_f32 v[80:81], v[174:175], v[80:81] op_sel_hi:[1,0]
	v_pk_add_f32 v[78:79], v[78:79], v[88:89]
	v_pk_fma_f32 v[82:83], v[134:135], v[118:119], v[82:83] neg_lo:[0,0,1] neg_hi:[0,0,1]
	s_delay_alu instid0(VALU_DEP_4) | instskip(NEXT) | instid1(VALU_DEP_4)
	v_mov_b32_e32 v83, v85
	v_pk_fma_f32 v[84:85], v[136:137], v[120:121], v[80:81] op_sel_hi:[1,0,1]
	s_delay_alu instid0(VALU_DEP_4) | instskip(SKIP_1) | instid1(VALU_DEP_3)
	v_pk_add_f32 v[78:79], v[78:79], v[86:87]
	v_pk_fma_f32 v[80:81], v[136:137], v[120:121], v[80:81] neg_lo:[0,0,1] neg_hi:[0,0,1]
	v_mov_b32_e32 v81, v85
	s_delay_alu instid0(VALU_DEP_3) | instskip(NEXT) | instid1(VALU_DEP_1)
	v_pk_add_f32 v[78:79], v[78:79], v[82:83]
	v_pk_add_f32 v[78:79], v[78:79], v[80:81]
	s_wait_loadcnt 0x0
	s_delay_alu instid0(VALU_DEP_1)
	v_pk_add_f32 v[78:79], v[166:167], v[78:79] neg_lo:[0,1] neg_hi:[0,1]
	scratch_store_b64 off, v[78:79], off offset:120
	s_wait_xcnt 0x0
	v_cmpx_lt_u32_e32 14, v0
	s_cbranch_execz .LBB37_213
; %bb.212:
	scratch_load_b64 v[78:79], off, off offset:112
	v_mov_b64_e32 v[80:81], 0
	scratch_store_b64 off, v[80:81], off offset:112
	s_wait_loadcnt 0x0
	ds_store_b64 v1, v[78:79]
.LBB37_213:
	s_wait_xcnt 0x0
	s_or_b32 exec_lo, exec_lo, s0
	s_wait_storecnt_dscnt 0x0
	s_barrier_signal -1
	s_barrier_wait -1
	s_clause 0xc
	scratch_load_b128 v[78:81], off, off offset:120
	scratch_load_b128 v[82:85], off, off offset:136
	;; [unrolled: 1-line block ×11, first 2 shown]
	scratch_load_b64 v[166:167], off, off offset:296
	scratch_load_b64 v[168:169], off, off offset:112
	v_mov_b32_e32 v5, 0
	ds_load_2addr_b64 v[122:125], v5 offset0:67 offset1:68
	ds_load_2addr_b64 v[126:129], v5 offset0:69 offset1:70
	;; [unrolled: 1-line block ×11, first 2 shown]
	ds_load_b64 v[170:171], v5 offset:600
	s_mov_b32 s0, exec_lo
	s_wait_dscnt 0xb
	v_dual_mov_b32 v172, v125 :: v_dual_mov_b32 v173, v124
	s_wait_dscnt 0x8
	v_dual_mov_b32 v174, v129 :: v_dual_mov_b32 v179, v136
	v_dual_mov_b32 v175, v128 :: v_dual_mov_b32 v176, v133
	v_dual_mov_b32 v177, v132 :: v_dual_mov_b32 v178, v137
	s_wait_loadcnt_dscnt 0xc07
	v_dual_mul_f32 v9, v138, v79 :: v_dual_mul_f32 v35, v139, v79
	v_dual_mul_f32 v37, v141, v81 :: v_dual_mul_f32 v11, v140, v81
	s_wait_loadcnt_dscnt 0xb06
	v_mul_f32_e32 v13, v142, v83
	s_wait_loadcnt_dscnt 0x904
	v_dual_mul_f32 v47, v151, v91 :: v_dual_fma_f32 v35, v138, v78, -v35
	v_dual_fmac_f32 v9, v139, v78 :: v_dual_mul_f32 v49, v153, v93
	v_dual_mul_f32 v39, v143, v83 :: v_dual_mul_f32 v41, v145, v85
	v_dual_fmac_f32 v11, v141, v80 :: v_dual_fma_f32 v37, v140, v80, -v37
	s_delay_alu instid0(VALU_DEP_3) | instskip(SKIP_3) | instid1(VALU_DEP_3)
	v_dual_add_f32 v9, 0, v9 :: v_dual_add_f32 v35, 0, v35
	v_dual_mul_f32 v15, v144, v85 :: v_dual_mul_f32 v17, v146, v87
	s_wait_loadcnt_dscnt 0x803
	v_dual_mul_f32 v51, v155, v95 :: v_dual_fma_f32 v39, v142, v82, -v39
	v_dual_fmac_f32 v13, v143, v82 :: v_dual_add_f32 v9, v9, v11
	s_delay_alu instid0(VALU_DEP_3) | instskip(SKIP_2) | instid1(VALU_DEP_3)
	v_dual_add_f32 v11, v35, v37 :: v_dual_fmac_f32 v15, v145, v84
	v_dual_mul_f32 v43, v147, v87 :: v_dual_mul_f32 v45, v149, v89
	v_dual_mul_f32 v35, v157, v97 :: v_dual_fma_f32 v37, v144, v84, -v41
	v_dual_add_f32 v9, v9, v13 :: v_dual_add_f32 v11, v11, v39
	v_dual_mul_f32 v19, v148, v89 :: v_dual_mul_f32 v21, v150, v91
	s_wait_loadcnt_dscnt 0x701
	v_dual_mul_f32 v13, v163, v99 :: v_dual_fma_f32 v39, v146, v86, -v43
	s_delay_alu instid0(VALU_DEP_3) | instskip(NEXT) | instid1(VALU_DEP_3)
	v_dual_fmac_f32 v17, v147, v86 :: v_dual_add_f32 v9, v9, v15
	v_dual_add_f32 v11, v11, v37 :: v_dual_fmac_f32 v19, v149, v88
	v_dual_mul_f32 v15, v165, v101 :: v_dual_fma_f32 v37, v148, v88, -v45
	s_delay_alu instid0(VALU_DEP_2) | instskip(SKIP_3) | instid1(VALU_DEP_3)
	v_dual_add_f32 v9, v9, v17 :: v_dual_add_f32 v11, v11, v39
	v_dual_mul_f32 v23, v152, v93 :: v_dual_mul_f32 v25, v154, v95
	s_wait_loadcnt 0x6
	v_dual_mul_f32 v17, v159, v103 :: v_dual_fma_f32 v39, v150, v90, -v47
	v_dual_fmac_f32 v21, v151, v90 :: v_dual_add_f32 v9, v9, v19
	s_delay_alu instid0(VALU_DEP_3) | instskip(SKIP_1) | instid1(VALU_DEP_2)
	v_dual_add_f32 v11, v11, v37 :: v_dual_fmac_f32 v23, v153, v92
	v_dual_mul_f32 v19, v161, v105 :: v_dual_fma_f32 v37, v152, v92, -v49
	v_dual_add_f32 v9, v9, v21 :: v_dual_add_f32 v11, v11, v39
	v_dual_mul_f32 v27, v156, v97 :: v_dual_mul_f32 v29, v162, v99
	s_wait_loadcnt 0x5
	v_dual_mul_f32 v21, v123, v107 :: v_dual_fma_f32 v39, v154, v94, -v51
	s_delay_alu instid0(VALU_DEP_3) | instskip(SKIP_2) | instid1(VALU_DEP_3)
	v_dual_fmac_f32 v25, v155, v94 :: v_dual_add_f32 v9, v9, v23
	v_dual_add_f32 v11, v11, v37 :: v_dual_mov_b32 v78, v109
	v_fmac_f32_e32 v27, v157, v96
	v_dual_fma_f32 v23, v156, v96, -v35 :: v_dual_add_f32 v9, v9, v25
	s_delay_alu instid0(VALU_DEP_3) | instskip(SKIP_1) | instid1(VALU_DEP_3)
	v_dual_add_f32 v11, v11, v39 :: v_dual_mul_f32 v31, v164, v101
	v_dual_mul_f32 v33, v158, v103 :: v_dual_fmac_f32 v29, v163, v98
	v_dual_add_f32 v9, v9, v27 :: v_dual_fma_f32 v13, v162, v98, -v13
	s_wait_loadcnt 0x4
	s_delay_alu instid0(VALU_DEP_3) | instskip(SKIP_3) | instid1(VALU_DEP_4)
	v_dual_add_f32 v11, v11, v23 :: v_dual_mov_b32 v82, v113
	v_fma_f32 v15, v164, v100, -v15
	v_fmac_f32_e32 v31, v165, v100
	v_dual_add_f32 v9, v9, v29 :: v_dual_fmac_f32 v33, v159, v102
	v_add_f32_e32 v11, v11, v13
	v_dual_mul_f32 v181, v160, v105 :: v_dual_mul_f32 v183, v122, v107
	s_delay_alu instid0(VALU_DEP_3) | instskip(NEXT) | instid1(VALU_DEP_2)
	v_dual_fma_f32 v13, v158, v102, -v17 :: v_dual_add_f32 v9, v9, v31
	v_dual_add_f32 v11, v11, v15 :: v_dual_fmac_f32 v181, v161, v104
	v_fma_f32 v180, v160, v104, -v19
	v_pk_mul_f32 v[78:79], v[172:173], v[78:79] op_sel_hi:[1,0]
	s_delay_alu instid0(VALU_DEP_4)
	v_add_f32_e32 v87, v9, v33
	s_wait_loadcnt 0x3
	v_dual_add_f32 v86, v11, v13 :: v_dual_mov_b32 v88, v117
	v_pk_mul_f32 v[80:81], v[126:127], v[110:111] op_sel:[1,1] op_sel_hi:[0,1]
	v_dual_fmac_f32 v183, v123, v106 :: v_dual_fma_f32 v182, v122, v106, -v21
	v_pk_fma_f32 v[90:91], v[124:125], v[108:109], v[78:79] op_sel_hi:[1,0,1]
	s_delay_alu instid0(VALU_DEP_4)
	v_pk_add_f32 v[86:87], v[86:87], v[180:181]
	v_pk_fma_f32 v[78:79], v[124:125], v[108:109], v[78:79] neg_lo:[0,0,1] neg_hi:[0,0,1]
	v_pk_fma_f32 v[92:93], v[126:127], v[110:111], v[80:81] op_sel_hi:[1,0,1]
	v_pk_mul_f32 v[82:83], v[174:175], v[82:83] op_sel_hi:[1,0]
	v_mov_b32_e32 v79, v91
	v_pk_add_f32 v[86:87], v[86:87], v[182:183]
	v_pk_fma_f32 v[80:81], v[126:127], v[110:111], v[80:81] neg_lo:[0,0,1] neg_hi:[0,0,1]
	v_pk_mul_f32 v[84:85], v[130:131], v[114:115] op_sel:[1,1] op_sel_hi:[0,1]
	v_mov_b32_e32 v81, v93
	v_pk_fma_f32 v[92:93], v[128:129], v[112:113], v[82:83] op_sel_hi:[1,0,1]
	v_pk_add_f32 v[78:79], v[86:87], v[78:79]
	v_pk_fma_f32 v[82:83], v[128:129], v[112:113], v[82:83] neg_lo:[0,0,1] neg_hi:[0,0,1]
	v_pk_fma_f32 v[86:87], v[130:131], v[114:115], v[84:85] op_sel_hi:[1,0,1]
	v_pk_mul_f32 v[88:89], v[176:177], v[88:89] op_sel_hi:[1,0]
	v_mov_b32_e32 v83, v93
	v_pk_add_f32 v[78:79], v[78:79], v[80:81]
	v_pk_fma_f32 v[84:85], v[130:131], v[114:115], v[84:85] neg_lo:[0,0,1] neg_hi:[0,0,1]
	s_wait_loadcnt 0x2
	v_pk_mul_f32 v[90:91], v[134:135], v[118:119] op_sel:[1,1] op_sel_hi:[0,1]
	v_dual_mov_b32 v80, v121 :: v_dual_mov_b32 v85, v87
	v_pk_fma_f32 v[86:87], v[132:133], v[116:117], v[88:89] op_sel_hi:[1,0,1]
	v_pk_add_f32 v[78:79], v[78:79], v[82:83]
	v_pk_fma_f32 v[88:89], v[132:133], v[116:117], v[88:89] neg_lo:[0,0,1] neg_hi:[0,0,1]
	v_pk_fma_f32 v[82:83], v[134:135], v[118:119], v[90:91] op_sel_hi:[1,0,1]
	v_pk_mul_f32 v[80:81], v[178:179], v[80:81] op_sel_hi:[1,0]
	v_mov_b32_e32 v89, v87
	v_pk_add_f32 v[78:79], v[78:79], v[84:85]
	v_pk_fma_f32 v[84:85], v[134:135], v[118:119], v[90:91] neg_lo:[0,0,1] neg_hi:[0,0,1]
	v_mov_b32_e32 v85, v83
	v_pk_fma_f32 v[82:83], v[136:137], v[120:121], v[80:81] op_sel_hi:[1,0,1]
	s_wait_loadcnt_dscnt 0x100
	v_pk_mul_f32 v[86:87], v[170:171], v[166:167] op_sel:[1,1] op_sel_hi:[0,1]
	v_pk_add_f32 v[78:79], v[78:79], v[88:89]
	v_pk_fma_f32 v[80:81], v[136:137], v[120:121], v[80:81] neg_lo:[0,0,1] neg_hi:[0,0,1]
	v_mov_b32_e32 v81, v83
	s_delay_alu instid0(VALU_DEP_4) | instskip(NEXT) | instid1(VALU_DEP_4)
	v_pk_fma_f32 v[82:83], v[170:171], v[166:167], v[86:87] op_sel_hi:[1,0,1]
	v_pk_add_f32 v[78:79], v[78:79], v[84:85]
	v_pk_fma_f32 v[84:85], v[170:171], v[166:167], v[86:87] neg_lo:[0,0,1] neg_hi:[0,0,1]
	s_delay_alu instid0(VALU_DEP_3) | instskip(NEXT) | instid1(VALU_DEP_3)
	v_mov_b32_e32 v85, v83
	v_pk_add_f32 v[78:79], v[78:79], v[80:81]
	s_delay_alu instid0(VALU_DEP_1) | instskip(SKIP_1) | instid1(VALU_DEP_1)
	v_pk_add_f32 v[78:79], v[78:79], v[84:85]
	s_wait_loadcnt 0x0
	v_pk_add_f32 v[78:79], v[168:169], v[78:79] neg_lo:[0,1] neg_hi:[0,1]
	scratch_store_b64 off, v[78:79], off offset:112
	s_wait_xcnt 0x0
	v_cmpx_lt_u32_e32 13, v0
	s_cbranch_execz .LBB37_215
; %bb.214:
	scratch_load_b64 v[78:79], off, off offset:104
	v_mov_b64_e32 v[80:81], 0
	scratch_store_b64 off, v[80:81], off offset:104
	s_wait_loadcnt 0x0
	ds_store_b64 v1, v[78:79]
.LBB37_215:
	s_wait_xcnt 0x0
	s_or_b32 exec_lo, exec_lo, s0
	s_wait_storecnt_dscnt 0x0
	s_barrier_signal -1
	s_barrier_wait -1
	s_clause 0xc
	scratch_load_b128 v[78:81], off, off offset:112
	scratch_load_b128 v[82:85], off, off offset:128
	;; [unrolled: 1-line block ×12, first 2 shown]
	scratch_load_b64 v[174:175], off, off offset:104
	ds_load_b128 v[126:129], v5 offset:544
	ds_load_b128 v[130:133], v5 offset:560
	;; [unrolled: 1-line block ×12, first 2 shown]
	s_mov_b32 s0, exec_lo
	s_wait_dscnt 0xb
	v_dual_mov_b32 v176, v129 :: v_dual_mov_b32 v177, v128
	s_wait_dscnt 0xa
	v_dual_mov_b32 v178, v133 :: v_dual_mov_b32 v179, v132
	;; [unrolled: 2-line block ×4, first 2 shown]
	s_wait_loadcnt_dscnt 0xc07
	v_dual_mul_f32 v5, v142, v79 :: v_dual_mul_f32 v9, v144, v81
	v_dual_mul_f32 v35, v143, v79 :: v_dual_mul_f32 v37, v145, v81
	s_wait_loadcnt_dscnt 0xb06
	v_dual_mul_f32 v11, v146, v83 :: v_dual_mul_f32 v13, v148, v85
	s_delay_alu instid0(VALU_DEP_2) | instskip(SKIP_3) | instid1(VALU_DEP_3)
	v_dual_fmac_f32 v5, v143, v78 :: v_dual_fma_f32 v35, v142, v78, -v35
	v_dual_mul_f32 v39, v147, v83 :: v_dual_mul_f32 v41, v149, v85
	s_wait_loadcnt_dscnt 0x904
	v_dual_mul_f32 v47, v155, v91 :: v_dual_fmac_f32 v9, v145, v80
	v_dual_fma_f32 v37, v144, v80, -v37 :: v_dual_add_f32 v5, 0, v5
	v_dual_add_f32 v35, 0, v35 :: v_dual_mul_f32 v49, v157, v93
	v_fmac_f32_e32 v11, v147, v82
	s_delay_alu instid0(VALU_DEP_3) | instskip(NEXT) | instid1(VALU_DEP_3)
	v_dual_fma_f32 v39, v146, v82, -v39 :: v_dual_add_f32 v5, v5, v9
	v_dual_add_f32 v9, v35, v37 :: v_dual_mul_f32 v15, v150, v87
	v_dual_mul_f32 v17, v152, v89 :: v_dual_mul_f32 v43, v151, v87
	v_dual_mul_f32 v45, v153, v89 :: v_dual_fma_f32 v37, v148, v84, -v41
	s_delay_alu instid0(VALU_DEP_4) | instskip(NEXT) | instid1(VALU_DEP_4)
	v_add_f32_e32 v5, v5, v11
	v_dual_add_f32 v9, v9, v39 :: v_dual_fmac_f32 v15, v151, v86
	s_wait_loadcnt_dscnt 0x803
	v_dual_mul_f32 v35, v159, v95 :: v_dual_fmac_f32 v13, v149, v84
	v_dual_mul_f32 v11, v161, v97 :: v_dual_fma_f32 v39, v150, v86, -v43
	s_delay_alu instid0(VALU_DEP_3) | instskip(SKIP_1) | instid1(VALU_DEP_3)
	v_dual_add_f32 v9, v9, v37 :: v_dual_fma_f32 v37, v152, v88, -v45
	s_wait_loadcnt_dscnt 0x702
	v_dual_add_f32 v5, v5, v13 :: v_dual_mul_f32 v13, v163, v99
	v_dual_mul_f32 v19, v154, v91 :: v_dual_mul_f32 v21, v156, v93
	s_delay_alu instid0(VALU_DEP_3) | instskip(SKIP_1) | instid1(VALU_DEP_4)
	v_add_f32_e32 v9, v9, v39
	v_fmac_f32_e32 v17, v153, v88
	v_dual_add_f32 v5, v5, v15 :: v_dual_fma_f32 v39, v154, v90, -v47
	v_dual_mul_f32 v23, v158, v95 :: v_dual_mul_f32 v25, v160, v97
	s_delay_alu instid0(VALU_DEP_4) | instskip(NEXT) | instid1(VALU_DEP_3)
	v_dual_add_f32 v9, v9, v37 :: v_dual_fma_f32 v35, v158, v94, -v35
	v_dual_fmac_f32 v19, v155, v90 :: v_dual_add_f32 v5, v5, v17
	s_delay_alu instid0(VALU_DEP_3) | instskip(NEXT) | instid1(VALU_DEP_3)
	v_dual_fmac_f32 v23, v159, v94 :: v_dual_fma_f32 v37, v156, v92, -v49
	v_dual_add_f32 v9, v9, v39 :: v_dual_fma_f32 v13, v162, v98, -v13
	v_dual_mul_f32 v27, v162, v99 :: v_dual_mul_f32 v29, v164, v101
	s_wait_loadcnt_dscnt 0x601
	v_dual_mul_f32 v31, v166, v103 :: v_dual_mul_f32 v33, v168, v105
	s_delay_alu instid0(VALU_DEP_2) | instskip(SKIP_1) | instid1(VALU_DEP_3)
	v_dual_fmac_f32 v21, v157, v92 :: v_dual_fmac_f32 v27, v163, v98
	v_dual_add_f32 v5, v5, v19 :: v_dual_fma_f32 v11, v160, v96, -v11
	v_dual_add_f32 v9, v9, v37 :: v_dual_fmac_f32 v31, v167, v102
	v_dual_mul_f32 v15, v165, v101 :: v_dual_mul_f32 v17, v167, v103
	v_mul_f32_e32 v19, v169, v105
	s_wait_loadcnt_dscnt 0x500
	v_dual_add_f32 v5, v5, v21 :: v_dual_mul_f32 v21, v171, v107
	v_add_f32_e32 v9, v9, v35
	v_dual_mul_f32 v185, v170, v107 :: v_dual_mul_f32 v187, v172, v109
	v_fmac_f32_e32 v25, v161, v96
	v_fmac_f32_e32 v29, v165, v100
	s_delay_alu instid0(VALU_DEP_4)
	v_dual_add_f32 v9, v9, v11 :: v_dual_fma_f32 v11, v164, v100, -v15
	v_add_f32_e32 v5, v5, v23
	v_dual_mul_f32 v23, v173, v109 :: v_dual_fmac_f32 v185, v171, v106
	v_fma_f32 v184, v170, v106, -v21
	v_fmac_f32_e32 v33, v169, v104
	s_wait_loadcnt 0x4
	v_pk_mul_f32 v[78:79], v[126:127], v[110:111] op_sel:[1,1] op_sel_hi:[0,1]
	v_dual_fma_f32 v186, v172, v108, -v23 :: v_dual_add_f32 v9, v9, v13
	v_dual_fma_f32 v13, v166, v102, -v17 :: v_dual_add_f32 v5, v5, v25
	s_wait_loadcnt 0x3
	v_dual_mov_b32 v80, v113 :: v_dual_mov_b32 v84, v117
	s_delay_alu instid0(VALU_DEP_3) | instskip(NEXT) | instid1(VALU_DEP_3)
	v_dual_add_f32 v9, v9, v11 :: v_dual_fma_f32 v11, v168, v104, -v19
	v_add_f32_e32 v5, v5, v27
	v_fmac_f32_e32 v187, v173, v108
	v_pk_fma_f32 v[88:89], v[126:127], v[110:111], v[78:79] op_sel_hi:[1,0,1]
	s_delay_alu instid0(VALU_DEP_4)
	v_add_f32_e32 v9, v9, v13
	v_pk_mul_f32 v[80:81], v[176:177], v[80:81] op_sel_hi:[1,0]
	v_add_f32_e32 v5, v5, v29
	v_pk_fma_f32 v[78:79], v[126:127], v[110:111], v[78:79] neg_lo:[0,0,1] neg_hi:[0,0,1]
	v_pk_mul_f32 v[82:83], v[130:131], v[114:115] op_sel:[1,1] op_sel_hi:[0,1]
	v_add_f32_e32 v86, v9, v11
	v_mov_b32_e32 v79, v89
	v_add_f32_e32 v5, v5, v31
	v_pk_fma_f32 v[88:89], v[128:129], v[112:113], v[80:81] op_sel_hi:[1,0,1]
	v_pk_fma_f32 v[80:81], v[128:129], v[112:113], v[80:81] neg_lo:[0,0,1] neg_hi:[0,0,1]
	v_pk_fma_f32 v[92:93], v[130:131], v[114:115], v[82:83] op_sel_hi:[1,0,1]
	v_pk_mul_f32 v[84:85], v[178:179], v[84:85] op_sel_hi:[1,0]
	v_add_f32_e32 v87, v5, v33
	v_mov_b32_e32 v81, v89
	s_wait_loadcnt 0x2
	v_pk_mul_f32 v[90:91], v[134:135], v[118:119] op_sel:[1,1] op_sel_hi:[0,1]
	v_pk_fma_f32 v[82:83], v[130:131], v[114:115], v[82:83] neg_lo:[0,0,1] neg_hi:[0,0,1]
	v_mov_b32_e32 v83, v93
	v_pk_add_f32 v[86:87], v[86:87], v[184:185]
	v_pk_fma_f32 v[88:89], v[132:133], v[116:117], v[84:85] op_sel_hi:[1,0,1]
	v_pk_fma_f32 v[84:85], v[132:133], v[116:117], v[84:85] neg_lo:[0,0,1] neg_hi:[0,0,1]
	s_delay_alu instid0(VALU_DEP_3) | instskip(NEXT) | instid1(VALU_DEP_1)
	v_pk_add_f32 v[86:87], v[86:87], v[186:187]
	v_pk_add_f32 v[78:79], v[86:87], v[78:79]
	v_mov_b32_e32 v86, v121
	s_delay_alu instid0(VALU_DEP_2) | instskip(SKIP_1) | instid1(VALU_DEP_3)
	v_pk_add_f32 v[78:79], v[78:79], v[80:81]
	v_pk_fma_f32 v[80:81], v[134:135], v[118:119], v[90:91] op_sel_hi:[1,0,1]
	v_pk_mul_f32 v[86:87], v[180:181], v[86:87] op_sel_hi:[1,0]
	v_mov_b32_e32 v85, v89
	v_pk_fma_f32 v[88:89], v[134:135], v[118:119], v[90:91] neg_lo:[0,0,1] neg_hi:[0,0,1]
	v_pk_add_f32 v[78:79], v[78:79], v[82:83]
	v_mov_b32_e32 v89, v81
	v_pk_fma_f32 v[80:81], v[136:137], v[120:121], v[86:87] op_sel_hi:[1,0,1]
	s_wait_loadcnt 0x1
	v_pk_mul_f32 v[82:83], v[138:139], v[122:123] op_sel:[1,1] op_sel_hi:[0,1]
	v_mov_b32_e32 v80, v125
	v_pk_add_f32 v[78:79], v[78:79], v[84:85]
	v_pk_fma_f32 v[86:87], v[136:137], v[120:121], v[86:87] neg_lo:[0,0,1] neg_hi:[0,0,1]
	v_mov_b32_e32 v87, v81
	v_pk_fma_f32 v[84:85], v[138:139], v[122:123], v[82:83] op_sel_hi:[1,0,1]
	v_pk_mul_f32 v[80:81], v[182:183], v[80:81] op_sel_hi:[1,0]
	v_pk_add_f32 v[78:79], v[78:79], v[88:89]
	v_pk_fma_f32 v[82:83], v[138:139], v[122:123], v[82:83] neg_lo:[0,0,1] neg_hi:[0,0,1]
	s_delay_alu instid0(VALU_DEP_4) | instskip(NEXT) | instid1(VALU_DEP_4)
	v_mov_b32_e32 v83, v85
	v_pk_fma_f32 v[84:85], v[140:141], v[124:125], v[80:81] op_sel_hi:[1,0,1]
	s_delay_alu instid0(VALU_DEP_4) | instskip(SKIP_1) | instid1(VALU_DEP_3)
	v_pk_add_f32 v[78:79], v[78:79], v[86:87]
	v_pk_fma_f32 v[80:81], v[140:141], v[124:125], v[80:81] neg_lo:[0,0,1] neg_hi:[0,0,1]
	v_mov_b32_e32 v81, v85
	s_delay_alu instid0(VALU_DEP_3) | instskip(NEXT) | instid1(VALU_DEP_1)
	v_pk_add_f32 v[78:79], v[78:79], v[82:83]
	v_pk_add_f32 v[78:79], v[78:79], v[80:81]
	s_wait_loadcnt 0x0
	s_delay_alu instid0(VALU_DEP_1)
	v_pk_add_f32 v[78:79], v[174:175], v[78:79] neg_lo:[0,1] neg_hi:[0,1]
	scratch_store_b64 off, v[78:79], off offset:104
	s_wait_xcnt 0x0
	v_cmpx_lt_u32_e32 12, v0
	s_cbranch_execz .LBB37_217
; %bb.216:
	scratch_load_b64 v[78:79], off, off offset:96
	v_mov_b64_e32 v[80:81], 0
	scratch_store_b64 off, v[80:81], off offset:96
	s_wait_loadcnt 0x0
	ds_store_b64 v1, v[78:79]
.LBB37_217:
	s_wait_xcnt 0x0
	s_or_b32 exec_lo, exec_lo, s0
	s_wait_storecnt_dscnt 0x0
	s_barrier_signal -1
	s_barrier_wait -1
	s_clause 0xd
	scratch_load_b128 v[78:81], off, off offset:104
	scratch_load_b128 v[82:85], off, off offset:120
	;; [unrolled: 1-line block ×12, first 2 shown]
	scratch_load_b64 v[174:175], off, off offset:296
	scratch_load_b64 v[176:177], off, off offset:96
	v_mov_b32_e32 v5, 0
	ds_load_2addr_b64 v[126:129], v5 offset0:67 offset1:68
	ds_load_2addr_b64 v[130:133], v5 offset0:69 offset1:70
	;; [unrolled: 1-line block ×12, first 2 shown]
	ds_load_b64 v[178:179], v5 offset:600
	s_mov_b32 s0, exec_lo
	s_wait_dscnt 0xc
	v_dual_mov_b32 v180, v129 :: v_dual_mov_b32 v181, v128
	s_wait_dscnt 0x9
	v_dual_mov_b32 v182, v133 :: v_dual_mov_b32 v187, v140
	v_dual_mov_b32 v183, v132 :: v_dual_mov_b32 v184, v137
	;; [unrolled: 1-line block ×3, first 2 shown]
	s_wait_loadcnt_dscnt 0xd08
	v_dual_mul_f32 v9, v142, v79 :: v_dual_mul_f32 v39, v143, v79
	v_dual_mul_f32 v41, v145, v81 :: v_dual_mul_f32 v11, v144, v81
	s_wait_loadcnt_dscnt 0xc07
	v_mul_f32_e32 v13, v146, v83
	s_wait_loadcnt_dscnt 0xa05
	v_dual_mul_f32 v51, v155, v91 :: v_dual_fma_f32 v39, v142, v78, -v39
	v_dual_fmac_f32 v9, v143, v78 :: v_dual_mul_f32 v53, v157, v93
	v_dual_mul_f32 v43, v147, v83 :: v_dual_mul_f32 v45, v149, v85
	v_dual_fmac_f32 v11, v145, v80 :: v_dual_fma_f32 v41, v144, v80, -v41
	s_delay_alu instid0(VALU_DEP_3) | instskip(SKIP_3) | instid1(VALU_DEP_3)
	v_dual_add_f32 v9, 0, v9 :: v_dual_add_f32 v39, 0, v39
	v_dual_mul_f32 v15, v148, v85 :: v_dual_mul_f32 v17, v150, v87
	s_wait_loadcnt_dscnt 0x904
	v_dual_mul_f32 v55, v159, v95 :: v_dual_fma_f32 v43, v146, v82, -v43
	v_dual_fmac_f32 v13, v147, v82 :: v_dual_add_f32 v9, v9, v11
	s_delay_alu instid0(VALU_DEP_3) | instskip(SKIP_2) | instid1(VALU_DEP_3)
	v_dual_add_f32 v11, v39, v41 :: v_dual_fmac_f32 v15, v149, v84
	v_dual_mul_f32 v47, v151, v87 :: v_dual_mul_f32 v49, v153, v89
	v_dual_mul_f32 v39, v161, v97 :: v_dual_fma_f32 v41, v148, v84, -v45
	v_dual_add_f32 v9, v9, v13 :: v_dual_add_f32 v11, v11, v43
	v_dual_mul_f32 v19, v152, v89 :: v_dual_mul_f32 v21, v154, v91
	s_wait_loadcnt_dscnt 0x803
	v_dual_mul_f32 v13, v163, v99 :: v_dual_fma_f32 v43, v150, v86, -v47
	s_delay_alu instid0(VALU_DEP_3) | instskip(NEXT) | instid1(VALU_DEP_3)
	v_dual_fmac_f32 v17, v151, v86 :: v_dual_add_f32 v9, v9, v15
	v_dual_add_f32 v11, v11, v41 :: v_dual_fmac_f32 v19, v153, v88
	v_dual_mul_f32 v15, v165, v101 :: v_dual_fma_f32 v41, v152, v88, -v49
	s_delay_alu instid0(VALU_DEP_2) | instskip(SKIP_3) | instid1(VALU_DEP_3)
	v_dual_add_f32 v9, v9, v17 :: v_dual_add_f32 v11, v11, v43
	v_dual_mul_f32 v23, v156, v93 :: v_dual_mul_f32 v25, v158, v95
	s_wait_loadcnt_dscnt 0x702
	v_dual_mul_f32 v17, v167, v103 :: v_dual_fma_f32 v43, v154, v90, -v51
	v_dual_fmac_f32 v21, v155, v90 :: v_dual_add_f32 v9, v9, v19
	s_delay_alu instid0(VALU_DEP_3) | instskip(SKIP_1) | instid1(VALU_DEP_2)
	v_dual_add_f32 v11, v11, v41 :: v_dual_fmac_f32 v23, v157, v92
	v_dual_mul_f32 v19, v169, v105 :: v_dual_fma_f32 v41, v156, v92, -v53
	v_dual_add_f32 v9, v9, v21 :: v_dual_add_f32 v11, v11, v43
	v_dual_mul_f32 v27, v160, v97 :: v_dual_mul_f32 v29, v162, v99
	s_wait_loadcnt_dscnt 0x601
	v_dual_mul_f32 v21, v171, v107 :: v_dual_fma_f32 v43, v158, v94, -v55
	s_delay_alu instid0(VALU_DEP_3) | instskip(NEXT) | instid1(VALU_DEP_3)
	v_dual_fmac_f32 v25, v159, v94 :: v_dual_add_f32 v9, v9, v23
	v_dual_add_f32 v11, v11, v41 :: v_dual_fmac_f32 v27, v161, v96
	v_dual_mul_f32 v23, v173, v109 :: v_dual_fma_f32 v39, v160, v96, -v39
	s_delay_alu instid0(VALU_DEP_2) | instskip(SKIP_3) | instid1(VALU_DEP_3)
	v_dual_add_f32 v9, v9, v25 :: v_dual_add_f32 v11, v11, v43
	v_dual_mul_f32 v31, v164, v101 :: v_dual_mul_f32 v33, v166, v103
	s_wait_loadcnt 0x5
	v_dual_mul_f32 v25, v127, v111 :: v_dual_fma_f32 v13, v162, v98, -v13
	v_dual_fmac_f32 v29, v163, v98 :: v_dual_add_f32 v9, v9, v27
	v_dual_add_f32 v11, v11, v39 :: v_dual_mov_b32 v78, v113
	v_fmac_f32_e32 v31, v165, v100
	s_delay_alu instid0(VALU_DEP_3) | instskip(NEXT) | instid1(VALU_DEP_3)
	v_dual_fma_f32 v15, v164, v100, -v15 :: v_dual_add_f32 v9, v9, v29
	v_add_f32_e32 v11, v11, v13
	v_dual_mul_f32 v35, v168, v105 :: v_dual_mul_f32 v37, v170, v107
	s_delay_alu instid0(VALU_DEP_3) | instskip(NEXT) | instid1(VALU_DEP_3)
	v_dual_fmac_f32 v33, v167, v102 :: v_dual_add_f32 v9, v9, v31
	v_dual_fma_f32 v13, v166, v102, -v17 :: v_dual_add_f32 v11, v11, v15
	s_wait_loadcnt 0x4
	v_dual_mov_b32 v82, v117 :: v_dual_fma_f32 v15, v168, v104, -v19
	v_fmac_f32_e32 v35, v169, v104
	v_dual_add_f32 v9, v9, v33 :: v_dual_fmac_f32 v37, v171, v106
	v_add_f32_e32 v11, v11, v13
	v_dual_mul_f32 v189, v172, v109 :: v_dual_mul_f32 v191, v126, v111
	s_delay_alu instid0(VALU_DEP_3) | instskip(NEXT) | instid1(VALU_DEP_2)
	v_dual_fma_f32 v13, v170, v106, -v21 :: v_dual_add_f32 v9, v9, v35
	v_dual_add_f32 v11, v11, v15 :: v_dual_fmac_f32 v189, v173, v108
	v_fma_f32 v188, v172, v108, -v23
	v_pk_mul_f32 v[78:79], v[180:181], v[78:79] op_sel_hi:[1,0]
	s_delay_alu instid0(VALU_DEP_4)
	v_add_f32_e32 v87, v9, v37
	s_wait_loadcnt 0x3
	v_dual_add_f32 v86, v11, v13 :: v_dual_mov_b32 v88, v121
	v_pk_mul_f32 v[80:81], v[130:131], v[114:115] op_sel:[1,1] op_sel_hi:[0,1]
	v_dual_fmac_f32 v191, v127, v110 :: v_dual_fma_f32 v190, v126, v110, -v25
	v_pk_fma_f32 v[90:91], v[128:129], v[112:113], v[78:79] op_sel_hi:[1,0,1]
	s_delay_alu instid0(VALU_DEP_4)
	v_pk_add_f32 v[86:87], v[86:87], v[188:189]
	v_pk_fma_f32 v[78:79], v[128:129], v[112:113], v[78:79] neg_lo:[0,0,1] neg_hi:[0,0,1]
	v_pk_fma_f32 v[92:93], v[130:131], v[114:115], v[80:81] op_sel_hi:[1,0,1]
	v_pk_mul_f32 v[82:83], v[182:183], v[82:83] op_sel_hi:[1,0]
	v_mov_b32_e32 v79, v91
	v_pk_add_f32 v[86:87], v[86:87], v[190:191]
	v_pk_fma_f32 v[80:81], v[130:131], v[114:115], v[80:81] neg_lo:[0,0,1] neg_hi:[0,0,1]
	v_pk_mul_f32 v[84:85], v[134:135], v[118:119] op_sel:[1,1] op_sel_hi:[0,1]
	v_mov_b32_e32 v81, v93
	v_pk_fma_f32 v[92:93], v[132:133], v[116:117], v[82:83] op_sel_hi:[1,0,1]
	v_pk_add_f32 v[78:79], v[86:87], v[78:79]
	v_pk_fma_f32 v[82:83], v[132:133], v[116:117], v[82:83] neg_lo:[0,0,1] neg_hi:[0,0,1]
	v_pk_fma_f32 v[86:87], v[134:135], v[118:119], v[84:85] op_sel_hi:[1,0,1]
	v_pk_mul_f32 v[88:89], v[184:185], v[88:89] op_sel_hi:[1,0]
	v_mov_b32_e32 v83, v93
	v_pk_add_f32 v[78:79], v[78:79], v[80:81]
	v_pk_fma_f32 v[84:85], v[134:135], v[118:119], v[84:85] neg_lo:[0,0,1] neg_hi:[0,0,1]
	s_wait_loadcnt 0x2
	v_pk_mul_f32 v[90:91], v[138:139], v[122:123] op_sel:[1,1] op_sel_hi:[0,1]
	v_dual_mov_b32 v80, v125 :: v_dual_mov_b32 v85, v87
	v_pk_fma_f32 v[86:87], v[136:137], v[120:121], v[88:89] op_sel_hi:[1,0,1]
	v_pk_add_f32 v[78:79], v[78:79], v[82:83]
	v_pk_fma_f32 v[88:89], v[136:137], v[120:121], v[88:89] neg_lo:[0,0,1] neg_hi:[0,0,1]
	v_pk_fma_f32 v[82:83], v[138:139], v[122:123], v[90:91] op_sel_hi:[1,0,1]
	v_pk_mul_f32 v[80:81], v[186:187], v[80:81] op_sel_hi:[1,0]
	v_mov_b32_e32 v89, v87
	v_pk_add_f32 v[78:79], v[78:79], v[84:85]
	v_pk_fma_f32 v[84:85], v[138:139], v[122:123], v[90:91] neg_lo:[0,0,1] neg_hi:[0,0,1]
	v_mov_b32_e32 v85, v83
	v_pk_fma_f32 v[82:83], v[140:141], v[124:125], v[80:81] op_sel_hi:[1,0,1]
	s_wait_loadcnt_dscnt 0x100
	v_pk_mul_f32 v[86:87], v[178:179], v[174:175] op_sel:[1,1] op_sel_hi:[0,1]
	v_pk_add_f32 v[78:79], v[78:79], v[88:89]
	v_pk_fma_f32 v[80:81], v[140:141], v[124:125], v[80:81] neg_lo:[0,0,1] neg_hi:[0,0,1]
	v_mov_b32_e32 v81, v83
	s_delay_alu instid0(VALU_DEP_4) | instskip(NEXT) | instid1(VALU_DEP_4)
	v_pk_fma_f32 v[82:83], v[178:179], v[174:175], v[86:87] op_sel_hi:[1,0,1]
	v_pk_add_f32 v[78:79], v[78:79], v[84:85]
	v_pk_fma_f32 v[84:85], v[178:179], v[174:175], v[86:87] neg_lo:[0,0,1] neg_hi:[0,0,1]
	s_delay_alu instid0(VALU_DEP_3) | instskip(NEXT) | instid1(VALU_DEP_3)
	v_mov_b32_e32 v85, v83
	v_pk_add_f32 v[78:79], v[78:79], v[80:81]
	s_delay_alu instid0(VALU_DEP_1) | instskip(SKIP_1) | instid1(VALU_DEP_1)
	v_pk_add_f32 v[78:79], v[78:79], v[84:85]
	s_wait_loadcnt 0x0
	v_pk_add_f32 v[78:79], v[176:177], v[78:79] neg_lo:[0,1] neg_hi:[0,1]
	scratch_store_b64 off, v[78:79], off offset:96
	s_wait_xcnt 0x0
	v_cmpx_lt_u32_e32 11, v0
	s_cbranch_execz .LBB37_219
; %bb.218:
	scratch_load_b64 v[78:79], off, off offset:88
	v_mov_b64_e32 v[80:81], 0
	scratch_store_b64 off, v[80:81], off offset:88
	s_wait_loadcnt 0x0
	ds_store_b64 v1, v[78:79]
.LBB37_219:
	s_wait_xcnt 0x0
	s_or_b32 exec_lo, exec_lo, s0
	s_wait_storecnt_dscnt 0x0
	s_barrier_signal -1
	s_barrier_wait -1
	s_clause 0xd
	scratch_load_b128 v[78:81], off, off offset:96
	scratch_load_b128 v[82:85], off, off offset:112
	;; [unrolled: 1-line block ×13, first 2 shown]
	scratch_load_b64 v[182:183], off, off offset:88
	ds_load_b128 v[130:133], v5 offset:544
	ds_load_b128 v[134:137], v5 offset:560
	;; [unrolled: 1-line block ×13, first 2 shown]
	s_mov_b32 s0, exec_lo
	s_wait_dscnt 0xc
	v_dual_mov_b32 v184, v133 :: v_dual_mov_b32 v185, v132
	s_wait_dscnt 0xb
	v_dual_mov_b32 v186, v137 :: v_dual_mov_b32 v187, v136
	;; [unrolled: 2-line block ×4, first 2 shown]
	s_wait_loadcnt_dscnt 0xd08
	v_dual_mul_f32 v5, v146, v79 :: v_dual_mul_f32 v9, v148, v81
	v_dual_mul_f32 v39, v147, v79 :: v_dual_mul_f32 v41, v149, v81
	s_wait_loadcnt_dscnt 0xc07
	v_dual_mul_f32 v11, v150, v83 :: v_dual_mul_f32 v13, v152, v85
	s_delay_alu instid0(VALU_DEP_2) | instskip(SKIP_3) | instid1(VALU_DEP_3)
	v_dual_fmac_f32 v5, v147, v78 :: v_dual_fma_f32 v39, v146, v78, -v39
	v_dual_mul_f32 v43, v151, v83 :: v_dual_mul_f32 v45, v153, v85
	s_wait_loadcnt_dscnt 0xa05
	v_dual_mul_f32 v51, v159, v91 :: v_dual_fmac_f32 v9, v149, v80
	v_dual_fma_f32 v41, v148, v80, -v41 :: v_dual_add_f32 v5, 0, v5
	v_dual_add_f32 v39, 0, v39 :: v_dual_mul_f32 v53, v161, v93
	v_fmac_f32_e32 v11, v151, v82
	s_delay_alu instid0(VALU_DEP_3) | instskip(NEXT) | instid1(VALU_DEP_3)
	v_dual_fma_f32 v43, v150, v82, -v43 :: v_dual_add_f32 v5, v5, v9
	v_dual_add_f32 v9, v39, v41 :: v_dual_mul_f32 v15, v154, v87
	v_dual_mul_f32 v17, v156, v89 :: v_dual_mul_f32 v47, v155, v87
	v_dual_mul_f32 v49, v157, v89 :: v_dual_fma_f32 v41, v152, v84, -v45
	s_delay_alu instid0(VALU_DEP_4) | instskip(NEXT) | instid1(VALU_DEP_4)
	v_add_f32_e32 v5, v5, v11
	v_dual_add_f32 v9, v9, v43 :: v_dual_fmac_f32 v15, v155, v86
	s_wait_loadcnt_dscnt 0x903
	v_dual_mul_f32 v39, v167, v95 :: v_dual_fmac_f32 v13, v153, v84
	v_dual_mul_f32 v11, v169, v97 :: v_dual_fma_f32 v43, v154, v86, -v47
	s_delay_alu instid0(VALU_DEP_3) | instskip(SKIP_1) | instid1(VALU_DEP_3)
	v_dual_add_f32 v9, v9, v41 :: v_dual_fma_f32 v41, v156, v88, -v49
	s_wait_loadcnt_dscnt 0x802
	v_dual_add_f32 v5, v5, v13 :: v_dual_mul_f32 v13, v171, v99
	v_dual_mul_f32 v19, v158, v91 :: v_dual_mul_f32 v21, v160, v93
	s_delay_alu instid0(VALU_DEP_3) | instskip(SKIP_1) | instid1(VALU_DEP_4)
	v_add_f32_e32 v9, v9, v43
	v_fmac_f32_e32 v17, v157, v88
	v_dual_add_f32 v5, v5, v15 :: v_dual_fma_f32 v43, v158, v90, -v51
	v_dual_mul_f32 v23, v166, v95 :: v_dual_mul_f32 v25, v168, v97
	s_delay_alu instid0(VALU_DEP_4) | instskip(NEXT) | instid1(VALU_DEP_3)
	v_dual_add_f32 v9, v9, v41 :: v_dual_fma_f32 v39, v166, v94, -v39
	v_dual_fmac_f32 v19, v159, v90 :: v_dual_add_f32 v5, v5, v17
	s_delay_alu instid0(VALU_DEP_3) | instskip(NEXT) | instid1(VALU_DEP_3)
	v_dual_fmac_f32 v23, v167, v94 :: v_dual_fma_f32 v41, v160, v92, -v53
	v_dual_add_f32 v9, v9, v43 :: v_dual_fma_f32 v13, v170, v98, -v13
	v_dual_mul_f32 v27, v170, v99 :: v_dual_mul_f32 v29, v172, v101
	s_wait_loadcnt_dscnt 0x701
	v_dual_mul_f32 v15, v173, v101 :: v_dual_mul_f32 v17, v175, v103
	s_delay_alu instid0(VALU_DEP_2) | instskip(SKIP_1) | instid1(VALU_DEP_3)
	v_dual_fmac_f32 v21, v161, v92 :: v_dual_fmac_f32 v27, v171, v98
	v_dual_add_f32 v5, v5, v19 :: v_dual_fma_f32 v11, v168, v96, -v11
	v_dual_add_f32 v9, v9, v41 :: v_dual_fma_f32 v15, v172, v100, -v15
	v_mul_f32_e32 v19, v177, v105
	s_wait_loadcnt_dscnt 0x600
	s_delay_alu instid0(VALU_DEP_3) | instskip(NEXT) | instid1(VALU_DEP_3)
	v_dual_add_f32 v5, v5, v21 :: v_dual_mul_f32 v21, v179, v107
	v_add_f32_e32 v9, v9, v39
	v_dual_mul_f32 v31, v174, v103 :: v_dual_mul_f32 v33, v176, v105
	s_wait_loadcnt 0x5
	v_dual_mul_f32 v193, v162, v111 :: v_dual_mul_f32 v195, v164, v113
	s_delay_alu instid0(VALU_DEP_3) | instskip(NEXT) | instid1(VALU_DEP_3)
	v_add_f32_e32 v9, v9, v11
	v_dual_fmac_f32 v25, v169, v96 :: v_dual_fmac_f32 v31, v175, v102
	v_mul_f32_e32 v11, v163, v111
	v_dual_add_f32 v5, v5, v23 :: v_dual_fma_f32 v17, v174, v102, -v17
	s_delay_alu instid0(VALU_DEP_4) | instskip(SKIP_1) | instid1(VALU_DEP_3)
	v_add_f32_e32 v9, v9, v13
	v_dual_mul_f32 v13, v165, v113 :: v_dual_fmac_f32 v195, v165, v112
	v_add_f32_e32 v5, v5, v25
	v_dual_fmac_f32 v29, v173, v100 :: v_dual_fma_f32 v192, v162, v110, -v11
	s_delay_alu instid0(VALU_DEP_3) | instskip(SKIP_2) | instid1(VALU_DEP_3)
	v_dual_fma_f32 v194, v164, v112, -v13 :: v_dual_add_f32 v9, v9, v15
	v_dual_fmac_f32 v193, v163, v110 :: v_dual_mul_f32 v35, v178, v107
	v_dual_mul_f32 v37, v180, v109 :: v_dual_fmac_f32 v33, v177, v104
	v_dual_add_f32 v9, v9, v17 :: v_dual_fma_f32 v17, v178, v106, -v21
	v_dual_add_f32 v5, v5, v27 :: v_dual_fma_f32 v15, v176, v104, -v19
	s_delay_alu instid0(VALU_DEP_4) | instskip(NEXT) | instid1(VALU_DEP_4)
	v_dual_mul_f32 v23, v181, v109 :: v_dual_fmac_f32 v35, v179, v106
	v_fmac_f32_e32 v37, v181, v108
	s_delay_alu instid0(VALU_DEP_3) | instskip(NEXT) | instid1(VALU_DEP_3)
	v_add_f32_e32 v5, v5, v29
	v_dual_add_f32 v9, v9, v15 :: v_dual_fma_f32 v15, v180, v108, -v23
	s_wait_loadcnt 0x4
	v_pk_mul_f32 v[78:79], v[130:131], v[114:115] op_sel:[1,1] op_sel_hi:[0,1]
	s_wait_loadcnt 0x3
	v_dual_mov_b32 v80, v117 :: v_dual_mov_b32 v84, v121
	v_add_f32_e32 v5, v5, v31
	v_add_f32_e32 v9, v9, v17
	v_pk_fma_f32 v[88:89], v[130:131], v[114:115], v[78:79] op_sel_hi:[1,0,1]
	s_delay_alu instid0(VALU_DEP_4)
	v_pk_mul_f32 v[80:81], v[184:185], v[80:81] op_sel_hi:[1,0]
	v_pk_fma_f32 v[78:79], v[130:131], v[114:115], v[78:79] neg_lo:[0,0,1] neg_hi:[0,0,1]
	v_add_f32_e32 v5, v5, v33
	v_add_f32_e32 v86, v9, v15
	v_pk_mul_f32 v[82:83], v[134:135], v[118:119] op_sel:[1,1] op_sel_hi:[0,1]
	v_mov_b32_e32 v79, v89
	v_pk_fma_f32 v[88:89], v[132:133], v[116:117], v[80:81] op_sel_hi:[1,0,1]
	v_add_f32_e32 v5, v5, v35
	v_pk_fma_f32 v[80:81], v[132:133], v[116:117], v[80:81] neg_lo:[0,0,1] neg_hi:[0,0,1]
	v_pk_fma_f32 v[92:93], v[134:135], v[118:119], v[82:83] op_sel_hi:[1,0,1]
	v_pk_mul_f32 v[84:85], v[186:187], v[84:85] op_sel_hi:[1,0]
	v_mov_b32_e32 v81, v89
	v_add_f32_e32 v87, v5, v37
	s_wait_loadcnt 0x2
	v_pk_mul_f32 v[90:91], v[138:139], v[122:123] op_sel:[1,1] op_sel_hi:[0,1]
	v_pk_fma_f32 v[82:83], v[134:135], v[118:119], v[82:83] neg_lo:[0,0,1] neg_hi:[0,0,1]
	v_mov_b32_e32 v83, v93
	v_pk_fma_f32 v[88:89], v[136:137], v[120:121], v[84:85] op_sel_hi:[1,0,1]
	v_pk_add_f32 v[86:87], v[86:87], v[192:193]
	v_pk_fma_f32 v[84:85], v[136:137], v[120:121], v[84:85] neg_lo:[0,0,1] neg_hi:[0,0,1]
	s_delay_alu instid0(VALU_DEP_2) | instskip(NEXT) | instid1(VALU_DEP_1)
	v_pk_add_f32 v[86:87], v[86:87], v[194:195]
	v_pk_add_f32 v[78:79], v[86:87], v[78:79]
	v_mov_b32_e32 v86, v125
	s_delay_alu instid0(VALU_DEP_2) | instskip(SKIP_1) | instid1(VALU_DEP_3)
	v_pk_add_f32 v[78:79], v[78:79], v[80:81]
	v_pk_fma_f32 v[80:81], v[138:139], v[122:123], v[90:91] op_sel_hi:[1,0,1]
	v_pk_mul_f32 v[86:87], v[188:189], v[86:87] op_sel_hi:[1,0]
	v_mov_b32_e32 v85, v89
	v_pk_fma_f32 v[88:89], v[138:139], v[122:123], v[90:91] neg_lo:[0,0,1] neg_hi:[0,0,1]
	v_pk_add_f32 v[78:79], v[78:79], v[82:83]
	v_mov_b32_e32 v89, v81
	v_pk_fma_f32 v[80:81], v[140:141], v[124:125], v[86:87] op_sel_hi:[1,0,1]
	s_wait_loadcnt 0x1
	v_pk_mul_f32 v[82:83], v[142:143], v[126:127] op_sel:[1,1] op_sel_hi:[0,1]
	v_mov_b32_e32 v80, v129
	v_pk_add_f32 v[78:79], v[78:79], v[84:85]
	v_pk_fma_f32 v[86:87], v[140:141], v[124:125], v[86:87] neg_lo:[0,0,1] neg_hi:[0,0,1]
	v_mov_b32_e32 v87, v81
	v_pk_fma_f32 v[84:85], v[142:143], v[126:127], v[82:83] op_sel_hi:[1,0,1]
	v_pk_mul_f32 v[80:81], v[190:191], v[80:81] op_sel_hi:[1,0]
	v_pk_add_f32 v[78:79], v[78:79], v[88:89]
	v_pk_fma_f32 v[82:83], v[142:143], v[126:127], v[82:83] neg_lo:[0,0,1] neg_hi:[0,0,1]
	s_delay_alu instid0(VALU_DEP_4) | instskip(NEXT) | instid1(VALU_DEP_4)
	v_mov_b32_e32 v83, v85
	v_pk_fma_f32 v[84:85], v[144:145], v[128:129], v[80:81] op_sel_hi:[1,0,1]
	s_delay_alu instid0(VALU_DEP_4) | instskip(SKIP_1) | instid1(VALU_DEP_3)
	v_pk_add_f32 v[78:79], v[78:79], v[86:87]
	v_pk_fma_f32 v[80:81], v[144:145], v[128:129], v[80:81] neg_lo:[0,0,1] neg_hi:[0,0,1]
	v_mov_b32_e32 v81, v85
	s_delay_alu instid0(VALU_DEP_3) | instskip(NEXT) | instid1(VALU_DEP_1)
	v_pk_add_f32 v[78:79], v[78:79], v[82:83]
	v_pk_add_f32 v[78:79], v[78:79], v[80:81]
	s_wait_loadcnt 0x0
	s_delay_alu instid0(VALU_DEP_1)
	v_pk_add_f32 v[78:79], v[182:183], v[78:79] neg_lo:[0,1] neg_hi:[0,1]
	scratch_store_b64 off, v[78:79], off offset:88
	s_wait_xcnt 0x0
	v_cmpx_lt_u32_e32 10, v0
	s_cbranch_execz .LBB37_221
; %bb.220:
	scratch_load_b64 v[78:79], off, off offset:80
	v_mov_b64_e32 v[80:81], 0
	scratch_store_b64 off, v[80:81], off offset:80
	s_wait_loadcnt 0x0
	ds_store_b64 v1, v[78:79]
.LBB37_221:
	s_wait_xcnt 0x0
	s_or_b32 exec_lo, exec_lo, s0
	s_wait_storecnt_dscnt 0x0
	s_barrier_signal -1
	s_barrier_wait -1
	s_clause 0xe
	scratch_load_b128 v[78:81], off, off offset:88
	scratch_load_b128 v[82:85], off, off offset:104
	;; [unrolled: 1-line block ×13, first 2 shown]
	scratch_load_b64 v[182:183], off, off offset:296
	scratch_load_b64 v[184:185], off, off offset:80
	v_mov_b32_e32 v5, 0
	ds_load_2addr_b64 v[130:133], v5 offset0:67 offset1:68
	ds_load_2addr_b64 v[134:137], v5 offset0:69 offset1:70
	;; [unrolled: 1-line block ×13, first 2 shown]
	ds_load_b64 v[186:187], v5 offset:600
	s_mov_b32 s0, exec_lo
	s_wait_dscnt 0xd
	v_dual_mov_b32 v188, v133 :: v_dual_mov_b32 v189, v132
	s_wait_dscnt 0xa
	v_dual_mov_b32 v190, v137 :: v_dual_mov_b32 v195, v144
	v_dual_mov_b32 v191, v136 :: v_dual_mov_b32 v192, v141
	;; [unrolled: 1-line block ×3, first 2 shown]
	s_wait_loadcnt_dscnt 0xe09
	v_dual_mul_f32 v9, v146, v79 :: v_dual_mul_f32 v43, v147, v79
	v_dual_mul_f32 v45, v149, v81 :: v_dual_mul_f32 v11, v148, v81
	s_wait_loadcnt_dscnt 0xd08
	v_mul_f32_e32 v13, v150, v83
	s_wait_loadcnt_dscnt 0xb05
	v_dual_mul_f32 v55, v163, v91 :: v_dual_fma_f32 v43, v146, v78, -v43
	v_dual_fmac_f32 v9, v147, v78 :: v_dual_mul_f32 v57, v165, v93
	v_dual_mul_f32 v47, v151, v83 :: v_dual_mul_f32 v49, v153, v85
	v_dual_fmac_f32 v11, v149, v80 :: v_dual_fma_f32 v45, v148, v80, -v45
	s_delay_alu instid0(VALU_DEP_3) | instskip(SKIP_3) | instid1(VALU_DEP_3)
	v_dual_add_f32 v9, 0, v9 :: v_dual_add_f32 v43, 0, v43
	v_dual_mul_f32 v15, v152, v85 :: v_dual_mul_f32 v17, v154, v87
	s_wait_loadcnt_dscnt 0xa04
	v_dual_mul_f32 v59, v167, v95 :: v_dual_fma_f32 v47, v150, v82, -v47
	v_dual_fmac_f32 v13, v151, v82 :: v_dual_add_f32 v9, v9, v11
	s_delay_alu instid0(VALU_DEP_3) | instskip(SKIP_2) | instid1(VALU_DEP_3)
	v_dual_add_f32 v11, v43, v45 :: v_dual_fmac_f32 v15, v153, v84
	v_dual_mul_f32 v51, v155, v87 :: v_dual_mul_f32 v53, v157, v89
	v_dual_mul_f32 v43, v169, v97 :: v_dual_fma_f32 v45, v152, v84, -v49
	v_dual_add_f32 v9, v9, v13 :: v_dual_add_f32 v11, v11, v47
	v_dual_mul_f32 v19, v156, v89 :: v_dual_mul_f32 v21, v162, v91
	s_wait_loadcnt_dscnt 0x903
	v_dual_mul_f32 v13, v171, v99 :: v_dual_fma_f32 v47, v154, v86, -v51
	s_delay_alu instid0(VALU_DEP_3) | instskip(NEXT) | instid1(VALU_DEP_3)
	v_dual_fmac_f32 v17, v155, v86 :: v_dual_add_f32 v9, v9, v15
	v_dual_add_f32 v11, v11, v45 :: v_dual_fmac_f32 v19, v157, v88
	v_dual_mul_f32 v15, v173, v101 :: v_dual_fma_f32 v45, v156, v88, -v53
	s_delay_alu instid0(VALU_DEP_2) | instskip(SKIP_3) | instid1(VALU_DEP_3)
	v_dual_add_f32 v9, v9, v17 :: v_dual_add_f32 v11, v11, v47
	v_dual_mul_f32 v23, v164, v93 :: v_dual_mul_f32 v25, v166, v95
	s_wait_loadcnt_dscnt 0x802
	v_dual_mul_f32 v17, v175, v103 :: v_dual_fma_f32 v47, v162, v90, -v55
	v_dual_fmac_f32 v21, v163, v90 :: v_dual_add_f32 v9, v9, v19
	s_delay_alu instid0(VALU_DEP_3) | instskip(SKIP_1) | instid1(VALU_DEP_2)
	v_dual_add_f32 v11, v11, v45 :: v_dual_fmac_f32 v23, v165, v92
	v_dual_mul_f32 v19, v177, v105 :: v_dual_fma_f32 v45, v164, v92, -v57
	v_dual_add_f32 v9, v9, v21 :: v_dual_add_f32 v11, v11, v47
	v_dual_mul_f32 v27, v168, v97 :: v_dual_mul_f32 v29, v170, v99
	s_wait_loadcnt_dscnt 0x701
	v_dual_mul_f32 v21, v179, v107 :: v_dual_fma_f32 v47, v166, v94, -v59
	s_delay_alu instid0(VALU_DEP_3) | instskip(NEXT) | instid1(VALU_DEP_3)
	v_dual_fmac_f32 v25, v167, v94 :: v_dual_add_f32 v9, v9, v23
	v_dual_add_f32 v11, v11, v45 :: v_dual_fmac_f32 v27, v169, v96
	v_dual_mul_f32 v23, v181, v109 :: v_dual_fma_f32 v43, v168, v96, -v43
	s_delay_alu instid0(VALU_DEP_2) | instskip(SKIP_3) | instid1(VALU_DEP_3)
	v_dual_add_f32 v9, v9, v25 :: v_dual_add_f32 v11, v11, v47
	v_dual_mul_f32 v31, v172, v101 :: v_dual_mul_f32 v33, v174, v103
	s_wait_loadcnt 0x6
	v_dual_mul_f32 v25, v159, v111 :: v_dual_fma_f32 v13, v170, v98, -v13
	v_dual_fmac_f32 v29, v171, v98 :: v_dual_add_f32 v9, v9, v27
	v_dual_add_f32 v11, v11, v43 :: v_dual_mul_f32 v27, v161, v113
	v_fmac_f32_e32 v31, v173, v100
	s_delay_alu instid0(VALU_DEP_3) | instskip(NEXT) | instid1(VALU_DEP_3)
	v_dual_fma_f32 v15, v172, v100, -v15 :: v_dual_add_f32 v9, v9, v29
	v_add_f32_e32 v11, v11, v13
	v_dual_mul_f32 v35, v176, v105 :: v_dual_mul_f32 v37, v178, v107
	s_wait_loadcnt 0x5
	v_dual_mul_f32 v13, v131, v115 :: v_dual_fma_f32 v17, v174, v102, -v17
	v_dual_fmac_f32 v33, v175, v102 :: v_dual_add_f32 v9, v9, v31
	v_dual_add_f32 v11, v11, v15 :: v_dual_mov_b32 v78, v117
	v_fmac_f32_e32 v35, v177, v104
	s_delay_alu instid0(VALU_DEP_3) | instskip(NEXT) | instid1(VALU_DEP_3)
	v_dual_fma_f32 v15, v176, v104, -v19 :: v_dual_add_f32 v9, v9, v33
	v_add_f32_e32 v11, v11, v17
	v_dual_mul_f32 v39, v180, v109 :: v_dual_mul_f32 v41, v158, v111
	s_delay_alu instid0(VALU_DEP_3) | instskip(NEXT) | instid1(VALU_DEP_3)
	v_dual_fmac_f32 v37, v179, v106 :: v_dual_add_f32 v9, v9, v35
	v_dual_fma_f32 v17, v178, v106, -v21 :: v_dual_add_f32 v11, v11, v15
	s_wait_loadcnt 0x4
	v_dual_mov_b32 v82, v121 :: v_dual_fma_f32 v15, v180, v108, -v23
	v_fmac_f32_e32 v39, v181, v108
	v_dual_add_f32 v9, v9, v37 :: v_dual_fmac_f32 v41, v159, v110
	v_add_f32_e32 v11, v11, v17
	v_dual_mul_f32 v197, v160, v113 :: v_dual_mul_f32 v199, v130, v115
	s_delay_alu instid0(VALU_DEP_3) | instskip(NEXT) | instid1(VALU_DEP_2)
	v_dual_fma_f32 v17, v158, v110, -v25 :: v_dual_add_f32 v9, v9, v39
	v_dual_add_f32 v11, v11, v15 :: v_dual_fmac_f32 v197, v161, v112
	v_fma_f32 v196, v160, v112, -v27
	v_pk_mul_f32 v[78:79], v[188:189], v[78:79] op_sel_hi:[1,0]
	s_delay_alu instid0(VALU_DEP_4)
	v_add_f32_e32 v87, v9, v41
	s_wait_loadcnt 0x3
	v_dual_add_f32 v86, v11, v17 :: v_dual_mov_b32 v88, v125
	v_pk_mul_f32 v[80:81], v[134:135], v[118:119] op_sel:[1,1] op_sel_hi:[0,1]
	v_dual_fmac_f32 v199, v131, v114 :: v_dual_fma_f32 v198, v130, v114, -v13
	v_pk_fma_f32 v[90:91], v[132:133], v[116:117], v[78:79] op_sel_hi:[1,0,1]
	s_delay_alu instid0(VALU_DEP_4)
	v_pk_add_f32 v[86:87], v[86:87], v[196:197]
	v_pk_fma_f32 v[78:79], v[132:133], v[116:117], v[78:79] neg_lo:[0,0,1] neg_hi:[0,0,1]
	v_pk_fma_f32 v[92:93], v[134:135], v[118:119], v[80:81] op_sel_hi:[1,0,1]
	v_pk_mul_f32 v[82:83], v[190:191], v[82:83] op_sel_hi:[1,0]
	v_mov_b32_e32 v79, v91
	v_pk_add_f32 v[86:87], v[86:87], v[198:199]
	v_pk_fma_f32 v[80:81], v[134:135], v[118:119], v[80:81] neg_lo:[0,0,1] neg_hi:[0,0,1]
	v_pk_mul_f32 v[84:85], v[138:139], v[122:123] op_sel:[1,1] op_sel_hi:[0,1]
	v_mov_b32_e32 v81, v93
	v_pk_fma_f32 v[92:93], v[136:137], v[120:121], v[82:83] op_sel_hi:[1,0,1]
	v_pk_add_f32 v[78:79], v[86:87], v[78:79]
	v_pk_fma_f32 v[82:83], v[136:137], v[120:121], v[82:83] neg_lo:[0,0,1] neg_hi:[0,0,1]
	v_pk_fma_f32 v[86:87], v[138:139], v[122:123], v[84:85] op_sel_hi:[1,0,1]
	v_pk_mul_f32 v[88:89], v[192:193], v[88:89] op_sel_hi:[1,0]
	v_mov_b32_e32 v83, v93
	v_pk_add_f32 v[78:79], v[78:79], v[80:81]
	v_pk_fma_f32 v[84:85], v[138:139], v[122:123], v[84:85] neg_lo:[0,0,1] neg_hi:[0,0,1]
	s_wait_loadcnt 0x2
	v_pk_mul_f32 v[90:91], v[142:143], v[126:127] op_sel:[1,1] op_sel_hi:[0,1]
	v_dual_mov_b32 v80, v129 :: v_dual_mov_b32 v85, v87
	v_pk_fma_f32 v[86:87], v[140:141], v[124:125], v[88:89] op_sel_hi:[1,0,1]
	v_pk_add_f32 v[78:79], v[78:79], v[82:83]
	v_pk_fma_f32 v[88:89], v[140:141], v[124:125], v[88:89] neg_lo:[0,0,1] neg_hi:[0,0,1]
	v_pk_fma_f32 v[82:83], v[142:143], v[126:127], v[90:91] op_sel_hi:[1,0,1]
	v_pk_mul_f32 v[80:81], v[194:195], v[80:81] op_sel_hi:[1,0]
	v_mov_b32_e32 v89, v87
	v_pk_add_f32 v[78:79], v[78:79], v[84:85]
	v_pk_fma_f32 v[84:85], v[142:143], v[126:127], v[90:91] neg_lo:[0,0,1] neg_hi:[0,0,1]
	v_mov_b32_e32 v85, v83
	v_pk_fma_f32 v[82:83], v[144:145], v[128:129], v[80:81] op_sel_hi:[1,0,1]
	s_wait_loadcnt_dscnt 0x100
	v_pk_mul_f32 v[86:87], v[186:187], v[182:183] op_sel:[1,1] op_sel_hi:[0,1]
	v_pk_add_f32 v[78:79], v[78:79], v[88:89]
	v_pk_fma_f32 v[80:81], v[144:145], v[128:129], v[80:81] neg_lo:[0,0,1] neg_hi:[0,0,1]
	v_mov_b32_e32 v81, v83
	s_delay_alu instid0(VALU_DEP_4) | instskip(NEXT) | instid1(VALU_DEP_4)
	v_pk_fma_f32 v[82:83], v[186:187], v[182:183], v[86:87] op_sel_hi:[1,0,1]
	v_pk_add_f32 v[78:79], v[78:79], v[84:85]
	v_pk_fma_f32 v[84:85], v[186:187], v[182:183], v[86:87] neg_lo:[0,0,1] neg_hi:[0,0,1]
	s_delay_alu instid0(VALU_DEP_3) | instskip(NEXT) | instid1(VALU_DEP_3)
	v_mov_b32_e32 v85, v83
	v_pk_add_f32 v[78:79], v[78:79], v[80:81]
	s_delay_alu instid0(VALU_DEP_1) | instskip(SKIP_1) | instid1(VALU_DEP_1)
	v_pk_add_f32 v[78:79], v[78:79], v[84:85]
	s_wait_loadcnt 0x0
	v_pk_add_f32 v[78:79], v[184:185], v[78:79] neg_lo:[0,1] neg_hi:[0,1]
	scratch_store_b64 off, v[78:79], off offset:80
	s_wait_xcnt 0x0
	v_cmpx_lt_u32_e32 9, v0
	s_cbranch_execz .LBB37_223
; %bb.222:
	scratch_load_b64 v[78:79], off, off offset:72
	v_mov_b64_e32 v[80:81], 0
	scratch_store_b64 off, v[80:81], off offset:72
	s_wait_loadcnt 0x0
	ds_store_b64 v1, v[78:79]
.LBB37_223:
	s_wait_xcnt 0x0
	s_or_b32 exec_lo, exec_lo, s0
	s_wait_storecnt_dscnt 0x0
	s_barrier_signal -1
	s_barrier_wait -1
	s_clause 0xe
	scratch_load_b128 v[78:81], off, off offset:80
	scratch_load_b128 v[82:85], off, off offset:96
	;; [unrolled: 1-line block ×14, first 2 shown]
	scratch_load_b64 v[190:191], off, off offset:72
	ds_load_b128 v[134:137], v5 offset:544
	ds_load_b128 v[138:141], v5 offset:560
	;; [unrolled: 1-line block ×14, first 2 shown]
	s_mov_b32 s0, exec_lo
	s_wait_dscnt 0xd
	v_dual_mov_b32 v192, v137 :: v_dual_mov_b32 v193, v136
	s_wait_dscnt 0xc
	v_dual_mov_b32 v194, v141 :: v_dual_mov_b32 v195, v140
	;; [unrolled: 2-line block ×4, first 2 shown]
	s_wait_loadcnt_dscnt 0xe09
	v_dual_mul_f32 v5, v150, v79 :: v_dual_mul_f32 v9, v152, v81
	v_dual_mul_f32 v43, v151, v79 :: v_dual_mul_f32 v45, v153, v81
	s_wait_loadcnt_dscnt 0xd08
	v_dual_mul_f32 v11, v154, v83 :: v_dual_mul_f32 v13, v156, v85
	s_delay_alu instid0(VALU_DEP_2) | instskip(SKIP_3) | instid1(VALU_DEP_3)
	v_dual_fmac_f32 v5, v151, v78 :: v_dual_fma_f32 v43, v150, v78, -v43
	v_dual_mul_f32 v47, v155, v83 :: v_dual_mul_f32 v49, v157, v85
	s_wait_loadcnt_dscnt 0xb06
	v_dual_mul_f32 v55, v163, v91 :: v_dual_fmac_f32 v9, v153, v80
	v_dual_fma_f32 v45, v152, v80, -v45 :: v_dual_add_f32 v5, 0, v5
	v_dual_add_f32 v43, 0, v43 :: v_dual_mul_f32 v57, v165, v93
	v_fmac_f32_e32 v11, v155, v82
	s_delay_alu instid0(VALU_DEP_3) | instskip(NEXT) | instid1(VALU_DEP_3)
	v_dual_fma_f32 v47, v154, v82, -v47 :: v_dual_add_f32 v5, v5, v9
	v_dual_add_f32 v9, v43, v45 :: v_dual_mul_f32 v15, v158, v87
	v_dual_mul_f32 v17, v160, v89 :: v_dual_mul_f32 v51, v159, v87
	v_dual_mul_f32 v53, v161, v89 :: v_dual_fma_f32 v45, v156, v84, -v49
	s_delay_alu instid0(VALU_DEP_4) | instskip(NEXT) | instid1(VALU_DEP_4)
	v_add_f32_e32 v5, v5, v11
	v_dual_add_f32 v9, v9, v47 :: v_dual_fmac_f32 v15, v159, v86
	s_wait_loadcnt_dscnt 0xa05
	v_dual_mul_f32 v43, v167, v95 :: v_dual_fmac_f32 v13, v157, v84
	v_dual_mul_f32 v11, v169, v97 :: v_dual_fma_f32 v47, v158, v86, -v51
	s_delay_alu instid0(VALU_DEP_3) | instskip(SKIP_1) | instid1(VALU_DEP_3)
	v_dual_add_f32 v9, v9, v45 :: v_dual_fma_f32 v45, v160, v88, -v53
	s_wait_loadcnt_dscnt 0x904
	v_dual_add_f32 v5, v5, v13 :: v_dual_mul_f32 v13, v171, v99
	v_dual_mul_f32 v19, v162, v91 :: v_dual_mul_f32 v21, v164, v93
	s_delay_alu instid0(VALU_DEP_3) | instskip(SKIP_1) | instid1(VALU_DEP_4)
	v_add_f32_e32 v9, v9, v47
	v_fmac_f32_e32 v17, v161, v88
	v_dual_add_f32 v5, v5, v15 :: v_dual_fma_f32 v47, v162, v90, -v55
	v_dual_mul_f32 v23, v166, v95 :: v_dual_mul_f32 v25, v168, v97
	s_delay_alu instid0(VALU_DEP_4) | instskip(NEXT) | instid1(VALU_DEP_3)
	v_dual_add_f32 v9, v9, v45 :: v_dual_fma_f32 v43, v166, v94, -v43
	v_dual_fmac_f32 v19, v163, v90 :: v_dual_add_f32 v5, v5, v17
	s_delay_alu instid0(VALU_DEP_3) | instskip(NEXT) | instid1(VALU_DEP_3)
	v_dual_fmac_f32 v23, v167, v94 :: v_dual_fma_f32 v45, v164, v92, -v57
	v_dual_add_f32 v9, v9, v47 :: v_dual_fma_f32 v13, v170, v98, -v13
	v_dual_mul_f32 v27, v170, v99 :: v_dual_mul_f32 v29, v172, v101
	s_wait_loadcnt_dscnt 0x803
	v_dual_mul_f32 v15, v173, v101 :: v_dual_mul_f32 v17, v175, v103
	s_delay_alu instid0(VALU_DEP_2) | instskip(SKIP_1) | instid1(VALU_DEP_3)
	v_dual_fmac_f32 v21, v165, v92 :: v_dual_fmac_f32 v27, v171, v98
	v_dual_add_f32 v5, v5, v19 :: v_dual_fma_f32 v11, v168, v96, -v11
	v_dual_add_f32 v9, v9, v45 :: v_dual_fma_f32 v15, v172, v100, -v15
	v_mul_f32_e32 v19, v177, v105
	s_wait_loadcnt_dscnt 0x702
	s_delay_alu instid0(VALU_DEP_3) | instskip(NEXT) | instid1(VALU_DEP_3)
	v_dual_add_f32 v5, v5, v21 :: v_dual_mul_f32 v21, v179, v107
	v_add_f32_e32 v9, v9, v43
	v_dual_mul_f32 v31, v174, v103 :: v_dual_mul_f32 v33, v176, v105
	v_fma_f32 v19, v176, v104, -v19
	v_fmac_f32_e32 v25, v169, v96
	s_delay_alu instid0(VALU_DEP_4) | instskip(SKIP_3) | instid1(VALU_DEP_3)
	v_dual_add_f32 v9, v9, v11 :: v_dual_fma_f32 v21, v178, v106, -v21
	s_wait_loadcnt_dscnt 0x601
	v_mul_f32_e32 v11, v183, v111
	v_dual_add_f32 v5, v5, v23 :: v_dual_fma_f32 v17, v174, v102, -v17
	v_dual_add_f32 v9, v9, v13 :: v_dual_mul_f32 v35, v178, v107
	s_wait_loadcnt_dscnt 0x500
	v_dual_mul_f32 v37, v180, v109 :: v_dual_mul_f32 v201, v186, v115
	v_dual_mul_f32 v203, v188, v117 :: v_dual_fmac_f32 v31, v175, v102
	s_delay_alu instid0(VALU_DEP_3) | instskip(SKIP_1) | instid1(VALU_DEP_4)
	v_dual_add_f32 v5, v5, v25 :: v_dual_fmac_f32 v35, v179, v106
	v_dual_fma_f32 v11, v182, v110, -v11 :: v_dual_add_f32 v9, v9, v15
	v_dual_fmac_f32 v201, v187, v114 :: v_dual_mul_f32 v39, v182, v111
	v_mul_f32_e32 v41, v184, v113
	v_dual_mul_f32 v23, v181, v109 :: v_dual_mul_f32 v15, v187, v115
	s_delay_alu instid0(VALU_DEP_3) | instskip(SKIP_4) | instid1(VALU_DEP_3)
	v_dual_fmac_f32 v29, v173, v100 :: v_dual_fmac_f32 v39, v183, v110
	v_add_f32_e32 v5, v5, v27
	v_add_f32_e32 v9, v9, v17
	v_dual_mul_f32 v13, v185, v113 :: v_dual_fmac_f32 v41, v185, v112
	v_dual_fmac_f32 v33, v177, v104 :: v_dual_fma_f32 v200, v186, v114, -v15
	v_dual_add_f32 v9, v9, v19 :: v_dual_fma_f32 v19, v180, v108, -v23
	s_delay_alu instid0(VALU_DEP_3) | instskip(SKIP_2) | instid1(VALU_DEP_3)
	v_dual_add_f32 v5, v5, v29 :: v_dual_fma_f32 v13, v184, v112, -v13
	v_dual_mul_f32 v17, v189, v117 :: v_dual_fmac_f32 v203, v189, v116
	v_fmac_f32_e32 v37, v181, v108
	v_add_f32_e32 v5, v5, v31
	s_delay_alu instid0(VALU_DEP_3)
	v_dual_add_f32 v9, v9, v21 :: v_dual_fma_f32 v202, v188, v116, -v17
	s_wait_loadcnt 0x4
	v_pk_mul_f32 v[78:79], v[134:135], v[118:119] op_sel:[1,1] op_sel_hi:[0,1]
	s_wait_loadcnt 0x3
	v_dual_mov_b32 v80, v121 :: v_dual_mov_b32 v84, v125
	v_add_f32_e32 v5, v5, v33
	v_add_f32_e32 v9, v9, v19
	v_pk_fma_f32 v[88:89], v[134:135], v[118:119], v[78:79] op_sel_hi:[1,0,1]
	s_delay_alu instid0(VALU_DEP_4)
	v_pk_mul_f32 v[80:81], v[192:193], v[80:81] op_sel_hi:[1,0]
	v_pk_fma_f32 v[78:79], v[134:135], v[118:119], v[78:79] neg_lo:[0,0,1] neg_hi:[0,0,1]
	v_add_f32_e32 v5, v5, v35
	v_add_f32_e32 v9, v9, v11
	v_pk_mul_f32 v[82:83], v[138:139], v[122:123] op_sel:[1,1] op_sel_hi:[0,1]
	v_mov_b32_e32 v79, v89
	v_pk_fma_f32 v[88:89], v[136:137], v[120:121], v[80:81] op_sel_hi:[1,0,1]
	v_add_f32_e32 v5, v5, v37
	v_add_f32_e32 v86, v9, v13
	v_pk_fma_f32 v[80:81], v[136:137], v[120:121], v[80:81] neg_lo:[0,0,1] neg_hi:[0,0,1]
	v_pk_fma_f32 v[92:93], v[138:139], v[122:123], v[82:83] op_sel_hi:[1,0,1]
	v_pk_mul_f32 v[84:85], v[194:195], v[84:85] op_sel_hi:[1,0]
	v_add_f32_e32 v5, v5, v39
	v_mov_b32_e32 v81, v89
	s_wait_loadcnt 0x2
	v_pk_mul_f32 v[90:91], v[142:143], v[126:127] op_sel:[1,1] op_sel_hi:[0,1]
	v_pk_fma_f32 v[82:83], v[138:139], v[122:123], v[82:83] neg_lo:[0,0,1] neg_hi:[0,0,1]
	v_mov_b32_e32 v83, v93
	v_add_f32_e32 v87, v5, v41
	v_pk_fma_f32 v[88:89], v[140:141], v[124:125], v[84:85] op_sel_hi:[1,0,1]
	v_pk_fma_f32 v[84:85], v[140:141], v[124:125], v[84:85] neg_lo:[0,0,1] neg_hi:[0,0,1]
	s_delay_alu instid0(VALU_DEP_3) | instskip(NEXT) | instid1(VALU_DEP_1)
	v_pk_add_f32 v[86:87], v[86:87], v[200:201]
	v_pk_add_f32 v[86:87], v[86:87], v[202:203]
	s_delay_alu instid0(VALU_DEP_1) | instskip(SKIP_1) | instid1(VALU_DEP_2)
	v_pk_add_f32 v[78:79], v[86:87], v[78:79]
	v_mov_b32_e32 v86, v129
	v_pk_add_f32 v[78:79], v[78:79], v[80:81]
	v_pk_fma_f32 v[80:81], v[142:143], v[126:127], v[90:91] op_sel_hi:[1,0,1]
	s_delay_alu instid0(VALU_DEP_3)
	v_pk_mul_f32 v[86:87], v[196:197], v[86:87] op_sel_hi:[1,0]
	v_mov_b32_e32 v85, v89
	v_pk_fma_f32 v[88:89], v[142:143], v[126:127], v[90:91] neg_lo:[0,0,1] neg_hi:[0,0,1]
	v_pk_add_f32 v[78:79], v[78:79], v[82:83]
	v_mov_b32_e32 v89, v81
	v_pk_fma_f32 v[80:81], v[144:145], v[128:129], v[86:87] op_sel_hi:[1,0,1]
	s_wait_loadcnt 0x1
	v_pk_mul_f32 v[82:83], v[146:147], v[130:131] op_sel:[1,1] op_sel_hi:[0,1]
	v_mov_b32_e32 v80, v133
	v_pk_add_f32 v[78:79], v[78:79], v[84:85]
	v_pk_fma_f32 v[86:87], v[144:145], v[128:129], v[86:87] neg_lo:[0,0,1] neg_hi:[0,0,1]
	v_mov_b32_e32 v87, v81
	v_pk_fma_f32 v[84:85], v[146:147], v[130:131], v[82:83] op_sel_hi:[1,0,1]
	v_pk_mul_f32 v[80:81], v[198:199], v[80:81] op_sel_hi:[1,0]
	v_pk_add_f32 v[78:79], v[78:79], v[88:89]
	v_pk_fma_f32 v[82:83], v[146:147], v[130:131], v[82:83] neg_lo:[0,0,1] neg_hi:[0,0,1]
	s_delay_alu instid0(VALU_DEP_4) | instskip(NEXT) | instid1(VALU_DEP_4)
	v_mov_b32_e32 v83, v85
	v_pk_fma_f32 v[84:85], v[148:149], v[132:133], v[80:81] op_sel_hi:[1,0,1]
	s_delay_alu instid0(VALU_DEP_4) | instskip(SKIP_1) | instid1(VALU_DEP_3)
	v_pk_add_f32 v[78:79], v[78:79], v[86:87]
	v_pk_fma_f32 v[80:81], v[148:149], v[132:133], v[80:81] neg_lo:[0,0,1] neg_hi:[0,0,1]
	v_mov_b32_e32 v81, v85
	s_delay_alu instid0(VALU_DEP_3) | instskip(NEXT) | instid1(VALU_DEP_1)
	v_pk_add_f32 v[78:79], v[78:79], v[82:83]
	v_pk_add_f32 v[78:79], v[78:79], v[80:81]
	s_wait_loadcnt 0x0
	s_delay_alu instid0(VALU_DEP_1)
	v_pk_add_f32 v[78:79], v[190:191], v[78:79] neg_lo:[0,1] neg_hi:[0,1]
	scratch_store_b64 off, v[78:79], off offset:72
	s_wait_xcnt 0x0
	v_cmpx_lt_u32_e32 8, v0
	s_cbranch_execz .LBB37_225
; %bb.224:
	scratch_load_b64 v[78:79], off, off offset:64
	v_mov_b64_e32 v[80:81], 0
	scratch_store_b64 off, v[80:81], off offset:64
	s_wait_loadcnt 0x0
	ds_store_b64 v1, v[78:79]
.LBB37_225:
	s_wait_xcnt 0x0
	s_or_b32 exec_lo, exec_lo, s0
	s_wait_storecnt_dscnt 0x0
	s_barrier_signal -1
	s_barrier_wait -1
	s_clause 0xf
	scratch_load_b128 v[78:81], off, off offset:72
	scratch_load_b128 v[82:85], off, off offset:88
	;; [unrolled: 1-line block ×14, first 2 shown]
	scratch_load_b64 v[190:191], off, off offset:296
	scratch_load_b64 v[192:193], off, off offset:64
	v_mov_b32_e32 v5, 0
	ds_load_2addr_b64 v[134:137], v5 offset0:67 offset1:68
	ds_load_2addr_b64 v[138:141], v5 offset0:69 offset1:70
	;; [unrolled: 1-line block ×14, first 2 shown]
	ds_load_b64 v[194:195], v5 offset:600
	s_mov_b32 s0, exec_lo
	s_wait_dscnt 0xe
	v_dual_mov_b32 v196, v137 :: v_dual_mov_b32 v197, v136
	s_wait_dscnt 0xb
	v_dual_mov_b32 v198, v141 :: v_dual_mov_b32 v203, v148
	v_dual_mov_b32 v199, v140 :: v_dual_mov_b32 v200, v145
	;; [unrolled: 1-line block ×3, first 2 shown]
	s_wait_loadcnt_dscnt 0xf0a
	v_dual_mul_f32 v9, v150, v79 :: v_dual_mul_f32 v47, v151, v79
	v_dual_mul_f32 v49, v153, v81 :: v_dual_mul_f32 v11, v152, v81
	s_wait_loadcnt_dscnt 0xe09
	v_mul_f32_e32 v13, v154, v83
	s_wait_loadcnt_dscnt 0xc07
	v_dual_mul_f32 v59, v163, v91 :: v_dual_fma_f32 v47, v150, v78, -v47
	v_dual_fmac_f32 v9, v151, v78 :: v_dual_mul_f32 v61, v165, v93
	v_dual_mul_f32 v51, v155, v83 :: v_dual_mul_f32 v53, v157, v85
	v_dual_fmac_f32 v11, v153, v80 :: v_dual_fma_f32 v49, v152, v80, -v49
	s_delay_alu instid0(VALU_DEP_3) | instskip(SKIP_3) | instid1(VALU_DEP_3)
	v_dual_add_f32 v9, 0, v9 :: v_dual_add_f32 v47, 0, v47
	v_dual_mul_f32 v15, v156, v85 :: v_dual_mul_f32 v17, v158, v87
	s_wait_loadcnt_dscnt 0xb06
	v_dual_mul_f32 v63, v167, v95 :: v_dual_fma_f32 v51, v154, v82, -v51
	v_dual_fmac_f32 v13, v155, v82 :: v_dual_add_f32 v9, v9, v11
	s_delay_alu instid0(VALU_DEP_3) | instskip(SKIP_2) | instid1(VALU_DEP_3)
	v_dual_add_f32 v11, v47, v49 :: v_dual_fmac_f32 v15, v157, v84
	v_dual_mul_f32 v55, v159, v87 :: v_dual_mul_f32 v57, v161, v89
	v_dual_mul_f32 v47, v169, v97 :: v_dual_fma_f32 v49, v156, v84, -v53
	v_dual_add_f32 v9, v9, v13 :: v_dual_add_f32 v11, v11, v51
	v_dual_mul_f32 v19, v160, v89 :: v_dual_mul_f32 v21, v162, v91
	s_wait_loadcnt_dscnt 0xa05
	v_dual_mul_f32 v13, v171, v99 :: v_dual_fma_f32 v51, v158, v86, -v55
	s_delay_alu instid0(VALU_DEP_3) | instskip(NEXT) | instid1(VALU_DEP_3)
	v_dual_fmac_f32 v17, v159, v86 :: v_dual_add_f32 v9, v9, v15
	v_dual_add_f32 v11, v11, v49 :: v_dual_fmac_f32 v19, v161, v88
	v_dual_mul_f32 v15, v173, v101 :: v_dual_fma_f32 v49, v160, v88, -v57
	s_delay_alu instid0(VALU_DEP_2) | instskip(SKIP_3) | instid1(VALU_DEP_3)
	v_dual_add_f32 v9, v9, v17 :: v_dual_add_f32 v11, v11, v51
	v_dual_mul_f32 v23, v164, v93 :: v_dual_mul_f32 v25, v166, v95
	s_wait_loadcnt_dscnt 0x904
	v_dual_mul_f32 v17, v175, v103 :: v_dual_fma_f32 v51, v162, v90, -v59
	v_dual_fmac_f32 v21, v163, v90 :: v_dual_add_f32 v9, v9, v19
	s_delay_alu instid0(VALU_DEP_3) | instskip(SKIP_1) | instid1(VALU_DEP_2)
	v_dual_add_f32 v11, v11, v49 :: v_dual_fmac_f32 v23, v165, v92
	v_dual_mul_f32 v19, v177, v105 :: v_dual_fma_f32 v49, v164, v92, -v61
	v_dual_add_f32 v9, v9, v21 :: v_dual_add_f32 v11, v11, v51
	v_dual_mul_f32 v27, v168, v97 :: v_dual_mul_f32 v29, v170, v99
	s_wait_loadcnt_dscnt 0x803
	v_dual_mul_f32 v21, v179, v107 :: v_dual_fma_f32 v51, v166, v94, -v63
	s_delay_alu instid0(VALU_DEP_3) | instskip(NEXT) | instid1(VALU_DEP_3)
	v_dual_fmac_f32 v25, v167, v94 :: v_dual_add_f32 v9, v9, v23
	v_dual_add_f32 v11, v11, v49 :: v_dual_fmac_f32 v27, v169, v96
	v_dual_mul_f32 v23, v181, v109 :: v_dual_fma_f32 v47, v168, v96, -v47
	s_delay_alu instid0(VALU_DEP_2) | instskip(SKIP_3) | instid1(VALU_DEP_3)
	v_dual_add_f32 v9, v9, v25 :: v_dual_add_f32 v11, v11, v51
	v_dual_mul_f32 v31, v172, v101 :: v_dual_mul_f32 v33, v174, v103
	s_wait_loadcnt_dscnt 0x702
	v_dual_mul_f32 v25, v183, v111 :: v_dual_fma_f32 v13, v170, v98, -v13
	v_dual_fmac_f32 v29, v171, v98 :: v_dual_add_f32 v9, v9, v27
	v_dual_add_f32 v11, v11, v47 :: v_dual_mul_f32 v27, v185, v113
	v_fmac_f32_e32 v31, v173, v100
	s_delay_alu instid0(VALU_DEP_3) | instskip(NEXT) | instid1(VALU_DEP_3)
	v_dual_fma_f32 v15, v172, v100, -v15 :: v_dual_add_f32 v9, v9, v29
	v_add_f32_e32 v11, v11, v13
	v_dual_mul_f32 v35, v176, v105 :: v_dual_mul_f32 v37, v178, v107
	s_wait_loadcnt_dscnt 0x601
	v_dual_mul_f32 v13, v187, v115 :: v_dual_fma_f32 v17, v174, v102, -v17
	v_dual_fmac_f32 v33, v175, v102 :: v_dual_add_f32 v9, v9, v31
	v_dual_add_f32 v11, v11, v15 :: v_dual_mul_f32 v15, v189, v117
	v_fmac_f32_e32 v35, v177, v104
	s_delay_alu instid0(VALU_DEP_3) | instskip(NEXT) | instid1(VALU_DEP_3)
	v_dual_fma_f32 v19, v176, v104, -v19 :: v_dual_add_f32 v9, v9, v33
	v_add_f32_e32 v11, v11, v17
	v_dual_mul_f32 v39, v180, v109 :: v_dual_mul_f32 v41, v182, v111
	s_wait_loadcnt 0x5
	v_dual_mul_f32 v17, v135, v119 :: v_dual_fma_f32 v21, v178, v106, -v21
	v_dual_fmac_f32 v37, v179, v106 :: v_dual_add_f32 v9, v9, v35
	v_dual_add_f32 v11, v11, v19 :: v_dual_mov_b32 v78, v121
	v_fmac_f32_e32 v39, v181, v108
	s_delay_alu instid0(VALU_DEP_3) | instskip(NEXT) | instid1(VALU_DEP_3)
	v_dual_fma_f32 v19, v180, v108, -v23 :: v_dual_add_f32 v9, v9, v37
	v_add_f32_e32 v11, v11, v21
	v_dual_mul_f32 v43, v184, v113 :: v_dual_mul_f32 v45, v186, v115
	s_delay_alu instid0(VALU_DEP_3) | instskip(NEXT) | instid1(VALU_DEP_3)
	v_dual_fmac_f32 v41, v183, v110 :: v_dual_add_f32 v9, v9, v39
	v_dual_fma_f32 v21, v182, v110, -v25 :: v_dual_add_f32 v11, v11, v19
	s_wait_loadcnt 0x4
	v_dual_mov_b32 v82, v125 :: v_dual_fma_f32 v19, v184, v112, -v27
	v_fmac_f32_e32 v43, v185, v112
	v_dual_add_f32 v9, v9, v41 :: v_dual_fmac_f32 v45, v187, v114
	v_add_f32_e32 v11, v11, v21
	v_dual_mul_f32 v205, v188, v117 :: v_dual_mul_f32 v207, v134, v119
	s_delay_alu instid0(VALU_DEP_3) | instskip(NEXT) | instid1(VALU_DEP_2)
	v_dual_fma_f32 v13, v186, v114, -v13 :: v_dual_add_f32 v9, v9, v43
	v_dual_add_f32 v11, v11, v19 :: v_dual_fmac_f32 v205, v189, v116
	v_fma_f32 v204, v188, v116, -v15
	v_pk_mul_f32 v[78:79], v[196:197], v[78:79] op_sel_hi:[1,0]
	s_delay_alu instid0(VALU_DEP_4)
	v_add_f32_e32 v87, v9, v45
	s_wait_loadcnt 0x3
	v_dual_add_f32 v86, v11, v13 :: v_dual_mov_b32 v88, v129
	v_pk_mul_f32 v[80:81], v[138:139], v[122:123] op_sel:[1,1] op_sel_hi:[0,1]
	v_dual_fmac_f32 v207, v135, v118 :: v_dual_fma_f32 v206, v134, v118, -v17
	v_pk_fma_f32 v[90:91], v[136:137], v[120:121], v[78:79] op_sel_hi:[1,0,1]
	s_delay_alu instid0(VALU_DEP_4)
	v_pk_add_f32 v[86:87], v[86:87], v[204:205]
	v_pk_fma_f32 v[78:79], v[136:137], v[120:121], v[78:79] neg_lo:[0,0,1] neg_hi:[0,0,1]
	v_pk_fma_f32 v[92:93], v[138:139], v[122:123], v[80:81] op_sel_hi:[1,0,1]
	v_pk_mul_f32 v[82:83], v[198:199], v[82:83] op_sel_hi:[1,0]
	v_mov_b32_e32 v79, v91
	v_pk_add_f32 v[86:87], v[86:87], v[206:207]
	v_pk_fma_f32 v[80:81], v[138:139], v[122:123], v[80:81] neg_lo:[0,0,1] neg_hi:[0,0,1]
	v_pk_mul_f32 v[84:85], v[142:143], v[126:127] op_sel:[1,1] op_sel_hi:[0,1]
	v_mov_b32_e32 v81, v93
	v_pk_fma_f32 v[92:93], v[140:141], v[124:125], v[82:83] op_sel_hi:[1,0,1]
	v_pk_add_f32 v[78:79], v[86:87], v[78:79]
	v_pk_fma_f32 v[82:83], v[140:141], v[124:125], v[82:83] neg_lo:[0,0,1] neg_hi:[0,0,1]
	v_pk_fma_f32 v[86:87], v[142:143], v[126:127], v[84:85] op_sel_hi:[1,0,1]
	v_pk_mul_f32 v[88:89], v[200:201], v[88:89] op_sel_hi:[1,0]
	v_mov_b32_e32 v83, v93
	v_pk_add_f32 v[78:79], v[78:79], v[80:81]
	v_pk_fma_f32 v[84:85], v[142:143], v[126:127], v[84:85] neg_lo:[0,0,1] neg_hi:[0,0,1]
	s_wait_loadcnt 0x2
	v_pk_mul_f32 v[90:91], v[146:147], v[130:131] op_sel:[1,1] op_sel_hi:[0,1]
	v_dual_mov_b32 v80, v133 :: v_dual_mov_b32 v85, v87
	v_pk_fma_f32 v[86:87], v[144:145], v[128:129], v[88:89] op_sel_hi:[1,0,1]
	v_pk_add_f32 v[78:79], v[78:79], v[82:83]
	v_pk_fma_f32 v[88:89], v[144:145], v[128:129], v[88:89] neg_lo:[0,0,1] neg_hi:[0,0,1]
	v_pk_fma_f32 v[82:83], v[146:147], v[130:131], v[90:91] op_sel_hi:[1,0,1]
	v_pk_mul_f32 v[80:81], v[202:203], v[80:81] op_sel_hi:[1,0]
	v_mov_b32_e32 v89, v87
	v_pk_add_f32 v[78:79], v[78:79], v[84:85]
	v_pk_fma_f32 v[84:85], v[146:147], v[130:131], v[90:91] neg_lo:[0,0,1] neg_hi:[0,0,1]
	v_mov_b32_e32 v85, v83
	v_pk_fma_f32 v[82:83], v[148:149], v[132:133], v[80:81] op_sel_hi:[1,0,1]
	s_wait_loadcnt_dscnt 0x100
	v_pk_mul_f32 v[86:87], v[194:195], v[190:191] op_sel:[1,1] op_sel_hi:[0,1]
	v_pk_add_f32 v[78:79], v[78:79], v[88:89]
	v_pk_fma_f32 v[80:81], v[148:149], v[132:133], v[80:81] neg_lo:[0,0,1] neg_hi:[0,0,1]
	v_mov_b32_e32 v81, v83
	s_delay_alu instid0(VALU_DEP_4) | instskip(NEXT) | instid1(VALU_DEP_4)
	v_pk_fma_f32 v[82:83], v[194:195], v[190:191], v[86:87] op_sel_hi:[1,0,1]
	v_pk_add_f32 v[78:79], v[78:79], v[84:85]
	v_pk_fma_f32 v[84:85], v[194:195], v[190:191], v[86:87] neg_lo:[0,0,1] neg_hi:[0,0,1]
	s_delay_alu instid0(VALU_DEP_3) | instskip(NEXT) | instid1(VALU_DEP_3)
	v_mov_b32_e32 v85, v83
	v_pk_add_f32 v[78:79], v[78:79], v[80:81]
	s_delay_alu instid0(VALU_DEP_1) | instskip(SKIP_1) | instid1(VALU_DEP_1)
	v_pk_add_f32 v[78:79], v[78:79], v[84:85]
	s_wait_loadcnt 0x0
	v_pk_add_f32 v[78:79], v[192:193], v[78:79] neg_lo:[0,1] neg_hi:[0,1]
	scratch_store_b64 off, v[78:79], off offset:64
	s_wait_xcnt 0x0
	v_cmpx_lt_u32_e32 7, v0
	s_cbranch_execz .LBB37_227
; %bb.226:
	scratch_load_b64 v[78:79], off, off offset:56
	v_mov_b64_e32 v[80:81], 0
	scratch_store_b64 off, v[80:81], off offset:56
	s_wait_loadcnt 0x0
	ds_store_b64 v1, v[78:79]
.LBB37_227:
	s_wait_xcnt 0x0
	s_or_b32 exec_lo, exec_lo, s0
	s_wait_storecnt_dscnt 0x0
	s_barrier_signal -1
	s_barrier_wait -1
	s_clause 0xf
	scratch_load_b128 v[78:81], off, off offset:64
	scratch_load_b128 v[82:85], off, off offset:80
	;; [unrolled: 1-line block ×15, first 2 shown]
	scratch_load_b64 v[198:199], off, off offset:56
	ds_load_b128 v[138:141], v5 offset:544
	ds_load_b128 v[142:145], v5 offset:560
	;; [unrolled: 1-line block ×15, first 2 shown]
	s_mov_b32 s0, exec_lo
	s_wait_dscnt 0xe
	v_dual_mov_b32 v200, v141 :: v_dual_mov_b32 v201, v140
	s_wait_dscnt 0xd
	v_dual_mov_b32 v202, v145 :: v_dual_mov_b32 v203, v144
	;; [unrolled: 2-line block ×4, first 2 shown]
	s_wait_loadcnt_dscnt 0xf0a
	v_dual_mul_f32 v5, v154, v79 :: v_dual_mul_f32 v9, v156, v81
	v_dual_mul_f32 v47, v155, v79 :: v_dual_mul_f32 v49, v157, v81
	s_wait_loadcnt_dscnt 0xe09
	v_dual_mul_f32 v11, v158, v83 :: v_dual_mul_f32 v13, v160, v85
	s_delay_alu instid0(VALU_DEP_2) | instskip(SKIP_3) | instid1(VALU_DEP_3)
	v_dual_fmac_f32 v5, v155, v78 :: v_dual_fma_f32 v47, v154, v78, -v47
	v_dual_mul_f32 v51, v159, v83 :: v_dual_mul_f32 v53, v161, v85
	s_wait_loadcnt_dscnt 0xc06
	v_dual_mul_f32 v59, v171, v91 :: v_dual_fmac_f32 v9, v157, v80
	v_dual_fma_f32 v49, v156, v80, -v49 :: v_dual_add_f32 v5, 0, v5
	v_dual_add_f32 v47, 0, v47 :: v_dual_mul_f32 v61, v173, v93
	v_fmac_f32_e32 v11, v159, v82
	s_delay_alu instid0(VALU_DEP_3) | instskip(NEXT) | instid1(VALU_DEP_3)
	v_dual_fma_f32 v51, v158, v82, -v51 :: v_dual_add_f32 v5, v5, v9
	v_dual_add_f32 v9, v47, v49 :: v_dual_mul_f32 v15, v166, v87
	v_dual_mul_f32 v17, v168, v89 :: v_dual_mul_f32 v55, v167, v87
	v_dual_mul_f32 v57, v169, v89 :: v_dual_fma_f32 v49, v160, v84, -v53
	s_delay_alu instid0(VALU_DEP_4) | instskip(NEXT) | instid1(VALU_DEP_4)
	v_add_f32_e32 v5, v5, v11
	v_dual_add_f32 v9, v9, v51 :: v_dual_fmac_f32 v15, v167, v86
	s_wait_loadcnt_dscnt 0xb05
	v_dual_mul_f32 v47, v175, v95 :: v_dual_fmac_f32 v13, v161, v84
	v_dual_mul_f32 v11, v177, v97 :: v_dual_fma_f32 v51, v166, v86, -v55
	s_delay_alu instid0(VALU_DEP_3) | instskip(SKIP_1) | instid1(VALU_DEP_3)
	v_dual_add_f32 v9, v9, v49 :: v_dual_fma_f32 v49, v168, v88, -v57
	s_wait_loadcnt_dscnt 0xa04
	v_dual_add_f32 v5, v5, v13 :: v_dual_mul_f32 v13, v179, v99
	v_dual_mul_f32 v19, v170, v91 :: v_dual_mul_f32 v21, v172, v93
	s_delay_alu instid0(VALU_DEP_3) | instskip(SKIP_1) | instid1(VALU_DEP_4)
	v_add_f32_e32 v9, v9, v51
	v_fmac_f32_e32 v17, v169, v88
	v_dual_add_f32 v5, v5, v15 :: v_dual_fma_f32 v51, v170, v90, -v59
	v_dual_mul_f32 v23, v174, v95 :: v_dual_mul_f32 v25, v176, v97
	s_delay_alu instid0(VALU_DEP_4) | instskip(NEXT) | instid1(VALU_DEP_3)
	v_dual_add_f32 v9, v9, v49 :: v_dual_fma_f32 v47, v174, v94, -v47
	v_dual_fmac_f32 v19, v171, v90 :: v_dual_add_f32 v5, v5, v17
	s_delay_alu instid0(VALU_DEP_3) | instskip(NEXT) | instid1(VALU_DEP_3)
	v_dual_fmac_f32 v23, v175, v94 :: v_dual_fma_f32 v49, v172, v92, -v61
	v_dual_add_f32 v9, v9, v51 :: v_dual_fma_f32 v13, v178, v98, -v13
	v_dual_mul_f32 v27, v178, v99 :: v_dual_mul_f32 v29, v180, v101
	s_wait_loadcnt_dscnt 0x903
	v_dual_mul_f32 v15, v181, v101 :: v_dual_mul_f32 v17, v183, v103
	s_delay_alu instid0(VALU_DEP_2) | instskip(SKIP_1) | instid1(VALU_DEP_3)
	v_dual_fmac_f32 v21, v173, v92 :: v_dual_fmac_f32 v27, v179, v98
	v_dual_add_f32 v5, v5, v19 :: v_dual_fma_f32 v11, v176, v96, -v11
	v_dual_add_f32 v9, v9, v49 :: v_dual_fma_f32 v15, v180, v100, -v15
	v_mul_f32_e32 v19, v185, v105
	s_wait_loadcnt_dscnt 0x802
	s_delay_alu instid0(VALU_DEP_3) | instskip(NEXT) | instid1(VALU_DEP_3)
	v_dual_add_f32 v5, v5, v21 :: v_dual_mul_f32 v21, v187, v107
	v_add_f32_e32 v9, v9, v47
	s_wait_loadcnt_dscnt 0x701
	v_dual_mul_f32 v39, v190, v111 :: v_dual_mul_f32 v41, v192, v113
	s_delay_alu instid0(VALU_DEP_3) | instskip(NEXT) | instid1(VALU_DEP_3)
	v_dual_fma_f32 v19, v184, v104, -v19 :: v_dual_fma_f32 v21, v186, v106, -v21
	v_add_f32_e32 v9, v9, v11
	s_wait_loadcnt_dscnt 0x600
	v_dual_mul_f32 v43, v194, v115 :: v_dual_mul_f32 v45, v196, v117
	v_mul_f32_e32 v11, v191, v111
	v_dual_add_f32 v5, v5, v23 :: v_dual_fma_f32 v17, v182, v102, -v17
	v_dual_add_f32 v9, v9, v13 :: v_dual_fmac_f32 v39, v191, v110
	v_dual_mul_f32 v31, v182, v103 :: v_dual_mul_f32 v33, v184, v105
	s_wait_loadcnt 0x5
	v_dual_mul_f32 v209, v162, v119 :: v_dual_mul_f32 v211, v164, v121
	s_delay_alu instid0(VALU_DEP_3) | instskip(NEXT) | instid1(VALU_DEP_3)
	v_dual_add_f32 v9, v9, v15 :: v_dual_fmac_f32 v43, v195, v114
	v_dual_fmac_f32 v25, v177, v96 :: v_dual_fmac_f32 v31, v183, v102
	v_dual_mul_f32 v35, v186, v107 :: v_dual_mul_f32 v37, v188, v109
	s_delay_alu instid0(VALU_DEP_3) | instskip(SKIP_1) | instid1(VALU_DEP_3)
	v_dual_add_f32 v9, v9, v17 :: v_dual_fmac_f32 v209, v163, v118
	v_dual_mul_f32 v23, v189, v109 :: v_dual_mul_f32 v15, v195, v115
	v_dual_add_f32 v5, v5, v25 :: v_dual_fmac_f32 v35, v187, v106
	s_delay_alu instid0(VALU_DEP_3) | instskip(SKIP_1) | instid1(VALU_DEP_3)
	v_add_f32_e32 v9, v9, v19
	v_dual_fmac_f32 v29, v181, v100 :: v_dual_mul_f32 v19, v163, v119
	v_dual_add_f32 v5, v5, v27 :: v_dual_fma_f32 v23, v188, v108, -v23
	s_delay_alu instid0(VALU_DEP_3) | instskip(SKIP_1) | instid1(VALU_DEP_3)
	v_add_f32_e32 v9, v9, v21
	v_dual_mul_f32 v13, v193, v113 :: v_dual_fma_f32 v11, v190, v110, -v11
	v_add_f32_e32 v5, v5, v29
	v_fmac_f32_e32 v33, v185, v104
	s_delay_alu instid0(VALU_DEP_4) | instskip(SKIP_1) | instid1(VALU_DEP_4)
	v_add_f32_e32 v9, v9, v23
	v_dual_mul_f32 v17, v197, v117 :: v_dual_fmac_f32 v45, v197, v116
	v_dual_fma_f32 v13, v192, v112, -v13 :: v_dual_add_f32 v5, v5, v31
	s_delay_alu instid0(VALU_DEP_3) | instskip(SKIP_2) | instid1(VALU_DEP_3)
	v_dual_add_f32 v9, v9, v11 :: v_dual_fma_f32 v11, v194, v114, -v15
	v_dual_fmac_f32 v37, v189, v108 :: v_dual_fma_f32 v208, v162, v118, -v19
	v_fmac_f32_e32 v41, v193, v112
	v_dual_add_f32 v9, v9, v13 :: v_dual_fma_f32 v13, v196, v116, -v17
	v_add_f32_e32 v5, v5, v33
	v_dual_mul_f32 v21, v165, v121 :: v_dual_fmac_f32 v211, v165, v120
	s_delay_alu instid0(VALU_DEP_3)
	v_add_f32_e32 v9, v9, v11
	s_wait_loadcnt 0x4
	v_pk_mul_f32 v[78:79], v[138:139], v[122:123] op_sel:[1,1] op_sel_hi:[0,1]
	v_add_f32_e32 v5, v5, v35
	s_wait_loadcnt 0x3
	v_dual_mov_b32 v80, v125 :: v_dual_mov_b32 v84, v129
	v_dual_add_f32 v86, v9, v13 :: v_dual_fma_f32 v210, v164, v120, -v21
	s_delay_alu instid0(VALU_DEP_3) | instskip(SKIP_1) | instid1(VALU_DEP_4)
	v_add_f32_e32 v5, v5, v37
	v_pk_fma_f32 v[88:89], v[138:139], v[122:123], v[78:79] op_sel_hi:[1,0,1]
	v_pk_mul_f32 v[80:81], v[200:201], v[80:81] op_sel_hi:[1,0]
	v_pk_fma_f32 v[78:79], v[138:139], v[122:123], v[78:79] neg_lo:[0,0,1] neg_hi:[0,0,1]
	v_pk_mul_f32 v[82:83], v[142:143], v[126:127] op_sel:[1,1] op_sel_hi:[0,1]
	v_add_f32_e32 v5, v5, v39
	v_mov_b32_e32 v79, v89
	v_pk_fma_f32 v[88:89], v[140:141], v[124:125], v[80:81] op_sel_hi:[1,0,1]
	v_pk_fma_f32 v[80:81], v[140:141], v[124:125], v[80:81] neg_lo:[0,0,1] neg_hi:[0,0,1]
	v_pk_fma_f32 v[92:93], v[142:143], v[126:127], v[82:83] op_sel_hi:[1,0,1]
	v_add_f32_e32 v5, v5, v41
	v_pk_mul_f32 v[84:85], v[202:203], v[84:85] op_sel_hi:[1,0]
	v_mov_b32_e32 v81, v89
	s_wait_loadcnt 0x2
	v_pk_mul_f32 v[90:91], v[146:147], v[130:131] op_sel:[1,1] op_sel_hi:[0,1]
	v_pk_fma_f32 v[82:83], v[142:143], v[126:127], v[82:83] neg_lo:[0,0,1] neg_hi:[0,0,1]
	v_add_f32_e32 v5, v5, v43
	v_mov_b32_e32 v83, v93
	v_pk_fma_f32 v[88:89], v[144:145], v[128:129], v[84:85] op_sel_hi:[1,0,1]
	v_pk_fma_f32 v[84:85], v[144:145], v[128:129], v[84:85] neg_lo:[0,0,1] neg_hi:[0,0,1]
	s_delay_alu instid0(VALU_DEP_4) | instskip(NEXT) | instid1(VALU_DEP_1)
	v_add_f32_e32 v87, v5, v45
	v_pk_add_f32 v[86:87], v[86:87], v[208:209]
	s_delay_alu instid0(VALU_DEP_1) | instskip(NEXT) | instid1(VALU_DEP_1)
	v_pk_add_f32 v[86:87], v[86:87], v[210:211]
	v_pk_add_f32 v[78:79], v[86:87], v[78:79]
	v_mov_b32_e32 v86, v133
	s_delay_alu instid0(VALU_DEP_2) | instskip(SKIP_1) | instid1(VALU_DEP_3)
	v_pk_add_f32 v[78:79], v[78:79], v[80:81]
	v_pk_fma_f32 v[80:81], v[146:147], v[130:131], v[90:91] op_sel_hi:[1,0,1]
	v_pk_mul_f32 v[86:87], v[204:205], v[86:87] op_sel_hi:[1,0]
	v_mov_b32_e32 v85, v89
	v_pk_fma_f32 v[88:89], v[146:147], v[130:131], v[90:91] neg_lo:[0,0,1] neg_hi:[0,0,1]
	v_pk_add_f32 v[78:79], v[78:79], v[82:83]
	v_mov_b32_e32 v89, v81
	v_pk_fma_f32 v[80:81], v[148:149], v[132:133], v[86:87] op_sel_hi:[1,0,1]
	s_wait_loadcnt 0x1
	v_pk_mul_f32 v[82:83], v[150:151], v[134:135] op_sel:[1,1] op_sel_hi:[0,1]
	v_mov_b32_e32 v80, v137
	v_pk_add_f32 v[78:79], v[78:79], v[84:85]
	v_pk_fma_f32 v[86:87], v[148:149], v[132:133], v[86:87] neg_lo:[0,0,1] neg_hi:[0,0,1]
	v_mov_b32_e32 v87, v81
	v_pk_fma_f32 v[84:85], v[150:151], v[134:135], v[82:83] op_sel_hi:[1,0,1]
	v_pk_mul_f32 v[80:81], v[206:207], v[80:81] op_sel_hi:[1,0]
	v_pk_add_f32 v[78:79], v[78:79], v[88:89]
	v_pk_fma_f32 v[82:83], v[150:151], v[134:135], v[82:83] neg_lo:[0,0,1] neg_hi:[0,0,1]
	s_delay_alu instid0(VALU_DEP_4) | instskip(NEXT) | instid1(VALU_DEP_4)
	v_mov_b32_e32 v83, v85
	v_pk_fma_f32 v[84:85], v[152:153], v[136:137], v[80:81] op_sel_hi:[1,0,1]
	s_delay_alu instid0(VALU_DEP_4) | instskip(SKIP_1) | instid1(VALU_DEP_3)
	v_pk_add_f32 v[78:79], v[78:79], v[86:87]
	v_pk_fma_f32 v[80:81], v[152:153], v[136:137], v[80:81] neg_lo:[0,0,1] neg_hi:[0,0,1]
	v_mov_b32_e32 v81, v85
	s_delay_alu instid0(VALU_DEP_3) | instskip(NEXT) | instid1(VALU_DEP_1)
	v_pk_add_f32 v[78:79], v[78:79], v[82:83]
	v_pk_add_f32 v[78:79], v[78:79], v[80:81]
	s_wait_loadcnt 0x0
	s_delay_alu instid0(VALU_DEP_1)
	v_pk_add_f32 v[78:79], v[198:199], v[78:79] neg_lo:[0,1] neg_hi:[0,1]
	scratch_store_b64 off, v[78:79], off offset:56
	s_wait_xcnt 0x0
	v_cmpx_lt_u32_e32 6, v0
	s_cbranch_execz .LBB37_229
; %bb.228:
	scratch_load_b64 v[78:79], off, off offset:48
	v_mov_b64_e32 v[80:81], 0
	scratch_store_b64 off, v[80:81], off offset:48
	s_wait_loadcnt 0x0
	ds_store_b64 v1, v[78:79]
.LBB37_229:
	s_wait_xcnt 0x0
	s_or_b32 exec_lo, exec_lo, s0
	s_wait_storecnt_dscnt 0x0
	s_barrier_signal -1
	s_barrier_wait -1
	s_clause 0x10
	scratch_load_b128 v[78:81], off, off offset:56
	scratch_load_b128 v[82:85], off, off offset:72
	;; [unrolled: 1-line block ×15, first 2 shown]
	scratch_load_b64 v[198:199], off, off offset:296
	scratch_load_b64 v[200:201], off, off offset:48
	v_mov_b32_e32 v5, 0
	ds_load_2addr_b64 v[138:141], v5 offset0:67 offset1:68
	ds_load_2addr_b64 v[142:145], v5 offset0:69 offset1:70
	;; [unrolled: 1-line block ×15, first 2 shown]
	ds_load_b64 v[202:203], v5 offset:600
	s_mov_b32 s0, exec_lo
	s_wait_dscnt 0xf
	v_dual_mov_b32 v204, v141 :: v_dual_mov_b32 v205, v140
	s_wait_dscnt 0xc
	v_dual_mov_b32 v206, v145 :: v_dual_mov_b32 v211, v152
	v_dual_mov_b32 v207, v144 :: v_dual_mov_b32 v208, v149
	;; [unrolled: 1-line block ×3, first 2 shown]
	s_wait_loadcnt_dscnt 0x100b
	v_dual_mul_f32 v9, v154, v79 :: v_dual_mul_f32 v51, v155, v79
	v_dual_mul_f32 v53, v157, v81 :: v_dual_mul_f32 v11, v156, v81
	s_wait_loadcnt_dscnt 0xf09
	v_mul_f32_e32 v13, v162, v83
	s_wait_loadcnt_dscnt 0xd07
	v_dual_mul_f32 v63, v171, v91 :: v_dual_fma_f32 v51, v154, v78, -v51
	v_dual_fmac_f32 v9, v155, v78 :: v_dual_mul_f32 v65, v173, v93
	v_dual_mul_f32 v55, v163, v83 :: v_dual_mul_f32 v57, v165, v85
	v_dual_fmac_f32 v11, v157, v80 :: v_dual_fma_f32 v53, v156, v80, -v53
	s_delay_alu instid0(VALU_DEP_3) | instskip(SKIP_3) | instid1(VALU_DEP_3)
	v_dual_add_f32 v9, 0, v9 :: v_dual_add_f32 v51, 0, v51
	v_dual_mul_f32 v15, v164, v85 :: v_dual_mul_f32 v17, v166, v87
	s_wait_loadcnt_dscnt 0xc06
	v_dual_mul_f32 v67, v175, v95 :: v_dual_fma_f32 v55, v162, v82, -v55
	v_dual_fmac_f32 v13, v163, v82 :: v_dual_add_f32 v9, v9, v11
	s_delay_alu instid0(VALU_DEP_3) | instskip(SKIP_2) | instid1(VALU_DEP_3)
	v_dual_add_f32 v11, v51, v53 :: v_dual_fmac_f32 v15, v165, v84
	v_dual_mul_f32 v59, v167, v87 :: v_dual_mul_f32 v61, v169, v89
	v_dual_mul_f32 v51, v177, v97 :: v_dual_fma_f32 v53, v164, v84, -v57
	v_dual_add_f32 v9, v9, v13 :: v_dual_add_f32 v11, v11, v55
	v_dual_mul_f32 v19, v168, v89 :: v_dual_mul_f32 v21, v170, v91
	s_wait_loadcnt_dscnt 0xb05
	v_dual_mul_f32 v13, v179, v99 :: v_dual_fma_f32 v55, v166, v86, -v59
	s_delay_alu instid0(VALU_DEP_3) | instskip(NEXT) | instid1(VALU_DEP_3)
	v_dual_fmac_f32 v17, v167, v86 :: v_dual_add_f32 v9, v9, v15
	v_dual_add_f32 v11, v11, v53 :: v_dual_fmac_f32 v19, v169, v88
	v_dual_mul_f32 v15, v181, v101 :: v_dual_fma_f32 v53, v168, v88, -v61
	s_delay_alu instid0(VALU_DEP_2) | instskip(SKIP_3) | instid1(VALU_DEP_3)
	v_dual_add_f32 v9, v9, v17 :: v_dual_add_f32 v11, v11, v55
	v_dual_mul_f32 v23, v172, v93 :: v_dual_mul_f32 v25, v174, v95
	s_wait_loadcnt_dscnt 0xa04
	v_dual_mul_f32 v17, v183, v103 :: v_dual_fma_f32 v55, v170, v90, -v63
	v_dual_fmac_f32 v21, v171, v90 :: v_dual_add_f32 v9, v9, v19
	s_delay_alu instid0(VALU_DEP_3) | instskip(SKIP_1) | instid1(VALU_DEP_2)
	v_dual_add_f32 v11, v11, v53 :: v_dual_fmac_f32 v23, v173, v92
	v_dual_mul_f32 v19, v185, v105 :: v_dual_fma_f32 v53, v172, v92, -v65
	v_dual_add_f32 v9, v9, v21 :: v_dual_add_f32 v11, v11, v55
	v_dual_mul_f32 v27, v176, v97 :: v_dual_mul_f32 v29, v178, v99
	s_wait_loadcnt_dscnt 0x903
	v_dual_mul_f32 v21, v187, v107 :: v_dual_fma_f32 v55, v174, v94, -v67
	s_delay_alu instid0(VALU_DEP_3) | instskip(NEXT) | instid1(VALU_DEP_3)
	v_dual_fmac_f32 v25, v175, v94 :: v_dual_add_f32 v9, v9, v23
	v_dual_add_f32 v11, v11, v53 :: v_dual_fmac_f32 v27, v177, v96
	v_dual_mul_f32 v23, v189, v109 :: v_dual_fma_f32 v51, v176, v96, -v51
	s_delay_alu instid0(VALU_DEP_2) | instskip(SKIP_3) | instid1(VALU_DEP_3)
	v_dual_add_f32 v9, v9, v25 :: v_dual_add_f32 v11, v11, v55
	v_dual_mul_f32 v31, v180, v101 :: v_dual_mul_f32 v33, v182, v103
	s_wait_loadcnt_dscnt 0x802
	v_dual_mul_f32 v25, v191, v111 :: v_dual_fma_f32 v13, v178, v98, -v13
	v_dual_fmac_f32 v29, v179, v98 :: v_dual_add_f32 v9, v9, v27
	v_dual_add_f32 v11, v11, v51 :: v_dual_mul_f32 v27, v193, v113
	v_fmac_f32_e32 v31, v181, v100
	s_delay_alu instid0(VALU_DEP_3) | instskip(NEXT) | instid1(VALU_DEP_3)
	v_dual_fma_f32 v15, v180, v100, -v15 :: v_dual_add_f32 v9, v9, v29
	v_add_f32_e32 v11, v11, v13
	v_dual_mul_f32 v35, v184, v105 :: v_dual_mul_f32 v37, v186, v107
	s_wait_loadcnt_dscnt 0x701
	v_dual_mul_f32 v13, v195, v115 :: v_dual_fma_f32 v17, v182, v102, -v17
	v_dual_fmac_f32 v33, v183, v102 :: v_dual_add_f32 v9, v9, v31
	v_dual_add_f32 v11, v11, v15 :: v_dual_mul_f32 v15, v197, v117
	v_fmac_f32_e32 v35, v185, v104
	s_delay_alu instid0(VALU_DEP_3) | instskip(NEXT) | instid1(VALU_DEP_3)
	v_dual_fma_f32 v19, v184, v104, -v19 :: v_dual_add_f32 v9, v9, v33
	v_add_f32_e32 v11, v11, v17
	v_dual_mul_f32 v39, v188, v109 :: v_dual_mul_f32 v41, v190, v111
	s_wait_loadcnt 0x6
	v_dual_mul_f32 v17, v159, v119 :: v_dual_fma_f32 v21, v186, v106, -v21
	v_dual_fmac_f32 v37, v187, v106 :: v_dual_add_f32 v9, v9, v35
	v_dual_add_f32 v11, v11, v19 :: v_dual_mul_f32 v19, v161, v121
	v_fmac_f32_e32 v39, v189, v108
	s_delay_alu instid0(VALU_DEP_3) | instskip(NEXT) | instid1(VALU_DEP_3)
	v_dual_fma_f32 v23, v188, v108, -v23 :: v_dual_add_f32 v9, v9, v37
	v_add_f32_e32 v11, v11, v21
	v_dual_mul_f32 v43, v192, v113 :: v_dual_mul_f32 v45, v194, v115
	s_wait_loadcnt 0x5
	v_dual_mul_f32 v21, v139, v123 :: v_dual_fma_f32 v25, v190, v110, -v25
	v_dual_fmac_f32 v41, v191, v110 :: v_dual_add_f32 v9, v9, v39
	v_dual_add_f32 v11, v11, v23 :: v_dual_mov_b32 v78, v125
	v_fmac_f32_e32 v43, v193, v112
	s_delay_alu instid0(VALU_DEP_3) | instskip(NEXT) | instid1(VALU_DEP_3)
	v_dual_fma_f32 v23, v192, v112, -v27 :: v_dual_add_f32 v9, v9, v41
	v_add_f32_e32 v11, v11, v25
	v_dual_mul_f32 v47, v196, v117 :: v_dual_mul_f32 v49, v158, v119
	s_delay_alu instid0(VALU_DEP_3) | instskip(NEXT) | instid1(VALU_DEP_3)
	v_dual_fmac_f32 v45, v195, v114 :: v_dual_add_f32 v9, v9, v43
	v_dual_fma_f32 v13, v194, v114, -v13 :: v_dual_add_f32 v11, v11, v23
	s_wait_loadcnt 0x4
	v_dual_mov_b32 v82, v129 :: v_dual_fma_f32 v15, v196, v116, -v15
	v_fmac_f32_e32 v47, v197, v116
	v_dual_add_f32 v9, v9, v45 :: v_dual_fmac_f32 v49, v159, v118
	v_add_f32_e32 v11, v11, v13
	v_dual_mul_f32 v213, v160, v121 :: v_dual_mul_f32 v215, v138, v123
	s_delay_alu instid0(VALU_DEP_3) | instskip(NEXT) | instid1(VALU_DEP_2)
	v_dual_fma_f32 v13, v158, v118, -v17 :: v_dual_add_f32 v9, v9, v47
	v_dual_add_f32 v11, v11, v15 :: v_dual_fmac_f32 v213, v161, v120
	v_fma_f32 v212, v160, v120, -v19
	v_pk_mul_f32 v[78:79], v[204:205], v[78:79] op_sel_hi:[1,0]
	s_delay_alu instid0(VALU_DEP_4)
	v_add_f32_e32 v87, v9, v49
	s_wait_loadcnt 0x3
	v_dual_add_f32 v86, v11, v13 :: v_dual_mov_b32 v88, v133
	v_pk_mul_f32 v[80:81], v[142:143], v[126:127] op_sel:[1,1] op_sel_hi:[0,1]
	v_dual_fmac_f32 v215, v139, v122 :: v_dual_fma_f32 v214, v138, v122, -v21
	v_pk_fma_f32 v[90:91], v[140:141], v[124:125], v[78:79] op_sel_hi:[1,0,1]
	s_delay_alu instid0(VALU_DEP_4)
	v_pk_add_f32 v[86:87], v[86:87], v[212:213]
	v_pk_fma_f32 v[78:79], v[140:141], v[124:125], v[78:79] neg_lo:[0,0,1] neg_hi:[0,0,1]
	v_pk_fma_f32 v[92:93], v[142:143], v[126:127], v[80:81] op_sel_hi:[1,0,1]
	v_pk_mul_f32 v[82:83], v[206:207], v[82:83] op_sel_hi:[1,0]
	v_mov_b32_e32 v79, v91
	v_pk_add_f32 v[86:87], v[86:87], v[214:215]
	v_pk_fma_f32 v[80:81], v[142:143], v[126:127], v[80:81] neg_lo:[0,0,1] neg_hi:[0,0,1]
	v_pk_mul_f32 v[84:85], v[146:147], v[130:131] op_sel:[1,1] op_sel_hi:[0,1]
	v_mov_b32_e32 v81, v93
	v_pk_fma_f32 v[92:93], v[144:145], v[128:129], v[82:83] op_sel_hi:[1,0,1]
	v_pk_add_f32 v[78:79], v[86:87], v[78:79]
	v_pk_fma_f32 v[82:83], v[144:145], v[128:129], v[82:83] neg_lo:[0,0,1] neg_hi:[0,0,1]
	v_pk_fma_f32 v[86:87], v[146:147], v[130:131], v[84:85] op_sel_hi:[1,0,1]
	v_pk_mul_f32 v[88:89], v[208:209], v[88:89] op_sel_hi:[1,0]
	v_mov_b32_e32 v83, v93
	v_pk_add_f32 v[78:79], v[78:79], v[80:81]
	v_pk_fma_f32 v[84:85], v[146:147], v[130:131], v[84:85] neg_lo:[0,0,1] neg_hi:[0,0,1]
	s_wait_loadcnt 0x2
	v_pk_mul_f32 v[90:91], v[150:151], v[134:135] op_sel:[1,1] op_sel_hi:[0,1]
	v_dual_mov_b32 v80, v137 :: v_dual_mov_b32 v85, v87
	v_pk_fma_f32 v[86:87], v[148:149], v[132:133], v[88:89] op_sel_hi:[1,0,1]
	v_pk_add_f32 v[78:79], v[78:79], v[82:83]
	v_pk_fma_f32 v[88:89], v[148:149], v[132:133], v[88:89] neg_lo:[0,0,1] neg_hi:[0,0,1]
	v_pk_fma_f32 v[82:83], v[150:151], v[134:135], v[90:91] op_sel_hi:[1,0,1]
	v_pk_mul_f32 v[80:81], v[210:211], v[80:81] op_sel_hi:[1,0]
	v_mov_b32_e32 v89, v87
	v_pk_add_f32 v[78:79], v[78:79], v[84:85]
	v_pk_fma_f32 v[84:85], v[150:151], v[134:135], v[90:91] neg_lo:[0,0,1] neg_hi:[0,0,1]
	v_mov_b32_e32 v85, v83
	v_pk_fma_f32 v[82:83], v[152:153], v[136:137], v[80:81] op_sel_hi:[1,0,1]
	s_wait_loadcnt_dscnt 0x100
	v_pk_mul_f32 v[86:87], v[202:203], v[198:199] op_sel:[1,1] op_sel_hi:[0,1]
	v_pk_add_f32 v[78:79], v[78:79], v[88:89]
	v_pk_fma_f32 v[80:81], v[152:153], v[136:137], v[80:81] neg_lo:[0,0,1] neg_hi:[0,0,1]
	v_mov_b32_e32 v81, v83
	s_delay_alu instid0(VALU_DEP_4) | instskip(NEXT) | instid1(VALU_DEP_4)
	v_pk_fma_f32 v[82:83], v[202:203], v[198:199], v[86:87] op_sel_hi:[1,0,1]
	v_pk_add_f32 v[78:79], v[78:79], v[84:85]
	v_pk_fma_f32 v[84:85], v[202:203], v[198:199], v[86:87] neg_lo:[0,0,1] neg_hi:[0,0,1]
	s_delay_alu instid0(VALU_DEP_3) | instskip(NEXT) | instid1(VALU_DEP_3)
	v_mov_b32_e32 v85, v83
	v_pk_add_f32 v[78:79], v[78:79], v[80:81]
	s_delay_alu instid0(VALU_DEP_1) | instskip(SKIP_1) | instid1(VALU_DEP_1)
	v_pk_add_f32 v[78:79], v[78:79], v[84:85]
	s_wait_loadcnt 0x0
	v_pk_add_f32 v[78:79], v[200:201], v[78:79] neg_lo:[0,1] neg_hi:[0,1]
	scratch_store_b64 off, v[78:79], off offset:48
	s_wait_xcnt 0x0
	v_cmpx_lt_u32_e32 5, v0
	s_cbranch_execz .LBB37_231
; %bb.230:
	scratch_load_b64 v[78:79], off, off offset:40
	v_mov_b64_e32 v[80:81], 0
	scratch_store_b64 off, v[80:81], off offset:40
	s_wait_loadcnt 0x0
	ds_store_b64 v1, v[78:79]
.LBB37_231:
	s_wait_xcnt 0x0
	s_or_b32 exec_lo, exec_lo, s0
	s_wait_storecnt_dscnt 0x0
	s_barrier_signal -1
	s_barrier_wait -1
	s_clause 0x10
	scratch_load_b128 v[78:81], off, off offset:48
	scratch_load_b128 v[82:85], off, off offset:64
	;; [unrolled: 1-line block ×16, first 2 shown]
	scratch_load_b64 v[206:207], off, off offset:40
	ds_load_b128 v[142:145], v5 offset:544
	ds_load_b128 v[146:149], v5 offset:560
	;; [unrolled: 1-line block ×16, first 2 shown]
	s_mov_b32 s0, exec_lo
	s_wait_dscnt 0xf
	v_dual_mov_b32 v208, v145 :: v_dual_mov_b32 v209, v144
	s_wait_dscnt 0xe
	v_dual_mov_b32 v210, v149 :: v_dual_mov_b32 v211, v148
	;; [unrolled: 2-line block ×4, first 2 shown]
	s_wait_loadcnt_dscnt 0x100b
	v_dual_mul_f32 v5, v158, v79 :: v_dual_mul_f32 v9, v160, v81
	v_dual_mul_f32 v51, v159, v79 :: v_dual_mul_f32 v53, v161, v81
	s_wait_loadcnt_dscnt 0xf0a
	v_dual_mul_f32 v11, v162, v83 :: v_dual_mul_f32 v13, v164, v85
	s_delay_alu instid0(VALU_DEP_2) | instskip(SKIP_3) | instid1(VALU_DEP_3)
	v_dual_fmac_f32 v5, v159, v78 :: v_dual_fma_f32 v51, v158, v78, -v51
	v_dual_mul_f32 v55, v163, v83 :: v_dual_mul_f32 v57, v165, v85
	s_wait_loadcnt_dscnt 0xd08
	v_dual_mul_f32 v63, v171, v91 :: v_dual_fmac_f32 v9, v161, v80
	v_dual_fma_f32 v53, v160, v80, -v53 :: v_dual_add_f32 v5, 0, v5
	v_dual_add_f32 v51, 0, v51 :: v_dual_mul_f32 v65, v173, v93
	v_fmac_f32_e32 v11, v163, v82
	s_delay_alu instid0(VALU_DEP_3) | instskip(NEXT) | instid1(VALU_DEP_3)
	v_dual_fma_f32 v55, v162, v82, -v55 :: v_dual_add_f32 v5, v5, v9
	v_dual_add_f32 v9, v51, v53 :: v_dual_mul_f32 v15, v166, v87
	v_dual_mul_f32 v17, v168, v89 :: v_dual_mul_f32 v59, v167, v87
	v_dual_mul_f32 v61, v169, v89 :: v_dual_fma_f32 v53, v164, v84, -v57
	s_delay_alu instid0(VALU_DEP_4) | instskip(NEXT) | instid1(VALU_DEP_4)
	v_add_f32_e32 v5, v5, v11
	v_dual_add_f32 v9, v9, v55 :: v_dual_fmac_f32 v15, v167, v86
	s_wait_loadcnt_dscnt 0xc07
	v_dual_mul_f32 v51, v175, v95 :: v_dual_fmac_f32 v13, v165, v84
	v_dual_mul_f32 v11, v177, v97 :: v_dual_fma_f32 v55, v166, v86, -v59
	s_delay_alu instid0(VALU_DEP_3) | instskip(SKIP_1) | instid1(VALU_DEP_3)
	v_dual_add_f32 v9, v9, v53 :: v_dual_fma_f32 v53, v168, v88, -v61
	s_wait_loadcnt_dscnt 0xb06
	v_dual_add_f32 v5, v5, v13 :: v_dual_mul_f32 v13, v179, v99
	v_dual_mul_f32 v19, v170, v91 :: v_dual_mul_f32 v21, v172, v93
	s_delay_alu instid0(VALU_DEP_3) | instskip(SKIP_1) | instid1(VALU_DEP_4)
	v_add_f32_e32 v9, v9, v55
	v_fmac_f32_e32 v17, v169, v88
	v_dual_add_f32 v5, v5, v15 :: v_dual_fma_f32 v55, v170, v90, -v63
	v_dual_mul_f32 v23, v174, v95 :: v_dual_mul_f32 v25, v176, v97
	s_delay_alu instid0(VALU_DEP_4) | instskip(NEXT) | instid1(VALU_DEP_3)
	v_dual_add_f32 v9, v9, v53 :: v_dual_fma_f32 v51, v174, v94, -v51
	v_dual_fmac_f32 v19, v171, v90 :: v_dual_add_f32 v5, v5, v17
	s_delay_alu instid0(VALU_DEP_3) | instskip(NEXT) | instid1(VALU_DEP_3)
	v_dual_fmac_f32 v23, v175, v94 :: v_dual_fma_f32 v53, v172, v92, -v65
	v_dual_add_f32 v9, v9, v55 :: v_dual_fma_f32 v13, v178, v98, -v13
	v_dual_mul_f32 v27, v178, v99 :: v_dual_mul_f32 v29, v180, v101
	s_wait_loadcnt_dscnt 0xa05
	v_dual_mul_f32 v15, v181, v101 :: v_dual_mul_f32 v17, v183, v103
	s_delay_alu instid0(VALU_DEP_2) | instskip(SKIP_1) | instid1(VALU_DEP_3)
	v_dual_fmac_f32 v21, v173, v92 :: v_dual_fmac_f32 v27, v179, v98
	v_dual_add_f32 v5, v5, v19 :: v_dual_fma_f32 v11, v176, v96, -v11
	v_dual_add_f32 v9, v9, v53 :: v_dual_fma_f32 v15, v180, v100, -v15
	v_mul_f32_e32 v19, v185, v105
	s_wait_loadcnt_dscnt 0x904
	s_delay_alu instid0(VALU_DEP_3) | instskip(NEXT) | instid1(VALU_DEP_3)
	v_dual_add_f32 v5, v5, v21 :: v_dual_mul_f32 v21, v187, v107
	v_add_f32_e32 v9, v9, v51
	s_wait_loadcnt_dscnt 0x803
	v_dual_mul_f32 v39, v190, v111 :: v_dual_mul_f32 v41, v192, v113
	s_delay_alu instid0(VALU_DEP_3) | instskip(NEXT) | instid1(VALU_DEP_3)
	v_dual_fma_f32 v19, v184, v104, -v19 :: v_dual_fma_f32 v21, v186, v106, -v21
	v_add_f32_e32 v9, v9, v11
	v_mul_f32_e32 v11, v191, v111
	v_dual_add_f32 v5, v5, v23 :: v_dual_fma_f32 v17, v182, v102, -v17
	s_delay_alu instid0(VALU_DEP_3) | instskip(NEXT) | instid1(VALU_DEP_3)
	v_dual_fmac_f32 v39, v191, v110 :: v_dual_add_f32 v9, v9, v13
	v_dual_mul_f32 v13, v193, v113 :: v_dual_fma_f32 v11, v190, v110, -v11
	v_dual_mul_f32 v31, v182, v103 :: v_dual_mul_f32 v33, v184, v105
	s_delay_alu instid0(VALU_DEP_2) | instskip(NEXT) | instid1(VALU_DEP_2)
	v_dual_add_f32 v9, v9, v15 :: v_dual_fma_f32 v13, v192, v112, -v13
	v_dual_fmac_f32 v25, v177, v96 :: v_dual_fmac_f32 v31, v183, v102
	v_dual_mul_f32 v35, v186, v107 :: v_dual_mul_f32 v37, v188, v109
	s_delay_alu instid0(VALU_DEP_3) | instskip(SKIP_2) | instid1(VALU_DEP_3)
	v_add_f32_e32 v9, v9, v17
	s_wait_loadcnt_dscnt 0x702
	v_dual_mul_f32 v23, v189, v109 :: v_dual_mul_f32 v15, v195, v115
	v_dual_add_f32 v5, v5, v25 :: v_dual_fmac_f32 v35, v187, v106
	s_delay_alu instid0(VALU_DEP_3) | instskip(SKIP_4) | instid1(VALU_DEP_3)
	v_add_f32_e32 v9, v9, v19
	s_wait_loadcnt_dscnt 0x500
	v_dual_mul_f32 v217, v202, v123 :: v_dual_mul_f32 v219, v204, v125
	v_dual_fmac_f32 v29, v181, v100 :: v_dual_mul_f32 v19, v199, v119
	v_dual_add_f32 v5, v5, v27 :: v_dual_fma_f32 v23, v188, v108, -v23
	v_dual_add_f32 v9, v9, v21 :: v_dual_fmac_f32 v217, v203, v122
	v_dual_mul_f32 v43, v194, v115 :: v_dual_mul_f32 v45, v196, v117
	s_delay_alu instid0(VALU_DEP_3) | instskip(NEXT) | instid1(VALU_DEP_3)
	v_add_f32_e32 v5, v5, v29
	v_add_f32_e32 v9, v9, v23
	s_delay_alu instid0(VALU_DEP_3) | instskip(SKIP_1) | instid1(VALU_DEP_4)
	v_dual_fmac_f32 v33, v185, v104 :: v_dual_fmac_f32 v43, v195, v114
	v_mul_f32_e32 v23, v203, v123
	v_dual_add_f32 v5, v5, v31 :: v_dual_fma_f32 v15, v194, v114, -v15
	s_delay_alu instid0(VALU_DEP_4) | instskip(SKIP_2) | instid1(VALU_DEP_2)
	v_add_f32_e32 v9, v9, v11
	v_dual_mul_f32 v47, v198, v119 :: v_dual_mul_f32 v49, v200, v121
	v_dual_mul_f32 v17, v197, v117 :: v_dual_fmac_f32 v45, v197, v116
	v_dual_add_f32 v5, v5, v33 :: v_dual_fmac_f32 v47, v199, v118
	s_delay_alu instid0(VALU_DEP_4) | instskip(SKIP_2) | instid1(VALU_DEP_4)
	v_add_f32_e32 v9, v9, v13
	v_dual_fmac_f32 v37, v189, v108 :: v_dual_fma_f32 v216, v202, v122, -v23
	v_dual_mul_f32 v21, v201, v121 :: v_dual_fmac_f32 v49, v201, v120
	v_dual_add_f32 v5, v5, v35 :: v_dual_fma_f32 v13, v196, v116, -v17
	s_delay_alu instid0(VALU_DEP_4) | instskip(SKIP_2) | instid1(VALU_DEP_3)
	v_add_f32_e32 v9, v9, v15
	v_dual_mul_f32 v11, v205, v125 :: v_dual_fmac_f32 v219, v205, v124
	v_dual_fmac_f32 v41, v193, v112 :: v_dual_fma_f32 v15, v198, v118, -v19
	v_dual_add_f32 v9, v9, v13 :: v_dual_fma_f32 v13, v200, v120, -v21
	s_delay_alu instid0(VALU_DEP_3) | instskip(SKIP_2) | instid1(VALU_DEP_3)
	v_dual_add_f32 v5, v5, v37 :: v_dual_fma_f32 v218, v204, v124, -v11
	s_wait_loadcnt 0x4
	v_pk_mul_f32 v[78:79], v[142:143], v[126:127] op_sel:[1,1] op_sel_hi:[0,1]
	v_add_f32_e32 v9, v9, v15
	s_wait_loadcnt 0x3
	v_dual_mov_b32 v80, v129 :: v_dual_mov_b32 v84, v133
	v_add_f32_e32 v5, v5, v39
	v_pk_fma_f32 v[88:89], v[142:143], v[126:127], v[78:79] op_sel_hi:[1,0,1]
	v_add_f32_e32 v86, v9, v13
	s_delay_alu instid0(VALU_DEP_4)
	v_pk_mul_f32 v[80:81], v[208:209], v[80:81] op_sel_hi:[1,0]
	v_pk_fma_f32 v[78:79], v[142:143], v[126:127], v[78:79] neg_lo:[0,0,1] neg_hi:[0,0,1]
	v_add_f32_e32 v5, v5, v41
	v_pk_mul_f32 v[82:83], v[146:147], v[130:131] op_sel:[1,1] op_sel_hi:[0,1]
	v_mov_b32_e32 v79, v89
	v_pk_fma_f32 v[88:89], v[144:145], v[128:129], v[80:81] op_sel_hi:[1,0,1]
	v_pk_fma_f32 v[80:81], v[144:145], v[128:129], v[80:81] neg_lo:[0,0,1] neg_hi:[0,0,1]
	v_add_f32_e32 v5, v5, v43
	v_pk_fma_f32 v[92:93], v[146:147], v[130:131], v[82:83] op_sel_hi:[1,0,1]
	v_pk_mul_f32 v[84:85], v[210:211], v[84:85] op_sel_hi:[1,0]
	v_mov_b32_e32 v81, v89
	s_wait_loadcnt 0x2
	v_pk_mul_f32 v[90:91], v[150:151], v[134:135] op_sel:[1,1] op_sel_hi:[0,1]
	v_add_f32_e32 v5, v5, v45
	v_pk_fma_f32 v[82:83], v[146:147], v[130:131], v[82:83] neg_lo:[0,0,1] neg_hi:[0,0,1]
	v_mov_b32_e32 v83, v93
	v_pk_fma_f32 v[88:89], v[148:149], v[132:133], v[84:85] op_sel_hi:[1,0,1]
	v_pk_fma_f32 v[84:85], v[148:149], v[132:133], v[84:85] neg_lo:[0,0,1] neg_hi:[0,0,1]
	v_add_f32_e32 v5, v5, v47
	s_delay_alu instid0(VALU_DEP_1) | instskip(NEXT) | instid1(VALU_DEP_1)
	v_add_f32_e32 v87, v5, v49
	v_pk_add_f32 v[86:87], v[86:87], v[216:217]
	s_delay_alu instid0(VALU_DEP_1) | instskip(NEXT) | instid1(VALU_DEP_1)
	v_pk_add_f32 v[86:87], v[86:87], v[218:219]
	v_pk_add_f32 v[78:79], v[86:87], v[78:79]
	v_mov_b32_e32 v86, v137
	s_delay_alu instid0(VALU_DEP_2) | instskip(SKIP_1) | instid1(VALU_DEP_3)
	v_pk_add_f32 v[78:79], v[78:79], v[80:81]
	v_pk_fma_f32 v[80:81], v[150:151], v[134:135], v[90:91] op_sel_hi:[1,0,1]
	v_pk_mul_f32 v[86:87], v[212:213], v[86:87] op_sel_hi:[1,0]
	v_mov_b32_e32 v85, v89
	v_pk_fma_f32 v[88:89], v[150:151], v[134:135], v[90:91] neg_lo:[0,0,1] neg_hi:[0,0,1]
	v_pk_add_f32 v[78:79], v[78:79], v[82:83]
	v_mov_b32_e32 v89, v81
	v_pk_fma_f32 v[80:81], v[152:153], v[136:137], v[86:87] op_sel_hi:[1,0,1]
	s_wait_loadcnt 0x1
	v_pk_mul_f32 v[82:83], v[154:155], v[138:139] op_sel:[1,1] op_sel_hi:[0,1]
	v_mov_b32_e32 v80, v141
	v_pk_add_f32 v[78:79], v[78:79], v[84:85]
	v_pk_fma_f32 v[86:87], v[152:153], v[136:137], v[86:87] neg_lo:[0,0,1] neg_hi:[0,0,1]
	v_mov_b32_e32 v87, v81
	v_pk_fma_f32 v[84:85], v[154:155], v[138:139], v[82:83] op_sel_hi:[1,0,1]
	v_pk_mul_f32 v[80:81], v[214:215], v[80:81] op_sel_hi:[1,0]
	v_pk_add_f32 v[78:79], v[78:79], v[88:89]
	v_pk_fma_f32 v[82:83], v[154:155], v[138:139], v[82:83] neg_lo:[0,0,1] neg_hi:[0,0,1]
	s_delay_alu instid0(VALU_DEP_4) | instskip(NEXT) | instid1(VALU_DEP_4)
	v_mov_b32_e32 v83, v85
	v_pk_fma_f32 v[84:85], v[156:157], v[140:141], v[80:81] op_sel_hi:[1,0,1]
	s_delay_alu instid0(VALU_DEP_4) | instskip(SKIP_1) | instid1(VALU_DEP_3)
	v_pk_add_f32 v[78:79], v[78:79], v[86:87]
	v_pk_fma_f32 v[80:81], v[156:157], v[140:141], v[80:81] neg_lo:[0,0,1] neg_hi:[0,0,1]
	v_mov_b32_e32 v81, v85
	s_delay_alu instid0(VALU_DEP_3) | instskip(NEXT) | instid1(VALU_DEP_1)
	v_pk_add_f32 v[78:79], v[78:79], v[82:83]
	v_pk_add_f32 v[78:79], v[78:79], v[80:81]
	s_wait_loadcnt 0x0
	s_delay_alu instid0(VALU_DEP_1)
	v_pk_add_f32 v[78:79], v[206:207], v[78:79] neg_lo:[0,1] neg_hi:[0,1]
	scratch_store_b64 off, v[78:79], off offset:40
	s_wait_xcnt 0x0
	v_cmpx_lt_u32_e32 4, v0
	s_cbranch_execz .LBB37_233
; %bb.232:
	scratch_load_b64 v[78:79], off, off offset:32
	v_mov_b64_e32 v[80:81], 0
	scratch_store_b64 off, v[80:81], off offset:32
	s_wait_loadcnt 0x0
	ds_store_b64 v1, v[78:79]
.LBB37_233:
	s_wait_xcnt 0x0
	s_or_b32 exec_lo, exec_lo, s0
	s_wait_storecnt_dscnt 0x0
	s_barrier_signal -1
	s_barrier_wait -1
	s_clause 0x11
	scratch_load_b128 v[78:81], off, off offset:40
	scratch_load_b128 v[82:85], off, off offset:56
	;; [unrolled: 1-line block ×16, first 2 shown]
	scratch_load_b64 v[206:207], off, off offset:296
	scratch_load_b64 v[208:209], off, off offset:32
	v_mov_b32_e32 v5, 0
	ds_load_2addr_b64 v[142:145], v5 offset0:67 offset1:68
	ds_load_2addr_b64 v[146:149], v5 offset0:69 offset1:70
	;; [unrolled: 1-line block ×16, first 2 shown]
	ds_load_b64 v[210:211], v5 offset:600
	s_mov_b32 s0, exec_lo
	s_wait_dscnt 0x10
	v_dual_mov_b32 v212, v145 :: v_dual_mov_b32 v213, v144
	s_wait_dscnt 0xd
	v_dual_mov_b32 v214, v149 :: v_dual_mov_b32 v219, v156
	v_dual_mov_b32 v215, v148 :: v_dual_mov_b32 v216, v153
	;; [unrolled: 1-line block ×3, first 2 shown]
	s_wait_loadcnt_dscnt 0x110c
	v_dual_mul_f32 v9, v158, v79 :: v_dual_mul_f32 v55, v159, v79
	v_dual_mul_f32 v57, v161, v81 :: v_dual_mul_f32 v11, v160, v81
	s_wait_loadcnt_dscnt 0x100b
	v_mul_f32_e32 v13, v162, v83
	s_wait_loadcnt_dscnt 0xe09
	v_dual_mul_f32 v67, v171, v91 :: v_dual_fma_f32 v55, v158, v78, -v55
	v_dual_fmac_f32 v9, v159, v78 :: v_dual_mul_f32 v69, v173, v93
	v_dual_mul_f32 v59, v163, v83 :: v_dual_mul_f32 v61, v165, v85
	v_dual_fmac_f32 v11, v161, v80 :: v_dual_fma_f32 v57, v160, v80, -v57
	s_delay_alu instid0(VALU_DEP_3) | instskip(SKIP_3) | instid1(VALU_DEP_3)
	v_dual_add_f32 v9, 0, v9 :: v_dual_add_f32 v55, 0, v55
	v_dual_mul_f32 v15, v164, v85 :: v_dual_mul_f32 v17, v166, v87
	s_wait_loadcnt_dscnt 0xd08
	v_dual_mul_f32 v71, v175, v95 :: v_dual_fma_f32 v59, v162, v82, -v59
	v_dual_fmac_f32 v13, v163, v82 :: v_dual_add_f32 v9, v9, v11
	s_delay_alu instid0(VALU_DEP_3) | instskip(SKIP_2) | instid1(VALU_DEP_3)
	v_dual_add_f32 v11, v55, v57 :: v_dual_fmac_f32 v15, v165, v84
	v_dual_mul_f32 v63, v167, v87 :: v_dual_mul_f32 v65, v169, v89
	v_dual_mul_f32 v55, v177, v97 :: v_dual_fma_f32 v57, v164, v84, -v61
	v_dual_add_f32 v9, v9, v13 :: v_dual_add_f32 v11, v11, v59
	v_dual_mul_f32 v19, v168, v89 :: v_dual_mul_f32 v21, v170, v91
	s_wait_loadcnt_dscnt 0xc07
	v_dual_mul_f32 v13, v179, v99 :: v_dual_fma_f32 v59, v166, v86, -v63
	s_delay_alu instid0(VALU_DEP_3) | instskip(NEXT) | instid1(VALU_DEP_3)
	v_dual_fmac_f32 v17, v167, v86 :: v_dual_add_f32 v9, v9, v15
	v_dual_add_f32 v11, v11, v57 :: v_dual_fmac_f32 v19, v169, v88
	v_dual_mul_f32 v15, v181, v101 :: v_dual_fma_f32 v57, v168, v88, -v65
	s_delay_alu instid0(VALU_DEP_2) | instskip(SKIP_3) | instid1(VALU_DEP_3)
	v_dual_add_f32 v9, v9, v17 :: v_dual_add_f32 v11, v11, v59
	v_dual_mul_f32 v23, v172, v93 :: v_dual_mul_f32 v25, v174, v95
	s_wait_loadcnt_dscnt 0xb06
	v_dual_mul_f32 v17, v183, v103 :: v_dual_fma_f32 v59, v170, v90, -v67
	v_dual_fmac_f32 v21, v171, v90 :: v_dual_add_f32 v9, v9, v19
	s_delay_alu instid0(VALU_DEP_3) | instskip(SKIP_1) | instid1(VALU_DEP_2)
	v_dual_add_f32 v11, v11, v57 :: v_dual_fmac_f32 v23, v173, v92
	v_dual_mul_f32 v19, v185, v105 :: v_dual_fma_f32 v57, v172, v92, -v69
	v_dual_add_f32 v9, v9, v21 :: v_dual_add_f32 v11, v11, v59
	v_dual_mul_f32 v27, v176, v97 :: v_dual_mul_f32 v29, v178, v99
	s_wait_loadcnt_dscnt 0xa05
	v_dual_mul_f32 v21, v187, v107 :: v_dual_fma_f32 v59, v174, v94, -v71
	s_delay_alu instid0(VALU_DEP_3) | instskip(NEXT) | instid1(VALU_DEP_3)
	v_dual_fmac_f32 v25, v175, v94 :: v_dual_add_f32 v9, v9, v23
	v_dual_add_f32 v11, v11, v57 :: v_dual_fmac_f32 v27, v177, v96
	v_dual_mul_f32 v23, v189, v109 :: v_dual_fma_f32 v55, v176, v96, -v55
	s_delay_alu instid0(VALU_DEP_2) | instskip(SKIP_3) | instid1(VALU_DEP_3)
	v_dual_add_f32 v9, v9, v25 :: v_dual_add_f32 v11, v11, v59
	v_dual_mul_f32 v31, v180, v101 :: v_dual_mul_f32 v33, v182, v103
	s_wait_loadcnt_dscnt 0x904
	v_dual_mul_f32 v25, v191, v111 :: v_dual_fma_f32 v13, v178, v98, -v13
	v_dual_fmac_f32 v29, v179, v98 :: v_dual_add_f32 v9, v9, v27
	v_dual_add_f32 v11, v11, v55 :: v_dual_mul_f32 v27, v193, v113
	v_fmac_f32_e32 v31, v181, v100
	s_delay_alu instid0(VALU_DEP_3) | instskip(NEXT) | instid1(VALU_DEP_3)
	v_dual_fma_f32 v15, v180, v100, -v15 :: v_dual_add_f32 v9, v9, v29
	v_add_f32_e32 v11, v11, v13
	v_dual_mul_f32 v35, v184, v105 :: v_dual_mul_f32 v37, v186, v107
	s_wait_loadcnt_dscnt 0x803
	v_dual_mul_f32 v13, v195, v115 :: v_dual_fma_f32 v17, v182, v102, -v17
	v_dual_fmac_f32 v33, v183, v102 :: v_dual_add_f32 v9, v9, v31
	v_dual_add_f32 v11, v11, v15 :: v_dual_mul_f32 v15, v197, v117
	v_fmac_f32_e32 v35, v185, v104
	s_delay_alu instid0(VALU_DEP_3) | instskip(NEXT) | instid1(VALU_DEP_3)
	v_dual_fma_f32 v19, v184, v104, -v19 :: v_dual_add_f32 v9, v9, v33
	v_add_f32_e32 v11, v11, v17
	;; [unrolled: 9-line block ×4, first 2 shown]
	v_dual_mul_f32 v47, v196, v117 :: v_dual_mul_f32 v49, v198, v119
	s_wait_loadcnt 0x5
	v_dual_mul_f32 v25, v143, v127 :: v_dual_fma_f32 v13, v194, v114, -v13
	v_dual_fmac_f32 v45, v195, v114 :: v_dual_add_f32 v9, v9, v43
	v_dual_add_f32 v11, v11, v27 :: v_dual_mov_b32 v78, v129
	v_fmac_f32_e32 v47, v197, v116
	s_delay_alu instid0(VALU_DEP_3) | instskip(NEXT) | instid1(VALU_DEP_3)
	v_dual_fma_f32 v15, v196, v116, -v15 :: v_dual_add_f32 v9, v9, v45
	v_add_f32_e32 v11, v11, v13
	v_dual_mul_f32 v51, v200, v121 :: v_dual_mul_f32 v53, v202, v123
	s_delay_alu instid0(VALU_DEP_3) | instskip(NEXT) | instid1(VALU_DEP_3)
	v_dual_fmac_f32 v49, v199, v118 :: v_dual_add_f32 v9, v9, v47
	v_dual_fma_f32 v13, v198, v118, -v17 :: v_dual_add_f32 v11, v11, v15
	s_wait_loadcnt 0x4
	v_dual_mov_b32 v82, v133 :: v_dual_fma_f32 v15, v200, v120, -v19
	v_fmac_f32_e32 v51, v201, v120
	v_dual_add_f32 v9, v9, v49 :: v_dual_fmac_f32 v53, v203, v122
	v_add_f32_e32 v11, v11, v13
	v_dual_mul_f32 v221, v204, v125 :: v_dual_mul_f32 v223, v142, v127
	s_delay_alu instid0(VALU_DEP_3) | instskip(NEXT) | instid1(VALU_DEP_2)
	v_dual_fma_f32 v13, v202, v122, -v21 :: v_dual_add_f32 v9, v9, v51
	v_dual_add_f32 v11, v11, v15 :: v_dual_fmac_f32 v221, v205, v124
	v_fma_f32 v220, v204, v124, -v23
	v_pk_mul_f32 v[78:79], v[212:213], v[78:79] op_sel_hi:[1,0]
	s_delay_alu instid0(VALU_DEP_4)
	v_add_f32_e32 v87, v9, v53
	s_wait_loadcnt 0x3
	v_dual_add_f32 v86, v11, v13 :: v_dual_mov_b32 v88, v137
	v_pk_mul_f32 v[80:81], v[146:147], v[130:131] op_sel:[1,1] op_sel_hi:[0,1]
	v_dual_fmac_f32 v223, v143, v126 :: v_dual_fma_f32 v222, v142, v126, -v25
	v_pk_fma_f32 v[90:91], v[144:145], v[128:129], v[78:79] op_sel_hi:[1,0,1]
	s_delay_alu instid0(VALU_DEP_4)
	v_pk_add_f32 v[86:87], v[86:87], v[220:221]
	v_pk_fma_f32 v[78:79], v[144:145], v[128:129], v[78:79] neg_lo:[0,0,1] neg_hi:[0,0,1]
	v_pk_fma_f32 v[92:93], v[146:147], v[130:131], v[80:81] op_sel_hi:[1,0,1]
	v_pk_mul_f32 v[82:83], v[214:215], v[82:83] op_sel_hi:[1,0]
	v_mov_b32_e32 v79, v91
	v_pk_add_f32 v[86:87], v[86:87], v[222:223]
	v_pk_fma_f32 v[80:81], v[146:147], v[130:131], v[80:81] neg_lo:[0,0,1] neg_hi:[0,0,1]
	v_pk_mul_f32 v[84:85], v[150:151], v[134:135] op_sel:[1,1] op_sel_hi:[0,1]
	v_mov_b32_e32 v81, v93
	v_pk_fma_f32 v[92:93], v[148:149], v[132:133], v[82:83] op_sel_hi:[1,0,1]
	v_pk_add_f32 v[78:79], v[86:87], v[78:79]
	v_pk_fma_f32 v[82:83], v[148:149], v[132:133], v[82:83] neg_lo:[0,0,1] neg_hi:[0,0,1]
	v_pk_fma_f32 v[86:87], v[150:151], v[134:135], v[84:85] op_sel_hi:[1,0,1]
	v_pk_mul_f32 v[88:89], v[216:217], v[88:89] op_sel_hi:[1,0]
	v_mov_b32_e32 v83, v93
	v_pk_add_f32 v[78:79], v[78:79], v[80:81]
	v_pk_fma_f32 v[84:85], v[150:151], v[134:135], v[84:85] neg_lo:[0,0,1] neg_hi:[0,0,1]
	s_wait_loadcnt 0x2
	v_pk_mul_f32 v[90:91], v[154:155], v[138:139] op_sel:[1,1] op_sel_hi:[0,1]
	v_dual_mov_b32 v80, v141 :: v_dual_mov_b32 v85, v87
	v_pk_fma_f32 v[86:87], v[152:153], v[136:137], v[88:89] op_sel_hi:[1,0,1]
	v_pk_add_f32 v[78:79], v[78:79], v[82:83]
	v_pk_fma_f32 v[88:89], v[152:153], v[136:137], v[88:89] neg_lo:[0,0,1] neg_hi:[0,0,1]
	v_pk_fma_f32 v[82:83], v[154:155], v[138:139], v[90:91] op_sel_hi:[1,0,1]
	v_pk_mul_f32 v[80:81], v[218:219], v[80:81] op_sel_hi:[1,0]
	v_mov_b32_e32 v89, v87
	v_pk_add_f32 v[78:79], v[78:79], v[84:85]
	v_pk_fma_f32 v[84:85], v[154:155], v[138:139], v[90:91] neg_lo:[0,0,1] neg_hi:[0,0,1]
	v_mov_b32_e32 v85, v83
	v_pk_fma_f32 v[82:83], v[156:157], v[140:141], v[80:81] op_sel_hi:[1,0,1]
	s_wait_loadcnt_dscnt 0x100
	v_pk_mul_f32 v[86:87], v[210:211], v[206:207] op_sel:[1,1] op_sel_hi:[0,1]
	v_pk_add_f32 v[78:79], v[78:79], v[88:89]
	v_pk_fma_f32 v[80:81], v[156:157], v[140:141], v[80:81] neg_lo:[0,0,1] neg_hi:[0,0,1]
	v_mov_b32_e32 v81, v83
	s_delay_alu instid0(VALU_DEP_4) | instskip(NEXT) | instid1(VALU_DEP_4)
	v_pk_fma_f32 v[82:83], v[210:211], v[206:207], v[86:87] op_sel_hi:[1,0,1]
	v_pk_add_f32 v[78:79], v[78:79], v[84:85]
	v_pk_fma_f32 v[84:85], v[210:211], v[206:207], v[86:87] neg_lo:[0,0,1] neg_hi:[0,0,1]
	s_delay_alu instid0(VALU_DEP_3) | instskip(NEXT) | instid1(VALU_DEP_3)
	v_mov_b32_e32 v85, v83
	v_pk_add_f32 v[78:79], v[78:79], v[80:81]
	s_delay_alu instid0(VALU_DEP_1) | instskip(SKIP_1) | instid1(VALU_DEP_1)
	v_pk_add_f32 v[78:79], v[78:79], v[84:85]
	s_wait_loadcnt 0x0
	v_pk_add_f32 v[78:79], v[208:209], v[78:79] neg_lo:[0,1] neg_hi:[0,1]
	scratch_store_b64 off, v[78:79], off offset:32
	s_wait_xcnt 0x0
	v_cmpx_lt_u32_e32 3, v0
	s_cbranch_execz .LBB37_235
; %bb.234:
	scratch_load_b64 v[78:79], off, off offset:24
	v_mov_b64_e32 v[80:81], 0
	scratch_store_b64 off, v[80:81], off offset:24
	s_wait_loadcnt 0x0
	ds_store_b64 v1, v[78:79]
.LBB37_235:
	s_wait_xcnt 0x0
	s_or_b32 exec_lo, exec_lo, s0
	s_wait_storecnt_dscnt 0x0
	s_barrier_signal -1
	s_barrier_wait -1
	s_clause 0x11
	scratch_load_b128 v[78:81], off, off offset:32
	scratch_load_b128 v[82:85], off, off offset:48
	;; [unrolled: 1-line block ×17, first 2 shown]
	scratch_load_b64 v[214:215], off, off offset:24
	ds_load_b128 v[146:149], v5 offset:544
	ds_load_b128 v[150:153], v5 offset:560
	;; [unrolled: 1-line block ×17, first 2 shown]
	s_mov_b32 s0, exec_lo
	s_wait_dscnt 0x10
	v_dual_mov_b32 v216, v149 :: v_dual_mov_b32 v217, v148
	s_wait_dscnt 0xf
	v_dual_mov_b32 v218, v153 :: v_dual_mov_b32 v219, v152
	;; [unrolled: 2-line block ×4, first 2 shown]
	s_wait_loadcnt_dscnt 0x110b
	v_dual_mul_f32 v5, v166, v79 :: v_dual_mul_f32 v9, v168, v81
	v_dual_mul_f32 v55, v167, v79 :: v_dual_mul_f32 v57, v169, v81
	s_wait_loadcnt_dscnt 0x100a
	v_dual_mul_f32 v11, v170, v83 :: v_dual_mul_f32 v13, v172, v85
	s_delay_alu instid0(VALU_DEP_2) | instskip(SKIP_3) | instid1(VALU_DEP_3)
	v_dual_fmac_f32 v5, v167, v78 :: v_dual_fma_f32 v55, v166, v78, -v55
	v_dual_mul_f32 v59, v171, v83 :: v_dual_mul_f32 v61, v173, v85
	s_wait_loadcnt_dscnt 0xe08
	v_dual_mul_f32 v67, v179, v91 :: v_dual_fmac_f32 v9, v169, v80
	v_dual_fma_f32 v57, v168, v80, -v57 :: v_dual_add_f32 v5, 0, v5
	v_dual_add_f32 v55, 0, v55 :: v_dual_mul_f32 v69, v181, v93
	v_fmac_f32_e32 v11, v171, v82
	s_delay_alu instid0(VALU_DEP_3) | instskip(NEXT) | instid1(VALU_DEP_3)
	v_dual_fma_f32 v59, v170, v82, -v59 :: v_dual_add_f32 v5, v5, v9
	v_dual_add_f32 v9, v55, v57 :: v_dual_mul_f32 v15, v174, v87
	v_dual_mul_f32 v17, v176, v89 :: v_dual_mul_f32 v63, v175, v87
	v_dual_mul_f32 v65, v177, v89 :: v_dual_fma_f32 v57, v172, v84, -v61
	s_delay_alu instid0(VALU_DEP_4) | instskip(NEXT) | instid1(VALU_DEP_4)
	v_add_f32_e32 v5, v5, v11
	v_dual_add_f32 v9, v9, v59 :: v_dual_fmac_f32 v15, v175, v86
	s_wait_loadcnt_dscnt 0xd07
	v_dual_mul_f32 v55, v183, v95 :: v_dual_fmac_f32 v13, v173, v84
	v_dual_mul_f32 v11, v185, v97 :: v_dual_fma_f32 v59, v174, v86, -v63
	s_delay_alu instid0(VALU_DEP_3) | instskip(SKIP_1) | instid1(VALU_DEP_3)
	v_dual_add_f32 v9, v9, v57 :: v_dual_fma_f32 v57, v176, v88, -v65
	s_wait_loadcnt_dscnt 0xc06
	v_dual_add_f32 v5, v5, v13 :: v_dual_mul_f32 v13, v187, v99
	v_dual_mul_f32 v19, v178, v91 :: v_dual_mul_f32 v21, v180, v93
	s_delay_alu instid0(VALU_DEP_3) | instskip(SKIP_1) | instid1(VALU_DEP_4)
	v_add_f32_e32 v9, v9, v59
	v_fmac_f32_e32 v17, v177, v88
	v_dual_add_f32 v5, v5, v15 :: v_dual_fma_f32 v59, v178, v90, -v67
	v_dual_mul_f32 v23, v182, v95 :: v_dual_mul_f32 v25, v184, v97
	s_delay_alu instid0(VALU_DEP_4) | instskip(NEXT) | instid1(VALU_DEP_3)
	v_dual_add_f32 v9, v9, v57 :: v_dual_fma_f32 v55, v182, v94, -v55
	v_dual_fmac_f32 v19, v179, v90 :: v_dual_add_f32 v5, v5, v17
	s_delay_alu instid0(VALU_DEP_3) | instskip(NEXT) | instid1(VALU_DEP_3)
	v_dual_fmac_f32 v23, v183, v94 :: v_dual_fma_f32 v57, v180, v92, -v69
	v_dual_add_f32 v9, v9, v59 :: v_dual_fma_f32 v13, v186, v98, -v13
	v_dual_mul_f32 v27, v186, v99 :: v_dual_mul_f32 v29, v188, v101
	s_wait_loadcnt_dscnt 0xb05
	v_dual_mul_f32 v15, v189, v101 :: v_dual_mul_f32 v17, v191, v103
	s_delay_alu instid0(VALU_DEP_2) | instskip(SKIP_1) | instid1(VALU_DEP_3)
	v_dual_fmac_f32 v21, v181, v92 :: v_dual_fmac_f32 v27, v187, v98
	v_dual_add_f32 v5, v5, v19 :: v_dual_fma_f32 v11, v184, v96, -v11
	v_dual_add_f32 v9, v9, v57 :: v_dual_fma_f32 v15, v188, v100, -v15
	v_mul_f32_e32 v19, v193, v105
	s_wait_loadcnt_dscnt 0xa04
	s_delay_alu instid0(VALU_DEP_3) | instskip(NEXT) | instid1(VALU_DEP_3)
	v_dual_add_f32 v5, v5, v21 :: v_dual_mul_f32 v21, v195, v107
	v_add_f32_e32 v9, v9, v55
	s_wait_loadcnt_dscnt 0x903
	v_dual_mul_f32 v39, v198, v111 :: v_dual_mul_f32 v41, v200, v113
	s_delay_alu instid0(VALU_DEP_3) | instskip(NEXT) | instid1(VALU_DEP_3)
	v_dual_fma_f32 v19, v192, v104, -v19 :: v_dual_fma_f32 v21, v194, v106, -v21
	v_add_f32_e32 v9, v9, v11
	v_mul_f32_e32 v11, v199, v111
	v_dual_add_f32 v5, v5, v23 :: v_dual_fma_f32 v17, v190, v102, -v17
	s_delay_alu instid0(VALU_DEP_3) | instskip(NEXT) | instid1(VALU_DEP_3)
	v_dual_fmac_f32 v39, v199, v110 :: v_dual_add_f32 v9, v9, v13
	v_dual_mul_f32 v13, v201, v113 :: v_dual_fma_f32 v11, v198, v110, -v11
	v_dual_mul_f32 v31, v190, v103 :: v_dual_mul_f32 v33, v192, v105
	s_delay_alu instid0(VALU_DEP_2) | instskip(NEXT) | instid1(VALU_DEP_2)
	v_dual_add_f32 v9, v9, v15 :: v_dual_fma_f32 v13, v200, v112, -v13
	v_dual_fmac_f32 v25, v185, v96 :: v_dual_fmac_f32 v31, v191, v102
	v_dual_mul_f32 v35, v194, v107 :: v_dual_mul_f32 v37, v196, v109
	s_wait_loadcnt_dscnt 0x701
	s_delay_alu instid0(VALU_DEP_3) | instskip(SKIP_3) | instid1(VALU_DEP_4)
	v_dual_add_f32 v9, v9, v17 :: v_dual_mul_f32 v47, v206, v119
	v_mul_f32_e32 v49, v208, v121
	v_dual_mul_f32 v23, v197, v109 :: v_dual_mul_f32 v15, v203, v115
	v_dual_add_f32 v5, v5, v25 :: v_dual_fmac_f32 v35, v195, v106
	v_dual_add_f32 v9, v9, v19 :: v_dual_fmac_f32 v47, v207, v118
	s_wait_loadcnt_dscnt 0x600
	v_dual_mul_f32 v51, v210, v123 :: v_dual_mul_f32 v53, v212, v125
	v_dual_fmac_f32 v29, v189, v100 :: v_dual_mul_f32 v19, v207, v119
	v_dual_add_f32 v5, v5, v27 :: v_dual_fma_f32 v23, v196, v108, -v23
	s_delay_alu instid0(VALU_DEP_3) | instskip(SKIP_1) | instid1(VALU_DEP_3)
	v_dual_add_f32 v9, v9, v21 :: v_dual_fmac_f32 v51, v211, v122
	v_dual_mul_f32 v43, v202, v115 :: v_dual_mul_f32 v45, v204, v117
	v_add_f32_e32 v5, v5, v29
	s_delay_alu instid0(VALU_DEP_3) | instskip(NEXT) | instid1(VALU_DEP_3)
	v_add_f32_e32 v9, v9, v23
	v_dual_fmac_f32 v33, v193, v104 :: v_dual_fmac_f32 v43, v203, v114
	v_mul_f32_e32 v23, v211, v123
	s_delay_alu instid0(VALU_DEP_4) | instskip(NEXT) | instid1(VALU_DEP_4)
	v_dual_add_f32 v5, v5, v31 :: v_dual_fma_f32 v15, v202, v114, -v15
	v_add_f32_e32 v9, v9, v11
	v_dual_mul_f32 v17, v205, v117 :: v_dual_fmac_f32 v45, v205, v116
	s_delay_alu instid0(VALU_DEP_3) | instskip(SKIP_1) | instid1(VALU_DEP_4)
	v_add_f32_e32 v5, v5, v33
	v_dual_fmac_f32 v37, v197, v108 :: v_dual_fma_f32 v19, v206, v118, -v19
	v_add_f32_e32 v9, v9, v13
	v_dual_mul_f32 v21, v209, v121 :: v_dual_fmac_f32 v49, v209, v120
	s_delay_alu instid0(VALU_DEP_4) | instskip(NEXT) | instid1(VALU_DEP_3)
	v_dual_fma_f32 v17, v204, v116, -v17 :: v_dual_add_f32 v5, v5, v35
	v_add_f32_e32 v9, v9, v15
	s_wait_loadcnt 0x5
	v_dual_mul_f32 v225, v162, v127 :: v_dual_mul_f32 v227, v164, v129
	v_fmac_f32_e32 v41, v201, v112
	v_mul_f32_e32 v15, v165, v129
	v_dual_add_f32 v9, v9, v17 :: v_dual_fma_f32 v17, v208, v120, -v21
	s_delay_alu instid0(VALU_DEP_4) | instskip(SKIP_1) | instid1(VALU_DEP_3)
	v_dual_add_f32 v5, v5, v37 :: v_dual_fmac_f32 v225, v163, v126
	v_fmac_f32_e32 v227, v165, v128
	v_dual_add_f32 v9, v9, v19 :: v_dual_fma_f32 v19, v210, v122, -v23
	s_delay_alu instid0(VALU_DEP_3) | instskip(SKIP_1) | instid1(VALU_DEP_3)
	v_dual_add_f32 v5, v5, v39 :: v_dual_fma_f32 v226, v164, v128, -v15
	v_dual_mul_f32 v11, v213, v125 :: v_dual_fmac_f32 v53, v213, v124
	v_add_f32_e32 v9, v9, v17
	s_delay_alu instid0(VALU_DEP_3) | instskip(NEXT) | instid1(VALU_DEP_3)
	v_dual_add_f32 v5, v5, v41 :: v_dual_mul_f32 v13, v163, v127
	v_fma_f32 v11, v212, v124, -v11
	s_wait_loadcnt 0x4
	v_pk_mul_f32 v[78:79], v[146:147], v[130:131] op_sel:[1,1] op_sel_hi:[0,1]
	v_add_f32_e32 v9, v9, v19
	v_add_f32_e32 v5, v5, v43
	s_wait_loadcnt 0x3
	v_dual_mov_b32 v80, v133 :: v_dual_mov_b32 v84, v137
	s_delay_alu instid0(VALU_DEP_3) | instskip(NEXT) | instid1(VALU_DEP_3)
	v_dual_fma_f32 v224, v162, v126, -v13 :: v_dual_add_f32 v86, v9, v11
	v_add_f32_e32 v5, v5, v45
	v_pk_fma_f32 v[88:89], v[146:147], v[130:131], v[78:79] op_sel_hi:[1,0,1]
	s_delay_alu instid0(VALU_DEP_4)
	v_pk_mul_f32 v[80:81], v[216:217], v[80:81] op_sel_hi:[1,0]
	v_pk_fma_f32 v[78:79], v[146:147], v[130:131], v[78:79] neg_lo:[0,0,1] neg_hi:[0,0,1]
	v_pk_mul_f32 v[82:83], v[150:151], v[134:135] op_sel:[1,1] op_sel_hi:[0,1]
	v_add_f32_e32 v5, v5, v47
	v_mov_b32_e32 v79, v89
	v_pk_fma_f32 v[88:89], v[148:149], v[132:133], v[80:81] op_sel_hi:[1,0,1]
	v_pk_fma_f32 v[80:81], v[148:149], v[132:133], v[80:81] neg_lo:[0,0,1] neg_hi:[0,0,1]
	v_pk_fma_f32 v[92:93], v[150:151], v[134:135], v[82:83] op_sel_hi:[1,0,1]
	v_add_f32_e32 v5, v5, v49
	v_pk_mul_f32 v[84:85], v[218:219], v[84:85] op_sel_hi:[1,0]
	v_mov_b32_e32 v81, v89
	s_wait_loadcnt 0x2
	v_pk_mul_f32 v[90:91], v[154:155], v[138:139] op_sel:[1,1] op_sel_hi:[0,1]
	v_pk_fma_f32 v[82:83], v[150:151], v[134:135], v[82:83] neg_lo:[0,0,1] neg_hi:[0,0,1]
	v_add_f32_e32 v5, v5, v51
	v_mov_b32_e32 v83, v93
	v_pk_fma_f32 v[88:89], v[152:153], v[136:137], v[84:85] op_sel_hi:[1,0,1]
	v_pk_fma_f32 v[84:85], v[152:153], v[136:137], v[84:85] neg_lo:[0,0,1] neg_hi:[0,0,1]
	s_delay_alu instid0(VALU_DEP_4) | instskip(NEXT) | instid1(VALU_DEP_1)
	v_add_f32_e32 v87, v5, v53
	v_pk_add_f32 v[86:87], v[86:87], v[224:225]
	s_delay_alu instid0(VALU_DEP_1) | instskip(NEXT) | instid1(VALU_DEP_1)
	v_pk_add_f32 v[86:87], v[86:87], v[226:227]
	v_pk_add_f32 v[78:79], v[86:87], v[78:79]
	v_mov_b32_e32 v86, v141
	s_delay_alu instid0(VALU_DEP_2) | instskip(SKIP_1) | instid1(VALU_DEP_3)
	v_pk_add_f32 v[78:79], v[78:79], v[80:81]
	v_pk_fma_f32 v[80:81], v[154:155], v[138:139], v[90:91] op_sel_hi:[1,0,1]
	v_pk_mul_f32 v[86:87], v[220:221], v[86:87] op_sel_hi:[1,0]
	v_mov_b32_e32 v85, v89
	v_pk_fma_f32 v[88:89], v[154:155], v[138:139], v[90:91] neg_lo:[0,0,1] neg_hi:[0,0,1]
	v_pk_add_f32 v[78:79], v[78:79], v[82:83]
	v_mov_b32_e32 v89, v81
	v_pk_fma_f32 v[80:81], v[156:157], v[140:141], v[86:87] op_sel_hi:[1,0,1]
	s_wait_loadcnt 0x1
	v_pk_mul_f32 v[82:83], v[158:159], v[142:143] op_sel:[1,1] op_sel_hi:[0,1]
	v_mov_b32_e32 v80, v145
	v_pk_add_f32 v[78:79], v[78:79], v[84:85]
	v_pk_fma_f32 v[86:87], v[156:157], v[140:141], v[86:87] neg_lo:[0,0,1] neg_hi:[0,0,1]
	v_mov_b32_e32 v87, v81
	v_pk_fma_f32 v[84:85], v[158:159], v[142:143], v[82:83] op_sel_hi:[1,0,1]
	v_pk_mul_f32 v[80:81], v[222:223], v[80:81] op_sel_hi:[1,0]
	v_pk_add_f32 v[78:79], v[78:79], v[88:89]
	v_pk_fma_f32 v[82:83], v[158:159], v[142:143], v[82:83] neg_lo:[0,0,1] neg_hi:[0,0,1]
	s_delay_alu instid0(VALU_DEP_4) | instskip(NEXT) | instid1(VALU_DEP_4)
	v_mov_b32_e32 v83, v85
	v_pk_fma_f32 v[84:85], v[160:161], v[144:145], v[80:81] op_sel_hi:[1,0,1]
	s_delay_alu instid0(VALU_DEP_4) | instskip(SKIP_1) | instid1(VALU_DEP_3)
	v_pk_add_f32 v[78:79], v[78:79], v[86:87]
	v_pk_fma_f32 v[80:81], v[160:161], v[144:145], v[80:81] neg_lo:[0,0,1] neg_hi:[0,0,1]
	v_mov_b32_e32 v81, v85
	s_delay_alu instid0(VALU_DEP_3) | instskip(NEXT) | instid1(VALU_DEP_1)
	v_pk_add_f32 v[78:79], v[78:79], v[82:83]
	v_pk_add_f32 v[78:79], v[78:79], v[80:81]
	s_wait_loadcnt 0x0
	s_delay_alu instid0(VALU_DEP_1)
	v_pk_add_f32 v[78:79], v[214:215], v[78:79] neg_lo:[0,1] neg_hi:[0,1]
	scratch_store_b64 off, v[78:79], off offset:24
	s_wait_xcnt 0x0
	v_cmpx_lt_u32_e32 2, v0
	s_cbranch_execz .LBB37_237
; %bb.236:
	scratch_load_b64 v[78:79], off, off offset:16
	v_mov_b64_e32 v[80:81], 0
	scratch_store_b64 off, v[80:81], off offset:16
	s_wait_loadcnt 0x0
	ds_store_b64 v1, v[78:79]
.LBB37_237:
	s_wait_xcnt 0x0
	s_or_b32 exec_lo, exec_lo, s0
	s_wait_storecnt_dscnt 0x0
	s_barrier_signal -1
	s_barrier_wait -1
	s_clause 0x12
	scratch_load_b128 v[78:81], off, off offset:24
	scratch_load_b128 v[82:85], off, off offset:40
	;; [unrolled: 1-line block ×17, first 2 shown]
	scratch_load_b64 v[214:215], off, off offset:296
	scratch_load_b64 v[216:217], off, off offset:16
	v_mov_b32_e32 v57, 0
	ds_load_2addr_b64 v[146:149], v57 offset0:67 offset1:68
	ds_load_2addr_b64 v[150:153], v57 offset0:69 offset1:70
	;; [unrolled: 1-line block ×17, first 2 shown]
	ds_load_b64 v[218:219], v57 offset:600
	s_mov_b32 s0, exec_lo
	s_wait_dscnt 0x11
	v_dual_mov_b32 v220, v149 :: v_dual_mov_b32 v221, v148
	s_wait_dscnt 0x10
	v_dual_mov_b32 v222, v153 :: v_dual_mov_b32 v223, v152
	;; [unrolled: 2-line block ×3, first 2 shown]
	v_dual_mov_b32 v225, v156 :: v_dual_mov_b32 v226, v165
	s_wait_loadcnt_dscnt 0x120c
	v_dual_mul_f32 v5, v166, v79 :: v_dual_mul_f32 v59, v167, v79
	v_dual_mul_f32 v61, v169, v81 :: v_dual_mul_f32 v9, v168, v81
	s_wait_loadcnt_dscnt 0x110b
	v_mul_f32_e32 v11, v170, v83
	s_wait_loadcnt_dscnt 0xf09
	v_dual_mul_f32 v71, v179, v91 :: v_dual_fma_f32 v59, v166, v78, -v59
	v_dual_fmac_f32 v5, v167, v78 :: v_dual_mul_f32 v73, v181, v93
	v_dual_mul_f32 v63, v171, v83 :: v_dual_mul_f32 v65, v173, v85
	s_delay_alu instid0(VALU_DEP_2) | instskip(NEXT) | instid1(VALU_DEP_4)
	v_dual_fmac_f32 v9, v169, v80 :: v_dual_add_f32 v5, 0, v5
	v_dual_fma_f32 v61, v168, v80, -v61 :: v_dual_add_f32 v59, 0, v59
	v_dual_mul_f32 v13, v172, v85 :: v_dual_mul_f32 v15, v174, v87
	s_wait_loadcnt_dscnt 0xe08
	v_dual_mul_f32 v75, v183, v95 :: v_dual_fma_f32 v63, v170, v82, -v63
	v_dual_fmac_f32 v11, v171, v82 :: v_dual_add_f32 v5, v5, v9
	s_delay_alu instid0(VALU_DEP_3) | instskip(SKIP_2) | instid1(VALU_DEP_2)
	v_dual_add_f32 v9, v59, v61 :: v_dual_fmac_f32 v13, v173, v84
	v_dual_mul_f32 v67, v175, v87 :: v_dual_mul_f32 v69, v177, v89
	v_dual_mul_f32 v59, v185, v97 :: v_dual_fma_f32 v61, v172, v84, -v65
	v_dual_add_f32 v9, v9, v63 :: v_dual_fma_f32 v63, v174, v86, -v67
	v_dual_add_f32 v5, v5, v11 :: v_dual_fmac_f32 v15, v175, v86
	s_wait_loadcnt_dscnt 0xd07
	s_delay_alu instid0(VALU_DEP_2) | instskip(NEXT) | instid1(VALU_DEP_2)
	v_dual_mul_f32 v11, v187, v99 :: v_dual_add_f32 v9, v9, v61
	v_dual_fma_f32 v61, v176, v88, -v69 :: v_dual_add_f32 v5, v5, v13
	v_dual_mul_f32 v17, v176, v89 :: v_dual_mul_f32 v19, v178, v91
	s_delay_alu instid0(VALU_DEP_3) | instskip(SKIP_1) | instid1(VALU_DEP_4)
	v_dual_add_f32 v9, v9, v63 :: v_dual_mul_f32 v21, v180, v93
	v_mul_f32_e32 v23, v182, v95
	v_dual_add_f32 v5, v5, v15 :: v_dual_fma_f32 v63, v178, v90, -v71
	s_delay_alu instid0(VALU_DEP_3) | instskip(SKIP_3) | instid1(VALU_DEP_3)
	v_add_f32_e32 v9, v9, v61
	v_dual_mul_f32 v25, v184, v97 :: v_dual_mul_f32 v27, v186, v99
	v_dual_fmac_f32 v17, v177, v88 :: v_dual_fmac_f32 v19, v179, v90
	v_dual_fma_f32 v61, v180, v92, -v73 :: v_dual_fmac_f32 v23, v183, v94
	v_dual_add_f32 v9, v9, v63 :: v_dual_fmac_f32 v27, v187, v98
	s_wait_loadcnt_dscnt 0xc06
	v_dual_mul_f32 v13, v189, v101 :: v_dual_mul_f32 v15, v191, v103
	v_add_f32_e32 v5, v5, v17
	v_dual_mul_f32 v17, v193, v105 :: v_dual_fma_f32 v63, v182, v94, -v75
	s_delay_alu instid0(VALU_DEP_3) | instskip(SKIP_1) | instid1(VALU_DEP_4)
	v_dual_add_f32 v9, v9, v61 :: v_dual_fma_f32 v13, v188, v100, -v13
	v_fmac_f32_e32 v21, v181, v92
	v_dual_add_f32 v5, v5, v19 :: v_dual_fma_f32 v59, v184, v96, -v59
	s_delay_alu instid0(VALU_DEP_3) | instskip(SKIP_2) | instid1(VALU_DEP_3)
	v_dual_add_f32 v9, v9, v63 :: v_dual_fma_f32 v17, v192, v104, -v17
	s_wait_loadcnt_dscnt 0xb05
	v_dual_mul_f32 v33, v192, v105 :: v_dual_mul_f32 v35, v194, v107
	v_dual_add_f32 v5, v5, v21 :: v_dual_fma_f32 v11, v186, v98, -v11
	s_delay_alu instid0(VALU_DEP_3) | instskip(SKIP_4) | instid1(VALU_DEP_3)
	v_dual_add_f32 v9, v9, v59 :: v_dual_mul_f32 v29, v188, v101
	v_dual_mul_f32 v31, v190, v103 :: v_dual_mul_f32 v37, v196, v109
	s_wait_loadcnt_dscnt 0xa04
	v_mul_f32_e32 v39, v198, v111
	v_dual_mul_f32 v19, v195, v107 :: v_dual_fmac_f32 v25, v185, v96
	v_dual_fmac_f32 v31, v191, v102 :: v_dual_add_f32 v5, v5, v23
	v_fma_f32 v15, v190, v102, -v15
	v_dual_fmac_f32 v35, v195, v106 :: v_dual_add_f32 v9, v9, v11
	s_delay_alu instid0(VALU_DEP_3) | instskip(SKIP_1) | instid1(VALU_DEP_3)
	v_dual_fmac_f32 v39, v199, v110 :: v_dual_add_f32 v5, v5, v25
	v_dual_mul_f32 v25, v201, v113 :: v_dual_fma_f32 v19, v194, v106, -v19
	v_add_f32_e32 v9, v9, v13
	s_wait_loadcnt_dscnt 0x903
	v_dual_mul_f32 v13, v205, v117 :: v_dual_mul_f32 v45, v204, v117
	s_wait_loadcnt_dscnt 0x802
	v_dual_mul_f32 v47, v206, v119 :: v_dual_fma_f32 v25, v200, v112, -v25
	v_add_f32_e32 v9, v9, v15
	v_dual_mul_f32 v21, v197, v109 :: v_dual_mul_f32 v11, v203, v115
	v_dual_mul_f32 v23, v199, v111 :: v_dual_fmac_f32 v29, v189, v100
	s_delay_alu instid0(VALU_DEP_3) | instskip(SKIP_1) | instid1(VALU_DEP_4)
	v_dual_add_f32 v9, v9, v17 :: v_dual_fmac_f32 v47, v207, v118
	v_mul_f32_e32 v15, v207, v119
	v_dual_add_f32 v5, v5, v27 :: v_dual_fma_f32 v21, v196, v108, -v21
	s_wait_loadcnt_dscnt 0x701
	s_delay_alu instid0(VALU_DEP_3) | instskip(SKIP_3) | instid1(VALU_DEP_3)
	v_dual_add_f32 v9, v9, v19 :: v_dual_mul_f32 v53, v212, v125
	s_wait_loadcnt 0x6
	v_mul_f32_e32 v55, v158, v127
	v_dual_mul_f32 v19, v211, v123 :: v_dual_add_f32 v5, v5, v29
	v_dual_fma_f32 v23, v198, v110, -v23 :: v_dual_add_f32 v9, v9, v21
	s_wait_loadcnt 0x5
	s_delay_alu instid0(VALU_DEP_3)
	v_dual_fmac_f32 v55, v159, v126 :: v_dual_mov_b32 v78, v133
	s_wait_loadcnt 0x4
	v_dual_mov_b32 v82, v137 :: v_dual_mul_f32 v229, v160, v129
	v_mul_f32_e32 v231, v146, v131
	v_add_f32_e32 v9, v9, v23
	v_pk_mul_f32 v[78:79], v[220:221], v[78:79] op_sel_hi:[1,0]
	v_dual_mul_f32 v41, v200, v113 :: v_dual_mul_f32 v43, v202, v115
	v_fmac_f32_e32 v33, v193, v104
	v_dual_add_f32 v5, v5, v31 :: v_dual_fma_f32 v11, v202, v114, -v11
	v_fmac_f32_e32 v231, v147, v130
	v_pk_fma_f32 v[90:91], v[148:149], v[132:133], v[78:79] op_sel_hi:[1,0,1]
	v_add_f32_e32 v9, v9, v25
	v_pk_fma_f32 v[78:79], v[148:149], v[132:133], v[78:79] neg_lo:[0,0,1] neg_hi:[0,0,1]
	v_mul_f32_e32 v23, v159, v127
	v_dual_fmac_f32 v43, v203, v114 :: v_dual_add_f32 v5, v5, v33
	v_dual_fma_f32 v13, v204, v116, -v13 :: v_dual_mov_b32 v79, v91
	v_dual_add_f32 v9, v9, v11 :: v_dual_mul_f32 v49, v208, v121
	v_dual_mul_f32 v51, v210, v123 :: v_dual_mul_f32 v17, v209, v121
	v_dual_fma_f32 v15, v206, v118, -v15 :: v_dual_fmac_f32 v37, v197, v108
	v_mul_f32_e32 v11, v147, v131
	v_add_f32_e32 v5, v5, v35
	v_add_f32_e32 v9, v9, v13
	v_dual_mul_f32 v21, v213, v125 :: v_dual_fmac_f32 v53, v213, v124
	v_dual_fma_f32 v13, v208, v120, -v17 :: v_dual_fmac_f32 v51, v211, v122
	s_delay_alu instid0(VALU_DEP_4) | instskip(NEXT) | instid1(VALU_DEP_4)
	v_add_f32_e32 v5, v5, v37
	v_add_f32_e32 v9, v9, v15
	v_fmac_f32_e32 v41, v201, v112
	v_dual_mul_f32 v25, v161, v129 :: v_dual_fmac_f32 v229, v161, v128
	s_delay_alu instid0(VALU_DEP_3) | instskip(SKIP_1) | instid1(VALU_DEP_3)
	v_dual_fma_f32 v15, v210, v122, -v19 :: v_dual_add_f32 v9, v9, v13
	v_dual_fma_f32 v13, v212, v124, -v21 :: v_dual_add_f32 v5, v5, v39
	v_fma_f32 v228, v160, v128, -v25
	v_fmac_f32_e32 v45, v205, v116
	s_delay_alu instid0(VALU_DEP_4) | instskip(NEXT) | instid1(VALU_DEP_4)
	v_dual_add_f32 v9, v9, v15 :: v_dual_fma_f32 v15, v158, v126, -v23
	v_dual_add_f32 v5, v5, v41 :: v_dual_fma_f32 v230, v146, v130, -v11
	v_fmac_f32_e32 v49, v209, v120
	s_delay_alu instid0(VALU_DEP_3) | instskip(SKIP_1) | instid1(VALU_DEP_4)
	v_add_f32_e32 v9, v9, v13
	v_pk_mul_f32 v[80:81], v[150:151], v[134:135] op_sel:[1,1] op_sel_hi:[0,1]
	v_add_f32_e32 v5, v5, v43
	v_pk_mul_f32 v[82:83], v[222:223], v[82:83] op_sel_hi:[1,0]
	s_wait_loadcnt 0x3
	v_pk_mul_f32 v[84:85], v[154:155], v[138:139] op_sel:[1,1] op_sel_hi:[0,1]
	v_add_f32_e32 v86, v9, v15
	v_pk_fma_f32 v[92:93], v[150:151], v[134:135], v[80:81] op_sel_hi:[1,0,1]
	v_add_f32_e32 v5, v5, v45
	v_pk_fma_f32 v[80:81], v[150:151], v[134:135], v[80:81] neg_lo:[0,0,1] neg_hi:[0,0,1]
	v_mov_b32_e32 v88, v141
	s_wait_loadcnt 0x2
	v_pk_mul_f32 v[90:91], v[162:163], v[142:143] op_sel:[1,1] op_sel_hi:[0,1]
	v_mov_b32_e32 v81, v93
	v_add_f32_e32 v5, v5, v47
	v_pk_fma_f32 v[92:93], v[152:153], v[136:137], v[82:83] op_sel_hi:[1,0,1]
	v_pk_fma_f32 v[82:83], v[152:153], v[136:137], v[82:83] neg_lo:[0,0,1] neg_hi:[0,0,1]
	v_pk_mul_f32 v[88:89], v[224:225], v[88:89] op_sel_hi:[1,0]
	s_delay_alu instid0(VALU_DEP_4) | instskip(NEXT) | instid1(VALU_DEP_4)
	v_add_f32_e32 v5, v5, v49
	v_mov_b32_e32 v83, v93
	s_delay_alu instid0(VALU_DEP_2) | instskip(NEXT) | instid1(VALU_DEP_1)
	v_add_f32_e32 v5, v5, v51
	v_add_f32_e32 v5, v5, v53
	s_delay_alu instid0(VALU_DEP_1) | instskip(NEXT) | instid1(VALU_DEP_1)
	v_add_f32_e32 v87, v5, v55
	v_pk_add_f32 v[86:87], v[86:87], v[228:229]
	s_delay_alu instid0(VALU_DEP_1) | instskip(NEXT) | instid1(VALU_DEP_1)
	v_pk_add_f32 v[86:87], v[86:87], v[230:231]
	v_pk_add_f32 v[78:79], v[86:87], v[78:79]
	v_pk_fma_f32 v[86:87], v[154:155], v[138:139], v[84:85] op_sel_hi:[1,0,1]
	v_pk_fma_f32 v[84:85], v[154:155], v[138:139], v[84:85] neg_lo:[0,0,1] neg_hi:[0,0,1]
	s_delay_alu instid0(VALU_DEP_3) | instskip(NEXT) | instid1(VALU_DEP_3)
	v_pk_add_f32 v[78:79], v[78:79], v[80:81]
	v_dual_mov_b32 v80, v145 :: v_dual_mov_b32 v85, v87
	v_pk_fma_f32 v[86:87], v[156:157], v[140:141], v[88:89] op_sel_hi:[1,0,1]
	v_pk_fma_f32 v[88:89], v[156:157], v[140:141], v[88:89] neg_lo:[0,0,1] neg_hi:[0,0,1]
	s_delay_alu instid0(VALU_DEP_4)
	v_pk_add_f32 v[78:79], v[78:79], v[82:83]
	v_pk_fma_f32 v[82:83], v[162:163], v[142:143], v[90:91] op_sel_hi:[1,0,1]
	v_pk_mul_f32 v[80:81], v[226:227], v[80:81] op_sel_hi:[1,0]
	v_mov_b32_e32 v89, v87
	s_wait_loadcnt_dscnt 0x100
	v_pk_mul_f32 v[86:87], v[218:219], v[214:215] op_sel:[1,1] op_sel_hi:[0,1]
	v_pk_add_f32 v[78:79], v[78:79], v[84:85]
	v_pk_fma_f32 v[84:85], v[162:163], v[142:143], v[90:91] neg_lo:[0,0,1] neg_hi:[0,0,1]
	v_mov_b32_e32 v85, v83
	v_pk_fma_f32 v[82:83], v[164:165], v[144:145], v[80:81] op_sel_hi:[1,0,1]
	v_pk_fma_f32 v[80:81], v[164:165], v[144:145], v[80:81] neg_lo:[0,0,1] neg_hi:[0,0,1]
	v_pk_add_f32 v[78:79], v[78:79], v[88:89]
	s_delay_alu instid0(VALU_DEP_3) | instskip(SKIP_1) | instid1(VALU_DEP_3)
	v_mov_b32_e32 v81, v83
	v_pk_fma_f32 v[82:83], v[218:219], v[214:215], v[86:87] op_sel_hi:[1,0,1]
	v_pk_add_f32 v[78:79], v[78:79], v[84:85]
	v_pk_fma_f32 v[84:85], v[218:219], v[214:215], v[86:87] neg_lo:[0,0,1] neg_hi:[0,0,1]
	s_delay_alu instid0(VALU_DEP_3) | instskip(NEXT) | instid1(VALU_DEP_3)
	v_mov_b32_e32 v85, v83
	v_pk_add_f32 v[78:79], v[78:79], v[80:81]
	s_delay_alu instid0(VALU_DEP_1) | instskip(SKIP_1) | instid1(VALU_DEP_1)
	v_pk_add_f32 v[78:79], v[78:79], v[84:85]
	s_wait_loadcnt 0x0
	v_pk_add_f32 v[78:79], v[216:217], v[78:79] neg_lo:[0,1] neg_hi:[0,1]
	scratch_store_b64 off, v[78:79], off offset:16
	s_wait_xcnt 0x0
	v_cmpx_lt_u32_e32 1, v0
	s_cbranch_execz .LBB37_239
; %bb.238:
	scratch_load_b64 v[78:79], off, off offset:8
	v_mov_b64_e32 v[80:81], 0
	scratch_store_b64 off, v[80:81], off offset:8
	s_wait_loadcnt 0x0
	ds_store_b64 v1, v[78:79]
.LBB37_239:
	s_wait_xcnt 0x0
	s_or_b32 exec_lo, exec_lo, s0
	s_wait_storecnt_dscnt 0x0
	s_barrier_signal -1
	s_barrier_wait -1
	s_clause 0x12
	scratch_load_b128 v[78:81], off, off offset:16
	scratch_load_b128 v[82:85], off, off offset:32
	;; [unrolled: 1-line block ×18, first 2 shown]
	scratch_load_b64 v[222:223], off, off offset:8
	ds_load_b128 v[150:153], v57 offset:544
	ds_load_b128 v[154:157], v57 offset:560
	;; [unrolled: 1-line block ×18, first 2 shown]
	v_ashrrev_i32_e32 v53, 31, v52
	v_dual_ashrrev_i32 v5, 31, v4 :: v_dual_ashrrev_i32 v11, 31, v10
	v_dual_ashrrev_i32 v9, 31, v8 :: v_dual_ashrrev_i32 v15, 31, v14
	s_wait_dscnt 0xe
	v_dual_mov_b32 v231, v164 :: v_dual_mov_b32 v229, v160
	v_dual_mov_b32 v230, v165 :: v_dual_ashrrev_i32 v13, 31, v12
	v_dual_ashrrev_i32 v19, 31, v18 :: v_dual_ashrrev_i32 v17, 31, v16
	v_dual_mov_b32 v228, v161 :: v_dual_ashrrev_i32 v23, 31, v22
	v_dual_ashrrev_i32 v21, 31, v20 :: v_dual_ashrrev_i32 v27, 31, v26
	v_dual_ashrrev_i32 v25, 31, v24 :: v_dual_ashrrev_i32 v31, 31, v30
	v_dual_mov_b32 v224, v153 :: v_dual_mov_b32 v225, v152
	v_dual_mov_b32 v226, v157 :: v_dual_mov_b32 v227, v156
	v_dual_ashrrev_i32 v29, 31, v28 :: v_dual_ashrrev_i32 v35, 31, v34
	v_dual_ashrrev_i32 v33, 31, v32 :: v_dual_ashrrev_i32 v39, 31, v38
	;; [unrolled: 1-line block ×6, first 2 shown]
	s_mov_b32 s0, exec_lo
	s_wait_loadcnt_dscnt 0x120d
	v_dual_mul_f32 v57, v166, v79 :: v_dual_mul_f32 v59, v168, v81
	s_wait_loadcnt_dscnt 0x110c
	v_dual_mul_f32 v61, v170, v83 :: v_dual_mul_f32 v81, v169, v81
	;; [unrolled: 2-line block ×3, first 2 shown]
	v_dual_mul_f32 v79, v167, v79 :: v_dual_fmac_f32 v57, v167, v78
	s_delay_alu instid0(VALU_DEP_3) | instskip(SKIP_1) | instid1(VALU_DEP_3)
	v_dual_fmac_f32 v59, v169, v80 :: v_dual_fmac_f32 v61, v171, v82
	s_wait_loadcnt_dscnt 0x803
	v_dual_fmac_f32 v63, v173, v84 :: v_dual_mul_f32 v242, v208, v121
	s_wait_loadcnt_dscnt 0x702
	v_mul_f32_e32 v243, v210, v123
	v_dual_fma_f32 v78, v166, v78, -v79 :: v_dual_fma_f32 v80, v168, v80, -v81
	s_wait_loadcnt_dscnt 0x601
	v_dual_mul_f32 v168, v216, v129 :: v_dual_mul_f32 v81, v171, v83
	s_wait_loadcnt_dscnt 0x500
	v_dual_mul_f32 v83, v173, v85 :: v_dual_mul_f32 v79, v218, v131
	v_dual_add_f32 v57, 0, v57 :: v_dual_add_f32 v78, 0, v78
	s_delay_alu instid0(VALU_DEP_2) | instskip(SKIP_1) | instid1(VALU_DEP_3)
	v_dual_fma_f32 v82, v170, v82, -v81 :: v_dual_fma_f32 v83, v172, v84, -v83
	v_mul_f32_e32 v85, v177, v89
	v_dual_add_f32 v57, v57, v59 :: v_dual_add_f32 v59, v78, v80
	v_dual_mul_f32 v81, v220, v133 :: v_dual_mul_f32 v84, v175, v87
	v_dual_mul_f32 v67, v176, v89 :: v_dual_mul_f32 v69, v178, v91
	s_delay_alu instid0(VALU_DEP_3) | instskip(NEXT) | instid1(VALU_DEP_4)
	v_add_f32_e32 v59, v59, v82
	v_dual_mul_f32 v87, v183, v95 :: v_dual_add_f32 v57, v57, v61
	v_dual_mul_f32 v61, v185, v97 :: v_dual_fmac_f32 v65, v175, v86
	s_delay_alu instid0(VALU_DEP_3) | instskip(SKIP_1) | instid1(VALU_DEP_4)
	v_dual_fma_f32 v82, v174, v86, -v84 :: v_dual_add_f32 v59, v59, v83
	v_fmac_f32_e32 v67, v177, v88
	v_add_f32_e32 v57, v57, v63
	v_dual_mul_f32 v78, v179, v91 :: v_dual_mul_f32 v80, v181, v93
	v_dual_mul_f32 v63, v187, v99 :: v_dual_fma_f32 v83, v176, v88, -v85
	s_delay_alu instid0(VALU_DEP_3) | instskip(SKIP_2) | instid1(VALU_DEP_3)
	v_dual_add_f32 v57, v57, v65 :: v_dual_add_f32 v59, v59, v82
	v_dual_mul_f32 v71, v180, v93 :: v_dual_mul_f32 v73, v182, v95
	v_dual_mul_f32 v65, v189, v101 :: v_dual_fmac_f32 v69, v179, v90
	v_dual_fma_f32 v78, v178, v90, -v78 :: v_dual_add_f32 v57, v57, v67
	s_delay_alu instid0(VALU_DEP_3) | instskip(SKIP_1) | instid1(VALU_DEP_2)
	v_dual_add_f32 v59, v59, v83 :: v_dual_fmac_f32 v71, v181, v92
	v_dual_mul_f32 v67, v191, v103 :: v_dual_fma_f32 v80, v180, v92, -v80
	v_dual_add_f32 v57, v57, v69 :: v_dual_add_f32 v59, v59, v78
	v_dual_mul_f32 v75, v184, v97 :: v_dual_mul_f32 v77, v186, v99
	v_dual_mul_f32 v69, v193, v105 :: v_dual_fmac_f32 v73, v183, v94
	s_delay_alu instid0(VALU_DEP_3) | instskip(NEXT) | instid1(VALU_DEP_4)
	v_dual_fma_f32 v78, v182, v94, -v87 :: v_dual_add_f32 v57, v57, v71
	v_add_f32_e32 v59, v59, v80
	s_delay_alu instid0(VALU_DEP_4) | instskip(SKIP_1) | instid1(VALU_DEP_4)
	v_dual_mul_f32 v71, v195, v107 :: v_dual_fmac_f32 v75, v185, v96
	v_dual_mul_f32 v232, v188, v101 :: v_dual_mul_f32 v233, v190, v103
	v_dual_add_f32 v57, v57, v73 :: v_dual_fma_f32 v61, v184, v96, -v61
	s_delay_alu instid0(VALU_DEP_4) | instskip(SKIP_1) | instid1(VALU_DEP_2)
	v_dual_add_f32 v59, v59, v78 :: v_dual_mul_f32 v73, v197, v109
	v_dual_fmac_f32 v77, v187, v98 :: v_dual_fma_f32 v63, v186, v98, -v63
	v_dual_add_f32 v57, v57, v75 :: v_dual_add_f32 v59, v59, v61
	v_dual_fmac_f32 v232, v189, v100 :: v_dual_mul_f32 v61, v199, v111
	s_delay_alu instid0(VALU_DEP_2) | instskip(NEXT) | instid1(VALU_DEP_3)
	v_dual_fma_f32 v65, v188, v100, -v65 :: v_dual_add_f32 v57, v57, v77
	v_dual_add_f32 v59, v59, v63 :: v_dual_mul_f32 v234, v192, v105
	v_dual_mul_f32 v235, v194, v107 :: v_dual_mul_f32 v63, v201, v113
	v_dual_fmac_f32 v233, v191, v102 :: v_dual_fma_f32 v67, v190, v102, -v67
	s_delay_alu instid0(VALU_DEP_3) | instskip(NEXT) | instid1(VALU_DEP_4)
	v_dual_add_f32 v57, v57, v232 :: v_dual_add_f32 v59, v59, v65
	v_dual_fmac_f32 v234, v193, v104 :: v_dual_mul_f32 v65, v203, v115
	s_delay_alu instid0(VALU_DEP_2) | instskip(NEXT) | instid1(VALU_DEP_3)
	v_dual_fma_f32 v69, v192, v104, -v69 :: v_dual_add_f32 v57, v57, v233
	v_dual_add_f32 v59, v59, v67 :: v_dual_mul_f32 v236, v196, v109
	v_dual_mul_f32 v237, v198, v111 :: v_dual_mul_f32 v67, v205, v117
	v_fmac_f32_e32 v235, v195, v106
	s_delay_alu instid0(VALU_DEP_3) | instskip(SKIP_2) | instid1(VALU_DEP_3)
	v_dual_fma_f32 v71, v194, v106, -v71 :: v_dual_add_f32 v59, v59, v69
	v_dual_add_f32 v57, v57, v234 :: v_dual_mul_f32 v69, v207, v119
	v_dual_fmac_f32 v236, v197, v108 :: v_dual_fma_f32 v73, v196, v108, -v73
	v_dual_add_f32 v59, v59, v71 :: v_dual_mul_f32 v71, v209, v121
	s_delay_alu instid0(VALU_DEP_3) | instskip(SKIP_1) | instid1(VALU_DEP_2)
	v_dual_add_f32 v57, v57, v235 :: v_dual_fmac_f32 v237, v199, v110
	v_dual_mul_f32 v238, v200, v113 :: v_dual_mul_f32 v239, v202, v115
	v_dual_fma_f32 v61, v198, v110, -v61 :: v_dual_add_f32 v57, v57, v236
	s_delay_alu instid0(VALU_DEP_2) | instskip(SKIP_1) | instid1(VALU_DEP_3)
	v_dual_add_f32 v59, v59, v73 :: v_dual_fmac_f32 v238, v201, v112
	v_dual_mul_f32 v73, v211, v123 :: v_dual_fma_f32 v63, v200, v112, -v63
	v_dual_add_f32 v57, v57, v237 :: v_dual_fmac_f32 v239, v203, v114
	s_delay_alu instid0(VALU_DEP_3) | instskip(SKIP_1) | instid1(VALU_DEP_2)
	v_dual_add_f32 v59, v59, v61 :: v_dual_fma_f32 v65, v202, v114, -v65
	v_dual_mul_f32 v240, v204, v117 :: v_dual_mul_f32 v241, v206, v119
	v_dual_mul_f32 v61, v213, v125 :: v_dual_add_f32 v59, v59, v63
	s_delay_alu instid0(VALU_DEP_4) | instskip(NEXT) | instid1(VALU_DEP_3)
	v_dual_add_f32 v57, v57, v238 :: v_dual_mul_f32 v63, v215, v127
	v_dual_fmac_f32 v240, v205, v116 :: v_dual_fma_f32 v67, v204, v116, -v67
	s_delay_alu instid0(VALU_DEP_2) | instskip(SKIP_1) | instid1(VALU_DEP_2)
	v_dual_add_f32 v59, v59, v65 :: v_dual_add_f32 v57, v57, v239
	v_dual_mul_f32 v65, v217, v129 :: v_dual_fmac_f32 v241, v207, v118
	v_dual_fma_f32 v69, v206, v118, -v69 :: v_dual_add_f32 v59, v59, v67
	v_fmac_f32_e32 v242, v209, v120
	s_delay_alu instid0(VALU_DEP_4) | instskip(NEXT) | instid1(VALU_DEP_3)
	v_dual_add_f32 v57, v57, v240 :: v_dual_mul_f32 v67, v219, v131
	v_dual_fma_f32 v71, v208, v120, -v71 :: v_dual_add_f32 v59, v59, v69
	s_delay_alu instid0(VALU_DEP_2) | instskip(SKIP_2) | instid1(VALU_DEP_3)
	v_dual_fma_f32 v73, v210, v122, -v73 :: v_dual_add_f32 v57, v57, v241
	v_dual_fmac_f32 v243, v211, v122 :: v_dual_mul_f32 v166, v212, v125
	v_dual_mul_f32 v167, v214, v127 :: v_dual_mul_f32 v69, v221, v133
	v_dual_add_f32 v59, v59, v71 :: v_dual_add_f32 v57, v57, v242
	s_delay_alu instid0(VALU_DEP_3) | instskip(SKIP_2) | instid1(VALU_DEP_3)
	v_dual_fma_f32 v61, v212, v124, -v61 :: v_dual_fmac_f32 v166, v213, v124
	s_wait_loadcnt 0x4
	v_dual_mov_b32 v84, v137 :: v_dual_fma_f32 v63, v214, v126, -v63
	v_dual_add_f32 v57, v57, v243 :: v_dual_fmac_f32 v167, v215, v126
	v_dual_add_f32 v59, v59, v73 :: v_dual_fmac_f32 v168, v217, v128
	v_pk_mul_f32 v[82:83], v[150:151], v[134:135] op_sel:[1,1] op_sel_hi:[0,1]
	s_delay_alu instid0(VALU_DEP_3) | instskip(SKIP_1) | instid1(VALU_DEP_3)
	v_add_f32_e32 v57, v57, v166
	s_wait_loadcnt 0x3
	v_dual_mov_b32 v88, v141 :: v_dual_add_f32 v59, v59, v61
	v_dual_fma_f32 v61, v216, v128, -v65 :: v_dual_fmac_f32 v79, v219, v130
	s_delay_alu instid0(VALU_DEP_3) | instskip(NEXT) | instid1(VALU_DEP_3)
	v_dual_add_f32 v57, v57, v167 :: v_dual_fma_f32 v78, v218, v130, -v67
	v_dual_add_f32 v59, v59, v63 :: v_dual_fmac_f32 v81, v221, v132
	v_pk_fma_f32 v[92:93], v[150:151], v[134:135], v[82:83] op_sel_hi:[1,0,1]
	s_delay_alu instid0(VALU_DEP_3) | instskip(NEXT) | instid1(VALU_DEP_3)
	v_add_f32_e32 v91, v57, v168
	v_dual_fma_f32 v80, v220, v132, -v69 :: v_dual_add_f32 v90, v59, v61
	v_pk_mul_f32 v[84:85], v[224:225], v[84:85] op_sel_hi:[1,0]
	v_pk_fma_f32 v[82:83], v[150:151], v[134:135], v[82:83] neg_lo:[0,0,1] neg_hi:[0,0,1]
	v_pk_mul_f32 v[86:87], v[154:155], v[138:139] op_sel:[1,1] op_sel_hi:[0,1]
	v_mov_b32_e32 v83, v93
	v_pk_add_f32 v[78:79], v[90:91], v[78:79]
	v_pk_fma_f32 v[92:93], v[152:153], v[136:137], v[84:85] op_sel_hi:[1,0,1]
	v_pk_fma_f32 v[84:85], v[152:153], v[136:137], v[84:85] neg_lo:[0,0,1] neg_hi:[0,0,1]
	v_pk_mul_f32 v[88:89], v[226:227], v[88:89] op_sel_hi:[1,0]
	s_wait_loadcnt 0x2
	v_pk_mul_f32 v[90:91], v[158:159], v[142:143] op_sel:[1,1] op_sel_hi:[0,1]
	v_pk_add_f32 v[78:79], v[78:79], v[80:81]
	v_pk_fma_f32 v[80:81], v[154:155], v[138:139], v[86:87] op_sel_hi:[1,0,1]
	v_dual_mov_b32 v85, v93 :: v_dual_mov_b32 v80, v145
	v_ashrrev_i32_e32 v57, 31, v56
	s_delay_alu instid0(VALU_DEP_4)
	v_pk_add_f32 v[78:79], v[78:79], v[82:83]
	v_pk_fma_f32 v[82:83], v[154:155], v[138:139], v[86:87] neg_lo:[0,0,1] neg_hi:[0,0,1]
	v_pk_fma_f32 v[86:87], v[156:157], v[140:141], v[88:89] op_sel_hi:[1,0,1]
	v_mov_b32_e32 v83, v81
	v_pk_mul_f32 v[80:81], v[228:229], v[80:81] op_sel_hi:[1,0]
	v_pk_add_f32 v[78:79], v[78:79], v[84:85]
	v_pk_fma_f32 v[84:85], v[158:159], v[142:143], v[90:91] op_sel_hi:[1,0,1]
	v_pk_fma_f32 v[88:89], v[156:157], v[140:141], v[88:89] neg_lo:[0,0,1] neg_hi:[0,0,1]
	v_mov_b32_e32 v89, v87
	v_pk_fma_f32 v[86:87], v[158:159], v[142:143], v[90:91] neg_lo:[0,0,1] neg_hi:[0,0,1]
	v_pk_add_f32 v[78:79], v[78:79], v[82:83]
	v_mov_b32_e32 v87, v85
	v_pk_fma_f32 v[84:85], v[160:161], v[144:145], v[80:81] op_sel_hi:[1,0,1]
	s_wait_loadcnt 0x1
	v_pk_mul_f32 v[82:83], v[162:163], v[146:147] op_sel:[1,1] op_sel_hi:[0,1]
	v_mov_b32_e32 v84, v149
	v_pk_add_f32 v[78:79], v[78:79], v[88:89]
	v_pk_fma_f32 v[80:81], v[160:161], v[144:145], v[80:81] neg_lo:[0,0,1] neg_hi:[0,0,1]
	v_mov_b32_e32 v81, v85
	v_pk_fma_f32 v[88:89], v[162:163], v[146:147], v[82:83] op_sel_hi:[1,0,1]
	v_pk_mul_f32 v[84:85], v[230:231], v[84:85] op_sel_hi:[1,0]
	v_pk_add_f32 v[78:79], v[78:79], v[86:87]
	v_pk_fma_f32 v[82:83], v[162:163], v[146:147], v[82:83] neg_lo:[0,0,1] neg_hi:[0,0,1]
	s_delay_alu instid0(VALU_DEP_4) | instskip(SKIP_1) | instid1(VALU_DEP_4)
	v_dual_ashrrev_i32 v59, 31, v58 :: v_dual_mov_b32 v83, v89
	v_dual_ashrrev_i32 v63, 31, v62 :: v_dual_ashrrev_i32 v65, 31, v64
	v_pk_add_f32 v[78:79], v[78:79], v[80:81]
	v_pk_fma_f32 v[80:81], v[164:165], v[148:149], v[84:85] op_sel_hi:[1,0,1]
	v_pk_fma_f32 v[84:85], v[164:165], v[148:149], v[84:85] neg_lo:[0,0,1] neg_hi:[0,0,1]
	v_dual_ashrrev_i32 v61, 31, v60 :: v_dual_ashrrev_i32 v67, 31, v66
	v_ashrrev_i32_e32 v69, 31, v68
	v_pk_add_f32 v[78:79], v[78:79], v[82:83]
	v_dual_mov_b32 v85, v81 :: v_dual_ashrrev_i32 v71, 31, v70
	v_dual_ashrrev_i32 v73, 31, v72 :: v_dual_ashrrev_i32 v75, 31, v74
	v_ashrrev_i32_e32 v77, 31, v76
	s_delay_alu instid0(VALU_DEP_3) | instskip(SKIP_1) | instid1(VALU_DEP_1)
	v_pk_add_f32 v[78:79], v[78:79], v[84:85]
	s_wait_loadcnt 0x0
	v_pk_add_f32 v[78:79], v[222:223], v[78:79] neg_lo:[0,1] neg_hi:[0,1]
	scratch_store_b64 off, v[78:79], off offset:8
	s_wait_xcnt 0x0
	v_cmpx_ne_u32_e32 0, v0
	s_cbranch_execz .LBB37_241
; %bb.240:
	scratch_load_b64 v[78:79], off, off
	v_mov_b64_e32 v[80:81], 0
	scratch_store_b64 off, v[80:81], off
	s_wait_loadcnt 0x0
	ds_store_b64 v1, v[78:79]
.LBB37_241:
	s_wait_xcnt 0x0
	s_or_b32 exec_lo, exec_lo, s0
	s_wait_storecnt_dscnt 0x0
	s_barrier_signal -1
	s_barrier_wait -1
	s_clause 0xe
	scratch_load_b128 v[84:87], off, off offset:8
	scratch_load_b128 v[92:95], off, off offset:24
	;; [unrolled: 1-line block ×15, first 2 shown]
	v_mov_b32_e32 v78, 0
	s_and_b32 vcc_lo, exec_lo, s18
	ds_load_2addr_b64 v[80:83], v78 offset0:39 offset1:40
	ds_load_2addr_b64 v[88:91], v78 offset0:41 offset1:42
	s_wait_loadcnt_dscnt 0xe01
	v_mul_f32_e32 v0, v80, v85
	ds_load_2addr_b64 v[176:179], v78 offset0:63 offset1:64
	ds_load_2addr_b64 v[184:187], v78 offset0:65 offset1:66
	v_mul_f32_e32 v1, v82, v87
	ds_load_2addr_b64 v[96:99], v78 offset0:43 offset1:44
	ds_load_2addr_b64 v[104:107], v78 offset0:45 offset1:46
	v_fmac_f32_e32 v0, v81, v84
	ds_load_2addr_b64 v[192:195], v78 offset0:67 offset1:68
	v_fmac_f32_e32 v1, v83, v86
	ds_load_2addr_b64 v[112:115], v78 offset0:47 offset1:48
	ds_load_2addr_b64 v[120:123], v78 offset0:49 offset1:50
	v_add_f32_e32 v0, 0, v0
	ds_load_2addr_b64 v[128:131], v78 offset0:51 offset1:52
	ds_load_2addr_b64 v[136:139], v78 offset0:53 offset1:54
	;; [unrolled: 1-line block ×4, first 2 shown]
	v_add_f32_e32 v0, v0, v1
	s_wait_loadcnt_dscnt 0xd0b
	v_mul_f32_e32 v1, v88, v93
	ds_load_2addr_b64 v[160:163], v78 offset0:59 offset1:60
	ds_load_2addr_b64 v[168:171], v78 offset0:61 offset1:62
	s_clause 0x3
	scratch_load_b128 v[200:203], off, off offset:248
	scratch_load_b128 v[204:207], off, off offset:264
	;; [unrolled: 1-line block ×3, first 2 shown]
	scratch_load_b64 v[216:217], off, off offset:296
	v_mul_f32_e32 v79, v83, v87
	s_wait_loadcnt_dscnt 0xf0b
	v_dual_mul_f32 v213, v186, v191 :: v_dual_fmac_f32 v1, v89, v92
	s_wait_loadcnt_dscnt 0xc08
	s_delay_alu instid0(VALU_DEP_2) | instskip(NEXT) | instid1(VALU_DEP_2)
	v_dual_fma_f32 v79, v82, v86, -v79 :: v_dual_mul_f32 v215, v192, v197
	v_dual_add_f32 v0, v0, v1 :: v_dual_mul_f32 v1, v90, v95
	s_delay_alu instid0(VALU_DEP_2) | instskip(NEXT) | instid1(VALU_DEP_2)
	v_dual_fmac_f32 v213, v187, v190 :: v_dual_fmac_f32 v215, v193, v196
	v_fmac_f32_e32 v1, v91, v94
	s_delay_alu instid0(VALU_DEP_1) | instskip(SKIP_1) | instid1(VALU_DEP_1)
	v_add_f32_e32 v0, v0, v1
	v_mul_f32_e32 v1, v96, v101
	v_fmac_f32_e32 v1, v97, v100
	s_delay_alu instid0(VALU_DEP_1) | instskip(NEXT) | instid1(VALU_DEP_1)
	v_dual_add_f32 v0, v0, v1 :: v_dual_mul_f32 v1, v98, v103
	v_fmac_f32_e32 v1, v99, v102
	s_delay_alu instid0(VALU_DEP_1) | instskip(SKIP_1) | instid1(VALU_DEP_1)
	v_add_f32_e32 v0, v0, v1
	v_mul_f32_e32 v1, v104, v109
	v_fmac_f32_e32 v1, v105, v108
	s_delay_alu instid0(VALU_DEP_1) | instskip(NEXT) | instid1(VALU_DEP_1)
	v_dual_add_f32 v0, v0, v1 :: v_dual_mul_f32 v1, v106, v111
	v_fmac_f32_e32 v1, v107, v110
	s_delay_alu instid0(VALU_DEP_1) | instskip(SKIP_2) | instid1(VALU_DEP_1)
	v_add_f32_e32 v0, v0, v1
	s_wait_loadcnt_dscnt 0xb07
	v_mul_f32_e32 v1, v112, v117
	v_fmac_f32_e32 v1, v113, v116
	s_delay_alu instid0(VALU_DEP_1) | instskip(NEXT) | instid1(VALU_DEP_1)
	v_dual_add_f32 v0, v0, v1 :: v_dual_mul_f32 v1, v114, v119
	v_fmac_f32_e32 v1, v115, v118
	s_delay_alu instid0(VALU_DEP_1) | instskip(SKIP_2) | instid1(VALU_DEP_1)
	v_add_f32_e32 v0, v0, v1
	s_wait_loadcnt_dscnt 0xa06
	;; [unrolled: 8-line block ×8, first 2 shown]
	v_mul_f32_e32 v1, v168, v173
	v_fmac_f32_e32 v1, v169, v172
	s_delay_alu instid0(VALU_DEP_1) | instskip(NEXT) | instid1(VALU_DEP_1)
	v_dual_add_f32 v0, v0, v1 :: v_dual_mul_f32 v1, v170, v175
	v_fmac_f32_e32 v1, v171, v174
	s_delay_alu instid0(VALU_DEP_1) | instskip(SKIP_1) | instid1(VALU_DEP_1)
	v_add_f32_e32 v0, v0, v1
	v_mul_f32_e32 v1, v176, v181
	v_fmac_f32_e32 v1, v177, v180
	s_delay_alu instid0(VALU_DEP_1) | instskip(NEXT) | instid1(VALU_DEP_1)
	v_dual_add_f32 v0, v0, v1 :: v_dual_mul_f32 v1, v178, v183
	v_fmac_f32_e32 v1, v179, v182
	s_delay_alu instid0(VALU_DEP_1) | instskip(SKIP_1) | instid1(VALU_DEP_1)
	v_add_f32_e32 v0, v0, v1
	v_mul_f32_e32 v1, v184, v189
	v_fmac_f32_e32 v1, v185, v188
	s_delay_alu instid0(VALU_DEP_1) | instskip(SKIP_1) | instid1(VALU_DEP_1)
	v_add_f32_e32 v1, v0, v1
	v_mul_f32_e32 v0, v81, v85
	v_fma_f32 v0, v80, v84, -v0
	s_delay_alu instid0(VALU_DEP_1) | instskip(NEXT) | instid1(VALU_DEP_1)
	v_add_f32_e32 v0, 0, v0
	v_dual_add_f32 v0, v0, v79 :: v_dual_mul_f32 v79, v89, v93
	s_delay_alu instid0(VALU_DEP_1) | instskip(NEXT) | instid1(VALU_DEP_1)
	v_fma_f32 v79, v88, v92, -v79
	v_add_f32_e32 v0, v0, v79
	v_dual_mul_f32 v79, v91, v95 :: v_dual_mov_b32 v95, v194
	s_delay_alu instid0(VALU_DEP_1)
	v_dual_fma_f32 v79, v90, v94, -v79 :: v_dual_mov_b32 v94, v195
	ds_load_2addr_b64 v[80:83], v78 offset0:69 offset1:70
	ds_load_2addr_b64 v[84:87], v78 offset0:71 offset1:72
	;; [unrolled: 1-line block ×3, first 2 shown]
	ds_load_b64 v[92:93], v78 offset:600
	v_dual_add_f32 v0, v0, v79 :: v_dual_mul_f32 v79, v97, v101
	s_delay_alu instid0(VALU_DEP_1) | instskip(NEXT) | instid1(VALU_DEP_1)
	v_dual_fma_f32 v79, v96, v100, -v79 :: v_dual_mov_b32 v96, v199
	v_add_f32_e32 v0, v0, v79
	v_mul_f32_e32 v79, v99, v103
	s_delay_alu instid0(VALU_DEP_3) | instskip(NEXT) | instid1(VALU_DEP_2)
	v_pk_mul_f32 v[94:95], v[94:95], v[96:97] op_sel_hi:[1,0]
	v_fma_f32 v79, v98, v102, -v79
	s_delay_alu instid0(VALU_DEP_2) | instskip(SKIP_1) | instid1(VALU_DEP_3)
	v_pk_fma_f32 v[96:97], v[194:195], v[198:199], v[94:95] neg_lo:[0,0,1] neg_hi:[0,0,1]
	v_pk_fma_f32 v[94:95], v[194:195], v[198:199], v[94:95] op_sel_hi:[1,0,1]
	v_dual_add_f32 v0, v0, v79 :: v_dual_mul_f32 v79, v105, v109
	s_delay_alu instid0(VALU_DEP_2) | instskip(SKIP_2) | instid1(VALU_DEP_3)
	v_mov_b32_e32 v97, v95
	s_wait_loadcnt_dscnt 0x303
	v_pk_mul_f32 v[94:95], v[80:81], v[200:201] op_sel:[1,1] op_sel_hi:[0,1]
	v_fma_f32 v79, v104, v108, -v79
	s_delay_alu instid0(VALU_DEP_1) | instskip(SKIP_1) | instid1(VALU_DEP_1)
	v_add_f32_e32 v0, v0, v79
	v_mul_f32_e32 v79, v107, v111
	v_fma_f32 v79, v106, v110, -v79
	s_delay_alu instid0(VALU_DEP_1) | instskip(NEXT) | instid1(VALU_DEP_1)
	v_dual_add_f32 v0, v0, v79 :: v_dual_mul_f32 v79, v113, v117
	v_fma_f32 v79, v112, v116, -v79
	s_delay_alu instid0(VALU_DEP_1) | instskip(SKIP_1) | instid1(VALU_DEP_1)
	v_add_f32_e32 v0, v0, v79
	v_mul_f32_e32 v79, v115, v119
	v_fma_f32 v79, v114, v118, -v79
	s_delay_alu instid0(VALU_DEP_1) | instskip(NEXT) | instid1(VALU_DEP_1)
	v_dual_add_f32 v0, v0, v79 :: v_dual_mul_f32 v79, v121, v125
	;; [unrolled: 7-line block ×10, first 2 shown]
	v_fma_f32 v79, v184, v188, -v79
	s_delay_alu instid0(VALU_DEP_1) | instskip(SKIP_1) | instid1(VALU_DEP_1)
	v_add_f32_e32 v0, v0, v79
	v_mul_f32_e32 v79, v187, v191
	v_dual_fma_f32 v212, v186, v190, -v79 :: v_dual_mul_f32 v79, v193, v197
	s_delay_alu instid0(VALU_DEP_1) | instskip(NEXT) | instid1(VALU_DEP_2)
	v_pk_add_f32 v[0:1], v[0:1], v[212:213]
	v_fma_f32 v214, v192, v196, -v79
	s_delay_alu instid0(VALU_DEP_1) | instskip(NEXT) | instid1(VALU_DEP_1)
	v_pk_add_f32 v[0:1], v[0:1], v[214:215]
	v_pk_add_f32 v[0:1], v[0:1], v[96:97]
	v_pk_fma_f32 v[96:97], v[80:81], v[200:201], v[94:95] neg_lo:[0,0,1] neg_hi:[0,0,1]
	v_pk_fma_f32 v[80:81], v[80:81], v[200:201], v[94:95] op_sel_hi:[1,0,1]
	v_dual_mov_b32 v80, v83 :: v_dual_mov_b32 v94, v203
	s_delay_alu instid0(VALU_DEP_2) | instskip(NEXT) | instid1(VALU_DEP_1)
	v_dual_mov_b32 v97, v81 :: v_dual_mov_b32 v81, v82
	v_pk_add_f32 v[0:1], v[0:1], v[96:97]
	s_delay_alu instid0(VALU_DEP_2) | instskip(NEXT) | instid1(VALU_DEP_1)
	v_pk_mul_f32 v[80:81], v[80:81], v[94:95] op_sel_hi:[1,0]
	v_pk_fma_f32 v[94:95], v[82:83], v[202:203], v[80:81] neg_lo:[0,0,1] neg_hi:[0,0,1]
	v_pk_fma_f32 v[80:81], v[82:83], v[202:203], v[80:81] op_sel_hi:[1,0,1]
	s_delay_alu instid0(VALU_DEP_1) | instskip(SKIP_2) | instid1(VALU_DEP_2)
	v_mov_b32_e32 v95, v81
	s_wait_loadcnt_dscnt 0x202
	v_pk_mul_f32 v[80:81], v[84:85], v[204:205] op_sel:[1,1] op_sel_hi:[0,1]
	v_pk_add_f32 v[0:1], v[0:1], v[94:95]
	s_delay_alu instid0(VALU_DEP_2) | instskip(SKIP_1) | instid1(VALU_DEP_1)
	v_pk_fma_f32 v[82:83], v[84:85], v[204:205], v[80:81] neg_lo:[0,0,1] neg_hi:[0,0,1]
	v_pk_fma_f32 v[80:81], v[84:85], v[204:205], v[80:81] op_sel_hi:[1,0,1]
	v_dual_mov_b32 v80, v87 :: v_dual_mov_b32 v83, v81
	v_mov_b32_e32 v81, v86
	s_delay_alu instid0(VALU_DEP_2) | instskip(SKIP_1) | instid1(VALU_DEP_1)
	v_pk_add_f32 v[0:1], v[0:1], v[82:83]
	v_mov_b32_e32 v82, v207
	v_pk_mul_f32 v[80:81], v[80:81], v[82:83] op_sel_hi:[1,0]
	s_delay_alu instid0(VALU_DEP_1) | instskip(SKIP_1) | instid1(VALU_DEP_1)
	v_pk_fma_f32 v[82:83], v[86:87], v[206:207], v[80:81] neg_lo:[0,0,1] neg_hi:[0,0,1]
	v_pk_fma_f32 v[80:81], v[86:87], v[206:207], v[80:81] op_sel_hi:[1,0,1]
	v_mov_b32_e32 v83, v81
	s_wait_loadcnt_dscnt 0x101
	v_pk_mul_f32 v[80:81], v[88:89], v[208:209] op_sel:[1,1] op_sel_hi:[0,1]
	s_delay_alu instid0(VALU_DEP_2) | instskip(NEXT) | instid1(VALU_DEP_2)
	v_pk_add_f32 v[0:1], v[0:1], v[82:83]
	v_pk_fma_f32 v[82:83], v[88:89], v[208:209], v[80:81] neg_lo:[0,0,1] neg_hi:[0,0,1]
	v_pk_fma_f32 v[80:81], v[88:89], v[208:209], v[80:81] op_sel_hi:[1,0,1]
	s_delay_alu instid0(VALU_DEP_1) | instskip(SKIP_1) | instid1(VALU_DEP_2)
	v_dual_mov_b32 v80, v91 :: v_dual_mov_b32 v83, v81
	v_mov_b32_e32 v81, v90
	v_pk_add_f32 v[0:1], v[0:1], v[82:83]
	v_mov_b32_e32 v82, v211
	s_delay_alu instid0(VALU_DEP_1) | instskip(NEXT) | instid1(VALU_DEP_1)
	v_pk_mul_f32 v[80:81], v[80:81], v[82:83] op_sel_hi:[1,0]
	v_pk_fma_f32 v[82:83], v[90:91], v[210:211], v[80:81] neg_lo:[0,0,1] neg_hi:[0,0,1]
	v_pk_fma_f32 v[80:81], v[90:91], v[210:211], v[80:81] op_sel_hi:[1,0,1]
	s_delay_alu instid0(VALU_DEP_1) | instskip(SKIP_2) | instid1(VALU_DEP_2)
	v_mov_b32_e32 v83, v81
	s_wait_loadcnt_dscnt 0x0
	v_pk_mul_f32 v[80:81], v[92:93], v[216:217] op_sel:[1,1] op_sel_hi:[0,1]
	v_pk_add_f32 v[0:1], v[0:1], v[82:83]
	s_delay_alu instid0(VALU_DEP_2) | instskip(SKIP_1) | instid1(VALU_DEP_1)
	v_pk_fma_f32 v[82:83], v[92:93], v[216:217], v[80:81] neg_lo:[0,0,1] neg_hi:[0,0,1]
	v_pk_fma_f32 v[80:81], v[92:93], v[216:217], v[80:81] op_sel_hi:[1,0,1]
	v_mov_b32_e32 v83, v81
	scratch_load_b64 v[80:81], off, off
	v_pk_add_f32 v[0:1], v[0:1], v[82:83]
	s_wait_loadcnt 0x0
	s_delay_alu instid0(VALU_DEP_1)
	v_pk_add_f32 v[0:1], v[80:81], v[0:1] neg_lo:[0,1] neg_hi:[0,1]
	scratch_store_b64 off, v[0:1], off
	s_cbranch_vccz .LBB37_316
; %bb.242:
	global_load_b32 v0, v78, s[2:3] offset:144
	s_wait_loadcnt 0x0
	v_cmp_ne_u32_e32 vcc_lo, 37, v0
	s_cbranch_vccz .LBB37_244
; %bb.243:
	v_lshlrev_b32_e32 v0, 3, v0
	s_delay_alu instid0(VALU_DEP_1)
	v_mov_b32_e32 v80, v0
	scratch_load_b64 v[0:1], v80, off offset:-8
	scratch_load_b64 v[78:79], off, off offset:288
	s_wait_loadcnt 0x1
	scratch_store_b64 off, v[0:1], off offset:288
	s_wait_loadcnt 0x0
	scratch_store_b64 v80, v[78:79], off offset:-8
.LBB37_244:
	s_wait_xcnt 0x1
	v_mov_b32_e32 v0, 0
	global_load_b32 v1, v0, s[2:3] offset:140
	s_wait_loadcnt 0x0
	v_cmp_eq_u32_e32 vcc_lo, 36, v1
	s_cbranch_vccnz .LBB37_246
; %bb.245:
	v_lshlrev_b32_e32 v1, 3, v1
	scratch_load_b64 v[78:79], v1, off offset:-8
	scratch_load_b64 v[80:81], off, off offset:280
	s_wait_loadcnt 0x1
	scratch_store_b64 off, v[78:79], off offset:280
	s_wait_loadcnt 0x0
	scratch_store_b64 v1, v[80:81], off offset:-8
.LBB37_246:
	global_load_b32 v0, v0, s[2:3] offset:136
	s_wait_loadcnt 0x0
	v_cmp_eq_u32_e32 vcc_lo, 35, v0
	s_cbranch_vccnz .LBB37_248
; %bb.247:
	s_wait_xcnt 0x0
	v_lshlrev_b32_e32 v0, 3, v0
	s_delay_alu instid0(VALU_DEP_1)
	v_mov_b32_e32 v80, v0
	scratch_load_b64 v[0:1], v80, off offset:-8
	scratch_load_b64 v[78:79], off, off offset:272
	s_wait_loadcnt 0x1
	scratch_store_b64 off, v[0:1], off offset:272
	s_wait_loadcnt 0x0
	scratch_store_b64 v80, v[78:79], off offset:-8
.LBB37_248:
	s_wait_xcnt 0x0
	v_mov_b32_e32 v0, 0
	global_load_b32 v1, v0, s[2:3] offset:132
	s_wait_loadcnt 0x0
	v_cmp_eq_u32_e32 vcc_lo, 34, v1
	s_cbranch_vccnz .LBB37_250
; %bb.249:
	v_lshlrev_b32_e32 v1, 3, v1
	scratch_load_b64 v[78:79], v1, off offset:-8
	scratch_load_b64 v[80:81], off, off offset:264
	s_wait_loadcnt 0x1
	scratch_store_b64 off, v[78:79], off offset:264
	s_wait_loadcnt 0x0
	scratch_store_b64 v1, v[80:81], off offset:-8
.LBB37_250:
	global_load_b32 v0, v0, s[2:3] offset:128
	s_wait_loadcnt 0x0
	v_cmp_eq_u32_e32 vcc_lo, 33, v0
	s_cbranch_vccnz .LBB37_252
; %bb.251:
	s_wait_xcnt 0x0
	v_lshlrev_b32_e32 v0, 3, v0
	s_delay_alu instid0(VALU_DEP_1)
	v_mov_b32_e32 v80, v0
	scratch_load_b64 v[0:1], v80, off offset:-8
	scratch_load_b64 v[78:79], off, off offset:256
	s_wait_loadcnt 0x1
	scratch_store_b64 off, v[0:1], off offset:256
	s_wait_loadcnt 0x0
	scratch_store_b64 v80, v[78:79], off offset:-8
.LBB37_252:
	;; [unrolled: 31-line block ×17, first 2 shown]
	s_wait_xcnt 0x0
	v_mov_b32_e32 v0, 0
	global_load_b32 v1, v0, s[2:3] offset:4
	s_wait_loadcnt 0x0
	v_cmp_eq_u32_e32 vcc_lo, 2, v1
	s_cbranch_vccnz .LBB37_314
; %bb.313:
	v_lshlrev_b32_e32 v1, 3, v1
	scratch_load_b64 v[78:79], v1, off offset:-8
	scratch_load_b64 v[80:81], off, off offset:8
	s_wait_loadcnt 0x1
	scratch_store_b64 off, v[78:79], off offset:8
	s_wait_loadcnt 0x0
	scratch_store_b64 v1, v[80:81], off offset:-8
.LBB37_314:
	global_load_b32 v78, v0, s[2:3]
	scratch_load_b64 v[0:1], off, off
	s_wait_loadcnt 0x1
	v_cmp_eq_u32_e32 vcc_lo, 1, v78
	s_cbranch_vccnz .LBB37_316
; %bb.315:
	v_lshlrev_b32_e32 v78, 3, v78
	s_delay_alu instid0(VALU_DEP_1)
	v_mov_b32_e32 v80, v78
	scratch_load_b64 v[78:79], v80, off offset:-8
	s_wait_loadcnt 0x0
	scratch_store_b64 off, v[78:79], off
	scratch_store_b64 v80, v[0:1], off offset:-8
	scratch_load_b64 v[0:1], off, off
.LBB37_316:
	s_clause 0x12
	scratch_load_b128 v[78:81], off, off offset:8
	scratch_load_b128 v[82:85], off, off offset:24
	;; [unrolled: 1-line block ×18, first 2 shown]
	scratch_load_b64 v[150:151], off, off offset:296
	v_lshl_add_u64 v[4:5], v[4:5], 3, s[4:5]
	v_lshl_add_u64 v[8:9], v[8:9], 3, s[4:5]
	;; [unrolled: 1-line block ×36, first 2 shown]
	s_wait_loadcnt 0x13
	global_store_b64 v[2:3], v[0:1], off
	s_wait_loadcnt 0x12
	s_clause 0x1
	global_store_b64 v[6:7], v[78:79], off
	global_store_b64 v[4:5], v[80:81], off
	s_wait_loadcnt 0x11
	s_clause 0x1
	global_store_b64 v[8:9], v[82:83], off
	global_store_b64 v[10:11], v[84:85], off
	s_wait_loadcnt 0x10
	s_clause 0x1
	global_store_b64 v[12:13], v[86:87], off
	global_store_b64 v[14:15], v[88:89], off
	s_wait_loadcnt 0xf
	s_clause 0x1
	global_store_b64 v[16:17], v[90:91], off
	global_store_b64 v[18:19], v[92:93], off
	s_wait_loadcnt 0xe
	s_clause 0x1
	global_store_b64 v[20:21], v[94:95], off
	global_store_b64 v[22:23], v[96:97], off
	s_wait_loadcnt 0xd
	s_clause 0x1
	global_store_b64 v[24:25], v[98:99], off
	global_store_b64 v[26:27], v[100:101], off
	s_wait_loadcnt 0xc
	s_clause 0x1
	global_store_b64 v[28:29], v[102:103], off
	global_store_b64 v[30:31], v[104:105], off
	s_wait_loadcnt 0xb
	s_clause 0x1
	global_store_b64 v[32:33], v[106:107], off
	global_store_b64 v[34:35], v[108:109], off
	s_wait_loadcnt 0xa
	s_clause 0x1
	global_store_b64 v[36:37], v[110:111], off
	global_store_b64 v[38:39], v[112:113], off
	s_wait_loadcnt 0x9
	s_clause 0x1
	global_store_b64 v[40:41], v[114:115], off
	global_store_b64 v[42:43], v[116:117], off
	s_wait_loadcnt 0x8
	s_clause 0x1
	global_store_b64 v[44:45], v[118:119], off
	global_store_b64 v[46:47], v[120:121], off
	s_wait_loadcnt 0x7
	s_clause 0x1
	global_store_b64 v[48:49], v[122:123], off
	global_store_b64 v[50:51], v[124:125], off
	s_wait_loadcnt 0x6
	s_clause 0x1
	global_store_b64 v[52:53], v[126:127], off
	global_store_b64 v[54:55], v[128:129], off
	s_wait_loadcnt 0x5
	s_clause 0x1
	global_store_b64 v[56:57], v[130:131], off
	global_store_b64 v[58:59], v[132:133], off
	s_wait_loadcnt 0x4
	s_clause 0x1
	global_store_b64 v[60:61], v[134:135], off
	global_store_b64 v[62:63], v[136:137], off
	s_wait_loadcnt 0x3
	s_clause 0x1
	global_store_b64 v[64:65], v[138:139], off
	global_store_b64 v[66:67], v[140:141], off
	s_wait_loadcnt 0x2
	s_clause 0x1
	global_store_b64 v[68:69], v[142:143], off
	global_store_b64 v[70:71], v[144:145], off
	s_wait_loadcnt 0x1
	s_clause 0x1
	global_store_b64 v[72:73], v[146:147], off
	global_store_b64 v[74:75], v[148:149], off
	s_wait_loadcnt 0x0
	global_store_b64 v[76:77], v[150:151], off
	s_sendmsg sendmsg(MSG_DEALLOC_VGPRS)
	s_endpgm
	.section	.rodata,"a",@progbits
	.p2align	6, 0x0
	.amdhsa_kernel _ZN9rocsolver6v33100L18getri_kernel_smallILi38E19rocblas_complex_numIfEPS3_EEvT1_iilPiilS6_bb
		.amdhsa_group_segment_fixed_size 612
		.amdhsa_private_segment_fixed_size 320
		.amdhsa_kernarg_size 60
		.amdhsa_user_sgpr_count 2
		.amdhsa_user_sgpr_dispatch_ptr 0
		.amdhsa_user_sgpr_queue_ptr 0
		.amdhsa_user_sgpr_kernarg_segment_ptr 1
		.amdhsa_user_sgpr_dispatch_id 0
		.amdhsa_user_sgpr_kernarg_preload_length 0
		.amdhsa_user_sgpr_kernarg_preload_offset 0
		.amdhsa_user_sgpr_private_segment_size 0
		.amdhsa_wavefront_size32 1
		.amdhsa_uses_dynamic_stack 0
		.amdhsa_enable_private_segment 1
		.amdhsa_system_sgpr_workgroup_id_x 1
		.amdhsa_system_sgpr_workgroup_id_y 0
		.amdhsa_system_sgpr_workgroup_id_z 0
		.amdhsa_system_sgpr_workgroup_info 0
		.amdhsa_system_vgpr_workitem_id 0
		.amdhsa_next_free_vgpr 244
		.amdhsa_next_free_sgpr 19
		.amdhsa_named_barrier_count 0
		.amdhsa_reserve_vcc 1
		.amdhsa_float_round_mode_32 0
		.amdhsa_float_round_mode_16_64 0
		.amdhsa_float_denorm_mode_32 3
		.amdhsa_float_denorm_mode_16_64 3
		.amdhsa_fp16_overflow 0
		.amdhsa_memory_ordered 1
		.amdhsa_forward_progress 1
		.amdhsa_inst_pref_size 255
		.amdhsa_round_robin_scheduling 0
		.amdhsa_exception_fp_ieee_invalid_op 0
		.amdhsa_exception_fp_denorm_src 0
		.amdhsa_exception_fp_ieee_div_zero 0
		.amdhsa_exception_fp_ieee_overflow 0
		.amdhsa_exception_fp_ieee_underflow 0
		.amdhsa_exception_fp_ieee_inexact 0
		.amdhsa_exception_int_div_zero 0
	.end_amdhsa_kernel
	.section	.text._ZN9rocsolver6v33100L18getri_kernel_smallILi38E19rocblas_complex_numIfEPS3_EEvT1_iilPiilS6_bb,"axG",@progbits,_ZN9rocsolver6v33100L18getri_kernel_smallILi38E19rocblas_complex_numIfEPS3_EEvT1_iilPiilS6_bb,comdat
.Lfunc_end37:
	.size	_ZN9rocsolver6v33100L18getri_kernel_smallILi38E19rocblas_complex_numIfEPS3_EEvT1_iilPiilS6_bb, .Lfunc_end37-_ZN9rocsolver6v33100L18getri_kernel_smallILi38E19rocblas_complex_numIfEPS3_EEvT1_iilPiilS6_bb
                                        ; -- End function
	.set _ZN9rocsolver6v33100L18getri_kernel_smallILi38E19rocblas_complex_numIfEPS3_EEvT1_iilPiilS6_bb.num_vgpr, 244
	.set _ZN9rocsolver6v33100L18getri_kernel_smallILi38E19rocblas_complex_numIfEPS3_EEvT1_iilPiilS6_bb.num_agpr, 0
	.set _ZN9rocsolver6v33100L18getri_kernel_smallILi38E19rocblas_complex_numIfEPS3_EEvT1_iilPiilS6_bb.numbered_sgpr, 19
	.set _ZN9rocsolver6v33100L18getri_kernel_smallILi38E19rocblas_complex_numIfEPS3_EEvT1_iilPiilS6_bb.num_named_barrier, 0
	.set _ZN9rocsolver6v33100L18getri_kernel_smallILi38E19rocblas_complex_numIfEPS3_EEvT1_iilPiilS6_bb.private_seg_size, 320
	.set _ZN9rocsolver6v33100L18getri_kernel_smallILi38E19rocblas_complex_numIfEPS3_EEvT1_iilPiilS6_bb.uses_vcc, 1
	.set _ZN9rocsolver6v33100L18getri_kernel_smallILi38E19rocblas_complex_numIfEPS3_EEvT1_iilPiilS6_bb.uses_flat_scratch, 1
	.set _ZN9rocsolver6v33100L18getri_kernel_smallILi38E19rocblas_complex_numIfEPS3_EEvT1_iilPiilS6_bb.has_dyn_sized_stack, 0
	.set _ZN9rocsolver6v33100L18getri_kernel_smallILi38E19rocblas_complex_numIfEPS3_EEvT1_iilPiilS6_bb.has_recursion, 0
	.set _ZN9rocsolver6v33100L18getri_kernel_smallILi38E19rocblas_complex_numIfEPS3_EEvT1_iilPiilS6_bb.has_indirect_call, 0
	.section	.AMDGPU.csdata,"",@progbits
; Kernel info:
; codeLenInByte = 58312
; TotalNumSgprs: 21
; NumVgprs: 244
; ScratchSize: 320
; MemoryBound: 0
; FloatMode: 240
; IeeeMode: 1
; LDSByteSize: 612 bytes/workgroup (compile time only)
; SGPRBlocks: 0
; VGPRBlocks: 15
; NumSGPRsForWavesPerEU: 21
; NumVGPRsForWavesPerEU: 244
; NamedBarCnt: 0
; Occupancy: 4
; WaveLimiterHint : 1
; COMPUTE_PGM_RSRC2:SCRATCH_EN: 1
; COMPUTE_PGM_RSRC2:USER_SGPR: 2
; COMPUTE_PGM_RSRC2:TRAP_HANDLER: 0
; COMPUTE_PGM_RSRC2:TGID_X_EN: 1
; COMPUTE_PGM_RSRC2:TGID_Y_EN: 0
; COMPUTE_PGM_RSRC2:TGID_Z_EN: 0
; COMPUTE_PGM_RSRC2:TIDIG_COMP_CNT: 0
	.section	.text._ZN9rocsolver6v33100L18getri_kernel_smallILi39E19rocblas_complex_numIfEPS3_EEvT1_iilPiilS6_bb,"axG",@progbits,_ZN9rocsolver6v33100L18getri_kernel_smallILi39E19rocblas_complex_numIfEPS3_EEvT1_iilPiilS6_bb,comdat
	.globl	_ZN9rocsolver6v33100L18getri_kernel_smallILi39E19rocblas_complex_numIfEPS3_EEvT1_iilPiilS6_bb ; -- Begin function _ZN9rocsolver6v33100L18getri_kernel_smallILi39E19rocblas_complex_numIfEPS3_EEvT1_iilPiilS6_bb
	.p2align	8
	.type	_ZN9rocsolver6v33100L18getri_kernel_smallILi39E19rocblas_complex_numIfEPS3_EEvT1_iilPiilS6_bb,@function
_ZN9rocsolver6v33100L18getri_kernel_smallILi39E19rocblas_complex_numIfEPS3_EEvT1_iilPiilS6_bb: ; @_ZN9rocsolver6v33100L18getri_kernel_smallILi39E19rocblas_complex_numIfEPS3_EEvT1_iilPiilS6_bb
; %bb.0:
	s_mov_b32 s2, exec_lo
	v_cmpx_gt_u32_e32 39, v0
	s_cbranch_execz .LBB38_170
; %bb.1:
	s_clause 0x2
	s_load_b32 s2, s[0:1], 0x38
	s_load_b128 s[12:15], s[0:1], 0x10
	s_load_b128 s[4:7], s[0:1], 0x28
	s_getreg_b32 s9, hwreg(HW_REG_IB_STS2, 6, 4)
	s_wait_kmcnt 0x0
	s_bitcmp1_b32 s2, 8
	s_cselect_b32 s18, -1, 0
	s_bfe_u32 s3, ttmp6, 0x4000c
	s_and_b32 s8, ttmp6, 15
	s_add_co_i32 s3, s3, 1
	s_delay_alu instid0(SALU_CYCLE_1) | instskip(NEXT) | instid1(SALU_CYCLE_1)
	s_mul_i32 s3, ttmp9, s3
	s_add_co_i32 s8, s8, s3
	s_cmp_eq_u32 s9, 0
	s_cselect_b32 s16, ttmp9, s8
	s_bfe_u32 s2, s2, 0x10008
	s_ashr_i32 s17, s16, 31
	s_cmp_eq_u32 s2, 0
                                        ; implicit-def: $sgpr2_sgpr3
	s_cbranch_scc1 .LBB38_3
; %bb.2:
	s_load_b32 s2, s[0:1], 0x20
	s_mul_u64 s[4:5], s[4:5], s[16:17]
	s_delay_alu instid0(SALU_CYCLE_1) | instskip(NEXT) | instid1(SALU_CYCLE_1)
	s_lshl_b64 s[4:5], s[4:5], 2
	s_add_nc_u64 s[4:5], s[14:15], s[4:5]
	s_wait_kmcnt 0x0
	s_ashr_i32 s3, s2, 31
	s_delay_alu instid0(SALU_CYCLE_1) | instskip(NEXT) | instid1(SALU_CYCLE_1)
	s_lshl_b64 s[2:3], s[2:3], 2
	s_add_nc_u64 s[2:3], s[4:5], s[2:3]
.LBB38_3:
	s_clause 0x1
	s_load_b128 s[8:11], s[0:1], 0x0
	s_load_b32 s14, s[0:1], 0x38
	s_wait_xcnt 0x0
	s_mul_u64 s[0:1], s[12:13], s[16:17]
	s_delay_alu instid0(SALU_CYCLE_1)
	s_lshl_b64 s[0:1], s[0:1], 3
	s_wait_kmcnt 0x0
	v_add3_u32 v4, s11, s11, v0
	s_ashr_i32 s5, s10, 31
	s_mov_b32 s4, s10
	s_add_nc_u64 s[0:1], s[8:9], s[0:1]
	s_lshl_b64 s[4:5], s[4:5], 3
	v_add_nc_u32_e32 v6, s11, v4
	s_add_nc_u64 s[4:5], s[0:1], s[4:5]
	s_ashr_i32 s1, s11, 31
	s_mov_b32 s0, s11
	s_bitcmp0_b32 s14, 0
	v_add_nc_u32_e32 v10, s11, v6
	s_delay_alu instid0(VALU_DEP_1) | instskip(NEXT) | instid1(VALU_DEP_1)
	v_add_nc_u32_e32 v12, s11, v10
	v_add_nc_u32_e32 v14, s11, v12
	s_delay_alu instid0(VALU_DEP_1) | instskip(NEXT) | instid1(VALU_DEP_1)
	v_add_nc_u32_e32 v16, s11, v14
	v_add_nc_u32_e32 v18, s11, v16
	s_delay_alu instid0(VALU_DEP_1) | instskip(NEXT) | instid1(VALU_DEP_1)
	v_add_nc_u32_e32 v20, s11, v18
	v_add_nc_u32_e32 v22, s11, v20
	s_delay_alu instid0(VALU_DEP_1) | instskip(NEXT) | instid1(VALU_DEP_1)
	v_add_nc_u32_e32 v24, s11, v22
	v_add_nc_u32_e32 v26, s11, v24
	s_delay_alu instid0(VALU_DEP_1) | instskip(NEXT) | instid1(VALU_DEP_1)
	v_add_nc_u32_e32 v28, s11, v26
	v_add_nc_u32_e32 v30, s11, v28
	s_delay_alu instid0(VALU_DEP_1) | instskip(NEXT) | instid1(VALU_DEP_1)
	v_add_nc_u32_e32 v32, s11, v30
	v_add_nc_u32_e32 v34, s11, v32
	s_delay_alu instid0(VALU_DEP_1) | instskip(NEXT) | instid1(VALU_DEP_1)
	v_add_nc_u32_e32 v36, s11, v34
	v_add_nc_u32_e32 v38, s11, v36
	s_delay_alu instid0(VALU_DEP_1) | instskip(NEXT) | instid1(VALU_DEP_1)
	v_add_nc_u32_e32 v40, s11, v38
	v_add_nc_u32_e32 v42, s11, v40
	s_delay_alu instid0(VALU_DEP_1) | instskip(NEXT) | instid1(VALU_DEP_1)
	v_add_nc_u32_e32 v44, s11, v42
	v_add_nc_u32_e32 v46, s11, v44
	s_delay_alu instid0(VALU_DEP_1) | instskip(NEXT) | instid1(VALU_DEP_1)
	v_add_nc_u32_e32 v48, s11, v46
	v_add_nc_u32_e32 v50, s11, v48
	s_delay_alu instid0(VALU_DEP_1) | instskip(NEXT) | instid1(VALU_DEP_1)
	v_dual_lshlrev_b32 v80, 3, v0 :: v_dual_add_nc_u32 v52, s11, v50
	v_dual_mov_b32 v81, 0 :: v_dual_add_nc_u32 v54, s11, v52
	s_delay_alu instid0(VALU_DEP_1) | instskip(NEXT) | instid1(VALU_DEP_2)
	v_add_nc_u64_e32 v[2:3], s[4:5], v[80:81]
	v_add_nc_u32_e32 v56, s11, v54
	s_delay_alu instid0(VALU_DEP_2) | instskip(SKIP_1) | instid1(VALU_DEP_2)
	v_lshl_add_u64 v[8:9], s[0:1], 3, v[2:3]
	s_mov_b32 s1, -1
	v_add_nc_u32_e32 v58, s11, v56
	s_clause 0x9
	global_load_b64 v[82:83], v0, s[4:5] scale_offset
	global_load_b64 v[84:85], v[8:9], off
	global_load_b64 v[86:87], v4, s[4:5] scale_offset
	global_load_b64 v[88:89], v6, s[4:5] scale_offset
	;; [unrolled: 1-line block ×8, first 2 shown]
	v_add_nc_u32_e32 v60, s11, v58
	s_clause 0xf
	global_load_b64 v[102:103], v22, s[4:5] scale_offset
	global_load_b64 v[104:105], v24, s[4:5] scale_offset
	;; [unrolled: 1-line block ×16, first 2 shown]
	v_add_nc_u32_e32 v62, s11, v60
	s_delay_alu instid0(VALU_DEP_1) | instskip(NEXT) | instid1(VALU_DEP_1)
	v_add_nc_u32_e32 v64, s11, v62
	v_add_nc_u32_e32 v66, s11, v64
	s_clause 0x3
	global_load_b64 v[134:135], v54, s[4:5] scale_offset
	global_load_b64 v[136:137], v56, s[4:5] scale_offset
	;; [unrolled: 1-line block ×4, first 2 shown]
	v_add_nc_u32_e32 v68, s11, v66
	s_delay_alu instid0(VALU_DEP_1) | instskip(NEXT) | instid1(VALU_DEP_1)
	v_add_nc_u32_e32 v70, s11, v68
	v_add_nc_u32_e32 v72, s11, v70
	s_delay_alu instid0(VALU_DEP_1)
	v_add_nc_u32_e32 v74, s11, v72
	s_clause 0x3
	global_load_b64 v[142:143], v62, s[4:5] scale_offset
	global_load_b64 v[144:145], v64, s[4:5] scale_offset
	;; [unrolled: 1-line block ×4, first 2 shown]
	v_add_nc_u32_e32 v76, s11, v74
	s_delay_alu instid0(VALU_DEP_1)
	v_add_nc_u32_e32 v78, s11, v76
	s_clause 0x4
	global_load_b64 v[150:151], v70, s[4:5] scale_offset
	global_load_b64 v[152:153], v72, s[4:5] scale_offset
	;; [unrolled: 1-line block ×5, first 2 shown]
	s_wait_loadcnt 0x25
	scratch_store_b128 off, v[82:85], off
	s_wait_loadcnt 0x23
	scratch_store_b128 off, v[86:89], off offset:16
	s_wait_loadcnt 0x21
	scratch_store_b128 off, v[90:93], off offset:32
	;; [unrolled: 2-line block ×18, first 2 shown]
	s_wait_loadcnt 0x0
	scratch_store_b64 off, v[158:159], off offset:304
	s_cbranch_scc1 .LBB38_168
; %bb.4:
	v_cmp_eq_u32_e64 s0, 0, v0
	s_wait_xcnt 0x0
	s_and_saveexec_b32 s1, s0
; %bb.5:
	v_mov_b32_e32 v1, 0
	ds_store_b32 v1, v1 offset:312
; %bb.6:
	s_or_b32 exec_lo, exec_lo, s1
	s_wait_storecnt_dscnt 0x0
	s_barrier_signal -1
	s_barrier_wait -1
	scratch_load_b64 v[82:83], v0, off scale_offset
	s_wait_loadcnt 0x0
	v_cmp_eq_f32_e32 vcc_lo, 0, v82
	v_cmp_eq_f32_e64 s1, 0, v83
	s_and_b32 s1, vcc_lo, s1
	s_delay_alu instid0(SALU_CYCLE_1)
	s_and_saveexec_b32 s8, s1
	s_cbranch_execz .LBB38_10
; %bb.7:
	v_mov_b32_e32 v1, 0
	s_mov_b32 s9, 0
	ds_load_b32 v5, v1 offset:312
	s_wait_dscnt 0x0
	v_readfirstlane_b32 s1, v5
	v_add_nc_u32_e32 v5, 1, v0
	s_cmp_eq_u32 s1, 0
	s_delay_alu instid0(VALU_DEP_1) | instskip(SKIP_1) | instid1(SALU_CYCLE_1)
	v_cmp_gt_i32_e32 vcc_lo, s1, v5
	s_cselect_b32 s10, -1, 0
	s_or_b32 s10, s10, vcc_lo
	s_delay_alu instid0(SALU_CYCLE_1)
	s_and_b32 exec_lo, exec_lo, s10
	s_cbranch_execz .LBB38_10
; %bb.8:
	v_mov_b32_e32 v7, s1
.LBB38_9:                               ; =>This Inner Loop Header: Depth=1
	ds_cmpstore_rtn_b32 v7, v1, v5, v7 offset:312
	s_wait_dscnt 0x0
	v_cmp_ne_u32_e32 vcc_lo, 0, v7
	v_cmp_le_i32_e64 s1, v7, v5
	s_and_b32 s1, vcc_lo, s1
	s_delay_alu instid0(SALU_CYCLE_1) | instskip(NEXT) | instid1(SALU_CYCLE_1)
	s_and_b32 s1, exec_lo, s1
	s_or_b32 s9, s1, s9
	s_delay_alu instid0(SALU_CYCLE_1)
	s_and_not1_b32 exec_lo, exec_lo, s9
	s_cbranch_execnz .LBB38_9
.LBB38_10:
	s_or_b32 exec_lo, exec_lo, s8
	v_mov_b32_e32 v1, 0
	s_barrier_signal -1
	s_barrier_wait -1
	ds_load_b32 v5, v1 offset:312
	s_and_saveexec_b32 s1, s0
	s_cbranch_execz .LBB38_12
; %bb.11:
	s_lshl_b64 s[8:9], s[16:17], 2
	s_delay_alu instid0(SALU_CYCLE_1)
	s_add_nc_u64 s[8:9], s[6:7], s[8:9]
	s_wait_dscnt 0x0
	global_store_b32 v1, v5, s[8:9]
.LBB38_12:
	s_wait_xcnt 0x0
	s_or_b32 exec_lo, exec_lo, s1
	s_wait_dscnt 0x0
	v_cmp_ne_u32_e32 vcc_lo, 0, v5
	s_mov_b32 s1, 0
	s_cbranch_vccnz .LBB38_168
; %bb.13:
	v_lshl_add_u32 v5, v0, 3, 0
                                        ; implicit-def: $vgpr85
                                        ; implicit-def: $vgpr86
	scratch_load_b64 v[82:83], v5, off
	s_wait_loadcnt 0x0
	v_cmp_ngt_f32_e64 s1, |v82|, |v83|
	s_wait_xcnt 0x0
	s_and_saveexec_b32 s8, s1
	s_delay_alu instid0(SALU_CYCLE_1)
	s_xor_b32 s1, exec_lo, s8
	s_cbranch_execz .LBB38_15
; %bb.14:
	v_div_scale_f32 v1, null, v83, v83, v82
	v_div_scale_f32 v13, vcc_lo, v82, v83, v82
	s_delay_alu instid0(VALU_DEP_2) | instskip(SKIP_1) | instid1(TRANS32_DEP_1)
	v_rcp_f32_e32 v7, v1
	v_nop
	v_fma_f32 v11, -v1, v7, 1.0
	s_delay_alu instid0(VALU_DEP_1) | instskip(NEXT) | instid1(VALU_DEP_1)
	v_fmac_f32_e32 v7, v11, v7
	v_mul_f32_e32 v11, v13, v7
	s_delay_alu instid0(VALU_DEP_1) | instskip(NEXT) | instid1(VALU_DEP_1)
	v_fma_f32 v15, -v1, v11, v13
	v_fmac_f32_e32 v11, v15, v7
	s_delay_alu instid0(VALU_DEP_1) | instskip(NEXT) | instid1(VALU_DEP_1)
	v_fma_f32 v1, -v1, v11, v13
	v_div_fmas_f32 v1, v1, v7, v11
	s_delay_alu instid0(VALU_DEP_1) | instskip(NEXT) | instid1(VALU_DEP_1)
	v_div_fixup_f32 v1, v1, v83, v82
	v_fmac_f32_e32 v83, v82, v1
	s_delay_alu instid0(VALU_DEP_1) | instskip(NEXT) | instid1(VALU_DEP_1)
	v_div_scale_f32 v7, null, v83, v83, -1.0
	v_rcp_f32_e32 v11, v7
	v_nop
	s_delay_alu instid0(TRANS32_DEP_1) | instskip(NEXT) | instid1(VALU_DEP_1)
	v_fma_f32 v13, -v7, v11, 1.0
	v_fmac_f32_e32 v11, v13, v11
	v_div_scale_f32 v13, vcc_lo, -1.0, v83, -1.0
	s_delay_alu instid0(VALU_DEP_1) | instskip(NEXT) | instid1(VALU_DEP_1)
	v_mul_f32_e32 v15, v13, v11
	v_fma_f32 v17, -v7, v15, v13
	s_delay_alu instid0(VALU_DEP_1) | instskip(NEXT) | instid1(VALU_DEP_1)
	v_fmac_f32_e32 v15, v17, v11
	v_fma_f32 v7, -v7, v15, v13
	s_delay_alu instid0(VALU_DEP_1) | instskip(NEXT) | instid1(VALU_DEP_1)
	v_div_fmas_f32 v7, v7, v11, v15
	v_div_fixup_f32 v85, v7, v83, -1.0
                                        ; implicit-def: $vgpr82_vgpr83
	s_delay_alu instid0(VALU_DEP_1) | instskip(NEXT) | instid1(VALU_DEP_1)
	v_mul_f32_e32 v86, v1, v85
	v_xor_b32_e32 v84, 0x80000000, v86
.LBB38_15:
	s_and_not1_saveexec_b32 s1, s1
	s_cbranch_execz .LBB38_17
; %bb.16:
	v_div_scale_f32 v1, null, v82, v82, v83
	v_div_scale_f32 v13, vcc_lo, v83, v82, v83
	s_delay_alu instid0(VALU_DEP_2) | instskip(SKIP_1) | instid1(TRANS32_DEP_1)
	v_rcp_f32_e32 v7, v1
	v_nop
	v_fma_f32 v11, -v1, v7, 1.0
	s_delay_alu instid0(VALU_DEP_1) | instskip(NEXT) | instid1(VALU_DEP_1)
	v_fmac_f32_e32 v7, v11, v7
	v_mul_f32_e32 v11, v13, v7
	s_delay_alu instid0(VALU_DEP_1) | instskip(NEXT) | instid1(VALU_DEP_1)
	v_fma_f32 v15, -v1, v11, v13
	v_fmac_f32_e32 v11, v15, v7
	s_delay_alu instid0(VALU_DEP_1) | instskip(NEXT) | instid1(VALU_DEP_1)
	v_fma_f32 v1, -v1, v11, v13
	v_div_fmas_f32 v1, v1, v7, v11
	s_delay_alu instid0(VALU_DEP_1) | instskip(NEXT) | instid1(VALU_DEP_1)
	v_div_fixup_f32 v1, v1, v82, v83
	v_fmac_f32_e32 v82, v83, v1
	s_delay_alu instid0(VALU_DEP_1) | instskip(SKIP_1) | instid1(VALU_DEP_2)
	v_div_scale_f32 v7, null, v82, v82, 1.0
	v_div_scale_f32 v15, vcc_lo, 1.0, v82, 1.0
	v_rcp_f32_e32 v11, v7
	v_nop
	s_delay_alu instid0(TRANS32_DEP_1) | instskip(NEXT) | instid1(VALU_DEP_1)
	v_fma_f32 v13, -v7, v11, 1.0
	v_fmac_f32_e32 v11, v13, v11
	s_delay_alu instid0(VALU_DEP_1) | instskip(NEXT) | instid1(VALU_DEP_1)
	v_mul_f32_e32 v13, v15, v11
	v_fma_f32 v17, -v7, v13, v15
	s_delay_alu instid0(VALU_DEP_1) | instskip(NEXT) | instid1(VALU_DEP_1)
	v_fmac_f32_e32 v13, v17, v11
	v_fma_f32 v7, -v7, v13, v15
	s_delay_alu instid0(VALU_DEP_1) | instskip(NEXT) | instid1(VALU_DEP_1)
	v_div_fmas_f32 v7, v7, v11, v13
	v_div_fixup_f32 v84, v7, v82, 1.0
	s_delay_alu instid0(VALU_DEP_1)
	v_xor_b32_e32 v86, 0x80000000, v84
	v_mul_f32_e64 v85, v1, -v84
.LBB38_17:
	s_or_b32 exec_lo, exec_lo, s1
	scratch_store_b64 v5, v[84:85], off
	scratch_load_b64 v[82:83], off, off offset:8
	v_xor_b32_e32 v87, 0x80000000, v85
	v_add_nc_u32_e32 v1, 0x140, v80
	s_wait_loadcnt 0x0
	ds_store_2addr_b64 v80, v[86:87], v[82:83] offset1:40
	s_wait_storecnt_dscnt 0x0
	s_barrier_signal -1
	s_barrier_wait -1
	s_wait_xcnt 0x0
	s_and_saveexec_b32 s1, s0
	s_cbranch_execz .LBB38_19
; %bb.18:
	scratch_load_b64 v[82:83], v5, off
	ds_load_b64 v[84:85], v1
	s_wait_loadcnt_dscnt 0x0
	v_pk_mul_f32 v[88:89], v[84:85], v[82:83] op_sel:[1,1] op_sel_hi:[0,1]
	s_delay_alu instid0(VALU_DEP_1) | instskip(SKIP_2) | instid1(VALU_DEP_3)
	v_pk_fma_f32 v[90:91], v[84:85], v[82:83], v[88:89] op_sel_hi:[1,0,1]
	v_mov_b32_e32 v7, 0
	v_pk_fma_f32 v[82:83], v[84:85], v[82:83], v[88:89] neg_lo:[0,0,1] neg_hi:[0,0,1]
	v_mov_b32_e32 v83, v91
	ds_load_b64 v[86:87], v7 offset:8
	v_pk_add_f32 v[82:83], v[82:83], 0 op_sel_hi:[1,0]
	s_wait_dscnt 0x0
	s_delay_alu instid0(VALU_DEP_1) | instskip(NEXT) | instid1(VALU_DEP_1)
	v_pk_mul_f32 v[84:85], v[82:83], v[86:87] op_sel:[1,1] op_sel_hi:[0,1]
	v_pk_fma_f32 v[88:89], v[82:83], v[86:87], v[84:85] op_sel_hi:[1,0,1]
	v_pk_fma_f32 v[82:83], v[82:83], v[86:87], v[84:85] neg_lo:[0,0,1] neg_hi:[0,0,1]
	s_delay_alu instid0(VALU_DEP_2)
	v_mov_b32_e32 v83, v89
	scratch_store_b64 off, v[82:83], off offset:8
.LBB38_19:
	s_wait_xcnt 0x0
	s_or_b32 exec_lo, exec_lo, s1
	s_wait_storecnt 0x0
	s_barrier_signal -1
	s_barrier_wait -1
	scratch_load_b64 v[82:83], off, off offset:16
	s_mov_b32 s1, exec_lo
	s_wait_loadcnt 0x0
	ds_store_b64 v1, v[82:83]
	s_wait_dscnt 0x0
	s_barrier_signal -1
	s_barrier_wait -1
	v_cmpx_gt_u32_e32 2, v0
	s_cbranch_execz .LBB38_23
; %bb.20:
	scratch_load_b64 v[82:83], v5, off
	ds_load_b64 v[84:85], v1
	s_wait_loadcnt_dscnt 0x0
	v_pk_mul_f32 v[86:87], v[84:85], v[82:83] op_sel:[1,1] op_sel_hi:[0,1]
	s_delay_alu instid0(VALU_DEP_1) | instskip(SKIP_1) | instid1(VALU_DEP_2)
	v_pk_fma_f32 v[88:89], v[84:85], v[82:83], v[86:87] op_sel_hi:[1,0,1]
	v_pk_fma_f32 v[82:83], v[84:85], v[82:83], v[86:87] neg_lo:[0,0,1] neg_hi:[0,0,1]
	v_mov_b32_e32 v83, v89
	s_delay_alu instid0(VALU_DEP_1)
	v_pk_add_f32 v[82:83], v[82:83], 0 op_sel_hi:[1,0]
	s_and_saveexec_b32 s8, s0
	s_cbranch_execz .LBB38_22
; %bb.21:
	scratch_load_b64 v[84:85], off, off offset:8
	v_mov_b32_e32 v5, 0
	ds_load_b64 v[86:87], v5 offset:328
	s_wait_loadcnt_dscnt 0x0
	v_pk_mul_f32 v[88:89], v[86:87], v[84:85] op_sel:[1,1] op_sel_hi:[0,1]
	s_delay_alu instid0(VALU_DEP_1) | instskip(SKIP_1) | instid1(VALU_DEP_2)
	v_pk_fma_f32 v[90:91], v[86:87], v[84:85], v[88:89] op_sel_hi:[1,0,1]
	v_pk_fma_f32 v[84:85], v[86:87], v[84:85], v[88:89] neg_lo:[0,0,1] neg_hi:[0,0,1]
	v_mov_b32_e32 v85, v91
	s_delay_alu instid0(VALU_DEP_1)
	v_pk_add_f32 v[82:83], v[82:83], v[84:85]
.LBB38_22:
	s_or_b32 exec_lo, exec_lo, s8
	v_mov_b32_e32 v5, 0
	ds_load_b64 v[84:85], v5 offset:16
	s_wait_dscnt 0x0
	v_pk_mul_f32 v[86:87], v[82:83], v[84:85] op_sel:[1,1] op_sel_hi:[0,1]
	s_delay_alu instid0(VALU_DEP_1) | instskip(SKIP_1) | instid1(VALU_DEP_2)
	v_pk_fma_f32 v[88:89], v[82:83], v[84:85], v[86:87] op_sel_hi:[1,0,1]
	v_pk_fma_f32 v[82:83], v[82:83], v[84:85], v[86:87] neg_lo:[0,0,1] neg_hi:[0,0,1]
	v_mov_b32_e32 v83, v89
	scratch_store_b64 off, v[82:83], off offset:16
.LBB38_23:
	s_wait_xcnt 0x0
	s_or_b32 exec_lo, exec_lo, s1
	s_wait_storecnt 0x0
	s_barrier_signal -1
	s_barrier_wait -1
	scratch_load_b64 v[82:83], off, off offset:24
	v_add_nc_u32_e32 v5, -1, v0
	s_mov_b32 s0, exec_lo
	s_wait_loadcnt 0x0
	ds_store_b64 v1, v[82:83]
	s_wait_dscnt 0x0
	s_barrier_signal -1
	s_barrier_wait -1
	v_cmpx_gt_u32_e32 3, v0
	s_cbranch_execz .LBB38_27
; %bb.24:
	v_dual_mov_b32 v82, 0 :: v_dual_add_nc_u32 v7, -1, v0
	v_add_nc_u32_e32 v11, 0x140, v80
	v_mov_b32_e32 v13, v80
	s_mov_b32 s1, 0
	s_delay_alu instid0(VALU_DEP_3)
	v_mov_b32_e32 v83, v82
.LBB38_25:                              ; =>This Inner Loop Header: Depth=1
	scratch_load_b64 v[84:85], v13, off
	ds_load_b64 v[86:87], v11
	s_wait_xcnt 0x0
	v_dual_add_nc_u32 v11, 8, v11 :: v_dual_add_nc_u32 v13, 8, v13
	s_wait_loadcnt_dscnt 0x0
	v_pk_mul_f32 v[88:89], v[86:87], v[84:85] op_sel:[1,1] op_sel_hi:[0,1]
	s_delay_alu instid0(VALU_DEP_1) | instskip(SKIP_2) | instid1(VALU_DEP_3)
	v_pk_fma_f32 v[90:91], v[86:87], v[84:85], v[88:89] op_sel_hi:[1,0,1]
	v_add_nc_u32_e32 v7, 1, v7
	v_pk_fma_f32 v[84:85], v[86:87], v[84:85], v[88:89] neg_lo:[0,0,1] neg_hi:[0,0,1]
	v_mov_b32_e32 v85, v91
	s_delay_alu instid0(VALU_DEP_3) | instskip(NEXT) | instid1(VALU_DEP_2)
	v_cmp_lt_u32_e32 vcc_lo, 1, v7
	v_pk_add_f32 v[82:83], v[82:83], v[84:85]
	s_or_b32 s1, vcc_lo, s1
	s_delay_alu instid0(SALU_CYCLE_1)
	s_and_not1_b32 exec_lo, exec_lo, s1
	s_cbranch_execnz .LBB38_25
; %bb.26:
	s_or_b32 exec_lo, exec_lo, s1
	v_mov_b32_e32 v7, 0
	ds_load_b64 v[84:85], v7 offset:24
	s_wait_dscnt 0x0
	v_pk_mul_f32 v[86:87], v[82:83], v[84:85] op_sel:[1,1] op_sel_hi:[0,1]
	s_delay_alu instid0(VALU_DEP_1) | instskip(SKIP_1) | instid1(VALU_DEP_2)
	v_pk_fma_f32 v[88:89], v[82:83], v[84:85], v[86:87] op_sel_hi:[1,0,1]
	v_pk_fma_f32 v[82:83], v[82:83], v[84:85], v[86:87] neg_lo:[0,0,1] neg_hi:[0,0,1]
	v_mov_b32_e32 v83, v89
	scratch_store_b64 off, v[82:83], off offset:24
.LBB38_27:
	s_wait_xcnt 0x0
	s_or_b32 exec_lo, exec_lo, s0
	s_wait_storecnt 0x0
	s_barrier_signal -1
	s_barrier_wait -1
	scratch_load_b64 v[82:83], off, off offset:32
	s_mov_b32 s0, exec_lo
	s_wait_loadcnt 0x0
	ds_store_b64 v1, v[82:83]
	s_wait_dscnt 0x0
	s_barrier_signal -1
	s_barrier_wait -1
	v_cmpx_gt_u32_e32 4, v0
	s_cbranch_execz .LBB38_31
; %bb.28:
	v_dual_mov_b32 v82, 0 :: v_dual_add_nc_u32 v7, -1, v0
	v_add_nc_u32_e32 v11, 0x140, v80
	v_mov_b32_e32 v13, v80
	s_mov_b32 s1, 0
	s_delay_alu instid0(VALU_DEP_3)
	v_mov_b32_e32 v83, v82
.LBB38_29:                              ; =>This Inner Loop Header: Depth=1
	scratch_load_b64 v[84:85], v13, off
	ds_load_b64 v[86:87], v11
	s_wait_xcnt 0x0
	v_dual_add_nc_u32 v11, 8, v11 :: v_dual_add_nc_u32 v13, 8, v13
	s_wait_loadcnt_dscnt 0x0
	v_pk_mul_f32 v[88:89], v[86:87], v[84:85] op_sel:[1,1] op_sel_hi:[0,1]
	s_delay_alu instid0(VALU_DEP_1) | instskip(SKIP_2) | instid1(VALU_DEP_3)
	v_pk_fma_f32 v[90:91], v[86:87], v[84:85], v[88:89] op_sel_hi:[1,0,1]
	v_add_nc_u32_e32 v7, 1, v7
	v_pk_fma_f32 v[84:85], v[86:87], v[84:85], v[88:89] neg_lo:[0,0,1] neg_hi:[0,0,1]
	v_mov_b32_e32 v85, v91
	s_delay_alu instid0(VALU_DEP_3) | instskip(NEXT) | instid1(VALU_DEP_2)
	v_cmp_lt_u32_e32 vcc_lo, 2, v7
	v_pk_add_f32 v[82:83], v[82:83], v[84:85]
	s_or_b32 s1, vcc_lo, s1
	s_delay_alu instid0(SALU_CYCLE_1)
	s_and_not1_b32 exec_lo, exec_lo, s1
	s_cbranch_execnz .LBB38_29
; %bb.30:
	s_or_b32 exec_lo, exec_lo, s1
	v_mov_b32_e32 v7, 0
	ds_load_b64 v[84:85], v7 offset:32
	s_wait_dscnt 0x0
	v_pk_mul_f32 v[86:87], v[82:83], v[84:85] op_sel:[1,1] op_sel_hi:[0,1]
	s_delay_alu instid0(VALU_DEP_1) | instskip(SKIP_1) | instid1(VALU_DEP_2)
	v_pk_fma_f32 v[88:89], v[82:83], v[84:85], v[86:87] op_sel_hi:[1,0,1]
	v_pk_fma_f32 v[82:83], v[82:83], v[84:85], v[86:87] neg_lo:[0,0,1] neg_hi:[0,0,1]
	v_mov_b32_e32 v83, v89
	scratch_store_b64 off, v[82:83], off offset:32
.LBB38_31:
	s_wait_xcnt 0x0
	s_or_b32 exec_lo, exec_lo, s0
	s_wait_storecnt 0x0
	s_barrier_signal -1
	s_barrier_wait -1
	scratch_load_b64 v[82:83], off, off offset:40
	;; [unrolled: 52-line block ×19, first 2 shown]
	s_mov_b32 s0, exec_lo
	s_wait_loadcnt 0x0
	ds_store_b64 v1, v[82:83]
	s_wait_dscnt 0x0
	s_barrier_signal -1
	s_barrier_wait -1
	v_cmpx_gt_u32_e32 22, v0
	s_cbranch_execz .LBB38_103
; %bb.100:
	v_dual_mov_b32 v82, 0 :: v_dual_add_nc_u32 v7, -1, v0
	v_add_nc_u32_e32 v11, 0x140, v80
	v_mov_b32_e32 v13, v80
	s_mov_b32 s1, 0
	s_delay_alu instid0(VALU_DEP_3)
	v_mov_b32_e32 v83, v82
.LBB38_101:                             ; =>This Inner Loop Header: Depth=1
	scratch_load_b64 v[84:85], v13, off
	ds_load_b64 v[86:87], v11
	s_wait_xcnt 0x0
	v_dual_add_nc_u32 v11, 8, v11 :: v_dual_add_nc_u32 v13, 8, v13
	s_wait_loadcnt_dscnt 0x0
	v_pk_mul_f32 v[88:89], v[86:87], v[84:85] op_sel:[1,1] op_sel_hi:[0,1]
	s_delay_alu instid0(VALU_DEP_1) | instskip(SKIP_2) | instid1(VALU_DEP_3)
	v_pk_fma_f32 v[90:91], v[86:87], v[84:85], v[88:89] op_sel_hi:[1,0,1]
	v_add_nc_u32_e32 v7, 1, v7
	v_pk_fma_f32 v[84:85], v[86:87], v[84:85], v[88:89] neg_lo:[0,0,1] neg_hi:[0,0,1]
	v_mov_b32_e32 v85, v91
	s_delay_alu instid0(VALU_DEP_3) | instskip(NEXT) | instid1(VALU_DEP_2)
	v_cmp_lt_u32_e32 vcc_lo, 20, v7
	v_pk_add_f32 v[82:83], v[82:83], v[84:85]
	s_or_b32 s1, vcc_lo, s1
	s_delay_alu instid0(SALU_CYCLE_1)
	s_and_not1_b32 exec_lo, exec_lo, s1
	s_cbranch_execnz .LBB38_101
; %bb.102:
	s_or_b32 exec_lo, exec_lo, s1
	v_mov_b32_e32 v7, 0
	ds_load_b64 v[84:85], v7 offset:176
	s_wait_dscnt 0x0
	v_pk_mul_f32 v[86:87], v[82:83], v[84:85] op_sel:[1,1] op_sel_hi:[0,1]
	s_delay_alu instid0(VALU_DEP_1) | instskip(SKIP_1) | instid1(VALU_DEP_2)
	v_pk_fma_f32 v[88:89], v[82:83], v[84:85], v[86:87] op_sel_hi:[1,0,1]
	v_pk_fma_f32 v[82:83], v[82:83], v[84:85], v[86:87] neg_lo:[0,0,1] neg_hi:[0,0,1]
	v_mov_b32_e32 v83, v89
	scratch_store_b64 off, v[82:83], off offset:176
.LBB38_103:
	s_wait_xcnt 0x0
	s_or_b32 exec_lo, exec_lo, s0
	s_wait_storecnt 0x0
	s_barrier_signal -1
	s_barrier_wait -1
	scratch_load_b64 v[82:83], off, off offset:184
	s_mov_b32 s0, exec_lo
	s_wait_loadcnt 0x0
	ds_store_b64 v1, v[82:83]
	s_wait_dscnt 0x0
	s_barrier_signal -1
	s_barrier_wait -1
	v_cmpx_gt_u32_e32 23, v0
	s_cbranch_execz .LBB38_107
; %bb.104:
	v_dual_mov_b32 v82, 0 :: v_dual_add_nc_u32 v7, -1, v0
	v_add_nc_u32_e32 v11, 0x140, v80
	v_mov_b32_e32 v13, v80
	s_mov_b32 s1, 0
	s_delay_alu instid0(VALU_DEP_3)
	v_mov_b32_e32 v83, v82
.LBB38_105:                             ; =>This Inner Loop Header: Depth=1
	scratch_load_b64 v[84:85], v13, off
	ds_load_b64 v[86:87], v11
	s_wait_xcnt 0x0
	v_dual_add_nc_u32 v11, 8, v11 :: v_dual_add_nc_u32 v13, 8, v13
	s_wait_loadcnt_dscnt 0x0
	v_pk_mul_f32 v[88:89], v[86:87], v[84:85] op_sel:[1,1] op_sel_hi:[0,1]
	s_delay_alu instid0(VALU_DEP_1) | instskip(SKIP_2) | instid1(VALU_DEP_3)
	v_pk_fma_f32 v[90:91], v[86:87], v[84:85], v[88:89] op_sel_hi:[1,0,1]
	v_add_nc_u32_e32 v7, 1, v7
	v_pk_fma_f32 v[84:85], v[86:87], v[84:85], v[88:89] neg_lo:[0,0,1] neg_hi:[0,0,1]
	v_mov_b32_e32 v85, v91
	s_delay_alu instid0(VALU_DEP_3) | instskip(NEXT) | instid1(VALU_DEP_2)
	v_cmp_lt_u32_e32 vcc_lo, 21, v7
	v_pk_add_f32 v[82:83], v[82:83], v[84:85]
	s_or_b32 s1, vcc_lo, s1
	s_delay_alu instid0(SALU_CYCLE_1)
	s_and_not1_b32 exec_lo, exec_lo, s1
	s_cbranch_execnz .LBB38_105
; %bb.106:
	s_or_b32 exec_lo, exec_lo, s1
	v_mov_b32_e32 v7, 0
	ds_load_b64 v[84:85], v7 offset:184
	s_wait_dscnt 0x0
	v_pk_mul_f32 v[86:87], v[82:83], v[84:85] op_sel:[1,1] op_sel_hi:[0,1]
	s_delay_alu instid0(VALU_DEP_1) | instskip(SKIP_1) | instid1(VALU_DEP_2)
	v_pk_fma_f32 v[88:89], v[82:83], v[84:85], v[86:87] op_sel_hi:[1,0,1]
	v_pk_fma_f32 v[82:83], v[82:83], v[84:85], v[86:87] neg_lo:[0,0,1] neg_hi:[0,0,1]
	v_mov_b32_e32 v83, v89
	scratch_store_b64 off, v[82:83], off offset:184
.LBB38_107:
	s_wait_xcnt 0x0
	s_or_b32 exec_lo, exec_lo, s0
	s_wait_storecnt 0x0
	s_barrier_signal -1
	s_barrier_wait -1
	scratch_load_b64 v[82:83], off, off offset:192
	;; [unrolled: 52-line block ×16, first 2 shown]
	s_mov_b32 s0, exec_lo
	s_wait_loadcnt 0x0
	ds_store_b64 v1, v[82:83]
	s_wait_dscnt 0x0
	s_barrier_signal -1
	s_barrier_wait -1
	v_cmpx_ne_u32_e32 38, v0
	s_cbranch_execz .LBB38_167
; %bb.164:
	v_dual_mov_b32 v82, 0 :: v_dual_mov_b32 v7, v80
	s_mov_b32 s1, 0
	s_delay_alu instid0(VALU_DEP_1)
	v_mov_b32_e32 v83, v82
.LBB38_165:                             ; =>This Inner Loop Header: Depth=1
	scratch_load_b64 v[80:81], v7, off
	ds_load_b64 v[84:85], v1
	s_wait_xcnt 0x0
	v_dual_add_nc_u32 v1, 8, v1 :: v_dual_add_nc_u32 v7, 8, v7
	s_wait_loadcnt_dscnt 0x0
	v_pk_mul_f32 v[86:87], v[84:85], v[80:81] op_sel:[1,1] op_sel_hi:[0,1]
	s_delay_alu instid0(VALU_DEP_1) | instskip(SKIP_2) | instid1(VALU_DEP_3)
	v_pk_fma_f32 v[88:89], v[84:85], v[80:81], v[86:87] op_sel_hi:[1,0,1]
	v_add_nc_u32_e32 v5, 1, v5
	v_pk_fma_f32 v[80:81], v[84:85], v[80:81], v[86:87] neg_lo:[0,0,1] neg_hi:[0,0,1]
	v_mov_b32_e32 v81, v89
	s_delay_alu instid0(VALU_DEP_3) | instskip(NEXT) | instid1(VALU_DEP_2)
	v_cmp_lt_u32_e32 vcc_lo, 36, v5
	v_pk_add_f32 v[82:83], v[82:83], v[80:81]
	s_or_b32 s1, vcc_lo, s1
	s_delay_alu instid0(SALU_CYCLE_1)
	s_and_not1_b32 exec_lo, exec_lo, s1
	s_cbranch_execnz .LBB38_165
; %bb.166:
	s_or_b32 exec_lo, exec_lo, s1
	v_mov_b32_e32 v1, 0
	ds_load_b64 v[80:81], v1 offset:304
	s_wait_dscnt 0x0
	v_pk_mul_f32 v[84:85], v[82:83], v[80:81] op_sel:[1,1] op_sel_hi:[0,1]
	s_delay_alu instid0(VALU_DEP_1) | instskip(SKIP_1) | instid1(VALU_DEP_2)
	v_pk_fma_f32 v[86:87], v[82:83], v[80:81], v[84:85] op_sel_hi:[1,0,1]
	v_pk_fma_f32 v[80:81], v[82:83], v[80:81], v[84:85] neg_lo:[0,0,1] neg_hi:[0,0,1]
	v_mov_b32_e32 v81, v87
	scratch_store_b64 off, v[80:81], off offset:304
.LBB38_167:
	s_wait_xcnt 0x0
	s_or_b32 exec_lo, exec_lo, s0
	s_mov_b32 s1, -1
	s_wait_storecnt 0x0
	s_barrier_signal -1
	s_barrier_wait -1
.LBB38_168:
	s_and_b32 vcc_lo, exec_lo, s1
	s_cbranch_vccz .LBB38_170
; %bb.169:
	v_mov_b32_e32 v1, 0
	s_lshl_b64 s[0:1], s[16:17], 2
	s_delay_alu instid0(SALU_CYCLE_1)
	s_add_nc_u64 s[0:1], s[6:7], s[0:1]
	global_load_b32 v1, v1, s[0:1]
	s_wait_loadcnt 0x0
	v_cmp_ne_u32_e32 vcc_lo, 0, v1
	s_cbranch_vccz .LBB38_171
.LBB38_170:
	s_sendmsg sendmsg(MSG_DEALLOC_VGPRS)
	s_endpgm
.LBB38_171:
	s_wait_xcnt 0x0
	v_lshl_add_u32 v1, v0, 3, 0x140
	s_mov_b32 s0, exec_lo
	v_cmpx_eq_u32_e32 38, v0
	s_cbranch_execz .LBB38_173
; %bb.172:
	scratch_load_b64 v[80:81], off, off offset:296
	v_mov_b64_e32 v[82:83], 0
	scratch_store_b64 off, v[82:83], off offset:296
	s_wait_loadcnt 0x0
	ds_store_b64 v1, v[80:81]
.LBB38_173:
	s_wait_xcnt 0x0
	s_or_b32 exec_lo, exec_lo, s0
	s_wait_storecnt_dscnt 0x0
	s_barrier_signal -1
	s_barrier_wait -1
	s_clause 0x1
	scratch_load_b64 v[80:81], off, off offset:304
	scratch_load_b64 v[82:83], off, off offset:296
	v_mov_b32_e32 v5, 0
	s_mov_b32 s0, exec_lo
	ds_load_b64 v[84:85], v5 offset:624
	s_wait_loadcnt_dscnt 0x100
	v_pk_mul_f32 v[86:87], v[84:85], v[80:81] op_sel:[1,1] op_sel_hi:[0,1]
	s_delay_alu instid0(VALU_DEP_1) | instskip(SKIP_1) | instid1(VALU_DEP_2)
	v_pk_fma_f32 v[88:89], v[84:85], v[80:81], v[86:87] op_sel_hi:[1,0,1]
	v_pk_fma_f32 v[80:81], v[84:85], v[80:81], v[86:87] neg_lo:[0,0,1] neg_hi:[0,0,1]
	v_mov_b32_e32 v81, v89
	s_delay_alu instid0(VALU_DEP_1) | instskip(SKIP_1) | instid1(VALU_DEP_1)
	v_pk_add_f32 v[80:81], v[80:81], 0 op_sel_hi:[1,0]
	s_wait_loadcnt 0x0
	v_pk_add_f32 v[80:81], v[82:83], v[80:81] neg_lo:[0,1] neg_hi:[0,1]
	scratch_store_b64 off, v[80:81], off offset:296
	s_wait_xcnt 0x0
	v_cmpx_lt_u32_e32 36, v0
	s_cbranch_execz .LBB38_175
; %bb.174:
	scratch_load_b64 v[80:81], off, off offset:288
	v_mov_b64_e32 v[82:83], 0
	scratch_store_b64 off, v[82:83], off offset:288
	s_wait_loadcnt 0x0
	ds_store_b64 v1, v[80:81]
.LBB38_175:
	s_wait_xcnt 0x0
	s_or_b32 exec_lo, exec_lo, s0
	s_wait_storecnt_dscnt 0x0
	s_barrier_signal -1
	s_barrier_wait -1
	s_clause 0x1
	scratch_load_b128 v[80:83], off, off offset:296
	scratch_load_b64 v[88:89], off, off offset:288
	ds_load_2addr_b64 v[84:87], v5 offset0:77 offset1:78
	s_mov_b32 s0, exec_lo
	s_wait_dscnt 0x0
	v_dual_mov_b32 v90, v87 :: v_dual_mov_b32 v91, v86
	s_wait_loadcnt 0x1
	v_pk_mul_f32 v[92:93], v[84:85], v[80:81] op_sel:[1,1] op_sel_hi:[0,1]
	s_delay_alu instid0(VALU_DEP_1) | instskip(SKIP_2) | instid1(VALU_DEP_3)
	v_pk_fma_f32 v[96:97], v[84:85], v[80:81], v[92:93] op_sel_hi:[1,0,1]
	v_mov_b32_e32 v94, v83
	v_pk_fma_f32 v[80:81], v[84:85], v[80:81], v[92:93] neg_lo:[0,0,1] neg_hi:[0,0,1]
	v_mov_b32_e32 v81, v97
	s_delay_alu instid0(VALU_DEP_3) | instskip(NEXT) | instid1(VALU_DEP_2)
	v_pk_mul_f32 v[90:91], v[90:91], v[94:95] op_sel_hi:[1,0]
	v_pk_add_f32 v[80:81], v[80:81], 0 op_sel_hi:[1,0]
	s_delay_alu instid0(VALU_DEP_2) | instskip(SKIP_1) | instid1(VALU_DEP_2)
	v_pk_fma_f32 v[84:85], v[86:87], v[82:83], v[90:91] op_sel_hi:[1,0,1]
	v_pk_fma_f32 v[82:83], v[86:87], v[82:83], v[90:91] neg_lo:[0,0,1] neg_hi:[0,0,1]
	v_mov_b32_e32 v83, v85
	s_delay_alu instid0(VALU_DEP_1) | instskip(SKIP_1) | instid1(VALU_DEP_1)
	v_pk_add_f32 v[80:81], v[80:81], v[82:83]
	s_wait_loadcnt 0x0
	v_pk_add_f32 v[80:81], v[88:89], v[80:81] neg_lo:[0,1] neg_hi:[0,1]
	scratch_store_b64 off, v[80:81], off offset:288
	s_wait_xcnt 0x0
	v_cmpx_lt_u32_e32 35, v0
	s_cbranch_execz .LBB38_177
; %bb.176:
	scratch_load_b64 v[80:81], off, off offset:280
	v_mov_b64_e32 v[82:83], 0
	scratch_store_b64 off, v[82:83], off offset:280
	s_wait_loadcnt 0x0
	ds_store_b64 v1, v[80:81]
.LBB38_177:
	s_wait_xcnt 0x0
	s_or_b32 exec_lo, exec_lo, s0
	s_wait_storecnt_dscnt 0x0
	s_barrier_signal -1
	s_barrier_wait -1
	s_clause 0x2
	scratch_load_b128 v[80:83], off, off offset:288
	scratch_load_b64 v[88:89], off, off offset:304
	scratch_load_b64 v[90:91], off, off offset:280
	v_mov_b32_e32 v5, 0
	ds_load_b128 v[84:87], v5 offset:608
	ds_load_b64 v[92:93], v5 offset:624
	s_mov_b32 s0, exec_lo
	s_wait_dscnt 0x1
	v_dual_mov_b32 v94, v87 :: v_dual_mov_b32 v95, v86
	s_wait_loadcnt 0x2
	v_mov_b32_e32 v98, v83
	v_pk_mul_f32 v[96:97], v[84:85], v[80:81] op_sel:[1,1] op_sel_hi:[0,1]
	s_delay_alu instid0(VALU_DEP_2) | instskip(NEXT) | instid1(VALU_DEP_2)
	v_pk_mul_f32 v[94:95], v[94:95], v[98:99] op_sel_hi:[1,0]
	v_pk_fma_f32 v[100:101], v[84:85], v[80:81], v[96:97] op_sel_hi:[1,0,1]
	v_pk_fma_f32 v[80:81], v[84:85], v[80:81], v[96:97] neg_lo:[0,0,1] neg_hi:[0,0,1]
	s_wait_loadcnt_dscnt 0x100
	v_pk_mul_f32 v[96:97], v[92:93], v[88:89] op_sel:[1,1] op_sel_hi:[0,1]
	v_pk_fma_f32 v[84:85], v[86:87], v[82:83], v[94:95] op_sel_hi:[1,0,1]
	v_mov_b32_e32 v81, v101
	v_pk_fma_f32 v[82:83], v[86:87], v[82:83], v[94:95] neg_lo:[0,0,1] neg_hi:[0,0,1]
	s_delay_alu instid0(VALU_DEP_4) | instskip(NEXT) | instid1(VALU_DEP_4)
	v_pk_fma_f32 v[86:87], v[92:93], v[88:89], v[96:97] neg_lo:[0,0,1] neg_hi:[0,0,1]
	v_mov_b32_e32 v83, v85
	s_delay_alu instid0(VALU_DEP_4) | instskip(SKIP_1) | instid1(VALU_DEP_2)
	v_pk_add_f32 v[80:81], v[80:81], 0 op_sel_hi:[1,0]
	v_pk_fma_f32 v[84:85], v[92:93], v[88:89], v[96:97] op_sel_hi:[1,0,1]
	v_pk_add_f32 v[80:81], v[80:81], v[82:83]
	s_delay_alu instid0(VALU_DEP_2) | instskip(NEXT) | instid1(VALU_DEP_1)
	v_mov_b32_e32 v87, v85
	v_pk_add_f32 v[80:81], v[80:81], v[86:87]
	s_wait_loadcnt 0x0
	s_delay_alu instid0(VALU_DEP_1)
	v_pk_add_f32 v[80:81], v[90:91], v[80:81] neg_lo:[0,1] neg_hi:[0,1]
	scratch_store_b64 off, v[80:81], off offset:280
	s_wait_xcnt 0x0
	v_cmpx_lt_u32_e32 34, v0
	s_cbranch_execz .LBB38_179
; %bb.178:
	scratch_load_b64 v[80:81], off, off offset:272
	v_mov_b64_e32 v[82:83], 0
	scratch_store_b64 off, v[82:83], off offset:272
	s_wait_loadcnt 0x0
	ds_store_b64 v1, v[80:81]
.LBB38_179:
	s_wait_xcnt 0x0
	s_or_b32 exec_lo, exec_lo, s0
	s_wait_storecnt_dscnt 0x0
	s_barrier_signal -1
	s_barrier_wait -1
	s_clause 0x2
	scratch_load_b128 v[80:83], off, off offset:280
	scratch_load_b128 v[84:87], off, off offset:296
	scratch_load_b64 v[96:97], off, off offset:272
	ds_load_2addr_b64 v[88:91], v5 offset0:75 offset1:76
	ds_load_2addr_b64 v[92:95], v5 offset0:77 offset1:78
	s_mov_b32 s0, exec_lo
	s_wait_dscnt 0x1
	v_dual_mov_b32 v98, v91 :: v_dual_mov_b32 v99, v90
	s_wait_loadcnt_dscnt 0x200
	v_dual_mov_b32 v104, v95 :: v_dual_mov_b32 v102, v83
	v_pk_mul_f32 v[100:101], v[88:89], v[80:81] op_sel:[1,1] op_sel_hi:[0,1]
	s_delay_alu instid0(VALU_DEP_2) | instskip(NEXT) | instid1(VALU_DEP_2)
	v_pk_mul_f32 v[98:99], v[98:99], v[102:103] op_sel_hi:[1,0]
	v_pk_fma_f32 v[106:107], v[88:89], v[80:81], v[100:101] op_sel_hi:[1,0,1]
	v_pk_fma_f32 v[80:81], v[88:89], v[80:81], v[100:101] neg_lo:[0,0,1] neg_hi:[0,0,1]
	v_mov_b32_e32 v105, v94
	s_wait_loadcnt 0x1
	v_pk_mul_f32 v[102:103], v[92:93], v[84:85] op_sel:[1,1] op_sel_hi:[0,1]
	v_pk_fma_f32 v[88:89], v[90:91], v[82:83], v[98:99] op_sel_hi:[1,0,1]
	v_dual_mov_b32 v81, v107 :: v_dual_mov_b32 v88, v87
	v_pk_fma_f32 v[82:83], v[90:91], v[82:83], v[98:99] neg_lo:[0,0,1] neg_hi:[0,0,1]
	s_delay_alu instid0(VALU_DEP_4) | instskip(NEXT) | instid1(VALU_DEP_4)
	v_pk_fma_f32 v[100:101], v[92:93], v[84:85], v[102:103] op_sel_hi:[1,0,1]
	v_mov_b32_e32 v83, v89
	s_delay_alu instid0(VALU_DEP_4) | instskip(SKIP_2) | instid1(VALU_DEP_3)
	v_pk_add_f32 v[80:81], v[80:81], 0 op_sel_hi:[1,0]
	v_pk_mul_f32 v[88:89], v[104:105], v[88:89] op_sel_hi:[1,0]
	v_pk_fma_f32 v[84:85], v[92:93], v[84:85], v[102:103] neg_lo:[0,0,1] neg_hi:[0,0,1]
	v_pk_add_f32 v[80:81], v[80:81], v[82:83]
	s_delay_alu instid0(VALU_DEP_3) | instskip(SKIP_2) | instid1(VALU_DEP_3)
	v_pk_fma_f32 v[82:83], v[94:95], v[86:87], v[88:89] op_sel_hi:[1,0,1]
	v_mov_b32_e32 v85, v101
	v_pk_fma_f32 v[86:87], v[94:95], v[86:87], v[88:89] neg_lo:[0,0,1] neg_hi:[0,0,1]
	v_mov_b32_e32 v87, v83
	s_delay_alu instid0(VALU_DEP_3) | instskip(NEXT) | instid1(VALU_DEP_1)
	v_pk_add_f32 v[80:81], v[80:81], v[84:85]
	v_pk_add_f32 v[80:81], v[80:81], v[86:87]
	s_wait_loadcnt 0x0
	s_delay_alu instid0(VALU_DEP_1)
	v_pk_add_f32 v[80:81], v[96:97], v[80:81] neg_lo:[0,1] neg_hi:[0,1]
	scratch_store_b64 off, v[80:81], off offset:272
	s_wait_xcnt 0x0
	v_cmpx_lt_u32_e32 33, v0
	s_cbranch_execz .LBB38_181
; %bb.180:
	scratch_load_b64 v[80:81], off, off offset:264
	v_mov_b64_e32 v[82:83], 0
	scratch_store_b64 off, v[82:83], off offset:264
	s_wait_loadcnt 0x0
	ds_store_b64 v1, v[80:81]
.LBB38_181:
	s_wait_xcnt 0x0
	s_or_b32 exec_lo, exec_lo, s0
	s_wait_storecnt_dscnt 0x0
	s_barrier_signal -1
	s_barrier_wait -1
	s_clause 0x3
	scratch_load_b128 v[80:83], off, off offset:272
	scratch_load_b128 v[84:87], off, off offset:288
	scratch_load_b64 v[96:97], off, off offset:304
	scratch_load_b64 v[98:99], off, off offset:264
	v_mov_b32_e32 v5, 0
	ds_load_b128 v[88:91], v5 offset:592
	ds_load_b128 v[92:95], v5 offset:608
	s_mov_b32 s0, exec_lo
	s_wait_dscnt 0x1
	v_dual_mov_b32 v100, v91 :: v_dual_mov_b32 v101, v90
	ds_load_b64 v[106:107], v5 offset:624
	s_wait_dscnt 0x1
	v_dual_mov_b32 v108, v95 :: v_dual_mov_b32 v109, v94
	s_wait_loadcnt 0x3
	v_pk_mul_f32 v[102:103], v[88:89], v[80:81] op_sel:[1,1] op_sel_hi:[0,1]
	v_mov_b32_e32 v104, v83
	s_delay_alu instid0(VALU_DEP_2) | instskip(NEXT) | instid1(VALU_DEP_2)
	v_pk_fma_f32 v[110:111], v[88:89], v[80:81], v[102:103] op_sel_hi:[1,0,1]
	v_pk_mul_f32 v[100:101], v[100:101], v[104:105] op_sel_hi:[1,0]
	v_pk_fma_f32 v[80:81], v[88:89], v[80:81], v[102:103] neg_lo:[0,0,1] neg_hi:[0,0,1]
	s_wait_loadcnt 0x2
	v_pk_mul_f32 v[104:105], v[92:93], v[84:85] op_sel:[1,1] op_sel_hi:[0,1]
	v_dual_mov_b32 v110, v87 :: v_dual_mov_b32 v81, v111
	v_pk_fma_f32 v[88:89], v[90:91], v[82:83], v[100:101] op_sel_hi:[1,0,1]
	v_pk_fma_f32 v[82:83], v[90:91], v[82:83], v[100:101] neg_lo:[0,0,1] neg_hi:[0,0,1]
	s_delay_alu instid0(VALU_DEP_4) | instskip(NEXT) | instid1(VALU_DEP_4)
	v_pk_fma_f32 v[102:103], v[92:93], v[84:85], v[104:105] op_sel_hi:[1,0,1]
	v_pk_mul_f32 v[108:109], v[108:109], v[110:111] op_sel_hi:[1,0]
	v_pk_add_f32 v[80:81], v[80:81], 0 op_sel_hi:[1,0]
	v_mov_b32_e32 v83, v89
	v_pk_fma_f32 v[84:85], v[92:93], v[84:85], v[104:105] neg_lo:[0,0,1] neg_hi:[0,0,1]
	v_mov_b32_e32 v85, v103
	v_pk_fma_f32 v[88:89], v[94:95], v[86:87], v[108:109] op_sel_hi:[1,0,1]
	v_pk_fma_f32 v[86:87], v[94:95], v[86:87], v[108:109] neg_lo:[0,0,1] neg_hi:[0,0,1]
	v_pk_add_f32 v[80:81], v[80:81], v[82:83]
	s_wait_loadcnt_dscnt 0x100
	v_pk_mul_f32 v[82:83], v[106:107], v[96:97] op_sel:[1,1] op_sel_hi:[0,1]
	s_delay_alu instid0(VALU_DEP_2) | instskip(NEXT) | instid1(VALU_DEP_2)
	v_pk_add_f32 v[80:81], v[80:81], v[84:85]
	v_pk_fma_f32 v[84:85], v[106:107], v[96:97], v[82:83] op_sel_hi:[1,0,1]
	v_mov_b32_e32 v87, v89
	v_pk_fma_f32 v[82:83], v[106:107], v[96:97], v[82:83] neg_lo:[0,0,1] neg_hi:[0,0,1]
	s_delay_alu instid0(VALU_DEP_3) | instskip(NEXT) | instid1(VALU_DEP_3)
	v_mov_b32_e32 v83, v85
	v_pk_add_f32 v[80:81], v[80:81], v[86:87]
	s_delay_alu instid0(VALU_DEP_1) | instskip(SKIP_1) | instid1(VALU_DEP_1)
	v_pk_add_f32 v[80:81], v[80:81], v[82:83]
	s_wait_loadcnt 0x0
	v_pk_add_f32 v[80:81], v[98:99], v[80:81] neg_lo:[0,1] neg_hi:[0,1]
	scratch_store_b64 off, v[80:81], off offset:264
	s_wait_xcnt 0x0
	v_cmpx_lt_u32_e32 32, v0
	s_cbranch_execz .LBB38_183
; %bb.182:
	scratch_load_b64 v[80:81], off, off offset:256
	v_mov_b64_e32 v[82:83], 0
	scratch_store_b64 off, v[82:83], off offset:256
	s_wait_loadcnt 0x0
	ds_store_b64 v1, v[80:81]
.LBB38_183:
	s_wait_xcnt 0x0
	s_or_b32 exec_lo, exec_lo, s0
	s_wait_storecnt_dscnt 0x0
	s_barrier_signal -1
	s_barrier_wait -1
	s_clause 0x3
	scratch_load_b128 v[80:83], off, off offset:264
	scratch_load_b128 v[84:87], off, off offset:280
	scratch_load_b128 v[88:91], off, off offset:296
	scratch_load_b64 v[104:105], off, off offset:256
	ds_load_2addr_b64 v[92:95], v5 offset0:73 offset1:74
	ds_load_2addr_b64 v[96:99], v5 offset0:75 offset1:76
	;; [unrolled: 1-line block ×3, first 2 shown]
	s_mov_b32 s0, exec_lo
	s_wait_dscnt 0x2
	v_dual_mov_b32 v106, v95 :: v_dual_mov_b32 v107, v94
	s_wait_dscnt 0x1
	v_dual_mov_b32 v108, v99 :: v_dual_mov_b32 v109, v98
	;; [unrolled: 2-line block ×3, first 2 shown]
	s_wait_loadcnt 0x3
	v_pk_mul_f32 v[110:111], v[92:93], v[80:81] op_sel:[1,1] op_sel_hi:[0,1]
	v_mov_b32_e32 v112, v83
	s_delay_alu instid0(VALU_DEP_2) | instskip(NEXT) | instid1(VALU_DEP_2)
	v_pk_fma_f32 v[116:117], v[92:93], v[80:81], v[110:111] op_sel_hi:[1,0,1]
	v_pk_mul_f32 v[106:107], v[106:107], v[112:113] op_sel_hi:[1,0]
	v_pk_fma_f32 v[80:81], v[92:93], v[80:81], v[110:111] neg_lo:[0,0,1] neg_hi:[0,0,1]
	s_wait_loadcnt 0x2
	v_pk_mul_f32 v[112:113], v[96:97], v[84:85] op_sel:[1,1] op_sel_hi:[0,1]
	v_mov_b32_e32 v116, v87
	v_pk_fma_f32 v[92:93], v[94:95], v[82:83], v[106:107] op_sel_hi:[1,0,1]
	v_mov_b32_e32 v81, v117
	v_pk_fma_f32 v[82:83], v[94:95], v[82:83], v[106:107] neg_lo:[0,0,1] neg_hi:[0,0,1]
	v_pk_fma_f32 v[110:111], v[96:97], v[84:85], v[112:113] op_sel_hi:[1,0,1]
	v_pk_mul_f32 v[108:109], v[108:109], v[116:117] op_sel_hi:[1,0]
	v_mov_b32_e32 v83, v93
	v_pk_add_f32 v[80:81], v[80:81], 0 op_sel_hi:[1,0]
	v_pk_fma_f32 v[84:85], v[96:97], v[84:85], v[112:113] neg_lo:[0,0,1] neg_hi:[0,0,1]
	s_wait_loadcnt 0x1
	v_pk_mul_f32 v[92:93], v[100:101], v[88:89] op_sel:[1,1] op_sel_hi:[0,1]
	v_mov_b32_e32 v85, v111
	v_pk_fma_f32 v[94:95], v[98:99], v[86:87], v[108:109] op_sel_hi:[1,0,1]
	v_pk_add_f32 v[80:81], v[80:81], v[82:83]
	v_mov_b32_e32 v82, v91
	v_pk_fma_f32 v[86:87], v[98:99], v[86:87], v[108:109] neg_lo:[0,0,1] neg_hi:[0,0,1]
	v_pk_fma_f32 v[96:97], v[100:101], v[88:89], v[92:93] op_sel_hi:[1,0,1]
	v_mov_b32_e32 v87, v95
	v_pk_add_f32 v[80:81], v[80:81], v[84:85]
	v_pk_mul_f32 v[82:83], v[114:115], v[82:83] op_sel_hi:[1,0]
	v_pk_fma_f32 v[84:85], v[100:101], v[88:89], v[92:93] neg_lo:[0,0,1] neg_hi:[0,0,1]
	v_mov_b32_e32 v85, v97
	s_delay_alu instid0(VALU_DEP_4) | instskip(NEXT) | instid1(VALU_DEP_4)
	v_pk_add_f32 v[80:81], v[80:81], v[86:87]
	v_pk_fma_f32 v[86:87], v[102:103], v[90:91], v[82:83] op_sel_hi:[1,0,1]
	v_pk_fma_f32 v[82:83], v[102:103], v[90:91], v[82:83] neg_lo:[0,0,1] neg_hi:[0,0,1]
	s_delay_alu instid0(VALU_DEP_3) | instskip(NEXT) | instid1(VALU_DEP_3)
	v_pk_add_f32 v[80:81], v[80:81], v[84:85]
	v_mov_b32_e32 v83, v87
	s_delay_alu instid0(VALU_DEP_1) | instskip(SKIP_1) | instid1(VALU_DEP_1)
	v_pk_add_f32 v[80:81], v[80:81], v[82:83]
	s_wait_loadcnt 0x0
	v_pk_add_f32 v[80:81], v[104:105], v[80:81] neg_lo:[0,1] neg_hi:[0,1]
	scratch_store_b64 off, v[80:81], off offset:256
	s_wait_xcnt 0x0
	v_cmpx_lt_u32_e32 31, v0
	s_cbranch_execz .LBB38_185
; %bb.184:
	scratch_load_b64 v[80:81], off, off offset:248
	v_mov_b64_e32 v[82:83], 0
	scratch_store_b64 off, v[82:83], off offset:248
	s_wait_loadcnt 0x0
	ds_store_b64 v1, v[80:81]
.LBB38_185:
	s_wait_xcnt 0x0
	s_or_b32 exec_lo, exec_lo, s0
	s_wait_storecnt_dscnt 0x0
	s_barrier_signal -1
	s_barrier_wait -1
	s_clause 0x4
	scratch_load_b128 v[80:83], off, off offset:256
	scratch_load_b128 v[84:87], off, off offset:272
	;; [unrolled: 1-line block ×3, first 2 shown]
	scratch_load_b64 v[104:105], off, off offset:304
	scratch_load_b64 v[106:107], off, off offset:248
	v_mov_b32_e32 v5, 0
	ds_load_b128 v[92:95], v5 offset:576
	ds_load_b128 v[96:99], v5 offset:592
	;; [unrolled: 1-line block ×3, first 2 shown]
	ds_load_b64 v[108:109], v5 offset:624
	s_mov_b32 s0, exec_lo
	s_wait_dscnt 0x3
	v_dual_mov_b32 v110, v95 :: v_dual_mov_b32 v111, v94
	s_wait_dscnt 0x2
	v_dual_mov_b32 v112, v99 :: v_dual_mov_b32 v113, v98
	;; [unrolled: 2-line block ×3, first 2 shown]
	s_wait_loadcnt 0x4
	v_pk_mul_f32 v[114:115], v[92:93], v[80:81] op_sel:[1,1] op_sel_hi:[0,1]
	v_mov_b32_e32 v116, v83
	s_wait_loadcnt 0x3
	v_pk_mul_f32 v[120:121], v[96:97], v[84:85] op_sel:[1,1] op_sel_hi:[0,1]
	s_wait_loadcnt 0x2
	v_pk_mul_f32 v[124:125], v[100:101], v[88:89] op_sel:[1,1] op_sel_hi:[0,1]
	v_pk_fma_f32 v[122:123], v[92:93], v[80:81], v[114:115] op_sel_hi:[1,0,1]
	v_pk_mul_f32 v[110:111], v[110:111], v[116:117] op_sel_hi:[1,0]
	v_pk_fma_f32 v[80:81], v[92:93], v[80:81], v[114:115] neg_lo:[0,0,1] neg_hi:[0,0,1]
	v_mov_b32_e32 v116, v87
	v_pk_fma_f32 v[114:115], v[96:97], v[84:85], v[120:121] op_sel_hi:[1,0,1]
	v_mov_b32_e32 v81, v123
	v_pk_fma_f32 v[92:93], v[94:95], v[82:83], v[110:111] op_sel_hi:[1,0,1]
	v_pk_fma_f32 v[82:83], v[94:95], v[82:83], v[110:111] neg_lo:[0,0,1] neg_hi:[0,0,1]
	v_pk_mul_f32 v[112:113], v[112:113], v[116:117] op_sel_hi:[1,0]
	v_pk_fma_f32 v[84:85], v[96:97], v[84:85], v[120:121] neg_lo:[0,0,1] neg_hi:[0,0,1]
	v_pk_add_f32 v[80:81], v[80:81], 0 op_sel_hi:[1,0]
	v_dual_mov_b32 v83, v93 :: v_dual_mov_b32 v92, v91
	s_delay_alu instid0(VALU_DEP_4) | instskip(SKIP_2) | instid1(VALU_DEP_4)
	v_pk_fma_f32 v[94:95], v[98:99], v[86:87], v[112:113] op_sel_hi:[1,0,1]
	v_mov_b32_e32 v85, v115
	v_pk_fma_f32 v[86:87], v[98:99], v[86:87], v[112:113] neg_lo:[0,0,1] neg_hi:[0,0,1]
	v_pk_add_f32 v[80:81], v[80:81], v[82:83]
	v_pk_fma_f32 v[82:83], v[100:101], v[88:89], v[124:125] op_sel_hi:[1,0,1]
	v_pk_mul_f32 v[92:93], v[118:119], v[92:93] op_sel_hi:[1,0]
	v_mov_b32_e32 v87, v95
	s_delay_alu instid0(VALU_DEP_4)
	v_pk_add_f32 v[80:81], v[80:81], v[84:85]
	v_pk_fma_f32 v[84:85], v[100:101], v[88:89], v[124:125] neg_lo:[0,0,1] neg_hi:[0,0,1]
	v_mov_b32_e32 v85, v83
	v_pk_fma_f32 v[82:83], v[102:103], v[90:91], v[92:93] op_sel_hi:[1,0,1]
	v_pk_fma_f32 v[88:89], v[102:103], v[90:91], v[92:93] neg_lo:[0,0,1] neg_hi:[0,0,1]
	v_pk_add_f32 v[80:81], v[80:81], v[86:87]
	s_wait_loadcnt_dscnt 0x100
	v_pk_mul_f32 v[86:87], v[108:109], v[104:105] op_sel:[1,1] op_sel_hi:[0,1]
	v_mov_b32_e32 v89, v83
	s_delay_alu instid0(VALU_DEP_3) | instskip(NEXT) | instid1(VALU_DEP_3)
	v_pk_add_f32 v[80:81], v[80:81], v[84:85]
	v_pk_fma_f32 v[82:83], v[108:109], v[104:105], v[86:87] op_sel_hi:[1,0,1]
	v_pk_fma_f32 v[84:85], v[108:109], v[104:105], v[86:87] neg_lo:[0,0,1] neg_hi:[0,0,1]
	s_delay_alu instid0(VALU_DEP_3) | instskip(NEXT) | instid1(VALU_DEP_3)
	v_pk_add_f32 v[80:81], v[80:81], v[88:89]
	v_mov_b32_e32 v85, v83
	s_delay_alu instid0(VALU_DEP_1) | instskip(SKIP_1) | instid1(VALU_DEP_1)
	v_pk_add_f32 v[80:81], v[80:81], v[84:85]
	s_wait_loadcnt 0x0
	v_pk_add_f32 v[80:81], v[106:107], v[80:81] neg_lo:[0,1] neg_hi:[0,1]
	scratch_store_b64 off, v[80:81], off offset:248
	s_wait_xcnt 0x0
	v_cmpx_lt_u32_e32 30, v0
	s_cbranch_execz .LBB38_187
; %bb.186:
	scratch_load_b64 v[80:81], off, off offset:240
	v_mov_b64_e32 v[82:83], 0
	scratch_store_b64 off, v[82:83], off offset:240
	s_wait_loadcnt 0x0
	ds_store_b64 v1, v[80:81]
.LBB38_187:
	s_wait_xcnt 0x0
	s_or_b32 exec_lo, exec_lo, s0
	s_wait_storecnt_dscnt 0x0
	s_barrier_signal -1
	s_barrier_wait -1
	s_clause 0x4
	scratch_load_b128 v[80:83], off, off offset:248
	scratch_load_b128 v[84:87], off, off offset:264
	;; [unrolled: 1-line block ×4, first 2 shown]
	scratch_load_b64 v[112:113], off, off offset:240
	ds_load_2addr_b64 v[96:99], v5 offset0:71 offset1:72
	ds_load_2addr_b64 v[100:103], v5 offset0:73 offset1:74
	;; [unrolled: 1-line block ×4, first 2 shown]
	s_mov_b32 s0, exec_lo
	s_wait_dscnt 0x3
	v_dual_mov_b32 v114, v99 :: v_dual_mov_b32 v115, v98
	s_wait_dscnt 0x2
	v_dual_mov_b32 v116, v103 :: v_dual_mov_b32 v117, v102
	;; [unrolled: 2-line block ×3, first 2 shown]
	v_dual_mov_b32 v119, v106 :: v_dual_mov_b32 v124, v111
	s_wait_loadcnt 0x4
	v_mov_b32_e32 v122, v83
	v_pk_mul_f32 v[120:121], v[96:97], v[80:81] op_sel:[1,1] op_sel_hi:[0,1]
	s_wait_loadcnt 0x3
	v_pk_mul_f32 v[126:127], v[100:101], v[84:85] op_sel:[1,1] op_sel_hi:[0,1]
	s_wait_loadcnt 0x2
	v_pk_mul_f32 v[130:131], v[104:105], v[88:89] op_sel:[1,1] op_sel_hi:[0,1]
	v_pk_mul_f32 v[114:115], v[114:115], v[122:123] op_sel_hi:[1,0]
	v_pk_fma_f32 v[128:129], v[96:97], v[80:81], v[120:121] op_sel_hi:[1,0,1]
	v_pk_fma_f32 v[80:81], v[96:97], v[80:81], v[120:121] neg_lo:[0,0,1] neg_hi:[0,0,1]
	v_mov_b32_e32 v122, v87
	v_pk_fma_f32 v[120:121], v[100:101], v[84:85], v[126:127] op_sel_hi:[1,0,1]
	v_pk_fma_f32 v[96:97], v[98:99], v[82:83], v[114:115] op_sel_hi:[1,0,1]
	v_mov_b32_e32 v81, v129
	v_pk_fma_f32 v[82:83], v[98:99], v[82:83], v[114:115] neg_lo:[0,0,1] neg_hi:[0,0,1]
	v_pk_mul_f32 v[116:117], v[116:117], v[122:123] op_sel_hi:[1,0]
	s_delay_alu instid0(VALU_DEP_4) | instskip(NEXT) | instid1(VALU_DEP_4)
	v_dual_mov_b32 v96, v91 :: v_dual_mov_b32 v83, v97
	v_pk_add_f32 v[80:81], v[80:81], 0 op_sel_hi:[1,0]
	v_pk_fma_f32 v[84:85], v[100:101], v[84:85], v[126:127] neg_lo:[0,0,1] neg_hi:[0,0,1]
	v_mov_b32_e32 v85, v121
	v_pk_fma_f32 v[98:99], v[102:103], v[86:87], v[116:117] op_sel_hi:[1,0,1]
	v_pk_mul_f32 v[96:97], v[118:119], v[96:97] op_sel_hi:[1,0]
	v_pk_add_f32 v[80:81], v[80:81], v[82:83]
	v_pk_fma_f32 v[82:83], v[104:105], v[88:89], v[130:131] op_sel_hi:[1,0,1]
	v_pk_fma_f32 v[86:87], v[102:103], v[86:87], v[116:117] neg_lo:[0,0,1] neg_hi:[0,0,1]
	v_mov_b32_e32 v87, v99
	v_pk_fma_f32 v[88:89], v[104:105], v[88:89], v[130:131] neg_lo:[0,0,1] neg_hi:[0,0,1]
	v_pk_add_f32 v[80:81], v[80:81], v[84:85]
	v_mov_b32_e32 v89, v83
	v_pk_fma_f32 v[82:83], v[106:107], v[90:91], v[96:97] op_sel_hi:[1,0,1]
	s_wait_loadcnt 0x1
	v_pk_mul_f32 v[84:85], v[108:109], v[92:93] op_sel:[1,1] op_sel_hi:[0,1]
	v_mov_b32_e32 v82, v95
	v_pk_add_f32 v[80:81], v[80:81], v[86:87]
	v_pk_fma_f32 v[90:91], v[106:107], v[90:91], v[96:97] neg_lo:[0,0,1] neg_hi:[0,0,1]
	v_mov_b32_e32 v91, v83
	v_pk_fma_f32 v[86:87], v[108:109], v[92:93], v[84:85] op_sel_hi:[1,0,1]
	v_pk_mul_f32 v[82:83], v[124:125], v[82:83] op_sel_hi:[1,0]
	v_pk_add_f32 v[80:81], v[80:81], v[88:89]
	v_pk_fma_f32 v[84:85], v[108:109], v[92:93], v[84:85] neg_lo:[0,0,1] neg_hi:[0,0,1]
	s_delay_alu instid0(VALU_DEP_4) | instskip(NEXT) | instid1(VALU_DEP_4)
	v_mov_b32_e32 v85, v87
	v_pk_fma_f32 v[86:87], v[110:111], v[94:95], v[82:83] op_sel_hi:[1,0,1]
	s_delay_alu instid0(VALU_DEP_4) | instskip(SKIP_1) | instid1(VALU_DEP_3)
	v_pk_add_f32 v[80:81], v[80:81], v[90:91]
	v_pk_fma_f32 v[82:83], v[110:111], v[94:95], v[82:83] neg_lo:[0,0,1] neg_hi:[0,0,1]
	v_mov_b32_e32 v83, v87
	s_delay_alu instid0(VALU_DEP_3) | instskip(NEXT) | instid1(VALU_DEP_1)
	v_pk_add_f32 v[80:81], v[80:81], v[84:85]
	v_pk_add_f32 v[80:81], v[80:81], v[82:83]
	s_wait_loadcnt 0x0
	s_delay_alu instid0(VALU_DEP_1)
	v_pk_add_f32 v[80:81], v[112:113], v[80:81] neg_lo:[0,1] neg_hi:[0,1]
	scratch_store_b64 off, v[80:81], off offset:240
	s_wait_xcnt 0x0
	v_cmpx_lt_u32_e32 29, v0
	s_cbranch_execz .LBB38_189
; %bb.188:
	scratch_load_b64 v[80:81], off, off offset:232
	v_mov_b64_e32 v[82:83], 0
	scratch_store_b64 off, v[82:83], off offset:232
	s_wait_loadcnt 0x0
	ds_store_b64 v1, v[80:81]
.LBB38_189:
	s_wait_xcnt 0x0
	s_or_b32 exec_lo, exec_lo, s0
	s_wait_storecnt_dscnt 0x0
	s_barrier_signal -1
	s_barrier_wait -1
	s_clause 0x5
	scratch_load_b128 v[80:83], off, off offset:240
	scratch_load_b128 v[84:87], off, off offset:256
	;; [unrolled: 1-line block ×4, first 2 shown]
	scratch_load_b64 v[112:113], off, off offset:304
	scratch_load_b64 v[114:115], off, off offset:232
	v_mov_b32_e32 v5, 0
	ds_load_b128 v[96:99], v5 offset:560
	ds_load_b128 v[100:103], v5 offset:576
	;; [unrolled: 1-line block ×4, first 2 shown]
	ds_load_b64 v[116:117], v5 offset:624
	s_mov_b32 s0, exec_lo
	s_wait_dscnt 0x4
	v_dual_mov_b32 v118, v99 :: v_dual_mov_b32 v119, v98
	s_wait_dscnt 0x1
	v_dual_mov_b32 v120, v103 :: v_dual_mov_b32 v125, v110
	v_dual_mov_b32 v121, v102 :: v_dual_mov_b32 v122, v107
	;; [unrolled: 1-line block ×3, first 2 shown]
	s_wait_loadcnt 0x5
	v_dual_mov_b32 v126, v83 :: v_dual_mul_f32 v127, v96, v81
	v_mul_f32_e32 v7, v97, v81
	s_wait_loadcnt 0x4
	v_pk_mul_f32 v[128:129], v[100:101], v[84:85] op_sel:[1,1] op_sel_hi:[0,1]
	v_mov_b32_e32 v130, v87
	s_wait_loadcnt 0x3
	v_pk_mul_f32 v[132:133], v[104:105], v[88:89] op_sel:[1,1] op_sel_hi:[0,1]
	v_pk_mul_f32 v[118:119], v[118:119], v[126:127] op_sel_hi:[1,0]
	v_fmac_f32_e32 v127, v97, v80
	v_dual_fma_f32 v126, v96, v80, -v7 :: v_dual_mov_b32 v80, v91
	v_pk_fma_f32 v[134:135], v[100:101], v[84:85], v[128:129] op_sel_hi:[1,0,1]
	s_delay_alu instid0(VALU_DEP_4)
	v_pk_fma_f32 v[96:97], v[98:99], v[82:83], v[118:119] op_sel_hi:[1,0,1]
	v_pk_fma_f32 v[82:83], v[98:99], v[82:83], v[118:119] neg_lo:[0,0,1] neg_hi:[0,0,1]
	v_pk_mul_f32 v[120:121], v[120:121], v[130:131] op_sel_hi:[1,0]
	v_pk_add_f32 v[126:127], v[126:127], 0 op_sel_hi:[1,0]
	v_pk_fma_f32 v[84:85], v[100:101], v[84:85], v[128:129] neg_lo:[0,0,1] neg_hi:[0,0,1]
	v_dual_mov_b32 v83, v97 :: v_dual_mov_b32 v85, v135
	s_delay_alu instid0(VALU_DEP_4) | instskip(SKIP_2) | instid1(VALU_DEP_4)
	v_pk_fma_f32 v[98:99], v[102:103], v[86:87], v[120:121] op_sel_hi:[1,0,1]
	v_pk_fma_f32 v[86:87], v[102:103], v[86:87], v[120:121] neg_lo:[0,0,1] neg_hi:[0,0,1]
	v_pk_fma_f32 v[100:101], v[104:105], v[88:89], v[132:133] op_sel_hi:[1,0,1]
	v_pk_add_f32 v[82:83], v[126:127], v[82:83]
	v_pk_mul_f32 v[80:81], v[122:123], v[80:81] op_sel_hi:[1,0]
	v_mov_b32_e32 v87, v99
	v_pk_fma_f32 v[88:89], v[104:105], v[88:89], v[132:133] neg_lo:[0,0,1] neg_hi:[0,0,1]
	s_wait_loadcnt 0x2
	v_pk_mul_f32 v[96:97], v[108:109], v[92:93] op_sel:[1,1] op_sel_hi:[0,1]
	v_pk_add_f32 v[82:83], v[82:83], v[84:85]
	v_mov_b32_e32 v84, v95
	v_pk_fma_f32 v[98:99], v[106:107], v[90:91], v[80:81] op_sel_hi:[1,0,1]
	v_mov_b32_e32 v89, v101
	v_pk_fma_f32 v[80:81], v[106:107], v[90:91], v[80:81] neg_lo:[0,0,1] neg_hi:[0,0,1]
	v_pk_add_f32 v[82:83], v[82:83], v[86:87]
	v_pk_fma_f32 v[86:87], v[108:109], v[92:93], v[96:97] op_sel_hi:[1,0,1]
	v_pk_mul_f32 v[84:85], v[124:125], v[84:85] op_sel_hi:[1,0]
	v_mov_b32_e32 v81, v99
	s_delay_alu instid0(VALU_DEP_4)
	v_pk_add_f32 v[82:83], v[82:83], v[88:89]
	v_pk_fma_f32 v[88:89], v[108:109], v[92:93], v[96:97] neg_lo:[0,0,1] neg_hi:[0,0,1]
	v_mov_b32_e32 v89, v87
	v_pk_fma_f32 v[86:87], v[110:111], v[94:95], v[84:85] op_sel_hi:[1,0,1]
	v_pk_fma_f32 v[84:85], v[110:111], v[94:95], v[84:85] neg_lo:[0,0,1] neg_hi:[0,0,1]
	v_pk_add_f32 v[80:81], v[82:83], v[80:81]
	s_wait_loadcnt_dscnt 0x100
	v_pk_mul_f32 v[82:83], v[116:117], v[112:113] op_sel:[1,1] op_sel_hi:[0,1]
	v_mov_b32_e32 v85, v87
	s_delay_alu instid0(VALU_DEP_3) | instskip(NEXT) | instid1(VALU_DEP_3)
	v_pk_add_f32 v[80:81], v[80:81], v[88:89]
	v_pk_fma_f32 v[86:87], v[116:117], v[112:113], v[82:83] op_sel_hi:[1,0,1]
	v_pk_fma_f32 v[82:83], v[116:117], v[112:113], v[82:83] neg_lo:[0,0,1] neg_hi:[0,0,1]
	s_delay_alu instid0(VALU_DEP_3) | instskip(NEXT) | instid1(VALU_DEP_3)
	v_pk_add_f32 v[80:81], v[80:81], v[84:85]
	v_mov_b32_e32 v83, v87
	s_delay_alu instid0(VALU_DEP_1) | instskip(SKIP_1) | instid1(VALU_DEP_1)
	v_pk_add_f32 v[80:81], v[80:81], v[82:83]
	s_wait_loadcnt 0x0
	v_pk_add_f32 v[80:81], v[114:115], v[80:81] neg_lo:[0,1] neg_hi:[0,1]
	scratch_store_b64 off, v[80:81], off offset:232
	s_wait_xcnt 0x0
	v_cmpx_lt_u32_e32 28, v0
	s_cbranch_execz .LBB38_191
; %bb.190:
	scratch_load_b64 v[80:81], off, off offset:224
	v_mov_b64_e32 v[82:83], 0
	scratch_store_b64 off, v[82:83], off offset:224
	s_wait_loadcnt 0x0
	ds_store_b64 v1, v[80:81]
.LBB38_191:
	s_wait_xcnt 0x0
	s_or_b32 exec_lo, exec_lo, s0
	s_wait_storecnt_dscnt 0x0
	s_barrier_signal -1
	s_barrier_wait -1
	s_clause 0x5
	scratch_load_b128 v[80:83], off, off offset:232
	scratch_load_b128 v[84:87], off, off offset:248
	;; [unrolled: 1-line block ×5, first 2 shown]
	scratch_load_b64 v[120:121], off, off offset:224
	ds_load_2addr_b64 v[100:103], v5 offset0:71 offset1:72
	ds_load_2addr_b64 v[104:107], v5 offset0:73 offset1:74
	;; [unrolled: 1-line block ×5, first 2 shown]
	s_mov_b32 s0, exec_lo
	s_wait_dscnt 0x4
	v_dual_mov_b32 v122, v103 :: v_dual_mov_b32 v123, v102
	s_wait_dscnt 0x3
	v_dual_mov_b32 v124, v107 :: v_dual_mov_b32 v125, v106
	;; [unrolled: 2-line block ×4, first 2 shown]
	s_wait_loadcnt_dscnt 0x500
	v_dual_mul_f32 v131, v116, v81 :: v_dual_mul_f32 v133, v118, v83
	v_dual_mul_f32 v5, v117, v81 :: v_dual_mul_f32 v7, v119, v83
	s_wait_loadcnt 0x4
	v_pk_mul_f32 v[134:135], v[100:101], v[84:85] op_sel:[1,1] op_sel_hi:[0,1]
	s_wait_loadcnt 0x3
	v_dual_mov_b32 v136, v87 :: v_dual_mov_b32 v140, v91
	v_dual_fmac_f32 v131, v117, v80 :: v_dual_fma_f32 v130, v116, v80, -v5
	v_dual_fmac_f32 v133, v119, v82 :: v_dual_fma_f32 v132, v118, v82, -v7
	v_pk_fma_f32 v[80:81], v[100:101], v[84:85], v[134:135] op_sel_hi:[1,0,1]
	s_delay_alu instid0(VALU_DEP_4) | instskip(NEXT) | instid1(VALU_DEP_4)
	v_pk_mul_f32 v[82:83], v[122:123], v[136:137] op_sel_hi:[1,0]
	v_pk_add_f32 v[116:117], v[130:131], 0 op_sel_hi:[1,0]
	v_pk_fma_f32 v[84:85], v[100:101], v[84:85], v[134:135] neg_lo:[0,0,1] neg_hi:[0,0,1]
	v_pk_mul_f32 v[138:139], v[104:105], v[88:89] op_sel:[1,1] op_sel_hi:[0,1]
	v_mov_b32_e32 v85, v81
	v_pk_fma_f32 v[80:81], v[102:103], v[86:87], v[82:83] op_sel_hi:[1,0,1]
	v_pk_add_f32 v[100:101], v[116:117], v[132:133]
	v_pk_fma_f32 v[82:83], v[102:103], v[86:87], v[82:83] neg_lo:[0,0,1] neg_hi:[0,0,1]
	v_pk_fma_f32 v[116:117], v[104:105], v[88:89], v[138:139] op_sel_hi:[1,0,1]
	v_pk_mul_f32 v[122:123], v[124:125], v[140:141] op_sel_hi:[1,0]
	v_mov_b32_e32 v83, v81
	v_pk_add_f32 v[80:81], v[100:101], v[84:85]
	s_wait_loadcnt 0x2
	v_pk_mul_f32 v[118:119], v[108:109], v[92:93] op_sel:[1,1] op_sel_hi:[0,1]
	v_mov_b32_e32 v84, v95
	v_pk_fma_f32 v[86:87], v[104:105], v[88:89], v[138:139] neg_lo:[0,0,1] neg_hi:[0,0,1]
	v_mov_b32_e32 v87, v117
	v_pk_fma_f32 v[88:89], v[106:107], v[90:91], v[122:123] op_sel_hi:[1,0,1]
	v_pk_add_f32 v[80:81], v[80:81], v[82:83]
	v_pk_fma_f32 v[82:83], v[108:109], v[92:93], v[118:119] op_sel_hi:[1,0,1]
	v_pk_mul_f32 v[84:85], v[126:127], v[84:85] op_sel_hi:[1,0]
	v_pk_fma_f32 v[90:91], v[106:107], v[90:91], v[122:123] neg_lo:[0,0,1] neg_hi:[0,0,1]
	v_mov_b32_e32 v91, v89
	v_pk_add_f32 v[80:81], v[80:81], v[86:87]
	v_pk_fma_f32 v[88:89], v[108:109], v[92:93], v[118:119] neg_lo:[0,0,1] neg_hi:[0,0,1]
	v_mov_b32_e32 v89, v83
	v_pk_fma_f32 v[82:83], v[110:111], v[94:95], v[84:85] op_sel_hi:[1,0,1]
	s_wait_loadcnt 0x1
	v_pk_mul_f32 v[86:87], v[112:113], v[96:97] op_sel:[1,1] op_sel_hi:[0,1]
	v_pk_add_f32 v[80:81], v[80:81], v[90:91]
	v_mov_b32_e32 v82, v99
	v_pk_fma_f32 v[84:85], v[110:111], v[94:95], v[84:85] neg_lo:[0,0,1] neg_hi:[0,0,1]
	v_mov_b32_e32 v85, v83
	v_pk_fma_f32 v[90:91], v[112:113], v[96:97], v[86:87] op_sel_hi:[1,0,1]
	v_pk_add_f32 v[80:81], v[80:81], v[88:89]
	v_pk_mul_f32 v[82:83], v[128:129], v[82:83] op_sel_hi:[1,0]
	v_pk_fma_f32 v[86:87], v[112:113], v[96:97], v[86:87] neg_lo:[0,0,1] neg_hi:[0,0,1]
	s_delay_alu instid0(VALU_DEP_3) | instskip(NEXT) | instid1(VALU_DEP_3)
	v_pk_add_f32 v[80:81], v[80:81], v[84:85]
	v_pk_fma_f32 v[84:85], v[114:115], v[98:99], v[82:83] op_sel_hi:[1,0,1]
	v_mov_b32_e32 v87, v91
	v_pk_fma_f32 v[82:83], v[114:115], v[98:99], v[82:83] neg_lo:[0,0,1] neg_hi:[0,0,1]
	s_delay_alu instid0(VALU_DEP_3) | instskip(NEXT) | instid1(VALU_DEP_3)
	v_mov_b32_e32 v83, v85
	v_pk_add_f32 v[80:81], v[80:81], v[86:87]
	s_delay_alu instid0(VALU_DEP_1) | instskip(SKIP_1) | instid1(VALU_DEP_1)
	v_pk_add_f32 v[80:81], v[80:81], v[82:83]
	s_wait_loadcnt 0x0
	v_pk_add_f32 v[80:81], v[120:121], v[80:81] neg_lo:[0,1] neg_hi:[0,1]
	scratch_store_b64 off, v[80:81], off offset:224
	s_wait_xcnt 0x0
	v_cmpx_lt_u32_e32 27, v0
	s_cbranch_execz .LBB38_193
; %bb.192:
	scratch_load_b64 v[80:81], off, off offset:216
	v_mov_b64_e32 v[82:83], 0
	scratch_store_b64 off, v[82:83], off offset:216
	s_wait_loadcnt 0x0
	ds_store_b64 v1, v[80:81]
.LBB38_193:
	s_wait_xcnt 0x0
	s_or_b32 exec_lo, exec_lo, s0
	s_wait_storecnt_dscnt 0x0
	s_barrier_signal -1
	s_barrier_wait -1
	s_clause 0x6
	scratch_load_b128 v[80:83], off, off offset:224
	scratch_load_b128 v[84:87], off, off offset:240
	;; [unrolled: 1-line block ×5, first 2 shown]
	scratch_load_b64 v[120:121], off, off offset:304
	scratch_load_b64 v[122:123], off, off offset:216
	v_mov_b32_e32 v5, 0
	ds_load_b128 v[100:103], v5 offset:560
	ds_load_b128 v[104:107], v5 offset:576
	;; [unrolled: 1-line block ×5, first 2 shown]
	ds_load_b64 v[124:125], v5 offset:624
	s_mov_b32 s0, exec_lo
	s_wait_dscnt 0x5
	v_dual_mov_b32 v126, v103 :: v_dual_mov_b32 v127, v102
	s_wait_dscnt 0x2
	v_dual_mov_b32 v128, v107 :: v_dual_mov_b32 v133, v114
	v_dual_mov_b32 v129, v106 :: v_dual_mov_b32 v130, v111
	v_dual_mov_b32 v131, v110 :: v_dual_mov_b32 v132, v115
	s_wait_loadcnt_dscnt 0x601
	v_dual_mul_f32 v7, v116, v81 :: v_dual_mul_f32 v11, v117, v81
	v_dual_mul_f32 v13, v119, v83 :: v_dual_mul_f32 v135, v118, v83
	s_wait_loadcnt 0x5
	v_dual_mul_f32 v137, v100, v85 :: v_dual_mul_f32 v15, v101, v85
	s_wait_loadcnt 0x4
	v_dual_mov_b32 v136, v87 :: v_dual_mov_b32 v140, v91
	v_fmac_f32_e32 v7, v117, v80
	v_dual_fma_f32 v11, v116, v80, -v11 :: v_dual_fma_f32 v134, v118, v82, -v13
	v_fmac_f32_e32 v135, v119, v82
	s_delay_alu instid0(VALU_DEP_4) | instskip(NEXT) | instid1(VALU_DEP_4)
	v_pk_mul_f32 v[80:81], v[126:127], v[136:137] op_sel_hi:[1,0]
	v_add_f32_e32 v83, 0, v7
	s_wait_loadcnt 0x3
	v_dual_add_f32 v82, 0, v11 :: v_dual_mov_b32 v116, v95
	v_pk_mul_f32 v[138:139], v[104:105], v[88:89] op_sel:[1,1] op_sel_hi:[0,1]
	v_dual_fmac_f32 v137, v101, v84 :: v_dual_fma_f32 v136, v100, v84, -v15
	v_pk_fma_f32 v[84:85], v[102:103], v[86:87], v[80:81] op_sel_hi:[1,0,1]
	s_delay_alu instid0(VALU_DEP_4)
	v_pk_add_f32 v[82:83], v[82:83], v[134:135]
	v_pk_fma_f32 v[80:81], v[102:103], v[86:87], v[80:81] neg_lo:[0,0,1] neg_hi:[0,0,1]
	v_pk_fma_f32 v[100:101], v[104:105], v[88:89], v[138:139] op_sel_hi:[1,0,1]
	v_pk_mul_f32 v[118:119], v[128:129], v[140:141] op_sel_hi:[1,0]
	v_mov_b32_e32 v81, v85
	v_pk_add_f32 v[82:83], v[82:83], v[136:137]
	v_pk_fma_f32 v[86:87], v[104:105], v[88:89], v[138:139] neg_lo:[0,0,1] neg_hi:[0,0,1]
	v_pk_mul_f32 v[142:143], v[108:109], v[92:93] op_sel:[1,1] op_sel_hi:[0,1]
	v_mov_b32_e32 v87, v101
	v_pk_fma_f32 v[88:89], v[106:107], v[90:91], v[118:119] op_sel_hi:[1,0,1]
	v_pk_add_f32 v[80:81], v[82:83], v[80:81]
	v_pk_fma_f32 v[90:91], v[106:107], v[90:91], v[118:119] neg_lo:[0,0,1] neg_hi:[0,0,1]
	v_pk_fma_f32 v[82:83], v[108:109], v[92:93], v[142:143] op_sel_hi:[1,0,1]
	v_pk_mul_f32 v[100:101], v[130:131], v[116:117] op_sel_hi:[1,0]
	s_wait_loadcnt 0x2
	v_dual_mov_b32 v91, v89 :: v_dual_mov_b32 v82, v99
	v_pk_add_f32 v[80:81], v[80:81], v[86:87]
	v_pk_fma_f32 v[86:87], v[108:109], v[92:93], v[142:143] neg_lo:[0,0,1] neg_hi:[0,0,1]
	v_pk_mul_f32 v[84:85], v[112:113], v[96:97] op_sel:[1,1] op_sel_hi:[0,1]
	v_pk_fma_f32 v[88:89], v[110:111], v[94:95], v[100:101] op_sel_hi:[1,0,1]
	v_mov_b32_e32 v87, v83
	v_pk_add_f32 v[80:81], v[80:81], v[90:91]
	v_pk_fma_f32 v[92:93], v[110:111], v[94:95], v[100:101] neg_lo:[0,0,1] neg_hi:[0,0,1]
	v_pk_fma_f32 v[90:91], v[112:113], v[96:97], v[84:85] op_sel_hi:[1,0,1]
	v_pk_mul_f32 v[82:83], v[132:133], v[82:83] op_sel_hi:[1,0]
	v_mov_b32_e32 v93, v89
	v_pk_add_f32 v[80:81], v[80:81], v[86:87]
	v_pk_fma_f32 v[84:85], v[112:113], v[96:97], v[84:85] neg_lo:[0,0,1] neg_hi:[0,0,1]
	s_wait_loadcnt_dscnt 0x100
	v_pk_mul_f32 v[88:89], v[124:125], v[120:121] op_sel:[1,1] op_sel_hi:[0,1]
	v_pk_fma_f32 v[86:87], v[114:115], v[98:99], v[82:83] op_sel_hi:[1,0,1]
	v_mov_b32_e32 v85, v91
	v_pk_add_f32 v[80:81], v[80:81], v[92:93]
	v_pk_fma_f32 v[82:83], v[114:115], v[98:99], v[82:83] neg_lo:[0,0,1] neg_hi:[0,0,1]
	s_delay_alu instid0(VALU_DEP_4) | instskip(SKIP_1) | instid1(VALU_DEP_4)
	v_mov_b32_e32 v83, v87
	v_pk_fma_f32 v[86:87], v[124:125], v[120:121], v[88:89] neg_lo:[0,0,1] neg_hi:[0,0,1]
	v_pk_add_f32 v[80:81], v[80:81], v[84:85]
	v_pk_fma_f32 v[84:85], v[124:125], v[120:121], v[88:89] op_sel_hi:[1,0,1]
	s_delay_alu instid0(VALU_DEP_2) | instskip(NEXT) | instid1(VALU_DEP_2)
	v_pk_add_f32 v[80:81], v[80:81], v[82:83]
	v_mov_b32_e32 v87, v85
	s_delay_alu instid0(VALU_DEP_1) | instskip(SKIP_1) | instid1(VALU_DEP_1)
	v_pk_add_f32 v[80:81], v[80:81], v[86:87]
	s_wait_loadcnt 0x0
	v_pk_add_f32 v[80:81], v[122:123], v[80:81] neg_lo:[0,1] neg_hi:[0,1]
	scratch_store_b64 off, v[80:81], off offset:216
	s_wait_xcnt 0x0
	v_cmpx_lt_u32_e32 26, v0
	s_cbranch_execz .LBB38_195
; %bb.194:
	scratch_load_b64 v[80:81], off, off offset:208
	v_mov_b64_e32 v[82:83], 0
	scratch_store_b64 off, v[82:83], off offset:208
	s_wait_loadcnt 0x0
	ds_store_b64 v1, v[80:81]
.LBB38_195:
	s_wait_xcnt 0x0
	s_or_b32 exec_lo, exec_lo, s0
	s_wait_storecnt_dscnt 0x0
	s_barrier_signal -1
	s_barrier_wait -1
	s_clause 0x6
	scratch_load_b128 v[80:83], off, off offset:216
	scratch_load_b128 v[84:87], off, off offset:232
	;; [unrolled: 1-line block ×6, first 2 shown]
	scratch_load_b64 v[128:129], off, off offset:208
	ds_load_2addr_b64 v[104:107], v5 offset0:71 offset1:72
	ds_load_2addr_b64 v[108:111], v5 offset0:73 offset1:74
	;; [unrolled: 1-line block ×6, first 2 shown]
	s_mov_b32 s0, exec_lo
	s_wait_dscnt 0x5
	v_dual_mov_b32 v130, v107 :: v_dual_mov_b32 v131, v106
	s_wait_dscnt 0x4
	v_dual_mov_b32 v132, v111 :: v_dual_mov_b32 v133, v110
	;; [unrolled: 2-line block ×4, first 2 shown]
	s_wait_loadcnt_dscnt 0x601
	v_dual_mul_f32 v5, v120, v81 :: v_dual_mul_f32 v7, v122, v83
	v_dual_mul_f32 v11, v121, v81 :: v_dual_mul_f32 v13, v123, v83
	s_wait_loadcnt 0x4
	s_delay_alu instid0(VALU_DEP_2)
	v_dual_mov_b32 v144, v91 :: v_dual_fmac_f32 v5, v121, v80
	s_wait_dscnt 0x0
	v_dual_mul_f32 v139, v124, v85 :: v_dual_mul_f32 v141, v126, v87
	v_dual_fma_f32 v11, v120, v80, -v11 :: v_dual_fma_f32 v13, v122, v82, -v13
	v_dual_mul_f32 v15, v125, v85 :: v_dual_mul_f32 v17, v127, v87
	v_dual_fmac_f32 v7, v123, v82 :: v_dual_add_f32 v5, 0, v5
	s_wait_loadcnt 0x3
	s_delay_alu instid0(VALU_DEP_3)
	v_dual_add_f32 v11, 0, v11 :: v_dual_mov_b32 v82, v95
	v_pk_mul_f32 v[142:143], v[104:105], v[88:89] op_sel:[1,1] op_sel_hi:[0,1]
	v_pk_mul_f32 v[80:81], v[108:109], v[92:93] op_sel:[1,1] op_sel_hi:[0,1]
	v_fmac_f32_e32 v139, v125, v84
	v_dual_fma_f32 v138, v124, v84, -v15 :: v_dual_add_f32 v85, v5, v7
	v_add_f32_e32 v84, v11, v13
	v_fmac_f32_e32 v141, v127, v86
	v_fma_f32 v140, v126, v86, -v17
	v_pk_fma_f32 v[86:87], v[104:105], v[88:89], v[142:143] op_sel_hi:[1,0,1]
	v_pk_mul_f32 v[120:121], v[130:131], v[144:145] op_sel_hi:[1,0]
	v_pk_add_f32 v[84:85], v[84:85], v[138:139]
	v_pk_fma_f32 v[88:89], v[104:105], v[88:89], v[142:143] neg_lo:[0,0,1] neg_hi:[0,0,1]
	v_pk_fma_f32 v[104:105], v[108:109], v[92:93], v[80:81] op_sel_hi:[1,0,1]
	v_pk_fma_f32 v[80:81], v[108:109], v[92:93], v[80:81] neg_lo:[0,0,1] neg_hi:[0,0,1]
	v_mov_b32_e32 v89, v87
	v_pk_fma_f32 v[86:87], v[106:107], v[90:91], v[120:121] op_sel_hi:[1,0,1]
	v_pk_fma_f32 v[90:91], v[106:107], v[90:91], v[120:121] neg_lo:[0,0,1] neg_hi:[0,0,1]
	v_mov_b32_e32 v81, v105
	v_pk_add_f32 v[84:85], v[84:85], v[140:141]
	v_pk_mul_f32 v[82:83], v[132:133], v[82:83] op_sel_hi:[1,0]
	s_wait_loadcnt 0x2
	v_dual_mov_b32 v91, v87 :: v_dual_mov_b32 v86, v99
	v_pk_mul_f32 v[122:123], v[112:113], v[96:97] op_sel:[1,1] op_sel_hi:[0,1]
	v_pk_add_f32 v[84:85], v[84:85], v[88:89]
	v_pk_fma_f32 v[88:89], v[110:111], v[94:95], v[82:83] op_sel_hi:[1,0,1]
	v_pk_fma_f32 v[82:83], v[110:111], v[94:95], v[82:83] neg_lo:[0,0,1] neg_hi:[0,0,1]
	v_pk_mul_f32 v[86:87], v[134:135], v[86:87] op_sel_hi:[1,0]
	s_delay_alu instid0(VALU_DEP_4) | instskip(SKIP_3) | instid1(VALU_DEP_4)
	v_pk_add_f32 v[84:85], v[84:85], v[90:91]
	v_pk_fma_f32 v[90:91], v[112:113], v[96:97], v[122:123] op_sel_hi:[1,0,1]
	v_mov_b32_e32 v83, v89
	v_pk_fma_f32 v[88:89], v[112:113], v[96:97], v[122:123] neg_lo:[0,0,1] neg_hi:[0,0,1]
	v_pk_add_f32 v[80:81], v[84:85], v[80:81]
	s_wait_loadcnt 0x1
	v_pk_mul_f32 v[84:85], v[116:117], v[100:101] op_sel:[1,1] op_sel_hi:[0,1]
	v_mov_b32_e32 v89, v91
	v_pk_fma_f32 v[90:91], v[114:115], v[98:99], v[86:87] op_sel_hi:[1,0,1]
	v_pk_fma_f32 v[86:87], v[114:115], v[98:99], v[86:87] neg_lo:[0,0,1] neg_hi:[0,0,1]
	v_pk_add_f32 v[80:81], v[80:81], v[82:83]
	v_mov_b32_e32 v82, v103
	v_pk_fma_f32 v[92:93], v[116:117], v[100:101], v[84:85] op_sel_hi:[1,0,1]
	v_mov_b32_e32 v87, v91
	v_pk_fma_f32 v[84:85], v[116:117], v[100:101], v[84:85] neg_lo:[0,0,1] neg_hi:[0,0,1]
	v_pk_add_f32 v[80:81], v[80:81], v[88:89]
	v_pk_mul_f32 v[82:83], v[136:137], v[82:83] op_sel_hi:[1,0]
	s_delay_alu instid0(VALU_DEP_2) | instskip(NEXT) | instid1(VALU_DEP_2)
	v_pk_add_f32 v[80:81], v[80:81], v[86:87]
	v_pk_fma_f32 v[86:87], v[118:119], v[102:103], v[82:83] op_sel_hi:[1,0,1]
	v_mov_b32_e32 v85, v93
	v_pk_fma_f32 v[82:83], v[118:119], v[102:103], v[82:83] neg_lo:[0,0,1] neg_hi:[0,0,1]
	s_delay_alu instid0(VALU_DEP_3) | instskip(NEXT) | instid1(VALU_DEP_3)
	v_mov_b32_e32 v83, v87
	v_pk_add_f32 v[80:81], v[80:81], v[84:85]
	s_delay_alu instid0(VALU_DEP_1) | instskip(SKIP_1) | instid1(VALU_DEP_1)
	v_pk_add_f32 v[80:81], v[80:81], v[82:83]
	s_wait_loadcnt 0x0
	v_pk_add_f32 v[80:81], v[128:129], v[80:81] neg_lo:[0,1] neg_hi:[0,1]
	scratch_store_b64 off, v[80:81], off offset:208
	s_wait_xcnt 0x0
	v_cmpx_lt_u32_e32 25, v0
	s_cbranch_execz .LBB38_197
; %bb.196:
	scratch_load_b64 v[80:81], off, off offset:200
	v_mov_b64_e32 v[82:83], 0
	scratch_store_b64 off, v[82:83], off offset:200
	s_wait_loadcnt 0x0
	ds_store_b64 v1, v[80:81]
.LBB38_197:
	s_wait_xcnt 0x0
	s_or_b32 exec_lo, exec_lo, s0
	s_wait_storecnt_dscnt 0x0
	s_barrier_signal -1
	s_barrier_wait -1
	s_clause 0x7
	scratch_load_b128 v[80:83], off, off offset:208
	scratch_load_b128 v[84:87], off, off offset:224
	;; [unrolled: 1-line block ×6, first 2 shown]
	scratch_load_b64 v[128:129], off, off offset:304
	scratch_load_b64 v[130:131], off, off offset:200
	v_mov_b32_e32 v5, 0
	ds_load_b128 v[104:107], v5 offset:560
	ds_load_b128 v[108:111], v5 offset:576
	;; [unrolled: 1-line block ×6, first 2 shown]
	ds_load_b64 v[132:133], v5 offset:624
	s_mov_b32 s0, exec_lo
	s_wait_dscnt 0x6
	v_dual_mov_b32 v134, v107 :: v_dual_mov_b32 v135, v106
	s_wait_dscnt 0x3
	v_dual_mov_b32 v136, v111 :: v_dual_mov_b32 v141, v118
	v_dual_mov_b32 v137, v110 :: v_dual_mov_b32 v138, v115
	v_dual_mov_b32 v139, v114 :: v_dual_mov_b32 v140, v119
	s_wait_loadcnt_dscnt 0x702
	v_dual_mul_f32 v7, v120, v81 :: v_dual_mul_f32 v15, v121, v81
	v_dual_mul_f32 v17, v123, v83 :: v_dual_mul_f32 v11, v122, v83
	s_wait_loadcnt_dscnt 0x601
	s_delay_alu instid0(VALU_DEP_2) | instskip(NEXT) | instid1(VALU_DEP_2)
	v_dual_mul_f32 v13, v124, v85 :: v_dual_fmac_f32 v7, v121, v80
	v_dual_fma_f32 v15, v120, v80, -v15 :: v_dual_fma_f32 v17, v122, v82, -v17
	s_wait_loadcnt 0x5
	v_dual_mul_f32 v143, v126, v87 :: v_dual_mul_f32 v145, v104, v89
	v_dual_mul_f32 v19, v125, v85 :: v_dual_mul_f32 v21, v127, v87
	v_dual_mul_f32 v23, v105, v89 :: v_dual_mov_b32 v144, v91
	s_wait_loadcnt 0x4
	v_mov_b32_e32 v80, v95
	v_dual_fmac_f32 v11, v123, v82 :: v_dual_add_f32 v7, 0, v7
	v_dual_add_f32 v15, 0, v15 :: v_dual_fmac_f32 v13, v125, v84
	v_fma_f32 v19, v124, v84, -v19
	v_pk_mul_f32 v[84:85], v[134:135], v[144:145] op_sel_hi:[1,0]
	s_delay_alu instid0(VALU_DEP_4) | instskip(NEXT) | instid1(VALU_DEP_4)
	v_add_f32_e32 v7, v7, v11
	v_dual_add_f32 v11, v15, v17 :: v_dual_fma_f32 v142, v126, v86, -v21
	v_dual_fmac_f32 v143, v127, v86 :: v_dual_fmac_f32 v145, v105, v88
	s_delay_alu instid0(VALU_DEP_3) | instskip(SKIP_1) | instid1(VALU_DEP_4)
	v_dual_add_f32 v87, v7, v13 :: v_dual_fma_f32 v144, v104, v88, -v23
	v_pk_fma_f32 v[88:89], v[106:107], v[90:91], v[84:85] op_sel_hi:[1,0,1]
	v_add_f32_e32 v86, v11, v19
	v_pk_fma_f32 v[84:85], v[106:107], v[90:91], v[84:85] neg_lo:[0,0,1] neg_hi:[0,0,1]
	v_pk_mul_f32 v[146:147], v[108:109], v[92:93] op_sel:[1,1] op_sel_hi:[0,1]
	v_pk_mul_f32 v[80:81], v[136:137], v[80:81] op_sel_hi:[1,0]
	v_mov_b32_e32 v85, v89
	v_pk_add_f32 v[86:87], v[86:87], v[142:143]
	s_wait_loadcnt 0x3
	v_pk_mul_f32 v[82:83], v[112:113], v[96:97] op_sel:[1,1] op_sel_hi:[0,1]
	v_pk_fma_f32 v[104:105], v[108:109], v[92:93], v[146:147] op_sel_hi:[1,0,1]
	v_pk_fma_f32 v[90:91], v[108:109], v[92:93], v[146:147] neg_lo:[0,0,1] neg_hi:[0,0,1]
	v_mov_b32_e32 v120, v99
	v_pk_add_f32 v[86:87], v[86:87], v[144:145]
	v_pk_fma_f32 v[92:93], v[110:111], v[94:95], v[80:81] op_sel_hi:[1,0,1]
	v_mov_b32_e32 v91, v105
	v_pk_fma_f32 v[80:81], v[110:111], v[94:95], v[80:81] neg_lo:[0,0,1] neg_hi:[0,0,1]
	v_pk_mul_f32 v[104:105], v[138:139], v[120:121] op_sel_hi:[1,0]
	v_pk_add_f32 v[84:85], v[86:87], v[84:85]
	v_pk_fma_f32 v[86:87], v[112:113], v[96:97], v[82:83] op_sel_hi:[1,0,1]
	s_wait_loadcnt 0x2
	v_dual_mov_b32 v81, v93 :: v_dual_mov_b32 v86, v103
	v_pk_fma_f32 v[82:83], v[112:113], v[96:97], v[82:83] neg_lo:[0,0,1] neg_hi:[0,0,1]
	v_pk_add_f32 v[84:85], v[84:85], v[90:91]
	v_pk_mul_f32 v[88:89], v[116:117], v[100:101] op_sel:[1,1] op_sel_hi:[0,1]
	v_pk_fma_f32 v[90:91], v[114:115], v[98:99], v[104:105] op_sel_hi:[1,0,1]
	v_mov_b32_e32 v83, v87
	v_pk_fma_f32 v[92:93], v[114:115], v[98:99], v[104:105] neg_lo:[0,0,1] neg_hi:[0,0,1]
	v_pk_add_f32 v[80:81], v[84:85], v[80:81]
	v_pk_fma_f32 v[84:85], v[116:117], v[100:101], v[88:89] op_sel_hi:[1,0,1]
	v_pk_mul_f32 v[86:87], v[140:141], v[86:87] op_sel_hi:[1,0]
	v_mov_b32_e32 v93, v91
	s_delay_alu instid0(VALU_DEP_4)
	v_pk_add_f32 v[80:81], v[80:81], v[82:83]
	v_pk_fma_f32 v[82:83], v[116:117], v[100:101], v[88:89] neg_lo:[0,0,1] neg_hi:[0,0,1]
	v_mov_b32_e32 v83, v85
	v_pk_fma_f32 v[84:85], v[118:119], v[102:103], v[86:87] op_sel_hi:[1,0,1]
	s_wait_loadcnt_dscnt 0x100
	v_pk_mul_f32 v[88:89], v[132:133], v[128:129] op_sel:[1,1] op_sel_hi:[0,1]
	v_pk_add_f32 v[80:81], v[80:81], v[92:93]
	v_pk_fma_f32 v[86:87], v[118:119], v[102:103], v[86:87] neg_lo:[0,0,1] neg_hi:[0,0,1]
	v_mov_b32_e32 v87, v85
	s_delay_alu instid0(VALU_DEP_4) | instskip(NEXT) | instid1(VALU_DEP_4)
	v_pk_fma_f32 v[84:85], v[132:133], v[128:129], v[88:89] neg_lo:[0,0,1] neg_hi:[0,0,1]
	v_pk_add_f32 v[80:81], v[80:81], v[82:83]
	v_pk_fma_f32 v[82:83], v[132:133], v[128:129], v[88:89] op_sel_hi:[1,0,1]
	s_delay_alu instid0(VALU_DEP_2) | instskip(NEXT) | instid1(VALU_DEP_2)
	v_pk_add_f32 v[80:81], v[80:81], v[86:87]
	v_mov_b32_e32 v85, v83
	s_delay_alu instid0(VALU_DEP_1) | instskip(SKIP_1) | instid1(VALU_DEP_1)
	v_pk_add_f32 v[80:81], v[80:81], v[84:85]
	s_wait_loadcnt 0x0
	v_pk_add_f32 v[80:81], v[130:131], v[80:81] neg_lo:[0,1] neg_hi:[0,1]
	scratch_store_b64 off, v[80:81], off offset:200
	s_wait_xcnt 0x0
	v_cmpx_lt_u32_e32 24, v0
	s_cbranch_execz .LBB38_199
; %bb.198:
	scratch_load_b64 v[80:81], off, off offset:192
	v_mov_b64_e32 v[82:83], 0
	scratch_store_b64 off, v[82:83], off offset:192
	s_wait_loadcnt 0x0
	ds_store_b64 v1, v[80:81]
.LBB38_199:
	s_wait_xcnt 0x0
	s_or_b32 exec_lo, exec_lo, s0
	s_wait_storecnt_dscnt 0x0
	s_barrier_signal -1
	s_barrier_wait -1
	s_clause 0x7
	scratch_load_b128 v[80:83], off, off offset:200
	scratch_load_b128 v[84:87], off, off offset:216
	;; [unrolled: 1-line block ×7, first 2 shown]
	scratch_load_b64 v[136:137], off, off offset:192
	ds_load_2addr_b64 v[108:111], v5 offset0:71 offset1:72
	ds_load_2addr_b64 v[112:115], v5 offset0:73 offset1:74
	;; [unrolled: 1-line block ×7, first 2 shown]
	s_mov_b32 s0, exec_lo
	s_wait_dscnt 0x6
	v_dual_mov_b32 v138, v111 :: v_dual_mov_b32 v139, v110
	s_wait_dscnt 0x5
	v_dual_mov_b32 v140, v115 :: v_dual_mov_b32 v141, v114
	;; [unrolled: 2-line block ×4, first 2 shown]
	s_wait_loadcnt_dscnt 0x702
	v_dual_mul_f32 v5, v124, v81 :: v_dual_mul_f32 v7, v126, v83
	v_dual_mul_f32 v15, v125, v81 :: v_dual_mul_f32 v17, v127, v83
	s_wait_loadcnt_dscnt 0x601
	v_dual_mul_f32 v11, v128, v85 :: v_dual_mul_f32 v13, v130, v87
	s_delay_alu instid0(VALU_DEP_2) | instskip(SKIP_2) | instid1(VALU_DEP_3)
	v_dual_fmac_f32 v5, v125, v80 :: v_dual_fma_f32 v15, v124, v80, -v15
	v_dual_mul_f32 v19, v129, v85 :: v_dual_mul_f32 v21, v131, v87
	v_dual_fmac_f32 v7, v127, v82 :: v_dual_fma_f32 v17, v126, v82, -v17
	v_dual_add_f32 v5, 0, v5 :: v_dual_add_f32 v15, 0, v15
	s_wait_loadcnt 0x4
	v_dual_mov_b32 v82, v95 :: v_dual_fmac_f32 v11, v129, v84
	s_delay_alu instid0(VALU_DEP_2) | instskip(NEXT) | instid1(VALU_DEP_3)
	v_dual_fma_f32 v19, v128, v84, -v19 :: v_dual_add_f32 v5, v5, v7
	v_dual_add_f32 v7, v15, v17 :: v_dual_fma_f32 v15, v130, v86, -v21
	s_wait_dscnt 0x0
	v_dual_mul_f32 v147, v132, v89 :: v_dual_mul_f32 v149, v134, v91
	v_dual_mul_f32 v23, v133, v89 :: v_dual_mul_f32 v25, v135, v91
	v_dual_fmac_f32 v13, v131, v86 :: v_dual_add_f32 v5, v5, v11
	s_delay_alu instid0(VALU_DEP_3)
	v_dual_add_f32 v7, v7, v19 :: v_dual_fmac_f32 v147, v133, v88
	v_pk_mul_f32 v[80:81], v[108:109], v[92:93] op_sel:[1,1] op_sel_hi:[0,1]
	s_wait_loadcnt 0x3
	v_pk_mul_f32 v[84:85], v[112:113], v[96:97] op_sel:[1,1] op_sel_hi:[0,1]
	v_dual_mov_b32 v86, v99 :: v_dual_fma_f32 v146, v132, v88, -v23
	v_dual_add_f32 v89, v5, v13 :: v_dual_add_f32 v88, v7, v15
	v_fmac_f32_e32 v149, v135, v90
	v_fma_f32 v148, v134, v90, -v25
	v_pk_fma_f32 v[90:91], v[108:109], v[92:93], v[80:81] op_sel_hi:[1,0,1]
	v_pk_mul_f32 v[82:83], v[138:139], v[82:83] op_sel_hi:[1,0]
	v_pk_add_f32 v[88:89], v[88:89], v[146:147]
	v_pk_fma_f32 v[80:81], v[108:109], v[92:93], v[80:81] neg_lo:[0,0,1] neg_hi:[0,0,1]
	v_pk_fma_f32 v[92:93], v[112:113], v[96:97], v[84:85] op_sel_hi:[1,0,1]
	v_pk_fma_f32 v[84:85], v[112:113], v[96:97], v[84:85] neg_lo:[0,0,1] neg_hi:[0,0,1]
	v_mov_b32_e32 v81, v91
	v_pk_fma_f32 v[90:91], v[110:111], v[94:95], v[82:83] op_sel_hi:[1,0,1]
	v_pk_fma_f32 v[82:83], v[110:111], v[94:95], v[82:83] neg_lo:[0,0,1] neg_hi:[0,0,1]
	v_mov_b32_e32 v85, v93
	v_pk_add_f32 v[88:89], v[88:89], v[148:149]
	v_pk_mul_f32 v[86:87], v[140:141], v[86:87] op_sel_hi:[1,0]
	v_mov_b32_e32 v83, v91
	s_wait_loadcnt 0x2
	v_pk_mul_f32 v[124:125], v[116:117], v[100:101] op_sel:[1,1] op_sel_hi:[0,1]
	v_pk_add_f32 v[80:81], v[88:89], v[80:81]
	v_mov_b32_e32 v88, v103
	v_pk_fma_f32 v[90:91], v[114:115], v[98:99], v[86:87] op_sel_hi:[1,0,1]
	v_pk_fma_f32 v[86:87], v[114:115], v[98:99], v[86:87] neg_lo:[0,0,1] neg_hi:[0,0,1]
	s_delay_alu instid0(VALU_DEP_4)
	v_pk_add_f32 v[80:81], v[80:81], v[82:83]
	v_pk_fma_f32 v[82:83], v[116:117], v[100:101], v[124:125] op_sel_hi:[1,0,1]
	v_pk_mul_f32 v[88:89], v[142:143], v[88:89] op_sel_hi:[1,0]
	v_mov_b32_e32 v87, v91
	v_pk_fma_f32 v[90:91], v[116:117], v[100:101], v[124:125] neg_lo:[0,0,1] neg_hi:[0,0,1]
	v_pk_add_f32 v[80:81], v[80:81], v[84:85]
	v_mov_b32_e32 v91, v83
	v_pk_fma_f32 v[82:83], v[118:119], v[102:103], v[88:89] op_sel_hi:[1,0,1]
	s_wait_loadcnt 0x1
	v_pk_mul_f32 v[84:85], v[120:121], v[104:105] op_sel:[1,1] op_sel_hi:[0,1]
	v_mov_b32_e32 v82, v107
	v_pk_add_f32 v[80:81], v[80:81], v[86:87]
	v_pk_fma_f32 v[88:89], v[118:119], v[102:103], v[88:89] neg_lo:[0,0,1] neg_hi:[0,0,1]
	v_mov_b32_e32 v89, v83
	v_pk_fma_f32 v[86:87], v[120:121], v[104:105], v[84:85] op_sel_hi:[1,0,1]
	v_pk_mul_f32 v[82:83], v[144:145], v[82:83] op_sel_hi:[1,0]
	v_pk_add_f32 v[80:81], v[80:81], v[90:91]
	v_pk_fma_f32 v[84:85], v[120:121], v[104:105], v[84:85] neg_lo:[0,0,1] neg_hi:[0,0,1]
	s_delay_alu instid0(VALU_DEP_4) | instskip(NEXT) | instid1(VALU_DEP_4)
	v_mov_b32_e32 v85, v87
	v_pk_fma_f32 v[86:87], v[122:123], v[106:107], v[82:83] op_sel_hi:[1,0,1]
	s_delay_alu instid0(VALU_DEP_4) | instskip(SKIP_1) | instid1(VALU_DEP_3)
	v_pk_add_f32 v[80:81], v[80:81], v[88:89]
	v_pk_fma_f32 v[82:83], v[122:123], v[106:107], v[82:83] neg_lo:[0,0,1] neg_hi:[0,0,1]
	v_mov_b32_e32 v83, v87
	s_delay_alu instid0(VALU_DEP_3) | instskip(NEXT) | instid1(VALU_DEP_1)
	v_pk_add_f32 v[80:81], v[80:81], v[84:85]
	v_pk_add_f32 v[80:81], v[80:81], v[82:83]
	s_wait_loadcnt 0x0
	s_delay_alu instid0(VALU_DEP_1)
	v_pk_add_f32 v[80:81], v[136:137], v[80:81] neg_lo:[0,1] neg_hi:[0,1]
	scratch_store_b64 off, v[80:81], off offset:192
	s_wait_xcnt 0x0
	v_cmpx_lt_u32_e32 23, v0
	s_cbranch_execz .LBB38_201
; %bb.200:
	scratch_load_b64 v[80:81], off, off offset:184
	v_mov_b64_e32 v[82:83], 0
	scratch_store_b64 off, v[82:83], off offset:184
	s_wait_loadcnt 0x0
	ds_store_b64 v1, v[80:81]
.LBB38_201:
	s_wait_xcnt 0x0
	s_or_b32 exec_lo, exec_lo, s0
	s_wait_storecnt_dscnt 0x0
	s_barrier_signal -1
	s_barrier_wait -1
	s_clause 0x8
	scratch_load_b128 v[80:83], off, off offset:192
	scratch_load_b128 v[84:87], off, off offset:208
	;; [unrolled: 1-line block ×7, first 2 shown]
	scratch_load_b64 v[136:137], off, off offset:304
	scratch_load_b64 v[138:139], off, off offset:184
	v_mov_b32_e32 v5, 0
	ds_load_b128 v[108:111], v5 offset:560
	ds_load_b128 v[112:115], v5 offset:576
	;; [unrolled: 1-line block ×7, first 2 shown]
	ds_load_b64 v[140:141], v5 offset:624
	s_mov_b32 s0, exec_lo
	s_wait_dscnt 0x7
	v_dual_mov_b32 v142, v111 :: v_dual_mov_b32 v143, v110
	s_wait_dscnt 0x4
	v_dual_mov_b32 v144, v115 :: v_dual_mov_b32 v149, v122
	v_dual_mov_b32 v145, v114 :: v_dual_mov_b32 v146, v119
	v_dual_mov_b32 v147, v118 :: v_dual_mov_b32 v148, v123
	s_wait_loadcnt_dscnt 0x803
	v_dual_mul_f32 v7, v124, v81 :: v_dual_mul_f32 v19, v125, v81
	v_dual_mul_f32 v21, v127, v83 :: v_dual_mul_f32 v11, v126, v83
	s_wait_loadcnt_dscnt 0x702
	v_mul_f32_e32 v13, v128, v85
	s_wait_loadcnt 0x5
	v_dual_mul_f32 v31, v109, v93 :: v_dual_fma_f32 v19, v124, v80, -v19
	v_dual_fmac_f32 v7, v125, v80 :: v_dual_mov_b32 v80, v95
	v_dual_mul_f32 v23, v129, v85 :: v_dual_mul_f32 v25, v131, v87
	v_dual_fmac_f32 v11, v127, v82 :: v_dual_fma_f32 v21, v126, v82, -v21
	s_delay_alu instid0(VALU_DEP_3) | instskip(NEXT) | instid1(VALU_DEP_3)
	v_dual_add_f32 v7, 0, v7 :: v_dual_fmac_f32 v13, v129, v84
	v_dual_add_f32 v19, 0, v19 :: v_dual_fma_f32 v23, v128, v84, -v23
	s_wait_dscnt 0x1
	v_dual_mul_f32 v15, v130, v87 :: v_dual_mul_f32 v17, v132, v89
	s_delay_alu instid0(VALU_DEP_3) | instskip(NEXT) | instid1(VALU_DEP_3)
	v_add_f32_e32 v7, v7, v11
	v_dual_add_f32 v11, v19, v21 :: v_dual_mul_f32 v151, v134, v91
	v_mul_f32_e32 v153, v108, v93
	v_dual_mul_f32 v27, v133, v89 :: v_dual_mul_f32 v29, v135, v91
	s_wait_loadcnt 0x4
	v_pk_mul_f32 v[82:83], v[112:113], v[96:97] op_sel:[1,1] op_sel_hi:[0,1]
	s_delay_alu instid0(VALU_DEP_3)
	v_dual_fmac_f32 v15, v131, v86 :: v_dual_fmac_f32 v153, v109, v92
	v_dual_fma_f32 v19, v130, v86, -v25 :: v_dual_add_f32 v7, v7, v13
	v_fma_f32 v150, v134, v90, -v29
	v_dual_fmac_f32 v17, v133, v88 :: v_dual_add_f32 v11, v11, v23
	v_fma_f32 v152, v108, v92, -v31
	v_pk_mul_f32 v[80:81], v[142:143], v[80:81] op_sel_hi:[1,0]
	v_dual_mov_b32 v84, v99 :: v_dual_fma_f32 v13, v132, v88, -v27
	v_pk_fma_f32 v[108:109], v[112:113], v[96:97], v[82:83] op_sel_hi:[1,0,1]
	v_add_f32_e32 v11, v11, v19
	s_delay_alu instid0(VALU_DEP_4) | instskip(SKIP_3) | instid1(VALU_DEP_4)
	v_pk_fma_f32 v[92:93], v[110:111], v[94:95], v[80:81] op_sel_hi:[1,0,1]
	v_add_f32_e32 v7, v7, v15
	v_pk_fma_f32 v[80:81], v[110:111], v[94:95], v[80:81] neg_lo:[0,0,1] neg_hi:[0,0,1]
	v_pk_fma_f32 v[82:83], v[112:113], v[96:97], v[82:83] neg_lo:[0,0,1] neg_hi:[0,0,1]
	v_dual_fmac_f32 v151, v135, v90 :: v_dual_mov_b32 v81, v93
	s_delay_alu instid0(VALU_DEP_4)
	v_dual_add_f32 v89, v7, v17 :: v_dual_mov_b32 v83, v109
	v_add_f32_e32 v88, v11, v13
	v_pk_mul_f32 v[84:85], v[144:145], v[84:85] op_sel_hi:[1,0]
	s_wait_loadcnt 0x3
	v_pk_mul_f32 v[86:87], v[116:117], v[100:101] op_sel:[1,1] op_sel_hi:[0,1]
	s_wait_loadcnt 0x2
	v_pk_mul_f32 v[92:93], v[120:121], v[104:105] op_sel:[1,1] op_sel_hi:[0,1]
	v_pk_add_f32 v[88:89], v[88:89], v[150:151]
	v_pk_fma_f32 v[94:95], v[114:115], v[98:99], v[84:85] op_sel_hi:[1,0,1]
	v_mov_b32_e32 v90, v103
	v_pk_fma_f32 v[84:85], v[114:115], v[98:99], v[84:85] neg_lo:[0,0,1] neg_hi:[0,0,1]
	s_delay_alu instid0(VALU_DEP_4) | instskip(NEXT) | instid1(VALU_DEP_4)
	v_pk_add_f32 v[88:89], v[88:89], v[152:153]
	v_mov_b32_e32 v85, v95
	s_delay_alu instid0(VALU_DEP_4) | instskip(NEXT) | instid1(VALU_DEP_3)
	v_pk_mul_f32 v[90:91], v[146:147], v[90:91] op_sel_hi:[1,0]
	v_pk_add_f32 v[80:81], v[88:89], v[80:81]
	v_pk_fma_f32 v[88:89], v[116:117], v[100:101], v[86:87] op_sel_hi:[1,0,1]
	v_pk_fma_f32 v[86:87], v[116:117], v[100:101], v[86:87] neg_lo:[0,0,1] neg_hi:[0,0,1]
	s_delay_alu instid0(VALU_DEP_3) | instskip(NEXT) | instid1(VALU_DEP_3)
	v_pk_add_f32 v[80:81], v[80:81], v[82:83]
	v_dual_mov_b32 v82, v107 :: v_dual_mov_b32 v87, v89
	v_pk_fma_f32 v[88:89], v[118:119], v[102:103], v[90:91] op_sel_hi:[1,0,1]
	v_pk_fma_f32 v[90:91], v[118:119], v[102:103], v[90:91] neg_lo:[0,0,1] neg_hi:[0,0,1]
	s_delay_alu instid0(VALU_DEP_4)
	v_pk_add_f32 v[80:81], v[80:81], v[84:85]
	v_pk_fma_f32 v[84:85], v[120:121], v[104:105], v[92:93] op_sel_hi:[1,0,1]
	v_pk_mul_f32 v[82:83], v[148:149], v[82:83] op_sel_hi:[1,0]
	v_mov_b32_e32 v91, v89
	s_wait_loadcnt_dscnt 0x100
	v_pk_mul_f32 v[88:89], v[140:141], v[136:137] op_sel:[1,1] op_sel_hi:[0,1]
	v_pk_add_f32 v[80:81], v[80:81], v[86:87]
	v_pk_fma_f32 v[86:87], v[120:121], v[104:105], v[92:93] neg_lo:[0,0,1] neg_hi:[0,0,1]
	v_mov_b32_e32 v87, v85
	v_pk_fma_f32 v[84:85], v[122:123], v[106:107], v[82:83] op_sel_hi:[1,0,1]
	v_pk_fma_f32 v[82:83], v[122:123], v[106:107], v[82:83] neg_lo:[0,0,1] neg_hi:[0,0,1]
	v_pk_add_f32 v[80:81], v[80:81], v[90:91]
	s_delay_alu instid0(VALU_DEP_3) | instskip(SKIP_1) | instid1(VALU_DEP_3)
	v_mov_b32_e32 v83, v85
	v_pk_fma_f32 v[84:85], v[140:141], v[136:137], v[88:89] op_sel_hi:[1,0,1]
	v_pk_add_f32 v[80:81], v[80:81], v[86:87]
	v_pk_fma_f32 v[86:87], v[140:141], v[136:137], v[88:89] neg_lo:[0,0,1] neg_hi:[0,0,1]
	s_delay_alu instid0(VALU_DEP_3) | instskip(NEXT) | instid1(VALU_DEP_3)
	v_mov_b32_e32 v87, v85
	v_pk_add_f32 v[80:81], v[80:81], v[82:83]
	s_delay_alu instid0(VALU_DEP_1) | instskip(SKIP_1) | instid1(VALU_DEP_1)
	v_pk_add_f32 v[80:81], v[80:81], v[86:87]
	s_wait_loadcnt 0x0
	v_pk_add_f32 v[80:81], v[138:139], v[80:81] neg_lo:[0,1] neg_hi:[0,1]
	scratch_store_b64 off, v[80:81], off offset:184
	s_wait_xcnt 0x0
	v_cmpx_lt_u32_e32 22, v0
	s_cbranch_execz .LBB38_203
; %bb.202:
	scratch_load_b64 v[80:81], off, off offset:176
	v_mov_b64_e32 v[82:83], 0
	scratch_store_b64 off, v[82:83], off offset:176
	s_wait_loadcnt 0x0
	ds_store_b64 v1, v[80:81]
.LBB38_203:
	s_wait_xcnt 0x0
	s_or_b32 exec_lo, exec_lo, s0
	s_wait_storecnt_dscnt 0x0
	s_barrier_signal -1
	s_barrier_wait -1
	s_clause 0x8
	scratch_load_b128 v[80:83], off, off offset:184
	scratch_load_b128 v[84:87], off, off offset:200
	;; [unrolled: 1-line block ×8, first 2 shown]
	scratch_load_b64 v[144:145], off, off offset:176
	ds_load_2addr_b64 v[112:115], v5 offset0:71 offset1:72
	ds_load_2addr_b64 v[116:119], v5 offset0:73 offset1:74
	ds_load_2addr_b64 v[120:123], v5 offset0:75 offset1:76
	ds_load_2addr_b64 v[124:127], v5 offset0:77 offset1:78
	ds_load_2addr_b64 v[128:131], v5 offset0:63 offset1:64
	ds_load_2addr_b64 v[132:135], v5 offset0:65 offset1:66
	ds_load_2addr_b64 v[136:139], v5 offset0:67 offset1:68
	ds_load_2addr_b64 v[140:143], v5 offset0:69 offset1:70
	s_mov_b32 s0, exec_lo
	s_wait_dscnt 0x7
	v_dual_mov_b32 v146, v115 :: v_dual_mov_b32 v147, v114
	s_wait_dscnt 0x6
	v_dual_mov_b32 v148, v119 :: v_dual_mov_b32 v149, v118
	;; [unrolled: 2-line block ×4, first 2 shown]
	s_wait_loadcnt_dscnt 0x803
	v_dual_mul_f32 v5, v128, v81 :: v_dual_mul_f32 v7, v130, v83
	v_dual_mul_f32 v19, v129, v81 :: v_dual_mul_f32 v21, v131, v83
	s_wait_loadcnt_dscnt 0x702
	v_dual_mul_f32 v11, v132, v85 :: v_dual_mul_f32 v13, v134, v87
	s_delay_alu instid0(VALU_DEP_2) | instskip(SKIP_3) | instid1(VALU_DEP_3)
	v_dual_fmac_f32 v5, v129, v80 :: v_dual_fma_f32 v19, v128, v80, -v19
	v_dual_mul_f32 v23, v133, v85 :: v_dual_mul_f32 v25, v135, v87
	s_wait_loadcnt_dscnt 0x500
	v_dual_mul_f32 v31, v141, v93 :: v_dual_fmac_f32 v7, v131, v82
	v_dual_fma_f32 v21, v130, v82, -v21 :: v_dual_add_f32 v5, 0, v5
	v_dual_add_f32 v19, 0, v19 :: v_dual_fmac_f32 v11, v133, v84
	v_dual_mul_f32 v33, v143, v95 :: v_dual_fma_f32 v23, v132, v84, -v23
	s_delay_alu instid0(VALU_DEP_2) | instskip(SKIP_2) | instid1(VALU_DEP_3)
	v_dual_add_f32 v5, v5, v7 :: v_dual_add_f32 v7, v19, v21
	v_dual_mul_f32 v15, v136, v89 :: v_dual_mul_f32 v17, v138, v91
	v_dual_mul_f32 v27, v137, v89 :: v_dual_mul_f32 v29, v139, v91
	v_dual_fmac_f32 v13, v135, v86 :: v_dual_add_f32 v5, v5, v11
	s_delay_alu instid0(VALU_DEP_4) | instskip(SKIP_2) | instid1(VALU_DEP_3)
	v_dual_fma_f32 v19, v134, v86, -v25 :: v_dual_add_f32 v7, v7, v23
	s_wait_loadcnt 0x4
	v_dual_mov_b32 v82, v99 :: v_dual_fmac_f32 v15, v137, v88
	v_dual_fma_f32 v11, v136, v88, -v27 :: v_dual_add_f32 v5, v5, v13
	s_delay_alu instid0(VALU_DEP_3) | instskip(SKIP_1) | instid1(VALU_DEP_3)
	v_dual_add_f32 v7, v7, v19 :: v_dual_fma_f32 v13, v138, v90, -v29
	v_dual_mul_f32 v155, v140, v93 :: v_dual_mul_f32 v157, v142, v95
	v_dual_fmac_f32 v17, v139, v90 :: v_dual_add_f32 v5, v5, v15
	s_delay_alu instid0(VALU_DEP_2)
	v_dual_add_f32 v7, v7, v11 :: v_dual_fmac_f32 v155, v141, v92
	v_pk_mul_f32 v[80:81], v[112:113], v[96:97] op_sel:[1,1] op_sel_hi:[0,1]
	s_wait_loadcnt 0x3
	v_dual_mov_b32 v86, v103 :: v_dual_fma_f32 v154, v140, v92, -v31
	v_dual_add_f32 v89, v5, v17 :: v_dual_fmac_f32 v157, v143, v94
	v_dual_add_f32 v88, v7, v13 :: v_dual_fma_f32 v156, v142, v94, -v33
	v_pk_fma_f32 v[90:91], v[112:113], v[96:97], v[80:81] op_sel_hi:[1,0,1]
	v_pk_mul_f32 v[82:83], v[146:147], v[82:83] op_sel_hi:[1,0]
	v_pk_fma_f32 v[80:81], v[112:113], v[96:97], v[80:81] neg_lo:[0,0,1] neg_hi:[0,0,1]
	s_delay_alu instid0(VALU_DEP_4)
	v_pk_add_f32 v[88:89], v[88:89], v[154:155]
	v_pk_mul_f32 v[84:85], v[116:117], v[100:101] op_sel:[1,1] op_sel_hi:[0,1]
	v_mov_b32_e32 v81, v91
	v_pk_fma_f32 v[90:91], v[114:115], v[98:99], v[82:83] op_sel_hi:[1,0,1]
	v_pk_fma_f32 v[82:83], v[114:115], v[98:99], v[82:83] neg_lo:[0,0,1] neg_hi:[0,0,1]
	v_pk_add_f32 v[88:89], v[88:89], v[156:157]
	v_pk_fma_f32 v[94:95], v[116:117], v[100:101], v[84:85] op_sel_hi:[1,0,1]
	v_pk_mul_f32 v[86:87], v[148:149], v[86:87] op_sel_hi:[1,0]
	v_mov_b32_e32 v83, v91
	s_wait_loadcnt 0x2
	v_pk_mul_f32 v[92:93], v[120:121], v[104:105] op_sel:[1,1] op_sel_hi:[0,1]
	v_pk_add_f32 v[80:81], v[88:89], v[80:81]
	v_mov_b32_e32 v88, v107
	v_pk_fma_f32 v[84:85], v[116:117], v[100:101], v[84:85] neg_lo:[0,0,1] neg_hi:[0,0,1]
	v_mov_b32_e32 v85, v95
	v_pk_fma_f32 v[90:91], v[118:119], v[102:103], v[86:87] op_sel_hi:[1,0,1]
	v_pk_add_f32 v[80:81], v[80:81], v[82:83]
	v_pk_fma_f32 v[82:83], v[120:121], v[104:105], v[92:93] op_sel_hi:[1,0,1]
	v_pk_mul_f32 v[88:89], v[150:151], v[88:89] op_sel_hi:[1,0]
	v_pk_fma_f32 v[86:87], v[118:119], v[102:103], v[86:87] neg_lo:[0,0,1] neg_hi:[0,0,1]
	v_mov_b32_e32 v87, v91
	v_pk_add_f32 v[80:81], v[80:81], v[84:85]
	v_pk_fma_f32 v[90:91], v[120:121], v[104:105], v[92:93] neg_lo:[0,0,1] neg_hi:[0,0,1]
	v_mov_b32_e32 v91, v83
	v_pk_fma_f32 v[82:83], v[122:123], v[106:107], v[88:89] op_sel_hi:[1,0,1]
	s_wait_loadcnt 0x1
	v_pk_mul_f32 v[84:85], v[124:125], v[108:109] op_sel:[1,1] op_sel_hi:[0,1]
	v_pk_add_f32 v[80:81], v[80:81], v[86:87]
	v_mov_b32_e32 v82, v111
	v_pk_fma_f32 v[88:89], v[122:123], v[106:107], v[88:89] neg_lo:[0,0,1] neg_hi:[0,0,1]
	v_mov_b32_e32 v89, v83
	v_pk_fma_f32 v[86:87], v[124:125], v[108:109], v[84:85] op_sel_hi:[1,0,1]
	v_pk_add_f32 v[80:81], v[80:81], v[90:91]
	v_pk_mul_f32 v[82:83], v[152:153], v[82:83] op_sel_hi:[1,0]
	v_pk_fma_f32 v[84:85], v[124:125], v[108:109], v[84:85] neg_lo:[0,0,1] neg_hi:[0,0,1]
	s_delay_alu instid0(VALU_DEP_4) | instskip(NEXT) | instid1(VALU_DEP_4)
	v_mov_b32_e32 v85, v87
	v_pk_add_f32 v[80:81], v[80:81], v[88:89]
	s_delay_alu instid0(VALU_DEP_4) | instskip(SKIP_1) | instid1(VALU_DEP_2)
	v_pk_fma_f32 v[86:87], v[126:127], v[110:111], v[82:83] op_sel_hi:[1,0,1]
	v_pk_fma_f32 v[82:83], v[126:127], v[110:111], v[82:83] neg_lo:[0,0,1] neg_hi:[0,0,1]
	v_mov_b32_e32 v83, v87
	s_delay_alu instid0(VALU_DEP_4) | instskip(NEXT) | instid1(VALU_DEP_1)
	v_pk_add_f32 v[80:81], v[80:81], v[84:85]
	v_pk_add_f32 v[80:81], v[80:81], v[82:83]
	s_wait_loadcnt 0x0
	s_delay_alu instid0(VALU_DEP_1)
	v_pk_add_f32 v[80:81], v[144:145], v[80:81] neg_lo:[0,1] neg_hi:[0,1]
	scratch_store_b64 off, v[80:81], off offset:176
	s_wait_xcnt 0x0
	v_cmpx_lt_u32_e32 21, v0
	s_cbranch_execz .LBB38_205
; %bb.204:
	scratch_load_b64 v[80:81], off, off offset:168
	v_mov_b64_e32 v[82:83], 0
	scratch_store_b64 off, v[82:83], off offset:168
	s_wait_loadcnt 0x0
	ds_store_b64 v1, v[80:81]
.LBB38_205:
	s_wait_xcnt 0x0
	s_or_b32 exec_lo, exec_lo, s0
	s_wait_storecnt_dscnt 0x0
	s_barrier_signal -1
	s_barrier_wait -1
	s_clause 0x9
	scratch_load_b128 v[80:83], off, off offset:176
	scratch_load_b128 v[84:87], off, off offset:192
	scratch_load_b128 v[88:91], off, off offset:208
	scratch_load_b128 v[92:95], off, off offset:224
	scratch_load_b128 v[96:99], off, off offset:240
	scratch_load_b128 v[100:103], off, off offset:256
	scratch_load_b128 v[104:107], off, off offset:272
	scratch_load_b128 v[108:111], off, off offset:288
	scratch_load_b64 v[144:145], off, off offset:304
	scratch_load_b64 v[146:147], off, off offset:168
	v_mov_b32_e32 v5, 0
	ds_load_b128 v[112:115], v5 offset:560
	ds_load_b128 v[116:119], v5 offset:576
	;; [unrolled: 1-line block ×8, first 2 shown]
	ds_load_b64 v[148:149], v5 offset:624
	s_mov_b32 s0, exec_lo
	s_wait_dscnt 0x8
	v_dual_mov_b32 v150, v115 :: v_dual_mov_b32 v151, v114
	s_wait_dscnt 0x5
	v_dual_mov_b32 v152, v119 :: v_dual_mov_b32 v157, v126
	v_dual_mov_b32 v153, v118 :: v_dual_mov_b32 v154, v123
	;; [unrolled: 1-line block ×3, first 2 shown]
	s_wait_loadcnt_dscnt 0x904
	v_dual_mul_f32 v7, v128, v81 :: v_dual_mul_f32 v23, v129, v81
	v_dual_mul_f32 v25, v131, v83 :: v_dual_mul_f32 v11, v130, v83
	s_wait_loadcnt_dscnt 0x803
	v_mul_f32_e32 v13, v132, v85
	s_wait_loadcnt_dscnt 0x601
	v_dual_mul_f32 v35, v141, v93 :: v_dual_fma_f32 v23, v128, v80, -v23
	v_dual_fmac_f32 v7, v129, v80 :: v_dual_mul_f32 v37, v143, v95
	v_dual_mul_f32 v27, v133, v85 :: v_dual_mul_f32 v29, v135, v87
	v_dual_fmac_f32 v11, v131, v82 :: v_dual_fma_f32 v25, v130, v82, -v25
	s_wait_loadcnt 0x5
	s_delay_alu instid0(VALU_DEP_3) | instskip(SKIP_2) | instid1(VALU_DEP_3)
	v_dual_add_f32 v7, 0, v7 :: v_dual_mul_f32 v39, v113, v97
	v_dual_add_f32 v23, 0, v23 :: v_dual_fmac_f32 v13, v133, v84
	v_dual_mul_f32 v15, v134, v87 :: v_dual_mul_f32 v17, v136, v89
	v_dual_fma_f32 v27, v132, v84, -v27 :: v_dual_add_f32 v7, v7, v11
	s_delay_alu instid0(VALU_DEP_3) | instskip(SKIP_3) | instid1(VALU_DEP_3)
	v_dual_add_f32 v11, v23, v25 :: v_dual_fma_f32 v23, v134, v86, -v29
	v_dual_mul_f32 v19, v138, v91 :: v_dual_mul_f32 v21, v140, v93
	v_dual_mul_f32 v31, v137, v89 :: v_dual_mul_f32 v33, v139, v91
	v_dual_mov_b32 v80, v99 :: v_dual_fmac_f32 v17, v137, v88
	v_dual_fmac_f32 v15, v135, v86 :: v_dual_fmac_f32 v21, v141, v92
	s_delay_alu instid0(VALU_DEP_3) | instskip(SKIP_1) | instid1(VALU_DEP_4)
	v_dual_add_f32 v7, v7, v13 :: v_dual_fma_f32 v13, v136, v88, -v31
	v_add_f32_e32 v11, v11, v27
	v_pk_mul_f32 v[80:81], v[150:151], v[80:81] op_sel_hi:[1,0]
	v_dual_mul_f32 v159, v142, v95 :: v_dual_mul_f32 v161, v112, v97
	s_delay_alu instid0(VALU_DEP_4) | instskip(NEXT) | instid1(VALU_DEP_4)
	v_dual_add_f32 v7, v7, v15 :: v_dual_fma_f32 v15, v138, v90, -v33
	v_dual_add_f32 v11, v11, v23 :: v_dual_fma_f32 v158, v142, v94, -v37
	s_delay_alu instid0(VALU_DEP_3) | instskip(NEXT) | instid1(VALU_DEP_2)
	v_dual_fmac_f32 v19, v139, v90 :: v_dual_fmac_f32 v161, v113, v96
	v_dual_fma_f32 v160, v112, v96, -v39 :: v_dual_add_f32 v11, v11, v13
	s_delay_alu instid0(VALU_DEP_4)
	v_dual_fma_f32 v13, v140, v92, -v35 :: v_dual_add_f32 v7, v7, v17
	v_pk_fma_f32 v[92:93], v[114:115], v[98:99], v[80:81] op_sel_hi:[1,0,1]
	v_pk_fma_f32 v[80:81], v[114:115], v[98:99], v[80:81] neg_lo:[0,0,1] neg_hi:[0,0,1]
	v_fmac_f32_e32 v159, v143, v94
	s_wait_loadcnt 0x4
	v_pk_mul_f32 v[82:83], v[116:117], v[100:101] op_sel:[1,1] op_sel_hi:[0,1]
	v_dual_add_f32 v7, v7, v19 :: v_dual_mov_b32 v81, v93
	v_add_f32_e32 v11, v11, v15
	s_wait_loadcnt 0x3
	v_dual_mov_b32 v84, v103 :: v_dual_mov_b32 v90, v107
	s_delay_alu instid0(VALU_DEP_3) | instskip(SKIP_2) | instid1(VALU_DEP_4)
	v_add_f32_e32 v89, v7, v21
	v_pk_fma_f32 v[94:95], v[116:117], v[100:101], v[82:83] op_sel_hi:[1,0,1]
	v_add_f32_e32 v88, v11, v13
	v_pk_mul_f32 v[84:85], v[152:153], v[84:85] op_sel_hi:[1,0]
	v_pk_fma_f32 v[82:83], v[116:117], v[100:101], v[82:83] neg_lo:[0,0,1] neg_hi:[0,0,1]
	v_pk_mul_f32 v[86:87], v[120:121], v[104:105] op_sel:[1,1] op_sel_hi:[0,1]
	v_mov_b32_e32 v83, v95
	v_pk_add_f32 v[88:89], v[88:89], v[158:159]
	v_pk_fma_f32 v[94:95], v[118:119], v[102:103], v[84:85] op_sel_hi:[1,0,1]
	v_pk_fma_f32 v[84:85], v[118:119], v[102:103], v[84:85] neg_lo:[0,0,1] neg_hi:[0,0,1]
	v_pk_mul_f32 v[90:91], v[154:155], v[90:91] op_sel_hi:[1,0]
	s_wait_loadcnt 0x2
	v_pk_mul_f32 v[92:93], v[124:125], v[108:109] op_sel:[1,1] op_sel_hi:[0,1]
	v_pk_add_f32 v[88:89], v[88:89], v[160:161]
	v_mov_b32_e32 v85, v95
	s_delay_alu instid0(VALU_DEP_2) | instskip(SKIP_2) | instid1(VALU_DEP_3)
	v_pk_add_f32 v[80:81], v[88:89], v[80:81]
	v_pk_fma_f32 v[88:89], v[120:121], v[104:105], v[86:87] op_sel_hi:[1,0,1]
	v_pk_fma_f32 v[86:87], v[120:121], v[104:105], v[86:87] neg_lo:[0,0,1] neg_hi:[0,0,1]
	v_pk_add_f32 v[80:81], v[80:81], v[82:83]
	s_delay_alu instid0(VALU_DEP_3) | instskip(SKIP_2) | instid1(VALU_DEP_4)
	v_dual_mov_b32 v82, v111 :: v_dual_mov_b32 v87, v89
	v_pk_fma_f32 v[88:89], v[122:123], v[106:107], v[90:91] op_sel_hi:[1,0,1]
	v_pk_fma_f32 v[90:91], v[122:123], v[106:107], v[90:91] neg_lo:[0,0,1] neg_hi:[0,0,1]
	v_pk_add_f32 v[80:81], v[80:81], v[84:85]
	v_pk_fma_f32 v[84:85], v[124:125], v[108:109], v[92:93] op_sel_hi:[1,0,1]
	v_pk_mul_f32 v[82:83], v[156:157], v[82:83] op_sel_hi:[1,0]
	v_mov_b32_e32 v91, v89
	s_wait_loadcnt_dscnt 0x100
	v_pk_mul_f32 v[88:89], v[148:149], v[144:145] op_sel:[1,1] op_sel_hi:[0,1]
	v_pk_add_f32 v[80:81], v[80:81], v[86:87]
	v_pk_fma_f32 v[86:87], v[124:125], v[108:109], v[92:93] neg_lo:[0,0,1] neg_hi:[0,0,1]
	v_mov_b32_e32 v87, v85
	v_pk_fma_f32 v[84:85], v[126:127], v[110:111], v[82:83] op_sel_hi:[1,0,1]
	v_pk_fma_f32 v[82:83], v[126:127], v[110:111], v[82:83] neg_lo:[0,0,1] neg_hi:[0,0,1]
	v_pk_add_f32 v[80:81], v[80:81], v[90:91]
	s_delay_alu instid0(VALU_DEP_3) | instskip(SKIP_1) | instid1(VALU_DEP_3)
	v_mov_b32_e32 v83, v85
	v_pk_fma_f32 v[84:85], v[148:149], v[144:145], v[88:89] op_sel_hi:[1,0,1]
	v_pk_add_f32 v[80:81], v[80:81], v[86:87]
	v_pk_fma_f32 v[86:87], v[148:149], v[144:145], v[88:89] neg_lo:[0,0,1] neg_hi:[0,0,1]
	s_delay_alu instid0(VALU_DEP_3) | instskip(NEXT) | instid1(VALU_DEP_3)
	v_mov_b32_e32 v87, v85
	v_pk_add_f32 v[80:81], v[80:81], v[82:83]
	s_delay_alu instid0(VALU_DEP_1) | instskip(SKIP_1) | instid1(VALU_DEP_1)
	v_pk_add_f32 v[80:81], v[80:81], v[86:87]
	s_wait_loadcnt 0x0
	v_pk_add_f32 v[80:81], v[146:147], v[80:81] neg_lo:[0,1] neg_hi:[0,1]
	scratch_store_b64 off, v[80:81], off offset:168
	s_wait_xcnt 0x0
	v_cmpx_lt_u32_e32 20, v0
	s_cbranch_execz .LBB38_207
; %bb.206:
	scratch_load_b64 v[80:81], off, off offset:160
	v_mov_b64_e32 v[82:83], 0
	scratch_store_b64 off, v[82:83], off offset:160
	s_wait_loadcnt 0x0
	ds_store_b64 v1, v[80:81]
.LBB38_207:
	s_wait_xcnt 0x0
	s_or_b32 exec_lo, exec_lo, s0
	s_wait_storecnt_dscnt 0x0
	s_barrier_signal -1
	s_barrier_wait -1
	s_clause 0x9
	scratch_load_b128 v[80:83], off, off offset:168
	scratch_load_b128 v[84:87], off, off offset:184
	;; [unrolled: 1-line block ×9, first 2 shown]
	scratch_load_b64 v[152:153], off, off offset:160
	ds_load_2addr_b64 v[116:119], v5 offset0:71 offset1:72
	ds_load_2addr_b64 v[120:123], v5 offset0:73 offset1:74
	;; [unrolled: 1-line block ×9, first 2 shown]
	s_mov_b32 s0, exec_lo
	s_wait_dscnt 0x8
	v_dual_mov_b32 v154, v119 :: v_dual_mov_b32 v155, v118
	s_wait_dscnt 0x7
	v_dual_mov_b32 v156, v123 :: v_dual_mov_b32 v157, v122
	;; [unrolled: 2-line block ×4, first 2 shown]
	s_wait_loadcnt_dscnt 0x904
	v_dual_mul_f32 v5, v132, v81 :: v_dual_mul_f32 v7, v134, v83
	v_dual_mul_f32 v23, v133, v81 :: v_dual_mul_f32 v25, v135, v83
	s_wait_loadcnt_dscnt 0x803
	v_dual_mul_f32 v11, v136, v85 :: v_dual_mul_f32 v13, v138, v87
	s_delay_alu instid0(VALU_DEP_2) | instskip(SKIP_3) | instid1(VALU_DEP_3)
	v_dual_fmac_f32 v5, v133, v80 :: v_dual_fma_f32 v23, v132, v80, -v23
	v_dual_mul_f32 v27, v137, v85 :: v_dual_mul_f32 v29, v139, v87
	s_wait_loadcnt_dscnt 0x601
	v_dual_mul_f32 v35, v145, v93 :: v_dual_fmac_f32 v7, v135, v82
	v_dual_fma_f32 v25, v134, v82, -v25 :: v_dual_add_f32 v5, 0, v5
	v_dual_add_f32 v23, 0, v23 :: v_dual_fmac_f32 v11, v137, v84
	v_dual_mul_f32 v37, v147, v95 :: v_dual_fma_f32 v27, v136, v84, -v27
	s_delay_alu instid0(VALU_DEP_2)
	v_dual_add_f32 v5, v5, v7 :: v_dual_add_f32 v7, v23, v25
	v_dual_mul_f32 v15, v140, v89 :: v_dual_mul_f32 v17, v142, v91
	v_dual_mul_f32 v31, v141, v89 :: v_dual_mul_f32 v33, v143, v91
	s_wait_loadcnt_dscnt 0x500
	v_dual_mul_f32 v23, v149, v97 :: v_dual_fmac_f32 v13, v139, v86
	v_dual_fma_f32 v25, v138, v86, -v29 :: v_dual_add_f32 v5, v5, v11
	v_dual_add_f32 v7, v7, v27 :: v_dual_fmac_f32 v15, v141, v88
	v_dual_mul_f32 v11, v151, v99 :: v_dual_fma_f32 v27, v140, v88, -v31
	s_delay_alu instid0(VALU_DEP_3) | instskip(NEXT) | instid1(VALU_DEP_3)
	v_dual_add_f32 v5, v5, v13 :: v_dual_fmac_f32 v17, v143, v90
	v_dual_add_f32 v7, v7, v25 :: v_dual_fma_f32 v13, v142, v90, -v33
	v_dual_mul_f32 v19, v144, v93 :: v_dual_mul_f32 v21, v146, v95
	s_wait_loadcnt 0x4
	s_delay_alu instid0(VALU_DEP_3) | instskip(NEXT) | instid1(VALU_DEP_2)
	v_dual_add_f32 v5, v5, v15 :: v_dual_mov_b32 v82, v103
	v_dual_add_f32 v7, v7, v27 :: v_dual_fmac_f32 v19, v145, v92
	s_delay_alu instid0(VALU_DEP_2) | instskip(SKIP_1) | instid1(VALU_DEP_3)
	v_dual_fma_f32 v15, v144, v92, -v35 :: v_dual_add_f32 v5, v5, v17
	v_dual_mul_f32 v163, v148, v97 :: v_dual_mul_f32 v165, v150, v99
	v_dual_add_f32 v7, v7, v13 :: v_dual_fma_f32 v13, v146, v94, -v37
	s_delay_alu instid0(VALU_DEP_3) | instskip(SKIP_1) | instid1(VALU_DEP_3)
	v_dual_fmac_f32 v21, v147, v94 :: v_dual_add_f32 v5, v5, v19
	v_pk_mul_f32 v[80:81], v[116:117], v[100:101] op_sel:[1,1] op_sel_hi:[0,1]
	v_dual_add_f32 v7, v7, v15 :: v_dual_fmac_f32 v163, v149, v96
	s_wait_loadcnt 0x3
	v_dual_mov_b32 v86, v107 :: v_dual_fma_f32 v162, v148, v96, -v23
	v_dual_add_f32 v89, v5, v21 :: v_dual_fmac_f32 v165, v151, v98
	s_delay_alu instid0(VALU_DEP_3) | instskip(SKIP_3) | instid1(VALU_DEP_4)
	v_dual_add_f32 v88, v7, v13 :: v_dual_fma_f32 v164, v150, v98, -v11
	v_pk_fma_f32 v[90:91], v[116:117], v[100:101], v[80:81] op_sel_hi:[1,0,1]
	v_pk_mul_f32 v[82:83], v[154:155], v[82:83] op_sel_hi:[1,0]
	v_pk_fma_f32 v[80:81], v[116:117], v[100:101], v[80:81] neg_lo:[0,0,1] neg_hi:[0,0,1]
	v_pk_add_f32 v[88:89], v[88:89], v[162:163]
	v_pk_mul_f32 v[84:85], v[120:121], v[104:105] op_sel:[1,1] op_sel_hi:[0,1]
	v_mov_b32_e32 v81, v91
	v_pk_fma_f32 v[90:91], v[118:119], v[102:103], v[82:83] op_sel_hi:[1,0,1]
	v_pk_fma_f32 v[82:83], v[118:119], v[102:103], v[82:83] neg_lo:[0,0,1] neg_hi:[0,0,1]
	v_pk_add_f32 v[88:89], v[88:89], v[164:165]
	v_pk_fma_f32 v[94:95], v[120:121], v[104:105], v[84:85] op_sel_hi:[1,0,1]
	v_pk_mul_f32 v[86:87], v[156:157], v[86:87] op_sel_hi:[1,0]
	v_mov_b32_e32 v83, v91
	s_wait_loadcnt 0x2
	v_pk_mul_f32 v[92:93], v[124:125], v[108:109] op_sel:[1,1] op_sel_hi:[0,1]
	v_pk_add_f32 v[80:81], v[88:89], v[80:81]
	v_mov_b32_e32 v88, v111
	v_pk_fma_f32 v[84:85], v[120:121], v[104:105], v[84:85] neg_lo:[0,0,1] neg_hi:[0,0,1]
	v_mov_b32_e32 v85, v95
	v_pk_fma_f32 v[90:91], v[122:123], v[106:107], v[86:87] op_sel_hi:[1,0,1]
	v_pk_add_f32 v[80:81], v[80:81], v[82:83]
	v_pk_fma_f32 v[82:83], v[124:125], v[108:109], v[92:93] op_sel_hi:[1,0,1]
	v_pk_mul_f32 v[88:89], v[158:159], v[88:89] op_sel_hi:[1,0]
	v_pk_fma_f32 v[86:87], v[122:123], v[106:107], v[86:87] neg_lo:[0,0,1] neg_hi:[0,0,1]
	v_mov_b32_e32 v87, v91
	v_pk_add_f32 v[80:81], v[80:81], v[84:85]
	v_pk_fma_f32 v[90:91], v[124:125], v[108:109], v[92:93] neg_lo:[0,0,1] neg_hi:[0,0,1]
	v_mov_b32_e32 v91, v83
	v_pk_fma_f32 v[82:83], v[126:127], v[110:111], v[88:89] op_sel_hi:[1,0,1]
	s_wait_loadcnt 0x1
	v_pk_mul_f32 v[84:85], v[128:129], v[112:113] op_sel:[1,1] op_sel_hi:[0,1]
	v_pk_add_f32 v[80:81], v[80:81], v[86:87]
	v_mov_b32_e32 v82, v115
	v_pk_fma_f32 v[88:89], v[126:127], v[110:111], v[88:89] neg_lo:[0,0,1] neg_hi:[0,0,1]
	v_mov_b32_e32 v89, v83
	v_pk_fma_f32 v[86:87], v[128:129], v[112:113], v[84:85] op_sel_hi:[1,0,1]
	v_pk_add_f32 v[80:81], v[80:81], v[90:91]
	v_pk_mul_f32 v[82:83], v[160:161], v[82:83] op_sel_hi:[1,0]
	v_pk_fma_f32 v[84:85], v[128:129], v[112:113], v[84:85] neg_lo:[0,0,1] neg_hi:[0,0,1]
	s_delay_alu instid0(VALU_DEP_4) | instskip(NEXT) | instid1(VALU_DEP_4)
	v_mov_b32_e32 v85, v87
	v_pk_add_f32 v[80:81], v[80:81], v[88:89]
	s_delay_alu instid0(VALU_DEP_4) | instskip(SKIP_1) | instid1(VALU_DEP_2)
	v_pk_fma_f32 v[86:87], v[130:131], v[114:115], v[82:83] op_sel_hi:[1,0,1]
	v_pk_fma_f32 v[82:83], v[130:131], v[114:115], v[82:83] neg_lo:[0,0,1] neg_hi:[0,0,1]
	v_mov_b32_e32 v83, v87
	s_delay_alu instid0(VALU_DEP_4) | instskip(NEXT) | instid1(VALU_DEP_1)
	v_pk_add_f32 v[80:81], v[80:81], v[84:85]
	v_pk_add_f32 v[80:81], v[80:81], v[82:83]
	s_wait_loadcnt 0x0
	s_delay_alu instid0(VALU_DEP_1)
	v_pk_add_f32 v[80:81], v[152:153], v[80:81] neg_lo:[0,1] neg_hi:[0,1]
	scratch_store_b64 off, v[80:81], off offset:160
	s_wait_xcnt 0x0
	v_cmpx_lt_u32_e32 19, v0
	s_cbranch_execz .LBB38_209
; %bb.208:
	scratch_load_b64 v[80:81], off, off offset:152
	v_mov_b64_e32 v[82:83], 0
	scratch_store_b64 off, v[82:83], off offset:152
	s_wait_loadcnt 0x0
	ds_store_b64 v1, v[80:81]
.LBB38_209:
	s_wait_xcnt 0x0
	s_or_b32 exec_lo, exec_lo, s0
	s_wait_storecnt_dscnt 0x0
	s_barrier_signal -1
	s_barrier_wait -1
	s_clause 0xa
	scratch_load_b128 v[80:83], off, off offset:160
	scratch_load_b128 v[84:87], off, off offset:176
	;; [unrolled: 1-line block ×9, first 2 shown]
	scratch_load_b64 v[152:153], off, off offset:304
	scratch_load_b64 v[154:155], off, off offset:152
	v_mov_b32_e32 v5, 0
	ds_load_b128 v[116:119], v5 offset:560
	ds_load_b128 v[120:123], v5 offset:576
	;; [unrolled: 1-line block ×9, first 2 shown]
	ds_load_b64 v[156:157], v5 offset:624
	s_mov_b32 s0, exec_lo
	s_wait_dscnt 0x9
	v_dual_mov_b32 v158, v119 :: v_dual_mov_b32 v159, v118
	s_wait_dscnt 0x6
	v_dual_mov_b32 v160, v123 :: v_dual_mov_b32 v165, v130
	v_dual_mov_b32 v161, v122 :: v_dual_mov_b32 v162, v127
	;; [unrolled: 1-line block ×3, first 2 shown]
	s_wait_loadcnt_dscnt 0xa05
	v_dual_mul_f32 v7, v132, v81 :: v_dual_mul_f32 v27, v133, v81
	v_dual_mul_f32 v29, v135, v83 :: v_dual_mul_f32 v11, v134, v83
	s_wait_loadcnt_dscnt 0x904
	v_mul_f32_e32 v13, v136, v85
	s_wait_loadcnt_dscnt 0x702
	v_dual_mul_f32 v39, v145, v93 :: v_dual_fma_f32 v27, v132, v80, -v27
	v_dual_fmac_f32 v7, v133, v80 :: v_dual_mul_f32 v41, v147, v95
	v_dual_mul_f32 v31, v137, v85 :: v_dual_mul_f32 v33, v139, v87
	v_dual_fmac_f32 v11, v135, v82 :: v_dual_fma_f32 v29, v134, v82, -v29
	s_wait_loadcnt_dscnt 0x601
	s_delay_alu instid0(VALU_DEP_3) | instskip(SKIP_2) | instid1(VALU_DEP_3)
	v_dual_add_f32 v7, 0, v7 :: v_dual_mul_f32 v43, v149, v97
	v_dual_add_f32 v27, 0, v27 :: v_dual_fmac_f32 v13, v137, v84
	v_dual_mul_f32 v15, v138, v87 :: v_dual_mul_f32 v17, v140, v89
	v_dual_fma_f32 v31, v136, v84, -v31 :: v_dual_add_f32 v7, v7, v11
	s_delay_alu instid0(VALU_DEP_3) | instskip(SKIP_1) | instid1(VALU_DEP_4)
	v_dual_add_f32 v11, v27, v29 :: v_dual_fma_f32 v29, v138, v86, -v33
	v_dual_mul_f32 v35, v141, v89 :: v_dual_mul_f32 v37, v143, v91
	v_dual_fmac_f32 v15, v139, v86 :: v_dual_fmac_f32 v17, v141, v88
	s_delay_alu instid0(VALU_DEP_4) | instskip(NEXT) | instid1(VALU_DEP_4)
	v_add_f32_e32 v7, v7, v13
	v_add_f32_e32 v11, v11, v31
	v_dual_mul_f32 v19, v142, v91 :: v_dual_mul_f32 v21, v144, v93
	s_delay_alu instid0(VALU_DEP_3) | instskip(NEXT) | instid1(VALU_DEP_3)
	v_dual_fma_f32 v31, v140, v88, -v35 :: v_dual_add_f32 v7, v7, v15
	v_dual_fma_f32 v15, v142, v90, -v37 :: v_dual_add_f32 v11, v11, v29
	v_dual_mul_f32 v23, v146, v95 :: v_dual_mul_f32 v25, v148, v97
	s_wait_loadcnt 0x4
	v_dual_mov_b32 v80, v103 :: v_dual_mov_b32 v84, v107
	v_dual_fmac_f32 v19, v143, v90 :: v_dual_fmac_f32 v21, v145, v92
	v_dual_add_f32 v7, v7, v17 :: v_dual_fma_f32 v17, v144, v92, -v39
	v_add_f32_e32 v11, v11, v31
	v_dual_mul_f32 v167, v150, v99 :: v_dual_mul_f32 v169, v116, v101
	v_dual_mul_f32 v27, v151, v99 :: v_dual_mul_f32 v13, v117, v101
	s_delay_alu instid0(VALU_DEP_3) | instskip(SKIP_1) | instid1(VALU_DEP_3)
	v_dual_add_f32 v11, v11, v15 :: v_dual_fma_f32 v15, v146, v94, -v41
	v_dual_fmac_f32 v25, v149, v96 :: v_dual_add_f32 v7, v7, v19
	v_fma_f32 v166, v150, v98, -v27
	v_pk_mul_f32 v[80:81], v[158:159], v[80:81] op_sel_hi:[1,0]
	v_dual_fmac_f32 v23, v147, v94 :: v_dual_fma_f32 v168, v116, v100, -v13
	v_dual_fmac_f32 v169, v117, v100 :: v_dual_add_f32 v11, v11, v17
	s_delay_alu instid0(VALU_DEP_3) | instskip(SKIP_2) | instid1(VALU_DEP_4)
	v_pk_fma_f32 v[92:93], v[118:119], v[102:103], v[80:81] op_sel_hi:[1,0,1]
	v_add_f32_e32 v7, v7, v21
	v_pk_fma_f32 v[80:81], v[118:119], v[102:103], v[80:81] neg_lo:[0,0,1] neg_hi:[0,0,1]
	v_dual_fma_f32 v17, v148, v96, -v43 :: v_dual_add_f32 v11, v11, v15
	s_delay_alu instid0(VALU_DEP_3) | instskip(SKIP_2) | instid1(VALU_DEP_4)
	v_dual_mov_b32 v81, v93 :: v_dual_add_f32 v7, v7, v23
	v_fmac_f32_e32 v167, v151, v98
	v_pk_mul_f32 v[82:83], v[120:121], v[104:105] op_sel:[1,1] op_sel_hi:[0,1]
	v_add_f32_e32 v88, v11, v17
	v_pk_mul_f32 v[84:85], v[160:161], v[84:85] op_sel_hi:[1,0]
	v_add_f32_e32 v89, v7, v25
	s_wait_loadcnt 0x3
	v_pk_mul_f32 v[86:87], v[124:125], v[108:109] op_sel:[1,1] op_sel_hi:[0,1]
	v_pk_fma_f32 v[94:95], v[120:121], v[104:105], v[82:83] op_sel_hi:[1,0,1]
	v_pk_fma_f32 v[82:83], v[120:121], v[104:105], v[82:83] neg_lo:[0,0,1] neg_hi:[0,0,1]
	v_mov_b32_e32 v90, v111
	v_pk_add_f32 v[88:89], v[88:89], v[166:167]
	s_wait_loadcnt 0x2
	v_pk_mul_f32 v[92:93], v[128:129], v[112:113] op_sel:[1,1] op_sel_hi:[0,1]
	v_mov_b32_e32 v83, v95
	v_pk_fma_f32 v[94:95], v[122:123], v[106:107], v[84:85] op_sel_hi:[1,0,1]
	v_pk_fma_f32 v[84:85], v[122:123], v[106:107], v[84:85] neg_lo:[0,0,1] neg_hi:[0,0,1]
	v_pk_add_f32 v[88:89], v[88:89], v[168:169]
	v_pk_mul_f32 v[90:91], v[162:163], v[90:91] op_sel_hi:[1,0]
	s_delay_alu instid0(VALU_DEP_4) | instskip(NEXT) | instid1(VALU_DEP_3)
	v_mov_b32_e32 v85, v95
	v_pk_add_f32 v[80:81], v[88:89], v[80:81]
	v_pk_fma_f32 v[88:89], v[124:125], v[108:109], v[86:87] op_sel_hi:[1,0,1]
	v_pk_fma_f32 v[86:87], v[124:125], v[108:109], v[86:87] neg_lo:[0,0,1] neg_hi:[0,0,1]
	s_delay_alu instid0(VALU_DEP_3) | instskip(NEXT) | instid1(VALU_DEP_3)
	v_pk_add_f32 v[80:81], v[80:81], v[82:83]
	v_dual_mov_b32 v82, v115 :: v_dual_mov_b32 v87, v89
	v_pk_fma_f32 v[88:89], v[126:127], v[110:111], v[90:91] op_sel_hi:[1,0,1]
	v_pk_fma_f32 v[90:91], v[126:127], v[110:111], v[90:91] neg_lo:[0,0,1] neg_hi:[0,0,1]
	s_delay_alu instid0(VALU_DEP_4)
	v_pk_add_f32 v[80:81], v[80:81], v[84:85]
	v_pk_fma_f32 v[84:85], v[128:129], v[112:113], v[92:93] op_sel_hi:[1,0,1]
	v_pk_mul_f32 v[82:83], v[164:165], v[82:83] op_sel_hi:[1,0]
	v_mov_b32_e32 v91, v89
	s_wait_loadcnt_dscnt 0x100
	v_pk_mul_f32 v[88:89], v[156:157], v[152:153] op_sel:[1,1] op_sel_hi:[0,1]
	v_pk_add_f32 v[80:81], v[80:81], v[86:87]
	v_pk_fma_f32 v[86:87], v[128:129], v[112:113], v[92:93] neg_lo:[0,0,1] neg_hi:[0,0,1]
	v_mov_b32_e32 v87, v85
	v_pk_fma_f32 v[84:85], v[130:131], v[114:115], v[82:83] op_sel_hi:[1,0,1]
	v_pk_fma_f32 v[82:83], v[130:131], v[114:115], v[82:83] neg_lo:[0,0,1] neg_hi:[0,0,1]
	v_pk_add_f32 v[80:81], v[80:81], v[90:91]
	s_delay_alu instid0(VALU_DEP_3) | instskip(SKIP_1) | instid1(VALU_DEP_3)
	v_mov_b32_e32 v83, v85
	v_pk_fma_f32 v[84:85], v[156:157], v[152:153], v[88:89] op_sel_hi:[1,0,1]
	v_pk_add_f32 v[80:81], v[80:81], v[86:87]
	v_pk_fma_f32 v[86:87], v[156:157], v[152:153], v[88:89] neg_lo:[0,0,1] neg_hi:[0,0,1]
	s_delay_alu instid0(VALU_DEP_3) | instskip(NEXT) | instid1(VALU_DEP_3)
	v_mov_b32_e32 v87, v85
	v_pk_add_f32 v[80:81], v[80:81], v[82:83]
	s_delay_alu instid0(VALU_DEP_1) | instskip(SKIP_1) | instid1(VALU_DEP_1)
	v_pk_add_f32 v[80:81], v[80:81], v[86:87]
	s_wait_loadcnt 0x0
	v_pk_add_f32 v[80:81], v[154:155], v[80:81] neg_lo:[0,1] neg_hi:[0,1]
	scratch_store_b64 off, v[80:81], off offset:152
	s_wait_xcnt 0x0
	v_cmpx_lt_u32_e32 18, v0
	s_cbranch_execz .LBB38_211
; %bb.210:
	scratch_load_b64 v[80:81], off, off offset:144
	v_mov_b64_e32 v[82:83], 0
	scratch_store_b64 off, v[82:83], off offset:144
	s_wait_loadcnt 0x0
	ds_store_b64 v1, v[80:81]
.LBB38_211:
	s_wait_xcnt 0x0
	s_or_b32 exec_lo, exec_lo, s0
	s_wait_storecnt_dscnt 0x0
	s_barrier_signal -1
	s_barrier_wait -1
	s_clause 0xa
	scratch_load_b128 v[80:83], off, off offset:152
	scratch_load_b128 v[84:87], off, off offset:168
	;; [unrolled: 1-line block ×10, first 2 shown]
	scratch_load_b64 v[160:161], off, off offset:144
	ds_load_2addr_b64 v[120:123], v5 offset0:71 offset1:72
	ds_load_2addr_b64 v[124:127], v5 offset0:73 offset1:74
	ds_load_2addr_b64 v[128:131], v5 offset0:75 offset1:76
	ds_load_2addr_b64 v[132:135], v5 offset0:77 offset1:78
	ds_load_2addr_b64 v[136:139], v5 offset0:59 offset1:60
	ds_load_2addr_b64 v[140:143], v5 offset0:61 offset1:62
	ds_load_2addr_b64 v[144:147], v5 offset0:63 offset1:64
	ds_load_2addr_b64 v[148:151], v5 offset0:65 offset1:66
	ds_load_2addr_b64 v[152:155], v5 offset0:67 offset1:68
	ds_load_2addr_b64 v[156:159], v5 offset0:69 offset1:70
	s_mov_b32 s0, exec_lo
	s_wait_dscnt 0x9
	v_dual_mov_b32 v162, v123 :: v_dual_mov_b32 v163, v122
	s_wait_dscnt 0x8
	v_dual_mov_b32 v164, v127 :: v_dual_mov_b32 v165, v126
	s_wait_dscnt 0x7
	v_dual_mov_b32 v166, v131 :: v_dual_mov_b32 v167, v130
	s_wait_dscnt 0x6
	v_dual_mov_b32 v168, v135 :: v_dual_mov_b32 v169, v134
	s_wait_loadcnt_dscnt 0xa05
	v_dual_mul_f32 v5, v136, v81 :: v_dual_mul_f32 v7, v138, v83
	v_dual_mul_f32 v27, v137, v81 :: v_dual_mul_f32 v29, v139, v83
	s_wait_loadcnt_dscnt 0x904
	v_dual_mul_f32 v11, v140, v85 :: v_dual_mul_f32 v13, v142, v87
	s_delay_alu instid0(VALU_DEP_2) | instskip(SKIP_3) | instid1(VALU_DEP_3)
	v_dual_fmac_f32 v5, v137, v80 :: v_dual_fma_f32 v27, v136, v80, -v27
	v_dual_mul_f32 v31, v141, v85 :: v_dual_mul_f32 v33, v143, v87
	s_wait_loadcnt_dscnt 0x702
	v_dual_mul_f32 v39, v149, v93 :: v_dual_fmac_f32 v7, v139, v82
	v_dual_fma_f32 v29, v138, v82, -v29 :: v_dual_add_f32 v5, 0, v5
	v_dual_add_f32 v27, 0, v27 :: v_dual_fmac_f32 v11, v141, v84
	v_dual_mul_f32 v41, v151, v95 :: v_dual_fma_f32 v31, v140, v84, -v31
	s_delay_alu instid0(VALU_DEP_2)
	v_dual_add_f32 v5, v5, v7 :: v_dual_add_f32 v7, v27, v29
	v_dual_mul_f32 v15, v144, v89 :: v_dual_mul_f32 v17, v146, v91
	v_dual_mul_f32 v35, v145, v89 :: v_dual_mul_f32 v37, v147, v91
	s_wait_loadcnt_dscnt 0x601
	v_dual_mul_f32 v27, v153, v97 :: v_dual_fmac_f32 v13, v143, v86
	v_dual_fma_f32 v29, v142, v86, -v33 :: v_dual_add_f32 v5, v5, v11
	v_dual_add_f32 v7, v7, v31 :: v_dual_fmac_f32 v15, v145, v88
	v_dual_mul_f32 v11, v155, v99 :: v_dual_fma_f32 v31, v144, v88, -v35
	s_delay_alu instid0(VALU_DEP_3) | instskip(NEXT) | instid1(VALU_DEP_3)
	v_dual_add_f32 v5, v5, v13 :: v_dual_fmac_f32 v17, v147, v90
	v_dual_add_f32 v7, v7, v29 :: v_dual_fma_f32 v29, v146, v90, -v37
	v_dual_mul_f32 v19, v148, v93 :: v_dual_mul_f32 v21, v150, v95
	s_wait_loadcnt_dscnt 0x500
	s_delay_alu instid0(VALU_DEP_2) | instskip(SKIP_1) | instid1(VALU_DEP_3)
	v_dual_mul_f32 v13, v157, v101 :: v_dual_add_f32 v7, v7, v31
	v_dual_add_f32 v5, v5, v15 :: v_dual_fma_f32 v31, v148, v92, -v39
	v_dual_mul_f32 v15, v159, v103 :: v_dual_fmac_f32 v19, v149, v92
	s_delay_alu instid0(VALU_DEP_3) | instskip(NEXT) | instid1(VALU_DEP_3)
	v_add_f32_e32 v7, v7, v29
	v_dual_add_f32 v5, v5, v17 :: v_dual_fmac_f32 v21, v151, v94
	v_dual_mul_f32 v23, v152, v97 :: v_dual_mul_f32 v25, v154, v99
	s_delay_alu instid0(VALU_DEP_2) | instskip(SKIP_2) | instid1(VALU_DEP_3)
	v_dual_fma_f32 v17, v150, v94, -v41 :: v_dual_add_f32 v5, v5, v19
	s_wait_loadcnt 0x4
	v_mov_b32_e32 v82, v107
	v_dual_add_f32 v7, v7, v31 :: v_dual_fmac_f32 v23, v153, v96
	s_delay_alu instid0(VALU_DEP_3) | instskip(SKIP_1) | instid1(VALU_DEP_3)
	v_dual_fma_f32 v19, v152, v96, -v27 :: v_dual_add_f32 v5, v5, v21
	v_dual_mul_f32 v171, v156, v101 :: v_dual_mul_f32 v173, v158, v103
	v_dual_add_f32 v7, v7, v17 :: v_dual_fma_f32 v11, v154, v98, -v11
	s_delay_alu instid0(VALU_DEP_3) | instskip(SKIP_1) | instid1(VALU_DEP_3)
	v_dual_fmac_f32 v25, v155, v98 :: v_dual_add_f32 v5, v5, v23
	v_pk_mul_f32 v[80:81], v[120:121], v[104:105] op_sel:[1,1] op_sel_hi:[0,1]
	v_dual_add_f32 v7, v7, v19 :: v_dual_fmac_f32 v171, v157, v100
	s_wait_loadcnt 0x3
	v_dual_mov_b32 v86, v111 :: v_dual_fma_f32 v170, v156, v100, -v13
	s_delay_alu instid0(VALU_DEP_2) | instskip(SKIP_3) | instid1(VALU_DEP_4)
	v_dual_add_f32 v89, v5, v25 :: v_dual_add_f32 v88, v7, v11
	v_dual_fmac_f32 v173, v159, v102 :: v_dual_fma_f32 v172, v158, v102, -v15
	v_pk_fma_f32 v[90:91], v[120:121], v[104:105], v[80:81] op_sel_hi:[1,0,1]
	v_pk_mul_f32 v[82:83], v[162:163], v[82:83] op_sel_hi:[1,0]
	v_pk_add_f32 v[88:89], v[88:89], v[170:171]
	v_pk_fma_f32 v[80:81], v[120:121], v[104:105], v[80:81] neg_lo:[0,0,1] neg_hi:[0,0,1]
	v_pk_mul_f32 v[84:85], v[124:125], v[108:109] op_sel:[1,1] op_sel_hi:[0,1]
	v_mov_b32_e32 v81, v91
	v_pk_fma_f32 v[90:91], v[122:123], v[106:107], v[82:83] op_sel_hi:[1,0,1]
	v_pk_add_f32 v[88:89], v[88:89], v[172:173]
	v_pk_fma_f32 v[82:83], v[122:123], v[106:107], v[82:83] neg_lo:[0,0,1] neg_hi:[0,0,1]
	v_pk_fma_f32 v[94:95], v[124:125], v[108:109], v[84:85] op_sel_hi:[1,0,1]
	v_pk_mul_f32 v[86:87], v[164:165], v[86:87] op_sel_hi:[1,0]
	v_mov_b32_e32 v83, v91
	v_pk_add_f32 v[80:81], v[88:89], v[80:81]
	s_wait_loadcnt 0x2
	v_pk_mul_f32 v[92:93], v[128:129], v[112:113] op_sel:[1,1] op_sel_hi:[0,1]
	v_mov_b32_e32 v88, v115
	v_pk_fma_f32 v[84:85], v[124:125], v[108:109], v[84:85] neg_lo:[0,0,1] neg_hi:[0,0,1]
	v_mov_b32_e32 v85, v95
	v_pk_fma_f32 v[90:91], v[126:127], v[110:111], v[86:87] op_sel_hi:[1,0,1]
	v_pk_add_f32 v[80:81], v[80:81], v[82:83]
	v_pk_fma_f32 v[82:83], v[128:129], v[112:113], v[92:93] op_sel_hi:[1,0,1]
	v_pk_mul_f32 v[88:89], v[166:167], v[88:89] op_sel_hi:[1,0]
	v_pk_fma_f32 v[86:87], v[126:127], v[110:111], v[86:87] neg_lo:[0,0,1] neg_hi:[0,0,1]
	v_mov_b32_e32 v87, v91
	v_pk_add_f32 v[80:81], v[80:81], v[84:85]
	v_pk_fma_f32 v[90:91], v[128:129], v[112:113], v[92:93] neg_lo:[0,0,1] neg_hi:[0,0,1]
	v_mov_b32_e32 v91, v83
	v_pk_fma_f32 v[82:83], v[130:131], v[114:115], v[88:89] op_sel_hi:[1,0,1]
	s_wait_loadcnt 0x1
	v_pk_mul_f32 v[84:85], v[132:133], v[116:117] op_sel:[1,1] op_sel_hi:[0,1]
	v_pk_add_f32 v[80:81], v[80:81], v[86:87]
	v_mov_b32_e32 v82, v119
	v_pk_fma_f32 v[88:89], v[130:131], v[114:115], v[88:89] neg_lo:[0,0,1] neg_hi:[0,0,1]
	v_mov_b32_e32 v89, v83
	v_pk_fma_f32 v[86:87], v[132:133], v[116:117], v[84:85] op_sel_hi:[1,0,1]
	v_pk_add_f32 v[80:81], v[80:81], v[90:91]
	v_pk_mul_f32 v[82:83], v[168:169], v[82:83] op_sel_hi:[1,0]
	v_pk_fma_f32 v[84:85], v[132:133], v[116:117], v[84:85] neg_lo:[0,0,1] neg_hi:[0,0,1]
	s_delay_alu instid0(VALU_DEP_4) | instskip(NEXT) | instid1(VALU_DEP_4)
	v_mov_b32_e32 v85, v87
	v_pk_add_f32 v[80:81], v[80:81], v[88:89]
	s_delay_alu instid0(VALU_DEP_4) | instskip(SKIP_1) | instid1(VALU_DEP_2)
	v_pk_fma_f32 v[86:87], v[134:135], v[118:119], v[82:83] op_sel_hi:[1,0,1]
	v_pk_fma_f32 v[82:83], v[134:135], v[118:119], v[82:83] neg_lo:[0,0,1] neg_hi:[0,0,1]
	v_mov_b32_e32 v83, v87
	s_delay_alu instid0(VALU_DEP_4) | instskip(NEXT) | instid1(VALU_DEP_1)
	v_pk_add_f32 v[80:81], v[80:81], v[84:85]
	v_pk_add_f32 v[80:81], v[80:81], v[82:83]
	s_wait_loadcnt 0x0
	s_delay_alu instid0(VALU_DEP_1)
	v_pk_add_f32 v[80:81], v[160:161], v[80:81] neg_lo:[0,1] neg_hi:[0,1]
	scratch_store_b64 off, v[80:81], off offset:144
	s_wait_xcnt 0x0
	v_cmpx_lt_u32_e32 17, v0
	s_cbranch_execz .LBB38_213
; %bb.212:
	scratch_load_b64 v[80:81], off, off offset:136
	v_mov_b64_e32 v[82:83], 0
	scratch_store_b64 off, v[82:83], off offset:136
	s_wait_loadcnt 0x0
	ds_store_b64 v1, v[80:81]
.LBB38_213:
	s_wait_xcnt 0x0
	s_or_b32 exec_lo, exec_lo, s0
	s_wait_storecnt_dscnt 0x0
	s_barrier_signal -1
	s_barrier_wait -1
	s_clause 0xb
	scratch_load_b128 v[80:83], off, off offset:144
	scratch_load_b128 v[84:87], off, off offset:160
	;; [unrolled: 1-line block ×10, first 2 shown]
	scratch_load_b64 v[160:161], off, off offset:304
	scratch_load_b64 v[162:163], off, off offset:136
	v_mov_b32_e32 v5, 0
	ds_load_b128 v[120:123], v5 offset:560
	ds_load_b128 v[124:127], v5 offset:576
	;; [unrolled: 1-line block ×10, first 2 shown]
	ds_load_b64 v[164:165], v5 offset:624
	s_mov_b32 s0, exec_lo
	s_wait_dscnt 0xa
	v_dual_mov_b32 v166, v123 :: v_dual_mov_b32 v167, v122
	s_wait_dscnt 0x7
	v_dual_mov_b32 v168, v127 :: v_dual_mov_b32 v173, v134
	v_dual_mov_b32 v169, v126 :: v_dual_mov_b32 v170, v131
	;; [unrolled: 1-line block ×3, first 2 shown]
	s_wait_loadcnt_dscnt 0xb06
	v_dual_mul_f32 v7, v136, v81 :: v_dual_mul_f32 v11, v138, v83
	s_wait_loadcnt_dscnt 0xa05
	v_mul_f32_e32 v13, v140, v85
	v_dual_mul_f32 v31, v137, v81 :: v_dual_mul_f32 v33, v139, v83
	s_wait_loadcnt_dscnt 0x803
	v_dual_fmac_f32 v7, v137, v80 :: v_dual_mul_f32 v45, v151, v95
	v_dual_mul_f32 v35, v141, v85 :: v_dual_mul_f32 v37, v143, v87
	s_delay_alu instid0(VALU_DEP_3)
	v_dual_mul_f32 v43, v149, v93 :: v_dual_fma_f32 v31, v136, v80, -v31
	v_dual_fmac_f32 v11, v139, v82 :: v_dual_fma_f32 v33, v138, v82, -v33
	s_wait_loadcnt_dscnt 0x702
	v_dual_add_f32 v7, 0, v7 :: v_dual_mul_f32 v47, v153, v97
	v_dual_mul_f32 v15, v142, v87 :: v_dual_mul_f32 v17, v144, v89
	v_dual_add_f32 v31, 0, v31 :: v_dual_fmac_f32 v13, v141, v84
	s_delay_alu instid0(VALU_DEP_3) | instskip(SKIP_1) | instid1(VALU_DEP_3)
	v_dual_fma_f32 v35, v140, v84, -v35 :: v_dual_add_f32 v7, v7, v11
	v_dual_mul_f32 v39, v145, v89 :: v_dual_mul_f32 v41, v147, v91
	v_dual_add_f32 v11, v31, v33 :: v_dual_fma_f32 v33, v142, v86, -v37
	v_dual_fmac_f32 v15, v143, v86 :: v_dual_fmac_f32 v17, v145, v88
	s_delay_alu instid0(VALU_DEP_4) | instskip(NEXT) | instid1(VALU_DEP_3)
	v_dual_add_f32 v7, v7, v13 :: v_dual_mul_f32 v19, v146, v91
	v_dual_mul_f32 v21, v148, v93 :: v_dual_add_f32 v11, v11, v35
	s_delay_alu instid0(VALU_DEP_2) | instskip(SKIP_1) | instid1(VALU_DEP_3)
	v_dual_fma_f32 v35, v144, v88, -v39 :: v_dual_add_f32 v7, v7, v15
	v_dual_mul_f32 v23, v150, v95 :: v_dual_mul_f32 v25, v152, v97
	v_dual_add_f32 v11, v11, v33 :: v_dual_fmac_f32 v21, v149, v92
	v_fmac_f32_e32 v19, v147, v90
	s_delay_alu instid0(VALU_DEP_4) | instskip(SKIP_3) | instid1(VALU_DEP_3)
	v_add_f32_e32 v7, v7, v17
	s_wait_loadcnt_dscnt 0x601
	v_dual_mul_f32 v31, v155, v99 :: v_dual_mul_f32 v13, v157, v101
	v_dual_fma_f32 v33, v146, v90, -v41 :: v_dual_add_f32 v11, v11, v35
	v_dual_fmac_f32 v25, v153, v96 :: v_dual_add_f32 v7, v7, v19
	v_dual_mul_f32 v27, v154, v99 :: v_dual_mul_f32 v29, v156, v101
	v_dual_mul_f32 v15, v159, v103 :: v_dual_fma_f32 v35, v148, v92, -v43
	s_wait_loadcnt 0x4
	v_dual_mov_b32 v80, v107 :: v_dual_mov_b32 v84, v111
	s_delay_alu instid0(VALU_DEP_2) | instskip(SKIP_4) | instid1(VALU_DEP_4)
	v_dual_add_f32 v7, v7, v21 :: v_dual_fma_f32 v174, v158, v102, -v15
	v_dual_fma_f32 v21, v152, v96, -v47 :: v_dual_add_f32 v11, v11, v33
	v_dual_fmac_f32 v29, v157, v100 :: v_dual_mul_f32 v175, v158, v103
	v_dual_mul_f32 v177, v120, v105 :: v_dual_fmac_f32 v23, v151, v94
	v_fma_f32 v13, v156, v100, -v13
	v_dual_fma_f32 v19, v150, v94, -v45 :: v_dual_add_f32 v11, v11, v35
	s_delay_alu instid0(VALU_DEP_3) | instskip(SKIP_4) | instid1(VALU_DEP_4)
	v_fmac_f32_e32 v177, v121, v104
	v_pk_mul_f32 v[80:81], v[166:167], v[80:81] op_sel_hi:[1,0]
	v_dual_mul_f32 v17, v121, v105 :: v_dual_add_f32 v7, v7, v23
	v_fmac_f32_e32 v27, v155, v98
	v_fmac_f32_e32 v175, v159, v102
	v_pk_fma_f32 v[92:93], v[122:123], v[106:107], v[80:81] op_sel_hi:[1,0,1]
	v_add_f32_e32 v11, v11, v19
	v_pk_fma_f32 v[80:81], v[122:123], v[106:107], v[80:81] neg_lo:[0,0,1] neg_hi:[0,0,1]
	v_dual_fma_f32 v19, v154, v98, -v31 :: v_dual_fma_f32 v176, v120, v104, -v17
	s_delay_alu instid0(VALU_DEP_4) | instskip(NEXT) | instid1(VALU_DEP_4)
	v_dual_add_f32 v7, v7, v25 :: v_dual_mov_b32 v81, v93
	v_add_f32_e32 v11, v11, v21
	v_pk_mul_f32 v[82:83], v[124:125], v[108:109] op_sel:[1,1] op_sel_hi:[0,1]
	v_pk_mul_f32 v[84:85], v[168:169], v[84:85] op_sel_hi:[1,0]
	s_delay_alu instid0(VALU_DEP_4)
	v_add_f32_e32 v7, v7, v27
	s_wait_loadcnt 0x3
	v_pk_mul_f32 v[86:87], v[128:129], v[112:113] op_sel:[1,1] op_sel_hi:[0,1]
	v_add_f32_e32 v11, v11, v19
	v_pk_fma_f32 v[94:95], v[124:125], v[108:109], v[82:83] op_sel_hi:[1,0,1]
	v_pk_fma_f32 v[82:83], v[124:125], v[108:109], v[82:83] neg_lo:[0,0,1] neg_hi:[0,0,1]
	v_add_f32_e32 v89, v7, v29
	v_mov_b32_e32 v90, v115
	v_add_f32_e32 v88, v11, v13
	v_mov_b32_e32 v83, v95
	v_pk_fma_f32 v[94:95], v[126:127], v[110:111], v[84:85] op_sel_hi:[1,0,1]
	v_pk_fma_f32 v[84:85], v[126:127], v[110:111], v[84:85] neg_lo:[0,0,1] neg_hi:[0,0,1]
	v_pk_mul_f32 v[90:91], v[170:171], v[90:91] op_sel_hi:[1,0]
	v_pk_add_f32 v[88:89], v[88:89], v[174:175]
	s_wait_loadcnt 0x2
	v_pk_mul_f32 v[92:93], v[132:133], v[116:117] op_sel:[1,1] op_sel_hi:[0,1]
	v_mov_b32_e32 v85, v95
	s_delay_alu instid0(VALU_DEP_3) | instskip(NEXT) | instid1(VALU_DEP_1)
	v_pk_add_f32 v[88:89], v[88:89], v[176:177]
	v_pk_add_f32 v[80:81], v[88:89], v[80:81]
	v_pk_fma_f32 v[88:89], v[128:129], v[112:113], v[86:87] op_sel_hi:[1,0,1]
	v_pk_fma_f32 v[86:87], v[128:129], v[112:113], v[86:87] neg_lo:[0,0,1] neg_hi:[0,0,1]
	s_delay_alu instid0(VALU_DEP_3) | instskip(NEXT) | instid1(VALU_DEP_3)
	v_pk_add_f32 v[80:81], v[80:81], v[82:83]
	v_dual_mov_b32 v82, v119 :: v_dual_mov_b32 v87, v89
	v_pk_fma_f32 v[88:89], v[130:131], v[114:115], v[90:91] op_sel_hi:[1,0,1]
	v_pk_fma_f32 v[90:91], v[130:131], v[114:115], v[90:91] neg_lo:[0,0,1] neg_hi:[0,0,1]
	s_delay_alu instid0(VALU_DEP_4)
	v_pk_add_f32 v[80:81], v[80:81], v[84:85]
	v_pk_fma_f32 v[84:85], v[132:133], v[116:117], v[92:93] op_sel_hi:[1,0,1]
	v_pk_mul_f32 v[82:83], v[172:173], v[82:83] op_sel_hi:[1,0]
	v_mov_b32_e32 v91, v89
	s_wait_loadcnt_dscnt 0x100
	v_pk_mul_f32 v[88:89], v[164:165], v[160:161] op_sel:[1,1] op_sel_hi:[0,1]
	v_pk_add_f32 v[80:81], v[80:81], v[86:87]
	v_pk_fma_f32 v[86:87], v[132:133], v[116:117], v[92:93] neg_lo:[0,0,1] neg_hi:[0,0,1]
	v_mov_b32_e32 v87, v85
	v_pk_fma_f32 v[84:85], v[134:135], v[118:119], v[82:83] op_sel_hi:[1,0,1]
	v_pk_fma_f32 v[82:83], v[134:135], v[118:119], v[82:83] neg_lo:[0,0,1] neg_hi:[0,0,1]
	v_pk_add_f32 v[80:81], v[80:81], v[90:91]
	s_delay_alu instid0(VALU_DEP_3) | instskip(SKIP_1) | instid1(VALU_DEP_3)
	v_mov_b32_e32 v83, v85
	v_pk_fma_f32 v[84:85], v[164:165], v[160:161], v[88:89] op_sel_hi:[1,0,1]
	v_pk_add_f32 v[80:81], v[80:81], v[86:87]
	v_pk_fma_f32 v[86:87], v[164:165], v[160:161], v[88:89] neg_lo:[0,0,1] neg_hi:[0,0,1]
	s_delay_alu instid0(VALU_DEP_3) | instskip(NEXT) | instid1(VALU_DEP_3)
	v_mov_b32_e32 v87, v85
	v_pk_add_f32 v[80:81], v[80:81], v[82:83]
	s_delay_alu instid0(VALU_DEP_1) | instskip(SKIP_1) | instid1(VALU_DEP_1)
	v_pk_add_f32 v[80:81], v[80:81], v[86:87]
	s_wait_loadcnt 0x0
	v_pk_add_f32 v[80:81], v[162:163], v[80:81] neg_lo:[0,1] neg_hi:[0,1]
	scratch_store_b64 off, v[80:81], off offset:136
	s_wait_xcnt 0x0
	v_cmpx_lt_u32_e32 16, v0
	s_cbranch_execz .LBB38_215
; %bb.214:
	scratch_load_b64 v[80:81], off, off offset:128
	v_mov_b64_e32 v[82:83], 0
	scratch_store_b64 off, v[82:83], off offset:128
	s_wait_loadcnt 0x0
	ds_store_b64 v1, v[80:81]
.LBB38_215:
	s_wait_xcnt 0x0
	s_or_b32 exec_lo, exec_lo, s0
	s_wait_storecnt_dscnt 0x0
	s_barrier_signal -1
	s_barrier_wait -1
	s_clause 0xb
	scratch_load_b128 v[80:83], off, off offset:136
	scratch_load_b128 v[84:87], off, off offset:152
	;; [unrolled: 1-line block ×11, first 2 shown]
	scratch_load_b64 v[168:169], off, off offset:128
	ds_load_2addr_b64 v[124:127], v5 offset0:71 offset1:72
	ds_load_2addr_b64 v[128:131], v5 offset0:73 offset1:74
	;; [unrolled: 1-line block ×11, first 2 shown]
	s_mov_b32 s0, exec_lo
	s_wait_dscnt 0xa
	v_dual_mov_b32 v170, v127 :: v_dual_mov_b32 v171, v126
	s_wait_dscnt 0x9
	v_dual_mov_b32 v172, v131 :: v_dual_mov_b32 v173, v130
	;; [unrolled: 2-line block ×4, first 2 shown]
	s_wait_loadcnt_dscnt 0xb06
	v_dual_mul_f32 v5, v140, v81 :: v_dual_mul_f32 v7, v142, v83
	v_dual_mul_f32 v31, v141, v81 :: v_dual_mul_f32 v33, v143, v83
	s_wait_loadcnt_dscnt 0xa05
	v_dual_mul_f32 v11, v144, v85 :: v_dual_mul_f32 v13, v146, v87
	s_delay_alu instid0(VALU_DEP_2) | instskip(SKIP_3) | instid1(VALU_DEP_3)
	v_dual_fmac_f32 v5, v141, v80 :: v_dual_fma_f32 v31, v140, v80, -v31
	v_dual_mul_f32 v35, v145, v85 :: v_dual_mul_f32 v37, v147, v87
	s_wait_loadcnt_dscnt 0x803
	v_dual_mul_f32 v43, v153, v93 :: v_dual_fmac_f32 v7, v143, v82
	v_dual_fma_f32 v33, v142, v82, -v33 :: v_dual_add_f32 v5, 0, v5
	v_dual_add_f32 v31, 0, v31 :: v_dual_fmac_f32 v11, v145, v84
	v_dual_mul_f32 v45, v155, v95 :: v_dual_fma_f32 v35, v144, v84, -v35
	s_delay_alu instid0(VALU_DEP_2)
	v_dual_add_f32 v5, v5, v7 :: v_dual_add_f32 v7, v31, v33
	v_dual_mul_f32 v15, v148, v89 :: v_dual_mul_f32 v17, v150, v91
	v_dual_mul_f32 v39, v149, v89 :: v_dual_mul_f32 v41, v151, v91
	s_wait_loadcnt_dscnt 0x702
	v_dual_mul_f32 v31, v157, v97 :: v_dual_fmac_f32 v13, v147, v86
	v_dual_fma_f32 v33, v146, v86, -v37 :: v_dual_add_f32 v5, v5, v11
	v_dual_add_f32 v7, v7, v35 :: v_dual_fmac_f32 v15, v149, v88
	v_dual_mul_f32 v11, v159, v99 :: v_dual_fma_f32 v35, v148, v88, -v39
	s_delay_alu instid0(VALU_DEP_3) | instskip(NEXT) | instid1(VALU_DEP_3)
	v_dual_add_f32 v5, v5, v13 :: v_dual_fmac_f32 v17, v151, v90
	v_dual_add_f32 v7, v7, v33 :: v_dual_fma_f32 v33, v150, v90, -v41
	v_dual_mul_f32 v19, v152, v93 :: v_dual_mul_f32 v21, v154, v95
	s_wait_loadcnt_dscnt 0x601
	s_delay_alu instid0(VALU_DEP_2) | instskip(SKIP_1) | instid1(VALU_DEP_3)
	v_dual_mul_f32 v13, v161, v101 :: v_dual_add_f32 v7, v7, v35
	v_dual_add_f32 v5, v5, v15 :: v_dual_fma_f32 v35, v152, v92, -v43
	v_dual_mul_f32 v15, v163, v103 :: v_dual_fmac_f32 v19, v153, v92
	s_delay_alu instid0(VALU_DEP_3) | instskip(NEXT) | instid1(VALU_DEP_3)
	v_dual_add_f32 v7, v7, v33 :: v_dual_fma_f32 v33, v154, v94, -v45
	v_dual_add_f32 v5, v5, v17 :: v_dual_fmac_f32 v21, v155, v94
	v_dual_mul_f32 v23, v156, v97 :: v_dual_mul_f32 v25, v158, v99
	s_wait_loadcnt_dscnt 0x500
	s_delay_alu instid0(VALU_DEP_3) | instskip(NEXT) | instid1(VALU_DEP_3)
	v_dual_mul_f32 v17, v165, v105 :: v_dual_add_f32 v7, v7, v35
	v_dual_add_f32 v5, v5, v19 :: v_dual_fma_f32 v31, v156, v96, -v31
	s_delay_alu instid0(VALU_DEP_3) | instskip(NEXT) | instid1(VALU_DEP_3)
	v_dual_mul_f32 v19, v167, v107 :: v_dual_fmac_f32 v23, v157, v96
	v_dual_add_f32 v7, v7, v33 :: v_dual_fma_f32 v11, v158, v98, -v11
	s_delay_alu instid0(VALU_DEP_3) | instskip(SKIP_1) | instid1(VALU_DEP_3)
	v_dual_add_f32 v5, v5, v21 :: v_dual_fmac_f32 v25, v159, v98
	v_dual_mul_f32 v27, v160, v101 :: v_dual_mul_f32 v29, v162, v103
	v_add_f32_e32 v7, v7, v31
	s_wait_loadcnt 0x4
	s_delay_alu instid0(VALU_DEP_3) | instskip(NEXT) | instid1(VALU_DEP_3)
	v_dual_add_f32 v5, v5, v23 :: v_dual_mov_b32 v82, v111
	v_dual_fmac_f32 v27, v161, v100 :: v_dual_fma_f32 v13, v160, v100, -v13
	s_delay_alu instid0(VALU_DEP_3) | instskip(NEXT) | instid1(VALU_DEP_3)
	v_dual_add_f32 v7, v7, v11 :: v_dual_fma_f32 v11, v162, v102, -v15
	v_add_f32_e32 v5, v5, v25
	v_dual_mul_f32 v179, v164, v105 :: v_dual_mul_f32 v181, v166, v107
	v_fmac_f32_e32 v29, v163, v102
	s_delay_alu instid0(VALU_DEP_3)
	v_dual_add_f32 v7, v7, v13 :: v_dual_add_f32 v5, v5, v27
	v_pk_mul_f32 v[80:81], v[124:125], v[108:109] op_sel:[1,1] op_sel_hi:[0,1]
	s_wait_loadcnt 0x3
	v_dual_mov_b32 v86, v115 :: v_dual_fma_f32 v178, v164, v104, -v17
	v_fmac_f32_e32 v179, v165, v104
	v_dual_add_f32 v89, v5, v29 :: v_dual_add_f32 v88, v7, v11
	v_dual_fmac_f32 v181, v167, v106 :: v_dual_fma_f32 v180, v166, v106, -v19
	v_pk_fma_f32 v[90:91], v[124:125], v[108:109], v[80:81] op_sel_hi:[1,0,1]
	v_pk_mul_f32 v[82:83], v[170:171], v[82:83] op_sel_hi:[1,0]
	s_delay_alu instid0(VALU_DEP_4)
	v_pk_add_f32 v[88:89], v[88:89], v[178:179]
	v_pk_fma_f32 v[80:81], v[124:125], v[108:109], v[80:81] neg_lo:[0,0,1] neg_hi:[0,0,1]
	v_pk_mul_f32 v[84:85], v[128:129], v[112:113] op_sel:[1,1] op_sel_hi:[0,1]
	v_mov_b32_e32 v81, v91
	v_pk_fma_f32 v[90:91], v[126:127], v[110:111], v[82:83] op_sel_hi:[1,0,1]
	v_pk_add_f32 v[88:89], v[88:89], v[180:181]
	v_pk_fma_f32 v[82:83], v[126:127], v[110:111], v[82:83] neg_lo:[0,0,1] neg_hi:[0,0,1]
	v_pk_fma_f32 v[94:95], v[128:129], v[112:113], v[84:85] op_sel_hi:[1,0,1]
	v_pk_mul_f32 v[86:87], v[172:173], v[86:87] op_sel_hi:[1,0]
	v_mov_b32_e32 v83, v91
	v_pk_add_f32 v[80:81], v[88:89], v[80:81]
	s_wait_loadcnt 0x2
	v_pk_mul_f32 v[92:93], v[132:133], v[116:117] op_sel:[1,1] op_sel_hi:[0,1]
	v_mov_b32_e32 v88, v119
	v_pk_fma_f32 v[84:85], v[128:129], v[112:113], v[84:85] neg_lo:[0,0,1] neg_hi:[0,0,1]
	v_mov_b32_e32 v85, v95
	v_pk_fma_f32 v[90:91], v[130:131], v[114:115], v[86:87] op_sel_hi:[1,0,1]
	v_pk_add_f32 v[80:81], v[80:81], v[82:83]
	v_pk_fma_f32 v[82:83], v[132:133], v[116:117], v[92:93] op_sel_hi:[1,0,1]
	v_pk_mul_f32 v[88:89], v[174:175], v[88:89] op_sel_hi:[1,0]
	v_pk_fma_f32 v[86:87], v[130:131], v[114:115], v[86:87] neg_lo:[0,0,1] neg_hi:[0,0,1]
	v_mov_b32_e32 v87, v91
	v_pk_add_f32 v[80:81], v[80:81], v[84:85]
	v_pk_fma_f32 v[90:91], v[132:133], v[116:117], v[92:93] neg_lo:[0,0,1] neg_hi:[0,0,1]
	v_mov_b32_e32 v91, v83
	v_pk_fma_f32 v[82:83], v[134:135], v[118:119], v[88:89] op_sel_hi:[1,0,1]
	s_wait_loadcnt 0x1
	v_pk_mul_f32 v[84:85], v[136:137], v[120:121] op_sel:[1,1] op_sel_hi:[0,1]
	v_pk_add_f32 v[80:81], v[80:81], v[86:87]
	v_mov_b32_e32 v82, v123
	v_pk_fma_f32 v[88:89], v[134:135], v[118:119], v[88:89] neg_lo:[0,0,1] neg_hi:[0,0,1]
	v_mov_b32_e32 v89, v83
	v_pk_fma_f32 v[86:87], v[136:137], v[120:121], v[84:85] op_sel_hi:[1,0,1]
	v_pk_add_f32 v[80:81], v[80:81], v[90:91]
	v_pk_mul_f32 v[82:83], v[176:177], v[82:83] op_sel_hi:[1,0]
	v_pk_fma_f32 v[84:85], v[136:137], v[120:121], v[84:85] neg_lo:[0,0,1] neg_hi:[0,0,1]
	s_delay_alu instid0(VALU_DEP_4) | instskip(NEXT) | instid1(VALU_DEP_4)
	v_mov_b32_e32 v85, v87
	v_pk_add_f32 v[80:81], v[80:81], v[88:89]
	s_delay_alu instid0(VALU_DEP_4) | instskip(SKIP_1) | instid1(VALU_DEP_2)
	v_pk_fma_f32 v[86:87], v[138:139], v[122:123], v[82:83] op_sel_hi:[1,0,1]
	v_pk_fma_f32 v[82:83], v[138:139], v[122:123], v[82:83] neg_lo:[0,0,1] neg_hi:[0,0,1]
	v_mov_b32_e32 v83, v87
	s_delay_alu instid0(VALU_DEP_4) | instskip(NEXT) | instid1(VALU_DEP_1)
	v_pk_add_f32 v[80:81], v[80:81], v[84:85]
	v_pk_add_f32 v[80:81], v[80:81], v[82:83]
	s_wait_loadcnt 0x0
	s_delay_alu instid0(VALU_DEP_1)
	v_pk_add_f32 v[80:81], v[168:169], v[80:81] neg_lo:[0,1] neg_hi:[0,1]
	scratch_store_b64 off, v[80:81], off offset:128
	s_wait_xcnt 0x0
	v_cmpx_lt_u32_e32 15, v0
	s_cbranch_execz .LBB38_217
; %bb.216:
	scratch_load_b64 v[80:81], off, off offset:120
	v_mov_b64_e32 v[82:83], 0
	scratch_store_b64 off, v[82:83], off offset:120
	s_wait_loadcnt 0x0
	ds_store_b64 v1, v[80:81]
.LBB38_217:
	s_wait_xcnt 0x0
	s_or_b32 exec_lo, exec_lo, s0
	s_wait_storecnt_dscnt 0x0
	s_barrier_signal -1
	s_barrier_wait -1
	s_clause 0xc
	scratch_load_b128 v[80:83], off, off offset:128
	scratch_load_b128 v[84:87], off, off offset:144
	;; [unrolled: 1-line block ×11, first 2 shown]
	scratch_load_b64 v[168:169], off, off offset:304
	scratch_load_b64 v[170:171], off, off offset:120
	v_mov_b32_e32 v5, 0
	ds_load_b128 v[124:127], v5 offset:560
	ds_load_b128 v[128:131], v5 offset:576
	;; [unrolled: 1-line block ×11, first 2 shown]
	ds_load_b64 v[172:173], v5 offset:624
	s_mov_b32 s0, exec_lo
	s_wait_dscnt 0xb
	v_dual_mov_b32 v174, v127 :: v_dual_mov_b32 v175, v126
	s_wait_dscnt 0x8
	v_dual_mov_b32 v176, v131 :: v_dual_mov_b32 v181, v138
	v_dual_mov_b32 v177, v130 :: v_dual_mov_b32 v178, v135
	;; [unrolled: 1-line block ×3, first 2 shown]
	s_wait_loadcnt_dscnt 0xc07
	v_dual_mul_f32 v7, v140, v81 :: v_dual_mul_f32 v35, v141, v81
	v_dual_mul_f32 v37, v143, v83 :: v_dual_mul_f32 v11, v142, v83
	s_wait_loadcnt_dscnt 0xb06
	v_mul_f32_e32 v13, v144, v85
	s_wait_loadcnt_dscnt 0x904
	v_dual_mul_f32 v47, v153, v93 :: v_dual_fma_f32 v35, v140, v80, -v35
	v_dual_fmac_f32 v7, v141, v80 :: v_dual_mul_f32 v49, v155, v95
	v_dual_mul_f32 v39, v145, v85 :: v_dual_mul_f32 v41, v147, v87
	v_dual_fmac_f32 v11, v143, v82 :: v_dual_fma_f32 v37, v142, v82, -v37
	s_wait_loadcnt_dscnt 0x803
	s_delay_alu instid0(VALU_DEP_3) | instskip(SKIP_1) | instid1(VALU_DEP_2)
	v_dual_add_f32 v7, 0, v7 :: v_dual_mul_f32 v51, v157, v97
	v_dual_add_f32 v35, 0, v35 :: v_dual_fmac_f32 v13, v145, v84
	v_dual_fma_f32 v39, v144, v84, -v39 :: v_dual_add_f32 v7, v7, v11
	v_dual_mul_f32 v15, v146, v87 :: v_dual_mul_f32 v17, v148, v89
	s_delay_alu instid0(VALU_DEP_3) | instskip(SKIP_2) | instid1(VALU_DEP_3)
	v_dual_add_f32 v11, v35, v37 :: v_dual_fma_f32 v37, v146, v86, -v41
	v_dual_mul_f32 v43, v149, v89 :: v_dual_mul_f32 v45, v151, v91
	v_dual_mul_f32 v19, v150, v91 :: v_dual_mul_f32 v21, v152, v93
	v_add_f32_e32 v11, v11, v39
	v_dual_fmac_f32 v15, v147, v86 :: v_dual_fmac_f32 v17, v149, v88
	s_delay_alu instid0(VALU_DEP_4) | instskip(NEXT) | instid1(VALU_DEP_3)
	v_dual_add_f32 v7, v7, v13 :: v_dual_fma_f32 v39, v148, v88, -v43
	v_dual_add_f32 v11, v11, v37 :: v_dual_fmac_f32 v21, v153, v92
	v_dual_mul_f32 v23, v154, v95 :: v_dual_mul_f32 v25, v156, v97
	s_delay_alu instid0(VALU_DEP_3) | instskip(NEXT) | instid1(VALU_DEP_3)
	v_dual_add_f32 v7, v7, v15 :: v_dual_fma_f32 v37, v150, v90, -v45
	v_add_f32_e32 v11, v11, v39
	s_wait_loadcnt_dscnt 0x701
	v_dual_mul_f32 v35, v159, v99 :: v_dual_mul_f32 v13, v165, v101
	v_dual_mul_f32 v15, v167, v103 :: v_dual_fma_f32 v39, v152, v92, -v47
	v_fmac_f32_e32 v19, v151, v90
	v_dual_add_f32 v7, v7, v17 :: v_dual_fmac_f32 v25, v157, v96
	v_dual_add_f32 v11, v11, v37 :: v_dual_mul_f32 v27, v158, v99
	v_dual_mul_f32 v29, v164, v101 :: v_dual_mul_f32 v31, v166, v103
	s_wait_loadcnt 0x6
	v_dual_mul_f32 v33, v160, v105 :: v_dual_fma_f32 v37, v154, v94, -v49
	v_add_f32_e32 v7, v7, v19
	v_add_f32_e32 v11, v11, v39
	s_wait_loadcnt 0x4
	v_dual_mov_b32 v80, v111 :: v_dual_mov_b32 v84, v115
	v_dual_mul_f32 v19, v163, v107 :: v_dual_fmac_f32 v29, v165, v100
	v_dual_fmac_f32 v23, v155, v94 :: v_dual_fma_f32 v13, v164, v100, -v13
	v_dual_fma_f32 v39, v156, v96, -v51 :: v_dual_add_f32 v7, v7, v21
	v_dual_fma_f32 v15, v166, v102, -v15 :: v_dual_fmac_f32 v33, v161, v104
	s_delay_alu instid0(VALU_DEP_4) | instskip(SKIP_1) | instid1(VALU_DEP_4)
	v_dual_add_f32 v11, v11, v37 :: v_dual_fma_f32 v182, v162, v106, -v19
	v_pk_mul_f32 v[80:81], v[174:175], v[80:81] op_sel_hi:[1,0]
	v_dual_mul_f32 v17, v161, v105 :: v_dual_add_f32 v7, v7, v23
	v_fma_f32 v23, v158, v98, -v35
	v_dual_mul_f32 v183, v162, v107 :: v_dual_mul_f32 v185, v124, v109
	s_delay_alu instid0(VALU_DEP_4) | instskip(SKIP_4) | instid1(VALU_DEP_4)
	v_pk_fma_f32 v[92:93], v[126:127], v[110:111], v[80:81] op_sel_hi:[1,0,1]
	v_add_f32_e32 v11, v11, v39
	v_pk_fma_f32 v[80:81], v[126:127], v[110:111], v[80:81] neg_lo:[0,0,1] neg_hi:[0,0,1]
	v_dual_mul_f32 v21, v125, v109 :: v_dual_fmac_f32 v27, v159, v98
	v_fmac_f32_e32 v185, v125, v108
	v_dual_mov_b32 v81, v93 :: v_dual_add_f32 v11, v11, v23
	s_delay_alu instid0(VALU_DEP_3) | instskip(SKIP_2) | instid1(VALU_DEP_4)
	v_dual_fma_f32 v184, v124, v108, -v21 :: v_dual_fmac_f32 v31, v167, v102
	v_fmac_f32_e32 v183, v163, v106
	v_pk_mul_f32 v[82:83], v[128:129], v[112:113] op_sel:[1,1] op_sel_hi:[0,1]
	v_dual_add_f32 v11, v11, v13 :: v_dual_fma_f32 v13, v160, v104, -v17
	v_add_f32_e32 v7, v7, v25
	v_pk_mul_f32 v[84:85], v[176:177], v[84:85] op_sel_hi:[1,0]
	s_delay_alu instid0(VALU_DEP_4) | instskip(NEXT) | instid1(VALU_DEP_4)
	v_pk_fma_f32 v[94:95], v[128:129], v[112:113], v[82:83] op_sel_hi:[1,0,1]
	v_add_f32_e32 v11, v11, v15
	v_pk_fma_f32 v[82:83], v[128:129], v[112:113], v[82:83] neg_lo:[0,0,1] neg_hi:[0,0,1]
	v_add_f32_e32 v7, v7, v27
	s_wait_loadcnt 0x3
	v_pk_mul_f32 v[86:87], v[132:133], v[116:117] op_sel:[1,1] op_sel_hi:[0,1]
	v_dual_mov_b32 v90, v119 :: v_dual_mov_b32 v83, v95
	v_add_f32_e32 v88, v11, v13
	v_add_f32_e32 v7, v7, v29
	v_pk_fma_f32 v[94:95], v[130:131], v[114:115], v[84:85] op_sel_hi:[1,0,1]
	v_pk_fma_f32 v[84:85], v[130:131], v[114:115], v[84:85] neg_lo:[0,0,1] neg_hi:[0,0,1]
	v_pk_mul_f32 v[90:91], v[178:179], v[90:91] op_sel_hi:[1,0]
	s_wait_loadcnt 0x2
	v_pk_mul_f32 v[92:93], v[136:137], v[120:121] op_sel:[1,1] op_sel_hi:[0,1]
	v_add_f32_e32 v7, v7, v31
	v_mov_b32_e32 v85, v95
	s_delay_alu instid0(VALU_DEP_2) | instskip(NEXT) | instid1(VALU_DEP_1)
	v_add_f32_e32 v89, v7, v33
	v_pk_add_f32 v[88:89], v[88:89], v[182:183]
	s_delay_alu instid0(VALU_DEP_1) | instskip(NEXT) | instid1(VALU_DEP_1)
	v_pk_add_f32 v[88:89], v[88:89], v[184:185]
	v_pk_add_f32 v[80:81], v[88:89], v[80:81]
	v_pk_fma_f32 v[88:89], v[132:133], v[116:117], v[86:87] op_sel_hi:[1,0,1]
	v_pk_fma_f32 v[86:87], v[132:133], v[116:117], v[86:87] neg_lo:[0,0,1] neg_hi:[0,0,1]
	s_delay_alu instid0(VALU_DEP_3) | instskip(NEXT) | instid1(VALU_DEP_3)
	v_pk_add_f32 v[80:81], v[80:81], v[82:83]
	v_dual_mov_b32 v82, v123 :: v_dual_mov_b32 v87, v89
	v_pk_fma_f32 v[88:89], v[134:135], v[118:119], v[90:91] op_sel_hi:[1,0,1]
	v_pk_fma_f32 v[90:91], v[134:135], v[118:119], v[90:91] neg_lo:[0,0,1] neg_hi:[0,0,1]
	s_delay_alu instid0(VALU_DEP_4)
	v_pk_add_f32 v[80:81], v[80:81], v[84:85]
	v_pk_fma_f32 v[84:85], v[136:137], v[120:121], v[92:93] op_sel_hi:[1,0,1]
	v_pk_mul_f32 v[82:83], v[180:181], v[82:83] op_sel_hi:[1,0]
	v_mov_b32_e32 v91, v89
	s_wait_loadcnt_dscnt 0x100
	v_pk_mul_f32 v[88:89], v[172:173], v[168:169] op_sel:[1,1] op_sel_hi:[0,1]
	v_pk_add_f32 v[80:81], v[80:81], v[86:87]
	v_pk_fma_f32 v[86:87], v[136:137], v[120:121], v[92:93] neg_lo:[0,0,1] neg_hi:[0,0,1]
	v_mov_b32_e32 v87, v85
	v_pk_fma_f32 v[84:85], v[138:139], v[122:123], v[82:83] op_sel_hi:[1,0,1]
	v_pk_fma_f32 v[82:83], v[138:139], v[122:123], v[82:83] neg_lo:[0,0,1] neg_hi:[0,0,1]
	v_pk_add_f32 v[80:81], v[80:81], v[90:91]
	s_delay_alu instid0(VALU_DEP_3) | instskip(SKIP_1) | instid1(VALU_DEP_3)
	v_mov_b32_e32 v83, v85
	v_pk_fma_f32 v[84:85], v[172:173], v[168:169], v[88:89] op_sel_hi:[1,0,1]
	v_pk_add_f32 v[80:81], v[80:81], v[86:87]
	v_pk_fma_f32 v[86:87], v[172:173], v[168:169], v[88:89] neg_lo:[0,0,1] neg_hi:[0,0,1]
	s_delay_alu instid0(VALU_DEP_3) | instskip(NEXT) | instid1(VALU_DEP_3)
	v_mov_b32_e32 v87, v85
	v_pk_add_f32 v[80:81], v[80:81], v[82:83]
	s_delay_alu instid0(VALU_DEP_1) | instskip(SKIP_1) | instid1(VALU_DEP_1)
	v_pk_add_f32 v[80:81], v[80:81], v[86:87]
	s_wait_loadcnt 0x0
	v_pk_add_f32 v[80:81], v[170:171], v[80:81] neg_lo:[0,1] neg_hi:[0,1]
	scratch_store_b64 off, v[80:81], off offset:120
	s_wait_xcnt 0x0
	v_cmpx_lt_u32_e32 14, v0
	s_cbranch_execz .LBB38_219
; %bb.218:
	scratch_load_b64 v[80:81], off, off offset:112
	v_mov_b64_e32 v[82:83], 0
	scratch_store_b64 off, v[82:83], off offset:112
	s_wait_loadcnt 0x0
	ds_store_b64 v1, v[80:81]
.LBB38_219:
	s_wait_xcnt 0x0
	s_or_b32 exec_lo, exec_lo, s0
	s_wait_storecnt_dscnt 0x0
	s_barrier_signal -1
	s_barrier_wait -1
	s_clause 0xc
	scratch_load_b128 v[80:83], off, off offset:120
	scratch_load_b128 v[84:87], off, off offset:136
	;; [unrolled: 1-line block ×12, first 2 shown]
	scratch_load_b64 v[176:177], off, off offset:112
	ds_load_2addr_b64 v[128:131], v5 offset0:71 offset1:72
	ds_load_2addr_b64 v[132:135], v5 offset0:73 offset1:74
	;; [unrolled: 1-line block ×12, first 2 shown]
	s_mov_b32 s0, exec_lo
	s_wait_dscnt 0xb
	v_dual_mov_b32 v178, v131 :: v_dual_mov_b32 v179, v130
	s_wait_dscnt 0xa
	v_dual_mov_b32 v180, v135 :: v_dual_mov_b32 v181, v134
	;; [unrolled: 2-line block ×4, first 2 shown]
	s_wait_loadcnt_dscnt 0xc07
	v_dual_mul_f32 v5, v144, v81 :: v_dual_mul_f32 v7, v146, v83
	v_dual_mul_f32 v35, v145, v81 :: v_dual_mul_f32 v37, v147, v83
	s_wait_loadcnt_dscnt 0xb06
	v_dual_mul_f32 v11, v148, v85 :: v_dual_mul_f32 v13, v150, v87
	s_delay_alu instid0(VALU_DEP_2) | instskip(SKIP_3) | instid1(VALU_DEP_3)
	v_dual_fmac_f32 v5, v145, v80 :: v_dual_fma_f32 v35, v144, v80, -v35
	v_dual_mul_f32 v39, v149, v85 :: v_dual_mul_f32 v41, v151, v87
	s_wait_loadcnt_dscnt 0x904
	v_dual_mul_f32 v47, v157, v93 :: v_dual_fmac_f32 v7, v147, v82
	v_dual_fma_f32 v37, v146, v82, -v37 :: v_dual_add_f32 v5, 0, v5
	v_dual_add_f32 v35, 0, v35 :: v_dual_fmac_f32 v11, v149, v84
	v_dual_mul_f32 v49, v159, v95 :: v_dual_fma_f32 v39, v148, v84, -v39
	s_delay_alu instid0(VALU_DEP_2)
	v_dual_add_f32 v5, v5, v7 :: v_dual_add_f32 v7, v35, v37
	v_dual_mul_f32 v15, v152, v89 :: v_dual_mul_f32 v17, v154, v91
	v_dual_mul_f32 v43, v153, v89 :: v_dual_mul_f32 v45, v155, v91
	s_wait_loadcnt_dscnt 0x803
	v_dual_mul_f32 v35, v161, v97 :: v_dual_fmac_f32 v13, v151, v86
	v_dual_fma_f32 v37, v150, v86, -v41 :: v_dual_add_f32 v5, v5, v11
	v_dual_add_f32 v7, v7, v39 :: v_dual_fmac_f32 v15, v153, v88
	v_dual_mul_f32 v11, v163, v99 :: v_dual_fma_f32 v39, v152, v88, -v43
	s_delay_alu instid0(VALU_DEP_3) | instskip(NEXT) | instid1(VALU_DEP_3)
	v_dual_add_f32 v5, v5, v13 :: v_dual_fmac_f32 v17, v155, v90
	v_dual_add_f32 v7, v7, v37 :: v_dual_fma_f32 v37, v154, v90, -v45
	v_dual_mul_f32 v19, v156, v93 :: v_dual_mul_f32 v21, v158, v95
	s_wait_loadcnt_dscnt 0x702
	s_delay_alu instid0(VALU_DEP_2) | instskip(SKIP_1) | instid1(VALU_DEP_3)
	v_dual_mul_f32 v13, v165, v101 :: v_dual_add_f32 v7, v7, v39
	v_dual_add_f32 v5, v5, v15 :: v_dual_fma_f32 v39, v156, v92, -v47
	v_dual_mul_f32 v15, v167, v103 :: v_dual_fmac_f32 v19, v157, v92
	s_delay_alu instid0(VALU_DEP_3) | instskip(NEXT) | instid1(VALU_DEP_3)
	v_dual_add_f32 v7, v7, v37 :: v_dual_fma_f32 v37, v158, v94, -v49
	v_dual_add_f32 v5, v5, v17 :: v_dual_fmac_f32 v21, v159, v94
	v_dual_mul_f32 v23, v160, v97 :: v_dual_mul_f32 v25, v162, v99
	s_wait_loadcnt_dscnt 0x601
	s_delay_alu instid0(VALU_DEP_3) | instskip(NEXT) | instid1(VALU_DEP_3)
	v_dual_mul_f32 v17, v169, v105 :: v_dual_add_f32 v7, v7, v39
	v_dual_add_f32 v5, v5, v19 :: v_dual_fma_f32 v35, v160, v96, -v35
	s_delay_alu instid0(VALU_DEP_3) | instskip(NEXT) | instid1(VALU_DEP_3)
	v_dual_mul_f32 v19, v171, v107 :: v_dual_fmac_f32 v23, v161, v96
	v_dual_add_f32 v7, v7, v37 :: v_dual_fma_f32 v11, v162, v98, -v11
	s_delay_alu instid0(VALU_DEP_3) | instskip(SKIP_2) | instid1(VALU_DEP_3)
	v_dual_add_f32 v5, v5, v21 :: v_dual_fmac_f32 v25, v163, v98
	v_dual_mul_f32 v27, v164, v101 :: v_dual_mul_f32 v29, v166, v103
	s_wait_loadcnt_dscnt 0x500
	v_dual_mul_f32 v21, v173, v109 :: v_dual_add_f32 v7, v7, v35
	s_delay_alu instid0(VALU_DEP_3) | instskip(NEXT) | instid1(VALU_DEP_3)
	v_dual_add_f32 v5, v5, v23 :: v_dual_fma_f32 v13, v164, v100, -v13
	v_dual_mul_f32 v23, v175, v111 :: v_dual_fmac_f32 v27, v165, v100
	s_delay_alu instid0(VALU_DEP_2) | instskip(SKIP_2) | instid1(VALU_DEP_3)
	v_dual_add_f32 v7, v7, v11 :: v_dual_add_f32 v5, v5, v25
	v_dual_mul_f32 v31, v168, v105 :: v_dual_mul_f32 v33, v170, v107
	v_dual_fmac_f32 v29, v167, v102 :: v_dual_fma_f32 v11, v166, v102, -v15
	v_dual_add_f32 v5, v5, v27 :: v_dual_add_f32 v7, v7, v13
	s_wait_loadcnt 0x4
	s_delay_alu instid0(VALU_DEP_3) | instskip(NEXT) | instid1(VALU_DEP_2)
	v_dual_mov_b32 v82, v115 :: v_dual_fmac_f32 v31, v169, v104
	v_dual_fma_f32 v13, v168, v104, -v17 :: v_dual_add_f32 v5, v5, v29
	s_delay_alu instid0(VALU_DEP_3) | instskip(SKIP_1) | instid1(VALU_DEP_3)
	v_dual_add_f32 v7, v7, v11 :: v_dual_fma_f32 v11, v170, v106, -v19
	v_dual_mul_f32 v187, v172, v109 :: v_dual_mul_f32 v189, v174, v111
	v_dual_fmac_f32 v33, v171, v106 :: v_dual_add_f32 v5, v5, v31
	s_delay_alu instid0(VALU_DEP_2) | instskip(SKIP_3) | instid1(VALU_DEP_3)
	v_dual_add_f32 v7, v7, v13 :: v_dual_fmac_f32 v187, v173, v108
	v_pk_mul_f32 v[80:81], v[128:129], v[112:113] op_sel:[1,1] op_sel_hi:[0,1]
	s_wait_loadcnt 0x3
	v_dual_mov_b32 v86, v119 :: v_dual_fma_f32 v186, v172, v108, -v21
	v_dual_add_f32 v89, v5, v33 :: v_dual_add_f32 v88, v7, v11
	v_dual_fmac_f32 v189, v175, v110 :: v_dual_fma_f32 v188, v174, v110, -v23
	v_pk_fma_f32 v[90:91], v[128:129], v[112:113], v[80:81] op_sel_hi:[1,0,1]
	v_pk_mul_f32 v[82:83], v[178:179], v[82:83] op_sel_hi:[1,0]
	s_delay_alu instid0(VALU_DEP_4)
	v_pk_add_f32 v[88:89], v[88:89], v[186:187]
	v_pk_fma_f32 v[80:81], v[128:129], v[112:113], v[80:81] neg_lo:[0,0,1] neg_hi:[0,0,1]
	v_pk_mul_f32 v[84:85], v[132:133], v[116:117] op_sel:[1,1] op_sel_hi:[0,1]
	v_mov_b32_e32 v81, v91
	v_pk_fma_f32 v[90:91], v[130:131], v[114:115], v[82:83] op_sel_hi:[1,0,1]
	v_pk_add_f32 v[88:89], v[88:89], v[188:189]
	v_pk_fma_f32 v[82:83], v[130:131], v[114:115], v[82:83] neg_lo:[0,0,1] neg_hi:[0,0,1]
	v_pk_fma_f32 v[94:95], v[132:133], v[116:117], v[84:85] op_sel_hi:[1,0,1]
	v_pk_mul_f32 v[86:87], v[180:181], v[86:87] op_sel_hi:[1,0]
	v_mov_b32_e32 v83, v91
	v_pk_add_f32 v[80:81], v[88:89], v[80:81]
	s_wait_loadcnt 0x2
	v_pk_mul_f32 v[92:93], v[136:137], v[120:121] op_sel:[1,1] op_sel_hi:[0,1]
	v_mov_b32_e32 v88, v123
	v_pk_fma_f32 v[84:85], v[132:133], v[116:117], v[84:85] neg_lo:[0,0,1] neg_hi:[0,0,1]
	v_mov_b32_e32 v85, v95
	v_pk_fma_f32 v[90:91], v[134:135], v[118:119], v[86:87] op_sel_hi:[1,0,1]
	v_pk_add_f32 v[80:81], v[80:81], v[82:83]
	v_pk_fma_f32 v[82:83], v[136:137], v[120:121], v[92:93] op_sel_hi:[1,0,1]
	v_pk_mul_f32 v[88:89], v[182:183], v[88:89] op_sel_hi:[1,0]
	v_pk_fma_f32 v[86:87], v[134:135], v[118:119], v[86:87] neg_lo:[0,0,1] neg_hi:[0,0,1]
	v_mov_b32_e32 v87, v91
	v_pk_add_f32 v[80:81], v[80:81], v[84:85]
	v_pk_fma_f32 v[90:91], v[136:137], v[120:121], v[92:93] neg_lo:[0,0,1] neg_hi:[0,0,1]
	v_mov_b32_e32 v91, v83
	v_pk_fma_f32 v[82:83], v[138:139], v[122:123], v[88:89] op_sel_hi:[1,0,1]
	s_wait_loadcnt 0x1
	v_pk_mul_f32 v[84:85], v[140:141], v[124:125] op_sel:[1,1] op_sel_hi:[0,1]
	v_pk_add_f32 v[80:81], v[80:81], v[86:87]
	v_mov_b32_e32 v82, v127
	v_pk_fma_f32 v[88:89], v[138:139], v[122:123], v[88:89] neg_lo:[0,0,1] neg_hi:[0,0,1]
	v_mov_b32_e32 v89, v83
	v_pk_fma_f32 v[86:87], v[140:141], v[124:125], v[84:85] op_sel_hi:[1,0,1]
	v_pk_add_f32 v[80:81], v[80:81], v[90:91]
	v_pk_mul_f32 v[82:83], v[184:185], v[82:83] op_sel_hi:[1,0]
	v_pk_fma_f32 v[84:85], v[140:141], v[124:125], v[84:85] neg_lo:[0,0,1] neg_hi:[0,0,1]
	s_delay_alu instid0(VALU_DEP_4) | instskip(NEXT) | instid1(VALU_DEP_4)
	v_mov_b32_e32 v85, v87
	v_pk_add_f32 v[80:81], v[80:81], v[88:89]
	s_delay_alu instid0(VALU_DEP_4) | instskip(SKIP_1) | instid1(VALU_DEP_2)
	v_pk_fma_f32 v[86:87], v[142:143], v[126:127], v[82:83] op_sel_hi:[1,0,1]
	v_pk_fma_f32 v[82:83], v[142:143], v[126:127], v[82:83] neg_lo:[0,0,1] neg_hi:[0,0,1]
	v_mov_b32_e32 v83, v87
	s_delay_alu instid0(VALU_DEP_4) | instskip(NEXT) | instid1(VALU_DEP_1)
	v_pk_add_f32 v[80:81], v[80:81], v[84:85]
	v_pk_add_f32 v[80:81], v[80:81], v[82:83]
	s_wait_loadcnt 0x0
	s_delay_alu instid0(VALU_DEP_1)
	v_pk_add_f32 v[80:81], v[176:177], v[80:81] neg_lo:[0,1] neg_hi:[0,1]
	scratch_store_b64 off, v[80:81], off offset:112
	s_wait_xcnt 0x0
	v_cmpx_lt_u32_e32 13, v0
	s_cbranch_execz .LBB38_221
; %bb.220:
	scratch_load_b64 v[80:81], off, off offset:104
	v_mov_b64_e32 v[82:83], 0
	scratch_store_b64 off, v[82:83], off offset:104
	s_wait_loadcnt 0x0
	ds_store_b64 v1, v[80:81]
.LBB38_221:
	s_wait_xcnt 0x0
	s_or_b32 exec_lo, exec_lo, s0
	s_wait_storecnt_dscnt 0x0
	s_barrier_signal -1
	s_barrier_wait -1
	s_clause 0xd
	scratch_load_b128 v[80:83], off, off offset:112
	scratch_load_b128 v[84:87], off, off offset:128
	;; [unrolled: 1-line block ×12, first 2 shown]
	scratch_load_b64 v[176:177], off, off offset:304
	scratch_load_b64 v[178:179], off, off offset:104
	v_mov_b32_e32 v5, 0
	ds_load_b128 v[128:131], v5 offset:560
	ds_load_b128 v[132:135], v5 offset:576
	;; [unrolled: 1-line block ×12, first 2 shown]
	ds_load_b64 v[180:181], v5 offset:624
	s_mov_b32 s0, exec_lo
	s_wait_dscnt 0xc
	v_dual_mov_b32 v182, v131 :: v_dual_mov_b32 v183, v130
	s_wait_dscnt 0x9
	v_dual_mov_b32 v184, v135 :: v_dual_mov_b32 v189, v142
	v_dual_mov_b32 v185, v134 :: v_dual_mov_b32 v186, v139
	;; [unrolled: 1-line block ×3, first 2 shown]
	s_wait_loadcnt_dscnt 0xd08
	v_dual_mul_f32 v7, v144, v81 :: v_dual_mul_f32 v39, v145, v81
	v_dual_mul_f32 v41, v147, v83 :: v_dual_mul_f32 v11, v146, v83
	s_wait_loadcnt_dscnt 0xc07
	v_mul_f32_e32 v13, v148, v85
	s_wait_loadcnt_dscnt 0xa05
	v_dual_mul_f32 v51, v157, v93 :: v_dual_fma_f32 v39, v144, v80, -v39
	v_dual_fmac_f32 v7, v145, v80 :: v_dual_mul_f32 v53, v159, v95
	v_dual_mul_f32 v43, v149, v85 :: v_dual_mul_f32 v45, v151, v87
	v_dual_fmac_f32 v11, v147, v82 :: v_dual_fma_f32 v41, v146, v82, -v41
	s_wait_loadcnt_dscnt 0x904
	s_delay_alu instid0(VALU_DEP_3) | instskip(SKIP_2) | instid1(VALU_DEP_3)
	v_dual_add_f32 v7, 0, v7 :: v_dual_mul_f32 v55, v161, v97
	v_dual_add_f32 v39, 0, v39 :: v_dual_fmac_f32 v13, v149, v84
	v_dual_mul_f32 v15, v150, v87 :: v_dual_mul_f32 v17, v152, v89
	v_dual_fma_f32 v43, v148, v84, -v43 :: v_dual_add_f32 v7, v7, v11
	s_delay_alu instid0(VALU_DEP_3) | instskip(SKIP_1) | instid1(VALU_DEP_4)
	v_dual_add_f32 v11, v39, v41 :: v_dual_fma_f32 v41, v150, v86, -v45
	v_dual_mul_f32 v47, v153, v89 :: v_dual_mul_f32 v49, v155, v91
	v_dual_fmac_f32 v15, v151, v86 :: v_dual_fmac_f32 v17, v153, v88
	s_delay_alu instid0(VALU_DEP_4) | instskip(NEXT) | instid1(VALU_DEP_4)
	v_add_f32_e32 v7, v7, v13
	v_add_f32_e32 v11, v11, v43
	v_dual_mul_f32 v19, v154, v91 :: v_dual_mul_f32 v21, v156, v93
	s_delay_alu instid0(VALU_DEP_3) | instskip(NEXT) | instid1(VALU_DEP_3)
	v_dual_fma_f32 v43, v152, v88, -v47 :: v_dual_add_f32 v7, v7, v15
	v_dual_add_f32 v11, v11, v41 :: v_dual_mul_f32 v23, v158, v95
	s_delay_alu instid0(VALU_DEP_3) | instskip(NEXT) | instid1(VALU_DEP_3)
	v_dual_mul_f32 v25, v160, v97 :: v_dual_fmac_f32 v19, v155, v90
	v_dual_fma_f32 v41, v154, v90, -v49 :: v_dual_add_f32 v7, v7, v17
	s_delay_alu instid0(VALU_DEP_3) | instskip(NEXT) | instid1(VALU_DEP_3)
	v_dual_fmac_f32 v21, v157, v92 :: v_dual_add_f32 v11, v11, v43
	v_dual_fmac_f32 v25, v161, v96 :: v_dual_mul_f32 v39, v163, v99
	s_wait_loadcnt_dscnt 0x803
	v_dual_mul_f32 v13, v165, v101 :: v_dual_mul_f32 v15, v167, v103
	s_delay_alu instid0(VALU_DEP_3) | instskip(NEXT) | instid1(VALU_DEP_3)
	v_dual_fma_f32 v43, v156, v92, -v51 :: v_dual_add_f32 v11, v11, v41
	v_fma_f32 v39, v162, v98, -v39
	v_dual_fma_f32 v41, v158, v94, -v53 :: v_dual_add_f32 v7, v7, v19
	v_dual_mul_f32 v27, v162, v99 :: v_dual_mul_f32 v29, v164, v101
	v_fmac_f32_e32 v23, v159, v94
	v_dual_add_f32 v11, v11, v43 :: v_dual_fma_f32 v15, v166, v102, -v15
	s_delay_alu instid0(VALU_DEP_4) | instskip(SKIP_4) | instid1(VALU_DEP_2)
	v_dual_fma_f32 v43, v160, v96, -v55 :: v_dual_add_f32 v7, v7, v21
	v_dual_fma_f32 v13, v164, v100, -v13 :: v_dual_mul_f32 v31, v166, v103
	s_wait_loadcnt_dscnt 0x702
	v_dual_mul_f32 v33, v168, v105 :: v_dual_mul_f32 v17, v169, v105
	v_dual_add_f32 v11, v11, v41 :: v_dual_fmac_f32 v29, v165, v100
	v_dual_add_f32 v7, v7, v23 :: v_dual_fmac_f32 v33, v169, v104
	s_wait_loadcnt_dscnt 0x601
	v_dual_mul_f32 v19, v171, v107 :: v_dual_mul_f32 v21, v173, v109
	v_dual_mul_f32 v35, v170, v107 :: v_dual_mul_f32 v37, v172, v109
	s_delay_alu instid0(VALU_DEP_3) | instskip(SKIP_4) | instid1(VALU_DEP_3)
	v_add_f32_e32 v7, v7, v25
	s_wait_loadcnt 0x5
	v_dual_mul_f32 v25, v129, v113 :: v_dual_mul_f32 v23, v175, v111
	v_add_f32_e32 v11, v11, v43
	v_dual_fmac_f32 v27, v163, v98 :: v_dual_fmac_f32 v37, v173, v108
	v_dual_fma_f32 v192, v128, v112, -v25 :: v_dual_mov_b32 v80, v115
	s_wait_loadcnt 0x4
	v_mov_b32_e32 v84, v119
	v_add_f32_e32 v11, v11, v39
	v_dual_mul_f32 v191, v174, v111 :: v_dual_mul_f32 v193, v128, v113
	v_pk_mul_f32 v[80:81], v[182:183], v[80:81] op_sel_hi:[1,0]
	v_fmac_f32_e32 v35, v171, v106
	s_delay_alu instid0(VALU_DEP_4) | instskip(NEXT) | instid1(VALU_DEP_4)
	v_dual_add_f32 v11, v11, v13 :: v_dual_fma_f32 v13, v168, v104, -v17
	v_fmac_f32_e32 v193, v129, v112
	s_delay_alu instid0(VALU_DEP_4) | instskip(SKIP_1) | instid1(VALU_DEP_4)
	v_pk_fma_f32 v[92:93], v[130:131], v[114:115], v[80:81] op_sel_hi:[1,0,1]
	v_fmac_f32_e32 v31, v167, v102
	v_add_f32_e32 v11, v11, v15
	v_pk_fma_f32 v[80:81], v[130:131], v[114:115], v[80:81] neg_lo:[0,0,1] neg_hi:[0,0,1]
	s_delay_alu instid0(VALU_DEP_4) | instskip(SKIP_1) | instid1(VALU_DEP_4)
	v_dual_fma_f32 v15, v170, v106, -v19 :: v_dual_mov_b32 v81, v93
	v_fmac_f32_e32 v191, v175, v110
	v_dual_add_f32 v11, v11, v13 :: v_dual_fma_f32 v13, v172, v108, -v21
	v_dual_add_f32 v7, v7, v27 :: v_dual_fma_f32 v190, v174, v110, -v23
	v_pk_mul_f32 v[82:83], v[132:133], v[116:117] op_sel:[1,1] op_sel_hi:[0,1]
	s_delay_alu instid0(VALU_DEP_3) | instskip(SKIP_1) | instid1(VALU_DEP_4)
	v_add_f32_e32 v11, v11, v15
	v_pk_mul_f32 v[84:85], v[184:185], v[84:85] op_sel_hi:[1,0]
	v_add_f32_e32 v7, v7, v29
	s_wait_loadcnt 0x3
	v_pk_mul_f32 v[86:87], v[136:137], v[120:121] op_sel:[1,1] op_sel_hi:[0,1]
	v_pk_fma_f32 v[94:95], v[132:133], v[116:117], v[82:83] op_sel_hi:[1,0,1]
	v_add_f32_e32 v88, v11, v13
	v_pk_fma_f32 v[82:83], v[132:133], v[116:117], v[82:83] neg_lo:[0,0,1] neg_hi:[0,0,1]
	v_add_f32_e32 v7, v7, v31
	s_delay_alu instid0(VALU_DEP_4) | instskip(SKIP_2) | instid1(VALU_DEP_4)
	v_dual_mov_b32 v90, v123 :: v_dual_mov_b32 v83, v95
	v_pk_fma_f32 v[94:95], v[134:135], v[118:119], v[84:85] op_sel_hi:[1,0,1]
	v_pk_fma_f32 v[84:85], v[134:135], v[118:119], v[84:85] neg_lo:[0,0,1] neg_hi:[0,0,1]
	v_add_f32_e32 v7, v7, v33
	s_delay_alu instid0(VALU_DEP_4) | instskip(SKIP_4) | instid1(VALU_DEP_1)
	v_pk_mul_f32 v[90:91], v[186:187], v[90:91] op_sel_hi:[1,0]
	s_wait_loadcnt 0x2
	v_pk_mul_f32 v[92:93], v[140:141], v[124:125] op_sel:[1,1] op_sel_hi:[0,1]
	v_mov_b32_e32 v85, v95
	v_add_f32_e32 v7, v7, v35
	v_add_f32_e32 v89, v7, v37
	s_delay_alu instid0(VALU_DEP_1) | instskip(NEXT) | instid1(VALU_DEP_1)
	v_pk_add_f32 v[88:89], v[88:89], v[190:191]
	v_pk_add_f32 v[88:89], v[88:89], v[192:193]
	s_delay_alu instid0(VALU_DEP_1) | instskip(SKIP_2) | instid1(VALU_DEP_3)
	v_pk_add_f32 v[80:81], v[88:89], v[80:81]
	v_pk_fma_f32 v[88:89], v[136:137], v[120:121], v[86:87] op_sel_hi:[1,0,1]
	v_pk_fma_f32 v[86:87], v[136:137], v[120:121], v[86:87] neg_lo:[0,0,1] neg_hi:[0,0,1]
	v_pk_add_f32 v[80:81], v[80:81], v[82:83]
	s_delay_alu instid0(VALU_DEP_3) | instskip(SKIP_2) | instid1(VALU_DEP_4)
	v_dual_mov_b32 v82, v127 :: v_dual_mov_b32 v87, v89
	v_pk_fma_f32 v[88:89], v[138:139], v[122:123], v[90:91] op_sel_hi:[1,0,1]
	v_pk_fma_f32 v[90:91], v[138:139], v[122:123], v[90:91] neg_lo:[0,0,1] neg_hi:[0,0,1]
	v_pk_add_f32 v[80:81], v[80:81], v[84:85]
	v_pk_fma_f32 v[84:85], v[140:141], v[124:125], v[92:93] op_sel_hi:[1,0,1]
	v_pk_mul_f32 v[82:83], v[188:189], v[82:83] op_sel_hi:[1,0]
	v_mov_b32_e32 v91, v89
	s_wait_loadcnt_dscnt 0x100
	v_pk_mul_f32 v[88:89], v[180:181], v[176:177] op_sel:[1,1] op_sel_hi:[0,1]
	v_pk_add_f32 v[80:81], v[80:81], v[86:87]
	v_pk_fma_f32 v[86:87], v[140:141], v[124:125], v[92:93] neg_lo:[0,0,1] neg_hi:[0,0,1]
	v_mov_b32_e32 v87, v85
	v_pk_fma_f32 v[84:85], v[142:143], v[126:127], v[82:83] op_sel_hi:[1,0,1]
	v_pk_fma_f32 v[82:83], v[142:143], v[126:127], v[82:83] neg_lo:[0,0,1] neg_hi:[0,0,1]
	v_pk_add_f32 v[80:81], v[80:81], v[90:91]
	s_delay_alu instid0(VALU_DEP_3) | instskip(SKIP_1) | instid1(VALU_DEP_3)
	v_mov_b32_e32 v83, v85
	v_pk_fma_f32 v[84:85], v[180:181], v[176:177], v[88:89] op_sel_hi:[1,0,1]
	v_pk_add_f32 v[80:81], v[80:81], v[86:87]
	v_pk_fma_f32 v[86:87], v[180:181], v[176:177], v[88:89] neg_lo:[0,0,1] neg_hi:[0,0,1]
	s_delay_alu instid0(VALU_DEP_3) | instskip(NEXT) | instid1(VALU_DEP_3)
	v_mov_b32_e32 v87, v85
	v_pk_add_f32 v[80:81], v[80:81], v[82:83]
	s_delay_alu instid0(VALU_DEP_1) | instskip(SKIP_1) | instid1(VALU_DEP_1)
	v_pk_add_f32 v[80:81], v[80:81], v[86:87]
	s_wait_loadcnt 0x0
	v_pk_add_f32 v[80:81], v[178:179], v[80:81] neg_lo:[0,1] neg_hi:[0,1]
	scratch_store_b64 off, v[80:81], off offset:104
	s_wait_xcnt 0x0
	v_cmpx_lt_u32_e32 12, v0
	s_cbranch_execz .LBB38_223
; %bb.222:
	scratch_load_b64 v[80:81], off, off offset:96
	v_mov_b64_e32 v[82:83], 0
	scratch_store_b64 off, v[82:83], off offset:96
	s_wait_loadcnt 0x0
	ds_store_b64 v1, v[80:81]
.LBB38_223:
	s_wait_xcnt 0x0
	s_or_b32 exec_lo, exec_lo, s0
	s_wait_storecnt_dscnt 0x0
	s_barrier_signal -1
	s_barrier_wait -1
	s_clause 0xd
	scratch_load_b128 v[80:83], off, off offset:104
	scratch_load_b128 v[84:87], off, off offset:120
	scratch_load_b128 v[88:91], off, off offset:136
	scratch_load_b128 v[92:95], off, off offset:152
	scratch_load_b128 v[96:99], off, off offset:168
	scratch_load_b128 v[100:103], off, off offset:184
	scratch_load_b128 v[104:107], off, off offset:200
	scratch_load_b128 v[108:111], off, off offset:216
	scratch_load_b128 v[112:115], off, off offset:232
	scratch_load_b128 v[116:119], off, off offset:248
	scratch_load_b128 v[120:123], off, off offset:264
	scratch_load_b128 v[124:127], off, off offset:280
	scratch_load_b128 v[128:131], off, off offset:296
	scratch_load_b64 v[184:185], off, off offset:96
	ds_load_2addr_b64 v[132:135], v5 offset0:71 offset1:72
	ds_load_2addr_b64 v[136:139], v5 offset0:73 offset1:74
	;; [unrolled: 1-line block ×13, first 2 shown]
	s_mov_b32 s0, exec_lo
	s_wait_dscnt 0xc
	v_dual_mov_b32 v186, v135 :: v_dual_mov_b32 v187, v134
	s_wait_dscnt 0xb
	v_dual_mov_b32 v188, v139 :: v_dual_mov_b32 v189, v138
	;; [unrolled: 2-line block ×4, first 2 shown]
	s_wait_loadcnt_dscnt 0xd08
	v_dual_mul_f32 v5, v148, v81 :: v_dual_mul_f32 v7, v150, v83
	v_dual_mul_f32 v39, v149, v81 :: v_dual_mul_f32 v41, v151, v83
	s_wait_loadcnt_dscnt 0xc07
	v_dual_mul_f32 v11, v152, v85 :: v_dual_mul_f32 v13, v154, v87
	s_delay_alu instid0(VALU_DEP_2) | instskip(SKIP_3) | instid1(VALU_DEP_3)
	v_dual_fmac_f32 v5, v149, v80 :: v_dual_fma_f32 v39, v148, v80, -v39
	v_dual_mul_f32 v43, v153, v85 :: v_dual_mul_f32 v45, v155, v87
	s_wait_loadcnt_dscnt 0xa05
	v_dual_mul_f32 v51, v161, v93 :: v_dual_fmac_f32 v7, v151, v82
	v_dual_fma_f32 v41, v150, v82, -v41 :: v_dual_add_f32 v5, 0, v5
	v_dual_add_f32 v39, 0, v39 :: v_dual_fmac_f32 v11, v153, v84
	v_dual_mul_f32 v53, v163, v95 :: v_dual_fma_f32 v43, v152, v84, -v43
	s_delay_alu instid0(VALU_DEP_2)
	v_dual_add_f32 v5, v5, v7 :: v_dual_add_f32 v7, v39, v41
	v_dual_mul_f32 v15, v156, v89 :: v_dual_mul_f32 v17, v158, v91
	v_dual_mul_f32 v47, v157, v89 :: v_dual_mul_f32 v49, v159, v91
	s_wait_loadcnt_dscnt 0x903
	v_dual_mul_f32 v39, v169, v97 :: v_dual_fmac_f32 v13, v155, v86
	v_dual_fma_f32 v41, v154, v86, -v45 :: v_dual_add_f32 v5, v5, v11
	v_dual_add_f32 v7, v7, v43 :: v_dual_fmac_f32 v15, v157, v88
	v_dual_mul_f32 v11, v171, v99 :: v_dual_fma_f32 v43, v156, v88, -v47
	s_delay_alu instid0(VALU_DEP_3) | instskip(NEXT) | instid1(VALU_DEP_3)
	v_dual_add_f32 v5, v5, v13 :: v_dual_fmac_f32 v17, v159, v90
	v_dual_add_f32 v7, v7, v41 :: v_dual_fma_f32 v41, v158, v90, -v49
	v_dual_mul_f32 v19, v160, v93 :: v_dual_mul_f32 v21, v162, v95
	s_wait_loadcnt_dscnt 0x802
	s_delay_alu instid0(VALU_DEP_2) | instskip(SKIP_1) | instid1(VALU_DEP_3)
	v_dual_mul_f32 v13, v173, v101 :: v_dual_add_f32 v7, v7, v43
	v_dual_add_f32 v5, v5, v15 :: v_dual_fma_f32 v43, v160, v92, -v51
	v_dual_mul_f32 v15, v175, v103 :: v_dual_fmac_f32 v19, v161, v92
	s_delay_alu instid0(VALU_DEP_3) | instskip(NEXT) | instid1(VALU_DEP_3)
	v_dual_add_f32 v7, v7, v41 :: v_dual_fma_f32 v41, v162, v94, -v53
	v_dual_add_f32 v5, v5, v17 :: v_dual_fmac_f32 v21, v163, v94
	v_dual_mul_f32 v23, v168, v97 :: v_dual_mul_f32 v25, v170, v99
	s_wait_loadcnt_dscnt 0x701
	s_delay_alu instid0(VALU_DEP_3) | instskip(NEXT) | instid1(VALU_DEP_3)
	v_dual_mul_f32 v17, v177, v105 :: v_dual_add_f32 v7, v7, v43
	v_dual_add_f32 v5, v5, v19 :: v_dual_fma_f32 v39, v168, v96, -v39
	s_delay_alu instid0(VALU_DEP_3) | instskip(NEXT) | instid1(VALU_DEP_3)
	v_dual_mul_f32 v19, v179, v107 :: v_dual_fmac_f32 v23, v169, v96
	v_dual_add_f32 v7, v7, v41 :: v_dual_fma_f32 v11, v170, v98, -v11
	s_delay_alu instid0(VALU_DEP_3) | instskip(SKIP_2) | instid1(VALU_DEP_3)
	v_dual_add_f32 v5, v5, v21 :: v_dual_fmac_f32 v25, v171, v98
	v_dual_mul_f32 v27, v172, v101 :: v_dual_mul_f32 v29, v174, v103
	s_wait_loadcnt_dscnt 0x600
	v_dual_mul_f32 v21, v181, v109 :: v_dual_add_f32 v7, v7, v39
	s_delay_alu instid0(VALU_DEP_3) | instskip(NEXT) | instid1(VALU_DEP_3)
	v_dual_add_f32 v5, v5, v23 :: v_dual_fma_f32 v13, v172, v100, -v13
	v_dual_mul_f32 v23, v183, v111 :: v_dual_fmac_f32 v27, v173, v100
	s_delay_alu instid0(VALU_DEP_2) | instskip(SKIP_3) | instid1(VALU_DEP_3)
	v_dual_add_f32 v7, v7, v11 :: v_dual_add_f32 v5, v5, v25
	v_dual_mul_f32 v31, v176, v105 :: v_dual_mul_f32 v33, v178, v107
	s_wait_loadcnt 0x5
	v_dual_mul_f32 v11, v165, v113 :: v_dual_fmac_f32 v29, v175, v102
	v_dual_fma_f32 v15, v174, v102, -v15 :: v_dual_add_f32 v5, v5, v27
	s_delay_alu instid0(VALU_DEP_3) | instskip(SKIP_1) | instid1(VALU_DEP_2)
	v_dual_add_f32 v7, v7, v13 :: v_dual_fmac_f32 v31, v177, v104
	v_dual_mul_f32 v13, v167, v115 :: v_dual_fma_f32 v17, v176, v104, -v17
	v_dual_add_f32 v5, v5, v29 :: v_dual_add_f32 v7, v7, v15
	v_dual_mul_f32 v35, v180, v109 :: v_dual_mul_f32 v37, v182, v111
	v_dual_fmac_f32 v33, v179, v106 :: v_dual_fma_f32 v15, v178, v106, -v19
	s_delay_alu instid0(VALU_DEP_3) | instskip(SKIP_1) | instid1(VALU_DEP_3)
	v_dual_add_f32 v5, v5, v31 :: v_dual_add_f32 v7, v7, v17
	s_wait_loadcnt 0x4
	v_dual_mov_b32 v82, v119 :: v_dual_fmac_f32 v35, v181, v108
	s_delay_alu instid0(VALU_DEP_2) | instskip(NEXT) | instid1(VALU_DEP_3)
	v_dual_fma_f32 v17, v180, v108, -v21 :: v_dual_add_f32 v5, v5, v33
	v_dual_add_f32 v7, v7, v15 :: v_dual_fma_f32 v15, v182, v110, -v23
	v_dual_mul_f32 v195, v164, v113 :: v_dual_mul_f32 v197, v166, v115
	s_delay_alu instid0(VALU_DEP_3) | instskip(NEXT) | instid1(VALU_DEP_2)
	v_dual_fmac_f32 v37, v183, v110 :: v_dual_add_f32 v5, v5, v35
	v_dual_add_f32 v7, v7, v17 :: v_dual_fmac_f32 v195, v165, v112
	v_pk_mul_f32 v[80:81], v[132:133], v[116:117] op_sel:[1,1] op_sel_hi:[0,1]
	s_wait_loadcnt 0x3
	v_dual_mov_b32 v86, v123 :: v_dual_fma_f32 v194, v164, v112, -v11
	s_delay_alu instid0(VALU_DEP_3)
	v_dual_add_f32 v89, v5, v37 :: v_dual_add_f32 v88, v7, v15
	v_fmac_f32_e32 v197, v167, v114
	v_pk_fma_f32 v[90:91], v[132:133], v[116:117], v[80:81] op_sel_hi:[1,0,1]
	v_fma_f32 v196, v166, v114, -v13
	v_pk_mul_f32 v[82:83], v[186:187], v[82:83] op_sel_hi:[1,0]
	v_pk_add_f32 v[88:89], v[88:89], v[194:195]
	v_pk_fma_f32 v[80:81], v[132:133], v[116:117], v[80:81] neg_lo:[0,0,1] neg_hi:[0,0,1]
	v_pk_mul_f32 v[84:85], v[136:137], v[120:121] op_sel:[1,1] op_sel_hi:[0,1]
	v_mov_b32_e32 v81, v91
	v_pk_fma_f32 v[90:91], v[134:135], v[118:119], v[82:83] op_sel_hi:[1,0,1]
	v_pk_add_f32 v[88:89], v[88:89], v[196:197]
	v_pk_fma_f32 v[82:83], v[134:135], v[118:119], v[82:83] neg_lo:[0,0,1] neg_hi:[0,0,1]
	v_pk_fma_f32 v[94:95], v[136:137], v[120:121], v[84:85] op_sel_hi:[1,0,1]
	v_pk_mul_f32 v[86:87], v[188:189], v[86:87] op_sel_hi:[1,0]
	v_mov_b32_e32 v83, v91
	v_pk_add_f32 v[80:81], v[88:89], v[80:81]
	s_wait_loadcnt 0x2
	v_pk_mul_f32 v[92:93], v[140:141], v[124:125] op_sel:[1,1] op_sel_hi:[0,1]
	v_mov_b32_e32 v88, v127
	v_pk_fma_f32 v[84:85], v[136:137], v[120:121], v[84:85] neg_lo:[0,0,1] neg_hi:[0,0,1]
	v_pk_fma_f32 v[90:91], v[138:139], v[122:123], v[86:87] op_sel_hi:[1,0,1]
	v_mov_b32_e32 v85, v95
	v_pk_add_f32 v[80:81], v[80:81], v[82:83]
	v_pk_fma_f32 v[82:83], v[140:141], v[124:125], v[92:93] op_sel_hi:[1,0,1]
	v_pk_mul_f32 v[88:89], v[190:191], v[88:89] op_sel_hi:[1,0]
	v_pk_fma_f32 v[86:87], v[138:139], v[122:123], v[86:87] neg_lo:[0,0,1] neg_hi:[0,0,1]
	v_mov_b32_e32 v87, v91
	v_pk_add_f32 v[80:81], v[80:81], v[84:85]
	v_pk_fma_f32 v[90:91], v[140:141], v[124:125], v[92:93] neg_lo:[0,0,1] neg_hi:[0,0,1]
	v_mov_b32_e32 v91, v83
	v_pk_fma_f32 v[82:83], v[142:143], v[126:127], v[88:89] op_sel_hi:[1,0,1]
	s_wait_loadcnt 0x1
	v_pk_mul_f32 v[84:85], v[144:145], v[128:129] op_sel:[1,1] op_sel_hi:[0,1]
	v_pk_add_f32 v[80:81], v[80:81], v[86:87]
	v_mov_b32_e32 v82, v131
	v_pk_fma_f32 v[88:89], v[142:143], v[126:127], v[88:89] neg_lo:[0,0,1] neg_hi:[0,0,1]
	s_delay_alu instid0(VALU_DEP_4)
	v_pk_fma_f32 v[86:87], v[144:145], v[128:129], v[84:85] op_sel_hi:[1,0,1]
	v_mov_b32_e32 v89, v83
	v_pk_add_f32 v[80:81], v[80:81], v[90:91]
	v_pk_mul_f32 v[82:83], v[192:193], v[82:83] op_sel_hi:[1,0]
	v_pk_fma_f32 v[84:85], v[144:145], v[128:129], v[84:85] neg_lo:[0,0,1] neg_hi:[0,0,1]
	v_mov_b32_e32 v85, v87
	s_delay_alu instid0(VALU_DEP_4) | instskip(NEXT) | instid1(VALU_DEP_4)
	v_pk_add_f32 v[80:81], v[80:81], v[88:89]
	v_pk_fma_f32 v[86:87], v[146:147], v[130:131], v[82:83] op_sel_hi:[1,0,1]
	v_pk_fma_f32 v[82:83], v[146:147], v[130:131], v[82:83] neg_lo:[0,0,1] neg_hi:[0,0,1]
	s_delay_alu instid0(VALU_DEP_3) | instskip(NEXT) | instid1(VALU_DEP_3)
	v_pk_add_f32 v[80:81], v[80:81], v[84:85]
	v_mov_b32_e32 v83, v87
	s_delay_alu instid0(VALU_DEP_1) | instskip(SKIP_1) | instid1(VALU_DEP_1)
	v_pk_add_f32 v[80:81], v[80:81], v[82:83]
	s_wait_loadcnt 0x0
	v_pk_add_f32 v[80:81], v[184:185], v[80:81] neg_lo:[0,1] neg_hi:[0,1]
	scratch_store_b64 off, v[80:81], off offset:96
	s_wait_xcnt 0x0
	v_cmpx_lt_u32_e32 11, v0
	s_cbranch_execz .LBB38_225
; %bb.224:
	scratch_load_b64 v[80:81], off, off offset:88
	v_mov_b64_e32 v[82:83], 0
	scratch_store_b64 off, v[82:83], off offset:88
	s_wait_loadcnt 0x0
	ds_store_b64 v1, v[80:81]
.LBB38_225:
	s_wait_xcnt 0x0
	s_or_b32 exec_lo, exec_lo, s0
	s_wait_storecnt_dscnt 0x0
	s_barrier_signal -1
	s_barrier_wait -1
	s_clause 0xe
	scratch_load_b128 v[80:83], off, off offset:96
	scratch_load_b128 v[84:87], off, off offset:112
	;; [unrolled: 1-line block ×13, first 2 shown]
	scratch_load_b64 v[184:185], off, off offset:304
	scratch_load_b64 v[186:187], off, off offset:88
	v_mov_b32_e32 v5, 0
	ds_load_b128 v[132:135], v5 offset:560
	ds_load_b128 v[136:139], v5 offset:576
	;; [unrolled: 1-line block ×13, first 2 shown]
	ds_load_b64 v[188:189], v5 offset:624
	s_mov_b32 s0, exec_lo
	s_wait_dscnt 0xd
	v_dual_mov_b32 v190, v135 :: v_dual_mov_b32 v191, v134
	s_wait_dscnt 0xa
	v_dual_mov_b32 v192, v139 :: v_dual_mov_b32 v197, v146
	v_dual_mov_b32 v193, v138 :: v_dual_mov_b32 v194, v143
	v_dual_mov_b32 v195, v142 :: v_dual_mov_b32 v196, v147
	s_wait_loadcnt_dscnt 0xe09
	v_dual_mul_f32 v7, v148, v81 :: v_dual_mul_f32 v43, v149, v81
	v_dual_mul_f32 v45, v151, v83 :: v_dual_mul_f32 v11, v150, v83
	s_wait_loadcnt_dscnt 0xd08
	v_mul_f32_e32 v13, v152, v85
	s_wait_loadcnt_dscnt 0xb05
	v_dual_mul_f32 v55, v165, v93 :: v_dual_fma_f32 v43, v148, v80, -v43
	v_dual_fmac_f32 v7, v149, v80 :: v_dual_mul_f32 v57, v167, v95
	v_dual_mul_f32 v47, v153, v85 :: v_dual_mul_f32 v49, v155, v87
	v_dual_fmac_f32 v11, v151, v82 :: v_dual_fma_f32 v45, v150, v82, -v45
	s_wait_loadcnt_dscnt 0xa04
	s_delay_alu instid0(VALU_DEP_3) | instskip(SKIP_1) | instid1(VALU_DEP_2)
	v_dual_add_f32 v7, 0, v7 :: v_dual_mul_f32 v59, v169, v97
	v_dual_add_f32 v43, 0, v43 :: v_dual_fmac_f32 v13, v153, v84
	v_dual_fma_f32 v47, v152, v84, -v47 :: v_dual_add_f32 v7, v7, v11
	v_dual_mul_f32 v51, v157, v89 :: v_dual_mul_f32 v53, v159, v91
	s_delay_alu instid0(VALU_DEP_3) | instskip(SKIP_2) | instid1(VALU_DEP_3)
	v_dual_add_f32 v11, v43, v45 :: v_dual_fma_f32 v45, v154, v86, -v49
	v_dual_mul_f32 v15, v154, v87 :: v_dual_mul_f32 v17, v156, v89
	v_dual_mul_f32 v19, v158, v91 :: v_dual_mul_f32 v21, v164, v93
	v_add_f32_e32 v11, v11, v47
	v_dual_add_f32 v7, v7, v13 :: v_dual_fma_f32 v47, v156, v88, -v51
	v_dual_mul_f32 v23, v166, v95 :: v_dual_mul_f32 v25, v168, v97
	s_delay_alu instid0(VALU_DEP_3) | instskip(SKIP_1) | instid1(VALU_DEP_2)
	v_dual_add_f32 v11, v11, v45 :: v_dual_fmac_f32 v21, v165, v92
	v_dual_fmac_f32 v15, v155, v86 :: v_dual_fmac_f32 v17, v157, v88
	v_dual_fma_f32 v45, v158, v90, -v53 :: v_dual_add_f32 v11, v11, v47
	s_delay_alu instid0(VALU_DEP_4) | instskip(SKIP_1) | instid1(VALU_DEP_3)
	v_dual_fmac_f32 v25, v169, v96 :: v_dual_mul_f32 v43, v171, v99
	s_wait_loadcnt_dscnt 0x903
	v_dual_mul_f32 v13, v173, v101 :: v_dual_add_f32 v7, v7, v15
	v_dual_mul_f32 v15, v175, v103 :: v_dual_fma_f32 v47, v164, v92, -v55
	s_delay_alu instid0(VALU_DEP_3) | instskip(SKIP_1) | instid1(VALU_DEP_4)
	v_dual_add_f32 v11, v11, v45 :: v_dual_fma_f32 v43, v170, v98, -v43
	v_fmac_f32_e32 v19, v159, v90
	v_dual_add_f32 v7, v7, v17 :: v_dual_fma_f32 v45, v166, v94, -v57
	s_delay_alu instid0(VALU_DEP_3) | instskip(SKIP_2) | instid1(VALU_DEP_3)
	v_dual_add_f32 v11, v11, v47 :: v_dual_fma_f32 v15, v174, v102, -v15
	s_wait_loadcnt_dscnt 0x802
	v_dual_mul_f32 v31, v174, v103 :: v_dual_mul_f32 v33, v176, v105
	v_dual_add_f32 v7, v7, v19 :: v_dual_fma_f32 v47, v168, v96, -v59
	s_delay_alu instid0(VALU_DEP_3) | instskip(SKIP_1) | instid1(VALU_DEP_3)
	v_dual_add_f32 v11, v11, v45 :: v_dual_mul_f32 v27, v170, v99
	v_mul_f32_e32 v29, v172, v101
	v_dual_add_f32 v7, v7, v21 :: v_dual_fma_f32 v13, v172, v100, -v13
	s_wait_loadcnt_dscnt 0x701
	v_mul_f32_e32 v21, v181, v109
	v_dual_fmac_f32 v33, v177, v104 :: v_dual_add_f32 v11, v11, v47
	s_wait_loadcnt 0x6
	v_dual_mul_f32 v39, v182, v111 :: v_dual_mul_f32 v41, v160, v113
	v_dual_fmac_f32 v23, v167, v94 :: v_dual_fmac_f32 v29, v173, v100
	s_delay_alu instid0(VALU_DEP_3) | instskip(NEXT) | instid1(VALU_DEP_2)
	v_dual_add_f32 v11, v11, v43 :: v_dual_mul_f32 v17, v177, v105
	v_dual_fmac_f32 v41, v161, v112 :: v_dual_add_f32 v7, v7, v23
	v_mul_f32_e32 v19, v179, v107
	s_delay_alu instid0(VALU_DEP_3) | instskip(SKIP_4) | instid1(VALU_DEP_3)
	v_add_f32_e32 v11, v11, v13
	s_wait_loadcnt 0x5
	v_dual_mul_f32 v13, v133, v117 :: v_dual_mul_f32 v23, v183, v111
	v_dual_fma_f32 v17, v176, v104, -v17 :: v_dual_mul_f32 v35, v178, v107
	v_mul_f32_e32 v37, v180, v109
	v_dual_fma_f32 v200, v132, v116, -v13 :: v_dual_add_f32 v11, v11, v15
	v_fmac_f32_e32 v27, v171, v98
	v_add_f32_e32 v7, v7, v25
	v_dual_mul_f32 v25, v161, v113 :: v_dual_fma_f32 v15, v178, v106, -v19
	s_delay_alu instid0(VALU_DEP_4) | instskip(SKIP_3) | instid1(VALU_DEP_3)
	v_add_f32_e32 v11, v11, v17
	s_wait_loadcnt 0x4
	v_dual_mov_b32 v80, v119 :: v_dual_mov_b32 v84, v123
	v_dual_fmac_f32 v37, v181, v108 :: v_dual_add_f32 v7, v7, v27
	v_dual_fma_f32 v17, v180, v108, -v21 :: v_dual_add_f32 v11, v11, v15
	v_dual_mul_f32 v199, v162, v115 :: v_dual_mul_f32 v201, v132, v117
	v_mul_f32_e32 v27, v163, v115
	v_fmac_f32_e32 v31, v175, v102
	s_delay_alu instid0(VALU_DEP_4) | instskip(SKIP_1) | instid1(VALU_DEP_4)
	v_dual_fma_f32 v15, v182, v110, -v23 :: v_dual_add_f32 v11, v11, v17
	v_dual_fma_f32 v17, v160, v112, -v25 :: v_dual_add_f32 v7, v7, v29
	v_fma_f32 v198, v162, v114, -v27
	v_pk_mul_f32 v[80:81], v[190:191], v[80:81] op_sel_hi:[1,0]
	v_dual_fmac_f32 v201, v133, v116 :: v_dual_fmac_f32 v35, v179, v106
	v_fmac_f32_e32 v39, v183, v110
	v_add_f32_e32 v11, v11, v15
	s_delay_alu instid0(VALU_DEP_4) | instskip(SKIP_3) | instid1(VALU_DEP_4)
	v_pk_fma_f32 v[92:93], v[134:135], v[118:119], v[80:81] op_sel_hi:[1,0,1]
	v_add_f32_e32 v7, v7, v31
	v_pk_fma_f32 v[80:81], v[134:135], v[118:119], v[80:81] neg_lo:[0,0,1] neg_hi:[0,0,1]
	v_fmac_f32_e32 v199, v163, v114
	v_dual_add_f32 v88, v11, v17 :: v_dual_mov_b32 v81, v93
	s_delay_alu instid0(VALU_DEP_4)
	v_add_f32_e32 v7, v7, v33
	v_pk_mul_f32 v[82:83], v[136:137], v[120:121] op_sel:[1,1] op_sel_hi:[0,1]
	v_pk_mul_f32 v[84:85], v[192:193], v[84:85] op_sel_hi:[1,0]
	s_wait_loadcnt 0x3
	v_pk_mul_f32 v[86:87], v[140:141], v[124:125] op_sel:[1,1] op_sel_hi:[0,1]
	s_wait_loadcnt 0x2
	v_pk_mul_f32 v[92:93], v[144:145], v[128:129] op_sel:[1,1] op_sel_hi:[0,1]
	v_add_f32_e32 v7, v7, v35
	v_pk_fma_f32 v[94:95], v[136:137], v[120:121], v[82:83] op_sel_hi:[1,0,1]
	v_pk_fma_f32 v[82:83], v[136:137], v[120:121], v[82:83] neg_lo:[0,0,1] neg_hi:[0,0,1]
	v_mov_b32_e32 v90, v127
	s_delay_alu instid0(VALU_DEP_4) | instskip(NEXT) | instid1(VALU_DEP_4)
	v_add_f32_e32 v7, v7, v37
	v_mov_b32_e32 v83, v95
	v_pk_fma_f32 v[94:95], v[138:139], v[122:123], v[84:85] op_sel_hi:[1,0,1]
	v_pk_fma_f32 v[84:85], v[138:139], v[122:123], v[84:85] neg_lo:[0,0,1] neg_hi:[0,0,1]
	v_pk_mul_f32 v[90:91], v[194:195], v[90:91] op_sel_hi:[1,0]
	v_add_f32_e32 v7, v7, v39
	s_delay_alu instid0(VALU_DEP_4) | instskip(NEXT) | instid1(VALU_DEP_2)
	v_mov_b32_e32 v85, v95
	v_add_f32_e32 v89, v7, v41
	s_delay_alu instid0(VALU_DEP_1) | instskip(NEXT) | instid1(VALU_DEP_1)
	v_pk_add_f32 v[88:89], v[88:89], v[198:199]
	v_pk_add_f32 v[88:89], v[88:89], v[200:201]
	s_delay_alu instid0(VALU_DEP_1) | instskip(SKIP_2) | instid1(VALU_DEP_3)
	v_pk_add_f32 v[80:81], v[88:89], v[80:81]
	v_pk_fma_f32 v[88:89], v[140:141], v[124:125], v[86:87] op_sel_hi:[1,0,1]
	v_pk_fma_f32 v[86:87], v[140:141], v[124:125], v[86:87] neg_lo:[0,0,1] neg_hi:[0,0,1]
	v_pk_add_f32 v[80:81], v[80:81], v[82:83]
	s_delay_alu instid0(VALU_DEP_3) | instskip(SKIP_2) | instid1(VALU_DEP_4)
	v_dual_mov_b32 v82, v131 :: v_dual_mov_b32 v87, v89
	v_pk_fma_f32 v[88:89], v[142:143], v[126:127], v[90:91] op_sel_hi:[1,0,1]
	v_pk_fma_f32 v[90:91], v[142:143], v[126:127], v[90:91] neg_lo:[0,0,1] neg_hi:[0,0,1]
	v_pk_add_f32 v[80:81], v[80:81], v[84:85]
	v_pk_fma_f32 v[84:85], v[144:145], v[128:129], v[92:93] op_sel_hi:[1,0,1]
	v_pk_mul_f32 v[82:83], v[196:197], v[82:83] op_sel_hi:[1,0]
	v_mov_b32_e32 v91, v89
	s_wait_loadcnt_dscnt 0x100
	v_pk_mul_f32 v[88:89], v[188:189], v[184:185] op_sel:[1,1] op_sel_hi:[0,1]
	v_pk_add_f32 v[80:81], v[80:81], v[86:87]
	v_pk_fma_f32 v[86:87], v[144:145], v[128:129], v[92:93] neg_lo:[0,0,1] neg_hi:[0,0,1]
	v_mov_b32_e32 v87, v85
	v_pk_fma_f32 v[84:85], v[146:147], v[130:131], v[82:83] op_sel_hi:[1,0,1]
	v_pk_fma_f32 v[82:83], v[146:147], v[130:131], v[82:83] neg_lo:[0,0,1] neg_hi:[0,0,1]
	v_pk_add_f32 v[80:81], v[80:81], v[90:91]
	s_delay_alu instid0(VALU_DEP_3) | instskip(SKIP_1) | instid1(VALU_DEP_3)
	v_mov_b32_e32 v83, v85
	v_pk_fma_f32 v[84:85], v[188:189], v[184:185], v[88:89] op_sel_hi:[1,0,1]
	v_pk_add_f32 v[80:81], v[80:81], v[86:87]
	v_pk_fma_f32 v[86:87], v[188:189], v[184:185], v[88:89] neg_lo:[0,0,1] neg_hi:[0,0,1]
	s_delay_alu instid0(VALU_DEP_3) | instskip(NEXT) | instid1(VALU_DEP_3)
	v_mov_b32_e32 v87, v85
	v_pk_add_f32 v[80:81], v[80:81], v[82:83]
	s_delay_alu instid0(VALU_DEP_1) | instskip(SKIP_1) | instid1(VALU_DEP_1)
	v_pk_add_f32 v[80:81], v[80:81], v[86:87]
	s_wait_loadcnt 0x0
	v_pk_add_f32 v[80:81], v[186:187], v[80:81] neg_lo:[0,1] neg_hi:[0,1]
	scratch_store_b64 off, v[80:81], off offset:88
	s_wait_xcnt 0x0
	v_cmpx_lt_u32_e32 10, v0
	s_cbranch_execz .LBB38_227
; %bb.226:
	scratch_load_b64 v[80:81], off, off offset:80
	v_mov_b64_e32 v[82:83], 0
	scratch_store_b64 off, v[82:83], off offset:80
	s_wait_loadcnt 0x0
	ds_store_b64 v1, v[80:81]
.LBB38_227:
	s_wait_xcnt 0x0
	s_or_b32 exec_lo, exec_lo, s0
	s_wait_storecnt_dscnt 0x0
	s_barrier_signal -1
	s_barrier_wait -1
	s_clause 0xe
	scratch_load_b128 v[80:83], off, off offset:88
	scratch_load_b128 v[84:87], off, off offset:104
	;; [unrolled: 1-line block ×14, first 2 shown]
	scratch_load_b64 v[192:193], off, off offset:80
	ds_load_2addr_b64 v[136:139], v5 offset0:71 offset1:72
	ds_load_2addr_b64 v[140:143], v5 offset0:73 offset1:74
	;; [unrolled: 1-line block ×14, first 2 shown]
	s_mov_b32 s0, exec_lo
	s_wait_dscnt 0xd
	v_dual_mov_b32 v194, v139 :: v_dual_mov_b32 v195, v138
	s_wait_dscnt 0xc
	v_dual_mov_b32 v196, v143 :: v_dual_mov_b32 v197, v142
	;; [unrolled: 2-line block ×4, first 2 shown]
	s_wait_loadcnt_dscnt 0xe09
	v_dual_mul_f32 v5, v152, v81 :: v_dual_mul_f32 v7, v154, v83
	v_dual_mul_f32 v43, v153, v81 :: v_dual_mul_f32 v45, v155, v83
	s_wait_loadcnt_dscnt 0xd08
	v_dual_mul_f32 v11, v156, v85 :: v_dual_mul_f32 v13, v158, v87
	s_delay_alu instid0(VALU_DEP_2) | instskip(SKIP_3) | instid1(VALU_DEP_3)
	v_dual_fmac_f32 v5, v153, v80 :: v_dual_fma_f32 v43, v152, v80, -v43
	v_dual_mul_f32 v47, v157, v85 :: v_dual_mul_f32 v49, v159, v87
	s_wait_loadcnt_dscnt 0xb06
	v_dual_mul_f32 v55, v165, v93 :: v_dual_fmac_f32 v7, v155, v82
	v_dual_fma_f32 v45, v154, v82, -v45 :: v_dual_add_f32 v5, 0, v5
	v_dual_add_f32 v43, 0, v43 :: v_dual_fmac_f32 v11, v157, v84
	v_dual_mul_f32 v57, v167, v95 :: v_dual_fma_f32 v47, v156, v84, -v47
	s_delay_alu instid0(VALU_DEP_2)
	v_dual_add_f32 v5, v5, v7 :: v_dual_add_f32 v7, v43, v45
	v_dual_mul_f32 v15, v160, v89 :: v_dual_mul_f32 v17, v162, v91
	v_dual_mul_f32 v51, v161, v89 :: v_dual_mul_f32 v53, v163, v91
	s_wait_loadcnt_dscnt 0xa05
	v_dual_mul_f32 v43, v169, v97 :: v_dual_fmac_f32 v13, v159, v86
	v_dual_fma_f32 v45, v158, v86, -v49 :: v_dual_add_f32 v5, v5, v11
	v_dual_add_f32 v7, v7, v47 :: v_dual_fmac_f32 v15, v161, v88
	v_dual_mul_f32 v11, v171, v99 :: v_dual_fma_f32 v47, v160, v88, -v51
	s_delay_alu instid0(VALU_DEP_3) | instskip(NEXT) | instid1(VALU_DEP_3)
	v_dual_add_f32 v5, v5, v13 :: v_dual_fmac_f32 v17, v163, v90
	v_dual_add_f32 v7, v7, v45 :: v_dual_fma_f32 v45, v162, v90, -v53
	v_dual_mul_f32 v19, v164, v93 :: v_dual_mul_f32 v21, v166, v95
	s_wait_loadcnt_dscnt 0x904
	s_delay_alu instid0(VALU_DEP_2) | instskip(SKIP_1) | instid1(VALU_DEP_3)
	v_dual_mul_f32 v13, v173, v101 :: v_dual_add_f32 v7, v7, v47
	v_dual_add_f32 v5, v5, v15 :: v_dual_fma_f32 v47, v164, v92, -v55
	v_dual_mul_f32 v15, v175, v103 :: v_dual_fmac_f32 v19, v165, v92
	s_delay_alu instid0(VALU_DEP_3) | instskip(NEXT) | instid1(VALU_DEP_3)
	v_dual_add_f32 v7, v7, v45 :: v_dual_fma_f32 v45, v166, v94, -v57
	v_dual_add_f32 v5, v5, v17 :: v_dual_fmac_f32 v21, v167, v94
	v_dual_mul_f32 v23, v168, v97 :: v_dual_mul_f32 v25, v170, v99
	s_wait_loadcnt_dscnt 0x803
	s_delay_alu instid0(VALU_DEP_3) | instskip(NEXT) | instid1(VALU_DEP_3)
	v_dual_mul_f32 v17, v177, v105 :: v_dual_add_f32 v7, v7, v47
	v_dual_add_f32 v5, v5, v19 :: v_dual_fma_f32 v43, v168, v96, -v43
	s_delay_alu instid0(VALU_DEP_3) | instskip(NEXT) | instid1(VALU_DEP_3)
	v_dual_mul_f32 v19, v179, v107 :: v_dual_fmac_f32 v23, v169, v96
	v_dual_add_f32 v7, v7, v45 :: v_dual_fma_f32 v11, v170, v98, -v11
	s_delay_alu instid0(VALU_DEP_3) | instskip(SKIP_2) | instid1(VALU_DEP_3)
	v_dual_add_f32 v5, v5, v21 :: v_dual_fmac_f32 v25, v171, v98
	v_dual_mul_f32 v27, v172, v101 :: v_dual_mul_f32 v29, v174, v103
	s_wait_loadcnt_dscnt 0x702
	v_dual_mul_f32 v21, v181, v109 :: v_dual_add_f32 v7, v7, v43
	s_delay_alu instid0(VALU_DEP_3) | instskip(NEXT) | instid1(VALU_DEP_3)
	v_dual_add_f32 v5, v5, v23 :: v_dual_fma_f32 v13, v172, v100, -v13
	v_dual_mul_f32 v23, v183, v111 :: v_dual_fmac_f32 v27, v173, v100
	s_delay_alu instid0(VALU_DEP_2) | instskip(SKIP_3) | instid1(VALU_DEP_3)
	v_dual_add_f32 v7, v7, v11 :: v_dual_add_f32 v5, v5, v25
	v_dual_mul_f32 v31, v176, v105 :: v_dual_mul_f32 v33, v178, v107
	s_wait_loadcnt_dscnt 0x601
	v_dual_mul_f32 v11, v185, v113 :: v_dual_fmac_f32 v29, v175, v102
	v_dual_fma_f32 v15, v174, v102, -v15 :: v_dual_add_f32 v5, v5, v27
	s_delay_alu instid0(VALU_DEP_3) | instskip(SKIP_1) | instid1(VALU_DEP_2)
	v_dual_add_f32 v7, v7, v13 :: v_dual_fmac_f32 v31, v177, v104
	v_dual_mul_f32 v13, v187, v115 :: v_dual_fma_f32 v17, v176, v104, -v17
	v_dual_add_f32 v5, v5, v29 :: v_dual_add_f32 v7, v7, v15
	v_dual_mul_f32 v35, v180, v109 :: v_dual_mul_f32 v37, v182, v111
	s_wait_loadcnt_dscnt 0x500
	v_dual_mul_f32 v15, v189, v117 :: v_dual_fmac_f32 v33, v179, v106
	s_delay_alu instid0(VALU_DEP_3) | instskip(NEXT) | instid1(VALU_DEP_3)
	v_dual_fma_f32 v19, v178, v106, -v19 :: v_dual_add_f32 v5, v5, v31
	v_dual_add_f32 v7, v7, v17 :: v_dual_fmac_f32 v35, v181, v108
	v_dual_mul_f32 v17, v191, v119 :: v_dual_fma_f32 v21, v180, v108, -v21
	s_delay_alu instid0(VALU_DEP_2) | instskip(SKIP_2) | instid1(VALU_DEP_3)
	v_dual_add_f32 v5, v5, v33 :: v_dual_add_f32 v7, v7, v19
	v_dual_mul_f32 v39, v184, v113 :: v_dual_mul_f32 v41, v186, v115
	v_dual_fmac_f32 v37, v183, v110 :: v_dual_fma_f32 v19, v182, v110, -v23
	v_dual_add_f32 v5, v5, v35 :: v_dual_add_f32 v7, v7, v21
	s_wait_loadcnt 0x4
	s_delay_alu instid0(VALU_DEP_3) | instskip(NEXT) | instid1(VALU_DEP_2)
	v_dual_mov_b32 v82, v123 :: v_dual_fmac_f32 v39, v185, v112
	v_dual_fma_f32 v11, v184, v112, -v11 :: v_dual_add_f32 v5, v5, v37
	s_delay_alu instid0(VALU_DEP_3) | instskip(SKIP_1) | instid1(VALU_DEP_3)
	v_dual_add_f32 v7, v7, v19 :: v_dual_fma_f32 v13, v186, v114, -v13
	v_dual_mul_f32 v203, v188, v117 :: v_dual_mul_f32 v205, v190, v119
	v_dual_fmac_f32 v41, v187, v114 :: v_dual_add_f32 v5, v5, v39
	s_delay_alu instid0(VALU_DEP_2)
	v_dual_add_f32 v7, v7, v11 :: v_dual_fmac_f32 v203, v189, v116
	v_pk_mul_f32 v[80:81], v[136:137], v[120:121] op_sel:[1,1] op_sel_hi:[0,1]
	s_wait_loadcnt 0x3
	v_dual_mov_b32 v86, v127 :: v_dual_fma_f32 v202, v188, v116, -v15
	v_dual_add_f32 v89, v5, v41 :: v_dual_fmac_f32 v205, v191, v118
	v_dual_add_f32 v88, v7, v13 :: v_dual_fma_f32 v204, v190, v118, -v17
	v_pk_fma_f32 v[90:91], v[136:137], v[120:121], v[80:81] op_sel_hi:[1,0,1]
	v_pk_mul_f32 v[82:83], v[194:195], v[82:83] op_sel_hi:[1,0]
	v_pk_fma_f32 v[80:81], v[136:137], v[120:121], v[80:81] neg_lo:[0,0,1] neg_hi:[0,0,1]
	s_delay_alu instid0(VALU_DEP_4)
	v_pk_add_f32 v[88:89], v[88:89], v[202:203]
	v_pk_mul_f32 v[84:85], v[140:141], v[124:125] op_sel:[1,1] op_sel_hi:[0,1]
	v_mov_b32_e32 v81, v91
	v_pk_fma_f32 v[90:91], v[138:139], v[122:123], v[82:83] op_sel_hi:[1,0,1]
	v_pk_fma_f32 v[82:83], v[138:139], v[122:123], v[82:83] neg_lo:[0,0,1] neg_hi:[0,0,1]
	v_pk_add_f32 v[88:89], v[88:89], v[204:205]
	v_pk_fma_f32 v[94:95], v[140:141], v[124:125], v[84:85] op_sel_hi:[1,0,1]
	v_pk_mul_f32 v[86:87], v[196:197], v[86:87] op_sel_hi:[1,0]
	v_mov_b32_e32 v83, v91
	s_wait_loadcnt 0x2
	v_pk_mul_f32 v[92:93], v[144:145], v[128:129] op_sel:[1,1] op_sel_hi:[0,1]
	v_pk_add_f32 v[80:81], v[88:89], v[80:81]
	v_mov_b32_e32 v88, v131
	v_pk_fma_f32 v[84:85], v[140:141], v[124:125], v[84:85] neg_lo:[0,0,1] neg_hi:[0,0,1]
	v_mov_b32_e32 v85, v95
	v_pk_fma_f32 v[90:91], v[142:143], v[126:127], v[86:87] op_sel_hi:[1,0,1]
	v_pk_add_f32 v[80:81], v[80:81], v[82:83]
	v_pk_fma_f32 v[82:83], v[144:145], v[128:129], v[92:93] op_sel_hi:[1,0,1]
	v_pk_mul_f32 v[88:89], v[198:199], v[88:89] op_sel_hi:[1,0]
	v_pk_fma_f32 v[86:87], v[142:143], v[126:127], v[86:87] neg_lo:[0,0,1] neg_hi:[0,0,1]
	v_mov_b32_e32 v87, v91
	v_pk_add_f32 v[80:81], v[80:81], v[84:85]
	v_pk_fma_f32 v[90:91], v[144:145], v[128:129], v[92:93] neg_lo:[0,0,1] neg_hi:[0,0,1]
	v_mov_b32_e32 v91, v83
	v_pk_fma_f32 v[82:83], v[146:147], v[130:131], v[88:89] op_sel_hi:[1,0,1]
	s_wait_loadcnt 0x1
	v_pk_mul_f32 v[84:85], v[148:149], v[132:133] op_sel:[1,1] op_sel_hi:[0,1]
	v_pk_add_f32 v[80:81], v[80:81], v[86:87]
	v_mov_b32_e32 v82, v135
	v_pk_fma_f32 v[88:89], v[146:147], v[130:131], v[88:89] neg_lo:[0,0,1] neg_hi:[0,0,1]
	v_mov_b32_e32 v89, v83
	v_pk_fma_f32 v[86:87], v[148:149], v[132:133], v[84:85] op_sel_hi:[1,0,1]
	v_pk_add_f32 v[80:81], v[80:81], v[90:91]
	v_pk_mul_f32 v[82:83], v[200:201], v[82:83] op_sel_hi:[1,0]
	v_pk_fma_f32 v[84:85], v[148:149], v[132:133], v[84:85] neg_lo:[0,0,1] neg_hi:[0,0,1]
	s_delay_alu instid0(VALU_DEP_4) | instskip(NEXT) | instid1(VALU_DEP_4)
	v_mov_b32_e32 v85, v87
	v_pk_add_f32 v[80:81], v[80:81], v[88:89]
	s_delay_alu instid0(VALU_DEP_4) | instskip(SKIP_1) | instid1(VALU_DEP_2)
	v_pk_fma_f32 v[86:87], v[150:151], v[134:135], v[82:83] op_sel_hi:[1,0,1]
	v_pk_fma_f32 v[82:83], v[150:151], v[134:135], v[82:83] neg_lo:[0,0,1] neg_hi:[0,0,1]
	v_mov_b32_e32 v83, v87
	s_delay_alu instid0(VALU_DEP_4) | instskip(NEXT) | instid1(VALU_DEP_1)
	v_pk_add_f32 v[80:81], v[80:81], v[84:85]
	v_pk_add_f32 v[80:81], v[80:81], v[82:83]
	s_wait_loadcnt 0x0
	s_delay_alu instid0(VALU_DEP_1)
	v_pk_add_f32 v[80:81], v[192:193], v[80:81] neg_lo:[0,1] neg_hi:[0,1]
	scratch_store_b64 off, v[80:81], off offset:80
	s_wait_xcnt 0x0
	v_cmpx_lt_u32_e32 9, v0
	s_cbranch_execz .LBB38_229
; %bb.228:
	scratch_load_b64 v[80:81], off, off offset:72
	v_mov_b64_e32 v[82:83], 0
	scratch_store_b64 off, v[82:83], off offset:72
	s_wait_loadcnt 0x0
	ds_store_b64 v1, v[80:81]
.LBB38_229:
	s_wait_xcnt 0x0
	s_or_b32 exec_lo, exec_lo, s0
	s_wait_storecnt_dscnt 0x0
	s_barrier_signal -1
	s_barrier_wait -1
	s_clause 0xf
	scratch_load_b128 v[80:83], off, off offset:80
	scratch_load_b128 v[84:87], off, off offset:96
	;; [unrolled: 1-line block ×14, first 2 shown]
	scratch_load_b64 v[192:193], off, off offset:304
	scratch_load_b64 v[194:195], off, off offset:72
	v_mov_b32_e32 v5, 0
	ds_load_b128 v[136:139], v5 offset:560
	ds_load_b128 v[140:143], v5 offset:576
	;; [unrolled: 1-line block ×14, first 2 shown]
	ds_load_b64 v[196:197], v5 offset:624
	s_mov_b32 s0, exec_lo
	s_wait_dscnt 0xe
	v_dual_mov_b32 v198, v139 :: v_dual_mov_b32 v199, v138
	s_wait_dscnt 0xb
	v_dual_mov_b32 v200, v143 :: v_dual_mov_b32 v205, v150
	v_dual_mov_b32 v201, v142 :: v_dual_mov_b32 v202, v147
	v_dual_mov_b32 v203, v146 :: v_dual_mov_b32 v204, v151
	s_wait_loadcnt_dscnt 0xf0a
	v_dual_mul_f32 v7, v152, v81 :: v_dual_mul_f32 v47, v153, v81
	v_dual_mul_f32 v49, v155, v83 :: v_dual_mul_f32 v11, v154, v83
	s_wait_loadcnt_dscnt 0xe09
	v_mul_f32_e32 v13, v156, v85
	s_wait_loadcnt_dscnt 0xc07
	v_dual_mul_f32 v59, v165, v93 :: v_dual_fma_f32 v47, v152, v80, -v47
	v_dual_fmac_f32 v7, v153, v80 :: v_dual_mul_f32 v61, v167, v95
	v_dual_mul_f32 v51, v157, v85 :: v_dual_mul_f32 v53, v159, v87
	v_dual_fmac_f32 v11, v155, v82 :: v_dual_fma_f32 v49, v154, v82, -v49
	s_wait_loadcnt_dscnt 0xb06
	s_delay_alu instid0(VALU_DEP_3) | instskip(SKIP_1) | instid1(VALU_DEP_2)
	v_dual_add_f32 v7, 0, v7 :: v_dual_mul_f32 v63, v169, v97
	v_dual_add_f32 v47, 0, v47 :: v_dual_fmac_f32 v13, v157, v84
	v_dual_fma_f32 v51, v156, v84, -v51 :: v_dual_add_f32 v7, v7, v11
	v_dual_mul_f32 v55, v161, v89 :: v_dual_mul_f32 v57, v163, v91
	s_delay_alu instid0(VALU_DEP_3) | instskip(SKIP_2) | instid1(VALU_DEP_3)
	v_dual_add_f32 v11, v47, v49 :: v_dual_fma_f32 v49, v158, v86, -v53
	v_dual_mul_f32 v15, v158, v87 :: v_dual_mul_f32 v17, v160, v89
	v_dual_mul_f32 v19, v162, v91 :: v_dual_mul_f32 v21, v164, v93
	v_add_f32_e32 v11, v11, v51
	v_dual_add_f32 v7, v7, v13 :: v_dual_fma_f32 v51, v160, v88, -v55
	v_dual_mul_f32 v23, v166, v95 :: v_dual_mul_f32 v25, v168, v97
	s_delay_alu instid0(VALU_DEP_3) | instskip(SKIP_1) | instid1(VALU_DEP_2)
	v_dual_add_f32 v11, v11, v49 :: v_dual_fmac_f32 v21, v165, v92
	v_dual_fmac_f32 v15, v159, v86 :: v_dual_fmac_f32 v17, v161, v88
	v_dual_fma_f32 v49, v162, v90, -v57 :: v_dual_add_f32 v11, v11, v51
	s_delay_alu instid0(VALU_DEP_4) | instskip(SKIP_1) | instid1(VALU_DEP_3)
	v_dual_fmac_f32 v25, v169, v96 :: v_dual_mul_f32 v47, v171, v99
	s_wait_loadcnt_dscnt 0xa05
	v_dual_mul_f32 v13, v173, v101 :: v_dual_add_f32 v7, v7, v15
	v_dual_mul_f32 v15, v175, v103 :: v_dual_fma_f32 v51, v164, v92, -v59
	s_delay_alu instid0(VALU_DEP_3) | instskip(SKIP_1) | instid1(VALU_DEP_4)
	v_dual_add_f32 v11, v11, v49 :: v_dual_fma_f32 v47, v170, v98, -v47
	v_fmac_f32_e32 v19, v163, v90
	v_dual_add_f32 v7, v7, v17 :: v_dual_fma_f32 v49, v166, v94, -v61
	s_delay_alu instid0(VALU_DEP_3) | instskip(SKIP_2) | instid1(VALU_DEP_3)
	v_dual_add_f32 v11, v11, v51 :: v_dual_fma_f32 v15, v174, v102, -v15
	s_wait_loadcnt_dscnt 0x904
	v_dual_mul_f32 v31, v174, v103 :: v_dual_mul_f32 v33, v176, v105
	v_dual_add_f32 v7, v7, v19 :: v_dual_fma_f32 v51, v168, v96, -v63
	s_delay_alu instid0(VALU_DEP_3) | instskip(SKIP_4) | instid1(VALU_DEP_3)
	v_dual_add_f32 v11, v11, v49 :: v_dual_mul_f32 v27, v170, v99
	v_dual_mul_f32 v29, v172, v101 :: v_dual_mul_f32 v35, v178, v107
	s_wait_loadcnt_dscnt 0x803
	v_mul_f32_e32 v37, v180, v109
	v_dual_mul_f32 v17, v177, v105 :: v_dual_fmac_f32 v23, v167, v94
	v_dual_fmac_f32 v29, v173, v100 :: v_dual_add_f32 v7, v7, v21
	v_fma_f32 v13, v172, v100, -v13
	v_dual_fmac_f32 v33, v177, v104 :: v_dual_add_f32 v11, v11, v51
	s_delay_alu instid0(VALU_DEP_3) | instskip(SKIP_1) | instid1(VALU_DEP_3)
	v_dual_fmac_f32 v37, v181, v108 :: v_dual_add_f32 v7, v7, v23
	v_dual_mul_f32 v23, v183, v111 :: v_dual_fma_f32 v17, v176, v104, -v17
	v_add_f32_e32 v11, v11, v47
	s_wait_loadcnt_dscnt 0x601
	v_dual_mul_f32 v43, v186, v115 :: v_dual_mul_f32 v45, v188, v117
	s_wait_loadcnt 0x4
	v_dual_mov_b32 v80, v123 :: v_dual_mov_b32 v84, v127
	v_dual_add_f32 v11, v11, v13 :: v_dual_mul_f32 v207, v190, v119
	v_dual_mul_f32 v209, v136, v121 :: v_dual_mul_f32 v19, v179, v107
	s_delay_alu instid0(VALU_DEP_2) | instskip(NEXT) | instid1(VALU_DEP_3)
	v_dual_fmac_f32 v45, v189, v116 :: v_dual_add_f32 v11, v11, v15
	v_dual_mul_f32 v15, v191, v119 :: v_dual_fmac_f32 v207, v191, v118
	v_pk_mul_f32 v[80:81], v[198:199], v[80:81] op_sel_hi:[1,0]
	v_dual_mul_f32 v21, v181, v109 :: v_dual_fmac_f32 v27, v171, v98
	v_mul_f32_e32 v13, v189, v117
	v_add_f32_e32 v7, v7, v25
	v_dual_mul_f32 v25, v185, v113 :: v_dual_fma_f32 v19, v178, v106, -v19
	v_fma_f32 v206, v190, v118, -v15
	v_pk_fma_f32 v[92:93], v[138:139], v[122:123], v[80:81] op_sel_hi:[1,0,1]
	v_add_f32_e32 v11, v11, v17
	v_pk_fma_f32 v[80:81], v[138:139], v[122:123], v[80:81] neg_lo:[0,0,1] neg_hi:[0,0,1]
	v_dual_mul_f32 v39, v182, v111 :: v_dual_mul_f32 v41, v184, v113
	v_dual_mul_f32 v17, v137, v121 :: v_dual_add_f32 v7, v7, v27
	v_dual_fma_f32 v21, v180, v108, -v21 :: v_dual_mov_b32 v81, v93
	v_add_f32_e32 v11, v11, v19
	s_delay_alu instid0(VALU_DEP_4) | instskip(SKIP_2) | instid1(VALU_DEP_4)
	v_dual_mul_f32 v27, v187, v115 :: v_dual_fmac_f32 v41, v185, v112
	v_fmac_f32_e32 v31, v175, v102
	v_dual_add_f32 v7, v7, v29 :: v_dual_fma_f32 v19, v182, v110, -v23
	v_dual_add_f32 v11, v11, v21 :: v_dual_fma_f32 v21, v184, v112, -v25
	v_dual_fmac_f32 v35, v179, v106 :: v_dual_fmac_f32 v209, v137, v120
	s_delay_alu instid0(VALU_DEP_2) | instskip(NEXT) | instid1(VALU_DEP_4)
	v_dual_fma_f32 v13, v188, v116, -v13 :: v_dual_add_f32 v11, v11, v19
	v_dual_fma_f32 v19, v186, v114, -v27 :: v_dual_add_f32 v7, v7, v31
	v_dual_fma_f32 v208, v136, v120, -v17 :: v_dual_fmac_f32 v39, v183, v110
	v_fmac_f32_e32 v43, v187, v114
	s_delay_alu instid0(VALU_DEP_4) | instskip(NEXT) | instid1(VALU_DEP_4)
	v_add_f32_e32 v11, v11, v21
	v_add_f32_e32 v7, v7, v33
	v_pk_mul_f32 v[82:83], v[140:141], v[124:125] op_sel:[1,1] op_sel_hi:[0,1]
	v_pk_mul_f32 v[84:85], v[200:201], v[84:85] op_sel_hi:[1,0]
	s_wait_loadcnt 0x3
	v_pk_mul_f32 v[86:87], v[144:145], v[128:129] op_sel:[1,1] op_sel_hi:[0,1]
	v_add_f32_e32 v11, v11, v19
	v_add_f32_e32 v7, v7, v35
	v_pk_fma_f32 v[94:95], v[140:141], v[124:125], v[82:83] op_sel_hi:[1,0,1]
	v_pk_fma_f32 v[82:83], v[140:141], v[124:125], v[82:83] neg_lo:[0,0,1] neg_hi:[0,0,1]
	v_mov_b32_e32 v90, v131
	v_add_f32_e32 v88, v11, v13
	v_add_f32_e32 v7, v7, v37
	v_mov_b32_e32 v83, v95
	v_pk_fma_f32 v[94:95], v[142:143], v[126:127], v[84:85] op_sel_hi:[1,0,1]
	v_pk_fma_f32 v[84:85], v[142:143], v[126:127], v[84:85] neg_lo:[0,0,1] neg_hi:[0,0,1]
	v_pk_mul_f32 v[90:91], v[202:203], v[90:91] op_sel_hi:[1,0]
	v_add_f32_e32 v7, v7, v39
	s_wait_loadcnt 0x2
	v_pk_mul_f32 v[92:93], v[148:149], v[132:133] op_sel:[1,1] op_sel_hi:[0,1]
	v_mov_b32_e32 v85, v95
	s_delay_alu instid0(VALU_DEP_3) | instskip(NEXT) | instid1(VALU_DEP_1)
	v_add_f32_e32 v7, v7, v41
	v_add_f32_e32 v7, v7, v43
	s_delay_alu instid0(VALU_DEP_1) | instskip(NEXT) | instid1(VALU_DEP_1)
	v_add_f32_e32 v89, v7, v45
	v_pk_add_f32 v[88:89], v[88:89], v[206:207]
	s_delay_alu instid0(VALU_DEP_1) | instskip(NEXT) | instid1(VALU_DEP_1)
	v_pk_add_f32 v[88:89], v[88:89], v[208:209]
	v_pk_add_f32 v[80:81], v[88:89], v[80:81]
	v_pk_fma_f32 v[88:89], v[144:145], v[128:129], v[86:87] op_sel_hi:[1,0,1]
	v_pk_fma_f32 v[86:87], v[144:145], v[128:129], v[86:87] neg_lo:[0,0,1] neg_hi:[0,0,1]
	s_delay_alu instid0(VALU_DEP_3) | instskip(NEXT) | instid1(VALU_DEP_3)
	v_pk_add_f32 v[80:81], v[80:81], v[82:83]
	v_dual_mov_b32 v82, v135 :: v_dual_mov_b32 v87, v89
	v_pk_fma_f32 v[88:89], v[146:147], v[130:131], v[90:91] op_sel_hi:[1,0,1]
	v_pk_fma_f32 v[90:91], v[146:147], v[130:131], v[90:91] neg_lo:[0,0,1] neg_hi:[0,0,1]
	s_delay_alu instid0(VALU_DEP_4)
	v_pk_add_f32 v[80:81], v[80:81], v[84:85]
	v_pk_fma_f32 v[84:85], v[148:149], v[132:133], v[92:93] op_sel_hi:[1,0,1]
	v_pk_mul_f32 v[82:83], v[204:205], v[82:83] op_sel_hi:[1,0]
	v_mov_b32_e32 v91, v89
	s_wait_loadcnt_dscnt 0x100
	v_pk_mul_f32 v[88:89], v[196:197], v[192:193] op_sel:[1,1] op_sel_hi:[0,1]
	v_pk_add_f32 v[80:81], v[80:81], v[86:87]
	v_pk_fma_f32 v[86:87], v[148:149], v[132:133], v[92:93] neg_lo:[0,0,1] neg_hi:[0,0,1]
	v_mov_b32_e32 v87, v85
	v_pk_fma_f32 v[84:85], v[150:151], v[134:135], v[82:83] op_sel_hi:[1,0,1]
	v_pk_fma_f32 v[82:83], v[150:151], v[134:135], v[82:83] neg_lo:[0,0,1] neg_hi:[0,0,1]
	v_pk_add_f32 v[80:81], v[80:81], v[90:91]
	s_delay_alu instid0(VALU_DEP_3) | instskip(SKIP_1) | instid1(VALU_DEP_3)
	v_mov_b32_e32 v83, v85
	v_pk_fma_f32 v[84:85], v[196:197], v[192:193], v[88:89] op_sel_hi:[1,0,1]
	v_pk_add_f32 v[80:81], v[80:81], v[86:87]
	v_pk_fma_f32 v[86:87], v[196:197], v[192:193], v[88:89] neg_lo:[0,0,1] neg_hi:[0,0,1]
	s_delay_alu instid0(VALU_DEP_3) | instskip(NEXT) | instid1(VALU_DEP_3)
	v_mov_b32_e32 v87, v85
	v_pk_add_f32 v[80:81], v[80:81], v[82:83]
	s_delay_alu instid0(VALU_DEP_1) | instskip(SKIP_1) | instid1(VALU_DEP_1)
	v_pk_add_f32 v[80:81], v[80:81], v[86:87]
	s_wait_loadcnt 0x0
	v_pk_add_f32 v[80:81], v[194:195], v[80:81] neg_lo:[0,1] neg_hi:[0,1]
	scratch_store_b64 off, v[80:81], off offset:72
	s_wait_xcnt 0x0
	v_cmpx_lt_u32_e32 8, v0
	s_cbranch_execz .LBB38_231
; %bb.230:
	scratch_load_b64 v[80:81], off, off offset:64
	v_mov_b64_e32 v[82:83], 0
	scratch_store_b64 off, v[82:83], off offset:64
	s_wait_loadcnt 0x0
	ds_store_b64 v1, v[80:81]
.LBB38_231:
	s_wait_xcnt 0x0
	s_or_b32 exec_lo, exec_lo, s0
	s_wait_storecnt_dscnt 0x0
	s_barrier_signal -1
	s_barrier_wait -1
	s_clause 0xf
	scratch_load_b128 v[80:83], off, off offset:72
	scratch_load_b128 v[84:87], off, off offset:88
	;; [unrolled: 1-line block ×15, first 2 shown]
	scratch_load_b64 v[200:201], off, off offset:64
	ds_load_2addr_b64 v[140:143], v5 offset0:71 offset1:72
	ds_load_2addr_b64 v[144:147], v5 offset0:73 offset1:74
	;; [unrolled: 1-line block ×15, first 2 shown]
	s_mov_b32 s0, exec_lo
	s_wait_dscnt 0xe
	v_dual_mov_b32 v202, v143 :: v_dual_mov_b32 v203, v142
	s_wait_dscnt 0xd
	v_dual_mov_b32 v204, v147 :: v_dual_mov_b32 v205, v146
	s_wait_dscnt 0xc
	v_dual_mov_b32 v206, v151 :: v_dual_mov_b32 v207, v150
	s_wait_dscnt 0xb
	v_dual_mov_b32 v208, v155 :: v_dual_mov_b32 v209, v154
	s_wait_loadcnt_dscnt 0xf0a
	v_dual_mul_f32 v5, v156, v81 :: v_dual_mul_f32 v7, v158, v83
	v_dual_mul_f32 v47, v157, v81 :: v_dual_mul_f32 v49, v159, v83
	s_wait_loadcnt_dscnt 0xe09
	v_dual_mul_f32 v11, v160, v85 :: v_dual_mul_f32 v13, v162, v87
	s_delay_alu instid0(VALU_DEP_2) | instskip(SKIP_3) | instid1(VALU_DEP_3)
	v_dual_fmac_f32 v5, v157, v80 :: v_dual_fma_f32 v47, v156, v80, -v47
	v_dual_mul_f32 v51, v161, v85 :: v_dual_mul_f32 v53, v163, v87
	s_wait_loadcnt_dscnt 0xc06
	v_dual_mul_f32 v59, v173, v93 :: v_dual_fmac_f32 v7, v159, v82
	v_dual_fma_f32 v49, v158, v82, -v49 :: v_dual_add_f32 v5, 0, v5
	v_dual_add_f32 v47, 0, v47 :: v_dual_fmac_f32 v11, v161, v84
	v_dual_mul_f32 v61, v175, v95 :: v_dual_fma_f32 v51, v160, v84, -v51
	s_delay_alu instid0(VALU_DEP_2)
	v_dual_add_f32 v5, v5, v7 :: v_dual_add_f32 v7, v47, v49
	v_dual_mul_f32 v15, v168, v89 :: v_dual_mul_f32 v17, v170, v91
	v_dual_mul_f32 v55, v169, v89 :: v_dual_mul_f32 v57, v171, v91
	s_wait_loadcnt_dscnt 0xb05
	v_dual_mul_f32 v47, v177, v97 :: v_dual_fmac_f32 v13, v163, v86
	v_dual_fma_f32 v49, v162, v86, -v53 :: v_dual_add_f32 v5, v5, v11
	v_dual_add_f32 v7, v7, v51 :: v_dual_fmac_f32 v15, v169, v88
	v_dual_mul_f32 v11, v179, v99 :: v_dual_fma_f32 v51, v168, v88, -v55
	s_delay_alu instid0(VALU_DEP_3) | instskip(NEXT) | instid1(VALU_DEP_3)
	v_dual_add_f32 v5, v5, v13 :: v_dual_fmac_f32 v17, v171, v90
	v_dual_add_f32 v7, v7, v49 :: v_dual_fma_f32 v49, v170, v90, -v57
	v_dual_mul_f32 v19, v172, v93 :: v_dual_mul_f32 v21, v174, v95
	s_wait_loadcnt_dscnt 0xa04
	s_delay_alu instid0(VALU_DEP_2) | instskip(SKIP_1) | instid1(VALU_DEP_3)
	v_dual_mul_f32 v13, v181, v101 :: v_dual_add_f32 v7, v7, v51
	v_dual_add_f32 v5, v5, v15 :: v_dual_fma_f32 v51, v172, v92, -v59
	v_dual_mul_f32 v15, v183, v103 :: v_dual_fmac_f32 v19, v173, v92
	s_delay_alu instid0(VALU_DEP_3) | instskip(NEXT) | instid1(VALU_DEP_3)
	v_dual_add_f32 v7, v7, v49 :: v_dual_fma_f32 v49, v174, v94, -v61
	v_dual_add_f32 v5, v5, v17 :: v_dual_fmac_f32 v21, v175, v94
	v_dual_mul_f32 v23, v176, v97 :: v_dual_mul_f32 v25, v178, v99
	s_wait_loadcnt_dscnt 0x903
	s_delay_alu instid0(VALU_DEP_3) | instskip(NEXT) | instid1(VALU_DEP_3)
	v_dual_mul_f32 v17, v185, v105 :: v_dual_add_f32 v7, v7, v51
	v_dual_add_f32 v5, v5, v19 :: v_dual_fma_f32 v47, v176, v96, -v47
	s_delay_alu instid0(VALU_DEP_3) | instskip(NEXT) | instid1(VALU_DEP_3)
	v_dual_mul_f32 v19, v187, v107 :: v_dual_fmac_f32 v23, v177, v96
	v_dual_add_f32 v7, v7, v49 :: v_dual_fma_f32 v11, v178, v98, -v11
	s_delay_alu instid0(VALU_DEP_3) | instskip(SKIP_2) | instid1(VALU_DEP_3)
	v_dual_add_f32 v5, v5, v21 :: v_dual_fmac_f32 v25, v179, v98
	v_dual_mul_f32 v27, v180, v101 :: v_dual_mul_f32 v29, v182, v103
	s_wait_loadcnt_dscnt 0x802
	v_dual_mul_f32 v21, v189, v109 :: v_dual_add_f32 v7, v7, v47
	s_delay_alu instid0(VALU_DEP_3) | instskip(NEXT) | instid1(VALU_DEP_3)
	v_dual_add_f32 v5, v5, v23 :: v_dual_fma_f32 v13, v180, v100, -v13
	v_dual_mul_f32 v23, v191, v111 :: v_dual_fmac_f32 v27, v181, v100
	s_delay_alu instid0(VALU_DEP_2) | instskip(SKIP_3) | instid1(VALU_DEP_3)
	v_dual_add_f32 v7, v7, v11 :: v_dual_add_f32 v5, v5, v25
	v_dual_mul_f32 v31, v184, v105 :: v_dual_mul_f32 v33, v186, v107
	s_wait_loadcnt_dscnt 0x701
	v_dual_mul_f32 v11, v193, v113 :: v_dual_fmac_f32 v29, v183, v102
	v_dual_fma_f32 v15, v182, v102, -v15 :: v_dual_add_f32 v5, v5, v27
	s_delay_alu instid0(VALU_DEP_3) | instskip(SKIP_1) | instid1(VALU_DEP_2)
	v_dual_add_f32 v7, v7, v13 :: v_dual_fmac_f32 v31, v185, v104
	v_dual_mul_f32 v13, v195, v115 :: v_dual_fma_f32 v17, v184, v104, -v17
	v_dual_add_f32 v5, v5, v29 :: v_dual_add_f32 v7, v7, v15
	v_dual_mul_f32 v35, v188, v109 :: v_dual_mul_f32 v37, v190, v111
	s_wait_loadcnt_dscnt 0x600
	v_dual_mul_f32 v15, v197, v117 :: v_dual_fmac_f32 v33, v187, v106
	s_delay_alu instid0(VALU_DEP_3) | instskip(NEXT) | instid1(VALU_DEP_3)
	v_dual_fma_f32 v19, v186, v106, -v19 :: v_dual_add_f32 v5, v5, v31
	v_dual_add_f32 v7, v7, v17 :: v_dual_fmac_f32 v35, v189, v108
	v_dual_mul_f32 v17, v199, v119 :: v_dual_fma_f32 v21, v188, v108, -v21
	s_delay_alu instid0(VALU_DEP_2) | instskip(SKIP_3) | instid1(VALU_DEP_3)
	v_dual_add_f32 v5, v5, v33 :: v_dual_add_f32 v7, v7, v19
	v_dual_mul_f32 v39, v192, v113 :: v_dual_mul_f32 v41, v194, v115
	s_wait_loadcnt 0x5
	v_dual_mul_f32 v19, v165, v121 :: v_dual_fmac_f32 v37, v191, v110
	v_dual_fma_f32 v23, v190, v110, -v23 :: v_dual_add_f32 v5, v5, v35
	s_delay_alu instid0(VALU_DEP_3) | instskip(SKIP_1) | instid1(VALU_DEP_2)
	v_dual_add_f32 v7, v7, v21 :: v_dual_fmac_f32 v39, v193, v112
	v_dual_mul_f32 v21, v167, v123 :: v_dual_fma_f32 v11, v192, v112, -v11
	v_dual_add_f32 v5, v5, v37 :: v_dual_add_f32 v7, v7, v23
	v_dual_mul_f32 v43, v196, v117 :: v_dual_mul_f32 v45, v198, v119
	s_delay_alu instid0(VALU_DEP_2) | instskip(NEXT) | instid1(VALU_DEP_3)
	v_dual_fmac_f32 v41, v195, v114 :: v_dual_add_f32 v5, v5, v39
	v_dual_fma_f32 v13, v194, v114, -v13 :: v_dual_add_f32 v7, v7, v11
	s_wait_loadcnt 0x4
	s_delay_alu instid0(VALU_DEP_3) | instskip(NEXT) | instid1(VALU_DEP_3)
	v_dual_mov_b32 v82, v127 :: v_dual_fmac_f32 v43, v197, v116
	v_dual_fma_f32 v11, v196, v116, -v15 :: v_dual_add_f32 v5, v5, v41
	s_delay_alu instid0(VALU_DEP_3) | instskip(SKIP_1) | instid1(VALU_DEP_3)
	v_dual_add_f32 v7, v7, v13 :: v_dual_fma_f32 v13, v198, v118, -v17
	v_dual_mul_f32 v211, v164, v121 :: v_dual_mul_f32 v213, v166, v123
	v_dual_fmac_f32 v45, v199, v118 :: v_dual_add_f32 v5, v5, v43
	s_delay_alu instid0(VALU_DEP_2)
	v_dual_add_f32 v7, v7, v11 :: v_dual_fmac_f32 v211, v165, v120
	v_pk_mul_f32 v[80:81], v[140:141], v[124:125] op_sel:[1,1] op_sel_hi:[0,1]
	s_wait_loadcnt 0x3
	v_dual_mov_b32 v86, v131 :: v_dual_fma_f32 v210, v164, v120, -v19
	v_dual_add_f32 v89, v5, v45 :: v_dual_fmac_f32 v213, v167, v122
	v_dual_add_f32 v88, v7, v13 :: v_dual_fma_f32 v212, v166, v122, -v21
	v_pk_fma_f32 v[90:91], v[140:141], v[124:125], v[80:81] op_sel_hi:[1,0,1]
	v_pk_mul_f32 v[82:83], v[202:203], v[82:83] op_sel_hi:[1,0]
	v_pk_fma_f32 v[80:81], v[140:141], v[124:125], v[80:81] neg_lo:[0,0,1] neg_hi:[0,0,1]
	s_delay_alu instid0(VALU_DEP_4)
	v_pk_add_f32 v[88:89], v[88:89], v[210:211]
	v_pk_mul_f32 v[84:85], v[144:145], v[128:129] op_sel:[1,1] op_sel_hi:[0,1]
	v_mov_b32_e32 v81, v91
	v_pk_fma_f32 v[90:91], v[142:143], v[126:127], v[82:83] op_sel_hi:[1,0,1]
	v_pk_fma_f32 v[82:83], v[142:143], v[126:127], v[82:83] neg_lo:[0,0,1] neg_hi:[0,0,1]
	v_pk_add_f32 v[88:89], v[88:89], v[212:213]
	v_pk_fma_f32 v[94:95], v[144:145], v[128:129], v[84:85] op_sel_hi:[1,0,1]
	v_pk_mul_f32 v[86:87], v[204:205], v[86:87] op_sel_hi:[1,0]
	v_mov_b32_e32 v83, v91
	s_wait_loadcnt 0x2
	v_pk_mul_f32 v[92:93], v[148:149], v[132:133] op_sel:[1,1] op_sel_hi:[0,1]
	v_pk_add_f32 v[80:81], v[88:89], v[80:81]
	v_mov_b32_e32 v88, v135
	v_pk_fma_f32 v[84:85], v[144:145], v[128:129], v[84:85] neg_lo:[0,0,1] neg_hi:[0,0,1]
	v_mov_b32_e32 v85, v95
	v_pk_fma_f32 v[90:91], v[146:147], v[130:131], v[86:87] op_sel_hi:[1,0,1]
	v_pk_add_f32 v[80:81], v[80:81], v[82:83]
	v_pk_fma_f32 v[82:83], v[148:149], v[132:133], v[92:93] op_sel_hi:[1,0,1]
	v_pk_mul_f32 v[88:89], v[206:207], v[88:89] op_sel_hi:[1,0]
	v_pk_fma_f32 v[86:87], v[146:147], v[130:131], v[86:87] neg_lo:[0,0,1] neg_hi:[0,0,1]
	v_mov_b32_e32 v87, v91
	v_pk_add_f32 v[80:81], v[80:81], v[84:85]
	v_pk_fma_f32 v[90:91], v[148:149], v[132:133], v[92:93] neg_lo:[0,0,1] neg_hi:[0,0,1]
	v_mov_b32_e32 v91, v83
	v_pk_fma_f32 v[82:83], v[150:151], v[134:135], v[88:89] op_sel_hi:[1,0,1]
	s_wait_loadcnt 0x1
	v_pk_mul_f32 v[84:85], v[152:153], v[136:137] op_sel:[1,1] op_sel_hi:[0,1]
	v_pk_add_f32 v[80:81], v[80:81], v[86:87]
	v_mov_b32_e32 v82, v139
	v_pk_fma_f32 v[88:89], v[150:151], v[134:135], v[88:89] neg_lo:[0,0,1] neg_hi:[0,0,1]
	v_mov_b32_e32 v89, v83
	v_pk_fma_f32 v[86:87], v[152:153], v[136:137], v[84:85] op_sel_hi:[1,0,1]
	v_pk_add_f32 v[80:81], v[80:81], v[90:91]
	v_pk_mul_f32 v[82:83], v[208:209], v[82:83] op_sel_hi:[1,0]
	v_pk_fma_f32 v[84:85], v[152:153], v[136:137], v[84:85] neg_lo:[0,0,1] neg_hi:[0,0,1]
	s_delay_alu instid0(VALU_DEP_4) | instskip(NEXT) | instid1(VALU_DEP_4)
	v_mov_b32_e32 v85, v87
	v_pk_add_f32 v[80:81], v[80:81], v[88:89]
	s_delay_alu instid0(VALU_DEP_4) | instskip(SKIP_1) | instid1(VALU_DEP_2)
	v_pk_fma_f32 v[86:87], v[154:155], v[138:139], v[82:83] op_sel_hi:[1,0,1]
	v_pk_fma_f32 v[82:83], v[154:155], v[138:139], v[82:83] neg_lo:[0,0,1] neg_hi:[0,0,1]
	v_mov_b32_e32 v83, v87
	s_delay_alu instid0(VALU_DEP_4) | instskip(NEXT) | instid1(VALU_DEP_1)
	v_pk_add_f32 v[80:81], v[80:81], v[84:85]
	v_pk_add_f32 v[80:81], v[80:81], v[82:83]
	s_wait_loadcnt 0x0
	s_delay_alu instid0(VALU_DEP_1)
	v_pk_add_f32 v[80:81], v[200:201], v[80:81] neg_lo:[0,1] neg_hi:[0,1]
	scratch_store_b64 off, v[80:81], off offset:64
	s_wait_xcnt 0x0
	v_cmpx_lt_u32_e32 7, v0
	s_cbranch_execz .LBB38_233
; %bb.232:
	scratch_load_b64 v[80:81], off, off offset:56
	v_mov_b64_e32 v[82:83], 0
	scratch_store_b64 off, v[82:83], off offset:56
	s_wait_loadcnt 0x0
	ds_store_b64 v1, v[80:81]
.LBB38_233:
	s_wait_xcnt 0x0
	s_or_b32 exec_lo, exec_lo, s0
	s_wait_storecnt_dscnt 0x0
	s_barrier_signal -1
	s_barrier_wait -1
	s_clause 0x10
	scratch_load_b128 v[80:83], off, off offset:64
	scratch_load_b128 v[84:87], off, off offset:80
	;; [unrolled: 1-line block ×15, first 2 shown]
	scratch_load_b64 v[200:201], off, off offset:304
	scratch_load_b64 v[202:203], off, off offset:56
	v_mov_b32_e32 v5, 0
	ds_load_b128 v[140:143], v5 offset:560
	ds_load_b128 v[144:147], v5 offset:576
	;; [unrolled: 1-line block ×15, first 2 shown]
	ds_load_b64 v[204:205], v5 offset:624
	s_mov_b32 s0, exec_lo
	s_wait_dscnt 0xf
	v_dual_mov_b32 v206, v143 :: v_dual_mov_b32 v207, v142
	s_wait_dscnt 0xc
	v_dual_mov_b32 v208, v147 :: v_dual_mov_b32 v213, v154
	v_dual_mov_b32 v209, v146 :: v_dual_mov_b32 v210, v151
	;; [unrolled: 1-line block ×3, first 2 shown]
	s_wait_loadcnt_dscnt 0x100b
	v_dual_mul_f32 v7, v156, v81 :: v_dual_mul_f32 v51, v157, v81
	v_dual_mul_f32 v53, v159, v83 :: v_dual_mul_f32 v11, v158, v83
	s_wait_loadcnt_dscnt 0xf09
	v_mul_f32_e32 v13, v164, v85
	s_wait_loadcnt_dscnt 0xd07
	v_dual_mul_f32 v63, v173, v93 :: v_dual_fma_f32 v51, v156, v80, -v51
	v_dual_fmac_f32 v7, v157, v80 :: v_dual_mul_f32 v65, v175, v95
	v_dual_mul_f32 v55, v165, v85 :: v_dual_mul_f32 v57, v167, v87
	v_dual_fmac_f32 v11, v159, v82 :: v_dual_fma_f32 v53, v158, v82, -v53
	s_wait_loadcnt_dscnt 0xc06
	s_delay_alu instid0(VALU_DEP_3) | instskip(SKIP_1) | instid1(VALU_DEP_2)
	v_dual_add_f32 v7, 0, v7 :: v_dual_mul_f32 v67, v177, v97
	v_dual_add_f32 v51, 0, v51 :: v_dual_fmac_f32 v13, v165, v84
	v_dual_fma_f32 v55, v164, v84, -v55 :: v_dual_add_f32 v7, v7, v11
	v_dual_mul_f32 v59, v169, v89 :: v_dual_mul_f32 v61, v171, v91
	s_delay_alu instid0(VALU_DEP_3) | instskip(SKIP_2) | instid1(VALU_DEP_3)
	v_dual_add_f32 v11, v51, v53 :: v_dual_fma_f32 v53, v166, v86, -v57
	v_dual_mul_f32 v15, v166, v87 :: v_dual_mul_f32 v17, v168, v89
	v_dual_mul_f32 v19, v170, v91 :: v_dual_mul_f32 v21, v172, v93
	v_add_f32_e32 v11, v11, v55
	v_dual_add_f32 v7, v7, v13 :: v_dual_fma_f32 v55, v168, v88, -v59
	v_dual_mul_f32 v23, v174, v95 :: v_dual_mul_f32 v25, v176, v97
	s_delay_alu instid0(VALU_DEP_3) | instskip(SKIP_1) | instid1(VALU_DEP_2)
	v_dual_add_f32 v11, v11, v53 :: v_dual_fmac_f32 v21, v173, v92
	v_dual_fmac_f32 v15, v167, v86 :: v_dual_fmac_f32 v17, v169, v88
	v_dual_fma_f32 v53, v170, v90, -v61 :: v_dual_add_f32 v11, v11, v55
	s_delay_alu instid0(VALU_DEP_4) | instskip(SKIP_1) | instid1(VALU_DEP_3)
	v_dual_fmac_f32 v25, v177, v96 :: v_dual_mul_f32 v51, v179, v99
	s_wait_loadcnt_dscnt 0xb05
	v_dual_mul_f32 v13, v181, v101 :: v_dual_add_f32 v7, v7, v15
	v_dual_mul_f32 v15, v183, v103 :: v_dual_fma_f32 v55, v172, v92, -v63
	s_delay_alu instid0(VALU_DEP_3) | instskip(SKIP_1) | instid1(VALU_DEP_4)
	v_dual_add_f32 v11, v11, v53 :: v_dual_fma_f32 v51, v178, v98, -v51
	v_fmac_f32_e32 v19, v171, v90
	v_dual_add_f32 v7, v7, v17 :: v_dual_fma_f32 v53, v174, v94, -v65
	s_delay_alu instid0(VALU_DEP_3) | instskip(SKIP_2) | instid1(VALU_DEP_3)
	v_dual_add_f32 v11, v11, v55 :: v_dual_fma_f32 v15, v182, v102, -v15
	s_wait_loadcnt_dscnt 0xa04
	v_dual_mul_f32 v31, v182, v103 :: v_dual_mul_f32 v33, v184, v105
	v_dual_add_f32 v7, v7, v19 :: v_dual_fma_f32 v55, v176, v96, -v67
	s_delay_alu instid0(VALU_DEP_3) | instskip(SKIP_4) | instid1(VALU_DEP_3)
	v_dual_add_f32 v11, v11, v53 :: v_dual_mul_f32 v27, v178, v99
	v_dual_mul_f32 v29, v180, v101 :: v_dual_mul_f32 v35, v186, v107
	s_wait_loadcnt_dscnt 0x903
	v_mul_f32_e32 v37, v188, v109
	v_dual_mul_f32 v17, v185, v105 :: v_dual_fmac_f32 v23, v175, v94
	v_dual_fmac_f32 v29, v181, v100 :: v_dual_add_f32 v7, v7, v21
	v_fma_f32 v13, v180, v100, -v13
	v_dual_fmac_f32 v33, v185, v104 :: v_dual_add_f32 v11, v11, v55
	s_delay_alu instid0(VALU_DEP_3) | instskip(SKIP_1) | instid1(VALU_DEP_3)
	v_dual_fmac_f32 v37, v189, v108 :: v_dual_add_f32 v7, v7, v23
	v_dual_mul_f32 v23, v191, v111 :: v_dual_fma_f32 v17, v184, v104, -v17
	v_add_f32_e32 v11, v11, v51
	v_mul_f32_e32 v19, v187, v107
	v_fmac_f32_e32 v27, v179, v98
	s_delay_alu instid0(VALU_DEP_4) | instskip(NEXT) | instid1(VALU_DEP_4)
	v_dual_fma_f32 v23, v190, v110, -v23 :: v_dual_mul_f32 v21, v189, v109
	v_add_f32_e32 v11, v11, v13
	s_wait_loadcnt_dscnt 0x701
	v_mul_f32_e32 v13, v197, v117
	v_add_f32_e32 v7, v7, v25
	v_dual_mul_f32 v25, v193, v113 :: v_dual_fma_f32 v19, v186, v106, -v19
	s_delay_alu instid0(VALU_DEP_3) | instskip(SKIP_2) | instid1(VALU_DEP_3)
	v_dual_add_f32 v11, v11, v15 :: v_dual_fma_f32 v13, v196, v116, -v13
	v_dual_mul_f32 v39, v190, v111 :: v_dual_mul_f32 v41, v192, v113
	v_fmac_f32_e32 v31, v183, v102
	v_add_f32_e32 v11, v11, v17
	s_wait_loadcnt 0x6
	v_dual_mul_f32 v17, v161, v121 :: v_dual_add_f32 v7, v7, v27
	v_dual_fma_f32 v21, v188, v108, -v21 :: v_dual_mul_f32 v43, v194, v115
	v_dual_mul_f32 v45, v196, v117 :: v_dual_mul_f32 v47, v198, v119
	v_mul_f32_e32 v49, v160, v121
	s_delay_alu instid0(VALU_DEP_4) | instskip(SKIP_2) | instid1(VALU_DEP_2)
	v_dual_add_f32 v7, v7, v29 :: v_dual_fma_f32 v25, v192, v112, -v25
	v_dual_fmac_f32 v41, v193, v112 :: v_dual_mul_f32 v215, v162, v123
	s_wait_loadcnt 0x5
	v_dual_mul_f32 v217, v140, v125 :: v_dual_add_f32 v7, v7, v31
	v_dual_fmac_f32 v45, v197, v116 :: v_dual_mul_f32 v15, v199, v119
	v_fmac_f32_e32 v47, v199, v118
	v_dual_fmac_f32 v35, v187, v106 :: v_dual_fmac_f32 v49, v161, v120
	s_delay_alu instid0(VALU_DEP_3)
	v_dual_add_f32 v7, v7, v33 :: v_dual_fma_f32 v15, v198, v118, -v15
	s_wait_loadcnt 0x4
	v_dual_mov_b32 v80, v127 :: v_dual_mov_b32 v84, v131
	v_dual_add_f32 v11, v11, v19 :: v_dual_fmac_f32 v217, v141, v124
	v_dual_mul_f32 v19, v163, v123 :: v_dual_fmac_f32 v215, v163, v122
	v_add_f32_e32 v7, v7, v35
	s_delay_alu instid0(VALU_DEP_4)
	v_pk_mul_f32 v[80:81], v[206:207], v[80:81] op_sel_hi:[1,0]
	v_mul_f32_e32 v27, v195, v115
	v_add_f32_e32 v11, v11, v21
	v_dual_mul_f32 v21, v141, v125 :: v_dual_fmac_f32 v39, v191, v110
	v_fma_f32 v214, v162, v122, -v19
	v_pk_fma_f32 v[92:93], v[142:143], v[126:127], v[80:81] op_sel_hi:[1,0,1]
	v_add_f32_e32 v7, v7, v37
	v_pk_fma_f32 v[80:81], v[142:143], v[126:127], v[80:81] neg_lo:[0,0,1] neg_hi:[0,0,1]
	v_dual_add_f32 v11, v11, v23 :: v_dual_fma_f32 v216, v140, v124, -v21
	s_delay_alu instid0(VALU_DEP_3) | instskip(SKIP_1) | instid1(VALU_DEP_3)
	v_dual_mov_b32 v81, v93 :: v_dual_add_f32 v7, v7, v39
	v_fmac_f32_e32 v43, v195, v114
	v_dual_fma_f32 v23, v194, v114, -v27 :: v_dual_add_f32 v11, v11, v25
	v_pk_mul_f32 v[82:83], v[144:145], v[128:129] op_sel:[1,1] op_sel_hi:[0,1]
	s_delay_alu instid0(VALU_DEP_4)
	v_add_f32_e32 v7, v7, v41
	v_pk_mul_f32 v[84:85], v[208:209], v[84:85] op_sel_hi:[1,0]
	s_wait_loadcnt 0x3
	v_pk_mul_f32 v[86:87], v[148:149], v[132:133] op_sel:[1,1] op_sel_hi:[0,1]
	v_add_f32_e32 v11, v11, v23
	v_pk_fma_f32 v[94:95], v[144:145], v[128:129], v[82:83] op_sel_hi:[1,0,1]
	v_add_f32_e32 v7, v7, v43
	v_pk_fma_f32 v[82:83], v[144:145], v[128:129], v[82:83] neg_lo:[0,0,1] neg_hi:[0,0,1]
	v_mov_b32_e32 v90, v135
	v_dual_add_f32 v11, v11, v13 :: v_dual_fma_f32 v13, v160, v120, -v17
	s_delay_alu instid0(VALU_DEP_4) | instskip(SKIP_2) | instid1(VALU_DEP_4)
	v_add_f32_e32 v7, v7, v45
	v_mov_b32_e32 v83, v95
	v_pk_fma_f32 v[94:95], v[146:147], v[130:131], v[84:85] op_sel_hi:[1,0,1]
	v_add_f32_e32 v11, v11, v15
	v_pk_fma_f32 v[84:85], v[146:147], v[130:131], v[84:85] neg_lo:[0,0,1] neg_hi:[0,0,1]
	v_add_f32_e32 v7, v7, v47
	v_pk_mul_f32 v[90:91], v[210:211], v[90:91] op_sel_hi:[1,0]
	v_mov_b32_e32 v85, v95
	v_add_f32_e32 v88, v11, v13
	s_wait_loadcnt 0x2
	v_pk_mul_f32 v[92:93], v[152:153], v[136:137] op_sel:[1,1] op_sel_hi:[0,1]
	v_add_f32_e32 v89, v7, v49
	s_delay_alu instid0(VALU_DEP_1) | instskip(NEXT) | instid1(VALU_DEP_1)
	v_pk_add_f32 v[88:89], v[88:89], v[214:215]
	v_pk_add_f32 v[88:89], v[88:89], v[216:217]
	s_delay_alu instid0(VALU_DEP_1) | instskip(SKIP_2) | instid1(VALU_DEP_3)
	v_pk_add_f32 v[80:81], v[88:89], v[80:81]
	v_pk_fma_f32 v[88:89], v[148:149], v[132:133], v[86:87] op_sel_hi:[1,0,1]
	v_pk_fma_f32 v[86:87], v[148:149], v[132:133], v[86:87] neg_lo:[0,0,1] neg_hi:[0,0,1]
	v_pk_add_f32 v[80:81], v[80:81], v[82:83]
	s_delay_alu instid0(VALU_DEP_3) | instskip(SKIP_2) | instid1(VALU_DEP_4)
	v_dual_mov_b32 v82, v139 :: v_dual_mov_b32 v87, v89
	v_pk_fma_f32 v[88:89], v[150:151], v[134:135], v[90:91] op_sel_hi:[1,0,1]
	v_pk_fma_f32 v[90:91], v[150:151], v[134:135], v[90:91] neg_lo:[0,0,1] neg_hi:[0,0,1]
	v_pk_add_f32 v[80:81], v[80:81], v[84:85]
	v_pk_fma_f32 v[84:85], v[152:153], v[136:137], v[92:93] op_sel_hi:[1,0,1]
	v_pk_mul_f32 v[82:83], v[212:213], v[82:83] op_sel_hi:[1,0]
	v_mov_b32_e32 v91, v89
	s_wait_loadcnt_dscnt 0x100
	v_pk_mul_f32 v[88:89], v[204:205], v[200:201] op_sel:[1,1] op_sel_hi:[0,1]
	v_pk_add_f32 v[80:81], v[80:81], v[86:87]
	v_pk_fma_f32 v[86:87], v[152:153], v[136:137], v[92:93] neg_lo:[0,0,1] neg_hi:[0,0,1]
	v_mov_b32_e32 v87, v85
	v_pk_fma_f32 v[84:85], v[154:155], v[138:139], v[82:83] op_sel_hi:[1,0,1]
	v_pk_fma_f32 v[82:83], v[154:155], v[138:139], v[82:83] neg_lo:[0,0,1] neg_hi:[0,0,1]
	v_pk_add_f32 v[80:81], v[80:81], v[90:91]
	s_delay_alu instid0(VALU_DEP_3) | instskip(SKIP_1) | instid1(VALU_DEP_3)
	v_mov_b32_e32 v83, v85
	v_pk_fma_f32 v[84:85], v[204:205], v[200:201], v[88:89] op_sel_hi:[1,0,1]
	v_pk_add_f32 v[80:81], v[80:81], v[86:87]
	v_pk_fma_f32 v[86:87], v[204:205], v[200:201], v[88:89] neg_lo:[0,0,1] neg_hi:[0,0,1]
	s_delay_alu instid0(VALU_DEP_3) | instskip(NEXT) | instid1(VALU_DEP_3)
	v_mov_b32_e32 v87, v85
	v_pk_add_f32 v[80:81], v[80:81], v[82:83]
	s_delay_alu instid0(VALU_DEP_1) | instskip(SKIP_1) | instid1(VALU_DEP_1)
	v_pk_add_f32 v[80:81], v[80:81], v[86:87]
	s_wait_loadcnt 0x0
	v_pk_add_f32 v[80:81], v[202:203], v[80:81] neg_lo:[0,1] neg_hi:[0,1]
	scratch_store_b64 off, v[80:81], off offset:56
	s_wait_xcnt 0x0
	v_cmpx_lt_u32_e32 6, v0
	s_cbranch_execz .LBB38_235
; %bb.234:
	scratch_load_b64 v[80:81], off, off offset:48
	v_mov_b64_e32 v[82:83], 0
	scratch_store_b64 off, v[82:83], off offset:48
	s_wait_loadcnt 0x0
	ds_store_b64 v1, v[80:81]
.LBB38_235:
	s_wait_xcnt 0x0
	s_or_b32 exec_lo, exec_lo, s0
	s_wait_storecnt_dscnt 0x0
	s_barrier_signal -1
	s_barrier_wait -1
	s_clause 0x10
	scratch_load_b128 v[80:83], off, off offset:56
	scratch_load_b128 v[84:87], off, off offset:72
	;; [unrolled: 1-line block ×16, first 2 shown]
	scratch_load_b64 v[208:209], off, off offset:48
	ds_load_2addr_b64 v[144:147], v5 offset0:71 offset1:72
	ds_load_2addr_b64 v[148:151], v5 offset0:73 offset1:74
	;; [unrolled: 1-line block ×16, first 2 shown]
	s_mov_b32 s0, exec_lo
	s_wait_dscnt 0xf
	v_dual_mov_b32 v210, v147 :: v_dual_mov_b32 v211, v146
	s_wait_dscnt 0xe
	v_dual_mov_b32 v212, v151 :: v_dual_mov_b32 v213, v150
	;; [unrolled: 2-line block ×4, first 2 shown]
	s_wait_loadcnt_dscnt 0x100b
	v_dual_mul_f32 v5, v160, v81 :: v_dual_mul_f32 v7, v162, v83
	v_dual_mul_f32 v51, v161, v81 :: v_dual_mul_f32 v53, v163, v83
	s_wait_loadcnt_dscnt 0xf0a
	v_dual_mul_f32 v11, v164, v85 :: v_dual_mul_f32 v13, v166, v87
	s_delay_alu instid0(VALU_DEP_2) | instskip(SKIP_3) | instid1(VALU_DEP_3)
	v_dual_fmac_f32 v5, v161, v80 :: v_dual_fma_f32 v51, v160, v80, -v51
	v_dual_mul_f32 v55, v165, v85 :: v_dual_mul_f32 v57, v167, v87
	s_wait_loadcnt_dscnt 0xd08
	v_dual_mul_f32 v63, v173, v93 :: v_dual_fmac_f32 v7, v163, v82
	v_dual_fma_f32 v53, v162, v82, -v53 :: v_dual_add_f32 v5, 0, v5
	v_dual_add_f32 v51, 0, v51 :: v_dual_fmac_f32 v11, v165, v84
	v_dual_mul_f32 v65, v175, v95 :: v_dual_fma_f32 v55, v164, v84, -v55
	s_delay_alu instid0(VALU_DEP_2)
	v_dual_add_f32 v5, v5, v7 :: v_dual_add_f32 v7, v51, v53
	v_dual_mul_f32 v15, v168, v89 :: v_dual_mul_f32 v17, v170, v91
	v_dual_mul_f32 v59, v169, v89 :: v_dual_mul_f32 v61, v171, v91
	s_wait_loadcnt_dscnt 0xc07
	v_dual_mul_f32 v51, v177, v97 :: v_dual_fmac_f32 v13, v167, v86
	v_dual_fma_f32 v53, v166, v86, -v57 :: v_dual_add_f32 v5, v5, v11
	v_dual_add_f32 v7, v7, v55 :: v_dual_fmac_f32 v15, v169, v88
	v_dual_mul_f32 v11, v179, v99 :: v_dual_fma_f32 v55, v168, v88, -v59
	s_delay_alu instid0(VALU_DEP_3) | instskip(NEXT) | instid1(VALU_DEP_3)
	v_dual_add_f32 v5, v5, v13 :: v_dual_fmac_f32 v17, v171, v90
	v_dual_add_f32 v7, v7, v53 :: v_dual_fma_f32 v53, v170, v90, -v61
	v_dual_mul_f32 v19, v172, v93 :: v_dual_mul_f32 v21, v174, v95
	s_wait_loadcnt_dscnt 0xb06
	s_delay_alu instid0(VALU_DEP_2) | instskip(SKIP_1) | instid1(VALU_DEP_3)
	v_dual_mul_f32 v13, v181, v101 :: v_dual_add_f32 v7, v7, v55
	v_dual_add_f32 v5, v5, v15 :: v_dual_fma_f32 v55, v172, v92, -v63
	v_dual_mul_f32 v15, v183, v103 :: v_dual_fmac_f32 v19, v173, v92
	s_delay_alu instid0(VALU_DEP_3) | instskip(NEXT) | instid1(VALU_DEP_3)
	v_dual_add_f32 v7, v7, v53 :: v_dual_fma_f32 v53, v174, v94, -v65
	v_dual_add_f32 v5, v5, v17 :: v_dual_fmac_f32 v21, v175, v94
	v_dual_mul_f32 v23, v176, v97 :: v_dual_mul_f32 v25, v178, v99
	s_wait_loadcnt_dscnt 0xa05
	s_delay_alu instid0(VALU_DEP_3) | instskip(NEXT) | instid1(VALU_DEP_3)
	v_dual_mul_f32 v17, v185, v105 :: v_dual_add_f32 v7, v7, v55
	v_dual_add_f32 v5, v5, v19 :: v_dual_fma_f32 v51, v176, v96, -v51
	s_delay_alu instid0(VALU_DEP_3) | instskip(NEXT) | instid1(VALU_DEP_3)
	v_dual_mul_f32 v19, v187, v107 :: v_dual_fmac_f32 v23, v177, v96
	v_dual_add_f32 v7, v7, v53 :: v_dual_fma_f32 v11, v178, v98, -v11
	s_delay_alu instid0(VALU_DEP_3) | instskip(SKIP_2) | instid1(VALU_DEP_3)
	v_dual_add_f32 v5, v5, v21 :: v_dual_fmac_f32 v25, v179, v98
	v_dual_mul_f32 v27, v180, v101 :: v_dual_mul_f32 v29, v182, v103
	s_wait_loadcnt_dscnt 0x904
	v_dual_mul_f32 v21, v189, v109 :: v_dual_add_f32 v7, v7, v51
	s_delay_alu instid0(VALU_DEP_3) | instskip(NEXT) | instid1(VALU_DEP_3)
	v_dual_add_f32 v5, v5, v23 :: v_dual_fma_f32 v13, v180, v100, -v13
	v_dual_mul_f32 v23, v191, v111 :: v_dual_fmac_f32 v27, v181, v100
	s_delay_alu instid0(VALU_DEP_2) | instskip(SKIP_3) | instid1(VALU_DEP_3)
	v_dual_add_f32 v7, v7, v11 :: v_dual_add_f32 v5, v5, v25
	v_dual_mul_f32 v31, v184, v105 :: v_dual_mul_f32 v33, v186, v107
	s_wait_loadcnt_dscnt 0x803
	v_dual_mul_f32 v11, v193, v113 :: v_dual_fmac_f32 v29, v183, v102
	v_dual_fma_f32 v15, v182, v102, -v15 :: v_dual_add_f32 v5, v5, v27
	s_delay_alu instid0(VALU_DEP_3) | instskip(SKIP_1) | instid1(VALU_DEP_2)
	v_dual_add_f32 v7, v7, v13 :: v_dual_fmac_f32 v31, v185, v104
	v_dual_mul_f32 v13, v195, v115 :: v_dual_fma_f32 v17, v184, v104, -v17
	v_dual_add_f32 v5, v5, v29 :: v_dual_add_f32 v7, v7, v15
	v_dual_mul_f32 v35, v188, v109 :: v_dual_mul_f32 v37, v190, v111
	s_wait_loadcnt_dscnt 0x702
	v_dual_mul_f32 v15, v197, v117 :: v_dual_fmac_f32 v33, v187, v106
	s_delay_alu instid0(VALU_DEP_3) | instskip(NEXT) | instid1(VALU_DEP_3)
	v_dual_fma_f32 v19, v186, v106, -v19 :: v_dual_add_f32 v5, v5, v31
	v_dual_add_f32 v7, v7, v17 :: v_dual_fmac_f32 v35, v189, v108
	v_dual_mul_f32 v17, v199, v119 :: v_dual_fma_f32 v21, v188, v108, -v21
	s_delay_alu instid0(VALU_DEP_2) | instskip(SKIP_3) | instid1(VALU_DEP_3)
	v_dual_add_f32 v5, v5, v33 :: v_dual_add_f32 v7, v7, v19
	v_dual_mul_f32 v39, v192, v113 :: v_dual_mul_f32 v41, v194, v115
	s_wait_loadcnt_dscnt 0x601
	v_dual_mul_f32 v19, v201, v121 :: v_dual_fmac_f32 v37, v191, v110
	v_dual_fma_f32 v23, v190, v110, -v23 :: v_dual_add_f32 v5, v5, v35
	s_delay_alu instid0(VALU_DEP_3) | instskip(SKIP_1) | instid1(VALU_DEP_2)
	v_dual_add_f32 v7, v7, v21 :: v_dual_fmac_f32 v39, v193, v112
	v_dual_mul_f32 v21, v203, v123 :: v_dual_fma_f32 v11, v192, v112, -v11
	v_dual_add_f32 v5, v5, v37 :: v_dual_add_f32 v7, v7, v23
	v_dual_mul_f32 v43, v196, v117 :: v_dual_mul_f32 v45, v198, v119
	s_wait_loadcnt_dscnt 0x500
	v_dual_mul_f32 v23, v205, v125 :: v_dual_fmac_f32 v41, v195, v114
	s_delay_alu instid0(VALU_DEP_3) | instskip(NEXT) | instid1(VALU_DEP_3)
	v_dual_fma_f32 v13, v194, v114, -v13 :: v_dual_add_f32 v5, v5, v39
	v_dual_add_f32 v7, v7, v11 :: v_dual_fmac_f32 v43, v197, v116
	v_dual_mul_f32 v11, v207, v127 :: v_dual_fma_f32 v15, v196, v116, -v15
	s_delay_alu instid0(VALU_DEP_3) | instskip(NEXT) | instid1(VALU_DEP_3)
	v_dual_add_f32 v5, v5, v41 :: v_dual_fmac_f32 v45, v199, v118
	v_dual_add_f32 v7, v7, v13 :: v_dual_fma_f32 v13, v198, v118, -v17
	v_dual_mul_f32 v47, v200, v121 :: v_dual_mul_f32 v49, v202, v123
	s_wait_loadcnt 0x4
	s_delay_alu instid0(VALU_DEP_3) | instskip(NEXT) | instid1(VALU_DEP_2)
	v_dual_add_f32 v5, v5, v43 :: v_dual_mov_b32 v82, v131
	v_dual_add_f32 v7, v7, v15 :: v_dual_fmac_f32 v47, v201, v120
	s_delay_alu instid0(VALU_DEP_2) | instskip(SKIP_1) | instid1(VALU_DEP_3)
	v_dual_fma_f32 v15, v200, v120, -v19 :: v_dual_add_f32 v5, v5, v45
	v_dual_mul_f32 v219, v204, v125 :: v_dual_mul_f32 v221, v206, v127
	v_dual_add_f32 v7, v7, v13 :: v_dual_fma_f32 v13, v202, v122, -v21
	s_delay_alu instid0(VALU_DEP_3) | instskip(SKIP_1) | instid1(VALU_DEP_3)
	v_dual_fmac_f32 v49, v203, v122 :: v_dual_add_f32 v5, v5, v47
	v_pk_mul_f32 v[80:81], v[144:145], v[128:129] op_sel:[1,1] op_sel_hi:[0,1]
	v_dual_add_f32 v7, v7, v15 :: v_dual_fmac_f32 v219, v205, v124
	s_wait_loadcnt 0x3
	v_dual_mov_b32 v86, v135 :: v_dual_fma_f32 v218, v204, v124, -v23
	v_dual_add_f32 v89, v5, v49 :: v_dual_fmac_f32 v221, v207, v126
	s_delay_alu instid0(VALU_DEP_3) | instskip(SKIP_3) | instid1(VALU_DEP_4)
	v_dual_add_f32 v88, v7, v13 :: v_dual_fma_f32 v220, v206, v126, -v11
	v_pk_fma_f32 v[90:91], v[144:145], v[128:129], v[80:81] op_sel_hi:[1,0,1]
	v_pk_mul_f32 v[82:83], v[210:211], v[82:83] op_sel_hi:[1,0]
	v_pk_fma_f32 v[80:81], v[144:145], v[128:129], v[80:81] neg_lo:[0,0,1] neg_hi:[0,0,1]
	v_pk_add_f32 v[88:89], v[88:89], v[218:219]
	v_pk_mul_f32 v[84:85], v[148:149], v[132:133] op_sel:[1,1] op_sel_hi:[0,1]
	v_mov_b32_e32 v81, v91
	v_pk_fma_f32 v[90:91], v[146:147], v[130:131], v[82:83] op_sel_hi:[1,0,1]
	v_pk_fma_f32 v[82:83], v[146:147], v[130:131], v[82:83] neg_lo:[0,0,1] neg_hi:[0,0,1]
	v_pk_add_f32 v[88:89], v[88:89], v[220:221]
	v_pk_fma_f32 v[94:95], v[148:149], v[132:133], v[84:85] op_sel_hi:[1,0,1]
	v_pk_mul_f32 v[86:87], v[212:213], v[86:87] op_sel_hi:[1,0]
	v_mov_b32_e32 v83, v91
	s_wait_loadcnt 0x2
	v_pk_mul_f32 v[92:93], v[152:153], v[136:137] op_sel:[1,1] op_sel_hi:[0,1]
	v_pk_add_f32 v[80:81], v[88:89], v[80:81]
	v_mov_b32_e32 v88, v139
	v_pk_fma_f32 v[84:85], v[148:149], v[132:133], v[84:85] neg_lo:[0,0,1] neg_hi:[0,0,1]
	v_mov_b32_e32 v85, v95
	v_pk_fma_f32 v[90:91], v[150:151], v[134:135], v[86:87] op_sel_hi:[1,0,1]
	v_pk_add_f32 v[80:81], v[80:81], v[82:83]
	v_pk_fma_f32 v[82:83], v[152:153], v[136:137], v[92:93] op_sel_hi:[1,0,1]
	v_pk_mul_f32 v[88:89], v[214:215], v[88:89] op_sel_hi:[1,0]
	v_pk_fma_f32 v[86:87], v[150:151], v[134:135], v[86:87] neg_lo:[0,0,1] neg_hi:[0,0,1]
	v_mov_b32_e32 v87, v91
	v_pk_add_f32 v[80:81], v[80:81], v[84:85]
	v_pk_fma_f32 v[90:91], v[152:153], v[136:137], v[92:93] neg_lo:[0,0,1] neg_hi:[0,0,1]
	v_mov_b32_e32 v91, v83
	v_pk_fma_f32 v[82:83], v[154:155], v[138:139], v[88:89] op_sel_hi:[1,0,1]
	s_wait_loadcnt 0x1
	v_pk_mul_f32 v[84:85], v[156:157], v[140:141] op_sel:[1,1] op_sel_hi:[0,1]
	v_pk_add_f32 v[80:81], v[80:81], v[86:87]
	v_mov_b32_e32 v82, v143
	v_pk_fma_f32 v[88:89], v[154:155], v[138:139], v[88:89] neg_lo:[0,0,1] neg_hi:[0,0,1]
	v_mov_b32_e32 v89, v83
	v_pk_fma_f32 v[86:87], v[156:157], v[140:141], v[84:85] op_sel_hi:[1,0,1]
	v_pk_add_f32 v[80:81], v[80:81], v[90:91]
	v_pk_mul_f32 v[82:83], v[216:217], v[82:83] op_sel_hi:[1,0]
	v_pk_fma_f32 v[84:85], v[156:157], v[140:141], v[84:85] neg_lo:[0,0,1] neg_hi:[0,0,1]
	s_delay_alu instid0(VALU_DEP_4) | instskip(NEXT) | instid1(VALU_DEP_4)
	v_mov_b32_e32 v85, v87
	v_pk_add_f32 v[80:81], v[80:81], v[88:89]
	s_delay_alu instid0(VALU_DEP_4) | instskip(SKIP_1) | instid1(VALU_DEP_2)
	v_pk_fma_f32 v[86:87], v[158:159], v[142:143], v[82:83] op_sel_hi:[1,0,1]
	v_pk_fma_f32 v[82:83], v[158:159], v[142:143], v[82:83] neg_lo:[0,0,1] neg_hi:[0,0,1]
	v_mov_b32_e32 v83, v87
	s_delay_alu instid0(VALU_DEP_4) | instskip(NEXT) | instid1(VALU_DEP_1)
	v_pk_add_f32 v[80:81], v[80:81], v[84:85]
	v_pk_add_f32 v[80:81], v[80:81], v[82:83]
	s_wait_loadcnt 0x0
	s_delay_alu instid0(VALU_DEP_1)
	v_pk_add_f32 v[80:81], v[208:209], v[80:81] neg_lo:[0,1] neg_hi:[0,1]
	scratch_store_b64 off, v[80:81], off offset:48
	s_wait_xcnt 0x0
	v_cmpx_lt_u32_e32 5, v0
	s_cbranch_execz .LBB38_237
; %bb.236:
	scratch_load_b64 v[80:81], off, off offset:40
	v_mov_b64_e32 v[82:83], 0
	scratch_store_b64 off, v[82:83], off offset:40
	s_wait_loadcnt 0x0
	ds_store_b64 v1, v[80:81]
.LBB38_237:
	s_wait_xcnt 0x0
	s_or_b32 exec_lo, exec_lo, s0
	s_wait_storecnt_dscnt 0x0
	s_barrier_signal -1
	s_barrier_wait -1
	s_clause 0x11
	scratch_load_b128 v[80:83], off, off offset:48
	scratch_load_b128 v[84:87], off, off offset:64
	;; [unrolled: 1-line block ×16, first 2 shown]
	scratch_load_b64 v[208:209], off, off offset:304
	scratch_load_b64 v[210:211], off, off offset:40
	v_mov_b32_e32 v5, 0
	ds_load_b128 v[144:147], v5 offset:560
	ds_load_b128 v[148:151], v5 offset:576
	;; [unrolled: 1-line block ×16, first 2 shown]
	ds_load_b64 v[212:213], v5 offset:624
	s_mov_b32 s0, exec_lo
	s_wait_dscnt 0x10
	v_dual_mov_b32 v214, v147 :: v_dual_mov_b32 v215, v146
	s_wait_dscnt 0xd
	v_dual_mov_b32 v216, v151 :: v_dual_mov_b32 v221, v158
	v_dual_mov_b32 v217, v150 :: v_dual_mov_b32 v218, v155
	;; [unrolled: 1-line block ×3, first 2 shown]
	s_wait_loadcnt_dscnt 0x110c
	v_dual_mul_f32 v7, v160, v81 :: v_dual_mul_f32 v55, v161, v81
	v_dual_mul_f32 v57, v163, v83 :: v_dual_mul_f32 v11, v162, v83
	s_wait_loadcnt_dscnt 0x100b
	v_mul_f32_e32 v13, v164, v85
	s_wait_loadcnt_dscnt 0xe09
	v_dual_mul_f32 v67, v173, v93 :: v_dual_fma_f32 v55, v160, v80, -v55
	v_dual_fmac_f32 v7, v161, v80 :: v_dual_mul_f32 v69, v175, v95
	v_dual_mul_f32 v59, v165, v85 :: v_dual_mul_f32 v61, v167, v87
	v_dual_fmac_f32 v11, v163, v82 :: v_dual_fma_f32 v57, v162, v82, -v57
	s_wait_loadcnt_dscnt 0xd08
	s_delay_alu instid0(VALU_DEP_3) | instskip(SKIP_1) | instid1(VALU_DEP_2)
	v_dual_add_f32 v7, 0, v7 :: v_dual_mul_f32 v71, v177, v97
	v_dual_add_f32 v55, 0, v55 :: v_dual_fmac_f32 v13, v165, v84
	v_dual_fma_f32 v59, v164, v84, -v59 :: v_dual_add_f32 v7, v7, v11
	v_dual_mul_f32 v63, v169, v89 :: v_dual_mul_f32 v65, v171, v91
	s_delay_alu instid0(VALU_DEP_3) | instskip(SKIP_2) | instid1(VALU_DEP_3)
	v_dual_add_f32 v11, v55, v57 :: v_dual_fma_f32 v57, v166, v86, -v61
	v_dual_mul_f32 v15, v166, v87 :: v_dual_mul_f32 v17, v168, v89
	v_dual_mul_f32 v19, v170, v91 :: v_dual_mul_f32 v21, v172, v93
	v_add_f32_e32 v11, v11, v59
	v_dual_add_f32 v7, v7, v13 :: v_dual_fma_f32 v59, v168, v88, -v63
	v_dual_mul_f32 v23, v174, v95 :: v_dual_mul_f32 v25, v176, v97
	s_delay_alu instid0(VALU_DEP_3) | instskip(SKIP_1) | instid1(VALU_DEP_2)
	v_dual_add_f32 v11, v11, v57 :: v_dual_fmac_f32 v21, v173, v92
	v_dual_fmac_f32 v15, v167, v86 :: v_dual_fmac_f32 v17, v169, v88
	v_dual_fma_f32 v57, v170, v90, -v65 :: v_dual_add_f32 v11, v11, v59
	s_delay_alu instid0(VALU_DEP_4) | instskip(SKIP_1) | instid1(VALU_DEP_3)
	v_dual_fmac_f32 v25, v177, v96 :: v_dual_mul_f32 v55, v179, v99
	s_wait_loadcnt_dscnt 0xc07
	v_dual_mul_f32 v13, v181, v101 :: v_dual_add_f32 v7, v7, v15
	v_dual_mul_f32 v15, v183, v103 :: v_dual_fma_f32 v59, v172, v92, -v67
	s_delay_alu instid0(VALU_DEP_3) | instskip(SKIP_1) | instid1(VALU_DEP_4)
	v_dual_add_f32 v11, v11, v57 :: v_dual_fma_f32 v55, v178, v98, -v55
	v_fmac_f32_e32 v19, v171, v90
	v_dual_add_f32 v7, v7, v17 :: v_dual_fma_f32 v57, v174, v94, -v69
	s_delay_alu instid0(VALU_DEP_3) | instskip(SKIP_2) | instid1(VALU_DEP_3)
	v_dual_add_f32 v11, v11, v59 :: v_dual_fma_f32 v15, v182, v102, -v15
	s_wait_loadcnt_dscnt 0xb06
	v_dual_mul_f32 v31, v182, v103 :: v_dual_mul_f32 v33, v184, v105
	v_dual_add_f32 v7, v7, v19 :: v_dual_fma_f32 v59, v176, v96, -v71
	s_delay_alu instid0(VALU_DEP_3) | instskip(SKIP_4) | instid1(VALU_DEP_3)
	v_dual_add_f32 v11, v11, v57 :: v_dual_mul_f32 v27, v178, v99
	v_dual_mul_f32 v29, v180, v101 :: v_dual_mul_f32 v35, v186, v107
	s_wait_loadcnt_dscnt 0xa05
	v_mul_f32_e32 v37, v188, v109
	v_dual_mul_f32 v17, v185, v105 :: v_dual_fmac_f32 v23, v175, v94
	v_dual_fmac_f32 v29, v181, v100 :: v_dual_add_f32 v7, v7, v21
	v_fma_f32 v13, v180, v100, -v13
	v_dual_fmac_f32 v33, v185, v104 :: v_dual_add_f32 v11, v11, v59
	s_delay_alu instid0(VALU_DEP_3) | instskip(SKIP_1) | instid1(VALU_DEP_3)
	v_dual_fmac_f32 v37, v189, v108 :: v_dual_add_f32 v7, v7, v23
	v_dual_mul_f32 v23, v191, v111 :: v_dual_fma_f32 v17, v184, v104, -v17
	v_add_f32_e32 v11, v11, v55
	s_wait_loadcnt_dscnt 0x803
	v_dual_mul_f32 v43, v194, v115 :: v_dual_mul_f32 v45, v196, v117
	s_delay_alu instid0(VALU_DEP_3) | instskip(NEXT) | instid1(VALU_DEP_3)
	v_dual_fma_f32 v23, v190, v110, -v23 :: v_dual_mul_f32 v19, v187, v107
	v_add_f32_e32 v11, v11, v13
	v_dual_mul_f32 v21, v189, v109 :: v_dual_fmac_f32 v27, v179, v98
	v_mul_f32_e32 v13, v197, v117
	v_add_f32_e32 v7, v7, v25
	s_delay_alu instid0(VALU_DEP_4) | instskip(SKIP_3) | instid1(VALU_DEP_3)
	v_dual_add_f32 v11, v11, v15 :: v_dual_fmac_f32 v45, v197, v116
	v_dual_mul_f32 v25, v193, v113 :: v_dual_fma_f32 v19, v186, v106, -v19
	s_wait_loadcnt_dscnt 0x601
	v_dual_mul_f32 v51, v202, v123 :: v_dual_mul_f32 v53, v204, v125
	v_add_f32_e32 v11, v11, v17
	v_dual_mul_f32 v17, v201, v121 :: v_dual_add_f32 v7, v7, v27
	s_wait_loadcnt 0x5
	v_dual_fma_f32 v21, v188, v108, -v21 :: v_dual_mov_b32 v80, v131
	s_wait_loadcnt 0x4
	v_mov_b32_e32 v84, v135
	v_dual_add_f32 v11, v11, v19 :: v_dual_fmac_f32 v53, v205, v124
	v_dual_mul_f32 v223, v206, v127 :: v_dual_mul_f32 v225, v144, v129
	v_pk_mul_f32 v[80:81], v[214:215], v[80:81] op_sel_hi:[1,0]
	s_delay_alu instid0(VALU_DEP_3)
	v_dual_add_f32 v11, v11, v21 :: v_dual_mul_f32 v39, v190, v111
	v_dual_mul_f32 v41, v192, v113 :: v_dual_mul_f32 v27, v195, v115
	v_dual_mul_f32 v21, v205, v125 :: v_dual_fmac_f32 v31, v183, v102
	v_dual_add_f32 v7, v7, v29 :: v_dual_fma_f32 v25, v192, v112, -v25
	v_fmac_f32_e32 v225, v145, v128
	v_pk_fma_f32 v[92:93], v[146:147], v[130:131], v[80:81] op_sel_hi:[1,0,1]
	v_add_f32_e32 v11, v11, v23
	v_pk_fma_f32 v[80:81], v[146:147], v[130:131], v[80:81] neg_lo:[0,0,1] neg_hi:[0,0,1]
	v_dual_fmac_f32 v41, v193, v112 :: v_dual_add_f32 v7, v7, v31
	s_delay_alu instid0(VALU_DEP_4) | instskip(NEXT) | instid1(VALU_DEP_4)
	v_dual_fma_f32 v27, v194, v114, -v27 :: v_dual_mov_b32 v81, v93
	v_dual_add_f32 v11, v11, v25 :: v_dual_mul_f32 v47, v198, v119
	v_dual_mul_f32 v49, v200, v121 :: v_dual_mul_f32 v15, v199, v119
	v_dual_fma_f32 v13, v196, v116, -v13 :: v_dual_fmac_f32 v35, v187, v106
	v_mul_f32_e32 v25, v145, v129
	s_delay_alu instid0(VALU_DEP_3) | instskip(SKIP_2) | instid1(VALU_DEP_3)
	v_dual_add_f32 v7, v7, v33 :: v_dual_fma_f32 v15, v198, v118, -v15
	v_add_f32_e32 v11, v11, v27
	v_dual_mul_f32 v19, v203, v123 :: v_dual_fmac_f32 v51, v203, v122
	v_dual_fmac_f32 v49, v201, v120 :: v_dual_add_f32 v7, v7, v35
	s_delay_alu instid0(VALU_DEP_3) | instskip(SKIP_2) | instid1(VALU_DEP_3)
	v_add_f32_e32 v11, v11, v13
	v_fmac_f32_e32 v39, v191, v110
	v_dual_mul_f32 v23, v207, v127 :: v_dual_fmac_f32 v223, v207, v126
	v_dual_fma_f32 v13, v200, v120, -v17 :: v_dual_add_f32 v11, v11, v15
	v_dual_fma_f32 v15, v202, v122, -v19 :: v_dual_add_f32 v7, v7, v37
	s_delay_alu instid0(VALU_DEP_3) | instskip(SKIP_1) | instid1(VALU_DEP_4)
	v_fma_f32 v222, v206, v126, -v23
	v_fmac_f32_e32 v43, v195, v114
	v_dual_add_f32 v11, v11, v13 :: v_dual_fma_f32 v13, v204, v124, -v21
	s_delay_alu instid0(VALU_DEP_4) | instskip(SKIP_1) | instid1(VALU_DEP_3)
	v_dual_add_f32 v7, v7, v39 :: v_dual_fma_f32 v224, v144, v128, -v25
	v_fmac_f32_e32 v47, v199, v118
	v_add_f32_e32 v11, v11, v15
	v_pk_mul_f32 v[82:83], v[148:149], v[132:133] op_sel:[1,1] op_sel_hi:[0,1]
	s_delay_alu instid0(VALU_DEP_4)
	v_add_f32_e32 v7, v7, v41
	v_pk_mul_f32 v[84:85], v[216:217], v[84:85] op_sel_hi:[1,0]
	s_wait_loadcnt 0x3
	v_pk_mul_f32 v[86:87], v[152:153], v[136:137] op_sel:[1,1] op_sel_hi:[0,1]
	v_add_f32_e32 v88, v11, v13
	v_pk_fma_f32 v[94:95], v[148:149], v[132:133], v[82:83] op_sel_hi:[1,0,1]
	v_add_f32_e32 v7, v7, v43
	v_pk_fma_f32 v[82:83], v[148:149], v[132:133], v[82:83] neg_lo:[0,0,1] neg_hi:[0,0,1]
	v_mov_b32_e32 v90, v139
	s_wait_loadcnt 0x2
	v_pk_mul_f32 v[92:93], v[156:157], v[140:141] op_sel:[1,1] op_sel_hi:[0,1]
	v_mov_b32_e32 v83, v95
	v_add_f32_e32 v7, v7, v45
	v_pk_fma_f32 v[94:95], v[150:151], v[134:135], v[84:85] op_sel_hi:[1,0,1]
	v_pk_fma_f32 v[84:85], v[150:151], v[134:135], v[84:85] neg_lo:[0,0,1] neg_hi:[0,0,1]
	v_pk_mul_f32 v[90:91], v[218:219], v[90:91] op_sel_hi:[1,0]
	s_delay_alu instid0(VALU_DEP_4) | instskip(NEXT) | instid1(VALU_DEP_4)
	v_add_f32_e32 v7, v7, v47
	v_mov_b32_e32 v85, v95
	s_delay_alu instid0(VALU_DEP_2) | instskip(NEXT) | instid1(VALU_DEP_1)
	v_add_f32_e32 v7, v7, v49
	v_add_f32_e32 v7, v7, v51
	s_delay_alu instid0(VALU_DEP_1) | instskip(NEXT) | instid1(VALU_DEP_1)
	v_add_f32_e32 v89, v7, v53
	v_pk_add_f32 v[88:89], v[88:89], v[222:223]
	s_delay_alu instid0(VALU_DEP_1) | instskip(NEXT) | instid1(VALU_DEP_1)
	v_pk_add_f32 v[88:89], v[88:89], v[224:225]
	v_pk_add_f32 v[80:81], v[88:89], v[80:81]
	v_pk_fma_f32 v[88:89], v[152:153], v[136:137], v[86:87] op_sel_hi:[1,0,1]
	v_pk_fma_f32 v[86:87], v[152:153], v[136:137], v[86:87] neg_lo:[0,0,1] neg_hi:[0,0,1]
	s_delay_alu instid0(VALU_DEP_3) | instskip(NEXT) | instid1(VALU_DEP_3)
	v_pk_add_f32 v[80:81], v[80:81], v[82:83]
	v_dual_mov_b32 v82, v143 :: v_dual_mov_b32 v87, v89
	v_pk_fma_f32 v[88:89], v[154:155], v[138:139], v[90:91] op_sel_hi:[1,0,1]
	v_pk_fma_f32 v[90:91], v[154:155], v[138:139], v[90:91] neg_lo:[0,0,1] neg_hi:[0,0,1]
	s_delay_alu instid0(VALU_DEP_4)
	v_pk_add_f32 v[80:81], v[80:81], v[84:85]
	v_pk_fma_f32 v[84:85], v[156:157], v[140:141], v[92:93] op_sel_hi:[1,0,1]
	v_pk_mul_f32 v[82:83], v[220:221], v[82:83] op_sel_hi:[1,0]
	v_mov_b32_e32 v91, v89
	s_wait_loadcnt_dscnt 0x100
	v_pk_mul_f32 v[88:89], v[212:213], v[208:209] op_sel:[1,1] op_sel_hi:[0,1]
	v_pk_add_f32 v[80:81], v[80:81], v[86:87]
	v_pk_fma_f32 v[86:87], v[156:157], v[140:141], v[92:93] neg_lo:[0,0,1] neg_hi:[0,0,1]
	v_mov_b32_e32 v87, v85
	v_pk_fma_f32 v[84:85], v[158:159], v[142:143], v[82:83] op_sel_hi:[1,0,1]
	v_pk_fma_f32 v[82:83], v[158:159], v[142:143], v[82:83] neg_lo:[0,0,1] neg_hi:[0,0,1]
	v_pk_add_f32 v[80:81], v[80:81], v[90:91]
	s_delay_alu instid0(VALU_DEP_3) | instskip(SKIP_1) | instid1(VALU_DEP_3)
	v_mov_b32_e32 v83, v85
	v_pk_fma_f32 v[84:85], v[212:213], v[208:209], v[88:89] op_sel_hi:[1,0,1]
	v_pk_add_f32 v[80:81], v[80:81], v[86:87]
	v_pk_fma_f32 v[86:87], v[212:213], v[208:209], v[88:89] neg_lo:[0,0,1] neg_hi:[0,0,1]
	s_delay_alu instid0(VALU_DEP_3) | instskip(NEXT) | instid1(VALU_DEP_3)
	v_mov_b32_e32 v87, v85
	v_pk_add_f32 v[80:81], v[80:81], v[82:83]
	s_delay_alu instid0(VALU_DEP_1) | instskip(SKIP_1) | instid1(VALU_DEP_1)
	v_pk_add_f32 v[80:81], v[80:81], v[86:87]
	s_wait_loadcnt 0x0
	v_pk_add_f32 v[80:81], v[210:211], v[80:81] neg_lo:[0,1] neg_hi:[0,1]
	scratch_store_b64 off, v[80:81], off offset:40
	s_wait_xcnt 0x0
	v_cmpx_lt_u32_e32 4, v0
	s_cbranch_execz .LBB38_239
; %bb.238:
	scratch_load_b64 v[80:81], off, off offset:32
	v_mov_b64_e32 v[82:83], 0
	scratch_store_b64 off, v[82:83], off offset:32
	s_wait_loadcnt 0x0
	ds_store_b64 v1, v[80:81]
.LBB38_239:
	s_wait_xcnt 0x0
	s_or_b32 exec_lo, exec_lo, s0
	s_wait_storecnt_dscnt 0x0
	s_barrier_signal -1
	s_barrier_wait -1
	s_clause 0x11
	scratch_load_b128 v[80:83], off, off offset:40
	scratch_load_b128 v[84:87], off, off offset:56
	;; [unrolled: 1-line block ×17, first 2 shown]
	scratch_load_b64 v[216:217], off, off offset:32
	ds_load_2addr_b64 v[148:151], v5 offset0:71 offset1:72
	ds_load_2addr_b64 v[152:155], v5 offset0:73 offset1:74
	ds_load_2addr_b64 v[156:159], v5 offset0:75 offset1:76
	ds_load_2addr_b64 v[160:163], v5 offset0:77 offset1:78
	ds_load_2addr_b64 v[164:167], v5 offset0:69 offset1:70
	ds_load_2addr_b64 v[168:171], v5 offset0:45 offset1:46
	ds_load_2addr_b64 v[172:175], v5 offset0:47 offset1:48
	ds_load_2addr_b64 v[176:179], v5 offset0:49 offset1:50
	ds_load_2addr_b64 v[180:183], v5 offset0:51 offset1:52
	ds_load_2addr_b64 v[184:187], v5 offset0:53 offset1:54
	ds_load_2addr_b64 v[188:191], v5 offset0:55 offset1:56
	ds_load_2addr_b64 v[192:195], v5 offset0:57 offset1:58
	ds_load_2addr_b64 v[196:199], v5 offset0:59 offset1:60
	ds_load_2addr_b64 v[200:203], v5 offset0:61 offset1:62
	ds_load_2addr_b64 v[204:207], v5 offset0:63 offset1:64
	ds_load_2addr_b64 v[208:211], v5 offset0:65 offset1:66
	ds_load_2addr_b64 v[212:215], v5 offset0:67 offset1:68
	s_mov_b32 s0, exec_lo
	s_wait_dscnt 0x10
	v_dual_mov_b32 v218, v151 :: v_dual_mov_b32 v219, v150
	s_wait_dscnt 0xf
	v_dual_mov_b32 v220, v155 :: v_dual_mov_b32 v221, v154
	;; [unrolled: 2-line block ×4, first 2 shown]
	s_wait_loadcnt_dscnt 0x110b
	v_dual_mul_f32 v5, v168, v81 :: v_dual_mul_f32 v7, v170, v83
	v_dual_mul_f32 v55, v169, v81 :: v_dual_mul_f32 v57, v171, v83
	s_wait_loadcnt_dscnt 0x100a
	v_dual_mul_f32 v11, v172, v85 :: v_dual_mul_f32 v13, v174, v87
	s_delay_alu instid0(VALU_DEP_2) | instskip(SKIP_3) | instid1(VALU_DEP_3)
	v_dual_fmac_f32 v5, v169, v80 :: v_dual_fma_f32 v55, v168, v80, -v55
	v_dual_mul_f32 v59, v173, v85 :: v_dual_mul_f32 v61, v175, v87
	s_wait_loadcnt_dscnt 0xe08
	v_dual_mul_f32 v67, v181, v93 :: v_dual_fmac_f32 v7, v171, v82
	v_dual_fma_f32 v57, v170, v82, -v57 :: v_dual_add_f32 v5, 0, v5
	v_dual_add_f32 v55, 0, v55 :: v_dual_fmac_f32 v11, v173, v84
	v_dual_mul_f32 v69, v183, v95 :: v_dual_fma_f32 v59, v172, v84, -v59
	s_delay_alu instid0(VALU_DEP_2)
	v_dual_add_f32 v5, v5, v7 :: v_dual_add_f32 v7, v55, v57
	v_dual_mul_f32 v15, v176, v89 :: v_dual_mul_f32 v17, v178, v91
	v_dual_mul_f32 v63, v177, v89 :: v_dual_mul_f32 v65, v179, v91
	s_wait_loadcnt_dscnt 0xd07
	v_dual_mul_f32 v55, v185, v97 :: v_dual_fmac_f32 v13, v175, v86
	v_dual_fma_f32 v57, v174, v86, -v61 :: v_dual_add_f32 v5, v5, v11
	v_dual_add_f32 v7, v7, v59 :: v_dual_fmac_f32 v15, v177, v88
	v_dual_mul_f32 v11, v187, v99 :: v_dual_fma_f32 v59, v176, v88, -v63
	s_delay_alu instid0(VALU_DEP_3) | instskip(NEXT) | instid1(VALU_DEP_3)
	v_dual_add_f32 v5, v5, v13 :: v_dual_fmac_f32 v17, v179, v90
	v_dual_add_f32 v7, v7, v57 :: v_dual_fma_f32 v57, v178, v90, -v65
	v_dual_mul_f32 v19, v180, v93 :: v_dual_mul_f32 v21, v182, v95
	s_wait_loadcnt_dscnt 0xc06
	s_delay_alu instid0(VALU_DEP_2) | instskip(SKIP_1) | instid1(VALU_DEP_3)
	v_dual_mul_f32 v13, v189, v101 :: v_dual_add_f32 v7, v7, v59
	v_dual_add_f32 v5, v5, v15 :: v_dual_fma_f32 v59, v180, v92, -v67
	v_dual_mul_f32 v15, v191, v103 :: v_dual_fmac_f32 v19, v181, v92
	s_delay_alu instid0(VALU_DEP_3) | instskip(NEXT) | instid1(VALU_DEP_3)
	v_dual_add_f32 v7, v7, v57 :: v_dual_fma_f32 v57, v182, v94, -v69
	v_dual_add_f32 v5, v5, v17 :: v_dual_fmac_f32 v21, v183, v94
	v_dual_mul_f32 v23, v184, v97 :: v_dual_mul_f32 v25, v186, v99
	s_wait_loadcnt_dscnt 0xb05
	s_delay_alu instid0(VALU_DEP_3) | instskip(NEXT) | instid1(VALU_DEP_3)
	v_dual_mul_f32 v17, v193, v105 :: v_dual_add_f32 v7, v7, v59
	v_dual_add_f32 v5, v5, v19 :: v_dual_fma_f32 v55, v184, v96, -v55
	s_delay_alu instid0(VALU_DEP_3) | instskip(NEXT) | instid1(VALU_DEP_3)
	v_dual_mul_f32 v19, v195, v107 :: v_dual_fmac_f32 v23, v185, v96
	v_dual_add_f32 v7, v7, v57 :: v_dual_fma_f32 v11, v186, v98, -v11
	s_delay_alu instid0(VALU_DEP_3) | instskip(SKIP_2) | instid1(VALU_DEP_3)
	v_dual_add_f32 v5, v5, v21 :: v_dual_fmac_f32 v25, v187, v98
	v_dual_mul_f32 v27, v188, v101 :: v_dual_mul_f32 v29, v190, v103
	s_wait_loadcnt_dscnt 0xa04
	v_dual_mul_f32 v21, v197, v109 :: v_dual_add_f32 v7, v7, v55
	s_delay_alu instid0(VALU_DEP_3) | instskip(NEXT) | instid1(VALU_DEP_3)
	v_dual_add_f32 v5, v5, v23 :: v_dual_fma_f32 v13, v188, v100, -v13
	v_dual_mul_f32 v23, v199, v111 :: v_dual_fmac_f32 v27, v189, v100
	s_delay_alu instid0(VALU_DEP_2) | instskip(SKIP_3) | instid1(VALU_DEP_3)
	v_dual_add_f32 v7, v7, v11 :: v_dual_add_f32 v5, v5, v25
	v_dual_mul_f32 v31, v192, v105 :: v_dual_mul_f32 v33, v194, v107
	s_wait_loadcnt_dscnt 0x903
	v_dual_mul_f32 v11, v201, v113 :: v_dual_fmac_f32 v29, v191, v102
	v_dual_fma_f32 v15, v190, v102, -v15 :: v_dual_add_f32 v5, v5, v27
	s_delay_alu instid0(VALU_DEP_3) | instskip(SKIP_1) | instid1(VALU_DEP_2)
	v_dual_add_f32 v7, v7, v13 :: v_dual_fmac_f32 v31, v193, v104
	v_dual_mul_f32 v13, v203, v115 :: v_dual_fma_f32 v17, v192, v104, -v17
	v_dual_add_f32 v5, v5, v29 :: v_dual_add_f32 v7, v7, v15
	v_dual_mul_f32 v35, v196, v109 :: v_dual_mul_f32 v37, v198, v111
	s_wait_loadcnt_dscnt 0x802
	v_dual_mul_f32 v15, v205, v117 :: v_dual_fmac_f32 v33, v195, v106
	s_delay_alu instid0(VALU_DEP_3) | instskip(NEXT) | instid1(VALU_DEP_3)
	v_dual_fma_f32 v19, v194, v106, -v19 :: v_dual_add_f32 v5, v5, v31
	v_dual_add_f32 v7, v7, v17 :: v_dual_fmac_f32 v35, v197, v108
	v_dual_mul_f32 v17, v207, v119 :: v_dual_fma_f32 v21, v196, v108, -v21
	s_delay_alu instid0(VALU_DEP_2) | instskip(SKIP_3) | instid1(VALU_DEP_3)
	v_dual_add_f32 v5, v5, v33 :: v_dual_add_f32 v7, v7, v19
	v_dual_mul_f32 v39, v200, v113 :: v_dual_mul_f32 v41, v202, v115
	s_wait_loadcnt_dscnt 0x701
	v_dual_mul_f32 v19, v209, v121 :: v_dual_fmac_f32 v37, v199, v110
	v_dual_fma_f32 v23, v198, v110, -v23 :: v_dual_add_f32 v5, v5, v35
	s_delay_alu instid0(VALU_DEP_3) | instskip(SKIP_1) | instid1(VALU_DEP_2)
	v_dual_add_f32 v7, v7, v21 :: v_dual_fmac_f32 v39, v201, v112
	v_dual_mul_f32 v21, v211, v123 :: v_dual_fma_f32 v11, v200, v112, -v11
	v_dual_add_f32 v5, v5, v37 :: v_dual_add_f32 v7, v7, v23
	v_dual_mul_f32 v43, v204, v117 :: v_dual_mul_f32 v45, v206, v119
	s_wait_loadcnt_dscnt 0x600
	v_dual_mul_f32 v23, v213, v125 :: v_dual_fmac_f32 v41, v203, v114
	s_delay_alu instid0(VALU_DEP_3) | instskip(NEXT) | instid1(VALU_DEP_3)
	v_dual_fma_f32 v13, v202, v114, -v13 :: v_dual_add_f32 v5, v5, v39
	v_dual_add_f32 v7, v7, v11 :: v_dual_fmac_f32 v43, v205, v116
	v_dual_mul_f32 v11, v215, v127 :: v_dual_fma_f32 v15, v204, v116, -v15
	s_delay_alu instid0(VALU_DEP_3) | instskip(NEXT) | instid1(VALU_DEP_3)
	v_dual_add_f32 v5, v5, v41 :: v_dual_fmac_f32 v45, v207, v118
	v_dual_add_f32 v7, v7, v13 :: v_dual_fma_f32 v17, v206, v118, -v17
	v_dual_mul_f32 v47, v208, v121 :: v_dual_mul_f32 v49, v210, v123
	s_wait_loadcnt 0x5
	s_delay_alu instid0(VALU_DEP_2) | instskip(SKIP_1) | instid1(VALU_DEP_3)
	v_dual_mul_f32 v13, v165, v129 :: v_dual_add_f32 v7, v7, v15
	v_dual_add_f32 v5, v5, v43 :: v_dual_fma_f32 v19, v208, v120, -v19
	v_dual_mul_f32 v15, v167, v131 :: v_dual_fmac_f32 v47, v209, v120
	s_delay_alu instid0(VALU_DEP_3) | instskip(NEXT) | instid1(VALU_DEP_3)
	v_dual_add_f32 v7, v7, v17 :: v_dual_fma_f32 v17, v210, v122, -v21
	v_dual_add_f32 v5, v5, v45 :: v_dual_fmac_f32 v49, v211, v122
	v_dual_mul_f32 v51, v212, v125 :: v_dual_mul_f32 v53, v214, v127
	s_delay_alu instid0(VALU_DEP_3) | instskip(SKIP_1) | instid1(VALU_DEP_3)
	v_add_f32_e32 v7, v7, v19
	s_wait_loadcnt 0x4
	v_dual_add_f32 v5, v5, v47 :: v_dual_mov_b32 v82, v135
	s_delay_alu instid0(VALU_DEP_3) | instskip(NEXT) | instid1(VALU_DEP_3)
	v_fmac_f32_e32 v51, v213, v124
	v_dual_fma_f32 v19, v212, v124, -v23 :: v_dual_add_f32 v7, v7, v17
	s_delay_alu instid0(VALU_DEP_3) | instskip(SKIP_2) | instid1(VALU_DEP_4)
	v_dual_fma_f32 v11, v214, v126, -v11 :: v_dual_add_f32 v5, v5, v49
	v_dual_mul_f32 v227, v164, v129 :: v_dual_mul_f32 v229, v166, v131
	v_fmac_f32_e32 v53, v215, v126
	v_add_f32_e32 v7, v7, v19
	s_delay_alu instid0(VALU_DEP_4)
	v_add_f32_e32 v5, v5, v51
	v_pk_mul_f32 v[80:81], v[148:149], v[132:133] op_sel:[1,1] op_sel_hi:[0,1]
	s_wait_loadcnt 0x3
	v_dual_mov_b32 v86, v139 :: v_dual_fma_f32 v226, v164, v128, -v13
	v_fmac_f32_e32 v227, v165, v128
	v_dual_add_f32 v89, v5, v53 :: v_dual_add_f32 v88, v7, v11
	v_dual_fmac_f32 v229, v167, v130 :: v_dual_fma_f32 v228, v166, v130, -v15
	v_pk_fma_f32 v[90:91], v[148:149], v[132:133], v[80:81] op_sel_hi:[1,0,1]
	v_pk_mul_f32 v[82:83], v[218:219], v[82:83] op_sel_hi:[1,0]
	s_delay_alu instid0(VALU_DEP_4)
	v_pk_add_f32 v[88:89], v[88:89], v[226:227]
	v_pk_fma_f32 v[80:81], v[148:149], v[132:133], v[80:81] neg_lo:[0,0,1] neg_hi:[0,0,1]
	v_pk_mul_f32 v[84:85], v[152:153], v[136:137] op_sel:[1,1] op_sel_hi:[0,1]
	v_mov_b32_e32 v81, v91
	v_pk_fma_f32 v[90:91], v[150:151], v[134:135], v[82:83] op_sel_hi:[1,0,1]
	v_pk_add_f32 v[88:89], v[88:89], v[228:229]
	v_pk_fma_f32 v[82:83], v[150:151], v[134:135], v[82:83] neg_lo:[0,0,1] neg_hi:[0,0,1]
	v_pk_fma_f32 v[94:95], v[152:153], v[136:137], v[84:85] op_sel_hi:[1,0,1]
	v_pk_mul_f32 v[86:87], v[220:221], v[86:87] op_sel_hi:[1,0]
	v_mov_b32_e32 v83, v91
	v_pk_add_f32 v[80:81], v[88:89], v[80:81]
	s_wait_loadcnt 0x2
	v_pk_mul_f32 v[92:93], v[156:157], v[140:141] op_sel:[1,1] op_sel_hi:[0,1]
	v_mov_b32_e32 v88, v143
	v_pk_fma_f32 v[84:85], v[152:153], v[136:137], v[84:85] neg_lo:[0,0,1] neg_hi:[0,0,1]
	v_mov_b32_e32 v85, v95
	v_pk_fma_f32 v[90:91], v[154:155], v[138:139], v[86:87] op_sel_hi:[1,0,1]
	v_pk_add_f32 v[80:81], v[80:81], v[82:83]
	v_pk_fma_f32 v[82:83], v[156:157], v[140:141], v[92:93] op_sel_hi:[1,0,1]
	v_pk_mul_f32 v[88:89], v[222:223], v[88:89] op_sel_hi:[1,0]
	v_pk_fma_f32 v[86:87], v[154:155], v[138:139], v[86:87] neg_lo:[0,0,1] neg_hi:[0,0,1]
	v_mov_b32_e32 v87, v91
	v_pk_add_f32 v[80:81], v[80:81], v[84:85]
	v_pk_fma_f32 v[90:91], v[156:157], v[140:141], v[92:93] neg_lo:[0,0,1] neg_hi:[0,0,1]
	v_mov_b32_e32 v91, v83
	v_pk_fma_f32 v[82:83], v[158:159], v[142:143], v[88:89] op_sel_hi:[1,0,1]
	s_wait_loadcnt 0x1
	v_pk_mul_f32 v[84:85], v[160:161], v[144:145] op_sel:[1,1] op_sel_hi:[0,1]
	v_pk_add_f32 v[80:81], v[80:81], v[86:87]
	v_mov_b32_e32 v82, v147
	v_pk_fma_f32 v[88:89], v[158:159], v[142:143], v[88:89] neg_lo:[0,0,1] neg_hi:[0,0,1]
	v_mov_b32_e32 v89, v83
	v_pk_fma_f32 v[86:87], v[160:161], v[144:145], v[84:85] op_sel_hi:[1,0,1]
	v_pk_add_f32 v[80:81], v[80:81], v[90:91]
	v_pk_mul_f32 v[82:83], v[224:225], v[82:83] op_sel_hi:[1,0]
	v_pk_fma_f32 v[84:85], v[160:161], v[144:145], v[84:85] neg_lo:[0,0,1] neg_hi:[0,0,1]
	s_delay_alu instid0(VALU_DEP_4) | instskip(NEXT) | instid1(VALU_DEP_4)
	v_mov_b32_e32 v85, v87
	v_pk_add_f32 v[80:81], v[80:81], v[88:89]
	s_delay_alu instid0(VALU_DEP_4) | instskip(SKIP_1) | instid1(VALU_DEP_2)
	v_pk_fma_f32 v[86:87], v[162:163], v[146:147], v[82:83] op_sel_hi:[1,0,1]
	v_pk_fma_f32 v[82:83], v[162:163], v[146:147], v[82:83] neg_lo:[0,0,1] neg_hi:[0,0,1]
	v_mov_b32_e32 v83, v87
	s_delay_alu instid0(VALU_DEP_4) | instskip(NEXT) | instid1(VALU_DEP_1)
	v_pk_add_f32 v[80:81], v[80:81], v[84:85]
	v_pk_add_f32 v[80:81], v[80:81], v[82:83]
	s_wait_loadcnt 0x0
	s_delay_alu instid0(VALU_DEP_1)
	v_pk_add_f32 v[80:81], v[216:217], v[80:81] neg_lo:[0,1] neg_hi:[0,1]
	scratch_store_b64 off, v[80:81], off offset:32
	s_wait_xcnt 0x0
	v_cmpx_lt_u32_e32 3, v0
	s_cbranch_execz .LBB38_241
; %bb.240:
	scratch_load_b64 v[80:81], off, off offset:24
	v_mov_b64_e32 v[82:83], 0
	scratch_store_b64 off, v[82:83], off offset:24
	s_wait_loadcnt 0x0
	ds_store_b64 v1, v[80:81]
.LBB38_241:
	s_wait_xcnt 0x0
	s_or_b32 exec_lo, exec_lo, s0
	s_wait_storecnt_dscnt 0x0
	s_barrier_signal -1
	s_barrier_wait -1
	s_clause 0x12
	scratch_load_b128 v[80:83], off, off offset:32
	scratch_load_b128 v[84:87], off, off offset:48
	;; [unrolled: 1-line block ×17, first 2 shown]
	scratch_load_b64 v[216:217], off, off offset:304
	scratch_load_b64 v[218:219], off, off offset:24
	v_mov_b32_e32 v5, 0
	ds_load_b128 v[148:151], v5 offset:560
	ds_load_b128 v[152:155], v5 offset:576
	;; [unrolled: 1-line block ×17, first 2 shown]
	ds_load_b64 v[220:221], v5 offset:624
	s_mov_b32 s0, exec_lo
	s_wait_dscnt 0x11
	v_dual_mov_b32 v222, v151 :: v_dual_mov_b32 v223, v150
	s_wait_dscnt 0x10
	v_dual_mov_b32 v224, v155 :: v_dual_mov_b32 v225, v154
	;; [unrolled: 2-line block ×3, first 2 shown]
	v_dual_mov_b32 v227, v158 :: v_dual_mov_b32 v228, v167
	s_wait_loadcnt_dscnt 0x120c
	v_dual_mul_f32 v7, v168, v81 :: v_dual_mul_f32 v59, v169, v81
	v_dual_mul_f32 v61, v171, v83 :: v_dual_mul_f32 v11, v170, v83
	s_wait_loadcnt_dscnt 0x110b
	v_mul_f32_e32 v13, v172, v85
	s_wait_loadcnt_dscnt 0xf09
	v_dual_mul_f32 v71, v181, v93 :: v_dual_fma_f32 v59, v168, v80, -v59
	v_dual_fmac_f32 v7, v169, v80 :: v_dual_mul_f32 v73, v183, v95
	v_dual_mul_f32 v63, v173, v85 :: v_dual_mul_f32 v65, v175, v87
	v_dual_fmac_f32 v11, v171, v82 :: v_dual_fma_f32 v61, v170, v82, -v61
	s_wait_loadcnt_dscnt 0xe08
	s_delay_alu instid0(VALU_DEP_3) | instskip(SKIP_1) | instid1(VALU_DEP_2)
	v_dual_add_f32 v7, 0, v7 :: v_dual_mul_f32 v75, v185, v97
	v_dual_add_f32 v59, 0, v59 :: v_dual_fmac_f32 v13, v173, v84
	v_dual_fma_f32 v63, v172, v84, -v63 :: v_dual_add_f32 v7, v7, v11
	v_dual_mul_f32 v67, v177, v89 :: v_dual_mul_f32 v69, v179, v91
	s_delay_alu instid0(VALU_DEP_3) | instskip(SKIP_2) | instid1(VALU_DEP_3)
	v_dual_add_f32 v11, v59, v61 :: v_dual_fma_f32 v61, v174, v86, -v65
	v_dual_mul_f32 v15, v174, v87 :: v_dual_mul_f32 v17, v176, v89
	v_dual_mul_f32 v19, v178, v91 :: v_dual_mul_f32 v21, v180, v93
	v_add_f32_e32 v11, v11, v63
	v_dual_add_f32 v7, v7, v13 :: v_dual_fma_f32 v63, v176, v88, -v67
	v_dual_mul_f32 v23, v182, v95 :: v_dual_mul_f32 v25, v184, v97
	s_delay_alu instid0(VALU_DEP_3) | instskip(SKIP_1) | instid1(VALU_DEP_2)
	v_dual_add_f32 v11, v11, v61 :: v_dual_fmac_f32 v21, v181, v92
	v_dual_fmac_f32 v15, v175, v86 :: v_dual_fmac_f32 v17, v177, v88
	v_dual_fma_f32 v61, v178, v90, -v69 :: v_dual_add_f32 v11, v11, v63
	s_delay_alu instid0(VALU_DEP_4) | instskip(SKIP_1) | instid1(VALU_DEP_3)
	v_dual_fmac_f32 v25, v185, v96 :: v_dual_mul_f32 v59, v187, v99
	s_wait_loadcnt_dscnt 0xd07
	v_dual_mul_f32 v13, v189, v101 :: v_dual_add_f32 v7, v7, v15
	v_dual_mul_f32 v15, v191, v103 :: v_dual_fma_f32 v63, v180, v92, -v71
	s_delay_alu instid0(VALU_DEP_3) | instskip(SKIP_1) | instid1(VALU_DEP_4)
	v_dual_add_f32 v11, v11, v61 :: v_dual_fma_f32 v59, v186, v98, -v59
	v_fmac_f32_e32 v19, v179, v90
	v_dual_add_f32 v7, v7, v17 :: v_dual_fma_f32 v61, v182, v94, -v73
	s_delay_alu instid0(VALU_DEP_3) | instskip(SKIP_2) | instid1(VALU_DEP_3)
	v_dual_add_f32 v11, v11, v63 :: v_dual_fma_f32 v15, v190, v102, -v15
	s_wait_loadcnt_dscnt 0xc06
	v_dual_mul_f32 v31, v190, v103 :: v_dual_mul_f32 v33, v192, v105
	v_dual_add_f32 v7, v7, v19 :: v_dual_fma_f32 v63, v184, v96, -v75
	s_delay_alu instid0(VALU_DEP_3) | instskip(SKIP_4) | instid1(VALU_DEP_3)
	v_dual_add_f32 v11, v11, v61 :: v_dual_mul_f32 v27, v186, v99
	v_dual_mul_f32 v29, v188, v101 :: v_dual_mul_f32 v35, v194, v107
	s_wait_loadcnt_dscnt 0xb05
	v_mul_f32_e32 v37, v196, v109
	v_dual_mul_f32 v17, v193, v105 :: v_dual_fmac_f32 v23, v183, v94
	v_dual_fmac_f32 v29, v189, v100 :: v_dual_add_f32 v7, v7, v21
	v_fma_f32 v13, v188, v100, -v13
	v_dual_fmac_f32 v33, v193, v104 :: v_dual_add_f32 v11, v11, v63
	s_delay_alu instid0(VALU_DEP_3) | instskip(SKIP_1) | instid1(VALU_DEP_3)
	v_dual_fmac_f32 v37, v197, v108 :: v_dual_add_f32 v7, v7, v23
	v_dual_mul_f32 v23, v199, v111 :: v_dual_fma_f32 v17, v192, v104, -v17
	v_add_f32_e32 v11, v11, v59
	s_wait_loadcnt_dscnt 0x903
	v_dual_mul_f32 v43, v202, v115 :: v_dual_mul_f32 v45, v204, v117
	s_delay_alu instid0(VALU_DEP_3) | instskip(NEXT) | instid1(VALU_DEP_3)
	v_dual_fma_f32 v23, v198, v110, -v23 :: v_dual_mul_f32 v19, v195, v107
	v_dual_add_f32 v11, v11, v13 :: v_dual_mul_f32 v47, v206, v119
	s_wait_loadcnt_dscnt 0x802
	v_mul_f32_e32 v49, v208, v121
	v_dual_mul_f32 v21, v197, v109 :: v_dual_fmac_f32 v27, v187, v98
	s_delay_alu instid0(VALU_DEP_3) | instskip(SKIP_3) | instid1(VALU_DEP_4)
	v_dual_add_f32 v11, v11, v15 :: v_dual_fmac_f32 v45, v205, v116
	v_mul_f32_e32 v13, v205, v117
	v_add_f32_e32 v7, v7, v25
	v_dual_mul_f32 v25, v201, v113 :: v_dual_fma_f32 v19, v194, v106, -v19
	v_dual_add_f32 v11, v11, v17 :: v_dual_fmac_f32 v49, v209, v120
	s_delay_alu instid0(VALU_DEP_3) | instskip(NEXT) | instid1(VALU_DEP_2)
	v_dual_mul_f32 v17, v209, v121 :: v_dual_add_f32 v7, v7, v27
	v_dual_fma_f32 v21, v196, v108, -v21 :: v_dual_add_f32 v11, v11, v19
	v_dual_mul_f32 v39, v198, v111 :: v_dual_mul_f32 v41, v200, v113
	v_mul_f32_e32 v27, v203, v115
	v_fmac_f32_e32 v31, v191, v102
	s_delay_alu instid0(VALU_DEP_4) | instskip(SKIP_3) | instid1(VALU_DEP_3)
	v_add_f32_e32 v11, v11, v21
	v_dual_add_f32 v7, v7, v29 :: v_dual_fma_f32 v25, v200, v112, -v25
	s_wait_loadcnt_dscnt 0x701
	v_mul_f32_e32 v21, v213, v125
	v_dual_fmac_f32 v41, v201, v112 :: v_dual_add_f32 v11, v11, v23
	s_delay_alu instid0(VALU_DEP_3) | instskip(SKIP_1) | instid1(VALU_DEP_3)
	v_dual_add_f32 v7, v7, v31 :: v_dual_fma_f32 v27, v202, v114, -v27
	v_dual_mul_f32 v15, v207, v119 :: v_dual_fma_f32 v13, v204, v116, -v13
	v_add_f32_e32 v11, v11, v25
	s_wait_loadcnt 0x6
	v_dual_fmac_f32 v35, v195, v106 :: v_dual_mul_f32 v25, v161, v129
	s_delay_alu instid0(VALU_DEP_3) | instskip(NEXT) | instid1(VALU_DEP_3)
	v_dual_add_f32 v7, v7, v33 :: v_dual_fma_f32 v15, v206, v118, -v15
	v_add_f32_e32 v11, v11, v27
	v_dual_mul_f32 v51, v210, v123 :: v_dual_mul_f32 v53, v212, v125
	v_dual_fmac_f32 v39, v199, v110 :: v_dual_fma_f32 v17, v208, v120, -v17
	s_delay_alu instid0(VALU_DEP_3) | instskip(SKIP_3) | instid1(VALU_DEP_3)
	v_add_f32_e32 v11, v11, v13
	s_wait_loadcnt 0x5
	v_dual_mul_f32 v13, v149, v133 :: v_dual_add_f32 v7, v7, v35
	v_dual_mul_f32 v55, v214, v127 :: v_dual_mul_f32 v57, v160, v129
	v_add_f32_e32 v11, v11, v15
	v_dual_mul_f32 v231, v162, v131 :: v_dual_mul_f32 v233, v148, v133
	s_delay_alu instid0(VALU_DEP_4) | instskip(SKIP_3) | instid1(VALU_DEP_3)
	v_add_f32_e32 v7, v7, v37
	s_wait_loadcnt 0x4
	v_dual_mov_b32 v80, v135 :: v_dual_mov_b32 v84, v139
	v_dual_add_f32 v11, v11, v17 :: v_dual_fmac_f32 v53, v213, v124
	v_dual_fma_f32 v17, v212, v124, -v21 :: v_dual_add_f32 v7, v7, v39
	v_dual_fmac_f32 v57, v161, v128 :: v_dual_fmac_f32 v43, v203, v114
	v_dual_fmac_f32 v233, v149, v132 :: v_dual_mul_f32 v27, v163, v131
	v_fmac_f32_e32 v231, v163, v130
	s_delay_alu instid0(VALU_DEP_4) | instskip(SKIP_4) | instid1(VALU_DEP_4)
	v_add_f32_e32 v7, v7, v41
	v_pk_mul_f32 v[80:81], v[222:223], v[80:81] op_sel_hi:[1,0]
	v_fmac_f32_e32 v47, v207, v118
	v_dual_fma_f32 v230, v162, v130, -v27 :: v_dual_mul_f32 v19, v211, v123
	v_fmac_f32_e32 v51, v211, v122
	v_pk_fma_f32 v[92:93], v[150:151], v[134:135], v[80:81] op_sel_hi:[1,0,1]
	v_add_f32_e32 v7, v7, v43
	v_pk_fma_f32 v[80:81], v[150:151], v[134:135], v[80:81] neg_lo:[0,0,1] neg_hi:[0,0,1]
	v_dual_fma_f32 v15, v210, v122, -v19 :: v_dual_mul_f32 v23, v215, v127
	s_delay_alu instid0(VALU_DEP_4) | instskip(NEXT) | instid1(VALU_DEP_4)
	v_dual_fmac_f32 v55, v215, v126 :: v_dual_mov_b32 v81, v93
	v_add_f32_e32 v7, v7, v45
	s_delay_alu instid0(VALU_DEP_3) | instskip(SKIP_1) | instid1(VALU_DEP_3)
	v_dual_add_f32 v11, v11, v15 :: v_dual_fma_f32 v15, v214, v126, -v23
	v_pk_mul_f32 v[82:83], v[152:153], v[136:137] op_sel:[1,1] op_sel_hi:[0,1]
	v_dual_fma_f32 v232, v148, v132, -v13 :: v_dual_add_f32 v7, v7, v47
	s_delay_alu instid0(VALU_DEP_3) | instskip(NEXT) | instid1(VALU_DEP_3)
	v_dual_add_f32 v11, v11, v17 :: v_dual_fma_f32 v17, v160, v128, -v25
	v_pk_fma_f32 v[94:95], v[152:153], v[136:137], v[82:83] op_sel_hi:[1,0,1]
	v_pk_mul_f32 v[84:85], v[224:225], v[84:85] op_sel_hi:[1,0]
	s_delay_alu instid0(VALU_DEP_4) | instskip(NEXT) | instid1(VALU_DEP_4)
	v_add_f32_e32 v7, v7, v49
	v_add_f32_e32 v11, v11, v15
	v_pk_fma_f32 v[82:83], v[152:153], v[136:137], v[82:83] neg_lo:[0,0,1] neg_hi:[0,0,1]
	s_wait_loadcnt 0x3
	v_pk_mul_f32 v[86:87], v[156:157], v[140:141] op_sel:[1,1] op_sel_hi:[0,1]
	v_dual_mov_b32 v90, v143 :: v_dual_mov_b32 v83, v95
	v_add_f32_e32 v7, v7, v51
	v_add_f32_e32 v88, v11, v17
	v_pk_fma_f32 v[94:95], v[154:155], v[138:139], v[84:85] op_sel_hi:[1,0,1]
	v_pk_fma_f32 v[84:85], v[154:155], v[138:139], v[84:85] neg_lo:[0,0,1] neg_hi:[0,0,1]
	v_pk_mul_f32 v[90:91], v[226:227], v[90:91] op_sel_hi:[1,0]
	v_add_f32_e32 v7, v7, v53
	s_wait_loadcnt 0x2
	v_pk_mul_f32 v[92:93], v[164:165], v[144:145] op_sel:[1,1] op_sel_hi:[0,1]
	v_mov_b32_e32 v85, v95
	s_delay_alu instid0(VALU_DEP_3) | instskip(NEXT) | instid1(VALU_DEP_1)
	v_add_f32_e32 v7, v7, v55
	v_add_f32_e32 v89, v7, v57
	s_delay_alu instid0(VALU_DEP_1) | instskip(NEXT) | instid1(VALU_DEP_1)
	v_pk_add_f32 v[88:89], v[88:89], v[230:231]
	v_pk_add_f32 v[88:89], v[88:89], v[232:233]
	s_delay_alu instid0(VALU_DEP_1) | instskip(SKIP_2) | instid1(VALU_DEP_3)
	v_pk_add_f32 v[80:81], v[88:89], v[80:81]
	v_pk_fma_f32 v[88:89], v[156:157], v[140:141], v[86:87] op_sel_hi:[1,0,1]
	v_pk_fma_f32 v[86:87], v[156:157], v[140:141], v[86:87] neg_lo:[0,0,1] neg_hi:[0,0,1]
	v_pk_add_f32 v[80:81], v[80:81], v[82:83]
	s_delay_alu instid0(VALU_DEP_3) | instskip(SKIP_2) | instid1(VALU_DEP_4)
	v_dual_mov_b32 v82, v147 :: v_dual_mov_b32 v87, v89
	v_pk_fma_f32 v[88:89], v[158:159], v[142:143], v[90:91] op_sel_hi:[1,0,1]
	v_pk_fma_f32 v[90:91], v[158:159], v[142:143], v[90:91] neg_lo:[0,0,1] neg_hi:[0,0,1]
	v_pk_add_f32 v[80:81], v[80:81], v[84:85]
	v_pk_fma_f32 v[84:85], v[164:165], v[144:145], v[92:93] op_sel_hi:[1,0,1]
	v_pk_mul_f32 v[82:83], v[228:229], v[82:83] op_sel_hi:[1,0]
	v_mov_b32_e32 v91, v89
	s_wait_loadcnt_dscnt 0x100
	v_pk_mul_f32 v[88:89], v[220:221], v[216:217] op_sel:[1,1] op_sel_hi:[0,1]
	v_pk_add_f32 v[80:81], v[80:81], v[86:87]
	v_pk_fma_f32 v[86:87], v[164:165], v[144:145], v[92:93] neg_lo:[0,0,1] neg_hi:[0,0,1]
	v_mov_b32_e32 v87, v85
	v_pk_fma_f32 v[84:85], v[166:167], v[146:147], v[82:83] op_sel_hi:[1,0,1]
	v_pk_fma_f32 v[82:83], v[166:167], v[146:147], v[82:83] neg_lo:[0,0,1] neg_hi:[0,0,1]
	v_pk_add_f32 v[80:81], v[80:81], v[90:91]
	s_delay_alu instid0(VALU_DEP_3) | instskip(SKIP_1) | instid1(VALU_DEP_3)
	v_mov_b32_e32 v83, v85
	v_pk_fma_f32 v[84:85], v[220:221], v[216:217], v[88:89] op_sel_hi:[1,0,1]
	v_pk_add_f32 v[80:81], v[80:81], v[86:87]
	v_pk_fma_f32 v[86:87], v[220:221], v[216:217], v[88:89] neg_lo:[0,0,1] neg_hi:[0,0,1]
	s_delay_alu instid0(VALU_DEP_3) | instskip(NEXT) | instid1(VALU_DEP_3)
	v_mov_b32_e32 v87, v85
	v_pk_add_f32 v[80:81], v[80:81], v[82:83]
	s_delay_alu instid0(VALU_DEP_1) | instskip(SKIP_1) | instid1(VALU_DEP_1)
	v_pk_add_f32 v[80:81], v[80:81], v[86:87]
	s_wait_loadcnt 0x0
	v_pk_add_f32 v[80:81], v[218:219], v[80:81] neg_lo:[0,1] neg_hi:[0,1]
	scratch_store_b64 off, v[80:81], off offset:24
	s_wait_xcnt 0x0
	v_cmpx_lt_u32_e32 2, v0
	s_cbranch_execz .LBB38_243
; %bb.242:
	scratch_load_b64 v[80:81], off, off offset:16
	v_mov_b64_e32 v[82:83], 0
	scratch_store_b64 off, v[82:83], off offset:16
	s_wait_loadcnt 0x0
	ds_store_b64 v1, v[80:81]
.LBB38_243:
	s_wait_xcnt 0x0
	s_or_b32 exec_lo, exec_lo, s0
	s_wait_storecnt_dscnt 0x0
	s_barrier_signal -1
	s_barrier_wait -1
	s_clause 0x12
	scratch_load_b128 v[80:83], off, off offset:24
	scratch_load_b128 v[84:87], off, off offset:40
	;; [unrolled: 1-line block ×18, first 2 shown]
	scratch_load_b64 v[224:225], off, off offset:16
	ds_load_2addr_b64 v[152:155], v5 offset0:71 offset1:72
	ds_load_2addr_b64 v[156:159], v5 offset0:73 offset1:74
	;; [unrolled: 1-line block ×18, first 2 shown]
	s_mov_b32 s0, exec_lo
	s_wait_dscnt 0x11
	v_dual_mov_b32 v226, v155 :: v_dual_mov_b32 v227, v154
	s_wait_dscnt 0x10
	v_dual_mov_b32 v228, v159 :: v_dual_mov_b32 v229, v158
	;; [unrolled: 2-line block ×4, first 2 shown]
	s_wait_loadcnt_dscnt 0x120d
	v_dual_mul_f32 v5, v168, v81 :: v_dual_mul_f32 v7, v170, v83
	v_dual_mul_f32 v59, v169, v81 :: v_dual_mul_f32 v61, v171, v83
	s_wait_loadcnt_dscnt 0x110c
	v_dual_mul_f32 v11, v172, v85 :: v_dual_mul_f32 v13, v174, v87
	s_delay_alu instid0(VALU_DEP_2) | instskip(SKIP_3) | instid1(VALU_DEP_3)
	v_dual_fmac_f32 v5, v169, v80 :: v_dual_fma_f32 v59, v168, v80, -v59
	v_dual_mul_f32 v63, v173, v85 :: v_dual_mul_f32 v65, v175, v87
	s_wait_loadcnt_dscnt 0xf0a
	v_dual_mul_f32 v71, v181, v93 :: v_dual_fmac_f32 v7, v171, v82
	v_dual_fma_f32 v61, v170, v82, -v61 :: v_dual_add_f32 v5, 0, v5
	v_dual_add_f32 v59, 0, v59 :: v_dual_fmac_f32 v11, v173, v84
	v_dual_mul_f32 v73, v183, v95 :: v_dual_fma_f32 v63, v172, v84, -v63
	s_delay_alu instid0(VALU_DEP_2)
	v_dual_add_f32 v5, v5, v7 :: v_dual_add_f32 v7, v59, v61
	v_dual_mul_f32 v15, v176, v89 :: v_dual_mul_f32 v17, v178, v91
	v_dual_mul_f32 v67, v177, v89 :: v_dual_mul_f32 v69, v179, v91
	s_wait_loadcnt_dscnt 0xe09
	v_dual_mul_f32 v59, v185, v97 :: v_dual_fmac_f32 v13, v175, v86
	v_dual_fma_f32 v61, v174, v86, -v65 :: v_dual_add_f32 v5, v5, v11
	v_dual_add_f32 v7, v7, v63 :: v_dual_fmac_f32 v15, v177, v88
	v_dual_mul_f32 v11, v187, v99 :: v_dual_fma_f32 v63, v176, v88, -v67
	s_delay_alu instid0(VALU_DEP_3) | instskip(NEXT) | instid1(VALU_DEP_3)
	v_dual_add_f32 v5, v5, v13 :: v_dual_fmac_f32 v17, v179, v90
	v_dual_add_f32 v7, v7, v61 :: v_dual_fma_f32 v61, v178, v90, -v69
	v_dual_mul_f32 v19, v180, v93 :: v_dual_mul_f32 v21, v182, v95
	s_wait_loadcnt_dscnt 0xd08
	s_delay_alu instid0(VALU_DEP_2) | instskip(SKIP_1) | instid1(VALU_DEP_3)
	v_dual_mul_f32 v13, v189, v101 :: v_dual_add_f32 v7, v7, v63
	v_dual_add_f32 v5, v5, v15 :: v_dual_fma_f32 v63, v180, v92, -v71
	v_dual_mul_f32 v15, v191, v103 :: v_dual_fmac_f32 v19, v181, v92
	s_delay_alu instid0(VALU_DEP_3) | instskip(NEXT) | instid1(VALU_DEP_3)
	v_dual_add_f32 v7, v7, v61 :: v_dual_fma_f32 v61, v182, v94, -v73
	v_dual_add_f32 v5, v5, v17 :: v_dual_fmac_f32 v21, v183, v94
	v_dual_mul_f32 v23, v184, v97 :: v_dual_mul_f32 v25, v186, v99
	s_wait_loadcnt_dscnt 0xc07
	s_delay_alu instid0(VALU_DEP_3) | instskip(NEXT) | instid1(VALU_DEP_3)
	v_dual_mul_f32 v17, v193, v105 :: v_dual_add_f32 v7, v7, v63
	v_dual_add_f32 v5, v5, v19 :: v_dual_fma_f32 v59, v184, v96, -v59
	s_delay_alu instid0(VALU_DEP_3) | instskip(NEXT) | instid1(VALU_DEP_3)
	v_dual_mul_f32 v19, v195, v107 :: v_dual_fmac_f32 v23, v185, v96
	v_dual_add_f32 v7, v7, v61 :: v_dual_fma_f32 v11, v186, v98, -v11
	s_delay_alu instid0(VALU_DEP_3) | instskip(SKIP_2) | instid1(VALU_DEP_3)
	v_dual_add_f32 v5, v5, v21 :: v_dual_fmac_f32 v25, v187, v98
	v_dual_mul_f32 v27, v188, v101 :: v_dual_mul_f32 v29, v190, v103
	s_wait_loadcnt_dscnt 0xb06
	v_dual_mul_f32 v21, v197, v109 :: v_dual_add_f32 v7, v7, v59
	s_delay_alu instid0(VALU_DEP_3) | instskip(NEXT) | instid1(VALU_DEP_3)
	v_dual_add_f32 v5, v5, v23 :: v_dual_fma_f32 v13, v188, v100, -v13
	v_dual_mul_f32 v23, v199, v111 :: v_dual_fmac_f32 v27, v189, v100
	s_delay_alu instid0(VALU_DEP_2) | instskip(SKIP_3) | instid1(VALU_DEP_3)
	v_dual_add_f32 v7, v7, v11 :: v_dual_add_f32 v5, v5, v25
	v_dual_mul_f32 v31, v192, v105 :: v_dual_mul_f32 v33, v194, v107
	s_wait_loadcnt_dscnt 0xa05
	v_dual_mul_f32 v11, v201, v113 :: v_dual_fmac_f32 v29, v191, v102
	v_dual_fma_f32 v15, v190, v102, -v15 :: v_dual_add_f32 v5, v5, v27
	s_delay_alu instid0(VALU_DEP_3) | instskip(SKIP_1) | instid1(VALU_DEP_2)
	v_dual_add_f32 v7, v7, v13 :: v_dual_fmac_f32 v31, v193, v104
	v_dual_mul_f32 v13, v203, v115 :: v_dual_fma_f32 v17, v192, v104, -v17
	v_dual_add_f32 v5, v5, v29 :: v_dual_add_f32 v7, v7, v15
	v_dual_mul_f32 v35, v196, v109 :: v_dual_mul_f32 v37, v198, v111
	s_wait_loadcnt_dscnt 0x904
	v_dual_mul_f32 v15, v205, v117 :: v_dual_fmac_f32 v33, v195, v106
	s_delay_alu instid0(VALU_DEP_3) | instskip(NEXT) | instid1(VALU_DEP_3)
	v_dual_fma_f32 v19, v194, v106, -v19 :: v_dual_add_f32 v5, v5, v31
	v_dual_add_f32 v7, v7, v17 :: v_dual_fmac_f32 v35, v197, v108
	v_dual_mul_f32 v17, v207, v119 :: v_dual_fma_f32 v21, v196, v108, -v21
	s_delay_alu instid0(VALU_DEP_2) | instskip(SKIP_3) | instid1(VALU_DEP_3)
	v_dual_add_f32 v5, v5, v33 :: v_dual_add_f32 v7, v7, v19
	v_dual_mul_f32 v39, v200, v113 :: v_dual_mul_f32 v41, v202, v115
	s_wait_loadcnt_dscnt 0x803
	v_dual_mul_f32 v19, v209, v121 :: v_dual_fmac_f32 v37, v199, v110
	v_dual_fma_f32 v23, v198, v110, -v23 :: v_dual_add_f32 v5, v5, v35
	s_delay_alu instid0(VALU_DEP_3) | instskip(SKIP_1) | instid1(VALU_DEP_2)
	v_dual_add_f32 v7, v7, v21 :: v_dual_fmac_f32 v39, v201, v112
	v_dual_mul_f32 v21, v211, v123 :: v_dual_fma_f32 v11, v200, v112, -v11
	v_dual_add_f32 v5, v5, v37 :: v_dual_add_f32 v7, v7, v23
	v_dual_mul_f32 v43, v204, v117 :: v_dual_mul_f32 v45, v206, v119
	s_wait_loadcnt_dscnt 0x702
	v_dual_mul_f32 v23, v213, v125 :: v_dual_fmac_f32 v41, v203, v114
	s_delay_alu instid0(VALU_DEP_3) | instskip(NEXT) | instid1(VALU_DEP_3)
	v_dual_fma_f32 v13, v202, v114, -v13 :: v_dual_add_f32 v5, v5, v39
	v_dual_add_f32 v7, v7, v11 :: v_dual_fmac_f32 v43, v205, v116
	v_dual_mul_f32 v11, v215, v127 :: v_dual_fma_f32 v15, v204, v116, -v15
	s_delay_alu instid0(VALU_DEP_3) | instskip(NEXT) | instid1(VALU_DEP_3)
	v_dual_add_f32 v5, v5, v41 :: v_dual_fmac_f32 v45, v207, v118
	v_dual_add_f32 v7, v7, v13 :: v_dual_fma_f32 v17, v206, v118, -v17
	v_dual_mul_f32 v47, v208, v121 :: v_dual_mul_f32 v49, v210, v123
	s_wait_loadcnt_dscnt 0x601
	s_delay_alu instid0(VALU_DEP_2) | instskip(SKIP_1) | instid1(VALU_DEP_3)
	v_dual_mul_f32 v13, v217, v129 :: v_dual_add_f32 v7, v7, v15
	v_dual_add_f32 v5, v5, v43 :: v_dual_fma_f32 v19, v208, v120, -v19
	v_dual_mul_f32 v15, v219, v131 :: v_dual_fmac_f32 v47, v209, v120
	s_delay_alu instid0(VALU_DEP_3) | instskip(NEXT) | instid1(VALU_DEP_3)
	v_dual_add_f32 v7, v7, v17 :: v_dual_fma_f32 v21, v210, v122, -v21
	v_dual_add_f32 v5, v5, v45 :: v_dual_fmac_f32 v49, v211, v122
	v_dual_mul_f32 v51, v212, v125 :: v_dual_mul_f32 v53, v214, v127
	s_wait_loadcnt_dscnt 0x500
	s_delay_alu instid0(VALU_DEP_3) | instskip(NEXT) | instid1(VALU_DEP_3)
	v_dual_mul_f32 v17, v221, v133 :: v_dual_add_f32 v7, v7, v19
	v_dual_add_f32 v5, v5, v47 :: v_dual_fma_f32 v23, v212, v124, -v23
	s_delay_alu instid0(VALU_DEP_3) | instskip(NEXT) | instid1(VALU_DEP_3)
	v_dual_mul_f32 v19, v223, v135 :: v_dual_fmac_f32 v51, v213, v124
	v_dual_add_f32 v7, v7, v21 :: v_dual_fma_f32 v11, v214, v126, -v11
	s_delay_alu instid0(VALU_DEP_3) | instskip(SKIP_1) | instid1(VALU_DEP_3)
	v_dual_add_f32 v5, v5, v49 :: v_dual_fmac_f32 v53, v215, v126
	v_dual_mul_f32 v55, v216, v129 :: v_dual_mul_f32 v57, v218, v131
	v_add_f32_e32 v7, v7, v23
	s_wait_loadcnt 0x4
	s_delay_alu instid0(VALU_DEP_3) | instskip(NEXT) | instid1(VALU_DEP_3)
	v_dual_add_f32 v5, v5, v51 :: v_dual_mov_b32 v82, v139
	v_dual_fmac_f32 v55, v217, v128 :: v_dual_fma_f32 v13, v216, v128, -v13
	s_delay_alu instid0(VALU_DEP_3) | instskip(NEXT) | instid1(VALU_DEP_3)
	v_dual_add_f32 v7, v7, v11 :: v_dual_fma_f32 v11, v218, v130, -v15
	v_add_f32_e32 v5, v5, v53
	v_dual_mul_f32 v235, v220, v133 :: v_dual_mul_f32 v237, v222, v135
	v_fmac_f32_e32 v57, v219, v130
	s_delay_alu instid0(VALU_DEP_3)
	v_dual_add_f32 v7, v7, v13 :: v_dual_add_f32 v5, v5, v55
	v_pk_mul_f32 v[80:81], v[152:153], v[136:137] op_sel:[1,1] op_sel_hi:[0,1]
	s_wait_loadcnt 0x3
	v_dual_mov_b32 v86, v143 :: v_dual_fma_f32 v234, v220, v132, -v17
	v_fmac_f32_e32 v235, v221, v132
	v_dual_add_f32 v89, v5, v57 :: v_dual_add_f32 v88, v7, v11
	v_dual_fmac_f32 v237, v223, v134 :: v_dual_fma_f32 v236, v222, v134, -v19
	v_pk_fma_f32 v[90:91], v[152:153], v[136:137], v[80:81] op_sel_hi:[1,0,1]
	v_pk_mul_f32 v[82:83], v[226:227], v[82:83] op_sel_hi:[1,0]
	s_delay_alu instid0(VALU_DEP_4)
	v_pk_add_f32 v[88:89], v[88:89], v[234:235]
	v_pk_fma_f32 v[80:81], v[152:153], v[136:137], v[80:81] neg_lo:[0,0,1] neg_hi:[0,0,1]
	v_pk_mul_f32 v[84:85], v[156:157], v[140:141] op_sel:[1,1] op_sel_hi:[0,1]
	v_mov_b32_e32 v81, v91
	v_pk_fma_f32 v[90:91], v[154:155], v[138:139], v[82:83] op_sel_hi:[1,0,1]
	v_pk_add_f32 v[88:89], v[88:89], v[236:237]
	v_pk_fma_f32 v[82:83], v[154:155], v[138:139], v[82:83] neg_lo:[0,0,1] neg_hi:[0,0,1]
	v_pk_fma_f32 v[94:95], v[156:157], v[140:141], v[84:85] op_sel_hi:[1,0,1]
	v_pk_mul_f32 v[86:87], v[228:229], v[86:87] op_sel_hi:[1,0]
	v_mov_b32_e32 v83, v91
	v_pk_add_f32 v[80:81], v[88:89], v[80:81]
	s_wait_loadcnt 0x2
	v_pk_mul_f32 v[92:93], v[160:161], v[144:145] op_sel:[1,1] op_sel_hi:[0,1]
	v_mov_b32_e32 v88, v147
	v_pk_fma_f32 v[84:85], v[156:157], v[140:141], v[84:85] neg_lo:[0,0,1] neg_hi:[0,0,1]
	v_mov_b32_e32 v85, v95
	v_pk_fma_f32 v[90:91], v[158:159], v[142:143], v[86:87] op_sel_hi:[1,0,1]
	v_pk_add_f32 v[80:81], v[80:81], v[82:83]
	v_pk_fma_f32 v[82:83], v[160:161], v[144:145], v[92:93] op_sel_hi:[1,0,1]
	v_pk_mul_f32 v[88:89], v[230:231], v[88:89] op_sel_hi:[1,0]
	v_pk_fma_f32 v[86:87], v[158:159], v[142:143], v[86:87] neg_lo:[0,0,1] neg_hi:[0,0,1]
	v_mov_b32_e32 v87, v91
	v_pk_add_f32 v[80:81], v[80:81], v[84:85]
	v_pk_fma_f32 v[90:91], v[160:161], v[144:145], v[92:93] neg_lo:[0,0,1] neg_hi:[0,0,1]
	v_mov_b32_e32 v91, v83
	v_pk_fma_f32 v[82:83], v[162:163], v[146:147], v[88:89] op_sel_hi:[1,0,1]
	s_wait_loadcnt 0x1
	v_pk_mul_f32 v[84:85], v[164:165], v[148:149] op_sel:[1,1] op_sel_hi:[0,1]
	v_pk_add_f32 v[80:81], v[80:81], v[86:87]
	v_mov_b32_e32 v82, v151
	v_pk_fma_f32 v[88:89], v[162:163], v[146:147], v[88:89] neg_lo:[0,0,1] neg_hi:[0,0,1]
	v_mov_b32_e32 v89, v83
	v_pk_fma_f32 v[86:87], v[164:165], v[148:149], v[84:85] op_sel_hi:[1,0,1]
	v_pk_add_f32 v[80:81], v[80:81], v[90:91]
	v_pk_mul_f32 v[82:83], v[232:233], v[82:83] op_sel_hi:[1,0]
	v_pk_fma_f32 v[84:85], v[164:165], v[148:149], v[84:85] neg_lo:[0,0,1] neg_hi:[0,0,1]
	s_delay_alu instid0(VALU_DEP_4) | instskip(NEXT) | instid1(VALU_DEP_4)
	v_mov_b32_e32 v85, v87
	v_pk_add_f32 v[80:81], v[80:81], v[88:89]
	s_delay_alu instid0(VALU_DEP_4) | instskip(SKIP_1) | instid1(VALU_DEP_2)
	v_pk_fma_f32 v[86:87], v[166:167], v[150:151], v[82:83] op_sel_hi:[1,0,1]
	v_pk_fma_f32 v[82:83], v[166:167], v[150:151], v[82:83] neg_lo:[0,0,1] neg_hi:[0,0,1]
	v_mov_b32_e32 v83, v87
	s_delay_alu instid0(VALU_DEP_4) | instskip(NEXT) | instid1(VALU_DEP_1)
	v_pk_add_f32 v[80:81], v[80:81], v[84:85]
	v_pk_add_f32 v[80:81], v[80:81], v[82:83]
	s_wait_loadcnt 0x0
	s_delay_alu instid0(VALU_DEP_1)
	v_pk_add_f32 v[80:81], v[224:225], v[80:81] neg_lo:[0,1] neg_hi:[0,1]
	scratch_store_b64 off, v[80:81], off offset:16
	s_wait_xcnt 0x0
	v_cmpx_lt_u32_e32 1, v0
	s_cbranch_execz .LBB38_245
; %bb.244:
	scratch_load_b64 v[80:81], off, off offset:8
	v_mov_b64_e32 v[82:83], 0
	scratch_store_b64 off, v[82:83], off offset:8
	s_wait_loadcnt 0x0
	ds_store_b64 v1, v[80:81]
.LBB38_245:
	s_wait_xcnt 0x0
	s_or_b32 exec_lo, exec_lo, s0
	s_wait_storecnt_dscnt 0x0
	s_barrier_signal -1
	s_barrier_wait -1
	s_clause 0x13
	scratch_load_b128 v[82:85], off, off offset:16
	scratch_load_b128 v[86:89], off, off offset:32
	;; [unrolled: 1-line block ×18, first 2 shown]
	scratch_load_b64 v[226:227], off, off offset:304
	scratch_load_b64 v[228:229], off, off offset:8
	v_dual_mov_b32 v80, 0 :: v_dual_ashrrev_i32 v47, 31, v46
	v_dual_ashrrev_i32 v5, 31, v4 :: v_dual_ashrrev_i32 v7, 31, v6
	v_dual_ashrrev_i32 v11, 31, v10 :: v_dual_ashrrev_i32 v13, 31, v12
	ds_load_b128 v[154:157], v80 offset:560
	ds_load_b128 v[158:161], v80 offset:576
	;; [unrolled: 1-line block ×18, first 2 shown]
	ds_load_b64 v[230:231], v80 offset:624
	v_dual_ashrrev_i32 v15, 31, v14 :: v_dual_ashrrev_i32 v17, 31, v16
	s_wait_dscnt 0x11
	v_dual_mov_b32 v234, v161 :: v_dual_mov_b32 v235, v160
	s_wait_dscnt 0x10
	v_dual_mov_b32 v236, v165 :: v_dual_mov_b32 v237, v164
	;; [unrolled: 2-line block ×3, first 2 shown]
	v_dual_ashrrev_i32 v19, 31, v18 :: v_dual_ashrrev_i32 v21, 31, v20
	v_dual_ashrrev_i32 v23, 31, v22 :: v_dual_ashrrev_i32 v25, 31, v24
	;; [unrolled: 1-line block ×5, first 2 shown]
	v_dual_mov_b32 v232, v157 :: v_dual_mov_b32 v233, v156
	v_dual_ashrrev_i32 v39, 31, v38 :: v_dual_ashrrev_i32 v41, 31, v40
	v_dual_ashrrev_i32 v43, 31, v42 :: v_dual_ashrrev_i32 v45, 31, v44
	;; [unrolled: 1-line block ×4, first 2 shown]
	s_mov_b32 s0, exec_lo
	s_wait_loadcnt 0x13
	v_dual_mul_f32 v57, v166, v83 :: v_dual_mul_f32 v59, v168, v85
	v_dual_mul_f32 v83, v167, v83 :: v_dual_mul_f32 v85, v169, v85
	s_wait_loadcnt 0x12
	v_dual_mul_f32 v61, v170, v87 :: v_dual_mul_f32 v63, v172, v89
	s_delay_alu instid0(VALU_DEP_3)
	v_dual_fmac_f32 v57, v167, v82 :: v_dual_fmac_f32 v59, v169, v84
	s_wait_loadcnt_dscnt 0xc07
	v_dual_mul_f32 v241, v198, v111 :: v_dual_mul_f32 v242, v200, v113
	v_dual_fma_f32 v82, v166, v82, -v83 :: v_dual_fma_f32 v84, v168, v84, -v85
	s_wait_loadcnt_dscnt 0x904
	v_dual_mul_f32 v243, v210, v123 :: v_dual_mul_f32 v85, v173, v89
	v_dual_mul_f32 v83, v171, v87 :: v_dual_mul_f32 v87, v212, v125
	s_delay_alu instid0(VALU_DEP_3) | instskip(SKIP_1) | instid1(VALU_DEP_3)
	v_dual_add_f32 v57, 0, v57 :: v_dual_add_f32 v82, 0, v82
	v_dual_fmac_f32 v61, v171, v86 :: v_dual_fmac_f32 v63, v173, v88
	v_dual_fma_f32 v86, v170, v86, -v83 :: v_dual_fma_f32 v88, v172, v88, -v85
	s_wait_loadcnt_dscnt 0x702
	v_dual_mul_f32 v171, v218, v131 :: v_dual_mul_f32 v172, v220, v133
	v_dual_add_f32 v57, v57, v59 :: v_dual_add_f32 v59, v82, v84
	v_dual_mul_f32 v65, v178, v91 :: v_dual_mul_f32 v67, v180, v93
	s_wait_loadcnt 0x5
	s_delay_alu instid0(VALU_DEP_2) | instskip(SKIP_1) | instid1(VALU_DEP_3)
	v_dual_mul_f32 v85, v154, v139 :: v_dual_add_f32 v57, v57, v61
	v_dual_mul_f32 v82, v179, v91 :: v_dual_mul_f32 v61, v181, v93
	v_dual_add_f32 v59, v59, v86 :: v_dual_fmac_f32 v67, v181, v92
	s_delay_alu instid0(VALU_DEP_2) | instskip(SKIP_1) | instid1(VALU_DEP_3)
	v_dual_mul_f32 v84, v183, v95 :: v_dual_fma_f32 v82, v178, v90, -v82
	v_dual_fmac_f32 v65, v179, v90 :: v_dual_mul_f32 v86, v185, v97
	v_dual_add_f32 v57, v57, v63 :: v_dual_add_f32 v59, v59, v88
	v_dual_mul_f32 v69, v182, v95 :: v_dual_mul_f32 v71, v184, v97
	v_dual_fma_f32 v61, v180, v92, -v61 :: v_dual_mul_f32 v90, v187, v99
	s_delay_alu instid0(VALU_DEP_3) | instskip(NEXT) | instid1(VALU_DEP_4)
	v_dual_mul_f32 v91, v193, v105 :: v_dual_add_f32 v59, v59, v82
	v_dual_add_f32 v57, v57, v65 :: v_dual_mul_f32 v65, v195, v107
	s_delay_alu instid0(VALU_DEP_4) | instskip(NEXT) | instid1(VALU_DEP_2)
	v_dual_fmac_f32 v69, v183, v94 :: v_dual_fma_f32 v82, v182, v94, -v84
	v_dual_add_f32 v59, v59, v61 :: v_dual_add_f32 v57, v57, v67
	v_dual_mul_f32 v73, v186, v99 :: v_dual_mul_f32 v75, v188, v101
	v_dual_mul_f32 v61, v197, v109 :: v_dual_fma_f32 v67, v184, v96, -v86
	s_delay_alu instid0(VALU_DEP_3) | instskip(NEXT) | instid1(VALU_DEP_4)
	v_dual_fmac_f32 v71, v185, v96 :: v_dual_add_f32 v59, v59, v82
	v_dual_add_f32 v57, v57, v69 :: v_dual_mul_f32 v69, v199, v111
	v_dual_mul_f32 v63, v189, v101 :: v_dual_mul_f32 v88, v191, v103
	v_dual_fmac_f32 v73, v187, v98 :: v_dual_fma_f32 v82, v186, v98, -v90
	s_delay_alu instid0(VALU_DEP_2) | instskip(SKIP_2) | instid1(VALU_DEP_2)
	v_dual_add_f32 v57, v57, v71 :: v_dual_fma_f32 v63, v188, v100, -v63
	v_dual_add_f32 v59, v59, v67 :: v_dual_mul_f32 v67, v201, v113
	v_dual_mul_f32 v77, v190, v103 :: v_dual_mul_f32 v79, v192, v105
	v_dual_fmac_f32 v75, v189, v100 :: v_dual_add_f32 v59, v59, v82
	s_delay_alu instid0(VALU_DEP_4) | instskip(NEXT) | instid1(VALU_DEP_3)
	v_dual_add_f32 v57, v57, v73 :: v_dual_mul_f32 v71, v203, v115
	v_dual_fmac_f32 v77, v191, v102 :: v_dual_fma_f32 v73, v190, v102, -v88
	s_delay_alu instid0(VALU_DEP_3) | instskip(NEXT) | instid1(VALU_DEP_3)
	v_dual_add_f32 v59, v59, v63 :: v_dual_mul_f32 v63, v205, v117
	v_dual_add_f32 v57, v57, v75 :: v_dual_fma_f32 v75, v192, v104, -v91
	v_dual_mul_f32 v81, v194, v107 :: v_dual_mul_f32 v240, v196, v109
	s_delay_alu instid0(VALU_DEP_3) | instskip(NEXT) | instid1(VALU_DEP_3)
	v_dual_fmac_f32 v79, v193, v104 :: v_dual_add_f32 v59, v59, v73
	v_dual_add_f32 v57, v57, v77 :: v_dual_mul_f32 v73, v207, v119
	s_delay_alu instid0(VALU_DEP_3) | instskip(NEXT) | instid1(VALU_DEP_3)
	v_fmac_f32_e32 v81, v195, v106
	v_dual_fma_f32 v65, v194, v106, -v65 :: v_dual_add_f32 v59, v59, v75
	s_delay_alu instid0(VALU_DEP_3) | instskip(SKIP_1) | instid1(VALU_DEP_3)
	v_add_f32_e32 v57, v57, v79
	v_dual_mul_f32 v75, v209, v121 :: v_dual_fma_f32 v61, v196, v108, -v61
	v_dual_fmac_f32 v240, v197, v108 :: v_dual_add_f32 v59, v59, v65
	s_delay_alu instid0(VALU_DEP_3) | instskip(SKIP_1) | instid1(VALU_DEP_3)
	v_dual_add_f32 v57, v57, v81 :: v_dual_mul_f32 v65, v211, v123
	v_fmac_f32_e32 v241, v199, v110
	v_dual_fma_f32 v69, v198, v110, -v69 :: v_dual_add_f32 v59, v59, v61
	s_delay_alu instid0(VALU_DEP_3) | instskip(SKIP_2) | instid1(VALU_DEP_4)
	v_dual_add_f32 v57, v57, v240 :: v_dual_mul_f32 v166, v202, v115
	v_mul_f32_e32 v167, v204, v117
	v_dual_mul_f32 v61, v213, v125 :: v_dual_fma_f32 v67, v200, v112, -v67
	v_dual_fmac_f32 v242, v201, v112 :: v_dual_add_f32 v59, v59, v69
	s_delay_alu instid0(VALU_DEP_4) | instskip(SKIP_1) | instid1(VALU_DEP_2)
	v_dual_add_f32 v57, v57, v241 :: v_dual_mul_f32 v69, v215, v127
	v_dual_fmac_f32 v166, v203, v114 :: v_dual_fma_f32 v71, v202, v114, -v71
	v_dual_add_f32 v59, v59, v67 :: v_dual_add_f32 v57, v57, v242
	v_dual_mul_f32 v168, v206, v119 :: v_dual_mul_f32 v169, v208, v121
	v_dual_mul_f32 v67, v217, v129 :: v_dual_fma_f32 v63, v204, v116, -v63
	s_delay_alu instid0(VALU_DEP_3) | instskip(NEXT) | instid1(VALU_DEP_4)
	v_dual_fmac_f32 v167, v205, v116 :: v_dual_add_f32 v59, v59, v71
	v_dual_add_f32 v57, v57, v166 :: v_dual_mul_f32 v71, v219, v131
	s_delay_alu instid0(VALU_DEP_4) | instskip(NEXT) | instid1(VALU_DEP_3)
	v_dual_fmac_f32 v168, v207, v118 :: v_dual_fma_f32 v73, v206, v118, -v73
	v_dual_add_f32 v59, v59, v63 :: v_dual_mul_f32 v63, v221, v133
	s_delay_alu instid0(VALU_DEP_3) | instskip(NEXT) | instid1(VALU_DEP_2)
	v_dual_add_f32 v57, v57, v167 :: v_dual_fma_f32 v75, v208, v120, -v75
	v_dual_fmac_f32 v169, v209, v120 :: v_dual_add_f32 v59, v59, v73
	s_wait_dscnt 0x1
	s_delay_alu instid0(VALU_DEP_2) | instskip(SKIP_1) | instid1(VALU_DEP_3)
	v_dual_mul_f32 v73, v223, v135 :: v_dual_add_f32 v57, v57, v168
	v_dual_fmac_f32 v243, v211, v122 :: v_dual_fma_f32 v65, v210, v122, -v65
	v_add_f32_e32 v59, v59, v75
	v_dual_mul_f32 v89, v214, v127 :: v_dual_mul_f32 v170, v216, v129
	s_delay_alu instid0(VALU_DEP_4) | instskip(SKIP_1) | instid1(VALU_DEP_4)
	v_add_f32_e32 v57, v57, v169
	v_dual_mul_f32 v75, v225, v137 :: v_dual_fma_f32 v61, v212, v124, -v61
	v_dual_fmac_f32 v87, v213, v124 :: v_dual_add_f32 v59, v59, v65
	s_delay_alu instid0(VALU_DEP_3) | instskip(SKIP_1) | instid1(VALU_DEP_2)
	v_dual_add_f32 v57, v57, v243 :: v_dual_fmac_f32 v89, v215, v126
	v_dual_mul_f32 v65, v155, v139 :: v_dual_fma_f32 v69, v214, v126, -v69
	v_dual_add_f32 v59, v59, v61 :: v_dual_add_f32 v57, v57, v87
	v_dual_mov_b32 v84, v141 :: v_dual_fma_f32 v61, v216, v128, -v67
	s_delay_alu instid0(VALU_DEP_2) | instskip(NEXT) | instid1(VALU_DEP_3)
	v_dual_fmac_f32 v170, v217, v128 :: v_dual_add_f32 v59, v59, v69
	v_dual_add_f32 v57, v57, v89 :: v_dual_fmac_f32 v171, v219, v130
	v_fma_f32 v67, v218, v130, -v71
	v_dual_mul_f32 v173, v222, v135 :: v_dual_mul_f32 v83, v224, v137
	s_delay_alu instid0(VALU_DEP_3) | instskip(SKIP_2) | instid1(VALU_DEP_3)
	v_dual_add_f32 v57, v57, v170 :: v_dual_add_f32 v59, v59, v61
	s_wait_loadcnt 0x4
	v_mov_b32_e32 v88, v145
	v_dual_fmac_f32 v172, v221, v132 :: v_dual_fmac_f32 v173, v223, v134
	s_delay_alu instid0(VALU_DEP_3) | instskip(SKIP_3) | instid1(VALU_DEP_4)
	v_dual_fma_f32 v61, v220, v132, -v63 :: v_dual_add_f32 v57, v57, v171
	v_dual_fma_f32 v63, v222, v134, -v73 :: v_dual_add_f32 v59, v59, v67
	v_pk_mul_f32 v[92:93], v[232:233], v[84:85] op_sel_hi:[1,0]
	v_pk_mul_f32 v[86:87], v[158:159], v[142:143] op_sel:[1,1] op_sel_hi:[0,1]
	v_add_f32_e32 v57, v57, v172
	s_wait_loadcnt 0x3
	v_dual_mov_b32 v96, v149 :: v_dual_fmac_f32 v85, v155, v138
	v_dual_add_f32 v59, v59, v61 :: v_dual_fmac_f32 v83, v225, v136
	s_delay_alu instid0(VALU_DEP_3) | instskip(SKIP_1) | instid1(VALU_DEP_3)
	v_dual_fma_f32 v82, v224, v136, -v75 :: v_dual_add_f32 v95, v57, v173
	v_pk_fma_f32 v[98:99], v[156:157], v[140:141], v[92:93] op_sel_hi:[1,0,1]
	v_dual_add_f32 v94, v59, v63 :: v_dual_fma_f32 v84, v154, v138, -v65
	v_pk_fma_f32 v[92:93], v[156:157], v[140:141], v[92:93] neg_lo:[0,0,1] neg_hi:[0,0,1]
	v_pk_mul_f32 v[88:89], v[234:235], v[88:89] op_sel_hi:[1,0]
	s_delay_alu instid0(VALU_DEP_4) | instskip(NEXT) | instid1(VALU_DEP_4)
	v_mov_b32_e32 v93, v99
	v_pk_add_f32 v[82:83], v[94:95], v[82:83]
	v_pk_fma_f32 v[94:95], v[158:159], v[142:143], v[86:87] op_sel_hi:[1,0,1]
	v_pk_fma_f32 v[86:87], v[158:159], v[142:143], v[86:87] neg_lo:[0,0,1] neg_hi:[0,0,1]
	v_pk_mul_f32 v[90:91], v[162:163], v[146:147] op_sel:[1,1] op_sel_hi:[0,1]
	v_pk_mul_f32 v[96:97], v[236:237], v[96:97] op_sel_hi:[1,0]
	v_pk_add_f32 v[82:83], v[82:83], v[84:85]
	v_mov_b32_e32 v87, v95
	v_pk_fma_f32 v[94:95], v[160:161], v[144:145], v[88:89] op_sel_hi:[1,0,1]
	v_pk_fma_f32 v[88:89], v[160:161], v[144:145], v[88:89] neg_lo:[0,0,1] neg_hi:[0,0,1]
	s_wait_loadcnt 0x2
	v_pk_mul_f32 v[84:85], v[174:175], v[150:151] op_sel:[1,1] op_sel_hi:[0,1]
	v_pk_add_f32 v[82:83], v[82:83], v[92:93]
	v_pk_fma_f32 v[92:93], v[162:163], v[146:147], v[90:91] op_sel_hi:[1,0,1]
	v_mov_b32_e32 v89, v95
	v_pk_fma_f32 v[90:91], v[162:163], v[146:147], v[90:91] neg_lo:[0,0,1] neg_hi:[0,0,1]
	v_pk_fma_f32 v[94:95], v[164:165], v[148:149], v[96:97] neg_lo:[0,0,1] neg_hi:[0,0,1]
	v_pk_add_f32 v[82:83], v[82:83], v[86:87]
	v_dual_mov_b32 v86, v153 :: v_dual_mov_b32 v91, v93
	v_pk_fma_f32 v[92:93], v[164:165], v[148:149], v[96:97] op_sel_hi:[1,0,1]
	v_ashrrev_i32_e32 v57, 31, v56
	s_delay_alu instid0(VALU_DEP_4)
	v_pk_add_f32 v[82:83], v[82:83], v[88:89]
	v_pk_fma_f32 v[88:89], v[174:175], v[150:151], v[84:85] op_sel_hi:[1,0,1]
	v_pk_mul_f32 v[86:87], v[238:239], v[86:87] op_sel_hi:[1,0]
	v_mov_b32_e32 v95, v93
	v_pk_fma_f32 v[84:85], v[174:175], v[150:151], v[84:85] neg_lo:[0,0,1] neg_hi:[0,0,1]
	v_pk_add_f32 v[82:83], v[82:83], v[90:91]
	v_dual_mov_b32 v85, v89 :: v_dual_ashrrev_i32 v59, 31, v58
	v_pk_fma_f32 v[88:89], v[176:177], v[152:153], v[86:87] op_sel_hi:[1,0,1]
	s_wait_loadcnt_dscnt 0x100
	v_pk_mul_f32 v[90:91], v[230:231], v[226:227] op_sel:[1,1] op_sel_hi:[0,1]
	v_pk_add_f32 v[82:83], v[82:83], v[94:95]
	v_pk_fma_f32 v[86:87], v[176:177], v[152:153], v[86:87] neg_lo:[0,0,1] neg_hi:[0,0,1]
	v_dual_ashrrev_i32 v61, 31, v60 :: v_dual_mov_b32 v87, v89
	s_delay_alu instid0(VALU_DEP_4) | instskip(NEXT) | instid1(VALU_DEP_4)
	v_pk_fma_f32 v[88:89], v[230:231], v[226:227], v[90:91] neg_lo:[0,0,1] neg_hi:[0,0,1]
	v_pk_add_f32 v[82:83], v[82:83], v[84:85]
	v_pk_fma_f32 v[84:85], v[230:231], v[226:227], v[90:91] op_sel_hi:[1,0,1]
	v_dual_ashrrev_i32 v63, 31, v62 :: v_dual_ashrrev_i32 v65, 31, v64
	v_ashrrev_i32_e32 v67, 31, v66
	s_delay_alu instid0(VALU_DEP_4) | instskip(NEXT) | instid1(VALU_DEP_4)
	v_pk_add_f32 v[82:83], v[82:83], v[86:87]
	v_dual_mov_b32 v89, v85 :: v_dual_ashrrev_i32 v69, 31, v68
	v_dual_ashrrev_i32 v71, 31, v70 :: v_dual_ashrrev_i32 v73, 31, v72
	v_ashrrev_i32_e32 v75, 31, v74
	s_delay_alu instid0(VALU_DEP_3) | instskip(SKIP_2) | instid1(VALU_DEP_2)
	v_pk_add_f32 v[82:83], v[82:83], v[88:89]
	v_dual_ashrrev_i32 v77, 31, v76 :: v_dual_ashrrev_i32 v79, 31, v78
	s_wait_loadcnt 0x0
	v_pk_add_f32 v[82:83], v[228:229], v[82:83] neg_lo:[0,1] neg_hi:[0,1]
	scratch_store_b64 off, v[82:83], off offset:8
	s_wait_xcnt 0x0
	v_cmpx_ne_u32_e32 0, v0
	s_cbranch_execz .LBB38_247
; %bb.246:
	scratch_load_b64 v[82:83], off, off
	v_mov_b64_e32 v[84:85], 0
	scratch_store_b64 off, v[84:85], off
	s_wait_loadcnt 0x0
	ds_store_b64 v1, v[82:83]
.LBB38_247:
	s_wait_xcnt 0x0
	s_or_b32 exec_lo, exec_lo, s0
	s_wait_storecnt_dscnt 0x0
	s_barrier_signal -1
	s_barrier_wait -1
	s_clause 0xe
	scratch_load_b128 v[86:89], off, off offset:8
	scratch_load_b128 v[94:97], off, off offset:24
	;; [unrolled: 1-line block ×15, first 2 shown]
	ds_load_2addr_b64 v[82:85], v80 offset0:41 offset1:42
	ds_load_2addr_b64 v[90:93], v80 offset0:43 offset1:44
	ds_load_2addr_b64 v[194:197], v80 offset0:69 offset1:70
	ds_load_2addr_b64 v[98:101], v80 offset0:45 offset1:46
	ds_load_2addr_b64 v[106:109], v80 offset0:47 offset1:48
	ds_load_2addr_b64 v[114:117], v80 offset0:49 offset1:50
	ds_load_2addr_b64 v[122:125], v80 offset0:51 offset1:52
	ds_load_2addr_b64 v[130:133], v80 offset0:53 offset1:54
	ds_load_2addr_b64 v[138:141], v80 offset0:55 offset1:56
	ds_load_2addr_b64 v[146:149], v80 offset0:57 offset1:58
	ds_load_2addr_b64 v[154:157], v80 offset0:59 offset1:60
	ds_load_2addr_b64 v[162:165], v80 offset0:61 offset1:62
	ds_load_2addr_b64 v[170:173], v80 offset0:63 offset1:64
	ds_load_2addr_b64 v[178:181], v80 offset0:65 offset1:66
	ds_load_2addr_b64 v[186:189], v80 offset0:67 offset1:68
	s_clause 0x3
	scratch_load_b128 v[202:205], off, off offset:248
	scratch_load_b128 v[206:209], off, off offset:264
	;; [unrolled: 1-line block ×4, first 2 shown]
	s_and_b32 vcc_lo, exec_lo, s18
	s_wait_loadcnt_dscnt 0x120e
	v_dual_mul_f32 v0, v82, v87 :: v_dual_mul_f32 v1, v84, v89
	s_wait_loadcnt_dscnt 0x100c
	v_dual_mul_f32 v219, v194, v199 :: v_dual_mul_f32 v221, v196, v201
	s_delay_alu instid0(VALU_DEP_2) | instskip(NEXT) | instid1(VALU_DEP_2)
	v_dual_mul_f32 v81, v85, v89 :: v_dual_fmac_f32 v0, v83, v86
	v_dual_fmac_f32 v1, v85, v88 :: v_dual_fmac_f32 v219, v195, v198
	s_delay_alu instid0(VALU_DEP_3) | instskip(NEXT) | instid1(VALU_DEP_3)
	v_fmac_f32_e32 v221, v197, v200
	v_fma_f32 v81, v84, v88, -v81
	s_delay_alu instid0(VALU_DEP_4) | instskip(NEXT) | instid1(VALU_DEP_1)
	v_add_f32_e32 v0, 0, v0
	v_dual_add_f32 v0, v0, v1 :: v_dual_mul_f32 v1, v90, v95
	s_delay_alu instid0(VALU_DEP_1) | instskip(NEXT) | instid1(VALU_DEP_1)
	v_fmac_f32_e32 v1, v91, v94
	v_add_f32_e32 v0, v0, v1
	v_mul_f32_e32 v1, v92, v97
	s_delay_alu instid0(VALU_DEP_1) | instskip(SKIP_1) | instid1(VALU_DEP_1)
	v_fmac_f32_e32 v1, v93, v96
	s_wait_loadcnt_dscnt 0xf0b
	v_dual_add_f32 v0, v0, v1 :: v_dual_mul_f32 v1, v98, v103
	s_delay_alu instid0(VALU_DEP_1) | instskip(NEXT) | instid1(VALU_DEP_1)
	v_fmac_f32_e32 v1, v99, v102
	v_add_f32_e32 v0, v0, v1
	v_mul_f32_e32 v1, v100, v105
	s_delay_alu instid0(VALU_DEP_1) | instskip(SKIP_1) | instid1(VALU_DEP_1)
	v_fmac_f32_e32 v1, v101, v104
	s_wait_loadcnt_dscnt 0xe0a
	;; [unrolled: 8-line block ×12, first 2 shown]
	v_dual_add_f32 v0, v0, v1 :: v_dual_mul_f32 v1, v186, v191
	s_delay_alu instid0(VALU_DEP_1) | instskip(NEXT) | instid1(VALU_DEP_1)
	v_fmac_f32_e32 v1, v187, v190
	v_add_f32_e32 v0, v0, v1
	v_mul_f32_e32 v1, v188, v193
	s_delay_alu instid0(VALU_DEP_1) | instskip(NEXT) | instid1(VALU_DEP_1)
	v_fmac_f32_e32 v1, v189, v192
	v_dual_add_f32 v1, v0, v1 :: v_dual_mul_f32 v0, v83, v87
	s_delay_alu instid0(VALU_DEP_1) | instskip(NEXT) | instid1(VALU_DEP_1)
	v_fma_f32 v0, v82, v86, -v0
	v_add_f32_e32 v0, 0, v0
	s_delay_alu instid0(VALU_DEP_1) | instskip(NEXT) | instid1(VALU_DEP_1)
	v_dual_add_f32 v0, v0, v81 :: v_dual_mul_f32 v81, v91, v95
	v_fma_f32 v81, v90, v94, -v81
	s_delay_alu instid0(VALU_DEP_1) | instskip(SKIP_1) | instid1(VALU_DEP_1)
	v_add_f32_e32 v0, v0, v81
	v_mul_f32_e32 v81, v93, v97
	v_fma_f32 v81, v92, v96, -v81
	ds_load_2addr_b64 v[82:85], v80 offset0:71 offset1:72
	ds_load_2addr_b64 v[86:89], v80 offset0:73 offset1:74
	;; [unrolled: 1-line block ×4, first 2 shown]
	v_dual_add_f32 v0, v0, v81 :: v_dual_mul_f32 v81, v99, v103
	s_delay_alu instid0(VALU_DEP_1) | instskip(NEXT) | instid1(VALU_DEP_1)
	v_fma_f32 v81, v98, v102, -v81
	v_add_f32_e32 v0, v0, v81
	v_mul_f32_e32 v81, v101, v105
	s_delay_alu instid0(VALU_DEP_1) | instskip(NEXT) | instid1(VALU_DEP_1)
	v_fma_f32 v81, v100, v104, -v81
	v_dual_add_f32 v0, v0, v81 :: v_dual_mul_f32 v81, v107, v111
	s_delay_alu instid0(VALU_DEP_1) | instskip(NEXT) | instid1(VALU_DEP_1)
	v_fma_f32 v81, v106, v110, -v81
	v_add_f32_e32 v0, v0, v81
	v_mul_f32_e32 v81, v109, v113
	s_delay_alu instid0(VALU_DEP_1) | instskip(NEXT) | instid1(VALU_DEP_1)
	v_fma_f32 v81, v108, v112, -v81
	;; [unrolled: 7-line block ×12, first 2 shown]
	v_dual_add_f32 v0, v0, v81 :: v_dual_mul_f32 v81, v195, v199
	s_delay_alu instid0(VALU_DEP_1) | instskip(NEXT) | instid1(VALU_DEP_1)
	v_dual_fma_f32 v218, v194, v198, -v81 :: v_dual_mul_f32 v81, v197, v201
	v_fma_f32 v220, v196, v200, -v81
	s_wait_loadcnt_dscnt 0x303
	v_pk_mul_f32 v[80:81], v[82:83], v[202:203] op_sel:[1,1] op_sel_hi:[0,1]
	s_delay_alu instid0(VALU_DEP_1) | instskip(SKIP_2) | instid1(VALU_DEP_2)
	v_pk_fma_f32 v[98:99], v[82:83], v[202:203], v[80:81] neg_lo:[0,0,1] neg_hi:[0,0,1]
	v_pk_fma_f32 v[80:81], v[82:83], v[202:203], v[80:81] op_sel_hi:[1,0,1]
	v_dual_mov_b32 v80, v85 :: v_dual_mov_b32 v82, v205
	v_dual_mov_b32 v99, v81 :: v_dual_mov_b32 v81, v84
	s_delay_alu instid0(VALU_DEP_1) | instskip(NEXT) | instid1(VALU_DEP_1)
	v_pk_mul_f32 v[80:81], v[80:81], v[82:83] op_sel_hi:[1,0]
	v_pk_fma_f32 v[82:83], v[84:85], v[204:205], v[80:81] neg_lo:[0,0,1] neg_hi:[0,0,1]
	v_pk_fma_f32 v[80:81], v[84:85], v[204:205], v[80:81] op_sel_hi:[1,0,1]
	s_delay_alu instid0(VALU_DEP_1) | instskip(SKIP_3) | instid1(VALU_DEP_2)
	v_mov_b32_e32 v83, v81
	v_pk_add_f32 v[0:1], v[0:1], v[218:219]
	s_wait_loadcnt_dscnt 0x202
	v_pk_mul_f32 v[80:81], v[86:87], v[206:207] op_sel:[1,1] op_sel_hi:[0,1]
	v_pk_add_f32 v[0:1], v[0:1], v[220:221]
	s_delay_alu instid0(VALU_DEP_1) | instskip(NEXT) | instid1(VALU_DEP_1)
	v_pk_add_f32 v[0:1], v[0:1], v[98:99]
	v_pk_add_f32 v[0:1], v[0:1], v[82:83]
	s_delay_alu instid0(VALU_DEP_4) | instskip(SKIP_1) | instid1(VALU_DEP_1)
	v_pk_fma_f32 v[82:83], v[86:87], v[206:207], v[80:81] neg_lo:[0,0,1] neg_hi:[0,0,1]
	v_pk_fma_f32 v[80:81], v[86:87], v[206:207], v[80:81] op_sel_hi:[1,0,1]
	v_dual_mov_b32 v80, v89 :: v_dual_mov_b32 v83, v81
	v_mov_b32_e32 v81, v88
	s_delay_alu instid0(VALU_DEP_2) | instskip(SKIP_1) | instid1(VALU_DEP_1)
	v_pk_add_f32 v[0:1], v[0:1], v[82:83]
	v_mov_b32_e32 v82, v209
	v_pk_mul_f32 v[80:81], v[80:81], v[82:83] op_sel_hi:[1,0]
	s_delay_alu instid0(VALU_DEP_1) | instskip(SKIP_1) | instid1(VALU_DEP_1)
	v_pk_fma_f32 v[82:83], v[88:89], v[208:209], v[80:81] neg_lo:[0,0,1] neg_hi:[0,0,1]
	v_pk_fma_f32 v[80:81], v[88:89], v[208:209], v[80:81] op_sel_hi:[1,0,1]
	v_mov_b32_e32 v83, v81
	s_wait_loadcnt_dscnt 0x101
	v_pk_mul_f32 v[80:81], v[90:91], v[210:211] op_sel:[1,1] op_sel_hi:[0,1]
	s_delay_alu instid0(VALU_DEP_2) | instskip(NEXT) | instid1(VALU_DEP_2)
	v_pk_add_f32 v[0:1], v[0:1], v[82:83]
	v_pk_fma_f32 v[82:83], v[90:91], v[210:211], v[80:81] neg_lo:[0,0,1] neg_hi:[0,0,1]
	v_pk_fma_f32 v[80:81], v[90:91], v[210:211], v[80:81] op_sel_hi:[1,0,1]
	s_delay_alu instid0(VALU_DEP_1) | instskip(SKIP_1) | instid1(VALU_DEP_2)
	v_dual_mov_b32 v80, v93 :: v_dual_mov_b32 v83, v81
	v_mov_b32_e32 v81, v92
	v_pk_add_f32 v[0:1], v[0:1], v[82:83]
	v_mov_b32_e32 v82, v213
	s_delay_alu instid0(VALU_DEP_1) | instskip(NEXT) | instid1(VALU_DEP_1)
	v_pk_mul_f32 v[80:81], v[80:81], v[82:83] op_sel_hi:[1,0]
	v_pk_fma_f32 v[82:83], v[92:93], v[212:213], v[80:81] neg_lo:[0,0,1] neg_hi:[0,0,1]
	v_pk_fma_f32 v[80:81], v[92:93], v[212:213], v[80:81] op_sel_hi:[1,0,1]
	s_delay_alu instid0(VALU_DEP_1) | instskip(SKIP_2) | instid1(VALU_DEP_2)
	v_mov_b32_e32 v83, v81
	s_wait_loadcnt_dscnt 0x0
	v_pk_mul_f32 v[80:81], v[94:95], v[214:215] op_sel:[1,1] op_sel_hi:[0,1]
	v_pk_add_f32 v[0:1], v[0:1], v[82:83]
	s_delay_alu instid0(VALU_DEP_2) | instskip(SKIP_1) | instid1(VALU_DEP_1)
	v_pk_fma_f32 v[82:83], v[94:95], v[214:215], v[80:81] neg_lo:[0,0,1] neg_hi:[0,0,1]
	v_pk_fma_f32 v[80:81], v[94:95], v[214:215], v[80:81] op_sel_hi:[1,0,1]
	v_dual_mov_b32 v80, v97 :: v_dual_mov_b32 v83, v81
	v_mov_b32_e32 v81, v96
	s_delay_alu instid0(VALU_DEP_2) | instskip(SKIP_1) | instid1(VALU_DEP_1)
	v_pk_add_f32 v[0:1], v[0:1], v[82:83]
	v_mov_b32_e32 v82, v217
	v_pk_mul_f32 v[80:81], v[80:81], v[82:83] op_sel_hi:[1,0]
	s_delay_alu instid0(VALU_DEP_1) | instskip(SKIP_1) | instid1(VALU_DEP_1)
	v_pk_fma_f32 v[82:83], v[96:97], v[216:217], v[80:81] neg_lo:[0,0,1] neg_hi:[0,0,1]
	v_pk_fma_f32 v[80:81], v[96:97], v[216:217], v[80:81] op_sel_hi:[1,0,1]
	v_mov_b32_e32 v83, v81
	scratch_load_b64 v[80:81], off, off
	v_pk_add_f32 v[0:1], v[0:1], v[82:83]
	s_wait_loadcnt 0x0
	s_delay_alu instid0(VALU_DEP_1)
	v_pk_add_f32 v[0:1], v[80:81], v[0:1] neg_lo:[0,1] neg_hi:[0,1]
	scratch_store_b64 off, v[0:1], off
	s_cbranch_vccz .LBB38_324
; %bb.248:
	s_wait_xcnt 0x0
	v_mov_b32_e32 v0, 0
	global_load_b32 v1, v0, s[2:3] offset:148
	s_wait_loadcnt 0x0
	v_cmp_ne_u32_e32 vcc_lo, 38, v1
	s_cbranch_vccz .LBB38_250
; %bb.249:
	v_lshlrev_b32_e32 v1, 3, v1
	scratch_load_b64 v[80:81], v1, off offset:-8
	scratch_load_b64 v[82:83], off, off offset:296
	s_wait_loadcnt 0x1
	scratch_store_b64 off, v[80:81], off offset:296
	s_wait_loadcnt 0x0
	scratch_store_b64 v1, v[82:83], off offset:-8
.LBB38_250:
	global_load_b32 v0, v0, s[2:3] offset:144
	s_wait_loadcnt 0x0
	v_cmp_eq_u32_e32 vcc_lo, 37, v0
	s_cbranch_vccnz .LBB38_252
; %bb.251:
	s_wait_xcnt 0x0
	v_lshlrev_b32_e32 v0, 3, v0
	s_delay_alu instid0(VALU_DEP_1)
	v_mov_b32_e32 v82, v0
	scratch_load_b64 v[0:1], v82, off offset:-8
	scratch_load_b64 v[80:81], off, off offset:288
	s_wait_loadcnt 0x1
	scratch_store_b64 off, v[0:1], off offset:288
	s_wait_loadcnt 0x0
	scratch_store_b64 v82, v[80:81], off offset:-8
.LBB38_252:
	s_wait_xcnt 0x0
	v_mov_b32_e32 v0, 0
	global_load_b32 v1, v0, s[2:3] offset:140
	s_wait_loadcnt 0x0
	v_cmp_eq_u32_e32 vcc_lo, 36, v1
	s_cbranch_vccnz .LBB38_254
; %bb.253:
	v_lshlrev_b32_e32 v1, 3, v1
	scratch_load_b64 v[80:81], v1, off offset:-8
	scratch_load_b64 v[82:83], off, off offset:280
	s_wait_loadcnt 0x1
	scratch_store_b64 off, v[80:81], off offset:280
	s_wait_loadcnt 0x0
	scratch_store_b64 v1, v[82:83], off offset:-8
.LBB38_254:
	global_load_b32 v0, v0, s[2:3] offset:136
	s_wait_loadcnt 0x0
	v_cmp_eq_u32_e32 vcc_lo, 35, v0
	s_cbranch_vccnz .LBB38_256
; %bb.255:
	s_wait_xcnt 0x0
	v_lshlrev_b32_e32 v0, 3, v0
	s_delay_alu instid0(VALU_DEP_1)
	v_mov_b32_e32 v82, v0
	scratch_load_b64 v[0:1], v82, off offset:-8
	scratch_load_b64 v[80:81], off, off offset:272
	s_wait_loadcnt 0x1
	scratch_store_b64 off, v[0:1], off offset:272
	s_wait_loadcnt 0x0
	scratch_store_b64 v82, v[80:81], off offset:-8
.LBB38_256:
	s_wait_xcnt 0x0
	v_mov_b32_e32 v0, 0
	global_load_b32 v1, v0, s[2:3] offset:132
	s_wait_loadcnt 0x0
	v_cmp_eq_u32_e32 vcc_lo, 34, v1
	s_cbranch_vccnz .LBB38_258
; %bb.257:
	v_lshlrev_b32_e32 v1, 3, v1
	scratch_load_b64 v[80:81], v1, off offset:-8
	scratch_load_b64 v[82:83], off, off offset:264
	s_wait_loadcnt 0x1
	scratch_store_b64 off, v[80:81], off offset:264
	s_wait_loadcnt 0x0
	scratch_store_b64 v1, v[82:83], off offset:-8
.LBB38_258:
	;; [unrolled: 31-line block ×18, first 2 shown]
	global_load_b32 v80, v0, s[2:3]
	scratch_load_b64 v[0:1], off, off
	s_wait_loadcnt 0x1
	v_cmp_eq_u32_e32 vcc_lo, 1, v80
	s_cbranch_vccnz .LBB38_324
; %bb.323:
	v_lshlrev_b32_e32 v80, 3, v80
	s_delay_alu instid0(VALU_DEP_1)
	v_mov_b32_e32 v82, v80
	scratch_load_b64 v[80:81], v82, off offset:-8
	s_wait_loadcnt 0x0
	scratch_store_b64 off, v[80:81], off
	scratch_store_b64 v82, v[0:1], off offset:-8
	scratch_load_b64 v[0:1], off, off
.LBB38_324:
	v_lshl_add_u64 v[80:81], v[4:5], 3, s[4:5]
	v_lshl_add_u64 v[82:83], v[6:7], 3, s[4:5]
	;; [unrolled: 1-line block ×4, first 2 shown]
	s_clause 0x12
	scratch_load_b128 v[76:79], off, off offset:8
	scratch_load_b128 v[84:87], off, off offset:24
	;; [unrolled: 1-line block ×19, first 2 shown]
	v_lshl_add_u64 v[10:11], v[10:11], 3, s[4:5]
	v_lshl_add_u64 v[12:13], v[12:13], 3, s[4:5]
	;; [unrolled: 1-line block ×33, first 2 shown]
	s_wait_loadcnt 0x13
	global_store_b64 v[2:3], v[0:1], off
	s_wait_loadcnt 0x12
	s_clause 0x1
	global_store_b64 v[8:9], v[76:77], off
	global_store_b64 v[80:81], v[78:79], off
	s_wait_loadcnt 0x11
	s_clause 0x1
	global_store_b64 v[82:83], v[84:85], off
	;; [unrolled: 4-line block ×19, first 2 shown]
	global_store_b64 v[6:7], v[154:155], off
	s_sendmsg sendmsg(MSG_DEALLOC_VGPRS)
	s_endpgm
	.section	.rodata,"a",@progbits
	.p2align	6, 0x0
	.amdhsa_kernel _ZN9rocsolver6v33100L18getri_kernel_smallILi39E19rocblas_complex_numIfEPS3_EEvT1_iilPiilS6_bb
		.amdhsa_group_segment_fixed_size 632
		.amdhsa_private_segment_fixed_size 320
		.amdhsa_kernarg_size 60
		.amdhsa_user_sgpr_count 2
		.amdhsa_user_sgpr_dispatch_ptr 0
		.amdhsa_user_sgpr_queue_ptr 0
		.amdhsa_user_sgpr_kernarg_segment_ptr 1
		.amdhsa_user_sgpr_dispatch_id 0
		.amdhsa_user_sgpr_kernarg_preload_length 0
		.amdhsa_user_sgpr_kernarg_preload_offset 0
		.amdhsa_user_sgpr_private_segment_size 0
		.amdhsa_wavefront_size32 1
		.amdhsa_uses_dynamic_stack 0
		.amdhsa_enable_private_segment 1
		.amdhsa_system_sgpr_workgroup_id_x 1
		.amdhsa_system_sgpr_workgroup_id_y 0
		.amdhsa_system_sgpr_workgroup_id_z 0
		.amdhsa_system_sgpr_workgroup_info 0
		.amdhsa_system_vgpr_workitem_id 0
		.amdhsa_next_free_vgpr 244
		.amdhsa_next_free_sgpr 19
		.amdhsa_named_barrier_count 0
		.amdhsa_reserve_vcc 1
		.amdhsa_float_round_mode_32 0
		.amdhsa_float_round_mode_16_64 0
		.amdhsa_float_denorm_mode_32 3
		.amdhsa_float_denorm_mode_16_64 3
		.amdhsa_fp16_overflow 0
		.amdhsa_memory_ordered 1
		.amdhsa_forward_progress 1
		.amdhsa_inst_pref_size 255
		.amdhsa_round_robin_scheduling 0
		.amdhsa_exception_fp_ieee_invalid_op 0
		.amdhsa_exception_fp_denorm_src 0
		.amdhsa_exception_fp_ieee_div_zero 0
		.amdhsa_exception_fp_ieee_overflow 0
		.amdhsa_exception_fp_ieee_underflow 0
		.amdhsa_exception_fp_ieee_inexact 0
		.amdhsa_exception_int_div_zero 0
	.end_amdhsa_kernel
	.section	.text._ZN9rocsolver6v33100L18getri_kernel_smallILi39E19rocblas_complex_numIfEPS3_EEvT1_iilPiilS6_bb,"axG",@progbits,_ZN9rocsolver6v33100L18getri_kernel_smallILi39E19rocblas_complex_numIfEPS3_EEvT1_iilPiilS6_bb,comdat
.Lfunc_end38:
	.size	_ZN9rocsolver6v33100L18getri_kernel_smallILi39E19rocblas_complex_numIfEPS3_EEvT1_iilPiilS6_bb, .Lfunc_end38-_ZN9rocsolver6v33100L18getri_kernel_smallILi39E19rocblas_complex_numIfEPS3_EEvT1_iilPiilS6_bb
                                        ; -- End function
	.set _ZN9rocsolver6v33100L18getri_kernel_smallILi39E19rocblas_complex_numIfEPS3_EEvT1_iilPiilS6_bb.num_vgpr, 244
	.set _ZN9rocsolver6v33100L18getri_kernel_smallILi39E19rocblas_complex_numIfEPS3_EEvT1_iilPiilS6_bb.num_agpr, 0
	.set _ZN9rocsolver6v33100L18getri_kernel_smallILi39E19rocblas_complex_numIfEPS3_EEvT1_iilPiilS6_bb.numbered_sgpr, 19
	.set _ZN9rocsolver6v33100L18getri_kernel_smallILi39E19rocblas_complex_numIfEPS3_EEvT1_iilPiilS6_bb.num_named_barrier, 0
	.set _ZN9rocsolver6v33100L18getri_kernel_smallILi39E19rocblas_complex_numIfEPS3_EEvT1_iilPiilS6_bb.private_seg_size, 320
	.set _ZN9rocsolver6v33100L18getri_kernel_smallILi39E19rocblas_complex_numIfEPS3_EEvT1_iilPiilS6_bb.uses_vcc, 1
	.set _ZN9rocsolver6v33100L18getri_kernel_smallILi39E19rocblas_complex_numIfEPS3_EEvT1_iilPiilS6_bb.uses_flat_scratch, 1
	.set _ZN9rocsolver6v33100L18getri_kernel_smallILi39E19rocblas_complex_numIfEPS3_EEvT1_iilPiilS6_bb.has_dyn_sized_stack, 0
	.set _ZN9rocsolver6v33100L18getri_kernel_smallILi39E19rocblas_complex_numIfEPS3_EEvT1_iilPiilS6_bb.has_recursion, 0
	.set _ZN9rocsolver6v33100L18getri_kernel_smallILi39E19rocblas_complex_numIfEPS3_EEvT1_iilPiilS6_bb.has_indirect_call, 0
	.section	.AMDGPU.csdata,"",@progbits
; Kernel info:
; codeLenInByte = 61040
; TotalNumSgprs: 21
; NumVgprs: 244
; ScratchSize: 320
; MemoryBound: 0
; FloatMode: 240
; IeeeMode: 1
; LDSByteSize: 632 bytes/workgroup (compile time only)
; SGPRBlocks: 0
; VGPRBlocks: 15
; NumSGPRsForWavesPerEU: 21
; NumVGPRsForWavesPerEU: 244
; NamedBarCnt: 0
; Occupancy: 4
; WaveLimiterHint : 1
; COMPUTE_PGM_RSRC2:SCRATCH_EN: 1
; COMPUTE_PGM_RSRC2:USER_SGPR: 2
; COMPUTE_PGM_RSRC2:TRAP_HANDLER: 0
; COMPUTE_PGM_RSRC2:TGID_X_EN: 1
; COMPUTE_PGM_RSRC2:TGID_Y_EN: 0
; COMPUTE_PGM_RSRC2:TGID_Z_EN: 0
; COMPUTE_PGM_RSRC2:TIDIG_COMP_CNT: 0
	.section	.text._ZN9rocsolver6v33100L18getri_kernel_smallILi40E19rocblas_complex_numIfEPS3_EEvT1_iilPiilS6_bb,"axG",@progbits,_ZN9rocsolver6v33100L18getri_kernel_smallILi40E19rocblas_complex_numIfEPS3_EEvT1_iilPiilS6_bb,comdat
	.globl	_ZN9rocsolver6v33100L18getri_kernel_smallILi40E19rocblas_complex_numIfEPS3_EEvT1_iilPiilS6_bb ; -- Begin function _ZN9rocsolver6v33100L18getri_kernel_smallILi40E19rocblas_complex_numIfEPS3_EEvT1_iilPiilS6_bb
	.p2align	8
	.type	_ZN9rocsolver6v33100L18getri_kernel_smallILi40E19rocblas_complex_numIfEPS3_EEvT1_iilPiilS6_bb,@function
_ZN9rocsolver6v33100L18getri_kernel_smallILi40E19rocblas_complex_numIfEPS3_EEvT1_iilPiilS6_bb: ; @_ZN9rocsolver6v33100L18getri_kernel_smallILi40E19rocblas_complex_numIfEPS3_EEvT1_iilPiilS6_bb
; %bb.0:
	s_mov_b32 s2, exec_lo
	v_cmpx_gt_u32_e32 40, v0
	s_cbranch_execz .LBB39_174
; %bb.1:
	s_clause 0x2
	s_load_b32 s2, s[0:1], 0x38
	s_load_b128 s[12:15], s[0:1], 0x10
	s_load_b128 s[4:7], s[0:1], 0x28
	s_getreg_b32 s9, hwreg(HW_REG_IB_STS2, 6, 4)
	s_wait_kmcnt 0x0
	s_bitcmp1_b32 s2, 8
	s_cselect_b32 s18, -1, 0
	s_bfe_u32 s3, ttmp6, 0x4000c
	s_and_b32 s8, ttmp6, 15
	s_add_co_i32 s3, s3, 1
	s_delay_alu instid0(SALU_CYCLE_1) | instskip(NEXT) | instid1(SALU_CYCLE_1)
	s_mul_i32 s3, ttmp9, s3
	s_add_co_i32 s8, s8, s3
	s_cmp_eq_u32 s9, 0
	s_cselect_b32 s16, ttmp9, s8
	s_bfe_u32 s2, s2, 0x10008
	s_ashr_i32 s17, s16, 31
	s_cmp_eq_u32 s2, 0
                                        ; implicit-def: $sgpr2_sgpr3
	s_cbranch_scc1 .LBB39_3
; %bb.2:
	s_load_b32 s2, s[0:1], 0x20
	s_mul_u64 s[4:5], s[4:5], s[16:17]
	s_delay_alu instid0(SALU_CYCLE_1) | instskip(NEXT) | instid1(SALU_CYCLE_1)
	s_lshl_b64 s[4:5], s[4:5], 2
	s_add_nc_u64 s[4:5], s[14:15], s[4:5]
	s_wait_kmcnt 0x0
	s_ashr_i32 s3, s2, 31
	s_delay_alu instid0(SALU_CYCLE_1) | instskip(NEXT) | instid1(SALU_CYCLE_1)
	s_lshl_b64 s[2:3], s[2:3], 2
	s_add_nc_u64 s[2:3], s[4:5], s[2:3]
.LBB39_3:
	s_clause 0x1
	s_load_b128 s[8:11], s[0:1], 0x0
	s_load_b32 s14, s[0:1], 0x38
	s_wait_xcnt 0x0
	s_mul_u64 s[0:1], s[12:13], s[16:17]
	v_mov_b32_e32 v83, 0
	s_lshl_b64 s[0:1], s[0:1], 3
	s_wait_kmcnt 0x0
	v_add3_u32 v4, s11, s11, v0
	s_ashr_i32 s5, s10, 31
	s_mov_b32 s4, s10
	s_add_nc_u64 s[0:1], s[8:9], s[0:1]
	s_lshl_b64 s[4:5], s[4:5], 3
	v_add_nc_u32_e32 v8, s11, v4
	s_add_nc_u64 s[4:5], s[0:1], s[4:5]
	s_ashr_i32 s1, s11, 31
	s_mov_b32 s0, s11
	s_bitcmp0_b32 s14, 0
	v_add_nc_u32_e32 v10, s11, v8
	s_delay_alu instid0(VALU_DEP_1) | instskip(NEXT) | instid1(VALU_DEP_1)
	v_add_nc_u32_e32 v12, s11, v10
	v_add_nc_u32_e32 v14, s11, v12
	s_delay_alu instid0(VALU_DEP_1) | instskip(NEXT) | instid1(VALU_DEP_1)
	v_add_nc_u32_e32 v16, s11, v14
	;; [unrolled: 3-line block ×11, first 2 shown]
	v_add_nc_u32_e32 v54, s11, v52
	s_delay_alu instid0(VALU_DEP_1) | instskip(NEXT) | instid1(VALU_DEP_1)
	v_dual_lshlrev_b32 v82, 3, v0 :: v_dual_add_nc_u32 v56, s11, v54
	v_add_nc_u64_e32 v[2:3], s[4:5], v[82:83]
	s_delay_alu instid0(VALU_DEP_2) | instskip(NEXT) | instid1(VALU_DEP_2)
	v_add_nc_u32_e32 v58, s11, v56
	v_lshl_add_u64 v[6:7], s[0:1], 3, v[2:3]
	s_mov_b32 s1, -1
	s_delay_alu instid0(VALU_DEP_2)
	v_add_nc_u32_e32 v60, s11, v58
	s_clause 0x9
	global_load_b64 v[84:85], v0, s[4:5] scale_offset
	global_load_b64 v[86:87], v[6:7], off
	global_load_b64 v[88:89], v4, s[4:5] scale_offset
	global_load_b64 v[90:91], v8, s[4:5] scale_offset
	;; [unrolled: 1-line block ×8, first 2 shown]
	v_add_nc_u32_e32 v62, s11, v60
	s_clause 0xf
	global_load_b64 v[104:105], v22, s[4:5] scale_offset
	global_load_b64 v[106:107], v24, s[4:5] scale_offset
	;; [unrolled: 1-line block ×16, first 2 shown]
	v_add_nc_u32_e32 v64, s11, v62
	s_clause 0x3
	global_load_b64 v[136:137], v54, s[4:5] scale_offset
	global_load_b64 v[138:139], v56, s[4:5] scale_offset
	global_load_b64 v[140:141], v58, s[4:5] scale_offset
	global_load_b64 v[142:143], v60, s[4:5] scale_offset
	v_add_nc_u32_e32 v66, s11, v64
	s_delay_alu instid0(VALU_DEP_1) | instskip(NEXT) | instid1(VALU_DEP_1)
	v_add_nc_u32_e32 v68, s11, v66
	v_add_nc_u32_e32 v70, s11, v68
	s_delay_alu instid0(VALU_DEP_1)
	v_add_nc_u32_e32 v72, s11, v70
	s_clause 0x3
	global_load_b64 v[144:145], v62, s[4:5] scale_offset
	global_load_b64 v[146:147], v64, s[4:5] scale_offset
	;; [unrolled: 1-line block ×4, first 2 shown]
	v_add_nc_u32_e32 v74, s11, v72
	s_delay_alu instid0(VALU_DEP_1) | instskip(NEXT) | instid1(VALU_DEP_1)
	v_add_nc_u32_e32 v76, s11, v74
	v_add_nc_u32_e32 v78, s11, v76
	s_delay_alu instid0(VALU_DEP_1)
	v_add_nc_u32_e32 v80, s11, v78
	s_clause 0x5
	global_load_b64 v[152:153], v70, s[4:5] scale_offset
	global_load_b64 v[154:155], v72, s[4:5] scale_offset
	;; [unrolled: 1-line block ×6, first 2 shown]
	s_wait_loadcnt 0x26
	scratch_store_b128 off, v[84:87], off
	s_wait_loadcnt 0x24
	scratch_store_b128 off, v[88:91], off offset:16
	s_wait_loadcnt 0x22
	scratch_store_b128 off, v[92:95], off offset:32
	;; [unrolled: 2-line block ×19, first 2 shown]
	s_cbranch_scc1 .LBB39_172
; %bb.4:
	v_cmp_eq_u32_e64 s0, 0, v0
	s_wait_xcnt 0x0
	s_and_saveexec_b32 s1, s0
; %bb.5:
	v_mov_b32_e32 v1, 0
	ds_store_b32 v1, v1 offset:640
; %bb.6:
	s_or_b32 exec_lo, exec_lo, s1
	s_wait_storecnt_dscnt 0x0
	s_barrier_signal -1
	s_barrier_wait -1
	scratch_load_b64 v[84:85], v0, off scale_offset
	s_wait_loadcnt 0x0
	v_cmp_eq_f32_e32 vcc_lo, 0, v84
	v_cmp_eq_f32_e64 s1, 0, v85
	s_and_b32 s1, vcc_lo, s1
	s_delay_alu instid0(SALU_CYCLE_1)
	s_and_saveexec_b32 s8, s1
	s_cbranch_execz .LBB39_10
; %bb.7:
	v_mov_b32_e32 v1, 0
	s_mov_b32 s9, 0
	ds_load_b32 v5, v1 offset:640
	s_wait_dscnt 0x0
	v_readfirstlane_b32 s1, v5
	v_add_nc_u32_e32 v5, 1, v0
	s_cmp_eq_u32 s1, 0
	s_delay_alu instid0(VALU_DEP_1) | instskip(SKIP_1) | instid1(SALU_CYCLE_1)
	v_cmp_gt_i32_e32 vcc_lo, s1, v5
	s_cselect_b32 s10, -1, 0
	s_or_b32 s10, s10, vcc_lo
	s_delay_alu instid0(SALU_CYCLE_1)
	s_and_b32 exec_lo, exec_lo, s10
	s_cbranch_execz .LBB39_10
; %bb.8:
	v_mov_b32_e32 v9, s1
.LBB39_9:                               ; =>This Inner Loop Header: Depth=1
	ds_cmpstore_rtn_b32 v9, v1, v5, v9 offset:640
	s_wait_dscnt 0x0
	v_cmp_ne_u32_e32 vcc_lo, 0, v9
	v_cmp_le_i32_e64 s1, v9, v5
	s_and_b32 s1, vcc_lo, s1
	s_delay_alu instid0(SALU_CYCLE_1) | instskip(NEXT) | instid1(SALU_CYCLE_1)
	s_and_b32 s1, exec_lo, s1
	s_or_b32 s9, s1, s9
	s_delay_alu instid0(SALU_CYCLE_1)
	s_and_not1_b32 exec_lo, exec_lo, s9
	s_cbranch_execnz .LBB39_9
.LBB39_10:
	s_or_b32 exec_lo, exec_lo, s8
	v_mov_b32_e32 v1, 0
	s_barrier_signal -1
	s_barrier_wait -1
	ds_load_b32 v5, v1 offset:640
	s_and_saveexec_b32 s1, s0
	s_cbranch_execz .LBB39_12
; %bb.11:
	s_lshl_b64 s[8:9], s[16:17], 2
	s_delay_alu instid0(SALU_CYCLE_1)
	s_add_nc_u64 s[8:9], s[6:7], s[8:9]
	s_wait_dscnt 0x0
	global_store_b32 v1, v5, s[8:9]
.LBB39_12:
	s_wait_xcnt 0x0
	s_or_b32 exec_lo, exec_lo, s1
	s_wait_dscnt 0x0
	v_cmp_ne_u32_e32 vcc_lo, 0, v5
	s_mov_b32 s1, 0
	s_cbranch_vccnz .LBB39_172
; %bb.13:
	v_lshl_add_u32 v5, v0, 3, 0
                                        ; implicit-def: $vgpr87
                                        ; implicit-def: $vgpr88
	scratch_load_b64 v[84:85], v5, off
	s_wait_loadcnt 0x0
	v_cmp_ngt_f32_e64 s1, |v84|, |v85|
	s_wait_xcnt 0x0
	s_and_saveexec_b32 s8, s1
	s_delay_alu instid0(SALU_CYCLE_1)
	s_xor_b32 s1, exec_lo, s8
	s_cbranch_execz .LBB39_15
; %bb.14:
	v_div_scale_f32 v1, null, v85, v85, v84
	v_div_scale_f32 v13, vcc_lo, v84, v85, v84
	s_delay_alu instid0(VALU_DEP_2) | instskip(SKIP_1) | instid1(TRANS32_DEP_1)
	v_rcp_f32_e32 v9, v1
	v_nop
	v_fma_f32 v11, -v1, v9, 1.0
	s_delay_alu instid0(VALU_DEP_1) | instskip(NEXT) | instid1(VALU_DEP_1)
	v_fmac_f32_e32 v9, v11, v9
	v_mul_f32_e32 v11, v13, v9
	s_delay_alu instid0(VALU_DEP_1) | instskip(NEXT) | instid1(VALU_DEP_1)
	v_fma_f32 v15, -v1, v11, v13
	v_fmac_f32_e32 v11, v15, v9
	s_delay_alu instid0(VALU_DEP_1) | instskip(NEXT) | instid1(VALU_DEP_1)
	v_fma_f32 v1, -v1, v11, v13
	v_div_fmas_f32 v1, v1, v9, v11
	s_delay_alu instid0(VALU_DEP_1) | instskip(NEXT) | instid1(VALU_DEP_1)
	v_div_fixup_f32 v1, v1, v85, v84
	v_fmac_f32_e32 v85, v84, v1
	s_delay_alu instid0(VALU_DEP_1) | instskip(NEXT) | instid1(VALU_DEP_1)
	v_div_scale_f32 v9, null, v85, v85, -1.0
	v_rcp_f32_e32 v11, v9
	v_nop
	s_delay_alu instid0(TRANS32_DEP_1) | instskip(NEXT) | instid1(VALU_DEP_1)
	v_fma_f32 v13, -v9, v11, 1.0
	v_fmac_f32_e32 v11, v13, v11
	v_div_scale_f32 v13, vcc_lo, -1.0, v85, -1.0
	s_delay_alu instid0(VALU_DEP_1) | instskip(NEXT) | instid1(VALU_DEP_1)
	v_mul_f32_e32 v15, v13, v11
	v_fma_f32 v17, -v9, v15, v13
	s_delay_alu instid0(VALU_DEP_1) | instskip(NEXT) | instid1(VALU_DEP_1)
	v_fmac_f32_e32 v15, v17, v11
	v_fma_f32 v9, -v9, v15, v13
	s_delay_alu instid0(VALU_DEP_1) | instskip(NEXT) | instid1(VALU_DEP_1)
	v_div_fmas_f32 v9, v9, v11, v15
	v_div_fixup_f32 v87, v9, v85, -1.0
                                        ; implicit-def: $vgpr84_vgpr85
	s_delay_alu instid0(VALU_DEP_1) | instskip(NEXT) | instid1(VALU_DEP_1)
	v_mul_f32_e32 v88, v1, v87
	v_xor_b32_e32 v86, 0x80000000, v88
.LBB39_15:
	s_and_not1_saveexec_b32 s1, s1
	s_cbranch_execz .LBB39_17
; %bb.16:
	v_div_scale_f32 v1, null, v84, v84, v85
	v_div_scale_f32 v13, vcc_lo, v85, v84, v85
	s_delay_alu instid0(VALU_DEP_2) | instskip(SKIP_1) | instid1(TRANS32_DEP_1)
	v_rcp_f32_e32 v9, v1
	v_nop
	v_fma_f32 v11, -v1, v9, 1.0
	s_delay_alu instid0(VALU_DEP_1) | instskip(NEXT) | instid1(VALU_DEP_1)
	v_fmac_f32_e32 v9, v11, v9
	v_mul_f32_e32 v11, v13, v9
	s_delay_alu instid0(VALU_DEP_1) | instskip(NEXT) | instid1(VALU_DEP_1)
	v_fma_f32 v15, -v1, v11, v13
	v_fmac_f32_e32 v11, v15, v9
	s_delay_alu instid0(VALU_DEP_1) | instskip(NEXT) | instid1(VALU_DEP_1)
	v_fma_f32 v1, -v1, v11, v13
	v_div_fmas_f32 v1, v1, v9, v11
	s_delay_alu instid0(VALU_DEP_1) | instskip(NEXT) | instid1(VALU_DEP_1)
	v_div_fixup_f32 v1, v1, v84, v85
	v_fmac_f32_e32 v84, v85, v1
	s_delay_alu instid0(VALU_DEP_1) | instskip(SKIP_1) | instid1(VALU_DEP_2)
	v_div_scale_f32 v9, null, v84, v84, 1.0
	v_div_scale_f32 v15, vcc_lo, 1.0, v84, 1.0
	v_rcp_f32_e32 v11, v9
	v_nop
	s_delay_alu instid0(TRANS32_DEP_1) | instskip(NEXT) | instid1(VALU_DEP_1)
	v_fma_f32 v13, -v9, v11, 1.0
	v_fmac_f32_e32 v11, v13, v11
	s_delay_alu instid0(VALU_DEP_1) | instskip(NEXT) | instid1(VALU_DEP_1)
	v_mul_f32_e32 v13, v15, v11
	v_fma_f32 v17, -v9, v13, v15
	s_delay_alu instid0(VALU_DEP_1) | instskip(NEXT) | instid1(VALU_DEP_1)
	v_fmac_f32_e32 v13, v17, v11
	v_fma_f32 v9, -v9, v13, v15
	s_delay_alu instid0(VALU_DEP_1) | instskip(NEXT) | instid1(VALU_DEP_1)
	v_div_fmas_f32 v9, v9, v11, v13
	v_div_fixup_f32 v86, v9, v84, 1.0
	s_delay_alu instid0(VALU_DEP_1)
	v_xor_b32_e32 v88, 0x80000000, v86
	v_mul_f32_e64 v87, v1, -v86
.LBB39_17:
	s_or_b32 exec_lo, exec_lo, s1
	scratch_store_b64 v5, v[86:87], off
	scratch_load_b64 v[84:85], off, off offset:8
	v_xor_b32_e32 v89, 0x80000000, v87
	v_add_nc_u32_e32 v1, 0x140, v82
	s_wait_loadcnt 0x0
	ds_store_2addr_b64 v82, v[88:89], v[84:85] offset1:40
	s_wait_storecnt_dscnt 0x0
	s_barrier_signal -1
	s_barrier_wait -1
	s_wait_xcnt 0x0
	s_and_saveexec_b32 s1, s0
	s_cbranch_execz .LBB39_19
; %bb.18:
	scratch_load_b64 v[84:85], v5, off
	ds_load_b64 v[86:87], v1
	s_wait_loadcnt_dscnt 0x0
	v_pk_mul_f32 v[90:91], v[86:87], v[84:85] op_sel:[1,1] op_sel_hi:[0,1]
	s_delay_alu instid0(VALU_DEP_1) | instskip(SKIP_2) | instid1(VALU_DEP_3)
	v_pk_fma_f32 v[92:93], v[86:87], v[84:85], v[90:91] op_sel_hi:[1,0,1]
	v_mov_b32_e32 v9, 0
	v_pk_fma_f32 v[84:85], v[86:87], v[84:85], v[90:91] neg_lo:[0,0,1] neg_hi:[0,0,1]
	v_mov_b32_e32 v85, v93
	ds_load_b64 v[88:89], v9 offset:8
	v_pk_add_f32 v[84:85], v[84:85], 0 op_sel_hi:[1,0]
	s_wait_dscnt 0x0
	s_delay_alu instid0(VALU_DEP_1) | instskip(NEXT) | instid1(VALU_DEP_1)
	v_pk_mul_f32 v[86:87], v[84:85], v[88:89] op_sel:[1,1] op_sel_hi:[0,1]
	v_pk_fma_f32 v[90:91], v[84:85], v[88:89], v[86:87] op_sel_hi:[1,0,1]
	v_pk_fma_f32 v[84:85], v[84:85], v[88:89], v[86:87] neg_lo:[0,0,1] neg_hi:[0,0,1]
	s_delay_alu instid0(VALU_DEP_2)
	v_mov_b32_e32 v85, v91
	scratch_store_b64 off, v[84:85], off offset:8
.LBB39_19:
	s_wait_xcnt 0x0
	s_or_b32 exec_lo, exec_lo, s1
	s_wait_storecnt 0x0
	s_barrier_signal -1
	s_barrier_wait -1
	scratch_load_b64 v[84:85], off, off offset:16
	s_mov_b32 s1, exec_lo
	s_wait_loadcnt 0x0
	ds_store_b64 v1, v[84:85]
	s_wait_dscnt 0x0
	s_barrier_signal -1
	s_barrier_wait -1
	v_cmpx_gt_u32_e32 2, v0
	s_cbranch_execz .LBB39_23
; %bb.20:
	scratch_load_b64 v[84:85], v5, off
	ds_load_b64 v[86:87], v1
	s_wait_loadcnt_dscnt 0x0
	v_pk_mul_f32 v[88:89], v[86:87], v[84:85] op_sel:[1,1] op_sel_hi:[0,1]
	s_delay_alu instid0(VALU_DEP_1) | instskip(SKIP_1) | instid1(VALU_DEP_2)
	v_pk_fma_f32 v[90:91], v[86:87], v[84:85], v[88:89] op_sel_hi:[1,0,1]
	v_pk_fma_f32 v[84:85], v[86:87], v[84:85], v[88:89] neg_lo:[0,0,1] neg_hi:[0,0,1]
	v_mov_b32_e32 v85, v91
	s_delay_alu instid0(VALU_DEP_1)
	v_pk_add_f32 v[84:85], v[84:85], 0 op_sel_hi:[1,0]
	s_and_saveexec_b32 s8, s0
	s_cbranch_execz .LBB39_22
; %bb.21:
	scratch_load_b64 v[86:87], off, off offset:8
	v_mov_b32_e32 v5, 0
	ds_load_b64 v[88:89], v5 offset:328
	s_wait_loadcnt_dscnt 0x0
	v_pk_mul_f32 v[90:91], v[88:89], v[86:87] op_sel:[1,1] op_sel_hi:[0,1]
	s_delay_alu instid0(VALU_DEP_1) | instskip(SKIP_1) | instid1(VALU_DEP_2)
	v_pk_fma_f32 v[92:93], v[88:89], v[86:87], v[90:91] op_sel_hi:[1,0,1]
	v_pk_fma_f32 v[86:87], v[88:89], v[86:87], v[90:91] neg_lo:[0,0,1] neg_hi:[0,0,1]
	v_mov_b32_e32 v87, v93
	s_delay_alu instid0(VALU_DEP_1)
	v_pk_add_f32 v[84:85], v[84:85], v[86:87]
.LBB39_22:
	s_or_b32 exec_lo, exec_lo, s8
	v_mov_b32_e32 v5, 0
	ds_load_b64 v[86:87], v5 offset:16
	s_wait_dscnt 0x0
	v_pk_mul_f32 v[88:89], v[84:85], v[86:87] op_sel:[1,1] op_sel_hi:[0,1]
	s_delay_alu instid0(VALU_DEP_1) | instskip(SKIP_1) | instid1(VALU_DEP_2)
	v_pk_fma_f32 v[90:91], v[84:85], v[86:87], v[88:89] op_sel_hi:[1,0,1]
	v_pk_fma_f32 v[84:85], v[84:85], v[86:87], v[88:89] neg_lo:[0,0,1] neg_hi:[0,0,1]
	v_mov_b32_e32 v85, v91
	scratch_store_b64 off, v[84:85], off offset:16
.LBB39_23:
	s_wait_xcnt 0x0
	s_or_b32 exec_lo, exec_lo, s1
	s_wait_storecnt 0x0
	s_barrier_signal -1
	s_barrier_wait -1
	scratch_load_b64 v[84:85], off, off offset:24
	v_add_nc_u32_e32 v5, -1, v0
	s_mov_b32 s0, exec_lo
	s_wait_loadcnt 0x0
	ds_store_b64 v1, v[84:85]
	s_wait_dscnt 0x0
	s_barrier_signal -1
	s_barrier_wait -1
	v_cmpx_gt_u32_e32 3, v0
	s_cbranch_execz .LBB39_27
; %bb.24:
	v_dual_mov_b32 v84, 0 :: v_dual_add_nc_u32 v9, -1, v0
	v_add_nc_u32_e32 v11, 0x140, v82
	v_mov_b32_e32 v13, v82
	s_mov_b32 s1, 0
	s_delay_alu instid0(VALU_DEP_3)
	v_mov_b32_e32 v85, v84
.LBB39_25:                              ; =>This Inner Loop Header: Depth=1
	scratch_load_b64 v[86:87], v13, off
	ds_load_b64 v[88:89], v11
	s_wait_xcnt 0x0
	v_dual_add_nc_u32 v11, 8, v11 :: v_dual_add_nc_u32 v13, 8, v13
	s_wait_loadcnt_dscnt 0x0
	v_pk_mul_f32 v[90:91], v[88:89], v[86:87] op_sel:[1,1] op_sel_hi:[0,1]
	s_delay_alu instid0(VALU_DEP_1) | instskip(SKIP_2) | instid1(VALU_DEP_3)
	v_pk_fma_f32 v[92:93], v[88:89], v[86:87], v[90:91] op_sel_hi:[1,0,1]
	v_add_nc_u32_e32 v9, 1, v9
	v_pk_fma_f32 v[86:87], v[88:89], v[86:87], v[90:91] neg_lo:[0,0,1] neg_hi:[0,0,1]
	v_mov_b32_e32 v87, v93
	s_delay_alu instid0(VALU_DEP_3) | instskip(NEXT) | instid1(VALU_DEP_2)
	v_cmp_lt_u32_e32 vcc_lo, 1, v9
	v_pk_add_f32 v[84:85], v[84:85], v[86:87]
	s_or_b32 s1, vcc_lo, s1
	s_delay_alu instid0(SALU_CYCLE_1)
	s_and_not1_b32 exec_lo, exec_lo, s1
	s_cbranch_execnz .LBB39_25
; %bb.26:
	s_or_b32 exec_lo, exec_lo, s1
	v_mov_b32_e32 v9, 0
	ds_load_b64 v[86:87], v9 offset:24
	s_wait_dscnt 0x0
	v_pk_mul_f32 v[88:89], v[84:85], v[86:87] op_sel:[1,1] op_sel_hi:[0,1]
	s_delay_alu instid0(VALU_DEP_1) | instskip(SKIP_1) | instid1(VALU_DEP_2)
	v_pk_fma_f32 v[90:91], v[84:85], v[86:87], v[88:89] op_sel_hi:[1,0,1]
	v_pk_fma_f32 v[84:85], v[84:85], v[86:87], v[88:89] neg_lo:[0,0,1] neg_hi:[0,0,1]
	v_mov_b32_e32 v85, v91
	scratch_store_b64 off, v[84:85], off offset:24
.LBB39_27:
	s_wait_xcnt 0x0
	s_or_b32 exec_lo, exec_lo, s0
	s_wait_storecnt 0x0
	s_barrier_signal -1
	s_barrier_wait -1
	scratch_load_b64 v[84:85], off, off offset:32
	s_mov_b32 s0, exec_lo
	s_wait_loadcnt 0x0
	ds_store_b64 v1, v[84:85]
	s_wait_dscnt 0x0
	s_barrier_signal -1
	s_barrier_wait -1
	v_cmpx_gt_u32_e32 4, v0
	s_cbranch_execz .LBB39_31
; %bb.28:
	v_dual_mov_b32 v84, 0 :: v_dual_add_nc_u32 v9, -1, v0
	v_add_nc_u32_e32 v11, 0x140, v82
	v_mov_b32_e32 v13, v82
	s_mov_b32 s1, 0
	s_delay_alu instid0(VALU_DEP_3)
	v_mov_b32_e32 v85, v84
.LBB39_29:                              ; =>This Inner Loop Header: Depth=1
	scratch_load_b64 v[86:87], v13, off
	ds_load_b64 v[88:89], v11
	s_wait_xcnt 0x0
	v_dual_add_nc_u32 v11, 8, v11 :: v_dual_add_nc_u32 v13, 8, v13
	s_wait_loadcnt_dscnt 0x0
	v_pk_mul_f32 v[90:91], v[88:89], v[86:87] op_sel:[1,1] op_sel_hi:[0,1]
	s_delay_alu instid0(VALU_DEP_1) | instskip(SKIP_2) | instid1(VALU_DEP_3)
	v_pk_fma_f32 v[92:93], v[88:89], v[86:87], v[90:91] op_sel_hi:[1,0,1]
	v_add_nc_u32_e32 v9, 1, v9
	v_pk_fma_f32 v[86:87], v[88:89], v[86:87], v[90:91] neg_lo:[0,0,1] neg_hi:[0,0,1]
	v_mov_b32_e32 v87, v93
	s_delay_alu instid0(VALU_DEP_3) | instskip(NEXT) | instid1(VALU_DEP_2)
	v_cmp_lt_u32_e32 vcc_lo, 2, v9
	v_pk_add_f32 v[84:85], v[84:85], v[86:87]
	s_or_b32 s1, vcc_lo, s1
	s_delay_alu instid0(SALU_CYCLE_1)
	s_and_not1_b32 exec_lo, exec_lo, s1
	s_cbranch_execnz .LBB39_29
; %bb.30:
	s_or_b32 exec_lo, exec_lo, s1
	v_mov_b32_e32 v9, 0
	ds_load_b64 v[86:87], v9 offset:32
	s_wait_dscnt 0x0
	v_pk_mul_f32 v[88:89], v[84:85], v[86:87] op_sel:[1,1] op_sel_hi:[0,1]
	s_delay_alu instid0(VALU_DEP_1) | instskip(SKIP_1) | instid1(VALU_DEP_2)
	v_pk_fma_f32 v[90:91], v[84:85], v[86:87], v[88:89] op_sel_hi:[1,0,1]
	v_pk_fma_f32 v[84:85], v[84:85], v[86:87], v[88:89] neg_lo:[0,0,1] neg_hi:[0,0,1]
	v_mov_b32_e32 v85, v91
	scratch_store_b64 off, v[84:85], off offset:32
.LBB39_31:
	s_wait_xcnt 0x0
	s_or_b32 exec_lo, exec_lo, s0
	s_wait_storecnt 0x0
	s_barrier_signal -1
	s_barrier_wait -1
	scratch_load_b64 v[84:85], off, off offset:40
	;; [unrolled: 52-line block ×19, first 2 shown]
	s_mov_b32 s0, exec_lo
	s_wait_loadcnt 0x0
	ds_store_b64 v1, v[84:85]
	s_wait_dscnt 0x0
	s_barrier_signal -1
	s_barrier_wait -1
	v_cmpx_gt_u32_e32 22, v0
	s_cbranch_execz .LBB39_103
; %bb.100:
	v_dual_mov_b32 v84, 0 :: v_dual_add_nc_u32 v9, -1, v0
	v_add_nc_u32_e32 v11, 0x140, v82
	v_mov_b32_e32 v13, v82
	s_mov_b32 s1, 0
	s_delay_alu instid0(VALU_DEP_3)
	v_mov_b32_e32 v85, v84
.LBB39_101:                             ; =>This Inner Loop Header: Depth=1
	scratch_load_b64 v[86:87], v13, off
	ds_load_b64 v[88:89], v11
	s_wait_xcnt 0x0
	v_dual_add_nc_u32 v11, 8, v11 :: v_dual_add_nc_u32 v13, 8, v13
	s_wait_loadcnt_dscnt 0x0
	v_pk_mul_f32 v[90:91], v[88:89], v[86:87] op_sel:[1,1] op_sel_hi:[0,1]
	s_delay_alu instid0(VALU_DEP_1) | instskip(SKIP_2) | instid1(VALU_DEP_3)
	v_pk_fma_f32 v[92:93], v[88:89], v[86:87], v[90:91] op_sel_hi:[1,0,1]
	v_add_nc_u32_e32 v9, 1, v9
	v_pk_fma_f32 v[86:87], v[88:89], v[86:87], v[90:91] neg_lo:[0,0,1] neg_hi:[0,0,1]
	v_mov_b32_e32 v87, v93
	s_delay_alu instid0(VALU_DEP_3) | instskip(NEXT) | instid1(VALU_DEP_2)
	v_cmp_lt_u32_e32 vcc_lo, 20, v9
	v_pk_add_f32 v[84:85], v[84:85], v[86:87]
	s_or_b32 s1, vcc_lo, s1
	s_delay_alu instid0(SALU_CYCLE_1)
	s_and_not1_b32 exec_lo, exec_lo, s1
	s_cbranch_execnz .LBB39_101
; %bb.102:
	s_or_b32 exec_lo, exec_lo, s1
	v_mov_b32_e32 v9, 0
	ds_load_b64 v[86:87], v9 offset:176
	s_wait_dscnt 0x0
	v_pk_mul_f32 v[88:89], v[84:85], v[86:87] op_sel:[1,1] op_sel_hi:[0,1]
	s_delay_alu instid0(VALU_DEP_1) | instskip(SKIP_1) | instid1(VALU_DEP_2)
	v_pk_fma_f32 v[90:91], v[84:85], v[86:87], v[88:89] op_sel_hi:[1,0,1]
	v_pk_fma_f32 v[84:85], v[84:85], v[86:87], v[88:89] neg_lo:[0,0,1] neg_hi:[0,0,1]
	v_mov_b32_e32 v85, v91
	scratch_store_b64 off, v[84:85], off offset:176
.LBB39_103:
	s_wait_xcnt 0x0
	s_or_b32 exec_lo, exec_lo, s0
	s_wait_storecnt 0x0
	s_barrier_signal -1
	s_barrier_wait -1
	scratch_load_b64 v[84:85], off, off offset:184
	s_mov_b32 s0, exec_lo
	s_wait_loadcnt 0x0
	ds_store_b64 v1, v[84:85]
	s_wait_dscnt 0x0
	s_barrier_signal -1
	s_barrier_wait -1
	v_cmpx_gt_u32_e32 23, v0
	s_cbranch_execz .LBB39_107
; %bb.104:
	v_dual_mov_b32 v84, 0 :: v_dual_add_nc_u32 v9, -1, v0
	v_add_nc_u32_e32 v11, 0x140, v82
	v_mov_b32_e32 v13, v82
	s_mov_b32 s1, 0
	s_delay_alu instid0(VALU_DEP_3)
	v_mov_b32_e32 v85, v84
.LBB39_105:                             ; =>This Inner Loop Header: Depth=1
	scratch_load_b64 v[86:87], v13, off
	ds_load_b64 v[88:89], v11
	s_wait_xcnt 0x0
	v_dual_add_nc_u32 v11, 8, v11 :: v_dual_add_nc_u32 v13, 8, v13
	s_wait_loadcnt_dscnt 0x0
	v_pk_mul_f32 v[90:91], v[88:89], v[86:87] op_sel:[1,1] op_sel_hi:[0,1]
	s_delay_alu instid0(VALU_DEP_1) | instskip(SKIP_2) | instid1(VALU_DEP_3)
	v_pk_fma_f32 v[92:93], v[88:89], v[86:87], v[90:91] op_sel_hi:[1,0,1]
	v_add_nc_u32_e32 v9, 1, v9
	v_pk_fma_f32 v[86:87], v[88:89], v[86:87], v[90:91] neg_lo:[0,0,1] neg_hi:[0,0,1]
	v_mov_b32_e32 v87, v93
	s_delay_alu instid0(VALU_DEP_3) | instskip(NEXT) | instid1(VALU_DEP_2)
	v_cmp_lt_u32_e32 vcc_lo, 21, v9
	v_pk_add_f32 v[84:85], v[84:85], v[86:87]
	s_or_b32 s1, vcc_lo, s1
	s_delay_alu instid0(SALU_CYCLE_1)
	s_and_not1_b32 exec_lo, exec_lo, s1
	s_cbranch_execnz .LBB39_105
; %bb.106:
	s_or_b32 exec_lo, exec_lo, s1
	v_mov_b32_e32 v9, 0
	ds_load_b64 v[86:87], v9 offset:184
	s_wait_dscnt 0x0
	v_pk_mul_f32 v[88:89], v[84:85], v[86:87] op_sel:[1,1] op_sel_hi:[0,1]
	s_delay_alu instid0(VALU_DEP_1) | instskip(SKIP_1) | instid1(VALU_DEP_2)
	v_pk_fma_f32 v[90:91], v[84:85], v[86:87], v[88:89] op_sel_hi:[1,0,1]
	v_pk_fma_f32 v[84:85], v[84:85], v[86:87], v[88:89] neg_lo:[0,0,1] neg_hi:[0,0,1]
	v_mov_b32_e32 v85, v91
	scratch_store_b64 off, v[84:85], off offset:184
.LBB39_107:
	s_wait_xcnt 0x0
	s_or_b32 exec_lo, exec_lo, s0
	s_wait_storecnt 0x0
	s_barrier_signal -1
	s_barrier_wait -1
	scratch_load_b64 v[84:85], off, off offset:192
	;; [unrolled: 52-line block ×17, first 2 shown]
	s_mov_b32 s0, exec_lo
	s_wait_loadcnt 0x0
	ds_store_b64 v1, v[84:85]
	s_wait_dscnt 0x0
	s_barrier_signal -1
	s_barrier_wait -1
	v_cmpx_ne_u32_e32 39, v0
	s_cbranch_execz .LBB39_171
; %bb.168:
	v_dual_mov_b32 v84, 0 :: v_dual_mov_b32 v9, v82
	s_mov_b32 s1, 0
	s_delay_alu instid0(VALU_DEP_1)
	v_mov_b32_e32 v85, v84
.LBB39_169:                             ; =>This Inner Loop Header: Depth=1
	scratch_load_b64 v[82:83], v9, off
	ds_load_b64 v[86:87], v1
	v_add_nc_u32_e32 v1, 8, v1
	s_wait_xcnt 0x0
	v_add_nc_u32_e32 v9, 8, v9
	s_wait_loadcnt_dscnt 0x0
	v_pk_mul_f32 v[88:89], v[86:87], v[82:83] op_sel:[1,1] op_sel_hi:[0,1]
	s_delay_alu instid0(VALU_DEP_1) | instskip(SKIP_2) | instid1(VALU_DEP_3)
	v_pk_fma_f32 v[90:91], v[86:87], v[82:83], v[88:89] op_sel_hi:[1,0,1]
	v_add_nc_u32_e32 v5, 1, v5
	v_pk_fma_f32 v[82:83], v[86:87], v[82:83], v[88:89] neg_lo:[0,0,1] neg_hi:[0,0,1]
	v_mov_b32_e32 v83, v91
	s_delay_alu instid0(VALU_DEP_3) | instskip(NEXT) | instid1(VALU_DEP_2)
	v_cmp_lt_u32_e32 vcc_lo, 37, v5
	v_pk_add_f32 v[84:85], v[84:85], v[82:83]
	s_or_b32 s1, vcc_lo, s1
	s_delay_alu instid0(SALU_CYCLE_1)
	s_and_not1_b32 exec_lo, exec_lo, s1
	s_cbranch_execnz .LBB39_169
; %bb.170:
	s_or_b32 exec_lo, exec_lo, s1
	v_mov_b32_e32 v1, 0
	ds_load_b64 v[82:83], v1 offset:312
	s_wait_dscnt 0x0
	v_pk_mul_f32 v[86:87], v[84:85], v[82:83] op_sel:[1,1] op_sel_hi:[0,1]
	s_delay_alu instid0(VALU_DEP_1) | instskip(SKIP_1) | instid1(VALU_DEP_2)
	v_pk_fma_f32 v[88:89], v[84:85], v[82:83], v[86:87] op_sel_hi:[1,0,1]
	v_pk_fma_f32 v[82:83], v[84:85], v[82:83], v[86:87] neg_lo:[0,0,1] neg_hi:[0,0,1]
	v_mov_b32_e32 v83, v89
	scratch_store_b64 off, v[82:83], off offset:312
.LBB39_171:
	s_wait_xcnt 0x0
	s_or_b32 exec_lo, exec_lo, s0
	s_mov_b32 s1, -1
	s_wait_storecnt 0x0
	s_barrier_signal -1
	s_barrier_wait -1
.LBB39_172:
	s_and_b32 vcc_lo, exec_lo, s1
	s_cbranch_vccz .LBB39_174
; %bb.173:
	v_mov_b32_e32 v1, 0
	s_lshl_b64 s[0:1], s[16:17], 2
	s_delay_alu instid0(SALU_CYCLE_1)
	s_add_nc_u64 s[0:1], s[6:7], s[0:1]
	global_load_b32 v1, v1, s[0:1]
	s_wait_loadcnt 0x0
	v_cmp_ne_u32_e32 vcc_lo, 0, v1
	s_cbranch_vccz .LBB39_175
.LBB39_174:
	s_sendmsg sendmsg(MSG_DEALLOC_VGPRS)
	s_endpgm
.LBB39_175:
	s_wait_xcnt 0x0
	v_lshl_add_u32 v1, v0, 3, 0x140
	s_mov_b32 s0, exec_lo
	v_cmpx_eq_u32_e32 39, v0
	s_cbranch_execz .LBB39_177
; %bb.176:
	scratch_load_b64 v[82:83], off, off offset:304
	v_mov_b64_e32 v[84:85], 0
	scratch_store_b64 off, v[84:85], off offset:304
	s_wait_loadcnt 0x0
	ds_store_b64 v1, v[82:83]
.LBB39_177:
	s_wait_xcnt 0x0
	s_or_b32 exec_lo, exec_lo, s0
	s_wait_storecnt_dscnt 0x0
	s_barrier_signal -1
	s_barrier_wait -1
	s_clause 0x1
	scratch_load_b64 v[82:83], off, off offset:312
	scratch_load_b64 v[84:85], off, off offset:304
	v_mov_b32_e32 v5, 0
	s_mov_b32 s0, exec_lo
	ds_load_b64 v[86:87], v5 offset:632
	s_wait_loadcnt_dscnt 0x100
	v_pk_mul_f32 v[88:89], v[86:87], v[82:83] op_sel:[1,1] op_sel_hi:[0,1]
	s_delay_alu instid0(VALU_DEP_1) | instskip(SKIP_1) | instid1(VALU_DEP_2)
	v_pk_fma_f32 v[90:91], v[86:87], v[82:83], v[88:89] op_sel_hi:[1,0,1]
	v_pk_fma_f32 v[82:83], v[86:87], v[82:83], v[88:89] neg_lo:[0,0,1] neg_hi:[0,0,1]
	v_mov_b32_e32 v83, v91
	s_delay_alu instid0(VALU_DEP_1) | instskip(SKIP_1) | instid1(VALU_DEP_1)
	v_pk_add_f32 v[82:83], v[82:83], 0 op_sel_hi:[1,0]
	s_wait_loadcnt 0x0
	v_pk_add_f32 v[82:83], v[84:85], v[82:83] neg_lo:[0,1] neg_hi:[0,1]
	scratch_store_b64 off, v[82:83], off offset:304
	s_wait_xcnt 0x0
	v_cmpx_lt_u32_e32 37, v0
	s_cbranch_execz .LBB39_179
; %bb.178:
	scratch_load_b64 v[82:83], off, off offset:296
	v_mov_b64_e32 v[84:85], 0
	scratch_store_b64 off, v[84:85], off offset:296
	s_wait_loadcnt 0x0
	ds_store_b64 v1, v[82:83]
.LBB39_179:
	s_wait_xcnt 0x0
	s_or_b32 exec_lo, exec_lo, s0
	s_wait_storecnt_dscnt 0x0
	s_barrier_signal -1
	s_barrier_wait -1
	s_clause 0x1
	scratch_load_b128 v[82:85], off, off offset:304
	scratch_load_b64 v[90:91], off, off offset:296
	ds_load_b128 v[86:89], v5 offset:624
	s_mov_b32 s0, exec_lo
	s_wait_dscnt 0x0
	v_dual_mov_b32 v92, v89 :: v_dual_mov_b32 v93, v88
	s_wait_loadcnt 0x1
	v_pk_mul_f32 v[94:95], v[86:87], v[82:83] op_sel:[1,1] op_sel_hi:[0,1]
	s_delay_alu instid0(VALU_DEP_1) | instskip(SKIP_2) | instid1(VALU_DEP_3)
	v_pk_fma_f32 v[98:99], v[86:87], v[82:83], v[94:95] op_sel_hi:[1,0,1]
	v_mov_b32_e32 v96, v85
	v_pk_fma_f32 v[82:83], v[86:87], v[82:83], v[94:95] neg_lo:[0,0,1] neg_hi:[0,0,1]
	v_mov_b32_e32 v83, v99
	s_delay_alu instid0(VALU_DEP_3) | instskip(NEXT) | instid1(VALU_DEP_2)
	v_pk_mul_f32 v[92:93], v[92:93], v[96:97] op_sel_hi:[1,0]
	v_pk_add_f32 v[82:83], v[82:83], 0 op_sel_hi:[1,0]
	s_delay_alu instid0(VALU_DEP_2) | instskip(SKIP_1) | instid1(VALU_DEP_2)
	v_pk_fma_f32 v[86:87], v[88:89], v[84:85], v[92:93] op_sel_hi:[1,0,1]
	v_pk_fma_f32 v[84:85], v[88:89], v[84:85], v[92:93] neg_lo:[0,0,1] neg_hi:[0,0,1]
	v_mov_b32_e32 v85, v87
	s_delay_alu instid0(VALU_DEP_1) | instskip(SKIP_1) | instid1(VALU_DEP_1)
	v_pk_add_f32 v[82:83], v[82:83], v[84:85]
	s_wait_loadcnt 0x0
	v_pk_add_f32 v[82:83], v[90:91], v[82:83] neg_lo:[0,1] neg_hi:[0,1]
	scratch_store_b64 off, v[82:83], off offset:296
	s_wait_xcnt 0x0
	v_cmpx_lt_u32_e32 36, v0
	s_cbranch_execz .LBB39_181
; %bb.180:
	scratch_load_b64 v[82:83], off, off offset:288
	v_mov_b64_e32 v[84:85], 0
	scratch_store_b64 off, v[84:85], off offset:288
	s_wait_loadcnt 0x0
	ds_store_b64 v1, v[82:83]
.LBB39_181:
	s_wait_xcnt 0x0
	s_or_b32 exec_lo, exec_lo, s0
	s_wait_storecnt_dscnt 0x0
	s_barrier_signal -1
	s_barrier_wait -1
	s_clause 0x2
	scratch_load_b128 v[82:85], off, off offset:296
	scratch_load_b64 v[90:91], off, off offset:312
	scratch_load_b64 v[92:93], off, off offset:288
	v_mov_b32_e32 v5, 0
	ds_load_2addr_b64 v[86:89], v5 offset0:77 offset1:78
	ds_load_b64 v[94:95], v5 offset:632
	s_mov_b32 s0, exec_lo
	s_wait_dscnt 0x1
	v_dual_mov_b32 v96, v89 :: v_dual_mov_b32 v97, v88
	s_wait_loadcnt 0x2
	v_mov_b32_e32 v100, v85
	v_pk_mul_f32 v[98:99], v[86:87], v[82:83] op_sel:[1,1] op_sel_hi:[0,1]
	s_delay_alu instid0(VALU_DEP_2) | instskip(NEXT) | instid1(VALU_DEP_2)
	v_pk_mul_f32 v[96:97], v[96:97], v[100:101] op_sel_hi:[1,0]
	v_pk_fma_f32 v[102:103], v[86:87], v[82:83], v[98:99] op_sel_hi:[1,0,1]
	v_pk_fma_f32 v[82:83], v[86:87], v[82:83], v[98:99] neg_lo:[0,0,1] neg_hi:[0,0,1]
	s_wait_loadcnt_dscnt 0x100
	v_pk_mul_f32 v[98:99], v[94:95], v[90:91] op_sel:[1,1] op_sel_hi:[0,1]
	v_pk_fma_f32 v[86:87], v[88:89], v[84:85], v[96:97] op_sel_hi:[1,0,1]
	v_mov_b32_e32 v83, v103
	v_pk_fma_f32 v[84:85], v[88:89], v[84:85], v[96:97] neg_lo:[0,0,1] neg_hi:[0,0,1]
	s_delay_alu instid0(VALU_DEP_4) | instskip(NEXT) | instid1(VALU_DEP_4)
	v_pk_fma_f32 v[88:89], v[94:95], v[90:91], v[98:99] neg_lo:[0,0,1] neg_hi:[0,0,1]
	v_mov_b32_e32 v85, v87
	s_delay_alu instid0(VALU_DEP_4) | instskip(SKIP_1) | instid1(VALU_DEP_2)
	v_pk_add_f32 v[82:83], v[82:83], 0 op_sel_hi:[1,0]
	v_pk_fma_f32 v[86:87], v[94:95], v[90:91], v[98:99] op_sel_hi:[1,0,1]
	v_pk_add_f32 v[82:83], v[82:83], v[84:85]
	s_delay_alu instid0(VALU_DEP_2) | instskip(NEXT) | instid1(VALU_DEP_1)
	v_mov_b32_e32 v89, v87
	v_pk_add_f32 v[82:83], v[82:83], v[88:89]
	s_wait_loadcnt 0x0
	s_delay_alu instid0(VALU_DEP_1)
	v_pk_add_f32 v[82:83], v[92:93], v[82:83] neg_lo:[0,1] neg_hi:[0,1]
	scratch_store_b64 off, v[82:83], off offset:288
	s_wait_xcnt 0x0
	v_cmpx_lt_u32_e32 35, v0
	s_cbranch_execz .LBB39_183
; %bb.182:
	scratch_load_b64 v[82:83], off, off offset:280
	v_mov_b64_e32 v[84:85], 0
	scratch_store_b64 off, v[84:85], off offset:280
	s_wait_loadcnt 0x0
	ds_store_b64 v1, v[82:83]
.LBB39_183:
	s_wait_xcnt 0x0
	s_or_b32 exec_lo, exec_lo, s0
	s_wait_storecnt_dscnt 0x0
	s_barrier_signal -1
	s_barrier_wait -1
	s_clause 0x2
	scratch_load_b128 v[82:85], off, off offset:288
	scratch_load_b128 v[86:89], off, off offset:304
	scratch_load_b64 v[98:99], off, off offset:280
	ds_load_b128 v[90:93], v5 offset:608
	ds_load_b128 v[94:97], v5 offset:624
	s_mov_b32 s0, exec_lo
	s_wait_dscnt 0x1
	v_dual_mov_b32 v100, v93 :: v_dual_mov_b32 v101, v92
	s_wait_loadcnt_dscnt 0x200
	v_dual_mov_b32 v106, v97 :: v_dual_mov_b32 v104, v85
	v_pk_mul_f32 v[102:103], v[90:91], v[82:83] op_sel:[1,1] op_sel_hi:[0,1]
	s_delay_alu instid0(VALU_DEP_2) | instskip(NEXT) | instid1(VALU_DEP_2)
	v_pk_mul_f32 v[100:101], v[100:101], v[104:105] op_sel_hi:[1,0]
	v_pk_fma_f32 v[108:109], v[90:91], v[82:83], v[102:103] op_sel_hi:[1,0,1]
	v_pk_fma_f32 v[82:83], v[90:91], v[82:83], v[102:103] neg_lo:[0,0,1] neg_hi:[0,0,1]
	v_mov_b32_e32 v107, v96
	s_wait_loadcnt 0x1
	v_pk_mul_f32 v[104:105], v[94:95], v[86:87] op_sel:[1,1] op_sel_hi:[0,1]
	v_pk_fma_f32 v[90:91], v[92:93], v[84:85], v[100:101] op_sel_hi:[1,0,1]
	v_dual_mov_b32 v83, v109 :: v_dual_mov_b32 v90, v89
	v_pk_fma_f32 v[84:85], v[92:93], v[84:85], v[100:101] neg_lo:[0,0,1] neg_hi:[0,0,1]
	s_delay_alu instid0(VALU_DEP_4) | instskip(NEXT) | instid1(VALU_DEP_4)
	v_pk_fma_f32 v[102:103], v[94:95], v[86:87], v[104:105] op_sel_hi:[1,0,1]
	v_mov_b32_e32 v85, v91
	s_delay_alu instid0(VALU_DEP_4) | instskip(SKIP_2) | instid1(VALU_DEP_3)
	v_pk_add_f32 v[82:83], v[82:83], 0 op_sel_hi:[1,0]
	v_pk_mul_f32 v[90:91], v[106:107], v[90:91] op_sel_hi:[1,0]
	v_pk_fma_f32 v[86:87], v[94:95], v[86:87], v[104:105] neg_lo:[0,0,1] neg_hi:[0,0,1]
	v_pk_add_f32 v[82:83], v[82:83], v[84:85]
	s_delay_alu instid0(VALU_DEP_3) | instskip(SKIP_2) | instid1(VALU_DEP_3)
	v_pk_fma_f32 v[84:85], v[96:97], v[88:89], v[90:91] op_sel_hi:[1,0,1]
	v_mov_b32_e32 v87, v103
	v_pk_fma_f32 v[88:89], v[96:97], v[88:89], v[90:91] neg_lo:[0,0,1] neg_hi:[0,0,1]
	v_mov_b32_e32 v89, v85
	s_delay_alu instid0(VALU_DEP_3) | instskip(NEXT) | instid1(VALU_DEP_1)
	v_pk_add_f32 v[82:83], v[82:83], v[86:87]
	v_pk_add_f32 v[82:83], v[82:83], v[88:89]
	s_wait_loadcnt 0x0
	s_delay_alu instid0(VALU_DEP_1)
	v_pk_add_f32 v[82:83], v[98:99], v[82:83] neg_lo:[0,1] neg_hi:[0,1]
	scratch_store_b64 off, v[82:83], off offset:280
	s_wait_xcnt 0x0
	v_cmpx_lt_u32_e32 34, v0
	s_cbranch_execz .LBB39_185
; %bb.184:
	scratch_load_b64 v[82:83], off, off offset:272
	v_mov_b64_e32 v[84:85], 0
	scratch_store_b64 off, v[84:85], off offset:272
	s_wait_loadcnt 0x0
	ds_store_b64 v1, v[82:83]
.LBB39_185:
	s_wait_xcnt 0x0
	s_or_b32 exec_lo, exec_lo, s0
	s_wait_storecnt_dscnt 0x0
	s_barrier_signal -1
	s_barrier_wait -1
	s_clause 0x3
	scratch_load_b128 v[82:85], off, off offset:280
	scratch_load_b128 v[86:89], off, off offset:296
	scratch_load_b64 v[98:99], off, off offset:312
	scratch_load_b64 v[100:101], off, off offset:272
	v_mov_b32_e32 v5, 0
	ds_load_2addr_b64 v[90:93], v5 offset0:75 offset1:76
	ds_load_2addr_b64 v[94:97], v5 offset0:77 offset1:78
	s_mov_b32 s0, exec_lo
	s_wait_dscnt 0x1
	v_dual_mov_b32 v102, v93 :: v_dual_mov_b32 v103, v92
	ds_load_b64 v[108:109], v5 offset:632
	s_wait_dscnt 0x1
	v_dual_mov_b32 v110, v97 :: v_dual_mov_b32 v111, v96
	s_wait_loadcnt 0x3
	v_pk_mul_f32 v[104:105], v[90:91], v[82:83] op_sel:[1,1] op_sel_hi:[0,1]
	v_mov_b32_e32 v106, v85
	s_delay_alu instid0(VALU_DEP_2) | instskip(NEXT) | instid1(VALU_DEP_2)
	v_pk_fma_f32 v[112:113], v[90:91], v[82:83], v[104:105] op_sel_hi:[1,0,1]
	v_pk_mul_f32 v[102:103], v[102:103], v[106:107] op_sel_hi:[1,0]
	v_pk_fma_f32 v[82:83], v[90:91], v[82:83], v[104:105] neg_lo:[0,0,1] neg_hi:[0,0,1]
	s_wait_loadcnt 0x2
	v_pk_mul_f32 v[106:107], v[94:95], v[86:87] op_sel:[1,1] op_sel_hi:[0,1]
	v_dual_mov_b32 v112, v89 :: v_dual_mov_b32 v83, v113
	v_pk_fma_f32 v[90:91], v[92:93], v[84:85], v[102:103] op_sel_hi:[1,0,1]
	v_pk_fma_f32 v[84:85], v[92:93], v[84:85], v[102:103] neg_lo:[0,0,1] neg_hi:[0,0,1]
	s_delay_alu instid0(VALU_DEP_4) | instskip(NEXT) | instid1(VALU_DEP_4)
	v_pk_fma_f32 v[104:105], v[94:95], v[86:87], v[106:107] op_sel_hi:[1,0,1]
	v_pk_mul_f32 v[110:111], v[110:111], v[112:113] op_sel_hi:[1,0]
	v_pk_add_f32 v[82:83], v[82:83], 0 op_sel_hi:[1,0]
	v_mov_b32_e32 v85, v91
	v_pk_fma_f32 v[86:87], v[94:95], v[86:87], v[106:107] neg_lo:[0,0,1] neg_hi:[0,0,1]
	v_mov_b32_e32 v87, v105
	v_pk_fma_f32 v[90:91], v[96:97], v[88:89], v[110:111] op_sel_hi:[1,0,1]
	v_pk_fma_f32 v[88:89], v[96:97], v[88:89], v[110:111] neg_lo:[0,0,1] neg_hi:[0,0,1]
	v_pk_add_f32 v[82:83], v[82:83], v[84:85]
	s_wait_loadcnt_dscnt 0x100
	v_pk_mul_f32 v[84:85], v[108:109], v[98:99] op_sel:[1,1] op_sel_hi:[0,1]
	s_delay_alu instid0(VALU_DEP_2) | instskip(NEXT) | instid1(VALU_DEP_2)
	v_pk_add_f32 v[82:83], v[82:83], v[86:87]
	v_pk_fma_f32 v[86:87], v[108:109], v[98:99], v[84:85] op_sel_hi:[1,0,1]
	v_mov_b32_e32 v89, v91
	v_pk_fma_f32 v[84:85], v[108:109], v[98:99], v[84:85] neg_lo:[0,0,1] neg_hi:[0,0,1]
	s_delay_alu instid0(VALU_DEP_3) | instskip(NEXT) | instid1(VALU_DEP_3)
	v_mov_b32_e32 v85, v87
	v_pk_add_f32 v[82:83], v[82:83], v[88:89]
	s_delay_alu instid0(VALU_DEP_1) | instskip(SKIP_1) | instid1(VALU_DEP_1)
	v_pk_add_f32 v[82:83], v[82:83], v[84:85]
	s_wait_loadcnt 0x0
	v_pk_add_f32 v[82:83], v[100:101], v[82:83] neg_lo:[0,1] neg_hi:[0,1]
	scratch_store_b64 off, v[82:83], off offset:272
	s_wait_xcnt 0x0
	v_cmpx_lt_u32_e32 33, v0
	s_cbranch_execz .LBB39_187
; %bb.186:
	scratch_load_b64 v[82:83], off, off offset:264
	v_mov_b64_e32 v[84:85], 0
	scratch_store_b64 off, v[84:85], off offset:264
	s_wait_loadcnt 0x0
	ds_store_b64 v1, v[82:83]
.LBB39_187:
	s_wait_xcnt 0x0
	s_or_b32 exec_lo, exec_lo, s0
	s_wait_storecnt_dscnt 0x0
	s_barrier_signal -1
	s_barrier_wait -1
	s_clause 0x3
	scratch_load_b128 v[82:85], off, off offset:272
	scratch_load_b128 v[86:89], off, off offset:288
	;; [unrolled: 1-line block ×3, first 2 shown]
	scratch_load_b64 v[106:107], off, off offset:264
	ds_load_b128 v[94:97], v5 offset:592
	ds_load_b128 v[98:101], v5 offset:608
	;; [unrolled: 1-line block ×3, first 2 shown]
	s_mov_b32 s0, exec_lo
	s_wait_dscnt 0x2
	v_dual_mov_b32 v108, v97 :: v_dual_mov_b32 v109, v96
	s_wait_dscnt 0x1
	v_dual_mov_b32 v110, v101 :: v_dual_mov_b32 v111, v100
	;; [unrolled: 2-line block ×3, first 2 shown]
	s_wait_loadcnt 0x3
	v_pk_mul_f32 v[112:113], v[94:95], v[82:83] op_sel:[1,1] op_sel_hi:[0,1]
	v_mov_b32_e32 v114, v85
	s_delay_alu instid0(VALU_DEP_2) | instskip(NEXT) | instid1(VALU_DEP_2)
	v_pk_fma_f32 v[118:119], v[94:95], v[82:83], v[112:113] op_sel_hi:[1,0,1]
	v_pk_mul_f32 v[108:109], v[108:109], v[114:115] op_sel_hi:[1,0]
	v_pk_fma_f32 v[82:83], v[94:95], v[82:83], v[112:113] neg_lo:[0,0,1] neg_hi:[0,0,1]
	s_wait_loadcnt 0x2
	v_pk_mul_f32 v[114:115], v[98:99], v[86:87] op_sel:[1,1] op_sel_hi:[0,1]
	v_mov_b32_e32 v118, v89
	v_pk_fma_f32 v[94:95], v[96:97], v[84:85], v[108:109] op_sel_hi:[1,0,1]
	v_mov_b32_e32 v83, v119
	v_pk_fma_f32 v[84:85], v[96:97], v[84:85], v[108:109] neg_lo:[0,0,1] neg_hi:[0,0,1]
	v_pk_fma_f32 v[112:113], v[98:99], v[86:87], v[114:115] op_sel_hi:[1,0,1]
	v_pk_mul_f32 v[110:111], v[110:111], v[118:119] op_sel_hi:[1,0]
	v_mov_b32_e32 v85, v95
	v_pk_add_f32 v[82:83], v[82:83], 0 op_sel_hi:[1,0]
	v_pk_fma_f32 v[86:87], v[98:99], v[86:87], v[114:115] neg_lo:[0,0,1] neg_hi:[0,0,1]
	s_wait_loadcnt 0x1
	v_pk_mul_f32 v[94:95], v[102:103], v[90:91] op_sel:[1,1] op_sel_hi:[0,1]
	v_mov_b32_e32 v87, v113
	v_pk_fma_f32 v[96:97], v[100:101], v[88:89], v[110:111] op_sel_hi:[1,0,1]
	v_pk_add_f32 v[82:83], v[82:83], v[84:85]
	v_mov_b32_e32 v84, v93
	v_pk_fma_f32 v[88:89], v[100:101], v[88:89], v[110:111] neg_lo:[0,0,1] neg_hi:[0,0,1]
	v_pk_fma_f32 v[98:99], v[102:103], v[90:91], v[94:95] op_sel_hi:[1,0,1]
	v_mov_b32_e32 v89, v97
	v_pk_add_f32 v[82:83], v[82:83], v[86:87]
	v_pk_mul_f32 v[84:85], v[116:117], v[84:85] op_sel_hi:[1,0]
	v_pk_fma_f32 v[86:87], v[102:103], v[90:91], v[94:95] neg_lo:[0,0,1] neg_hi:[0,0,1]
	v_mov_b32_e32 v87, v99
	s_delay_alu instid0(VALU_DEP_4) | instskip(NEXT) | instid1(VALU_DEP_4)
	v_pk_add_f32 v[82:83], v[82:83], v[88:89]
	v_pk_fma_f32 v[88:89], v[104:105], v[92:93], v[84:85] op_sel_hi:[1,0,1]
	v_pk_fma_f32 v[84:85], v[104:105], v[92:93], v[84:85] neg_lo:[0,0,1] neg_hi:[0,0,1]
	s_delay_alu instid0(VALU_DEP_3) | instskip(NEXT) | instid1(VALU_DEP_3)
	v_pk_add_f32 v[82:83], v[82:83], v[86:87]
	v_mov_b32_e32 v85, v89
	s_delay_alu instid0(VALU_DEP_1) | instskip(SKIP_1) | instid1(VALU_DEP_1)
	v_pk_add_f32 v[82:83], v[82:83], v[84:85]
	s_wait_loadcnt 0x0
	v_pk_add_f32 v[82:83], v[106:107], v[82:83] neg_lo:[0,1] neg_hi:[0,1]
	scratch_store_b64 off, v[82:83], off offset:264
	s_wait_xcnt 0x0
	v_cmpx_lt_u32_e32 32, v0
	s_cbranch_execz .LBB39_189
; %bb.188:
	scratch_load_b64 v[82:83], off, off offset:256
	v_mov_b64_e32 v[84:85], 0
	scratch_store_b64 off, v[84:85], off offset:256
	s_wait_loadcnt 0x0
	ds_store_b64 v1, v[82:83]
.LBB39_189:
	s_wait_xcnt 0x0
	s_or_b32 exec_lo, exec_lo, s0
	s_wait_storecnt_dscnt 0x0
	s_barrier_signal -1
	s_barrier_wait -1
	s_clause 0x4
	scratch_load_b128 v[82:85], off, off offset:264
	scratch_load_b128 v[86:89], off, off offset:280
	;; [unrolled: 1-line block ×3, first 2 shown]
	scratch_load_b64 v[106:107], off, off offset:312
	scratch_load_b64 v[108:109], off, off offset:256
	v_mov_b32_e32 v5, 0
	ds_load_2addr_b64 v[94:97], v5 offset0:73 offset1:74
	ds_load_2addr_b64 v[98:101], v5 offset0:75 offset1:76
	;; [unrolled: 1-line block ×3, first 2 shown]
	ds_load_b64 v[110:111], v5 offset:632
	s_mov_b32 s0, exec_lo
	s_wait_dscnt 0x3
	v_dual_mov_b32 v112, v97 :: v_dual_mov_b32 v113, v96
	s_wait_dscnt 0x2
	v_dual_mov_b32 v114, v101 :: v_dual_mov_b32 v115, v100
	;; [unrolled: 2-line block ×3, first 2 shown]
	s_wait_loadcnt 0x4
	v_pk_mul_f32 v[116:117], v[94:95], v[82:83] op_sel:[1,1] op_sel_hi:[0,1]
	v_mov_b32_e32 v118, v85
	s_wait_loadcnt 0x3
	v_pk_mul_f32 v[122:123], v[98:99], v[86:87] op_sel:[1,1] op_sel_hi:[0,1]
	s_wait_loadcnt 0x2
	v_pk_mul_f32 v[126:127], v[102:103], v[90:91] op_sel:[1,1] op_sel_hi:[0,1]
	v_pk_fma_f32 v[124:125], v[94:95], v[82:83], v[116:117] op_sel_hi:[1,0,1]
	v_pk_mul_f32 v[112:113], v[112:113], v[118:119] op_sel_hi:[1,0]
	v_pk_fma_f32 v[82:83], v[94:95], v[82:83], v[116:117] neg_lo:[0,0,1] neg_hi:[0,0,1]
	v_mov_b32_e32 v118, v89
	v_pk_fma_f32 v[116:117], v[98:99], v[86:87], v[122:123] op_sel_hi:[1,0,1]
	v_mov_b32_e32 v83, v125
	v_pk_fma_f32 v[94:95], v[96:97], v[84:85], v[112:113] op_sel_hi:[1,0,1]
	v_pk_fma_f32 v[84:85], v[96:97], v[84:85], v[112:113] neg_lo:[0,0,1] neg_hi:[0,0,1]
	v_pk_mul_f32 v[114:115], v[114:115], v[118:119] op_sel_hi:[1,0]
	v_pk_fma_f32 v[86:87], v[98:99], v[86:87], v[122:123] neg_lo:[0,0,1] neg_hi:[0,0,1]
	v_pk_add_f32 v[82:83], v[82:83], 0 op_sel_hi:[1,0]
	v_dual_mov_b32 v85, v95 :: v_dual_mov_b32 v94, v93
	s_delay_alu instid0(VALU_DEP_4) | instskip(SKIP_2) | instid1(VALU_DEP_4)
	v_pk_fma_f32 v[96:97], v[100:101], v[88:89], v[114:115] op_sel_hi:[1,0,1]
	v_mov_b32_e32 v87, v117
	v_pk_fma_f32 v[88:89], v[100:101], v[88:89], v[114:115] neg_lo:[0,0,1] neg_hi:[0,0,1]
	v_pk_add_f32 v[82:83], v[82:83], v[84:85]
	v_pk_fma_f32 v[84:85], v[102:103], v[90:91], v[126:127] op_sel_hi:[1,0,1]
	v_pk_mul_f32 v[94:95], v[120:121], v[94:95] op_sel_hi:[1,0]
	v_mov_b32_e32 v89, v97
	s_delay_alu instid0(VALU_DEP_4)
	v_pk_add_f32 v[82:83], v[82:83], v[86:87]
	v_pk_fma_f32 v[86:87], v[102:103], v[90:91], v[126:127] neg_lo:[0,0,1] neg_hi:[0,0,1]
	v_mov_b32_e32 v87, v85
	v_pk_fma_f32 v[84:85], v[104:105], v[92:93], v[94:95] op_sel_hi:[1,0,1]
	v_pk_fma_f32 v[90:91], v[104:105], v[92:93], v[94:95] neg_lo:[0,0,1] neg_hi:[0,0,1]
	v_pk_add_f32 v[82:83], v[82:83], v[88:89]
	s_wait_loadcnt_dscnt 0x100
	v_pk_mul_f32 v[88:89], v[110:111], v[106:107] op_sel:[1,1] op_sel_hi:[0,1]
	v_mov_b32_e32 v91, v85
	s_delay_alu instid0(VALU_DEP_3) | instskip(NEXT) | instid1(VALU_DEP_3)
	v_pk_add_f32 v[82:83], v[82:83], v[86:87]
	v_pk_fma_f32 v[84:85], v[110:111], v[106:107], v[88:89] op_sel_hi:[1,0,1]
	v_pk_fma_f32 v[86:87], v[110:111], v[106:107], v[88:89] neg_lo:[0,0,1] neg_hi:[0,0,1]
	s_delay_alu instid0(VALU_DEP_3) | instskip(NEXT) | instid1(VALU_DEP_3)
	v_pk_add_f32 v[82:83], v[82:83], v[90:91]
	v_mov_b32_e32 v87, v85
	s_delay_alu instid0(VALU_DEP_1) | instskip(SKIP_1) | instid1(VALU_DEP_1)
	v_pk_add_f32 v[82:83], v[82:83], v[86:87]
	s_wait_loadcnt 0x0
	v_pk_add_f32 v[82:83], v[108:109], v[82:83] neg_lo:[0,1] neg_hi:[0,1]
	scratch_store_b64 off, v[82:83], off offset:256
	s_wait_xcnt 0x0
	v_cmpx_lt_u32_e32 31, v0
	s_cbranch_execz .LBB39_191
; %bb.190:
	scratch_load_b64 v[82:83], off, off offset:248
	v_mov_b64_e32 v[84:85], 0
	scratch_store_b64 off, v[84:85], off offset:248
	s_wait_loadcnt 0x0
	ds_store_b64 v1, v[82:83]
.LBB39_191:
	s_wait_xcnt 0x0
	s_or_b32 exec_lo, exec_lo, s0
	s_wait_storecnt_dscnt 0x0
	s_barrier_signal -1
	s_barrier_wait -1
	s_clause 0x4
	scratch_load_b128 v[82:85], off, off offset:256
	scratch_load_b128 v[86:89], off, off offset:272
	;; [unrolled: 1-line block ×4, first 2 shown]
	scratch_load_b64 v[114:115], off, off offset:248
	ds_load_b128 v[98:101], v5 offset:576
	ds_load_b128 v[102:105], v5 offset:592
	;; [unrolled: 1-line block ×4, first 2 shown]
	s_mov_b32 s0, exec_lo
	s_wait_dscnt 0x3
	v_dual_mov_b32 v116, v101 :: v_dual_mov_b32 v117, v100
	s_wait_dscnt 0x2
	v_dual_mov_b32 v118, v105 :: v_dual_mov_b32 v119, v104
	s_wait_dscnt 0x0
	v_dual_mov_b32 v127, v112 :: v_dual_mov_b32 v120, v109
	v_dual_mov_b32 v121, v108 :: v_dual_mov_b32 v126, v113
	s_wait_loadcnt 0x4
	v_mov_b32_e32 v124, v85
	v_pk_mul_f32 v[122:123], v[98:99], v[82:83] op_sel:[1,1] op_sel_hi:[0,1]
	s_wait_loadcnt 0x3
	v_pk_mul_f32 v[128:129], v[102:103], v[86:87] op_sel:[1,1] op_sel_hi:[0,1]
	s_wait_loadcnt 0x2
	v_pk_mul_f32 v[132:133], v[106:107], v[90:91] op_sel:[1,1] op_sel_hi:[0,1]
	v_pk_mul_f32 v[116:117], v[116:117], v[124:125] op_sel_hi:[1,0]
	v_pk_fma_f32 v[130:131], v[98:99], v[82:83], v[122:123] op_sel_hi:[1,0,1]
	v_pk_fma_f32 v[82:83], v[98:99], v[82:83], v[122:123] neg_lo:[0,0,1] neg_hi:[0,0,1]
	v_mov_b32_e32 v124, v89
	v_pk_fma_f32 v[122:123], v[102:103], v[86:87], v[128:129] op_sel_hi:[1,0,1]
	v_pk_fma_f32 v[98:99], v[100:101], v[84:85], v[116:117] op_sel_hi:[1,0,1]
	v_mov_b32_e32 v83, v131
	v_pk_fma_f32 v[84:85], v[100:101], v[84:85], v[116:117] neg_lo:[0,0,1] neg_hi:[0,0,1]
	v_pk_mul_f32 v[118:119], v[118:119], v[124:125] op_sel_hi:[1,0]
	s_delay_alu instid0(VALU_DEP_4) | instskip(NEXT) | instid1(VALU_DEP_4)
	v_dual_mov_b32 v98, v93 :: v_dual_mov_b32 v85, v99
	v_pk_add_f32 v[82:83], v[82:83], 0 op_sel_hi:[1,0]
	v_pk_fma_f32 v[86:87], v[102:103], v[86:87], v[128:129] neg_lo:[0,0,1] neg_hi:[0,0,1]
	v_mov_b32_e32 v87, v123
	v_pk_fma_f32 v[100:101], v[104:105], v[88:89], v[118:119] op_sel_hi:[1,0,1]
	v_pk_mul_f32 v[98:99], v[120:121], v[98:99] op_sel_hi:[1,0]
	v_pk_add_f32 v[82:83], v[82:83], v[84:85]
	v_pk_fma_f32 v[84:85], v[106:107], v[90:91], v[132:133] op_sel_hi:[1,0,1]
	v_pk_fma_f32 v[88:89], v[104:105], v[88:89], v[118:119] neg_lo:[0,0,1] neg_hi:[0,0,1]
	v_mov_b32_e32 v89, v101
	v_pk_fma_f32 v[90:91], v[106:107], v[90:91], v[132:133] neg_lo:[0,0,1] neg_hi:[0,0,1]
	v_pk_add_f32 v[82:83], v[82:83], v[86:87]
	v_mov_b32_e32 v91, v85
	v_pk_fma_f32 v[84:85], v[108:109], v[92:93], v[98:99] op_sel_hi:[1,0,1]
	s_wait_loadcnt 0x1
	v_pk_mul_f32 v[86:87], v[110:111], v[94:95] op_sel:[1,1] op_sel_hi:[0,1]
	v_mov_b32_e32 v84, v97
	v_pk_add_f32 v[82:83], v[82:83], v[88:89]
	v_pk_fma_f32 v[92:93], v[108:109], v[92:93], v[98:99] neg_lo:[0,0,1] neg_hi:[0,0,1]
	v_mov_b32_e32 v93, v85
	v_pk_fma_f32 v[88:89], v[110:111], v[94:95], v[86:87] op_sel_hi:[1,0,1]
	v_pk_mul_f32 v[84:85], v[126:127], v[84:85] op_sel_hi:[1,0]
	v_pk_add_f32 v[82:83], v[82:83], v[90:91]
	v_pk_fma_f32 v[86:87], v[110:111], v[94:95], v[86:87] neg_lo:[0,0,1] neg_hi:[0,0,1]
	s_delay_alu instid0(VALU_DEP_4) | instskip(NEXT) | instid1(VALU_DEP_4)
	v_mov_b32_e32 v87, v89
	v_pk_fma_f32 v[88:89], v[112:113], v[96:97], v[84:85] op_sel_hi:[1,0,1]
	s_delay_alu instid0(VALU_DEP_4) | instskip(SKIP_1) | instid1(VALU_DEP_3)
	v_pk_add_f32 v[82:83], v[82:83], v[92:93]
	v_pk_fma_f32 v[84:85], v[112:113], v[96:97], v[84:85] neg_lo:[0,0,1] neg_hi:[0,0,1]
	v_mov_b32_e32 v85, v89
	s_delay_alu instid0(VALU_DEP_3) | instskip(NEXT) | instid1(VALU_DEP_1)
	v_pk_add_f32 v[82:83], v[82:83], v[86:87]
	v_pk_add_f32 v[82:83], v[82:83], v[84:85]
	s_wait_loadcnt 0x0
	s_delay_alu instid0(VALU_DEP_1)
	v_pk_add_f32 v[82:83], v[114:115], v[82:83] neg_lo:[0,1] neg_hi:[0,1]
	scratch_store_b64 off, v[82:83], off offset:248
	s_wait_xcnt 0x0
	v_cmpx_lt_u32_e32 30, v0
	s_cbranch_execz .LBB39_193
; %bb.192:
	scratch_load_b64 v[82:83], off, off offset:240
	v_mov_b64_e32 v[84:85], 0
	scratch_store_b64 off, v[84:85], off offset:240
	s_wait_loadcnt 0x0
	ds_store_b64 v1, v[82:83]
.LBB39_193:
	s_wait_xcnt 0x0
	s_or_b32 exec_lo, exec_lo, s0
	s_wait_storecnt_dscnt 0x0
	s_barrier_signal -1
	s_barrier_wait -1
	s_clause 0x5
	scratch_load_b128 v[82:85], off, off offset:248
	scratch_load_b128 v[86:89], off, off offset:264
	;; [unrolled: 1-line block ×4, first 2 shown]
	scratch_load_b64 v[114:115], off, off offset:312
	scratch_load_b64 v[116:117], off, off offset:240
	v_mov_b32_e32 v5, 0
	ds_load_2addr_b64 v[98:101], v5 offset0:71 offset1:72
	ds_load_2addr_b64 v[102:105], v5 offset0:73 offset1:74
	;; [unrolled: 1-line block ×4, first 2 shown]
	ds_load_b64 v[118:119], v5 offset:632
	s_mov_b32 s0, exec_lo
	s_wait_dscnt 0x4
	v_dual_mov_b32 v120, v101 :: v_dual_mov_b32 v121, v100
	s_wait_dscnt 0x1
	v_dual_mov_b32 v122, v105 :: v_dual_mov_b32 v127, v112
	v_dual_mov_b32 v123, v104 :: v_dual_mov_b32 v124, v109
	;; [unrolled: 1-line block ×3, first 2 shown]
	s_wait_loadcnt 0x5
	v_dual_mov_b32 v128, v85 :: v_dual_mul_f32 v129, v98, v83
	v_mul_f32_e32 v9, v99, v83
	s_wait_loadcnt 0x4
	v_pk_mul_f32 v[130:131], v[102:103], v[86:87] op_sel:[1,1] op_sel_hi:[0,1]
	v_mov_b32_e32 v132, v89
	s_wait_loadcnt 0x3
	v_pk_mul_f32 v[134:135], v[106:107], v[90:91] op_sel:[1,1] op_sel_hi:[0,1]
	v_pk_mul_f32 v[120:121], v[120:121], v[128:129] op_sel_hi:[1,0]
	v_fmac_f32_e32 v129, v99, v82
	v_dual_fma_f32 v128, v98, v82, -v9 :: v_dual_mov_b32 v82, v93
	v_pk_fma_f32 v[136:137], v[102:103], v[86:87], v[130:131] op_sel_hi:[1,0,1]
	s_delay_alu instid0(VALU_DEP_4)
	v_pk_fma_f32 v[98:99], v[100:101], v[84:85], v[120:121] op_sel_hi:[1,0,1]
	v_pk_fma_f32 v[84:85], v[100:101], v[84:85], v[120:121] neg_lo:[0,0,1] neg_hi:[0,0,1]
	v_pk_mul_f32 v[122:123], v[122:123], v[132:133] op_sel_hi:[1,0]
	v_pk_add_f32 v[128:129], v[128:129], 0 op_sel_hi:[1,0]
	v_pk_fma_f32 v[86:87], v[102:103], v[86:87], v[130:131] neg_lo:[0,0,1] neg_hi:[0,0,1]
	v_dual_mov_b32 v85, v99 :: v_dual_mov_b32 v87, v137
	s_delay_alu instid0(VALU_DEP_4) | instskip(SKIP_2) | instid1(VALU_DEP_4)
	v_pk_fma_f32 v[100:101], v[104:105], v[88:89], v[122:123] op_sel_hi:[1,0,1]
	v_pk_fma_f32 v[88:89], v[104:105], v[88:89], v[122:123] neg_lo:[0,0,1] neg_hi:[0,0,1]
	v_pk_fma_f32 v[102:103], v[106:107], v[90:91], v[134:135] op_sel_hi:[1,0,1]
	v_pk_add_f32 v[84:85], v[128:129], v[84:85]
	v_pk_mul_f32 v[82:83], v[124:125], v[82:83] op_sel_hi:[1,0]
	v_mov_b32_e32 v89, v101
	v_pk_fma_f32 v[90:91], v[106:107], v[90:91], v[134:135] neg_lo:[0,0,1] neg_hi:[0,0,1]
	s_wait_loadcnt 0x2
	v_pk_mul_f32 v[98:99], v[110:111], v[94:95] op_sel:[1,1] op_sel_hi:[0,1]
	v_pk_add_f32 v[84:85], v[84:85], v[86:87]
	v_mov_b32_e32 v86, v97
	v_pk_fma_f32 v[100:101], v[108:109], v[92:93], v[82:83] op_sel_hi:[1,0,1]
	v_mov_b32_e32 v91, v103
	v_pk_fma_f32 v[82:83], v[108:109], v[92:93], v[82:83] neg_lo:[0,0,1] neg_hi:[0,0,1]
	v_pk_add_f32 v[84:85], v[84:85], v[88:89]
	v_pk_fma_f32 v[88:89], v[110:111], v[94:95], v[98:99] op_sel_hi:[1,0,1]
	v_pk_mul_f32 v[86:87], v[126:127], v[86:87] op_sel_hi:[1,0]
	v_mov_b32_e32 v83, v101
	s_delay_alu instid0(VALU_DEP_4)
	v_pk_add_f32 v[84:85], v[84:85], v[90:91]
	v_pk_fma_f32 v[90:91], v[110:111], v[94:95], v[98:99] neg_lo:[0,0,1] neg_hi:[0,0,1]
	v_mov_b32_e32 v91, v89
	v_pk_fma_f32 v[88:89], v[112:113], v[96:97], v[86:87] op_sel_hi:[1,0,1]
	v_pk_fma_f32 v[86:87], v[112:113], v[96:97], v[86:87] neg_lo:[0,0,1] neg_hi:[0,0,1]
	v_pk_add_f32 v[82:83], v[84:85], v[82:83]
	s_wait_loadcnt_dscnt 0x100
	v_pk_mul_f32 v[84:85], v[118:119], v[114:115] op_sel:[1,1] op_sel_hi:[0,1]
	v_mov_b32_e32 v87, v89
	s_delay_alu instid0(VALU_DEP_3) | instskip(NEXT) | instid1(VALU_DEP_3)
	v_pk_add_f32 v[82:83], v[82:83], v[90:91]
	v_pk_fma_f32 v[88:89], v[118:119], v[114:115], v[84:85] op_sel_hi:[1,0,1]
	v_pk_fma_f32 v[84:85], v[118:119], v[114:115], v[84:85] neg_lo:[0,0,1] neg_hi:[0,0,1]
	s_delay_alu instid0(VALU_DEP_3) | instskip(NEXT) | instid1(VALU_DEP_3)
	v_pk_add_f32 v[82:83], v[82:83], v[86:87]
	v_mov_b32_e32 v85, v89
	s_delay_alu instid0(VALU_DEP_1) | instskip(SKIP_1) | instid1(VALU_DEP_1)
	v_pk_add_f32 v[82:83], v[82:83], v[84:85]
	s_wait_loadcnt 0x0
	v_pk_add_f32 v[82:83], v[116:117], v[82:83] neg_lo:[0,1] neg_hi:[0,1]
	scratch_store_b64 off, v[82:83], off offset:240
	s_wait_xcnt 0x0
	v_cmpx_lt_u32_e32 29, v0
	s_cbranch_execz .LBB39_195
; %bb.194:
	scratch_load_b64 v[82:83], off, off offset:232
	v_mov_b64_e32 v[84:85], 0
	scratch_store_b64 off, v[84:85], off offset:232
	s_wait_loadcnt 0x0
	ds_store_b64 v1, v[82:83]
.LBB39_195:
	s_wait_xcnt 0x0
	s_or_b32 exec_lo, exec_lo, s0
	s_wait_storecnt_dscnt 0x0
	s_barrier_signal -1
	s_barrier_wait -1
	s_clause 0x5
	scratch_load_b128 v[82:85], off, off offset:240
	scratch_load_b128 v[86:89], off, off offset:256
	;; [unrolled: 1-line block ×5, first 2 shown]
	scratch_load_b64 v[122:123], off, off offset:232
	ds_load_b128 v[102:105], v5 offset:576
	ds_load_b128 v[106:109], v5 offset:592
	;; [unrolled: 1-line block ×5, first 2 shown]
	s_mov_b32 s0, exec_lo
	s_wait_dscnt 0x4
	v_dual_mov_b32 v124, v105 :: v_dual_mov_b32 v125, v104
	s_wait_dscnt 0x3
	v_dual_mov_b32 v126, v109 :: v_dual_mov_b32 v127, v108
	;; [unrolled: 2-line block ×4, first 2 shown]
	s_wait_loadcnt_dscnt 0x500
	v_dual_mul_f32 v133, v118, v83 :: v_dual_mul_f32 v135, v120, v85
	v_dual_mul_f32 v5, v119, v83 :: v_dual_mul_f32 v9, v121, v85
	s_wait_loadcnt 0x4
	v_pk_mul_f32 v[136:137], v[102:103], v[86:87] op_sel:[1,1] op_sel_hi:[0,1]
	s_wait_loadcnt 0x3
	v_dual_mov_b32 v138, v89 :: v_dual_mov_b32 v142, v93
	v_dual_fmac_f32 v133, v119, v82 :: v_dual_fmac_f32 v135, v121, v84
	v_fma_f32 v132, v118, v82, -v5
	v_fma_f32 v134, v120, v84, -v9
	v_pk_fma_f32 v[82:83], v[102:103], v[86:87], v[136:137] op_sel_hi:[1,0,1]
	v_pk_mul_f32 v[84:85], v[124:125], v[138:139] op_sel_hi:[1,0]
	v_pk_fma_f32 v[86:87], v[102:103], v[86:87], v[136:137] neg_lo:[0,0,1] neg_hi:[0,0,1]
	v_pk_mul_f32 v[140:141], v[106:107], v[90:91] op_sel:[1,1] op_sel_hi:[0,1]
	v_pk_mul_f32 v[124:125], v[126:127], v[142:143] op_sel_hi:[1,0]
	v_mov_b32_e32 v87, v83
	v_pk_add_f32 v[118:119], v[132:133], 0 op_sel_hi:[1,0]
	v_pk_fma_f32 v[82:83], v[104:105], v[88:89], v[84:85] op_sel_hi:[1,0,1]
	v_pk_fma_f32 v[84:85], v[104:105], v[88:89], v[84:85] neg_lo:[0,0,1] neg_hi:[0,0,1]
	s_wait_loadcnt 0x2
	v_pk_mul_f32 v[120:121], v[110:111], v[94:95] op_sel:[1,1] op_sel_hi:[0,1]
	v_pk_fma_f32 v[88:89], v[106:107], v[90:91], v[140:141] neg_lo:[0,0,1] neg_hi:[0,0,1]
	v_mov_b32_e32 v85, v83
	v_pk_add_f32 v[102:103], v[118:119], v[134:135]
	v_pk_fma_f32 v[118:119], v[106:107], v[90:91], v[140:141] op_sel_hi:[1,0,1]
	v_pk_fma_f32 v[90:91], v[108:109], v[92:93], v[124:125] op_sel_hi:[1,0,1]
	v_pk_fma_f32 v[92:93], v[108:109], v[92:93], v[124:125] neg_lo:[0,0,1] neg_hi:[0,0,1]
	s_delay_alu instid0(VALU_DEP_4) | instskip(NEXT) | instid1(VALU_DEP_4)
	v_pk_add_f32 v[82:83], v[102:103], v[86:87]
	v_dual_mov_b32 v86, v97 :: v_dual_mov_b32 v89, v119
	s_delay_alu instid0(VALU_DEP_2) | instskip(SKIP_1) | instid1(VALU_DEP_3)
	v_pk_add_f32 v[82:83], v[82:83], v[84:85]
	v_pk_fma_f32 v[84:85], v[110:111], v[94:95], v[120:121] op_sel_hi:[1,0,1]
	v_pk_mul_f32 v[86:87], v[128:129], v[86:87] op_sel_hi:[1,0]
	v_mov_b32_e32 v93, v91
	v_pk_fma_f32 v[90:91], v[110:111], v[94:95], v[120:121] neg_lo:[0,0,1] neg_hi:[0,0,1]
	v_pk_add_f32 v[82:83], v[82:83], v[88:89]
	v_mov_b32_e32 v91, v85
	v_pk_fma_f32 v[84:85], v[112:113], v[96:97], v[86:87] op_sel_hi:[1,0,1]
	s_wait_loadcnt 0x1
	v_pk_mul_f32 v[88:89], v[114:115], v[98:99] op_sel:[1,1] op_sel_hi:[0,1]
	v_mov_b32_e32 v84, v101
	v_pk_add_f32 v[82:83], v[82:83], v[92:93]
	v_pk_fma_f32 v[86:87], v[112:113], v[96:97], v[86:87] neg_lo:[0,0,1] neg_hi:[0,0,1]
	v_mov_b32_e32 v87, v85
	v_pk_fma_f32 v[92:93], v[114:115], v[98:99], v[88:89] op_sel_hi:[1,0,1]
	v_pk_mul_f32 v[84:85], v[130:131], v[84:85] op_sel_hi:[1,0]
	v_pk_add_f32 v[82:83], v[82:83], v[90:91]
	v_pk_fma_f32 v[88:89], v[114:115], v[98:99], v[88:89] neg_lo:[0,0,1] neg_hi:[0,0,1]
	s_delay_alu instid0(VALU_DEP_2) | instskip(NEXT) | instid1(VALU_DEP_4)
	v_pk_add_f32 v[82:83], v[82:83], v[86:87]
	v_pk_fma_f32 v[86:87], v[116:117], v[100:101], v[84:85] op_sel_hi:[1,0,1]
	v_mov_b32_e32 v89, v93
	v_pk_fma_f32 v[84:85], v[116:117], v[100:101], v[84:85] neg_lo:[0,0,1] neg_hi:[0,0,1]
	s_delay_alu instid0(VALU_DEP_3) | instskip(NEXT) | instid1(VALU_DEP_3)
	v_mov_b32_e32 v85, v87
	v_pk_add_f32 v[82:83], v[82:83], v[88:89]
	s_delay_alu instid0(VALU_DEP_1) | instskip(SKIP_1) | instid1(VALU_DEP_1)
	v_pk_add_f32 v[82:83], v[82:83], v[84:85]
	s_wait_loadcnt 0x0
	v_pk_add_f32 v[82:83], v[122:123], v[82:83] neg_lo:[0,1] neg_hi:[0,1]
	scratch_store_b64 off, v[82:83], off offset:232
	s_wait_xcnt 0x0
	v_cmpx_lt_u32_e32 28, v0
	s_cbranch_execz .LBB39_197
; %bb.196:
	scratch_load_b64 v[82:83], off, off offset:224
	v_mov_b64_e32 v[84:85], 0
	scratch_store_b64 off, v[84:85], off offset:224
	s_wait_loadcnt 0x0
	ds_store_b64 v1, v[82:83]
.LBB39_197:
	s_wait_xcnt 0x0
	s_or_b32 exec_lo, exec_lo, s0
	s_wait_storecnt_dscnt 0x0
	s_barrier_signal -1
	s_barrier_wait -1
	s_clause 0x6
	scratch_load_b128 v[82:85], off, off offset:232
	scratch_load_b128 v[86:89], off, off offset:248
	;; [unrolled: 1-line block ×5, first 2 shown]
	scratch_load_b64 v[122:123], off, off offset:312
	scratch_load_b64 v[124:125], off, off offset:224
	v_mov_b32_e32 v5, 0
	ds_load_2addr_b64 v[102:105], v5 offset0:71 offset1:72
	ds_load_2addr_b64 v[106:109], v5 offset0:73 offset1:74
	;; [unrolled: 1-line block ×5, first 2 shown]
	ds_load_b64 v[126:127], v5 offset:632
	s_mov_b32 s0, exec_lo
	s_wait_dscnt 0x5
	v_dual_mov_b32 v128, v105 :: v_dual_mov_b32 v129, v104
	s_wait_dscnt 0x2
	v_dual_mov_b32 v130, v109 :: v_dual_mov_b32 v135, v116
	v_dual_mov_b32 v131, v108 :: v_dual_mov_b32 v132, v113
	;; [unrolled: 1-line block ×3, first 2 shown]
	s_wait_loadcnt_dscnt 0x601
	v_dual_mul_f32 v9, v118, v83 :: v_dual_mul_f32 v11, v119, v83
	v_dual_mul_f32 v13, v121, v85 :: v_dual_mul_f32 v137, v120, v85
	s_wait_loadcnt 0x5
	v_dual_mul_f32 v139, v102, v87 :: v_dual_mul_f32 v15, v103, v87
	s_wait_loadcnt 0x4
	v_dual_mov_b32 v138, v89 :: v_dual_mov_b32 v142, v93
	v_dual_fmac_f32 v9, v119, v82 :: v_dual_fma_f32 v11, v118, v82, -v11
	v_fmac_f32_e32 v137, v121, v84
	v_pk_mul_f32 v[140:141], v[106:107], v[90:91] op_sel:[1,1] op_sel_hi:[0,1]
	s_delay_alu instid0(VALU_DEP_3)
	v_dual_fma_f32 v136, v120, v84, -v13 :: v_dual_add_f32 v85, 0, v9
	v_pk_mul_f32 v[82:83], v[128:129], v[138:139] op_sel_hi:[1,0]
	s_wait_loadcnt 0x3
	v_dual_add_f32 v84, 0, v11 :: v_dual_mov_b32 v118, v97
	v_fmac_f32_e32 v139, v103, v86
	v_fma_f32 v138, v102, v86, -v15
	v_pk_fma_f32 v[86:87], v[104:105], v[88:89], v[82:83] op_sel_hi:[1,0,1]
	s_delay_alu instid0(VALU_DEP_4) | instskip(SKIP_4) | instid1(VALU_DEP_4)
	v_pk_add_f32 v[84:85], v[84:85], v[136:137]
	v_pk_fma_f32 v[102:103], v[106:107], v[90:91], v[140:141] op_sel_hi:[1,0,1]
	v_pk_fma_f32 v[82:83], v[104:105], v[88:89], v[82:83] neg_lo:[0,0,1] neg_hi:[0,0,1]
	v_pk_fma_f32 v[88:89], v[106:107], v[90:91], v[140:141] neg_lo:[0,0,1] neg_hi:[0,0,1]
	v_pk_mul_f32 v[120:121], v[130:131], v[142:143] op_sel_hi:[1,0]
	v_dual_mov_b32 v83, v87 :: v_dual_mov_b32 v89, v103
	v_pk_add_f32 v[84:85], v[84:85], v[138:139]
	v_pk_mul_f32 v[144:145], v[110:111], v[94:95] op_sel:[1,1] op_sel_hi:[0,1]
	s_delay_alu instid0(VALU_DEP_4)
	v_pk_fma_f32 v[90:91], v[108:109], v[92:93], v[120:121] op_sel_hi:[1,0,1]
	v_pk_fma_f32 v[92:93], v[108:109], v[92:93], v[120:121] neg_lo:[0,0,1] neg_hi:[0,0,1]
	v_pk_mul_f32 v[102:103], v[132:133], v[118:119] op_sel_hi:[1,0]
	v_pk_add_f32 v[82:83], v[84:85], v[82:83]
	v_pk_fma_f32 v[84:85], v[110:111], v[94:95], v[144:145] op_sel_hi:[1,0,1]
	s_wait_loadcnt 0x2
	v_dual_mov_b32 v93, v91 :: v_dual_mov_b32 v84, v101
	v_pk_mul_f32 v[86:87], v[114:115], v[98:99] op_sel:[1,1] op_sel_hi:[0,1]
	v_pk_add_f32 v[82:83], v[82:83], v[88:89]
	v_pk_fma_f32 v[88:89], v[110:111], v[94:95], v[144:145] neg_lo:[0,0,1] neg_hi:[0,0,1]
	v_pk_fma_f32 v[90:91], v[112:113], v[96:97], v[102:103] op_sel_hi:[1,0,1]
	v_mov_b32_e32 v89, v85
	v_pk_fma_f32 v[94:95], v[112:113], v[96:97], v[102:103] neg_lo:[0,0,1] neg_hi:[0,0,1]
	v_pk_add_f32 v[82:83], v[82:83], v[92:93]
	v_pk_fma_f32 v[92:93], v[114:115], v[98:99], v[86:87] op_sel_hi:[1,0,1]
	v_pk_mul_f32 v[84:85], v[134:135], v[84:85] op_sel_hi:[1,0]
	v_mov_b32_e32 v95, v91
	v_pk_fma_f32 v[86:87], v[114:115], v[98:99], v[86:87] neg_lo:[0,0,1] neg_hi:[0,0,1]
	v_pk_add_f32 v[82:83], v[82:83], v[88:89]
	s_wait_loadcnt_dscnt 0x100
	v_pk_mul_f32 v[90:91], v[126:127], v[122:123] op_sel:[1,1] op_sel_hi:[0,1]
	v_pk_fma_f32 v[88:89], v[116:117], v[100:101], v[84:85] op_sel_hi:[1,0,1]
	v_mov_b32_e32 v87, v93
	v_pk_fma_f32 v[84:85], v[116:117], v[100:101], v[84:85] neg_lo:[0,0,1] neg_hi:[0,0,1]
	v_pk_add_f32 v[82:83], v[82:83], v[94:95]
	s_delay_alu instid0(VALU_DEP_4) | instskip(SKIP_1) | instid1(VALU_DEP_3)
	v_mov_b32_e32 v85, v89
	v_pk_fma_f32 v[88:89], v[126:127], v[122:123], v[90:91] neg_lo:[0,0,1] neg_hi:[0,0,1]
	v_pk_add_f32 v[82:83], v[82:83], v[86:87]
	v_pk_fma_f32 v[86:87], v[126:127], v[122:123], v[90:91] op_sel_hi:[1,0,1]
	s_delay_alu instid0(VALU_DEP_2) | instskip(NEXT) | instid1(VALU_DEP_2)
	v_pk_add_f32 v[82:83], v[82:83], v[84:85]
	v_mov_b32_e32 v89, v87
	s_delay_alu instid0(VALU_DEP_1) | instskip(SKIP_1) | instid1(VALU_DEP_1)
	v_pk_add_f32 v[82:83], v[82:83], v[88:89]
	s_wait_loadcnt 0x0
	v_pk_add_f32 v[82:83], v[124:125], v[82:83] neg_lo:[0,1] neg_hi:[0,1]
	scratch_store_b64 off, v[82:83], off offset:224
	s_wait_xcnt 0x0
	v_cmpx_lt_u32_e32 27, v0
	s_cbranch_execz .LBB39_199
; %bb.198:
	scratch_load_b64 v[82:83], off, off offset:216
	v_mov_b64_e32 v[84:85], 0
	scratch_store_b64 off, v[84:85], off offset:216
	s_wait_loadcnt 0x0
	ds_store_b64 v1, v[82:83]
.LBB39_199:
	s_wait_xcnt 0x0
	s_or_b32 exec_lo, exec_lo, s0
	s_wait_storecnt_dscnt 0x0
	s_barrier_signal -1
	s_barrier_wait -1
	s_clause 0x6
	scratch_load_b128 v[82:85], off, off offset:224
	scratch_load_b128 v[86:89], off, off offset:240
	;; [unrolled: 1-line block ×6, first 2 shown]
	scratch_load_b64 v[130:131], off, off offset:216
	ds_load_b128 v[106:109], v5 offset:576
	ds_load_b128 v[110:113], v5 offset:592
	;; [unrolled: 1-line block ×6, first 2 shown]
	s_mov_b32 s0, exec_lo
	s_wait_dscnt 0x5
	v_dual_mov_b32 v132, v109 :: v_dual_mov_b32 v133, v108
	s_wait_dscnt 0x4
	v_dual_mov_b32 v134, v113 :: v_dual_mov_b32 v135, v112
	;; [unrolled: 2-line block ×4, first 2 shown]
	s_wait_loadcnt_dscnt 0x601
	v_dual_mul_f32 v5, v122, v83 :: v_dual_mul_f32 v9, v124, v85
	v_dual_mul_f32 v11, v123, v83 :: v_dual_mul_f32 v13, v125, v85
	s_wait_loadcnt 0x4
	s_delay_alu instid0(VALU_DEP_2)
	v_dual_mov_b32 v146, v93 :: v_dual_fmac_f32 v5, v123, v82
	s_wait_dscnt 0x0
	v_dual_mul_f32 v141, v126, v87 :: v_dual_mul_f32 v143, v128, v89
	v_dual_fma_f32 v11, v122, v82, -v11 :: v_dual_fmac_f32 v9, v125, v84
	v_dual_mul_f32 v15, v127, v87 :: v_dual_mul_f32 v17, v129, v89
	v_dual_fma_f32 v13, v124, v84, -v13 :: v_dual_add_f32 v5, 0, v5
	s_wait_loadcnt 0x3
	s_delay_alu instid0(VALU_DEP_3) | instskip(SKIP_3) | instid1(VALU_DEP_4)
	v_dual_add_f32 v11, 0, v11 :: v_dual_mov_b32 v84, v97
	v_pk_mul_f32 v[144:145], v[106:107], v[90:91] op_sel:[1,1] op_sel_hi:[0,1]
	v_dual_fmac_f32 v141, v127, v86 :: v_dual_fma_f32 v140, v126, v86, -v15
	v_dual_add_f32 v87, v5, v9 :: v_dual_fma_f32 v142, v128, v88, -v17
	v_dual_add_f32 v86, v11, v13 :: v_dual_fmac_f32 v143, v129, v88
	s_delay_alu instid0(VALU_DEP_4) | instskip(SKIP_2) | instid1(VALU_DEP_4)
	v_pk_fma_f32 v[88:89], v[106:107], v[90:91], v[144:145] op_sel_hi:[1,0,1]
	v_pk_mul_f32 v[122:123], v[132:133], v[146:147] op_sel_hi:[1,0]
	v_pk_fma_f32 v[90:91], v[106:107], v[90:91], v[144:145] neg_lo:[0,0,1] neg_hi:[0,0,1]
	v_pk_add_f32 v[86:87], v[86:87], v[140:141]
	v_pk_mul_f32 v[82:83], v[110:111], v[94:95] op_sel:[1,1] op_sel_hi:[0,1]
	v_mov_b32_e32 v91, v89
	v_pk_fma_f32 v[88:89], v[108:109], v[92:93], v[122:123] op_sel_hi:[1,0,1]
	v_pk_fma_f32 v[92:93], v[108:109], v[92:93], v[122:123] neg_lo:[0,0,1] neg_hi:[0,0,1]
	v_pk_add_f32 v[86:87], v[86:87], v[142:143]
	v_pk_fma_f32 v[106:107], v[110:111], v[94:95], v[82:83] op_sel_hi:[1,0,1]
	v_pk_mul_f32 v[84:85], v[134:135], v[84:85] op_sel_hi:[1,0]
	v_mov_b32_e32 v93, v89
	v_pk_fma_f32 v[82:83], v[110:111], v[94:95], v[82:83] neg_lo:[0,0,1] neg_hi:[0,0,1]
	v_pk_add_f32 v[86:87], v[86:87], v[90:91]
	s_wait_loadcnt 0x2
	v_pk_mul_f32 v[124:125], v[114:115], v[98:99] op_sel:[1,1] op_sel_hi:[0,1]
	v_dual_mov_b32 v88, v101 :: v_dual_mov_b32 v83, v107
	v_pk_fma_f32 v[90:91], v[112:113], v[96:97], v[84:85] op_sel_hi:[1,0,1]
	v_pk_add_f32 v[86:87], v[86:87], v[92:93]
	v_pk_fma_f32 v[84:85], v[112:113], v[96:97], v[84:85] neg_lo:[0,0,1] neg_hi:[0,0,1]
	v_pk_fma_f32 v[92:93], v[114:115], v[98:99], v[124:125] op_sel_hi:[1,0,1]
	v_pk_mul_f32 v[88:89], v[136:137], v[88:89] op_sel_hi:[1,0]
	v_mov_b32_e32 v85, v91
	v_pk_add_f32 v[82:83], v[86:87], v[82:83]
	v_pk_fma_f32 v[90:91], v[114:115], v[98:99], v[124:125] neg_lo:[0,0,1] neg_hi:[0,0,1]
	s_wait_loadcnt 0x1
	v_pk_mul_f32 v[86:87], v[118:119], v[102:103] op_sel:[1,1] op_sel_hi:[0,1]
	v_mov_b32_e32 v91, v93
	v_pk_fma_f32 v[92:93], v[116:117], v[100:101], v[88:89] op_sel_hi:[1,0,1]
	v_pk_add_f32 v[82:83], v[82:83], v[84:85]
	v_mov_b32_e32 v84, v105
	v_pk_fma_f32 v[88:89], v[116:117], v[100:101], v[88:89] neg_lo:[0,0,1] neg_hi:[0,0,1]
	v_pk_fma_f32 v[94:95], v[118:119], v[102:103], v[86:87] op_sel_hi:[1,0,1]
	v_mov_b32_e32 v89, v93
	v_pk_add_f32 v[82:83], v[82:83], v[90:91]
	v_pk_mul_f32 v[84:85], v[138:139], v[84:85] op_sel_hi:[1,0]
	v_pk_fma_f32 v[86:87], v[118:119], v[102:103], v[86:87] neg_lo:[0,0,1] neg_hi:[0,0,1]
	s_delay_alu instid0(VALU_DEP_3) | instskip(NEXT) | instid1(VALU_DEP_3)
	v_pk_add_f32 v[82:83], v[82:83], v[88:89]
	v_pk_fma_f32 v[88:89], v[120:121], v[104:105], v[84:85] op_sel_hi:[1,0,1]
	v_mov_b32_e32 v87, v95
	v_pk_fma_f32 v[84:85], v[120:121], v[104:105], v[84:85] neg_lo:[0,0,1] neg_hi:[0,0,1]
	s_delay_alu instid0(VALU_DEP_3) | instskip(NEXT) | instid1(VALU_DEP_3)
	v_mov_b32_e32 v85, v89
	v_pk_add_f32 v[82:83], v[82:83], v[86:87]
	s_delay_alu instid0(VALU_DEP_1) | instskip(SKIP_1) | instid1(VALU_DEP_1)
	v_pk_add_f32 v[82:83], v[82:83], v[84:85]
	s_wait_loadcnt 0x0
	v_pk_add_f32 v[82:83], v[130:131], v[82:83] neg_lo:[0,1] neg_hi:[0,1]
	scratch_store_b64 off, v[82:83], off offset:216
	s_wait_xcnt 0x0
	v_cmpx_lt_u32_e32 26, v0
	s_cbranch_execz .LBB39_201
; %bb.200:
	scratch_load_b64 v[82:83], off, off offset:208
	v_mov_b64_e32 v[84:85], 0
	scratch_store_b64 off, v[84:85], off offset:208
	s_wait_loadcnt 0x0
	ds_store_b64 v1, v[82:83]
.LBB39_201:
	s_wait_xcnt 0x0
	s_or_b32 exec_lo, exec_lo, s0
	s_wait_storecnt_dscnt 0x0
	s_barrier_signal -1
	s_barrier_wait -1
	s_clause 0x7
	scratch_load_b128 v[82:85], off, off offset:216
	scratch_load_b128 v[86:89], off, off offset:232
	;; [unrolled: 1-line block ×6, first 2 shown]
	scratch_load_b64 v[130:131], off, off offset:312
	scratch_load_b64 v[132:133], off, off offset:208
	v_mov_b32_e32 v5, 0
	ds_load_2addr_b64 v[106:109], v5 offset0:71 offset1:72
	ds_load_2addr_b64 v[110:113], v5 offset0:73 offset1:74
	;; [unrolled: 1-line block ×6, first 2 shown]
	ds_load_b64 v[134:135], v5 offset:632
	s_mov_b32 s0, exec_lo
	s_wait_dscnt 0x6
	v_dual_mov_b32 v136, v109 :: v_dual_mov_b32 v137, v108
	s_wait_dscnt 0x3
	v_dual_mov_b32 v138, v113 :: v_dual_mov_b32 v143, v120
	v_dual_mov_b32 v139, v112 :: v_dual_mov_b32 v140, v117
	;; [unrolled: 1-line block ×3, first 2 shown]
	s_wait_loadcnt_dscnt 0x702
	v_dual_mul_f32 v9, v122, v83 :: v_dual_mul_f32 v15, v123, v83
	v_dual_mul_f32 v17, v125, v85 :: v_dual_mul_f32 v11, v124, v85
	s_wait_loadcnt_dscnt 0x601
	s_delay_alu instid0(VALU_DEP_2) | instskip(NEXT) | instid1(VALU_DEP_3)
	v_dual_mul_f32 v13, v126, v87 :: v_dual_fmac_f32 v9, v123, v82
	v_dual_fma_f32 v15, v122, v82, -v15 :: v_dual_mul_f32 v19, v127, v87
	v_mul_f32_e32 v21, v129, v89
	s_wait_loadcnt 0x4
	v_dual_mov_b32 v82, v97 :: v_dual_fma_f32 v17, v124, v84, -v17
	v_dual_fmac_f32 v11, v125, v84 :: v_dual_add_f32 v9, 0, v9
	v_dual_add_f32 v15, 0, v15 :: v_dual_fmac_f32 v13, v127, v86
	v_dual_mul_f32 v145, v128, v89 :: v_dual_mul_f32 v147, v106, v91
	v_dual_mul_f32 v23, v107, v91 :: v_dual_mov_b32 v146, v93
	s_delay_alu instid0(VALU_DEP_4) | instskip(NEXT) | instid1(VALU_DEP_3)
	v_dual_fma_f32 v19, v126, v86, -v19 :: v_dual_add_f32 v9, v9, v11
	v_dual_add_f32 v11, v15, v17 :: v_dual_fmac_f32 v145, v129, v88
	v_pk_mul_f32 v[148:149], v[110:111], v[94:95] op_sel:[1,1] op_sel_hi:[0,1]
	s_delay_alu instid0(VALU_DEP_3)
	v_dual_fma_f32 v144, v128, v88, -v21 :: v_dual_add_f32 v89, v9, v13
	v_pk_mul_f32 v[86:87], v[136:137], v[146:147] op_sel_hi:[1,0]
	s_wait_loadcnt 0x3
	v_dual_add_f32 v88, v11, v19 :: v_dual_mov_b32 v122, v101
	v_fmac_f32_e32 v147, v107, v90
	v_fma_f32 v146, v106, v90, -v23
	v_pk_fma_f32 v[90:91], v[108:109], v[92:93], v[86:87] op_sel_hi:[1,0,1]
	s_delay_alu instid0(VALU_DEP_4) | instskip(SKIP_4) | instid1(VALU_DEP_4)
	v_pk_add_f32 v[88:89], v[88:89], v[144:145]
	v_pk_fma_f32 v[106:107], v[110:111], v[94:95], v[148:149] op_sel_hi:[1,0,1]
	v_pk_fma_f32 v[86:87], v[108:109], v[92:93], v[86:87] neg_lo:[0,0,1] neg_hi:[0,0,1]
	v_pk_fma_f32 v[92:93], v[110:111], v[94:95], v[148:149] neg_lo:[0,0,1] neg_hi:[0,0,1]
	v_pk_mul_f32 v[82:83], v[138:139], v[82:83] op_sel_hi:[1,0]
	v_dual_mov_b32 v87, v91 :: v_dual_mov_b32 v93, v107
	v_pk_add_f32 v[88:89], v[88:89], v[146:147]
	v_pk_mul_f32 v[84:85], v[114:115], v[98:99] op_sel:[1,1] op_sel_hi:[0,1]
	s_delay_alu instid0(VALU_DEP_4)
	v_pk_fma_f32 v[94:95], v[112:113], v[96:97], v[82:83] op_sel_hi:[1,0,1]
	v_pk_fma_f32 v[82:83], v[112:113], v[96:97], v[82:83] neg_lo:[0,0,1] neg_hi:[0,0,1]
	v_pk_mul_f32 v[106:107], v[140:141], v[122:123] op_sel_hi:[1,0]
	v_pk_add_f32 v[86:87], v[88:89], v[86:87]
	v_pk_fma_f32 v[88:89], v[114:115], v[98:99], v[84:85] op_sel_hi:[1,0,1]
	s_wait_loadcnt 0x2
	v_dual_mov_b32 v83, v95 :: v_dual_mov_b32 v88, v105
	v_pk_fma_f32 v[84:85], v[114:115], v[98:99], v[84:85] neg_lo:[0,0,1] neg_hi:[0,0,1]
	v_pk_add_f32 v[86:87], v[86:87], v[92:93]
	v_pk_mul_f32 v[90:91], v[118:119], v[102:103] op_sel:[1,1] op_sel_hi:[0,1]
	v_pk_fma_f32 v[92:93], v[116:117], v[100:101], v[106:107] op_sel_hi:[1,0,1]
	v_mov_b32_e32 v85, v89
	v_pk_fma_f32 v[94:95], v[116:117], v[100:101], v[106:107] neg_lo:[0,0,1] neg_hi:[0,0,1]
	v_pk_add_f32 v[82:83], v[86:87], v[82:83]
	v_pk_fma_f32 v[86:87], v[118:119], v[102:103], v[90:91] op_sel_hi:[1,0,1]
	v_pk_mul_f32 v[88:89], v[142:143], v[88:89] op_sel_hi:[1,0]
	v_mov_b32_e32 v95, v93
	s_delay_alu instid0(VALU_DEP_4)
	v_pk_add_f32 v[82:83], v[82:83], v[84:85]
	v_pk_fma_f32 v[84:85], v[118:119], v[102:103], v[90:91] neg_lo:[0,0,1] neg_hi:[0,0,1]
	v_mov_b32_e32 v85, v87
	v_pk_fma_f32 v[86:87], v[120:121], v[104:105], v[88:89] op_sel_hi:[1,0,1]
	s_wait_loadcnt_dscnt 0x100
	v_pk_mul_f32 v[90:91], v[134:135], v[130:131] op_sel:[1,1] op_sel_hi:[0,1]
	v_pk_add_f32 v[82:83], v[82:83], v[94:95]
	v_pk_fma_f32 v[88:89], v[120:121], v[104:105], v[88:89] neg_lo:[0,0,1] neg_hi:[0,0,1]
	v_mov_b32_e32 v89, v87
	s_delay_alu instid0(VALU_DEP_4) | instskip(NEXT) | instid1(VALU_DEP_4)
	v_pk_fma_f32 v[86:87], v[134:135], v[130:131], v[90:91] neg_lo:[0,0,1] neg_hi:[0,0,1]
	v_pk_add_f32 v[82:83], v[82:83], v[84:85]
	v_pk_fma_f32 v[84:85], v[134:135], v[130:131], v[90:91] op_sel_hi:[1,0,1]
	s_delay_alu instid0(VALU_DEP_2) | instskip(NEXT) | instid1(VALU_DEP_2)
	v_pk_add_f32 v[82:83], v[82:83], v[88:89]
	v_mov_b32_e32 v87, v85
	s_delay_alu instid0(VALU_DEP_1) | instskip(SKIP_1) | instid1(VALU_DEP_1)
	v_pk_add_f32 v[82:83], v[82:83], v[86:87]
	s_wait_loadcnt 0x0
	v_pk_add_f32 v[82:83], v[132:133], v[82:83] neg_lo:[0,1] neg_hi:[0,1]
	scratch_store_b64 off, v[82:83], off offset:208
	s_wait_xcnt 0x0
	v_cmpx_lt_u32_e32 25, v0
	s_cbranch_execz .LBB39_203
; %bb.202:
	scratch_load_b64 v[82:83], off, off offset:200
	v_mov_b64_e32 v[84:85], 0
	scratch_store_b64 off, v[84:85], off offset:200
	s_wait_loadcnt 0x0
	ds_store_b64 v1, v[82:83]
.LBB39_203:
	s_wait_xcnt 0x0
	s_or_b32 exec_lo, exec_lo, s0
	s_wait_storecnt_dscnt 0x0
	s_barrier_signal -1
	s_barrier_wait -1
	s_clause 0x7
	scratch_load_b128 v[82:85], off, off offset:208
	scratch_load_b128 v[86:89], off, off offset:224
	scratch_load_b128 v[90:93], off, off offset:240
	scratch_load_b128 v[94:97], off, off offset:256
	scratch_load_b128 v[98:101], off, off offset:272
	scratch_load_b128 v[102:105], off, off offset:288
	scratch_load_b128 v[106:109], off, off offset:304
	scratch_load_b64 v[138:139], off, off offset:200
	ds_load_b128 v[110:113], v5 offset:576
	ds_load_b128 v[114:117], v5 offset:592
	;; [unrolled: 1-line block ×7, first 2 shown]
	s_mov_b32 s0, exec_lo
	s_wait_dscnt 0x6
	v_dual_mov_b32 v140, v113 :: v_dual_mov_b32 v141, v112
	s_wait_dscnt 0x5
	v_dual_mov_b32 v142, v117 :: v_dual_mov_b32 v143, v116
	;; [unrolled: 2-line block ×4, first 2 shown]
	s_wait_loadcnt_dscnt 0x702
	v_dual_mul_f32 v5, v126, v83 :: v_dual_mul_f32 v9, v128, v85
	v_dual_mul_f32 v15, v127, v83 :: v_dual_mul_f32 v17, v129, v85
	s_wait_loadcnt_dscnt 0x601
	v_dual_mul_f32 v11, v130, v87 :: v_dual_mul_f32 v13, v132, v89
	s_delay_alu instid0(VALU_DEP_2) | instskip(SKIP_1) | instid1(VALU_DEP_2)
	v_dual_fmac_f32 v5, v127, v82 :: v_dual_fma_f32 v15, v126, v82, -v15
	v_dual_mul_f32 v19, v131, v87 :: v_dual_mul_f32 v21, v133, v89
	v_dual_fmac_f32 v9, v129, v84 :: v_dual_add_f32 v5, 0, v5
	s_delay_alu instid0(VALU_DEP_3) | instskip(SKIP_2) | instid1(VALU_DEP_3)
	v_dual_fma_f32 v17, v128, v84, -v17 :: v_dual_add_f32 v15, 0, v15
	s_wait_loadcnt 0x4
	v_dual_mov_b32 v84, v97 :: v_dual_fmac_f32 v11, v131, v86
	v_dual_fma_f32 v19, v130, v86, -v19 :: v_dual_add_f32 v5, v5, v9
	s_delay_alu instid0(VALU_DEP_3)
	v_dual_add_f32 v9, v15, v17 :: v_dual_fmac_f32 v13, v133, v88
	s_wait_dscnt 0x0
	v_dual_mul_f32 v149, v134, v91 :: v_dual_mul_f32 v151, v136, v93
	v_dual_mul_f32 v23, v135, v91 :: v_dual_mul_f32 v25, v137, v93
	v_pk_mul_f32 v[82:83], v[110:111], v[94:95] op_sel:[1,1] op_sel_hi:[0,1]
	s_wait_loadcnt 0x3
	v_pk_mul_f32 v[86:87], v[114:115], v[98:99] op_sel:[1,1] op_sel_hi:[0,1]
	v_dual_fma_f32 v15, v132, v88, -v21 :: v_dual_add_f32 v5, v5, v11
	v_dual_add_f32 v9, v9, v19 :: v_dual_fmac_f32 v149, v135, v90
	v_dual_mov_b32 v88, v101 :: v_dual_fma_f32 v148, v134, v90, -v23
	s_delay_alu instid0(VALU_DEP_3)
	v_dual_add_f32 v91, v5, v13 :: v_dual_fma_f32 v150, v136, v92, -v25
	v_fmac_f32_e32 v151, v137, v92
	v_pk_fma_f32 v[92:93], v[110:111], v[94:95], v[82:83] op_sel_hi:[1,0,1]
	v_pk_fma_f32 v[82:83], v[110:111], v[94:95], v[82:83] neg_lo:[0,0,1] neg_hi:[0,0,1]
	v_pk_fma_f32 v[94:95], v[114:115], v[98:99], v[86:87] op_sel_hi:[1,0,1]
	v_add_f32_e32 v90, v9, v15
	v_pk_fma_f32 v[86:87], v[114:115], v[98:99], v[86:87] neg_lo:[0,0,1] neg_hi:[0,0,1]
	v_pk_mul_f32 v[84:85], v[140:141], v[84:85] op_sel_hi:[1,0]
	s_delay_alu instid0(VALU_DEP_4) | instskip(NEXT) | instid1(VALU_DEP_4)
	v_dual_mov_b32 v83, v93 :: v_dual_mov_b32 v87, v95
	v_pk_add_f32 v[90:91], v[90:91], v[148:149]
	v_pk_mul_f32 v[88:89], v[142:143], v[88:89] op_sel_hi:[1,0]
	s_delay_alu instid0(VALU_DEP_4)
	v_pk_fma_f32 v[92:93], v[112:113], v[96:97], v[84:85] op_sel_hi:[1,0,1]
	v_pk_fma_f32 v[84:85], v[112:113], v[96:97], v[84:85] neg_lo:[0,0,1] neg_hi:[0,0,1]
	s_wait_loadcnt 0x2
	v_pk_mul_f32 v[126:127], v[118:119], v[102:103] op_sel:[1,1] op_sel_hi:[0,1]
	v_pk_add_f32 v[90:91], v[90:91], v[150:151]
	v_mov_b32_e32 v85, v93
	v_pk_fma_f32 v[92:93], v[116:117], v[100:101], v[88:89] op_sel_hi:[1,0,1]
	v_pk_fma_f32 v[88:89], v[116:117], v[100:101], v[88:89] neg_lo:[0,0,1] neg_hi:[0,0,1]
	s_delay_alu instid0(VALU_DEP_4) | instskip(NEXT) | instid1(VALU_DEP_3)
	v_pk_add_f32 v[82:83], v[90:91], v[82:83]
	v_dual_mov_b32 v90, v105 :: v_dual_mov_b32 v89, v93
	v_pk_fma_f32 v[92:93], v[118:119], v[102:103], v[126:127] neg_lo:[0,0,1] neg_hi:[0,0,1]
	s_delay_alu instid0(VALU_DEP_3) | instskip(SKIP_1) | instid1(VALU_DEP_4)
	v_pk_add_f32 v[82:83], v[82:83], v[84:85]
	v_pk_fma_f32 v[84:85], v[118:119], v[102:103], v[126:127] op_sel_hi:[1,0,1]
	v_pk_mul_f32 v[90:91], v[144:145], v[90:91] op_sel_hi:[1,0]
	s_delay_alu instid0(VALU_DEP_3) | instskip(NEXT) | instid1(VALU_DEP_3)
	v_pk_add_f32 v[82:83], v[82:83], v[86:87]
	v_mov_b32_e32 v93, v85
	s_delay_alu instid0(VALU_DEP_3)
	v_pk_fma_f32 v[84:85], v[120:121], v[104:105], v[90:91] op_sel_hi:[1,0,1]
	s_wait_loadcnt 0x1
	v_pk_mul_f32 v[86:87], v[122:123], v[106:107] op_sel:[1,1] op_sel_hi:[0,1]
	v_mov_b32_e32 v84, v109
	v_pk_add_f32 v[82:83], v[82:83], v[88:89]
	v_pk_fma_f32 v[90:91], v[120:121], v[104:105], v[90:91] neg_lo:[0,0,1] neg_hi:[0,0,1]
	s_delay_alu instid0(VALU_DEP_4) | instskip(SKIP_1) | instid1(VALU_DEP_4)
	v_pk_fma_f32 v[88:89], v[122:123], v[106:107], v[86:87] op_sel_hi:[1,0,1]
	v_mov_b32_e32 v91, v85
	v_pk_add_f32 v[82:83], v[82:83], v[92:93]
	v_pk_mul_f32 v[84:85], v[146:147], v[84:85] op_sel_hi:[1,0]
	v_pk_fma_f32 v[86:87], v[122:123], v[106:107], v[86:87] neg_lo:[0,0,1] neg_hi:[0,0,1]
	v_mov_b32_e32 v87, v89
	s_delay_alu instid0(VALU_DEP_4) | instskip(NEXT) | instid1(VALU_DEP_4)
	v_pk_add_f32 v[82:83], v[82:83], v[90:91]
	v_pk_fma_f32 v[88:89], v[124:125], v[108:109], v[84:85] op_sel_hi:[1,0,1]
	v_pk_fma_f32 v[84:85], v[124:125], v[108:109], v[84:85] neg_lo:[0,0,1] neg_hi:[0,0,1]
	s_delay_alu instid0(VALU_DEP_3) | instskip(NEXT) | instid1(VALU_DEP_3)
	v_pk_add_f32 v[82:83], v[82:83], v[86:87]
	v_mov_b32_e32 v85, v89
	s_delay_alu instid0(VALU_DEP_1) | instskip(SKIP_1) | instid1(VALU_DEP_1)
	v_pk_add_f32 v[82:83], v[82:83], v[84:85]
	s_wait_loadcnt 0x0
	v_pk_add_f32 v[82:83], v[138:139], v[82:83] neg_lo:[0,1] neg_hi:[0,1]
	scratch_store_b64 off, v[82:83], off offset:200
	s_wait_xcnt 0x0
	v_cmpx_lt_u32_e32 24, v0
	s_cbranch_execz .LBB39_205
; %bb.204:
	scratch_load_b64 v[82:83], off, off offset:192
	v_mov_b64_e32 v[84:85], 0
	scratch_store_b64 off, v[84:85], off offset:192
	s_wait_loadcnt 0x0
	ds_store_b64 v1, v[82:83]
.LBB39_205:
	s_wait_xcnt 0x0
	s_or_b32 exec_lo, exec_lo, s0
	s_wait_storecnt_dscnt 0x0
	s_barrier_signal -1
	s_barrier_wait -1
	s_clause 0x8
	scratch_load_b128 v[82:85], off, off offset:200
	scratch_load_b128 v[86:89], off, off offset:216
	;; [unrolled: 1-line block ×7, first 2 shown]
	scratch_load_b64 v[138:139], off, off offset:312
	scratch_load_b64 v[140:141], off, off offset:192
	v_mov_b32_e32 v5, 0
	ds_load_2addr_b64 v[110:113], v5 offset0:71 offset1:72
	ds_load_2addr_b64 v[114:117], v5 offset0:73 offset1:74
	;; [unrolled: 1-line block ×7, first 2 shown]
	ds_load_b64 v[142:143], v5 offset:632
	s_mov_b32 s0, exec_lo
	s_wait_dscnt 0x7
	v_dual_mov_b32 v144, v113 :: v_dual_mov_b32 v145, v112
	s_wait_dscnt 0x4
	v_dual_mov_b32 v146, v117 :: v_dual_mov_b32 v151, v124
	v_dual_mov_b32 v147, v116 :: v_dual_mov_b32 v148, v121
	;; [unrolled: 1-line block ×3, first 2 shown]
	s_wait_loadcnt_dscnt 0x803
	v_dual_mul_f32 v9, v126, v83 :: v_dual_mul_f32 v19, v127, v83
	v_dual_mul_f32 v21, v129, v85 :: v_dual_mul_f32 v11, v128, v85
	s_wait_loadcnt_dscnt 0x702
	v_mul_f32_e32 v13, v130, v87
	s_wait_loadcnt 0x5
	v_dual_mul_f32 v31, v111, v95 :: v_dual_fma_f32 v19, v126, v82, -v19
	v_dual_fmac_f32 v9, v127, v82 :: v_dual_mov_b32 v82, v97
	v_dual_mul_f32 v23, v131, v87 :: v_dual_mul_f32 v25, v133, v89
	v_dual_fmac_f32 v11, v129, v84 :: v_dual_fma_f32 v21, v128, v84, -v21
	s_delay_alu instid0(VALU_DEP_3) | instskip(SKIP_3) | instid1(VALU_DEP_3)
	v_dual_add_f32 v9, 0, v9 :: v_dual_add_f32 v19, 0, v19
	s_wait_dscnt 0x1
	v_dual_mul_f32 v15, v132, v89 :: v_dual_mul_f32 v17, v134, v91
	v_dual_fmac_f32 v13, v131, v86 :: v_dual_fma_f32 v23, v130, v86, -v23
	v_dual_add_f32 v9, v9, v11 :: v_dual_add_f32 v11, v19, v21
	v_dual_mul_f32 v27, v135, v91 :: v_dual_mul_f32 v29, v137, v93
	s_wait_loadcnt 0x4
	v_dual_mov_b32 v86, v101 :: v_dual_fma_f32 v19, v132, v88, -v25
	s_delay_alu instid0(VALU_DEP_3) | instskip(SKIP_2) | instid1(VALU_DEP_2)
	v_dual_fmac_f32 v15, v133, v88 :: v_dual_add_f32 v11, v11, v23
	v_dual_add_f32 v9, v9, v13 :: v_dual_fmac_f32 v17, v135, v90
	v_dual_mul_f32 v153, v136, v93 :: v_dual_mul_f32 v155, v110, v95
	v_dual_fma_f32 v13, v134, v90, -v27 :: v_dual_add_f32 v9, v9, v15
	s_delay_alu instid0(VALU_DEP_2) | instskip(SKIP_1) | instid1(VALU_DEP_3)
	v_dual_add_f32 v11, v11, v19 :: v_dual_fmac_f32 v153, v137, v92
	v_pk_mul_f32 v[84:85], v[114:115], v[98:99] op_sel:[1,1] op_sel_hi:[0,1]
	v_dual_fma_f32 v152, v136, v92, -v29 :: v_dual_add_f32 v91, v9, v17
	v_pk_mul_f32 v[82:83], v[144:145], v[82:83] op_sel_hi:[1,0]
	s_wait_loadcnt 0x3
	v_dual_add_f32 v90, v11, v13 :: v_dual_mov_b32 v92, v105
	v_fmac_f32_e32 v155, v111, v94
	v_fma_f32 v154, v110, v94, -v31
	v_pk_fma_f32 v[94:95], v[112:113], v[96:97], v[82:83] op_sel_hi:[1,0,1]
	s_delay_alu instid0(VALU_DEP_4) | instskip(SKIP_4) | instid1(VALU_DEP_4)
	v_pk_add_f32 v[90:91], v[90:91], v[152:153]
	v_pk_fma_f32 v[110:111], v[114:115], v[98:99], v[84:85] op_sel_hi:[1,0,1]
	v_pk_fma_f32 v[82:83], v[112:113], v[96:97], v[82:83] neg_lo:[0,0,1] neg_hi:[0,0,1]
	v_pk_fma_f32 v[84:85], v[114:115], v[98:99], v[84:85] neg_lo:[0,0,1] neg_hi:[0,0,1]
	v_pk_mul_f32 v[86:87], v[146:147], v[86:87] op_sel_hi:[1,0]
	v_dual_mov_b32 v83, v95 :: v_dual_mov_b32 v85, v111
	v_pk_add_f32 v[90:91], v[90:91], v[154:155]
	v_pk_mul_f32 v[88:89], v[118:119], v[102:103] op_sel:[1,1] op_sel_hi:[0,1]
	s_delay_alu instid0(VALU_DEP_4)
	v_pk_fma_f32 v[96:97], v[116:117], v[100:101], v[86:87] op_sel_hi:[1,0,1]
	v_pk_fma_f32 v[86:87], v[116:117], v[100:101], v[86:87] neg_lo:[0,0,1] neg_hi:[0,0,1]
	v_pk_mul_f32 v[92:93], v[148:149], v[92:93] op_sel_hi:[1,0]
	v_pk_add_f32 v[82:83], v[90:91], v[82:83]
	v_pk_fma_f32 v[90:91], v[118:119], v[102:103], v[88:89] op_sel_hi:[1,0,1]
	v_mov_b32_e32 v87, v97
	v_pk_fma_f32 v[88:89], v[118:119], v[102:103], v[88:89] neg_lo:[0,0,1] neg_hi:[0,0,1]
	s_wait_loadcnt 0x2
	v_pk_mul_f32 v[94:95], v[122:123], v[106:107] op_sel:[1,1] op_sel_hi:[0,1]
	v_pk_add_f32 v[82:83], v[82:83], v[84:85]
	v_dual_mov_b32 v84, v109 :: v_dual_mov_b32 v89, v91
	v_pk_fma_f32 v[90:91], v[120:121], v[104:105], v[92:93] op_sel_hi:[1,0,1]
	v_pk_fma_f32 v[92:93], v[120:121], v[104:105], v[92:93] neg_lo:[0,0,1] neg_hi:[0,0,1]
	s_delay_alu instid0(VALU_DEP_4)
	v_pk_add_f32 v[82:83], v[82:83], v[86:87]
	v_pk_fma_f32 v[86:87], v[122:123], v[106:107], v[94:95] op_sel_hi:[1,0,1]
	v_pk_mul_f32 v[84:85], v[150:151], v[84:85] op_sel_hi:[1,0]
	v_mov_b32_e32 v93, v91
	s_wait_loadcnt_dscnt 0x100
	v_pk_mul_f32 v[90:91], v[142:143], v[138:139] op_sel:[1,1] op_sel_hi:[0,1]
	v_pk_add_f32 v[82:83], v[82:83], v[88:89]
	v_pk_fma_f32 v[88:89], v[122:123], v[106:107], v[94:95] neg_lo:[0,0,1] neg_hi:[0,0,1]
	v_mov_b32_e32 v89, v87
	v_pk_fma_f32 v[86:87], v[124:125], v[108:109], v[84:85] op_sel_hi:[1,0,1]
	v_pk_fma_f32 v[84:85], v[124:125], v[108:109], v[84:85] neg_lo:[0,0,1] neg_hi:[0,0,1]
	v_pk_add_f32 v[82:83], v[82:83], v[92:93]
	s_delay_alu instid0(VALU_DEP_3) | instskip(SKIP_1) | instid1(VALU_DEP_3)
	v_mov_b32_e32 v85, v87
	v_pk_fma_f32 v[86:87], v[142:143], v[138:139], v[90:91] op_sel_hi:[1,0,1]
	v_pk_add_f32 v[82:83], v[82:83], v[88:89]
	v_pk_fma_f32 v[88:89], v[142:143], v[138:139], v[90:91] neg_lo:[0,0,1] neg_hi:[0,0,1]
	s_delay_alu instid0(VALU_DEP_3) | instskip(NEXT) | instid1(VALU_DEP_3)
	v_mov_b32_e32 v89, v87
	v_pk_add_f32 v[82:83], v[82:83], v[84:85]
	s_delay_alu instid0(VALU_DEP_1) | instskip(SKIP_1) | instid1(VALU_DEP_1)
	v_pk_add_f32 v[82:83], v[82:83], v[88:89]
	s_wait_loadcnt 0x0
	v_pk_add_f32 v[82:83], v[140:141], v[82:83] neg_lo:[0,1] neg_hi:[0,1]
	scratch_store_b64 off, v[82:83], off offset:192
	s_wait_xcnt 0x0
	v_cmpx_lt_u32_e32 23, v0
	s_cbranch_execz .LBB39_207
; %bb.206:
	scratch_load_b64 v[82:83], off, off offset:184
	v_mov_b64_e32 v[84:85], 0
	scratch_store_b64 off, v[84:85], off offset:184
	s_wait_loadcnt 0x0
	ds_store_b64 v1, v[82:83]
.LBB39_207:
	s_wait_xcnt 0x0
	s_or_b32 exec_lo, exec_lo, s0
	s_wait_storecnt_dscnt 0x0
	s_barrier_signal -1
	s_barrier_wait -1
	s_clause 0x8
	scratch_load_b128 v[82:85], off, off offset:192
	scratch_load_b128 v[86:89], off, off offset:208
	;; [unrolled: 1-line block ×8, first 2 shown]
	scratch_load_b64 v[146:147], off, off offset:184
	ds_load_b128 v[114:117], v5 offset:576
	ds_load_b128 v[118:121], v5 offset:592
	;; [unrolled: 1-line block ×8, first 2 shown]
	s_mov_b32 s0, exec_lo
	s_wait_dscnt 0x7
	v_dual_mov_b32 v148, v117 :: v_dual_mov_b32 v149, v116
	s_wait_dscnt 0x6
	v_dual_mov_b32 v150, v121 :: v_dual_mov_b32 v151, v120
	;; [unrolled: 2-line block ×4, first 2 shown]
	s_wait_loadcnt_dscnt 0x803
	v_dual_mul_f32 v5, v130, v83 :: v_dual_mul_f32 v9, v132, v85
	v_dual_mul_f32 v19, v131, v83 :: v_dual_mul_f32 v21, v133, v85
	s_wait_loadcnt_dscnt 0x702
	v_dual_mul_f32 v11, v134, v87 :: v_dual_mul_f32 v13, v136, v89
	s_delay_alu instid0(VALU_DEP_2) | instskip(SKIP_3) | instid1(VALU_DEP_3)
	v_dual_fmac_f32 v5, v131, v82 :: v_dual_fma_f32 v19, v130, v82, -v19
	v_dual_mul_f32 v23, v135, v87 :: v_dual_mul_f32 v25, v137, v89
	s_wait_loadcnt_dscnt 0x500
	v_dual_mul_f32 v31, v143, v95 :: v_dual_fmac_f32 v9, v133, v84
	v_dual_fma_f32 v21, v132, v84, -v21 :: v_dual_add_f32 v5, 0, v5
	v_dual_add_f32 v19, 0, v19 :: v_dual_mul_f32 v33, v145, v97
	v_fmac_f32_e32 v11, v135, v86
	s_delay_alu instid0(VALU_DEP_3) | instskip(NEXT) | instid1(VALU_DEP_3)
	v_dual_fma_f32 v23, v134, v86, -v23 :: v_dual_add_f32 v5, v5, v9
	v_dual_add_f32 v9, v19, v21 :: v_dual_mul_f32 v15, v138, v91
	v_dual_mul_f32 v17, v140, v93 :: v_dual_mul_f32 v27, v139, v91
	v_mul_f32_e32 v29, v141, v93
	s_delay_alu instid0(VALU_DEP_3) | instskip(SKIP_1) | instid1(VALU_DEP_4)
	v_dual_fmac_f32 v13, v137, v88 :: v_dual_fmac_f32 v15, v139, v90
	v_dual_fma_f32 v19, v136, v88, -v25 :: v_dual_add_f32 v5, v5, v11
	v_dual_add_f32 v9, v9, v23 :: v_dual_fma_f32 v11, v138, v90, -v27
	v_dual_mul_f32 v157, v142, v95 :: v_dual_mul_f32 v159, v144, v97
	s_delay_alu instid0(VALU_DEP_3) | instskip(NEXT) | instid1(VALU_DEP_3)
	v_add_f32_e32 v5, v5, v13
	v_dual_add_f32 v9, v9, v19 :: v_dual_fma_f32 v156, v142, v94, -v31
	s_wait_loadcnt 0x4
	v_dual_mov_b32 v84, v101 :: v_dual_fma_f32 v13, v140, v92, -v29
	v_fmac_f32_e32 v17, v141, v92
	s_delay_alu instid0(VALU_DEP_3) | instskip(SKIP_2) | instid1(VALU_DEP_3)
	v_dual_add_f32 v9, v9, v11 :: v_dual_fmac_f32 v157, v143, v94
	v_dual_add_f32 v5, v5, v15 :: v_dual_fma_f32 v158, v144, v96, -v33
	v_pk_mul_f32 v[82:83], v[114:115], v[98:99] op_sel:[1,1] op_sel_hi:[0,1]
	v_add_f32_e32 v90, v9, v13
	v_fmac_f32_e32 v159, v145, v96
	s_delay_alu instid0(VALU_DEP_4)
	v_add_f32_e32 v91, v5, v17
	v_pk_mul_f32 v[84:85], v[148:149], v[84:85] op_sel_hi:[1,0]
	v_pk_fma_f32 v[92:93], v[114:115], v[98:99], v[82:83] op_sel_hi:[1,0,1]
	v_pk_fma_f32 v[82:83], v[114:115], v[98:99], v[82:83] neg_lo:[0,0,1] neg_hi:[0,0,1]
	s_wait_loadcnt 0x3
	v_pk_mul_f32 v[86:87], v[118:119], v[102:103] op_sel:[1,1] op_sel_hi:[0,1]
	v_pk_add_f32 v[90:91], v[90:91], v[156:157]
	v_dual_mov_b32 v88, v105 :: v_dual_mov_b32 v83, v93
	v_pk_fma_f32 v[92:93], v[116:117], v[100:101], v[84:85] op_sel_hi:[1,0,1]
	v_pk_fma_f32 v[84:85], v[116:117], v[100:101], v[84:85] neg_lo:[0,0,1] neg_hi:[0,0,1]
	s_delay_alu instid0(VALU_DEP_4)
	v_pk_add_f32 v[90:91], v[90:91], v[158:159]
	v_pk_fma_f32 v[96:97], v[118:119], v[102:103], v[86:87] op_sel_hi:[1,0,1]
	v_pk_mul_f32 v[88:89], v[150:151], v[88:89] op_sel_hi:[1,0]
	v_mov_b32_e32 v85, v93
	s_wait_loadcnt 0x2
	v_pk_mul_f32 v[94:95], v[122:123], v[106:107] op_sel:[1,1] op_sel_hi:[0,1]
	v_pk_add_f32 v[82:83], v[90:91], v[82:83]
	v_mov_b32_e32 v90, v109
	v_pk_fma_f32 v[86:87], v[118:119], v[102:103], v[86:87] neg_lo:[0,0,1] neg_hi:[0,0,1]
	v_pk_fma_f32 v[92:93], v[120:121], v[104:105], v[88:89] op_sel_hi:[1,0,1]
	v_mov_b32_e32 v87, v97
	v_pk_add_f32 v[82:83], v[82:83], v[84:85]
	v_pk_fma_f32 v[84:85], v[122:123], v[106:107], v[94:95] op_sel_hi:[1,0,1]
	v_pk_mul_f32 v[90:91], v[152:153], v[90:91] op_sel_hi:[1,0]
	v_pk_fma_f32 v[88:89], v[120:121], v[104:105], v[88:89] neg_lo:[0,0,1] neg_hi:[0,0,1]
	v_mov_b32_e32 v89, v93
	v_pk_add_f32 v[82:83], v[82:83], v[86:87]
	v_pk_fma_f32 v[92:93], v[122:123], v[106:107], v[94:95] neg_lo:[0,0,1] neg_hi:[0,0,1]
	v_mov_b32_e32 v93, v85
	v_pk_fma_f32 v[84:85], v[124:125], v[108:109], v[90:91] op_sel_hi:[1,0,1]
	s_wait_loadcnt 0x1
	v_pk_mul_f32 v[86:87], v[126:127], v[110:111] op_sel:[1,1] op_sel_hi:[0,1]
	v_pk_add_f32 v[82:83], v[82:83], v[88:89]
	v_mov_b32_e32 v84, v113
	v_pk_fma_f32 v[90:91], v[124:125], v[108:109], v[90:91] neg_lo:[0,0,1] neg_hi:[0,0,1]
	s_delay_alu instid0(VALU_DEP_4)
	v_pk_fma_f32 v[88:89], v[126:127], v[110:111], v[86:87] op_sel_hi:[1,0,1]
	v_mov_b32_e32 v91, v85
	v_pk_add_f32 v[82:83], v[82:83], v[92:93]
	v_pk_mul_f32 v[84:85], v[154:155], v[84:85] op_sel_hi:[1,0]
	v_pk_fma_f32 v[86:87], v[126:127], v[110:111], v[86:87] neg_lo:[0,0,1] neg_hi:[0,0,1]
	v_mov_b32_e32 v87, v89
	s_delay_alu instid0(VALU_DEP_4) | instskip(NEXT) | instid1(VALU_DEP_4)
	v_pk_add_f32 v[82:83], v[82:83], v[90:91]
	v_pk_fma_f32 v[88:89], v[128:129], v[112:113], v[84:85] op_sel_hi:[1,0,1]
	v_pk_fma_f32 v[84:85], v[128:129], v[112:113], v[84:85] neg_lo:[0,0,1] neg_hi:[0,0,1]
	s_delay_alu instid0(VALU_DEP_3) | instskip(NEXT) | instid1(VALU_DEP_3)
	v_pk_add_f32 v[82:83], v[82:83], v[86:87]
	v_mov_b32_e32 v85, v89
	s_delay_alu instid0(VALU_DEP_1) | instskip(SKIP_1) | instid1(VALU_DEP_1)
	v_pk_add_f32 v[82:83], v[82:83], v[84:85]
	s_wait_loadcnt 0x0
	v_pk_add_f32 v[82:83], v[146:147], v[82:83] neg_lo:[0,1] neg_hi:[0,1]
	scratch_store_b64 off, v[82:83], off offset:184
	s_wait_xcnt 0x0
	v_cmpx_lt_u32_e32 22, v0
	s_cbranch_execz .LBB39_209
; %bb.208:
	scratch_load_b64 v[82:83], off, off offset:176
	v_mov_b64_e32 v[84:85], 0
	scratch_store_b64 off, v[84:85], off offset:176
	s_wait_loadcnt 0x0
	ds_store_b64 v1, v[82:83]
.LBB39_209:
	s_wait_xcnt 0x0
	s_or_b32 exec_lo, exec_lo, s0
	s_wait_storecnt_dscnt 0x0
	s_barrier_signal -1
	s_barrier_wait -1
	s_clause 0x9
	scratch_load_b128 v[82:85], off, off offset:184
	scratch_load_b128 v[86:89], off, off offset:200
	;; [unrolled: 1-line block ×8, first 2 shown]
	scratch_load_b64 v[146:147], off, off offset:312
	scratch_load_b64 v[148:149], off, off offset:176
	v_mov_b32_e32 v5, 0
	ds_load_2addr_b64 v[114:117], v5 offset0:71 offset1:72
	ds_load_2addr_b64 v[118:121], v5 offset0:73 offset1:74
	;; [unrolled: 1-line block ×8, first 2 shown]
	ds_load_b64 v[150:151], v5 offset:632
	s_mov_b32 s0, exec_lo
	s_wait_dscnt 0x8
	v_dual_mov_b32 v152, v117 :: v_dual_mov_b32 v153, v116
	s_wait_dscnt 0x5
	v_dual_mov_b32 v154, v121 :: v_dual_mov_b32 v159, v128
	v_dual_mov_b32 v155, v120 :: v_dual_mov_b32 v156, v125
	;; [unrolled: 1-line block ×3, first 2 shown]
	s_wait_loadcnt_dscnt 0x904
	v_dual_mul_f32 v9, v130, v83 :: v_dual_mul_f32 v23, v131, v83
	v_dual_mul_f32 v25, v133, v85 :: v_dual_mul_f32 v11, v132, v85
	s_wait_loadcnt_dscnt 0x803
	v_mul_f32_e32 v13, v134, v87
	s_wait_loadcnt_dscnt 0x601
	v_dual_mul_f32 v35, v143, v95 :: v_dual_fma_f32 v23, v130, v82, -v23
	v_dual_fmac_f32 v9, v131, v82 :: v_dual_mul_f32 v37, v145, v97
	v_dual_mul_f32 v27, v135, v87 :: v_dual_mul_f32 v29, v137, v89
	v_dual_fmac_f32 v11, v133, v84 :: v_dual_fma_f32 v25, v132, v84, -v25
	s_delay_alu instid0(VALU_DEP_3) | instskip(SKIP_3) | instid1(VALU_DEP_3)
	v_dual_add_f32 v9, 0, v9 :: v_dual_add_f32 v23, 0, v23
	v_dual_mul_f32 v15, v136, v89 :: v_dual_mul_f32 v17, v138, v91
	s_wait_loadcnt 0x5
	v_dual_mul_f32 v39, v115, v99 :: v_dual_fma_f32 v27, v134, v86, -v27
	v_dual_fmac_f32 v13, v135, v86 :: v_dual_add_f32 v9, v9, v11
	v_dual_add_f32 v11, v23, v25 :: v_dual_mov_b32 v82, v101
	v_dual_mul_f32 v31, v139, v91 :: v_dual_mul_f32 v33, v141, v93
	v_dual_fmac_f32 v15, v137, v88 :: v_dual_fma_f32 v23, v136, v88, -v29
	s_delay_alu instid0(VALU_DEP_3) | instskip(SKIP_1) | instid1(VALU_DEP_4)
	v_dual_add_f32 v9, v9, v13 :: v_dual_add_f32 v11, v11, v27
	v_dual_mul_f32 v19, v140, v93 :: v_dual_mul_f32 v21, v142, v95
	v_dual_fmac_f32 v17, v139, v90 :: v_dual_fma_f32 v13, v138, v90, -v31
	s_delay_alu instid0(VALU_DEP_3) | instskip(SKIP_3) | instid1(VALU_DEP_3)
	v_dual_add_f32 v9, v9, v15 :: v_dual_fma_f32 v15, v140, v92, -v33
	s_wait_loadcnt 0x4
	v_dual_add_f32 v11, v11, v23 :: v_dual_mov_b32 v86, v105
	v_fmac_f32_e32 v19, v141, v92
	v_dual_add_f32 v9, v9, v17 :: v_dual_fmac_f32 v21, v143, v94
	s_delay_alu instid0(VALU_DEP_3) | instskip(SKIP_1) | instid1(VALU_DEP_3)
	v_add_f32_e32 v11, v11, v13
	v_dual_mul_f32 v161, v144, v97 :: v_dual_mul_f32 v163, v114, v99
	v_dual_fma_f32 v13, v142, v94, -v35 :: v_dual_add_f32 v9, v9, v19
	s_delay_alu instid0(VALU_DEP_2) | instskip(SKIP_1) | instid1(VALU_DEP_3)
	v_dual_add_f32 v11, v11, v15 :: v_dual_fmac_f32 v161, v145, v96
	v_pk_mul_f32 v[84:85], v[118:119], v[102:103] op_sel:[1,1] op_sel_hi:[0,1]
	v_dual_fma_f32 v160, v144, v96, -v37 :: v_dual_add_f32 v91, v9, v21
	v_pk_mul_f32 v[82:83], v[152:153], v[82:83] op_sel_hi:[1,0]
	s_wait_loadcnt 0x3
	v_dual_add_f32 v90, v11, v13 :: v_dual_mov_b32 v92, v109
	v_pk_fma_f32 v[96:97], v[118:119], v[102:103], v[84:85] op_sel_hi:[1,0,1]
	v_fmac_f32_e32 v163, v115, v98
	v_pk_fma_f32 v[94:95], v[116:117], v[100:101], v[82:83] op_sel_hi:[1,0,1]
	v_fma_f32 v162, v114, v98, -v39
	v_pk_add_f32 v[90:91], v[90:91], v[160:161]
	v_pk_fma_f32 v[82:83], v[116:117], v[100:101], v[82:83] neg_lo:[0,0,1] neg_hi:[0,0,1]
	v_pk_fma_f32 v[84:85], v[118:119], v[102:103], v[84:85] neg_lo:[0,0,1] neg_hi:[0,0,1]
	v_pk_mul_f32 v[86:87], v[154:155], v[86:87] op_sel_hi:[1,0]
	v_dual_mov_b32 v83, v95 :: v_dual_mov_b32 v85, v97
	v_pk_add_f32 v[90:91], v[90:91], v[162:163]
	v_pk_mul_f32 v[88:89], v[122:123], v[106:107] op_sel:[1,1] op_sel_hi:[0,1]
	s_delay_alu instid0(VALU_DEP_4)
	v_pk_fma_f32 v[96:97], v[120:121], v[104:105], v[86:87] op_sel_hi:[1,0,1]
	v_pk_fma_f32 v[86:87], v[120:121], v[104:105], v[86:87] neg_lo:[0,0,1] neg_hi:[0,0,1]
	v_pk_mul_f32 v[92:93], v[156:157], v[92:93] op_sel_hi:[1,0]
	v_pk_add_f32 v[82:83], v[90:91], v[82:83]
	v_pk_fma_f32 v[90:91], v[122:123], v[106:107], v[88:89] op_sel_hi:[1,0,1]
	v_mov_b32_e32 v87, v97
	v_pk_fma_f32 v[88:89], v[122:123], v[106:107], v[88:89] neg_lo:[0,0,1] neg_hi:[0,0,1]
	s_wait_loadcnt 0x2
	v_pk_mul_f32 v[94:95], v[126:127], v[110:111] op_sel:[1,1] op_sel_hi:[0,1]
	v_pk_add_f32 v[82:83], v[82:83], v[84:85]
	v_dual_mov_b32 v84, v113 :: v_dual_mov_b32 v89, v91
	v_pk_fma_f32 v[90:91], v[124:125], v[108:109], v[92:93] op_sel_hi:[1,0,1]
	v_pk_fma_f32 v[92:93], v[124:125], v[108:109], v[92:93] neg_lo:[0,0,1] neg_hi:[0,0,1]
	s_delay_alu instid0(VALU_DEP_4)
	v_pk_add_f32 v[82:83], v[82:83], v[86:87]
	v_pk_fma_f32 v[86:87], v[126:127], v[110:111], v[94:95] op_sel_hi:[1,0,1]
	v_pk_mul_f32 v[84:85], v[158:159], v[84:85] op_sel_hi:[1,0]
	v_mov_b32_e32 v93, v91
	s_wait_loadcnt_dscnt 0x100
	v_pk_mul_f32 v[90:91], v[150:151], v[146:147] op_sel:[1,1] op_sel_hi:[0,1]
	v_pk_add_f32 v[82:83], v[82:83], v[88:89]
	v_pk_fma_f32 v[88:89], v[126:127], v[110:111], v[94:95] neg_lo:[0,0,1] neg_hi:[0,0,1]
	v_mov_b32_e32 v89, v87
	v_pk_fma_f32 v[86:87], v[128:129], v[112:113], v[84:85] op_sel_hi:[1,0,1]
	v_pk_fma_f32 v[84:85], v[128:129], v[112:113], v[84:85] neg_lo:[0,0,1] neg_hi:[0,0,1]
	v_pk_add_f32 v[82:83], v[82:83], v[92:93]
	s_delay_alu instid0(VALU_DEP_3) | instskip(SKIP_1) | instid1(VALU_DEP_3)
	v_mov_b32_e32 v85, v87
	v_pk_fma_f32 v[86:87], v[150:151], v[146:147], v[90:91] op_sel_hi:[1,0,1]
	v_pk_add_f32 v[82:83], v[82:83], v[88:89]
	v_pk_fma_f32 v[88:89], v[150:151], v[146:147], v[90:91] neg_lo:[0,0,1] neg_hi:[0,0,1]
	s_delay_alu instid0(VALU_DEP_3) | instskip(NEXT) | instid1(VALU_DEP_3)
	v_mov_b32_e32 v89, v87
	v_pk_add_f32 v[82:83], v[82:83], v[84:85]
	s_delay_alu instid0(VALU_DEP_1) | instskip(SKIP_1) | instid1(VALU_DEP_1)
	v_pk_add_f32 v[82:83], v[82:83], v[88:89]
	s_wait_loadcnt 0x0
	v_pk_add_f32 v[82:83], v[148:149], v[82:83] neg_lo:[0,1] neg_hi:[0,1]
	scratch_store_b64 off, v[82:83], off offset:176
	s_wait_xcnt 0x0
	v_cmpx_lt_u32_e32 21, v0
	s_cbranch_execz .LBB39_211
; %bb.210:
	scratch_load_b64 v[82:83], off, off offset:168
	v_mov_b64_e32 v[84:85], 0
	scratch_store_b64 off, v[84:85], off offset:168
	s_wait_loadcnt 0x0
	ds_store_b64 v1, v[82:83]
.LBB39_211:
	s_wait_xcnt 0x0
	s_or_b32 exec_lo, exec_lo, s0
	s_wait_storecnt_dscnt 0x0
	s_barrier_signal -1
	s_barrier_wait -1
	s_clause 0x9
	scratch_load_b128 v[82:85], off, off offset:176
	scratch_load_b128 v[86:89], off, off offset:192
	;; [unrolled: 1-line block ×9, first 2 shown]
	scratch_load_b64 v[154:155], off, off offset:168
	ds_load_b128 v[118:121], v5 offset:576
	ds_load_b128 v[122:125], v5 offset:592
	;; [unrolled: 1-line block ×9, first 2 shown]
	s_mov_b32 s0, exec_lo
	s_wait_dscnt 0x8
	v_dual_mov_b32 v156, v121 :: v_dual_mov_b32 v157, v120
	s_wait_dscnt 0x7
	v_dual_mov_b32 v158, v125 :: v_dual_mov_b32 v159, v124
	;; [unrolled: 2-line block ×4, first 2 shown]
	s_wait_loadcnt_dscnt 0x904
	v_dual_mul_f32 v5, v134, v83 :: v_dual_mul_f32 v9, v136, v85
	v_dual_mul_f32 v23, v135, v83 :: v_dual_mul_f32 v25, v137, v85
	s_wait_loadcnt_dscnt 0x803
	v_dual_mul_f32 v11, v138, v87 :: v_dual_mul_f32 v13, v140, v89
	s_delay_alu instid0(VALU_DEP_2) | instskip(SKIP_3) | instid1(VALU_DEP_3)
	v_dual_fmac_f32 v5, v135, v82 :: v_dual_fma_f32 v23, v134, v82, -v23
	v_dual_mul_f32 v27, v139, v87 :: v_dual_mul_f32 v29, v141, v89
	s_wait_loadcnt_dscnt 0x601
	v_dual_mul_f32 v35, v147, v95 :: v_dual_fmac_f32 v9, v137, v84
	v_dual_fma_f32 v25, v136, v84, -v25 :: v_dual_add_f32 v5, 0, v5
	v_dual_add_f32 v23, 0, v23 :: v_dual_mul_f32 v37, v149, v97
	v_fmac_f32_e32 v11, v139, v86
	s_delay_alu instid0(VALU_DEP_3) | instskip(NEXT) | instid1(VALU_DEP_3)
	v_dual_fma_f32 v27, v138, v86, -v27 :: v_dual_add_f32 v5, v5, v9
	v_dual_add_f32 v9, v23, v25 :: v_dual_mul_f32 v15, v142, v91
	v_dual_mul_f32 v17, v144, v93 :: v_dual_mul_f32 v31, v143, v91
	s_wait_loadcnt_dscnt 0x500
	v_dual_mul_f32 v33, v145, v93 :: v_dual_mul_f32 v23, v151, v99
	v_fmac_f32_e32 v13, v141, v88
	v_dual_fma_f32 v25, v140, v88, -v29 :: v_dual_add_f32 v5, v5, v11
	v_dual_add_f32 v9, v9, v27 :: v_dual_fmac_f32 v15, v143, v90
	v_dual_mul_f32 v19, v146, v95 :: v_dual_mul_f32 v21, v148, v97
	v_dual_mul_f32 v11, v153, v101 :: v_dual_fma_f32 v27, v142, v90, -v31
	s_delay_alu instid0(VALU_DEP_4) | instskip(NEXT) | instid1(VALU_DEP_3)
	v_dual_add_f32 v5, v5, v13 :: v_dual_fma_f32 v13, v144, v92, -v33
	v_dual_add_f32 v9, v9, v25 :: v_dual_fmac_f32 v19, v147, v94
	v_dual_mul_f32 v165, v150, v99 :: v_dual_mul_f32 v167, v152, v101
	v_fmac_f32_e32 v17, v145, v92
	s_delay_alu instid0(VALU_DEP_4) | instskip(NEXT) | instid1(VALU_DEP_3)
	v_add_f32_e32 v5, v5, v15
	v_dual_add_f32 v9, v9, v27 :: v_dual_fmac_f32 v165, v151, v98
	v_dual_fma_f32 v15, v146, v94, -v35 :: v_dual_fmac_f32 v21, v149, v96
	s_delay_alu instid0(VALU_DEP_2)
	v_dual_fma_f32 v164, v150, v98, -v23 :: v_dual_add_f32 v9, v9, v13
	v_fma_f32 v166, v152, v100, -v11
	v_dual_fma_f32 v13, v148, v96, -v37 :: v_dual_add_f32 v5, v5, v17
	s_wait_loadcnt 0x4
	v_pk_mul_f32 v[82:83], v[118:119], v[102:103] op_sel:[1,1] op_sel_hi:[0,1]
	v_add_f32_e32 v9, v9, v15
	s_wait_loadcnt 0x3
	v_dual_mov_b32 v84, v105 :: v_dual_mov_b32 v88, v109
	v_add_f32_e32 v5, v5, v19
	v_fmac_f32_e32 v167, v153, v100
	v_add_f32_e32 v90, v9, v13
	v_pk_fma_f32 v[92:93], v[118:119], v[102:103], v[82:83] op_sel_hi:[1,0,1]
	v_pk_mul_f32 v[84:85], v[156:157], v[84:85] op_sel_hi:[1,0]
	v_add_f32_e32 v91, v5, v21
	v_pk_fma_f32 v[82:83], v[118:119], v[102:103], v[82:83] neg_lo:[0,0,1] neg_hi:[0,0,1]
	v_pk_mul_f32 v[86:87], v[122:123], v[106:107] op_sel:[1,1] op_sel_hi:[0,1]
	v_mov_b32_e32 v83, v93
	v_pk_fma_f32 v[92:93], v[120:121], v[104:105], v[84:85] op_sel_hi:[1,0,1]
	v_pk_add_f32 v[90:91], v[90:91], v[164:165]
	v_pk_fma_f32 v[84:85], v[120:121], v[104:105], v[84:85] neg_lo:[0,0,1] neg_hi:[0,0,1]
	v_pk_fma_f32 v[96:97], v[122:123], v[106:107], v[86:87] op_sel_hi:[1,0,1]
	v_pk_mul_f32 v[88:89], v[158:159], v[88:89] op_sel_hi:[1,0]
	v_mov_b32_e32 v85, v93
	v_pk_add_f32 v[90:91], v[90:91], v[166:167]
	s_wait_loadcnt 0x2
	v_pk_mul_f32 v[94:95], v[126:127], v[110:111] op_sel:[1,1] op_sel_hi:[0,1]
	v_pk_fma_f32 v[86:87], v[122:123], v[106:107], v[86:87] neg_lo:[0,0,1] neg_hi:[0,0,1]
	v_mov_b32_e32 v87, v97
	v_pk_fma_f32 v[92:93], v[124:125], v[108:109], v[88:89] op_sel_hi:[1,0,1]
	v_pk_add_f32 v[82:83], v[90:91], v[82:83]
	v_mov_b32_e32 v90, v113
	v_pk_fma_f32 v[88:89], v[124:125], v[108:109], v[88:89] neg_lo:[0,0,1] neg_hi:[0,0,1]
	s_delay_alu instid0(VALU_DEP_3) | instskip(SKIP_1) | instid1(VALU_DEP_4)
	v_pk_add_f32 v[82:83], v[82:83], v[84:85]
	v_pk_fma_f32 v[84:85], v[126:127], v[110:111], v[94:95] op_sel_hi:[1,0,1]
	v_pk_mul_f32 v[90:91], v[160:161], v[90:91] op_sel_hi:[1,0]
	v_mov_b32_e32 v89, v93
	v_pk_fma_f32 v[92:93], v[126:127], v[110:111], v[94:95] neg_lo:[0,0,1] neg_hi:[0,0,1]
	v_pk_add_f32 v[82:83], v[82:83], v[86:87]
	v_mov_b32_e32 v93, v85
	v_pk_fma_f32 v[84:85], v[128:129], v[112:113], v[90:91] op_sel_hi:[1,0,1]
	s_wait_loadcnt 0x1
	v_pk_mul_f32 v[86:87], v[130:131], v[114:115] op_sel:[1,1] op_sel_hi:[0,1]
	v_mov_b32_e32 v84, v117
	v_pk_add_f32 v[82:83], v[82:83], v[88:89]
	v_pk_fma_f32 v[90:91], v[128:129], v[112:113], v[90:91] neg_lo:[0,0,1] neg_hi:[0,0,1]
	v_mov_b32_e32 v91, v85
	v_pk_fma_f32 v[88:89], v[130:131], v[114:115], v[86:87] op_sel_hi:[1,0,1]
	v_pk_mul_f32 v[84:85], v[162:163], v[84:85] op_sel_hi:[1,0]
	v_pk_add_f32 v[82:83], v[82:83], v[92:93]
	v_pk_fma_f32 v[86:87], v[130:131], v[114:115], v[86:87] neg_lo:[0,0,1] neg_hi:[0,0,1]
	s_delay_alu instid0(VALU_DEP_4) | instskip(NEXT) | instid1(VALU_DEP_4)
	v_mov_b32_e32 v87, v89
	v_pk_fma_f32 v[88:89], v[132:133], v[116:117], v[84:85] op_sel_hi:[1,0,1]
	s_delay_alu instid0(VALU_DEP_4) | instskip(SKIP_1) | instid1(VALU_DEP_3)
	v_pk_add_f32 v[82:83], v[82:83], v[90:91]
	v_pk_fma_f32 v[84:85], v[132:133], v[116:117], v[84:85] neg_lo:[0,0,1] neg_hi:[0,0,1]
	v_mov_b32_e32 v85, v89
	s_delay_alu instid0(VALU_DEP_3) | instskip(NEXT) | instid1(VALU_DEP_1)
	v_pk_add_f32 v[82:83], v[82:83], v[86:87]
	v_pk_add_f32 v[82:83], v[82:83], v[84:85]
	s_wait_loadcnt 0x0
	s_delay_alu instid0(VALU_DEP_1)
	v_pk_add_f32 v[82:83], v[154:155], v[82:83] neg_lo:[0,1] neg_hi:[0,1]
	scratch_store_b64 off, v[82:83], off offset:168
	s_wait_xcnt 0x0
	v_cmpx_lt_u32_e32 20, v0
	s_cbranch_execz .LBB39_213
; %bb.212:
	scratch_load_b64 v[82:83], off, off offset:160
	v_mov_b64_e32 v[84:85], 0
	scratch_store_b64 off, v[84:85], off offset:160
	s_wait_loadcnt 0x0
	ds_store_b64 v1, v[82:83]
.LBB39_213:
	s_wait_xcnt 0x0
	s_or_b32 exec_lo, exec_lo, s0
	s_wait_storecnt_dscnt 0x0
	s_barrier_signal -1
	s_barrier_wait -1
	s_clause 0xa
	scratch_load_b128 v[82:85], off, off offset:168
	scratch_load_b128 v[86:89], off, off offset:184
	;; [unrolled: 1-line block ×9, first 2 shown]
	scratch_load_b64 v[154:155], off, off offset:312
	scratch_load_b64 v[156:157], off, off offset:160
	v_mov_b32_e32 v5, 0
	ds_load_2addr_b64 v[118:121], v5 offset0:71 offset1:72
	ds_load_2addr_b64 v[122:125], v5 offset0:73 offset1:74
	;; [unrolled: 1-line block ×9, first 2 shown]
	ds_load_b64 v[158:159], v5 offset:632
	s_mov_b32 s0, exec_lo
	s_wait_dscnt 0x9
	v_dual_mov_b32 v160, v121 :: v_dual_mov_b32 v161, v120
	s_wait_dscnt 0x6
	v_dual_mov_b32 v162, v125 :: v_dual_mov_b32 v167, v132
	v_dual_mov_b32 v163, v124 :: v_dual_mov_b32 v164, v129
	;; [unrolled: 1-line block ×3, first 2 shown]
	s_wait_loadcnt_dscnt 0xa05
	v_dual_mul_f32 v9, v134, v83 :: v_dual_mul_f32 v27, v135, v83
	v_dual_mul_f32 v29, v137, v85 :: v_dual_mul_f32 v11, v136, v85
	s_wait_loadcnt_dscnt 0x904
	v_mul_f32_e32 v13, v138, v87
	s_wait_loadcnt_dscnt 0x702
	v_dual_mul_f32 v39, v147, v95 :: v_dual_fma_f32 v27, v134, v82, -v27
	v_dual_fmac_f32 v9, v135, v82 :: v_dual_mul_f32 v41, v149, v97
	v_dual_mul_f32 v31, v139, v87 :: v_dual_mul_f32 v33, v141, v89
	v_dual_fmac_f32 v11, v137, v84 :: v_dual_fma_f32 v29, v136, v84, -v29
	s_delay_alu instid0(VALU_DEP_3) | instskip(SKIP_3) | instid1(VALU_DEP_3)
	v_dual_add_f32 v9, 0, v9 :: v_dual_add_f32 v27, 0, v27
	v_dual_mul_f32 v15, v140, v89 :: v_dual_mul_f32 v17, v142, v91
	s_wait_loadcnt_dscnt 0x601
	v_dual_mul_f32 v43, v151, v99 :: v_dual_fma_f32 v31, v138, v86, -v31
	v_dual_fmac_f32 v13, v139, v86 :: v_dual_add_f32 v9, v9, v11
	s_delay_alu instid0(VALU_DEP_3) | instskip(SKIP_2) | instid1(VALU_DEP_3)
	v_dual_add_f32 v11, v27, v29 :: v_dual_fmac_f32 v15, v141, v88
	v_dual_mul_f32 v35, v143, v91 :: v_dual_mul_f32 v37, v145, v93
	v_dual_mul_f32 v27, v153, v101 :: v_dual_fma_f32 v29, v140, v88, -v33
	v_dual_add_f32 v9, v9, v13 :: v_dual_add_f32 v11, v11, v31
	v_dual_mul_f32 v19, v144, v93 :: v_dual_mul_f32 v21, v146, v95
	s_wait_loadcnt 0x5
	v_dual_mul_f32 v13, v119, v103 :: v_dual_fma_f32 v31, v142, v90, -v35
	s_delay_alu instid0(VALU_DEP_3) | instskip(SKIP_2) | instid1(VALU_DEP_2)
	v_dual_fmac_f32 v17, v143, v90 :: v_dual_add_f32 v9, v9, v15
	v_dual_add_f32 v11, v11, v29 :: v_dual_mov_b32 v82, v105
	v_dual_fmac_f32 v19, v145, v92 :: v_dual_fma_f32 v15, v144, v92, -v37
	v_dual_add_f32 v9, v9, v17 :: v_dual_add_f32 v11, v11, v31
	v_dual_mul_f32 v23, v148, v97 :: v_dual_mul_f32 v25, v150, v99
	v_dual_fmac_f32 v21, v147, v94 :: v_dual_fma_f32 v17, v146, v94, -v39
	s_delay_alu instid0(VALU_DEP_3) | instskip(SKIP_3) | instid1(VALU_DEP_3)
	v_add_f32_e32 v9, v9, v19
	s_wait_loadcnt 0x4
	v_dual_add_f32 v11, v11, v15 :: v_dual_mov_b32 v86, v109
	v_dual_fmac_f32 v23, v149, v96 :: v_dual_fma_f32 v15, v148, v96, -v41
	v_dual_add_f32 v9, v9, v21 :: v_dual_fmac_f32 v25, v151, v98
	s_delay_alu instid0(VALU_DEP_3) | instskip(SKIP_1) | instid1(VALU_DEP_3)
	v_add_f32_e32 v11, v11, v17
	v_dual_mul_f32 v169, v152, v101 :: v_dual_mul_f32 v171, v118, v103
	v_dual_fma_f32 v17, v150, v98, -v43 :: v_dual_add_f32 v9, v9, v23
	s_delay_alu instid0(VALU_DEP_2) | instskip(SKIP_2) | instid1(VALU_DEP_4)
	v_dual_add_f32 v11, v11, v15 :: v_dual_fmac_f32 v169, v153, v100
	v_fma_f32 v168, v152, v100, -v27
	v_pk_mul_f32 v[82:83], v[160:161], v[82:83] op_sel_hi:[1,0]
	v_add_f32_e32 v91, v9, v25
	s_wait_loadcnt 0x3
	v_dual_add_f32 v90, v11, v17 :: v_dual_mov_b32 v92, v113
	v_pk_mul_f32 v[84:85], v[122:123], v[106:107] op_sel:[1,1] op_sel_hi:[0,1]
	v_dual_fmac_f32 v171, v119, v102 :: v_dual_fma_f32 v170, v118, v102, -v13
	v_pk_fma_f32 v[94:95], v[120:121], v[104:105], v[82:83] op_sel_hi:[1,0,1]
	s_delay_alu instid0(VALU_DEP_4)
	v_pk_add_f32 v[90:91], v[90:91], v[168:169]
	v_pk_fma_f32 v[82:83], v[120:121], v[104:105], v[82:83] neg_lo:[0,0,1] neg_hi:[0,0,1]
	v_pk_fma_f32 v[96:97], v[122:123], v[106:107], v[84:85] op_sel_hi:[1,0,1]
	v_pk_mul_f32 v[86:87], v[162:163], v[86:87] op_sel_hi:[1,0]
	v_mov_b32_e32 v83, v95
	v_pk_add_f32 v[90:91], v[90:91], v[170:171]
	v_pk_fma_f32 v[84:85], v[122:123], v[106:107], v[84:85] neg_lo:[0,0,1] neg_hi:[0,0,1]
	v_pk_mul_f32 v[88:89], v[126:127], v[110:111] op_sel:[1,1] op_sel_hi:[0,1]
	v_mov_b32_e32 v85, v97
	v_pk_fma_f32 v[96:97], v[124:125], v[108:109], v[86:87] op_sel_hi:[1,0,1]
	v_pk_add_f32 v[82:83], v[90:91], v[82:83]
	v_pk_fma_f32 v[86:87], v[124:125], v[108:109], v[86:87] neg_lo:[0,0,1] neg_hi:[0,0,1]
	v_pk_fma_f32 v[90:91], v[126:127], v[110:111], v[88:89] op_sel_hi:[1,0,1]
	v_pk_mul_f32 v[92:93], v[164:165], v[92:93] op_sel_hi:[1,0]
	v_mov_b32_e32 v87, v97
	v_pk_add_f32 v[82:83], v[82:83], v[84:85]
	v_pk_fma_f32 v[88:89], v[126:127], v[110:111], v[88:89] neg_lo:[0,0,1] neg_hi:[0,0,1]
	s_wait_loadcnt 0x2
	v_pk_mul_f32 v[94:95], v[130:131], v[114:115] op_sel:[1,1] op_sel_hi:[0,1]
	v_dual_mov_b32 v84, v117 :: v_dual_mov_b32 v89, v91
	v_pk_fma_f32 v[90:91], v[128:129], v[112:113], v[92:93] op_sel_hi:[1,0,1]
	v_pk_add_f32 v[82:83], v[82:83], v[86:87]
	v_pk_fma_f32 v[92:93], v[128:129], v[112:113], v[92:93] neg_lo:[0,0,1] neg_hi:[0,0,1]
	v_pk_fma_f32 v[86:87], v[130:131], v[114:115], v[94:95] op_sel_hi:[1,0,1]
	v_pk_mul_f32 v[84:85], v[166:167], v[84:85] op_sel_hi:[1,0]
	v_mov_b32_e32 v93, v91
	v_pk_add_f32 v[82:83], v[82:83], v[88:89]
	v_pk_fma_f32 v[88:89], v[130:131], v[114:115], v[94:95] neg_lo:[0,0,1] neg_hi:[0,0,1]
	v_mov_b32_e32 v89, v87
	v_pk_fma_f32 v[86:87], v[132:133], v[116:117], v[84:85] op_sel_hi:[1,0,1]
	s_wait_loadcnt_dscnt 0x100
	v_pk_mul_f32 v[90:91], v[158:159], v[154:155] op_sel:[1,1] op_sel_hi:[0,1]
	v_pk_add_f32 v[82:83], v[82:83], v[92:93]
	v_pk_fma_f32 v[84:85], v[132:133], v[116:117], v[84:85] neg_lo:[0,0,1] neg_hi:[0,0,1]
	v_mov_b32_e32 v85, v87
	s_delay_alu instid0(VALU_DEP_4) | instskip(NEXT) | instid1(VALU_DEP_4)
	v_pk_fma_f32 v[86:87], v[158:159], v[154:155], v[90:91] op_sel_hi:[1,0,1]
	v_pk_add_f32 v[82:83], v[82:83], v[88:89]
	v_pk_fma_f32 v[88:89], v[158:159], v[154:155], v[90:91] neg_lo:[0,0,1] neg_hi:[0,0,1]
	s_delay_alu instid0(VALU_DEP_3) | instskip(NEXT) | instid1(VALU_DEP_3)
	v_mov_b32_e32 v89, v87
	v_pk_add_f32 v[82:83], v[82:83], v[84:85]
	s_delay_alu instid0(VALU_DEP_1) | instskip(SKIP_1) | instid1(VALU_DEP_1)
	v_pk_add_f32 v[82:83], v[82:83], v[88:89]
	s_wait_loadcnt 0x0
	v_pk_add_f32 v[82:83], v[156:157], v[82:83] neg_lo:[0,1] neg_hi:[0,1]
	scratch_store_b64 off, v[82:83], off offset:160
	s_wait_xcnt 0x0
	v_cmpx_lt_u32_e32 19, v0
	s_cbranch_execz .LBB39_215
; %bb.214:
	scratch_load_b64 v[82:83], off, off offset:152
	v_mov_b64_e32 v[84:85], 0
	scratch_store_b64 off, v[84:85], off offset:152
	s_wait_loadcnt 0x0
	ds_store_b64 v1, v[82:83]
.LBB39_215:
	s_wait_xcnt 0x0
	s_or_b32 exec_lo, exec_lo, s0
	s_wait_storecnt_dscnt 0x0
	s_barrier_signal -1
	s_barrier_wait -1
	s_clause 0xa
	scratch_load_b128 v[82:85], off, off offset:160
	scratch_load_b128 v[86:89], off, off offset:176
	;; [unrolled: 1-line block ×10, first 2 shown]
	scratch_load_b64 v[162:163], off, off offset:152
	ds_load_b128 v[122:125], v5 offset:576
	ds_load_b128 v[126:129], v5 offset:592
	;; [unrolled: 1-line block ×10, first 2 shown]
	s_mov_b32 s0, exec_lo
	s_wait_dscnt 0x9
	v_dual_mov_b32 v164, v125 :: v_dual_mov_b32 v165, v124
	s_wait_dscnt 0x8
	v_dual_mov_b32 v166, v129 :: v_dual_mov_b32 v167, v128
	;; [unrolled: 2-line block ×4, first 2 shown]
	s_wait_loadcnt_dscnt 0xa05
	v_dual_mul_f32 v5, v138, v83 :: v_dual_mul_f32 v9, v140, v85
	v_dual_mul_f32 v27, v139, v83 :: v_dual_mul_f32 v29, v141, v85
	s_wait_loadcnt_dscnt 0x904
	v_dual_mul_f32 v11, v142, v87 :: v_dual_mul_f32 v13, v144, v89
	s_delay_alu instid0(VALU_DEP_2) | instskip(SKIP_3) | instid1(VALU_DEP_3)
	v_dual_fmac_f32 v5, v139, v82 :: v_dual_fma_f32 v27, v138, v82, -v27
	v_dual_mul_f32 v31, v143, v87 :: v_dual_mul_f32 v33, v145, v89
	s_wait_loadcnt_dscnt 0x702
	v_dual_mul_f32 v39, v151, v95 :: v_dual_fmac_f32 v9, v141, v84
	v_dual_fma_f32 v29, v140, v84, -v29 :: v_dual_add_f32 v5, 0, v5
	v_dual_add_f32 v27, 0, v27 :: v_dual_mul_f32 v41, v153, v97
	v_fmac_f32_e32 v11, v143, v86
	s_delay_alu instid0(VALU_DEP_3) | instskip(NEXT) | instid1(VALU_DEP_3)
	v_dual_fma_f32 v31, v142, v86, -v31 :: v_dual_add_f32 v5, v5, v9
	v_dual_add_f32 v9, v27, v29 :: v_dual_mul_f32 v15, v146, v91
	v_dual_mul_f32 v17, v148, v93 :: v_dual_mul_f32 v35, v147, v91
	s_wait_loadcnt_dscnt 0x601
	v_dual_mul_f32 v37, v149, v93 :: v_dual_mul_f32 v27, v155, v99
	v_fmac_f32_e32 v13, v145, v88
	v_dual_fma_f32 v29, v144, v88, -v33 :: v_dual_add_f32 v5, v5, v11
	v_dual_add_f32 v9, v9, v31 :: v_dual_fmac_f32 v15, v147, v90
	v_dual_mul_f32 v11, v157, v101 :: v_dual_fma_f32 v31, v146, v90, -v35
	s_wait_loadcnt_dscnt 0x500
	s_delay_alu instid0(VALU_DEP_3) | instskip(NEXT) | instid1(VALU_DEP_3)
	v_dual_add_f32 v5, v5, v13 :: v_dual_mul_f32 v13, v159, v103
	v_dual_add_f32 v9, v9, v29 :: v_dual_fma_f32 v29, v148, v92, -v37
	v_dual_mul_f32 v19, v150, v95 :: v_dual_mul_f32 v21, v152, v97
	v_fmac_f32_e32 v17, v149, v92
	s_delay_alu instid0(VALU_DEP_4) | instskip(NEXT) | instid1(VALU_DEP_3)
	v_add_f32_e32 v5, v5, v15
	v_dual_add_f32 v9, v9, v31 :: v_dual_fmac_f32 v19, v151, v94
	v_fma_f32 v31, v150, v94, -v39
	v_dual_mul_f32 v23, v154, v99 :: v_dual_mul_f32 v25, v156, v101
	s_delay_alu instid0(VALU_DEP_4) | instskip(NEXT) | instid1(VALU_DEP_4)
	v_dual_add_f32 v5, v5, v17 :: v_dual_fma_f32 v17, v152, v96, -v41
	v_dual_add_f32 v9, v9, v29 :: v_dual_fma_f32 v11, v156, v100, -v11
	v_dual_mul_f32 v173, v158, v103 :: v_dual_mul_f32 v175, v160, v105
	v_fmac_f32_e32 v21, v153, v96
	s_delay_alu instid0(VALU_DEP_4) | instskip(NEXT) | instid1(VALU_DEP_4)
	v_add_f32_e32 v5, v5, v19
	v_dual_add_f32 v9, v9, v31 :: v_dual_fma_f32 v172, v158, v102, -v13
	v_dual_mul_f32 v15, v161, v105 :: v_dual_fmac_f32 v23, v155, v98
	s_delay_alu instid0(VALU_DEP_2) | instskip(NEXT) | instid1(VALU_DEP_4)
	v_dual_fma_f32 v19, v154, v98, -v27 :: v_dual_add_f32 v9, v9, v17
	v_dual_fmac_f32 v173, v159, v102 :: v_dual_add_f32 v5, v5, v21
	s_delay_alu instid0(VALU_DEP_3) | instskip(SKIP_1) | instid1(VALU_DEP_4)
	v_fma_f32 v174, v160, v104, -v15
	v_fmac_f32_e32 v25, v157, v100
	v_add_f32_e32 v9, v9, v19
	s_wait_loadcnt 0x4
	v_pk_mul_f32 v[82:83], v[122:123], v[106:107] op_sel:[1,1] op_sel_hi:[0,1]
	v_add_f32_e32 v5, v5, v23
	s_wait_loadcnt 0x3
	v_dual_mov_b32 v84, v109 :: v_dual_mov_b32 v88, v113
	v_add_f32_e32 v90, v9, v11
	v_fmac_f32_e32 v175, v161, v104
	v_add_f32_e32 v91, v5, v25
	v_pk_fma_f32 v[92:93], v[122:123], v[106:107], v[82:83] op_sel_hi:[1,0,1]
	v_pk_mul_f32 v[84:85], v[164:165], v[84:85] op_sel_hi:[1,0]
	v_pk_fma_f32 v[82:83], v[122:123], v[106:107], v[82:83] neg_lo:[0,0,1] neg_hi:[0,0,1]
	v_pk_mul_f32 v[86:87], v[126:127], v[110:111] op_sel:[1,1] op_sel_hi:[0,1]
	v_pk_add_f32 v[90:91], v[90:91], v[172:173]
	v_mov_b32_e32 v83, v93
	v_pk_fma_f32 v[92:93], v[124:125], v[108:109], v[84:85] op_sel_hi:[1,0,1]
	v_pk_fma_f32 v[84:85], v[124:125], v[108:109], v[84:85] neg_lo:[0,0,1] neg_hi:[0,0,1]
	v_pk_fma_f32 v[96:97], v[126:127], v[110:111], v[86:87] op_sel_hi:[1,0,1]
	v_pk_add_f32 v[90:91], v[90:91], v[174:175]
	v_pk_mul_f32 v[88:89], v[166:167], v[88:89] op_sel_hi:[1,0]
	v_mov_b32_e32 v85, v93
	s_wait_loadcnt 0x2
	v_pk_mul_f32 v[94:95], v[130:131], v[114:115] op_sel:[1,1] op_sel_hi:[0,1]
	v_pk_fma_f32 v[86:87], v[126:127], v[110:111], v[86:87] neg_lo:[0,0,1] neg_hi:[0,0,1]
	v_pk_add_f32 v[82:83], v[90:91], v[82:83]
	v_dual_mov_b32 v90, v117 :: v_dual_mov_b32 v87, v97
	v_pk_fma_f32 v[92:93], v[128:129], v[112:113], v[88:89] op_sel_hi:[1,0,1]
	v_pk_fma_f32 v[88:89], v[128:129], v[112:113], v[88:89] neg_lo:[0,0,1] neg_hi:[0,0,1]
	s_delay_alu instid0(VALU_DEP_4)
	v_pk_add_f32 v[82:83], v[82:83], v[84:85]
	v_pk_fma_f32 v[84:85], v[130:131], v[114:115], v[94:95] op_sel_hi:[1,0,1]
	v_pk_mul_f32 v[90:91], v[168:169], v[90:91] op_sel_hi:[1,0]
	v_mov_b32_e32 v89, v93
	v_pk_fma_f32 v[92:93], v[130:131], v[114:115], v[94:95] neg_lo:[0,0,1] neg_hi:[0,0,1]
	v_pk_add_f32 v[82:83], v[82:83], v[86:87]
	v_mov_b32_e32 v93, v85
	v_pk_fma_f32 v[84:85], v[132:133], v[116:117], v[90:91] op_sel_hi:[1,0,1]
	s_wait_loadcnt 0x1
	v_pk_mul_f32 v[86:87], v[134:135], v[118:119] op_sel:[1,1] op_sel_hi:[0,1]
	v_mov_b32_e32 v84, v121
	v_pk_add_f32 v[82:83], v[82:83], v[88:89]
	v_pk_fma_f32 v[90:91], v[132:133], v[116:117], v[90:91] neg_lo:[0,0,1] neg_hi:[0,0,1]
	v_mov_b32_e32 v91, v85
	v_pk_fma_f32 v[88:89], v[134:135], v[118:119], v[86:87] op_sel_hi:[1,0,1]
	v_pk_mul_f32 v[84:85], v[170:171], v[84:85] op_sel_hi:[1,0]
	v_pk_add_f32 v[82:83], v[82:83], v[92:93]
	v_pk_fma_f32 v[86:87], v[134:135], v[118:119], v[86:87] neg_lo:[0,0,1] neg_hi:[0,0,1]
	s_delay_alu instid0(VALU_DEP_4) | instskip(NEXT) | instid1(VALU_DEP_4)
	v_mov_b32_e32 v87, v89
	v_pk_fma_f32 v[88:89], v[136:137], v[120:121], v[84:85] op_sel_hi:[1,0,1]
	s_delay_alu instid0(VALU_DEP_4) | instskip(SKIP_1) | instid1(VALU_DEP_3)
	v_pk_add_f32 v[82:83], v[82:83], v[90:91]
	v_pk_fma_f32 v[84:85], v[136:137], v[120:121], v[84:85] neg_lo:[0,0,1] neg_hi:[0,0,1]
	v_mov_b32_e32 v85, v89
	s_delay_alu instid0(VALU_DEP_3) | instskip(NEXT) | instid1(VALU_DEP_1)
	v_pk_add_f32 v[82:83], v[82:83], v[86:87]
	v_pk_add_f32 v[82:83], v[82:83], v[84:85]
	s_wait_loadcnt 0x0
	s_delay_alu instid0(VALU_DEP_1)
	v_pk_add_f32 v[82:83], v[162:163], v[82:83] neg_lo:[0,1] neg_hi:[0,1]
	scratch_store_b64 off, v[82:83], off offset:152
	s_wait_xcnt 0x0
	v_cmpx_lt_u32_e32 18, v0
	s_cbranch_execz .LBB39_217
; %bb.216:
	scratch_load_b64 v[82:83], off, off offset:144
	v_mov_b64_e32 v[84:85], 0
	scratch_store_b64 off, v[84:85], off offset:144
	s_wait_loadcnt 0x0
	ds_store_b64 v1, v[82:83]
.LBB39_217:
	s_wait_xcnt 0x0
	s_or_b32 exec_lo, exec_lo, s0
	s_wait_storecnt_dscnt 0x0
	s_barrier_signal -1
	s_barrier_wait -1
	s_clause 0xb
	scratch_load_b128 v[82:85], off, off offset:152
	scratch_load_b128 v[86:89], off, off offset:168
	;; [unrolled: 1-line block ×10, first 2 shown]
	scratch_load_b64 v[162:163], off, off offset:312
	scratch_load_b64 v[164:165], off, off offset:144
	v_mov_b32_e32 v5, 0
	ds_load_2addr_b64 v[122:125], v5 offset0:71 offset1:72
	ds_load_2addr_b64 v[126:129], v5 offset0:73 offset1:74
	;; [unrolled: 1-line block ×10, first 2 shown]
	ds_load_b64 v[166:167], v5 offset:632
	s_mov_b32 s0, exec_lo
	s_wait_dscnt 0xa
	v_dual_mov_b32 v168, v125 :: v_dual_mov_b32 v169, v124
	s_wait_dscnt 0x7
	v_dual_mov_b32 v170, v129 :: v_dual_mov_b32 v175, v136
	v_dual_mov_b32 v171, v128 :: v_dual_mov_b32 v172, v133
	;; [unrolled: 1-line block ×3, first 2 shown]
	s_wait_loadcnt_dscnt 0xb06
	v_dual_mul_f32 v9, v138, v83 :: v_dual_mul_f32 v31, v139, v83
	v_dual_mul_f32 v33, v141, v85 :: v_dual_mul_f32 v11, v140, v85
	s_wait_loadcnt_dscnt 0xa05
	v_mul_f32_e32 v13, v142, v87
	s_wait_loadcnt_dscnt 0x803
	v_dual_mul_f32 v43, v151, v95 :: v_dual_fma_f32 v31, v138, v82, -v31
	v_dual_fmac_f32 v9, v139, v82 :: v_dual_mul_f32 v45, v153, v97
	v_dual_mul_f32 v35, v143, v87 :: v_dual_mul_f32 v37, v145, v89
	v_dual_fmac_f32 v11, v141, v84 :: v_dual_fma_f32 v33, v140, v84, -v33
	s_delay_alu instid0(VALU_DEP_3) | instskip(SKIP_3) | instid1(VALU_DEP_3)
	v_dual_add_f32 v9, 0, v9 :: v_dual_add_f32 v31, 0, v31
	v_dual_mul_f32 v15, v144, v89 :: v_dual_mul_f32 v17, v146, v91
	s_wait_loadcnt_dscnt 0x702
	v_dual_mul_f32 v47, v155, v99 :: v_dual_fma_f32 v35, v142, v86, -v35
	v_dual_fmac_f32 v13, v143, v86 :: v_dual_add_f32 v9, v9, v11
	s_delay_alu instid0(VALU_DEP_3) | instskip(SKIP_2) | instid1(VALU_DEP_3)
	v_dual_add_f32 v11, v31, v33 :: v_dual_fmac_f32 v15, v145, v88
	v_dual_mul_f32 v39, v147, v91 :: v_dual_mul_f32 v41, v149, v93
	v_dual_mul_f32 v31, v157, v101 :: v_dual_fma_f32 v33, v144, v88, -v37
	v_dual_add_f32 v9, v9, v13 :: v_dual_add_f32 v11, v11, v35
	v_dual_mul_f32 v19, v148, v93 :: v_dual_mul_f32 v21, v150, v95
	s_wait_loadcnt_dscnt 0x601
	v_dual_mul_f32 v13, v159, v103 :: v_dual_fma_f32 v35, v146, v90, -v39
	s_delay_alu instid0(VALU_DEP_3) | instskip(NEXT) | instid1(VALU_DEP_3)
	v_dual_fmac_f32 v17, v147, v90 :: v_dual_add_f32 v9, v9, v15
	v_dual_add_f32 v11, v11, v33 :: v_dual_fmac_f32 v19, v149, v92
	v_dual_mul_f32 v15, v161, v105 :: v_dual_fma_f32 v33, v148, v92, -v41
	s_delay_alu instid0(VALU_DEP_2) | instskip(SKIP_3) | instid1(VALU_DEP_3)
	v_dual_add_f32 v9, v9, v17 :: v_dual_add_f32 v11, v11, v35
	v_dual_mul_f32 v23, v152, v97 :: v_dual_mul_f32 v25, v154, v99
	s_wait_loadcnt 0x5
	v_dual_mul_f32 v17, v123, v107 :: v_dual_fma_f32 v35, v150, v94, -v43
	v_dual_fmac_f32 v21, v151, v94 :: v_dual_add_f32 v9, v9, v19
	v_dual_add_f32 v11, v11, v33 :: v_dual_mov_b32 v82, v109
	v_dual_fmac_f32 v23, v153, v96 :: v_dual_fma_f32 v19, v152, v96, -v45
	s_delay_alu instid0(VALU_DEP_2) | instskip(SKIP_2) | instid1(VALU_DEP_3)
	v_dual_add_f32 v9, v9, v21 :: v_dual_add_f32 v11, v11, v35
	v_dual_mul_f32 v27, v156, v101 :: v_dual_mul_f32 v29, v158, v103
	v_dual_fmac_f32 v25, v155, v98 :: v_dual_fma_f32 v21, v154, v98, -v47
	v_add_f32_e32 v9, v9, v23
	s_wait_loadcnt 0x4
	v_dual_add_f32 v11, v11, v19 :: v_dual_mov_b32 v86, v113
	v_fmac_f32_e32 v27, v157, v100
	s_delay_alu instid0(VALU_DEP_3) | instskip(SKIP_1) | instid1(VALU_DEP_4)
	v_dual_fma_f32 v19, v156, v100, -v31 :: v_dual_add_f32 v9, v9, v25
	v_fmac_f32_e32 v29, v159, v102
	v_add_f32_e32 v11, v11, v21
	v_dual_mul_f32 v177, v160, v105 :: v_dual_mul_f32 v179, v122, v107
	s_delay_alu instid0(VALU_DEP_4) | instskip(NEXT) | instid1(VALU_DEP_2)
	v_dual_fma_f32 v13, v158, v102, -v13 :: v_dual_add_f32 v9, v9, v27
	v_dual_add_f32 v11, v11, v19 :: v_dual_fmac_f32 v177, v161, v104
	v_fma_f32 v176, v160, v104, -v15
	v_pk_mul_f32 v[82:83], v[168:169], v[82:83] op_sel_hi:[1,0]
	s_delay_alu instid0(VALU_DEP_4)
	v_add_f32_e32 v91, v9, v29
	s_wait_loadcnt 0x3
	v_dual_add_f32 v90, v11, v13 :: v_dual_mov_b32 v92, v117
	v_pk_mul_f32 v[84:85], v[126:127], v[110:111] op_sel:[1,1] op_sel_hi:[0,1]
	v_dual_fmac_f32 v179, v123, v106 :: v_dual_fma_f32 v178, v122, v106, -v17
	v_pk_fma_f32 v[94:95], v[124:125], v[108:109], v[82:83] op_sel_hi:[1,0,1]
	s_delay_alu instid0(VALU_DEP_4)
	v_pk_add_f32 v[90:91], v[90:91], v[176:177]
	v_pk_fma_f32 v[82:83], v[124:125], v[108:109], v[82:83] neg_lo:[0,0,1] neg_hi:[0,0,1]
	v_pk_fma_f32 v[96:97], v[126:127], v[110:111], v[84:85] op_sel_hi:[1,0,1]
	v_pk_mul_f32 v[86:87], v[170:171], v[86:87] op_sel_hi:[1,0]
	v_mov_b32_e32 v83, v95
	v_pk_add_f32 v[90:91], v[90:91], v[178:179]
	v_pk_fma_f32 v[84:85], v[126:127], v[110:111], v[84:85] neg_lo:[0,0,1] neg_hi:[0,0,1]
	v_pk_mul_f32 v[88:89], v[130:131], v[114:115] op_sel:[1,1] op_sel_hi:[0,1]
	v_mov_b32_e32 v85, v97
	v_pk_fma_f32 v[96:97], v[128:129], v[112:113], v[86:87] op_sel_hi:[1,0,1]
	v_pk_add_f32 v[82:83], v[90:91], v[82:83]
	v_pk_fma_f32 v[86:87], v[128:129], v[112:113], v[86:87] neg_lo:[0,0,1] neg_hi:[0,0,1]
	v_pk_fma_f32 v[90:91], v[130:131], v[114:115], v[88:89] op_sel_hi:[1,0,1]
	v_pk_mul_f32 v[92:93], v[172:173], v[92:93] op_sel_hi:[1,0]
	v_mov_b32_e32 v87, v97
	v_pk_add_f32 v[82:83], v[82:83], v[84:85]
	v_pk_fma_f32 v[88:89], v[130:131], v[114:115], v[88:89] neg_lo:[0,0,1] neg_hi:[0,0,1]
	s_wait_loadcnt 0x2
	v_pk_mul_f32 v[94:95], v[134:135], v[118:119] op_sel:[1,1] op_sel_hi:[0,1]
	v_dual_mov_b32 v84, v121 :: v_dual_mov_b32 v89, v91
	v_pk_fma_f32 v[90:91], v[132:133], v[116:117], v[92:93] op_sel_hi:[1,0,1]
	v_pk_add_f32 v[82:83], v[82:83], v[86:87]
	v_pk_fma_f32 v[92:93], v[132:133], v[116:117], v[92:93] neg_lo:[0,0,1] neg_hi:[0,0,1]
	v_pk_fma_f32 v[86:87], v[134:135], v[118:119], v[94:95] op_sel_hi:[1,0,1]
	v_pk_mul_f32 v[84:85], v[174:175], v[84:85] op_sel_hi:[1,0]
	v_mov_b32_e32 v93, v91
	v_pk_add_f32 v[82:83], v[82:83], v[88:89]
	v_pk_fma_f32 v[88:89], v[134:135], v[118:119], v[94:95] neg_lo:[0,0,1] neg_hi:[0,0,1]
	v_mov_b32_e32 v89, v87
	v_pk_fma_f32 v[86:87], v[136:137], v[120:121], v[84:85] op_sel_hi:[1,0,1]
	s_wait_loadcnt_dscnt 0x100
	v_pk_mul_f32 v[90:91], v[166:167], v[162:163] op_sel:[1,1] op_sel_hi:[0,1]
	v_pk_add_f32 v[82:83], v[82:83], v[92:93]
	v_pk_fma_f32 v[84:85], v[136:137], v[120:121], v[84:85] neg_lo:[0,0,1] neg_hi:[0,0,1]
	v_mov_b32_e32 v85, v87
	s_delay_alu instid0(VALU_DEP_4) | instskip(NEXT) | instid1(VALU_DEP_4)
	v_pk_fma_f32 v[86:87], v[166:167], v[162:163], v[90:91] op_sel_hi:[1,0,1]
	v_pk_add_f32 v[82:83], v[82:83], v[88:89]
	v_pk_fma_f32 v[88:89], v[166:167], v[162:163], v[90:91] neg_lo:[0,0,1] neg_hi:[0,0,1]
	s_delay_alu instid0(VALU_DEP_3) | instskip(NEXT) | instid1(VALU_DEP_3)
	v_mov_b32_e32 v89, v87
	v_pk_add_f32 v[82:83], v[82:83], v[84:85]
	s_delay_alu instid0(VALU_DEP_1) | instskip(SKIP_1) | instid1(VALU_DEP_1)
	v_pk_add_f32 v[82:83], v[82:83], v[88:89]
	s_wait_loadcnt 0x0
	v_pk_add_f32 v[82:83], v[164:165], v[82:83] neg_lo:[0,1] neg_hi:[0,1]
	scratch_store_b64 off, v[82:83], off offset:144
	s_wait_xcnt 0x0
	v_cmpx_lt_u32_e32 17, v0
	s_cbranch_execz .LBB39_219
; %bb.218:
	scratch_load_b64 v[82:83], off, off offset:136
	v_mov_b64_e32 v[84:85], 0
	scratch_store_b64 off, v[84:85], off offset:136
	s_wait_loadcnt 0x0
	ds_store_b64 v1, v[82:83]
.LBB39_219:
	s_wait_xcnt 0x0
	s_or_b32 exec_lo, exec_lo, s0
	s_wait_storecnt_dscnt 0x0
	s_barrier_signal -1
	s_barrier_wait -1
	s_clause 0xb
	scratch_load_b128 v[82:85], off, off offset:144
	scratch_load_b128 v[86:89], off, off offset:160
	;; [unrolled: 1-line block ×11, first 2 shown]
	scratch_load_b64 v[170:171], off, off offset:136
	ds_load_b128 v[126:129], v5 offset:576
	ds_load_b128 v[130:133], v5 offset:592
	;; [unrolled: 1-line block ×11, first 2 shown]
	s_mov_b32 s0, exec_lo
	s_wait_dscnt 0xa
	v_dual_mov_b32 v172, v129 :: v_dual_mov_b32 v173, v128
	s_wait_dscnt 0x9
	v_dual_mov_b32 v174, v133 :: v_dual_mov_b32 v175, v132
	;; [unrolled: 2-line block ×4, first 2 shown]
	s_wait_loadcnt_dscnt 0xb06
	v_dual_mul_f32 v5, v142, v83 :: v_dual_mul_f32 v9, v144, v85
	v_dual_mul_f32 v31, v143, v83 :: v_dual_mul_f32 v33, v145, v85
	s_wait_loadcnt_dscnt 0xa05
	v_dual_mul_f32 v11, v146, v87 :: v_dual_mul_f32 v13, v148, v89
	s_delay_alu instid0(VALU_DEP_2) | instskip(SKIP_3) | instid1(VALU_DEP_3)
	v_dual_fmac_f32 v5, v143, v82 :: v_dual_fma_f32 v31, v142, v82, -v31
	v_dual_mul_f32 v35, v147, v87 :: v_dual_mul_f32 v37, v149, v89
	s_wait_loadcnt_dscnt 0x803
	v_dual_mul_f32 v43, v155, v95 :: v_dual_fmac_f32 v9, v145, v84
	v_dual_fma_f32 v33, v144, v84, -v33 :: v_dual_add_f32 v5, 0, v5
	v_dual_add_f32 v31, 0, v31 :: v_dual_mul_f32 v45, v157, v97
	v_fmac_f32_e32 v11, v147, v86
	s_delay_alu instid0(VALU_DEP_3) | instskip(NEXT) | instid1(VALU_DEP_3)
	v_dual_fma_f32 v35, v146, v86, -v35 :: v_dual_add_f32 v5, v5, v9
	v_dual_add_f32 v9, v31, v33 :: v_dual_mul_f32 v15, v150, v91
	v_dual_mul_f32 v17, v152, v93 :: v_dual_mul_f32 v39, v151, v91
	v_dual_mul_f32 v41, v153, v93 :: v_dual_fma_f32 v33, v148, v88, -v37
	s_delay_alu instid0(VALU_DEP_4) | instskip(NEXT) | instid1(VALU_DEP_4)
	v_add_f32_e32 v5, v5, v11
	v_dual_add_f32 v9, v9, v35 :: v_dual_fmac_f32 v15, v151, v90
	s_wait_loadcnt_dscnt 0x702
	v_dual_mul_f32 v31, v159, v99 :: v_dual_fmac_f32 v13, v149, v88
	v_dual_mul_f32 v11, v161, v101 :: v_dual_fma_f32 v35, v150, v90, -v39
	s_delay_alu instid0(VALU_DEP_3) | instskip(SKIP_1) | instid1(VALU_DEP_3)
	v_dual_add_f32 v9, v9, v33 :: v_dual_fma_f32 v33, v152, v92, -v41
	s_wait_loadcnt_dscnt 0x601
	v_dual_add_f32 v5, v5, v13 :: v_dual_mul_f32 v13, v163, v103
	v_dual_mul_f32 v19, v154, v95 :: v_dual_mul_f32 v21, v156, v97
	s_delay_alu instid0(VALU_DEP_3) | instskip(SKIP_1) | instid1(VALU_DEP_4)
	v_add_f32_e32 v9, v9, v35
	v_fmac_f32_e32 v17, v153, v92
	v_dual_add_f32 v5, v5, v15 :: v_dual_fma_f32 v35, v154, v94, -v43
	v_dual_mul_f32 v23, v158, v99 :: v_dual_mul_f32 v25, v160, v101
	s_delay_alu instid0(VALU_DEP_4) | instskip(NEXT) | instid1(VALU_DEP_3)
	v_dual_add_f32 v9, v9, v33 :: v_dual_fma_f32 v31, v158, v98, -v31
	v_dual_fmac_f32 v19, v155, v94 :: v_dual_add_f32 v5, v5, v17
	s_delay_alu instid0(VALU_DEP_3) | instskip(NEXT) | instid1(VALU_DEP_3)
	v_dual_fmac_f32 v23, v159, v98 :: v_dual_fma_f32 v33, v156, v96, -v45
	v_dual_add_f32 v9, v9, v35 :: v_dual_fma_f32 v13, v162, v102, -v13
	v_dual_mul_f32 v27, v162, v103 :: v_dual_mul_f32 v29, v164, v105
	s_wait_loadcnt_dscnt 0x500
	v_dual_mul_f32 v15, v165, v105 :: v_dual_mul_f32 v17, v167, v107
	s_delay_alu instid0(VALU_DEP_2) | instskip(SKIP_1) | instid1(VALU_DEP_3)
	v_dual_fmac_f32 v21, v157, v96 :: v_dual_fmac_f32 v27, v163, v102
	v_dual_add_f32 v5, v5, v19 :: v_dual_fma_f32 v11, v160, v100, -v11
	v_dual_add_f32 v9, v9, v33 :: v_dual_fma_f32 v180, v166, v106, -v17
	v_dual_mul_f32 v181, v166, v107 :: v_dual_mul_f32 v183, v168, v109
	s_delay_alu instid0(VALU_DEP_3) | instskip(NEXT) | instid1(VALU_DEP_3)
	v_add_f32_e32 v5, v5, v21
	v_add_f32_e32 v9, v9, v31
	v_mul_f32_e32 v19, v169, v109
	v_fmac_f32_e32 v25, v161, v100
	v_fmac_f32_e32 v181, v167, v106
	;; [unrolled: 1-line block ×3, first 2 shown]
	v_dual_add_f32 v9, v9, v11 :: v_dual_fma_f32 v11, v164, v104, -v15
	v_dual_add_f32 v5, v5, v23 :: v_dual_fma_f32 v182, v168, v108, -v19
	s_wait_loadcnt 0x4
	v_pk_mul_f32 v[82:83], v[126:127], v[110:111] op_sel:[1,1] op_sel_hi:[0,1]
	s_delay_alu instid0(VALU_DEP_3)
	v_add_f32_e32 v9, v9, v13
	s_wait_loadcnt 0x3
	v_dual_mov_b32 v84, v113 :: v_dual_mov_b32 v88, v117
	v_add_f32_e32 v5, v5, v25
	v_fmac_f32_e32 v183, v169, v108
	v_add_f32_e32 v90, v9, v11
	v_pk_fma_f32 v[92:93], v[126:127], v[110:111], v[82:83] op_sel_hi:[1,0,1]
	v_pk_mul_f32 v[84:85], v[172:173], v[84:85] op_sel_hi:[1,0]
	v_add_f32_e32 v5, v5, v27
	v_pk_fma_f32 v[82:83], v[126:127], v[110:111], v[82:83] neg_lo:[0,0,1] neg_hi:[0,0,1]
	v_pk_mul_f32 v[86:87], v[130:131], v[114:115] op_sel:[1,1] op_sel_hi:[0,1]
	v_mov_b32_e32 v83, v93
	v_pk_fma_f32 v[92:93], v[128:129], v[112:113], v[84:85] op_sel_hi:[1,0,1]
	v_add_f32_e32 v91, v5, v29
	v_pk_fma_f32 v[84:85], v[128:129], v[112:113], v[84:85] neg_lo:[0,0,1] neg_hi:[0,0,1]
	v_pk_fma_f32 v[96:97], v[130:131], v[114:115], v[86:87] op_sel_hi:[1,0,1]
	v_pk_mul_f32 v[88:89], v[174:175], v[88:89] op_sel_hi:[1,0]
	v_mov_b32_e32 v85, v93
	v_pk_add_f32 v[90:91], v[90:91], v[180:181]
	s_wait_loadcnt 0x2
	v_pk_mul_f32 v[94:95], v[134:135], v[118:119] op_sel:[1,1] op_sel_hi:[0,1]
	v_pk_fma_f32 v[86:87], v[130:131], v[114:115], v[86:87] neg_lo:[0,0,1] neg_hi:[0,0,1]
	v_mov_b32_e32 v87, v97
	v_pk_fma_f32 v[92:93], v[132:133], v[116:117], v[88:89] op_sel_hi:[1,0,1]
	v_pk_add_f32 v[90:91], v[90:91], v[182:183]
	v_pk_fma_f32 v[88:89], v[132:133], v[116:117], v[88:89] neg_lo:[0,0,1] neg_hi:[0,0,1]
	s_delay_alu instid0(VALU_DEP_2) | instskip(SKIP_1) | instid1(VALU_DEP_2)
	v_pk_add_f32 v[82:83], v[90:91], v[82:83]
	v_mov_b32_e32 v90, v121
	v_pk_add_f32 v[82:83], v[82:83], v[84:85]
	v_pk_fma_f32 v[84:85], v[134:135], v[118:119], v[94:95] op_sel_hi:[1,0,1]
	s_delay_alu instid0(VALU_DEP_3)
	v_pk_mul_f32 v[90:91], v[176:177], v[90:91] op_sel_hi:[1,0]
	v_mov_b32_e32 v89, v93
	v_pk_fma_f32 v[92:93], v[134:135], v[118:119], v[94:95] neg_lo:[0,0,1] neg_hi:[0,0,1]
	v_pk_add_f32 v[82:83], v[82:83], v[86:87]
	v_mov_b32_e32 v93, v85
	v_pk_fma_f32 v[84:85], v[136:137], v[120:121], v[90:91] op_sel_hi:[1,0,1]
	s_wait_loadcnt 0x1
	v_pk_mul_f32 v[86:87], v[138:139], v[122:123] op_sel:[1,1] op_sel_hi:[0,1]
	v_mov_b32_e32 v84, v125
	v_pk_add_f32 v[82:83], v[82:83], v[88:89]
	v_pk_fma_f32 v[90:91], v[136:137], v[120:121], v[90:91] neg_lo:[0,0,1] neg_hi:[0,0,1]
	v_mov_b32_e32 v91, v85
	v_pk_fma_f32 v[88:89], v[138:139], v[122:123], v[86:87] op_sel_hi:[1,0,1]
	v_pk_mul_f32 v[84:85], v[178:179], v[84:85] op_sel_hi:[1,0]
	v_pk_add_f32 v[82:83], v[82:83], v[92:93]
	v_pk_fma_f32 v[86:87], v[138:139], v[122:123], v[86:87] neg_lo:[0,0,1] neg_hi:[0,0,1]
	s_delay_alu instid0(VALU_DEP_4) | instskip(NEXT) | instid1(VALU_DEP_4)
	v_mov_b32_e32 v87, v89
	v_pk_fma_f32 v[88:89], v[140:141], v[124:125], v[84:85] op_sel_hi:[1,0,1]
	s_delay_alu instid0(VALU_DEP_4) | instskip(SKIP_1) | instid1(VALU_DEP_3)
	v_pk_add_f32 v[82:83], v[82:83], v[90:91]
	v_pk_fma_f32 v[84:85], v[140:141], v[124:125], v[84:85] neg_lo:[0,0,1] neg_hi:[0,0,1]
	v_mov_b32_e32 v85, v89
	s_delay_alu instid0(VALU_DEP_3) | instskip(NEXT) | instid1(VALU_DEP_1)
	v_pk_add_f32 v[82:83], v[82:83], v[86:87]
	v_pk_add_f32 v[82:83], v[82:83], v[84:85]
	s_wait_loadcnt 0x0
	s_delay_alu instid0(VALU_DEP_1)
	v_pk_add_f32 v[82:83], v[170:171], v[82:83] neg_lo:[0,1] neg_hi:[0,1]
	scratch_store_b64 off, v[82:83], off offset:136
	s_wait_xcnt 0x0
	v_cmpx_lt_u32_e32 16, v0
	s_cbranch_execz .LBB39_221
; %bb.220:
	scratch_load_b64 v[82:83], off, off offset:128
	v_mov_b64_e32 v[84:85], 0
	scratch_store_b64 off, v[84:85], off offset:128
	s_wait_loadcnt 0x0
	ds_store_b64 v1, v[82:83]
.LBB39_221:
	s_wait_xcnt 0x0
	s_or_b32 exec_lo, exec_lo, s0
	s_wait_storecnt_dscnt 0x0
	s_barrier_signal -1
	s_barrier_wait -1
	s_clause 0xc
	scratch_load_b128 v[82:85], off, off offset:136
	scratch_load_b128 v[86:89], off, off offset:152
	;; [unrolled: 1-line block ×11, first 2 shown]
	scratch_load_b64 v[170:171], off, off offset:312
	scratch_load_b64 v[172:173], off, off offset:128
	v_mov_b32_e32 v5, 0
	ds_load_2addr_b64 v[126:129], v5 offset0:71 offset1:72
	ds_load_2addr_b64 v[130:133], v5 offset0:73 offset1:74
	;; [unrolled: 1-line block ×11, first 2 shown]
	ds_load_b64 v[174:175], v5 offset:632
	s_mov_b32 s0, exec_lo
	s_wait_dscnt 0xb
	v_dual_mov_b32 v176, v129 :: v_dual_mov_b32 v177, v128
	s_wait_dscnt 0x8
	v_dual_mov_b32 v178, v133 :: v_dual_mov_b32 v183, v140
	v_dual_mov_b32 v179, v132 :: v_dual_mov_b32 v180, v137
	v_dual_mov_b32 v181, v136 :: v_dual_mov_b32 v182, v141
	s_wait_loadcnt_dscnt 0xc07
	v_dual_mul_f32 v9, v142, v83 :: v_dual_mul_f32 v35, v143, v83
	v_dual_mul_f32 v37, v145, v85 :: v_dual_mul_f32 v11, v144, v85
	s_wait_loadcnt_dscnt 0xb06
	v_mul_f32_e32 v13, v146, v87
	s_wait_loadcnt_dscnt 0x904
	v_dual_mul_f32 v47, v155, v95 :: v_dual_fma_f32 v35, v142, v82, -v35
	v_dual_fmac_f32 v9, v143, v82 :: v_dual_mul_f32 v49, v157, v97
	v_dual_mul_f32 v39, v147, v87 :: v_dual_mul_f32 v41, v149, v89
	v_dual_fmac_f32 v11, v145, v84 :: v_dual_fma_f32 v37, v144, v84, -v37
	s_delay_alu instid0(VALU_DEP_3) | instskip(SKIP_3) | instid1(VALU_DEP_3)
	v_dual_add_f32 v9, 0, v9 :: v_dual_add_f32 v35, 0, v35
	v_dual_mul_f32 v15, v148, v89 :: v_dual_mul_f32 v17, v150, v91
	s_wait_loadcnt_dscnt 0x803
	v_dual_mul_f32 v51, v159, v99 :: v_dual_fma_f32 v39, v146, v86, -v39
	v_dual_fmac_f32 v13, v147, v86 :: v_dual_add_f32 v9, v9, v11
	s_delay_alu instid0(VALU_DEP_3) | instskip(SKIP_2) | instid1(VALU_DEP_3)
	v_dual_add_f32 v11, v35, v37 :: v_dual_fmac_f32 v15, v149, v88
	v_dual_mul_f32 v43, v151, v91 :: v_dual_mul_f32 v45, v153, v93
	v_dual_mul_f32 v35, v161, v101 :: v_dual_fma_f32 v37, v148, v88, -v41
	v_dual_add_f32 v9, v9, v13 :: v_dual_add_f32 v11, v11, v39
	v_dual_mul_f32 v19, v152, v93 :: v_dual_mul_f32 v21, v154, v95
	s_wait_loadcnt_dscnt 0x701
	v_dual_mul_f32 v13, v167, v103 :: v_dual_fma_f32 v39, v150, v90, -v43
	s_delay_alu instid0(VALU_DEP_3) | instskip(NEXT) | instid1(VALU_DEP_3)
	v_dual_fmac_f32 v17, v151, v90 :: v_dual_add_f32 v9, v9, v15
	v_dual_add_f32 v11, v11, v37 :: v_dual_fmac_f32 v19, v153, v92
	v_dual_mul_f32 v15, v169, v105 :: v_dual_fma_f32 v37, v152, v92, -v45
	s_delay_alu instid0(VALU_DEP_2) | instskip(SKIP_3) | instid1(VALU_DEP_3)
	v_dual_add_f32 v9, v9, v17 :: v_dual_add_f32 v11, v11, v39
	v_dual_mul_f32 v23, v156, v97 :: v_dual_mul_f32 v25, v158, v99
	s_wait_loadcnt 0x6
	v_dual_mul_f32 v17, v163, v107 :: v_dual_fma_f32 v39, v154, v94, -v47
	v_dual_fmac_f32 v21, v155, v94 :: v_dual_add_f32 v9, v9, v19
	s_delay_alu instid0(VALU_DEP_3) | instskip(SKIP_1) | instid1(VALU_DEP_2)
	v_dual_add_f32 v11, v11, v37 :: v_dual_fmac_f32 v23, v157, v96
	v_dual_mul_f32 v19, v165, v109 :: v_dual_fma_f32 v37, v156, v96, -v49
	v_dual_add_f32 v9, v9, v21 :: v_dual_add_f32 v11, v11, v39
	v_dual_mul_f32 v27, v160, v101 :: v_dual_mul_f32 v29, v166, v103
	s_wait_loadcnt 0x5
	v_dual_mul_f32 v21, v127, v111 :: v_dual_fma_f32 v39, v158, v98, -v51
	s_delay_alu instid0(VALU_DEP_3) | instskip(SKIP_2) | instid1(VALU_DEP_3)
	v_dual_fmac_f32 v25, v159, v98 :: v_dual_add_f32 v9, v9, v23
	v_dual_add_f32 v11, v11, v37 :: v_dual_mov_b32 v82, v113
	v_fmac_f32_e32 v27, v161, v100
	v_dual_fma_f32 v23, v160, v100, -v35 :: v_dual_add_f32 v9, v9, v25
	s_delay_alu instid0(VALU_DEP_3) | instskip(SKIP_1) | instid1(VALU_DEP_3)
	v_dual_add_f32 v11, v11, v39 :: v_dual_mul_f32 v31, v168, v105
	v_dual_mul_f32 v33, v162, v107 :: v_dual_fmac_f32 v29, v167, v102
	v_dual_add_f32 v9, v9, v27 :: v_dual_fma_f32 v13, v166, v102, -v13
	s_wait_loadcnt 0x4
	s_delay_alu instid0(VALU_DEP_3) | instskip(SKIP_3) | instid1(VALU_DEP_4)
	v_dual_add_f32 v11, v11, v23 :: v_dual_mov_b32 v86, v117
	v_fma_f32 v15, v168, v104, -v15
	v_fmac_f32_e32 v31, v169, v104
	v_dual_add_f32 v9, v9, v29 :: v_dual_fmac_f32 v33, v163, v106
	v_add_f32_e32 v11, v11, v13
	v_dual_mul_f32 v185, v164, v109 :: v_dual_mul_f32 v187, v126, v111
	s_delay_alu instid0(VALU_DEP_3) | instskip(NEXT) | instid1(VALU_DEP_2)
	v_dual_fma_f32 v13, v162, v106, -v17 :: v_dual_add_f32 v9, v9, v31
	v_dual_add_f32 v11, v11, v15 :: v_dual_fmac_f32 v185, v165, v108
	v_fma_f32 v184, v164, v108, -v19
	v_pk_mul_f32 v[82:83], v[176:177], v[82:83] op_sel_hi:[1,0]
	s_delay_alu instid0(VALU_DEP_4)
	v_add_f32_e32 v91, v9, v33
	s_wait_loadcnt 0x3
	v_dual_add_f32 v90, v11, v13 :: v_dual_mov_b32 v92, v121
	v_pk_mul_f32 v[84:85], v[130:131], v[114:115] op_sel:[1,1] op_sel_hi:[0,1]
	v_dual_fmac_f32 v187, v127, v110 :: v_dual_fma_f32 v186, v126, v110, -v21
	v_pk_fma_f32 v[94:95], v[128:129], v[112:113], v[82:83] op_sel_hi:[1,0,1]
	s_delay_alu instid0(VALU_DEP_4)
	v_pk_add_f32 v[90:91], v[90:91], v[184:185]
	v_pk_fma_f32 v[82:83], v[128:129], v[112:113], v[82:83] neg_lo:[0,0,1] neg_hi:[0,0,1]
	v_pk_fma_f32 v[96:97], v[130:131], v[114:115], v[84:85] op_sel_hi:[1,0,1]
	v_pk_mul_f32 v[86:87], v[178:179], v[86:87] op_sel_hi:[1,0]
	v_mov_b32_e32 v83, v95
	v_pk_add_f32 v[90:91], v[90:91], v[186:187]
	v_pk_fma_f32 v[84:85], v[130:131], v[114:115], v[84:85] neg_lo:[0,0,1] neg_hi:[0,0,1]
	v_pk_mul_f32 v[88:89], v[134:135], v[118:119] op_sel:[1,1] op_sel_hi:[0,1]
	v_mov_b32_e32 v85, v97
	v_pk_fma_f32 v[96:97], v[132:133], v[116:117], v[86:87] op_sel_hi:[1,0,1]
	v_pk_add_f32 v[82:83], v[90:91], v[82:83]
	v_pk_fma_f32 v[86:87], v[132:133], v[116:117], v[86:87] neg_lo:[0,0,1] neg_hi:[0,0,1]
	v_pk_fma_f32 v[90:91], v[134:135], v[118:119], v[88:89] op_sel_hi:[1,0,1]
	v_pk_mul_f32 v[92:93], v[180:181], v[92:93] op_sel_hi:[1,0]
	v_mov_b32_e32 v87, v97
	v_pk_add_f32 v[82:83], v[82:83], v[84:85]
	v_pk_fma_f32 v[88:89], v[134:135], v[118:119], v[88:89] neg_lo:[0,0,1] neg_hi:[0,0,1]
	s_wait_loadcnt 0x2
	v_pk_mul_f32 v[94:95], v[138:139], v[122:123] op_sel:[1,1] op_sel_hi:[0,1]
	v_dual_mov_b32 v84, v125 :: v_dual_mov_b32 v89, v91
	v_pk_fma_f32 v[90:91], v[136:137], v[120:121], v[92:93] op_sel_hi:[1,0,1]
	v_pk_add_f32 v[82:83], v[82:83], v[86:87]
	v_pk_fma_f32 v[92:93], v[136:137], v[120:121], v[92:93] neg_lo:[0,0,1] neg_hi:[0,0,1]
	v_pk_fma_f32 v[86:87], v[138:139], v[122:123], v[94:95] op_sel_hi:[1,0,1]
	v_pk_mul_f32 v[84:85], v[182:183], v[84:85] op_sel_hi:[1,0]
	v_mov_b32_e32 v93, v91
	v_pk_add_f32 v[82:83], v[82:83], v[88:89]
	v_pk_fma_f32 v[88:89], v[138:139], v[122:123], v[94:95] neg_lo:[0,0,1] neg_hi:[0,0,1]
	v_mov_b32_e32 v89, v87
	v_pk_fma_f32 v[86:87], v[140:141], v[124:125], v[84:85] op_sel_hi:[1,0,1]
	s_wait_loadcnt_dscnt 0x100
	v_pk_mul_f32 v[90:91], v[174:175], v[170:171] op_sel:[1,1] op_sel_hi:[0,1]
	v_pk_add_f32 v[82:83], v[82:83], v[92:93]
	v_pk_fma_f32 v[84:85], v[140:141], v[124:125], v[84:85] neg_lo:[0,0,1] neg_hi:[0,0,1]
	v_mov_b32_e32 v85, v87
	s_delay_alu instid0(VALU_DEP_4) | instskip(NEXT) | instid1(VALU_DEP_4)
	v_pk_fma_f32 v[86:87], v[174:175], v[170:171], v[90:91] op_sel_hi:[1,0,1]
	v_pk_add_f32 v[82:83], v[82:83], v[88:89]
	v_pk_fma_f32 v[88:89], v[174:175], v[170:171], v[90:91] neg_lo:[0,0,1] neg_hi:[0,0,1]
	s_delay_alu instid0(VALU_DEP_3) | instskip(NEXT) | instid1(VALU_DEP_3)
	v_mov_b32_e32 v89, v87
	v_pk_add_f32 v[82:83], v[82:83], v[84:85]
	s_delay_alu instid0(VALU_DEP_1) | instskip(SKIP_1) | instid1(VALU_DEP_1)
	v_pk_add_f32 v[82:83], v[82:83], v[88:89]
	s_wait_loadcnt 0x0
	v_pk_add_f32 v[82:83], v[172:173], v[82:83] neg_lo:[0,1] neg_hi:[0,1]
	scratch_store_b64 off, v[82:83], off offset:128
	s_wait_xcnt 0x0
	v_cmpx_lt_u32_e32 15, v0
	s_cbranch_execz .LBB39_223
; %bb.222:
	scratch_load_b64 v[82:83], off, off offset:120
	v_mov_b64_e32 v[84:85], 0
	scratch_store_b64 off, v[84:85], off offset:120
	s_wait_loadcnt 0x0
	ds_store_b64 v1, v[82:83]
.LBB39_223:
	s_wait_xcnt 0x0
	s_or_b32 exec_lo, exec_lo, s0
	s_wait_storecnt_dscnt 0x0
	s_barrier_signal -1
	s_barrier_wait -1
	s_clause 0xc
	scratch_load_b128 v[82:85], off, off offset:128
	scratch_load_b128 v[86:89], off, off offset:144
	;; [unrolled: 1-line block ×12, first 2 shown]
	scratch_load_b64 v[178:179], off, off offset:120
	ds_load_b128 v[130:133], v5 offset:576
	ds_load_b128 v[134:137], v5 offset:592
	;; [unrolled: 1-line block ×12, first 2 shown]
	s_mov_b32 s0, exec_lo
	s_wait_dscnt 0xb
	v_dual_mov_b32 v180, v133 :: v_dual_mov_b32 v181, v132
	s_wait_dscnt 0xa
	v_dual_mov_b32 v182, v137 :: v_dual_mov_b32 v183, v136
	;; [unrolled: 2-line block ×4, first 2 shown]
	s_wait_loadcnt_dscnt 0xc07
	v_dual_mul_f32 v5, v146, v83 :: v_dual_mul_f32 v9, v148, v85
	v_dual_mul_f32 v35, v147, v83 :: v_dual_mul_f32 v37, v149, v85
	s_wait_loadcnt_dscnt 0xb06
	v_dual_mul_f32 v11, v150, v87 :: v_dual_mul_f32 v13, v152, v89
	s_delay_alu instid0(VALU_DEP_2) | instskip(SKIP_3) | instid1(VALU_DEP_3)
	v_dual_fmac_f32 v5, v147, v82 :: v_dual_fma_f32 v35, v146, v82, -v35
	v_dual_mul_f32 v39, v151, v87 :: v_dual_mul_f32 v41, v153, v89
	s_wait_loadcnt_dscnt 0x904
	v_dual_mul_f32 v47, v159, v95 :: v_dual_fmac_f32 v9, v149, v84
	v_dual_fma_f32 v37, v148, v84, -v37 :: v_dual_add_f32 v5, 0, v5
	v_dual_add_f32 v35, 0, v35 :: v_dual_mul_f32 v49, v161, v97
	v_fmac_f32_e32 v11, v151, v86
	s_delay_alu instid0(VALU_DEP_3) | instskip(NEXT) | instid1(VALU_DEP_3)
	v_dual_fma_f32 v39, v150, v86, -v39 :: v_dual_add_f32 v5, v5, v9
	v_dual_add_f32 v9, v35, v37 :: v_dual_mul_f32 v15, v154, v91
	v_dual_mul_f32 v17, v156, v93 :: v_dual_mul_f32 v43, v155, v91
	v_dual_mul_f32 v45, v157, v93 :: v_dual_fma_f32 v37, v152, v88, -v41
	s_delay_alu instid0(VALU_DEP_4) | instskip(NEXT) | instid1(VALU_DEP_4)
	v_add_f32_e32 v5, v5, v11
	v_dual_add_f32 v9, v9, v39 :: v_dual_fmac_f32 v15, v155, v90
	s_wait_loadcnt_dscnt 0x803
	v_dual_mul_f32 v35, v163, v99 :: v_dual_fmac_f32 v13, v153, v88
	v_dual_mul_f32 v11, v165, v101 :: v_dual_fma_f32 v39, v154, v90, -v43
	s_delay_alu instid0(VALU_DEP_3) | instskip(SKIP_1) | instid1(VALU_DEP_3)
	v_dual_add_f32 v9, v9, v37 :: v_dual_fma_f32 v37, v156, v92, -v45
	s_wait_loadcnt_dscnt 0x702
	v_dual_add_f32 v5, v5, v13 :: v_dual_mul_f32 v13, v167, v103
	v_dual_mul_f32 v19, v158, v95 :: v_dual_mul_f32 v21, v160, v97
	s_delay_alu instid0(VALU_DEP_3) | instskip(SKIP_1) | instid1(VALU_DEP_4)
	v_add_f32_e32 v9, v9, v39
	v_fmac_f32_e32 v17, v157, v92
	v_dual_add_f32 v5, v5, v15 :: v_dual_fma_f32 v39, v158, v94, -v47
	v_dual_mul_f32 v23, v162, v99 :: v_dual_mul_f32 v25, v164, v101
	s_delay_alu instid0(VALU_DEP_4) | instskip(NEXT) | instid1(VALU_DEP_3)
	v_dual_add_f32 v9, v9, v37 :: v_dual_fma_f32 v35, v162, v98, -v35
	v_dual_fmac_f32 v19, v159, v94 :: v_dual_add_f32 v5, v5, v17
	s_delay_alu instid0(VALU_DEP_3) | instskip(NEXT) | instid1(VALU_DEP_3)
	v_dual_fmac_f32 v23, v163, v98 :: v_dual_fma_f32 v37, v160, v96, -v49
	v_dual_add_f32 v9, v9, v39 :: v_dual_fma_f32 v13, v166, v102, -v13
	v_dual_mul_f32 v27, v166, v103 :: v_dual_mul_f32 v29, v168, v105
	s_wait_loadcnt_dscnt 0x601
	v_dual_mul_f32 v31, v170, v107 :: v_dual_mul_f32 v33, v172, v109
	s_delay_alu instid0(VALU_DEP_2) | instskip(SKIP_1) | instid1(VALU_DEP_3)
	v_dual_fmac_f32 v21, v161, v96 :: v_dual_fmac_f32 v27, v167, v102
	v_dual_add_f32 v5, v5, v19 :: v_dual_fma_f32 v11, v164, v100, -v11
	v_dual_add_f32 v9, v9, v37 :: v_dual_fmac_f32 v31, v171, v106
	v_dual_mul_f32 v15, v169, v105 :: v_dual_mul_f32 v17, v171, v107
	v_mul_f32_e32 v19, v173, v109
	s_wait_loadcnt_dscnt 0x500
	v_dual_add_f32 v5, v5, v21 :: v_dual_mul_f32 v21, v175, v111
	v_add_f32_e32 v9, v9, v35
	v_dual_mul_f32 v189, v174, v111 :: v_dual_mul_f32 v191, v176, v113
	v_fmac_f32_e32 v25, v165, v100
	v_fmac_f32_e32 v29, v169, v104
	s_delay_alu instid0(VALU_DEP_4)
	v_dual_add_f32 v9, v9, v11 :: v_dual_fma_f32 v11, v168, v104, -v15
	v_add_f32_e32 v5, v5, v23
	v_dual_mul_f32 v23, v177, v113 :: v_dual_fmac_f32 v189, v175, v110
	v_fma_f32 v188, v174, v110, -v21
	v_fmac_f32_e32 v33, v173, v108
	s_wait_loadcnt 0x4
	v_pk_mul_f32 v[82:83], v[130:131], v[114:115] op_sel:[1,1] op_sel_hi:[0,1]
	v_dual_fma_f32 v190, v176, v112, -v23 :: v_dual_add_f32 v9, v9, v13
	v_dual_fma_f32 v13, v170, v106, -v17 :: v_dual_add_f32 v5, v5, v25
	s_wait_loadcnt 0x3
	v_dual_mov_b32 v84, v117 :: v_dual_mov_b32 v88, v121
	s_delay_alu instid0(VALU_DEP_3) | instskip(NEXT) | instid1(VALU_DEP_3)
	v_dual_add_f32 v9, v9, v11 :: v_dual_fma_f32 v11, v172, v108, -v19
	v_add_f32_e32 v5, v5, v27
	v_fmac_f32_e32 v191, v177, v112
	v_pk_fma_f32 v[92:93], v[130:131], v[114:115], v[82:83] op_sel_hi:[1,0,1]
	s_delay_alu instid0(VALU_DEP_4)
	v_add_f32_e32 v9, v9, v13
	v_pk_mul_f32 v[84:85], v[180:181], v[84:85] op_sel_hi:[1,0]
	v_add_f32_e32 v5, v5, v29
	v_pk_fma_f32 v[82:83], v[130:131], v[114:115], v[82:83] neg_lo:[0,0,1] neg_hi:[0,0,1]
	v_pk_mul_f32 v[86:87], v[134:135], v[118:119] op_sel:[1,1] op_sel_hi:[0,1]
	v_add_f32_e32 v90, v9, v11
	v_mov_b32_e32 v83, v93
	v_add_f32_e32 v5, v5, v31
	v_pk_fma_f32 v[92:93], v[132:133], v[116:117], v[84:85] op_sel_hi:[1,0,1]
	v_pk_fma_f32 v[84:85], v[132:133], v[116:117], v[84:85] neg_lo:[0,0,1] neg_hi:[0,0,1]
	v_pk_fma_f32 v[96:97], v[134:135], v[118:119], v[86:87] op_sel_hi:[1,0,1]
	v_pk_mul_f32 v[88:89], v[182:183], v[88:89] op_sel_hi:[1,0]
	v_add_f32_e32 v91, v5, v33
	v_mov_b32_e32 v85, v93
	s_wait_loadcnt 0x2
	v_pk_mul_f32 v[94:95], v[138:139], v[122:123] op_sel:[1,1] op_sel_hi:[0,1]
	v_pk_fma_f32 v[86:87], v[134:135], v[118:119], v[86:87] neg_lo:[0,0,1] neg_hi:[0,0,1]
	v_mov_b32_e32 v87, v97
	v_pk_add_f32 v[90:91], v[90:91], v[188:189]
	v_pk_fma_f32 v[92:93], v[136:137], v[120:121], v[88:89] op_sel_hi:[1,0,1]
	v_pk_fma_f32 v[88:89], v[136:137], v[120:121], v[88:89] neg_lo:[0,0,1] neg_hi:[0,0,1]
	s_delay_alu instid0(VALU_DEP_3) | instskip(NEXT) | instid1(VALU_DEP_1)
	v_pk_add_f32 v[90:91], v[90:91], v[190:191]
	v_pk_add_f32 v[82:83], v[90:91], v[82:83]
	v_mov_b32_e32 v90, v125
	s_delay_alu instid0(VALU_DEP_2) | instskip(SKIP_1) | instid1(VALU_DEP_3)
	v_pk_add_f32 v[82:83], v[82:83], v[84:85]
	v_pk_fma_f32 v[84:85], v[138:139], v[122:123], v[94:95] op_sel_hi:[1,0,1]
	v_pk_mul_f32 v[90:91], v[184:185], v[90:91] op_sel_hi:[1,0]
	v_mov_b32_e32 v89, v93
	v_pk_fma_f32 v[92:93], v[138:139], v[122:123], v[94:95] neg_lo:[0,0,1] neg_hi:[0,0,1]
	v_pk_add_f32 v[82:83], v[82:83], v[86:87]
	v_mov_b32_e32 v93, v85
	v_pk_fma_f32 v[84:85], v[140:141], v[124:125], v[90:91] op_sel_hi:[1,0,1]
	s_wait_loadcnt 0x1
	v_pk_mul_f32 v[86:87], v[142:143], v[126:127] op_sel:[1,1] op_sel_hi:[0,1]
	v_mov_b32_e32 v84, v129
	v_pk_add_f32 v[82:83], v[82:83], v[88:89]
	v_pk_fma_f32 v[90:91], v[140:141], v[124:125], v[90:91] neg_lo:[0,0,1] neg_hi:[0,0,1]
	v_mov_b32_e32 v91, v85
	v_pk_fma_f32 v[88:89], v[142:143], v[126:127], v[86:87] op_sel_hi:[1,0,1]
	v_pk_mul_f32 v[84:85], v[186:187], v[84:85] op_sel_hi:[1,0]
	v_pk_add_f32 v[82:83], v[82:83], v[92:93]
	v_pk_fma_f32 v[86:87], v[142:143], v[126:127], v[86:87] neg_lo:[0,0,1] neg_hi:[0,0,1]
	s_delay_alu instid0(VALU_DEP_4) | instskip(NEXT) | instid1(VALU_DEP_4)
	v_mov_b32_e32 v87, v89
	v_pk_fma_f32 v[88:89], v[144:145], v[128:129], v[84:85] op_sel_hi:[1,0,1]
	s_delay_alu instid0(VALU_DEP_4) | instskip(SKIP_1) | instid1(VALU_DEP_3)
	v_pk_add_f32 v[82:83], v[82:83], v[90:91]
	v_pk_fma_f32 v[84:85], v[144:145], v[128:129], v[84:85] neg_lo:[0,0,1] neg_hi:[0,0,1]
	v_mov_b32_e32 v85, v89
	s_delay_alu instid0(VALU_DEP_3) | instskip(NEXT) | instid1(VALU_DEP_1)
	v_pk_add_f32 v[82:83], v[82:83], v[86:87]
	v_pk_add_f32 v[82:83], v[82:83], v[84:85]
	s_wait_loadcnt 0x0
	s_delay_alu instid0(VALU_DEP_1)
	v_pk_add_f32 v[82:83], v[178:179], v[82:83] neg_lo:[0,1] neg_hi:[0,1]
	scratch_store_b64 off, v[82:83], off offset:120
	s_wait_xcnt 0x0
	v_cmpx_lt_u32_e32 14, v0
	s_cbranch_execz .LBB39_225
; %bb.224:
	scratch_load_b64 v[82:83], off, off offset:112
	v_mov_b64_e32 v[84:85], 0
	scratch_store_b64 off, v[84:85], off offset:112
	s_wait_loadcnt 0x0
	ds_store_b64 v1, v[82:83]
.LBB39_225:
	s_wait_xcnt 0x0
	s_or_b32 exec_lo, exec_lo, s0
	s_wait_storecnt_dscnt 0x0
	s_barrier_signal -1
	s_barrier_wait -1
	s_clause 0xd
	scratch_load_b128 v[82:85], off, off offset:120
	scratch_load_b128 v[86:89], off, off offset:136
	;; [unrolled: 1-line block ×12, first 2 shown]
	scratch_load_b64 v[178:179], off, off offset:312
	scratch_load_b64 v[180:181], off, off offset:112
	v_mov_b32_e32 v5, 0
	ds_load_2addr_b64 v[130:133], v5 offset0:71 offset1:72
	ds_load_2addr_b64 v[134:137], v5 offset0:73 offset1:74
	;; [unrolled: 1-line block ×12, first 2 shown]
	ds_load_b64 v[182:183], v5 offset:632
	s_mov_b32 s0, exec_lo
	s_wait_dscnt 0xc
	v_dual_mov_b32 v184, v133 :: v_dual_mov_b32 v185, v132
	s_wait_dscnt 0x9
	v_dual_mov_b32 v186, v137 :: v_dual_mov_b32 v191, v144
	v_dual_mov_b32 v187, v136 :: v_dual_mov_b32 v188, v141
	v_dual_mov_b32 v189, v140 :: v_dual_mov_b32 v190, v145
	s_wait_loadcnt_dscnt 0xd08
	v_dual_mul_f32 v9, v146, v83 :: v_dual_mul_f32 v39, v147, v83
	v_dual_mul_f32 v41, v149, v85 :: v_dual_mul_f32 v11, v148, v85
	s_wait_loadcnt_dscnt 0xc07
	v_mul_f32_e32 v13, v150, v87
	s_wait_loadcnt_dscnt 0xa05
	v_dual_mul_f32 v51, v159, v95 :: v_dual_fma_f32 v39, v146, v82, -v39
	v_dual_fmac_f32 v9, v147, v82 :: v_dual_mul_f32 v53, v161, v97
	v_dual_mul_f32 v43, v151, v87 :: v_dual_mul_f32 v45, v153, v89
	v_dual_fmac_f32 v11, v149, v84 :: v_dual_fma_f32 v41, v148, v84, -v41
	s_delay_alu instid0(VALU_DEP_3) | instskip(SKIP_3) | instid1(VALU_DEP_3)
	v_dual_add_f32 v9, 0, v9 :: v_dual_add_f32 v39, 0, v39
	v_dual_mul_f32 v15, v152, v89 :: v_dual_mul_f32 v17, v154, v91
	s_wait_loadcnt_dscnt 0x904
	v_dual_mul_f32 v55, v163, v99 :: v_dual_fma_f32 v43, v150, v86, -v43
	v_dual_fmac_f32 v13, v151, v86 :: v_dual_add_f32 v9, v9, v11
	s_delay_alu instid0(VALU_DEP_3) | instskip(SKIP_2) | instid1(VALU_DEP_3)
	v_dual_add_f32 v11, v39, v41 :: v_dual_fmac_f32 v15, v153, v88
	v_dual_mul_f32 v47, v155, v91 :: v_dual_mul_f32 v49, v157, v93
	v_dual_mul_f32 v39, v165, v101 :: v_dual_fma_f32 v41, v152, v88, -v45
	v_dual_add_f32 v9, v9, v13 :: v_dual_add_f32 v11, v11, v43
	v_dual_mul_f32 v19, v156, v93 :: v_dual_mul_f32 v21, v158, v95
	s_wait_loadcnt_dscnt 0x803
	v_dual_mul_f32 v13, v167, v103 :: v_dual_fma_f32 v43, v154, v90, -v47
	s_delay_alu instid0(VALU_DEP_3) | instskip(NEXT) | instid1(VALU_DEP_3)
	v_dual_fmac_f32 v17, v155, v90 :: v_dual_add_f32 v9, v9, v15
	v_dual_add_f32 v11, v11, v41 :: v_dual_fmac_f32 v19, v157, v92
	v_dual_mul_f32 v15, v169, v105 :: v_dual_fma_f32 v41, v156, v92, -v49
	s_delay_alu instid0(VALU_DEP_2) | instskip(SKIP_3) | instid1(VALU_DEP_3)
	v_dual_add_f32 v9, v9, v17 :: v_dual_add_f32 v11, v11, v43
	v_dual_mul_f32 v23, v160, v97 :: v_dual_mul_f32 v25, v162, v99
	s_wait_loadcnt_dscnt 0x702
	v_dual_mul_f32 v17, v171, v107 :: v_dual_fma_f32 v43, v158, v94, -v51
	v_dual_fmac_f32 v21, v159, v94 :: v_dual_add_f32 v9, v9, v19
	s_delay_alu instid0(VALU_DEP_3) | instskip(SKIP_1) | instid1(VALU_DEP_2)
	v_dual_add_f32 v11, v11, v41 :: v_dual_fmac_f32 v23, v161, v96
	v_dual_mul_f32 v19, v173, v109 :: v_dual_fma_f32 v41, v160, v96, -v53
	v_dual_add_f32 v9, v9, v21 :: v_dual_add_f32 v11, v11, v43
	v_dual_mul_f32 v27, v164, v101 :: v_dual_mul_f32 v29, v166, v103
	s_wait_loadcnt_dscnt 0x601
	v_dual_mul_f32 v21, v175, v111 :: v_dual_fma_f32 v43, v162, v98, -v55
	s_delay_alu instid0(VALU_DEP_3) | instskip(NEXT) | instid1(VALU_DEP_3)
	v_dual_fmac_f32 v25, v163, v98 :: v_dual_add_f32 v9, v9, v23
	v_dual_add_f32 v11, v11, v41 :: v_dual_fmac_f32 v27, v165, v100
	v_dual_mul_f32 v23, v177, v113 :: v_dual_fma_f32 v39, v164, v100, -v39
	s_delay_alu instid0(VALU_DEP_2) | instskip(SKIP_3) | instid1(VALU_DEP_3)
	v_dual_add_f32 v9, v9, v25 :: v_dual_add_f32 v11, v11, v43
	v_dual_mul_f32 v31, v168, v105 :: v_dual_mul_f32 v33, v170, v107
	s_wait_loadcnt 0x5
	v_dual_mul_f32 v25, v131, v115 :: v_dual_fma_f32 v13, v166, v102, -v13
	v_dual_fmac_f32 v29, v167, v102 :: v_dual_add_f32 v9, v9, v27
	v_dual_add_f32 v11, v11, v39 :: v_dual_mov_b32 v82, v117
	v_fmac_f32_e32 v31, v169, v104
	s_delay_alu instid0(VALU_DEP_3) | instskip(NEXT) | instid1(VALU_DEP_3)
	v_dual_fma_f32 v15, v168, v104, -v15 :: v_dual_add_f32 v9, v9, v29
	v_add_f32_e32 v11, v11, v13
	v_dual_mul_f32 v35, v172, v109 :: v_dual_mul_f32 v37, v174, v111
	s_delay_alu instid0(VALU_DEP_3) | instskip(NEXT) | instid1(VALU_DEP_3)
	v_dual_fmac_f32 v33, v171, v106 :: v_dual_add_f32 v9, v9, v31
	v_dual_fma_f32 v13, v170, v106, -v17 :: v_dual_add_f32 v11, v11, v15
	s_wait_loadcnt 0x4
	v_dual_mov_b32 v86, v121 :: v_dual_fma_f32 v15, v172, v108, -v19
	v_fmac_f32_e32 v35, v173, v108
	v_dual_add_f32 v9, v9, v33 :: v_dual_fmac_f32 v37, v175, v110
	v_add_f32_e32 v11, v11, v13
	v_dual_mul_f32 v193, v176, v113 :: v_dual_mul_f32 v195, v130, v115
	s_delay_alu instid0(VALU_DEP_3) | instskip(NEXT) | instid1(VALU_DEP_2)
	v_dual_fma_f32 v13, v174, v110, -v21 :: v_dual_add_f32 v9, v9, v35
	v_dual_add_f32 v11, v11, v15 :: v_dual_fmac_f32 v193, v177, v112
	v_fma_f32 v192, v176, v112, -v23
	v_pk_mul_f32 v[82:83], v[184:185], v[82:83] op_sel_hi:[1,0]
	s_delay_alu instid0(VALU_DEP_4)
	v_add_f32_e32 v91, v9, v37
	s_wait_loadcnt 0x3
	v_dual_add_f32 v90, v11, v13 :: v_dual_mov_b32 v92, v125
	v_pk_mul_f32 v[84:85], v[134:135], v[118:119] op_sel:[1,1] op_sel_hi:[0,1]
	v_dual_fmac_f32 v195, v131, v114 :: v_dual_fma_f32 v194, v130, v114, -v25
	v_pk_fma_f32 v[94:95], v[132:133], v[116:117], v[82:83] op_sel_hi:[1,0,1]
	s_delay_alu instid0(VALU_DEP_4)
	v_pk_add_f32 v[90:91], v[90:91], v[192:193]
	v_pk_fma_f32 v[82:83], v[132:133], v[116:117], v[82:83] neg_lo:[0,0,1] neg_hi:[0,0,1]
	v_pk_fma_f32 v[96:97], v[134:135], v[118:119], v[84:85] op_sel_hi:[1,0,1]
	v_pk_mul_f32 v[86:87], v[186:187], v[86:87] op_sel_hi:[1,0]
	v_mov_b32_e32 v83, v95
	v_pk_add_f32 v[90:91], v[90:91], v[194:195]
	v_pk_fma_f32 v[84:85], v[134:135], v[118:119], v[84:85] neg_lo:[0,0,1] neg_hi:[0,0,1]
	v_pk_mul_f32 v[88:89], v[138:139], v[122:123] op_sel:[1,1] op_sel_hi:[0,1]
	v_mov_b32_e32 v85, v97
	v_pk_fma_f32 v[96:97], v[136:137], v[120:121], v[86:87] op_sel_hi:[1,0,1]
	v_pk_add_f32 v[82:83], v[90:91], v[82:83]
	v_pk_fma_f32 v[86:87], v[136:137], v[120:121], v[86:87] neg_lo:[0,0,1] neg_hi:[0,0,1]
	v_pk_fma_f32 v[90:91], v[138:139], v[122:123], v[88:89] op_sel_hi:[1,0,1]
	v_pk_mul_f32 v[92:93], v[188:189], v[92:93] op_sel_hi:[1,0]
	v_mov_b32_e32 v87, v97
	v_pk_add_f32 v[82:83], v[82:83], v[84:85]
	v_pk_fma_f32 v[88:89], v[138:139], v[122:123], v[88:89] neg_lo:[0,0,1] neg_hi:[0,0,1]
	s_wait_loadcnt 0x2
	v_pk_mul_f32 v[94:95], v[142:143], v[126:127] op_sel:[1,1] op_sel_hi:[0,1]
	v_dual_mov_b32 v84, v129 :: v_dual_mov_b32 v89, v91
	v_pk_fma_f32 v[90:91], v[140:141], v[124:125], v[92:93] op_sel_hi:[1,0,1]
	v_pk_add_f32 v[82:83], v[82:83], v[86:87]
	v_pk_fma_f32 v[92:93], v[140:141], v[124:125], v[92:93] neg_lo:[0,0,1] neg_hi:[0,0,1]
	v_pk_fma_f32 v[86:87], v[142:143], v[126:127], v[94:95] op_sel_hi:[1,0,1]
	v_pk_mul_f32 v[84:85], v[190:191], v[84:85] op_sel_hi:[1,0]
	v_mov_b32_e32 v93, v91
	v_pk_add_f32 v[82:83], v[82:83], v[88:89]
	v_pk_fma_f32 v[88:89], v[142:143], v[126:127], v[94:95] neg_lo:[0,0,1] neg_hi:[0,0,1]
	v_mov_b32_e32 v89, v87
	v_pk_fma_f32 v[86:87], v[144:145], v[128:129], v[84:85] op_sel_hi:[1,0,1]
	s_wait_loadcnt_dscnt 0x100
	v_pk_mul_f32 v[90:91], v[182:183], v[178:179] op_sel:[1,1] op_sel_hi:[0,1]
	v_pk_add_f32 v[82:83], v[82:83], v[92:93]
	v_pk_fma_f32 v[84:85], v[144:145], v[128:129], v[84:85] neg_lo:[0,0,1] neg_hi:[0,0,1]
	v_mov_b32_e32 v85, v87
	s_delay_alu instid0(VALU_DEP_4) | instskip(NEXT) | instid1(VALU_DEP_4)
	v_pk_fma_f32 v[86:87], v[182:183], v[178:179], v[90:91] op_sel_hi:[1,0,1]
	v_pk_add_f32 v[82:83], v[82:83], v[88:89]
	v_pk_fma_f32 v[88:89], v[182:183], v[178:179], v[90:91] neg_lo:[0,0,1] neg_hi:[0,0,1]
	s_delay_alu instid0(VALU_DEP_3) | instskip(NEXT) | instid1(VALU_DEP_3)
	v_mov_b32_e32 v89, v87
	v_pk_add_f32 v[82:83], v[82:83], v[84:85]
	s_delay_alu instid0(VALU_DEP_1) | instskip(SKIP_1) | instid1(VALU_DEP_1)
	v_pk_add_f32 v[82:83], v[82:83], v[88:89]
	s_wait_loadcnt 0x0
	v_pk_add_f32 v[82:83], v[180:181], v[82:83] neg_lo:[0,1] neg_hi:[0,1]
	scratch_store_b64 off, v[82:83], off offset:112
	s_wait_xcnt 0x0
	v_cmpx_lt_u32_e32 13, v0
	s_cbranch_execz .LBB39_227
; %bb.226:
	scratch_load_b64 v[82:83], off, off offset:104
	v_mov_b64_e32 v[84:85], 0
	scratch_store_b64 off, v[84:85], off offset:104
	s_wait_loadcnt 0x0
	ds_store_b64 v1, v[82:83]
.LBB39_227:
	s_wait_xcnt 0x0
	s_or_b32 exec_lo, exec_lo, s0
	s_wait_storecnt_dscnt 0x0
	s_barrier_signal -1
	s_barrier_wait -1
	s_clause 0xd
	scratch_load_b128 v[82:85], off, off offset:112
	scratch_load_b128 v[86:89], off, off offset:128
	;; [unrolled: 1-line block ×13, first 2 shown]
	scratch_load_b64 v[186:187], off, off offset:104
	ds_load_b128 v[134:137], v5 offset:576
	ds_load_b128 v[138:141], v5 offset:592
	;; [unrolled: 1-line block ×13, first 2 shown]
	s_mov_b32 s0, exec_lo
	s_wait_dscnt 0xc
	v_dual_mov_b32 v188, v137 :: v_dual_mov_b32 v189, v136
	s_wait_dscnt 0xb
	v_dual_mov_b32 v190, v141 :: v_dual_mov_b32 v191, v140
	;; [unrolled: 2-line block ×4, first 2 shown]
	s_wait_loadcnt_dscnt 0xd08
	v_dual_mul_f32 v5, v150, v83 :: v_dual_mul_f32 v9, v152, v85
	v_dual_mul_f32 v39, v151, v83 :: v_dual_mul_f32 v41, v153, v85
	s_wait_loadcnt_dscnt 0xc07
	v_dual_mul_f32 v11, v154, v87 :: v_dual_mul_f32 v13, v156, v89
	s_delay_alu instid0(VALU_DEP_2) | instskip(SKIP_3) | instid1(VALU_DEP_3)
	v_dual_fmac_f32 v5, v151, v82 :: v_dual_fma_f32 v39, v150, v82, -v39
	v_dual_mul_f32 v43, v155, v87 :: v_dual_mul_f32 v45, v157, v89
	s_wait_loadcnt_dscnt 0xa05
	v_dual_mul_f32 v51, v163, v95 :: v_dual_fmac_f32 v9, v153, v84
	v_dual_fma_f32 v41, v152, v84, -v41 :: v_dual_add_f32 v5, 0, v5
	v_dual_add_f32 v39, 0, v39 :: v_dual_mul_f32 v53, v165, v97
	v_fmac_f32_e32 v11, v155, v86
	s_delay_alu instid0(VALU_DEP_3) | instskip(NEXT) | instid1(VALU_DEP_3)
	v_dual_fma_f32 v43, v154, v86, -v43 :: v_dual_add_f32 v5, v5, v9
	v_dual_add_f32 v9, v39, v41 :: v_dual_mul_f32 v15, v158, v91
	v_dual_mul_f32 v17, v160, v93 :: v_dual_mul_f32 v47, v159, v91
	v_dual_mul_f32 v49, v161, v93 :: v_dual_fma_f32 v41, v156, v88, -v45
	s_delay_alu instid0(VALU_DEP_4) | instskip(NEXT) | instid1(VALU_DEP_4)
	v_add_f32_e32 v5, v5, v11
	v_dual_add_f32 v9, v9, v43 :: v_dual_fmac_f32 v15, v159, v90
	s_wait_loadcnt_dscnt 0x903
	v_dual_mul_f32 v39, v171, v99 :: v_dual_fmac_f32 v13, v157, v88
	v_dual_mul_f32 v11, v173, v101 :: v_dual_fma_f32 v43, v158, v90, -v47
	s_delay_alu instid0(VALU_DEP_3) | instskip(SKIP_1) | instid1(VALU_DEP_3)
	v_dual_add_f32 v9, v9, v41 :: v_dual_fma_f32 v41, v160, v92, -v49
	s_wait_loadcnt_dscnt 0x802
	v_dual_add_f32 v5, v5, v13 :: v_dual_mul_f32 v13, v175, v103
	v_dual_mul_f32 v19, v162, v95 :: v_dual_mul_f32 v21, v164, v97
	s_delay_alu instid0(VALU_DEP_3) | instskip(SKIP_1) | instid1(VALU_DEP_4)
	v_add_f32_e32 v9, v9, v43
	v_fmac_f32_e32 v17, v161, v92
	v_dual_add_f32 v5, v5, v15 :: v_dual_fma_f32 v43, v162, v94, -v51
	v_dual_mul_f32 v23, v170, v99 :: v_dual_mul_f32 v25, v172, v101
	s_delay_alu instid0(VALU_DEP_4) | instskip(NEXT) | instid1(VALU_DEP_3)
	v_dual_add_f32 v9, v9, v41 :: v_dual_fma_f32 v39, v170, v98, -v39
	v_dual_fmac_f32 v19, v163, v94 :: v_dual_add_f32 v5, v5, v17
	s_delay_alu instid0(VALU_DEP_3) | instskip(NEXT) | instid1(VALU_DEP_3)
	v_dual_fmac_f32 v23, v171, v98 :: v_dual_fma_f32 v41, v164, v96, -v53
	v_dual_add_f32 v9, v9, v43 :: v_dual_fma_f32 v13, v174, v102, -v13
	v_dual_mul_f32 v27, v174, v103 :: v_dual_mul_f32 v29, v176, v105
	s_wait_loadcnt_dscnt 0x701
	v_dual_mul_f32 v15, v177, v105 :: v_dual_mul_f32 v17, v179, v107
	s_delay_alu instid0(VALU_DEP_2) | instskip(SKIP_1) | instid1(VALU_DEP_3)
	v_dual_fmac_f32 v21, v165, v96 :: v_dual_fmac_f32 v27, v175, v102
	v_dual_add_f32 v5, v5, v19 :: v_dual_fma_f32 v11, v172, v100, -v11
	v_dual_add_f32 v9, v9, v41 :: v_dual_fma_f32 v15, v176, v104, -v15
	v_mul_f32_e32 v19, v181, v109
	s_wait_loadcnt_dscnt 0x600
	s_delay_alu instid0(VALU_DEP_3) | instskip(NEXT) | instid1(VALU_DEP_3)
	v_dual_add_f32 v5, v5, v21 :: v_dual_mul_f32 v21, v183, v111
	v_add_f32_e32 v9, v9, v39
	v_dual_mul_f32 v31, v178, v107 :: v_dual_mul_f32 v33, v180, v109
	s_wait_loadcnt 0x5
	v_dual_mul_f32 v197, v166, v115 :: v_dual_mul_f32 v199, v168, v117
	s_delay_alu instid0(VALU_DEP_3) | instskip(NEXT) | instid1(VALU_DEP_3)
	v_add_f32_e32 v9, v9, v11
	v_dual_fmac_f32 v25, v173, v100 :: v_dual_fmac_f32 v31, v179, v106
	v_mul_f32_e32 v11, v167, v115
	v_dual_add_f32 v5, v5, v23 :: v_dual_fma_f32 v17, v178, v106, -v17
	s_delay_alu instid0(VALU_DEP_4) | instskip(SKIP_1) | instid1(VALU_DEP_3)
	v_add_f32_e32 v9, v9, v13
	v_dual_mul_f32 v13, v169, v117 :: v_dual_fmac_f32 v199, v169, v116
	v_add_f32_e32 v5, v5, v25
	v_dual_fmac_f32 v29, v177, v104 :: v_dual_fma_f32 v196, v166, v114, -v11
	s_delay_alu instid0(VALU_DEP_3) | instskip(SKIP_2) | instid1(VALU_DEP_3)
	v_dual_fma_f32 v198, v168, v116, -v13 :: v_dual_add_f32 v9, v9, v15
	v_dual_fmac_f32 v197, v167, v114 :: v_dual_mul_f32 v35, v182, v111
	v_dual_mul_f32 v37, v184, v113 :: v_dual_fmac_f32 v33, v181, v108
	v_dual_add_f32 v9, v9, v17 :: v_dual_fma_f32 v17, v182, v110, -v21
	v_dual_add_f32 v5, v5, v27 :: v_dual_fma_f32 v15, v180, v108, -v19
	s_delay_alu instid0(VALU_DEP_4) | instskip(NEXT) | instid1(VALU_DEP_4)
	v_dual_mul_f32 v23, v185, v113 :: v_dual_fmac_f32 v35, v183, v110
	v_fmac_f32_e32 v37, v185, v112
	s_delay_alu instid0(VALU_DEP_3) | instskip(NEXT) | instid1(VALU_DEP_3)
	v_add_f32_e32 v5, v5, v29
	v_dual_add_f32 v9, v9, v15 :: v_dual_fma_f32 v15, v184, v112, -v23
	s_wait_loadcnt 0x4
	v_pk_mul_f32 v[82:83], v[134:135], v[118:119] op_sel:[1,1] op_sel_hi:[0,1]
	s_wait_loadcnt 0x3
	v_dual_mov_b32 v84, v121 :: v_dual_mov_b32 v88, v125
	v_add_f32_e32 v5, v5, v31
	v_add_f32_e32 v9, v9, v17
	v_pk_fma_f32 v[92:93], v[134:135], v[118:119], v[82:83] op_sel_hi:[1,0,1]
	s_delay_alu instid0(VALU_DEP_4)
	v_pk_mul_f32 v[84:85], v[188:189], v[84:85] op_sel_hi:[1,0]
	v_pk_fma_f32 v[82:83], v[134:135], v[118:119], v[82:83] neg_lo:[0,0,1] neg_hi:[0,0,1]
	v_add_f32_e32 v5, v5, v33
	v_add_f32_e32 v90, v9, v15
	v_pk_mul_f32 v[86:87], v[138:139], v[122:123] op_sel:[1,1] op_sel_hi:[0,1]
	v_mov_b32_e32 v83, v93
	v_pk_fma_f32 v[92:93], v[136:137], v[120:121], v[84:85] op_sel_hi:[1,0,1]
	v_add_f32_e32 v5, v5, v35
	v_pk_fma_f32 v[84:85], v[136:137], v[120:121], v[84:85] neg_lo:[0,0,1] neg_hi:[0,0,1]
	v_pk_fma_f32 v[96:97], v[138:139], v[122:123], v[86:87] op_sel_hi:[1,0,1]
	v_pk_mul_f32 v[88:89], v[190:191], v[88:89] op_sel_hi:[1,0]
	v_mov_b32_e32 v85, v93
	v_add_f32_e32 v91, v5, v37
	s_wait_loadcnt 0x2
	v_pk_mul_f32 v[94:95], v[142:143], v[126:127] op_sel:[1,1] op_sel_hi:[0,1]
	v_pk_fma_f32 v[86:87], v[138:139], v[122:123], v[86:87] neg_lo:[0,0,1] neg_hi:[0,0,1]
	v_mov_b32_e32 v87, v97
	v_pk_fma_f32 v[92:93], v[140:141], v[124:125], v[88:89] op_sel_hi:[1,0,1]
	v_pk_add_f32 v[90:91], v[90:91], v[196:197]
	v_pk_fma_f32 v[88:89], v[140:141], v[124:125], v[88:89] neg_lo:[0,0,1] neg_hi:[0,0,1]
	s_delay_alu instid0(VALU_DEP_2) | instskip(NEXT) | instid1(VALU_DEP_1)
	v_pk_add_f32 v[90:91], v[90:91], v[198:199]
	v_pk_add_f32 v[82:83], v[90:91], v[82:83]
	v_mov_b32_e32 v90, v129
	s_delay_alu instid0(VALU_DEP_2) | instskip(SKIP_1) | instid1(VALU_DEP_3)
	v_pk_add_f32 v[82:83], v[82:83], v[84:85]
	v_pk_fma_f32 v[84:85], v[142:143], v[126:127], v[94:95] op_sel_hi:[1,0,1]
	v_pk_mul_f32 v[90:91], v[192:193], v[90:91] op_sel_hi:[1,0]
	v_mov_b32_e32 v89, v93
	v_pk_fma_f32 v[92:93], v[142:143], v[126:127], v[94:95] neg_lo:[0,0,1] neg_hi:[0,0,1]
	v_pk_add_f32 v[82:83], v[82:83], v[86:87]
	v_mov_b32_e32 v93, v85
	v_pk_fma_f32 v[84:85], v[144:145], v[128:129], v[90:91] op_sel_hi:[1,0,1]
	s_wait_loadcnt 0x1
	v_pk_mul_f32 v[86:87], v[146:147], v[130:131] op_sel:[1,1] op_sel_hi:[0,1]
	v_mov_b32_e32 v84, v133
	v_pk_add_f32 v[82:83], v[82:83], v[88:89]
	v_pk_fma_f32 v[90:91], v[144:145], v[128:129], v[90:91] neg_lo:[0,0,1] neg_hi:[0,0,1]
	v_mov_b32_e32 v91, v85
	v_pk_fma_f32 v[88:89], v[146:147], v[130:131], v[86:87] op_sel_hi:[1,0,1]
	v_pk_mul_f32 v[84:85], v[194:195], v[84:85] op_sel_hi:[1,0]
	v_pk_add_f32 v[82:83], v[82:83], v[92:93]
	v_pk_fma_f32 v[86:87], v[146:147], v[130:131], v[86:87] neg_lo:[0,0,1] neg_hi:[0,0,1]
	s_delay_alu instid0(VALU_DEP_4) | instskip(NEXT) | instid1(VALU_DEP_4)
	v_mov_b32_e32 v87, v89
	v_pk_fma_f32 v[88:89], v[148:149], v[132:133], v[84:85] op_sel_hi:[1,0,1]
	s_delay_alu instid0(VALU_DEP_4) | instskip(SKIP_1) | instid1(VALU_DEP_3)
	v_pk_add_f32 v[82:83], v[82:83], v[90:91]
	v_pk_fma_f32 v[84:85], v[148:149], v[132:133], v[84:85] neg_lo:[0,0,1] neg_hi:[0,0,1]
	v_mov_b32_e32 v85, v89
	s_delay_alu instid0(VALU_DEP_3) | instskip(NEXT) | instid1(VALU_DEP_1)
	v_pk_add_f32 v[82:83], v[82:83], v[86:87]
	v_pk_add_f32 v[82:83], v[82:83], v[84:85]
	s_wait_loadcnt 0x0
	s_delay_alu instid0(VALU_DEP_1)
	v_pk_add_f32 v[82:83], v[186:187], v[82:83] neg_lo:[0,1] neg_hi:[0,1]
	scratch_store_b64 off, v[82:83], off offset:104
	s_wait_xcnt 0x0
	v_cmpx_lt_u32_e32 12, v0
	s_cbranch_execz .LBB39_229
; %bb.228:
	scratch_load_b64 v[82:83], off, off offset:96
	v_mov_b64_e32 v[84:85], 0
	scratch_store_b64 off, v[84:85], off offset:96
	s_wait_loadcnt 0x0
	ds_store_b64 v1, v[82:83]
.LBB39_229:
	s_wait_xcnt 0x0
	s_or_b32 exec_lo, exec_lo, s0
	s_wait_storecnt_dscnt 0x0
	s_barrier_signal -1
	s_barrier_wait -1
	s_clause 0xe
	scratch_load_b128 v[82:85], off, off offset:104
	scratch_load_b128 v[86:89], off, off offset:120
	;; [unrolled: 1-line block ×13, first 2 shown]
	scratch_load_b64 v[186:187], off, off offset:312
	scratch_load_b64 v[188:189], off, off offset:96
	v_mov_b32_e32 v5, 0
	ds_load_2addr_b64 v[134:137], v5 offset0:71 offset1:72
	ds_load_2addr_b64 v[138:141], v5 offset0:73 offset1:74
	;; [unrolled: 1-line block ×13, first 2 shown]
	ds_load_b64 v[190:191], v5 offset:632
	s_mov_b32 s0, exec_lo
	s_wait_dscnt 0xd
	v_dual_mov_b32 v192, v137 :: v_dual_mov_b32 v193, v136
	s_wait_dscnt 0xa
	v_dual_mov_b32 v194, v141 :: v_dual_mov_b32 v199, v148
	v_dual_mov_b32 v195, v140 :: v_dual_mov_b32 v196, v145
	;; [unrolled: 1-line block ×3, first 2 shown]
	s_wait_loadcnt_dscnt 0xe09
	v_dual_mul_f32 v9, v150, v83 :: v_dual_mul_f32 v43, v151, v83
	v_dual_mul_f32 v45, v153, v85 :: v_dual_mul_f32 v11, v152, v85
	s_wait_loadcnt_dscnt 0xd08
	v_mul_f32_e32 v13, v154, v87
	s_wait_loadcnt_dscnt 0xb05
	v_dual_mul_f32 v55, v167, v95 :: v_dual_fma_f32 v43, v150, v82, -v43
	v_dual_fmac_f32 v9, v151, v82 :: v_dual_mul_f32 v57, v169, v97
	v_dual_mul_f32 v47, v155, v87 :: v_dual_mul_f32 v49, v157, v89
	v_dual_fmac_f32 v11, v153, v84 :: v_dual_fma_f32 v45, v152, v84, -v45
	s_delay_alu instid0(VALU_DEP_3) | instskip(SKIP_3) | instid1(VALU_DEP_3)
	v_dual_add_f32 v9, 0, v9 :: v_dual_add_f32 v43, 0, v43
	v_dual_mul_f32 v15, v156, v89 :: v_dual_mul_f32 v17, v158, v91
	s_wait_loadcnt_dscnt 0xa04
	v_dual_mul_f32 v59, v171, v99 :: v_dual_fma_f32 v47, v154, v86, -v47
	v_dual_fmac_f32 v13, v155, v86 :: v_dual_add_f32 v9, v9, v11
	s_delay_alu instid0(VALU_DEP_3) | instskip(SKIP_2) | instid1(VALU_DEP_3)
	v_dual_add_f32 v11, v43, v45 :: v_dual_fmac_f32 v15, v157, v88
	v_dual_mul_f32 v51, v159, v91 :: v_dual_mul_f32 v53, v161, v93
	v_dual_mul_f32 v43, v173, v101 :: v_dual_fma_f32 v45, v156, v88, -v49
	v_dual_add_f32 v9, v9, v13 :: v_dual_add_f32 v11, v11, v47
	v_dual_mul_f32 v19, v160, v93 :: v_dual_mul_f32 v21, v166, v95
	s_wait_loadcnt_dscnt 0x903
	v_dual_mul_f32 v13, v175, v103 :: v_dual_fma_f32 v47, v158, v90, -v51
	s_delay_alu instid0(VALU_DEP_3) | instskip(NEXT) | instid1(VALU_DEP_3)
	v_dual_fmac_f32 v17, v159, v90 :: v_dual_add_f32 v9, v9, v15
	v_dual_add_f32 v11, v11, v45 :: v_dual_fmac_f32 v19, v161, v92
	v_dual_mul_f32 v15, v177, v105 :: v_dual_fma_f32 v45, v160, v92, -v53
	s_delay_alu instid0(VALU_DEP_2) | instskip(SKIP_3) | instid1(VALU_DEP_3)
	v_dual_add_f32 v9, v9, v17 :: v_dual_add_f32 v11, v11, v47
	v_dual_mul_f32 v23, v168, v97 :: v_dual_mul_f32 v25, v170, v99
	s_wait_loadcnt_dscnt 0x802
	v_dual_mul_f32 v17, v179, v107 :: v_dual_fma_f32 v47, v166, v94, -v55
	v_dual_fmac_f32 v21, v167, v94 :: v_dual_add_f32 v9, v9, v19
	s_delay_alu instid0(VALU_DEP_3) | instskip(SKIP_1) | instid1(VALU_DEP_2)
	v_dual_add_f32 v11, v11, v45 :: v_dual_fmac_f32 v23, v169, v96
	v_dual_mul_f32 v19, v181, v109 :: v_dual_fma_f32 v45, v168, v96, -v57
	v_dual_add_f32 v9, v9, v21 :: v_dual_add_f32 v11, v11, v47
	v_dual_mul_f32 v27, v172, v101 :: v_dual_mul_f32 v29, v174, v103
	s_wait_loadcnt_dscnt 0x701
	v_dual_mul_f32 v21, v183, v111 :: v_dual_fma_f32 v47, v170, v98, -v59
	s_delay_alu instid0(VALU_DEP_3) | instskip(NEXT) | instid1(VALU_DEP_3)
	v_dual_fmac_f32 v25, v171, v98 :: v_dual_add_f32 v9, v9, v23
	v_dual_add_f32 v11, v11, v45 :: v_dual_fmac_f32 v27, v173, v100
	v_dual_mul_f32 v23, v185, v113 :: v_dual_fma_f32 v43, v172, v100, -v43
	s_delay_alu instid0(VALU_DEP_2) | instskip(SKIP_3) | instid1(VALU_DEP_3)
	v_dual_add_f32 v9, v9, v25 :: v_dual_add_f32 v11, v11, v47
	v_dual_mul_f32 v31, v176, v105 :: v_dual_mul_f32 v33, v178, v107
	s_wait_loadcnt 0x6
	v_dual_mul_f32 v25, v163, v115 :: v_dual_fma_f32 v13, v174, v102, -v13
	v_dual_fmac_f32 v29, v175, v102 :: v_dual_add_f32 v9, v9, v27
	v_dual_add_f32 v11, v11, v43 :: v_dual_mul_f32 v27, v165, v117
	v_fmac_f32_e32 v31, v177, v104
	s_delay_alu instid0(VALU_DEP_3) | instskip(NEXT) | instid1(VALU_DEP_3)
	v_dual_fma_f32 v15, v176, v104, -v15 :: v_dual_add_f32 v9, v9, v29
	v_add_f32_e32 v11, v11, v13
	v_dual_mul_f32 v35, v180, v109 :: v_dual_mul_f32 v37, v182, v111
	s_wait_loadcnt 0x5
	v_dual_mul_f32 v13, v135, v119 :: v_dual_fma_f32 v17, v178, v106, -v17
	v_dual_fmac_f32 v33, v179, v106 :: v_dual_add_f32 v9, v9, v31
	v_dual_add_f32 v11, v11, v15 :: v_dual_mov_b32 v82, v121
	v_fmac_f32_e32 v35, v181, v108
	s_delay_alu instid0(VALU_DEP_3) | instskip(NEXT) | instid1(VALU_DEP_3)
	v_dual_fma_f32 v15, v180, v108, -v19 :: v_dual_add_f32 v9, v9, v33
	v_add_f32_e32 v11, v11, v17
	v_dual_mul_f32 v39, v184, v113 :: v_dual_mul_f32 v41, v162, v115
	s_delay_alu instid0(VALU_DEP_3) | instskip(NEXT) | instid1(VALU_DEP_3)
	v_dual_fmac_f32 v37, v183, v110 :: v_dual_add_f32 v9, v9, v35
	v_dual_fma_f32 v17, v182, v110, -v21 :: v_dual_add_f32 v11, v11, v15
	s_wait_loadcnt 0x4
	v_dual_mov_b32 v86, v125 :: v_dual_fma_f32 v15, v184, v112, -v23
	v_fmac_f32_e32 v39, v185, v112
	v_dual_add_f32 v9, v9, v37 :: v_dual_fmac_f32 v41, v163, v114
	v_add_f32_e32 v11, v11, v17
	v_dual_mul_f32 v201, v164, v117 :: v_dual_mul_f32 v203, v134, v119
	s_delay_alu instid0(VALU_DEP_3) | instskip(NEXT) | instid1(VALU_DEP_2)
	v_dual_fma_f32 v17, v162, v114, -v25 :: v_dual_add_f32 v9, v9, v39
	v_dual_add_f32 v11, v11, v15 :: v_dual_fmac_f32 v201, v165, v116
	v_fma_f32 v200, v164, v116, -v27
	v_pk_mul_f32 v[82:83], v[192:193], v[82:83] op_sel_hi:[1,0]
	s_delay_alu instid0(VALU_DEP_4)
	v_add_f32_e32 v91, v9, v41
	s_wait_loadcnt 0x3
	v_dual_add_f32 v90, v11, v17 :: v_dual_mov_b32 v92, v129
	v_pk_mul_f32 v[84:85], v[138:139], v[122:123] op_sel:[1,1] op_sel_hi:[0,1]
	v_dual_fmac_f32 v203, v135, v118 :: v_dual_fma_f32 v202, v134, v118, -v13
	v_pk_fma_f32 v[94:95], v[136:137], v[120:121], v[82:83] op_sel_hi:[1,0,1]
	s_delay_alu instid0(VALU_DEP_4)
	v_pk_add_f32 v[90:91], v[90:91], v[200:201]
	v_pk_fma_f32 v[82:83], v[136:137], v[120:121], v[82:83] neg_lo:[0,0,1] neg_hi:[0,0,1]
	v_pk_fma_f32 v[96:97], v[138:139], v[122:123], v[84:85] op_sel_hi:[1,0,1]
	v_pk_mul_f32 v[86:87], v[194:195], v[86:87] op_sel_hi:[1,0]
	v_mov_b32_e32 v83, v95
	v_pk_add_f32 v[90:91], v[90:91], v[202:203]
	v_pk_fma_f32 v[84:85], v[138:139], v[122:123], v[84:85] neg_lo:[0,0,1] neg_hi:[0,0,1]
	v_pk_mul_f32 v[88:89], v[142:143], v[126:127] op_sel:[1,1] op_sel_hi:[0,1]
	v_mov_b32_e32 v85, v97
	v_pk_fma_f32 v[96:97], v[140:141], v[124:125], v[86:87] op_sel_hi:[1,0,1]
	v_pk_add_f32 v[82:83], v[90:91], v[82:83]
	v_pk_fma_f32 v[86:87], v[140:141], v[124:125], v[86:87] neg_lo:[0,0,1] neg_hi:[0,0,1]
	v_pk_fma_f32 v[90:91], v[142:143], v[126:127], v[88:89] op_sel_hi:[1,0,1]
	v_pk_mul_f32 v[92:93], v[196:197], v[92:93] op_sel_hi:[1,0]
	v_mov_b32_e32 v87, v97
	v_pk_add_f32 v[82:83], v[82:83], v[84:85]
	v_pk_fma_f32 v[88:89], v[142:143], v[126:127], v[88:89] neg_lo:[0,0,1] neg_hi:[0,0,1]
	s_wait_loadcnt 0x2
	v_pk_mul_f32 v[94:95], v[146:147], v[130:131] op_sel:[1,1] op_sel_hi:[0,1]
	v_dual_mov_b32 v84, v133 :: v_dual_mov_b32 v89, v91
	v_pk_fma_f32 v[90:91], v[144:145], v[128:129], v[92:93] op_sel_hi:[1,0,1]
	v_pk_add_f32 v[82:83], v[82:83], v[86:87]
	v_pk_fma_f32 v[92:93], v[144:145], v[128:129], v[92:93] neg_lo:[0,0,1] neg_hi:[0,0,1]
	v_pk_fma_f32 v[86:87], v[146:147], v[130:131], v[94:95] op_sel_hi:[1,0,1]
	v_pk_mul_f32 v[84:85], v[198:199], v[84:85] op_sel_hi:[1,0]
	v_mov_b32_e32 v93, v91
	v_pk_add_f32 v[82:83], v[82:83], v[88:89]
	v_pk_fma_f32 v[88:89], v[146:147], v[130:131], v[94:95] neg_lo:[0,0,1] neg_hi:[0,0,1]
	v_mov_b32_e32 v89, v87
	v_pk_fma_f32 v[86:87], v[148:149], v[132:133], v[84:85] op_sel_hi:[1,0,1]
	s_wait_loadcnt_dscnt 0x100
	v_pk_mul_f32 v[90:91], v[190:191], v[186:187] op_sel:[1,1] op_sel_hi:[0,1]
	v_pk_add_f32 v[82:83], v[82:83], v[92:93]
	v_pk_fma_f32 v[84:85], v[148:149], v[132:133], v[84:85] neg_lo:[0,0,1] neg_hi:[0,0,1]
	v_mov_b32_e32 v85, v87
	s_delay_alu instid0(VALU_DEP_4) | instskip(NEXT) | instid1(VALU_DEP_4)
	v_pk_fma_f32 v[86:87], v[190:191], v[186:187], v[90:91] op_sel_hi:[1,0,1]
	v_pk_add_f32 v[82:83], v[82:83], v[88:89]
	v_pk_fma_f32 v[88:89], v[190:191], v[186:187], v[90:91] neg_lo:[0,0,1] neg_hi:[0,0,1]
	s_delay_alu instid0(VALU_DEP_3) | instskip(NEXT) | instid1(VALU_DEP_3)
	v_mov_b32_e32 v89, v87
	v_pk_add_f32 v[82:83], v[82:83], v[84:85]
	s_delay_alu instid0(VALU_DEP_1) | instskip(SKIP_1) | instid1(VALU_DEP_1)
	v_pk_add_f32 v[82:83], v[82:83], v[88:89]
	s_wait_loadcnt 0x0
	v_pk_add_f32 v[82:83], v[188:189], v[82:83] neg_lo:[0,1] neg_hi:[0,1]
	scratch_store_b64 off, v[82:83], off offset:96
	s_wait_xcnt 0x0
	v_cmpx_lt_u32_e32 11, v0
	s_cbranch_execz .LBB39_231
; %bb.230:
	scratch_load_b64 v[82:83], off, off offset:88
	v_mov_b64_e32 v[84:85], 0
	scratch_store_b64 off, v[84:85], off offset:88
	s_wait_loadcnt 0x0
	ds_store_b64 v1, v[82:83]
.LBB39_231:
	s_wait_xcnt 0x0
	s_or_b32 exec_lo, exec_lo, s0
	s_wait_storecnt_dscnt 0x0
	s_barrier_signal -1
	s_barrier_wait -1
	s_clause 0xe
	scratch_load_b128 v[82:85], off, off offset:96
	scratch_load_b128 v[86:89], off, off offset:112
	scratch_load_b128 v[90:93], off, off offset:128
	scratch_load_b128 v[94:97], off, off offset:144
	scratch_load_b128 v[98:101], off, off offset:160
	scratch_load_b128 v[102:105], off, off offset:176
	scratch_load_b128 v[106:109], off, off offset:192
	scratch_load_b128 v[110:113], off, off offset:208
	scratch_load_b128 v[114:117], off, off offset:224
	scratch_load_b128 v[118:121], off, off offset:240
	scratch_load_b128 v[122:125], off, off offset:256
	scratch_load_b128 v[126:129], off, off offset:272
	scratch_load_b128 v[130:133], off, off offset:288
	scratch_load_b128 v[134:137], off, off offset:304
	scratch_load_b64 v[194:195], off, off offset:88
	ds_load_b128 v[138:141], v5 offset:576
	ds_load_b128 v[142:145], v5 offset:592
	;; [unrolled: 1-line block ×14, first 2 shown]
	s_mov_b32 s0, exec_lo
	s_wait_dscnt 0xd
	v_dual_mov_b32 v196, v141 :: v_dual_mov_b32 v197, v140
	s_wait_dscnt 0xc
	v_dual_mov_b32 v198, v145 :: v_dual_mov_b32 v199, v144
	;; [unrolled: 2-line block ×4, first 2 shown]
	s_wait_loadcnt_dscnt 0xe09
	v_dual_mul_f32 v5, v154, v83 :: v_dual_mul_f32 v9, v156, v85
	v_dual_mul_f32 v43, v155, v83 :: v_dual_mul_f32 v45, v157, v85
	s_wait_loadcnt_dscnt 0xd08
	v_dual_mul_f32 v11, v158, v87 :: v_dual_mul_f32 v13, v160, v89
	s_delay_alu instid0(VALU_DEP_2) | instskip(SKIP_3) | instid1(VALU_DEP_3)
	v_dual_fmac_f32 v5, v155, v82 :: v_dual_fma_f32 v43, v154, v82, -v43
	v_dual_mul_f32 v47, v159, v87 :: v_dual_mul_f32 v49, v161, v89
	s_wait_loadcnt_dscnt 0xb06
	v_dual_mul_f32 v55, v167, v95 :: v_dual_fmac_f32 v9, v157, v84
	v_dual_fma_f32 v45, v156, v84, -v45 :: v_dual_add_f32 v5, 0, v5
	v_dual_add_f32 v43, 0, v43 :: v_dual_mul_f32 v57, v169, v97
	v_fmac_f32_e32 v11, v159, v86
	s_delay_alu instid0(VALU_DEP_3) | instskip(NEXT) | instid1(VALU_DEP_3)
	v_dual_fma_f32 v47, v158, v86, -v47 :: v_dual_add_f32 v5, v5, v9
	v_dual_add_f32 v9, v43, v45 :: v_dual_mul_f32 v15, v162, v91
	v_dual_mul_f32 v17, v164, v93 :: v_dual_mul_f32 v51, v163, v91
	v_dual_mul_f32 v53, v165, v93 :: v_dual_fma_f32 v45, v160, v88, -v49
	s_delay_alu instid0(VALU_DEP_4) | instskip(NEXT) | instid1(VALU_DEP_4)
	v_add_f32_e32 v5, v5, v11
	v_dual_add_f32 v9, v9, v47 :: v_dual_fmac_f32 v15, v163, v90
	s_wait_loadcnt_dscnt 0xa05
	v_dual_mul_f32 v43, v171, v99 :: v_dual_fmac_f32 v13, v161, v88
	v_dual_mul_f32 v11, v173, v101 :: v_dual_fma_f32 v47, v162, v90, -v51
	s_delay_alu instid0(VALU_DEP_3) | instskip(SKIP_1) | instid1(VALU_DEP_3)
	v_dual_add_f32 v9, v9, v45 :: v_dual_fma_f32 v45, v164, v92, -v53
	s_wait_loadcnt_dscnt 0x904
	v_dual_add_f32 v5, v5, v13 :: v_dual_mul_f32 v13, v175, v103
	v_dual_mul_f32 v19, v166, v95 :: v_dual_mul_f32 v21, v168, v97
	s_delay_alu instid0(VALU_DEP_3) | instskip(SKIP_1) | instid1(VALU_DEP_4)
	v_add_f32_e32 v9, v9, v47
	v_fmac_f32_e32 v17, v165, v92
	v_dual_add_f32 v5, v5, v15 :: v_dual_fma_f32 v47, v166, v94, -v55
	v_dual_mul_f32 v23, v170, v99 :: v_dual_mul_f32 v25, v172, v101
	s_delay_alu instid0(VALU_DEP_4) | instskip(NEXT) | instid1(VALU_DEP_3)
	v_dual_add_f32 v9, v9, v45 :: v_dual_fma_f32 v43, v170, v98, -v43
	v_dual_fmac_f32 v19, v167, v94 :: v_dual_add_f32 v5, v5, v17
	s_delay_alu instid0(VALU_DEP_3) | instskip(NEXT) | instid1(VALU_DEP_3)
	v_dual_fmac_f32 v23, v171, v98 :: v_dual_fma_f32 v45, v168, v96, -v57
	v_dual_add_f32 v9, v9, v47 :: v_dual_fma_f32 v13, v174, v102, -v13
	v_dual_mul_f32 v27, v174, v103 :: v_dual_mul_f32 v29, v176, v105
	s_wait_loadcnt_dscnt 0x803
	v_dual_mul_f32 v15, v177, v105 :: v_dual_mul_f32 v17, v179, v107
	s_delay_alu instid0(VALU_DEP_2) | instskip(SKIP_1) | instid1(VALU_DEP_3)
	v_dual_fmac_f32 v21, v169, v96 :: v_dual_fmac_f32 v27, v175, v102
	v_dual_add_f32 v5, v5, v19 :: v_dual_fma_f32 v11, v172, v100, -v11
	v_dual_add_f32 v9, v9, v45 :: v_dual_fma_f32 v15, v176, v104, -v15
	v_mul_f32_e32 v19, v181, v109
	s_wait_loadcnt_dscnt 0x702
	s_delay_alu instid0(VALU_DEP_3) | instskip(NEXT) | instid1(VALU_DEP_3)
	v_dual_add_f32 v5, v5, v21 :: v_dual_mul_f32 v21, v183, v111
	v_add_f32_e32 v9, v9, v43
	v_dual_mul_f32 v31, v178, v107 :: v_dual_mul_f32 v33, v180, v109
	v_fma_f32 v19, v180, v108, -v19
	v_fmac_f32_e32 v25, v173, v100
	s_delay_alu instid0(VALU_DEP_4) | instskip(SKIP_3) | instid1(VALU_DEP_3)
	v_dual_add_f32 v9, v9, v11 :: v_dual_fma_f32 v21, v182, v110, -v21
	s_wait_loadcnt_dscnt 0x601
	v_mul_f32_e32 v11, v187, v115
	v_dual_add_f32 v5, v5, v23 :: v_dual_fma_f32 v17, v178, v106, -v17
	v_dual_add_f32 v9, v9, v13 :: v_dual_mul_f32 v35, v182, v111
	s_wait_loadcnt_dscnt 0x500
	v_dual_mul_f32 v37, v184, v113 :: v_dual_mul_f32 v205, v190, v119
	v_dual_mul_f32 v207, v192, v121 :: v_dual_fmac_f32 v31, v179, v106
	s_delay_alu instid0(VALU_DEP_3) | instskip(SKIP_1) | instid1(VALU_DEP_4)
	v_dual_add_f32 v5, v5, v25 :: v_dual_fmac_f32 v35, v183, v110
	v_dual_fma_f32 v11, v186, v114, -v11 :: v_dual_add_f32 v9, v9, v15
	v_dual_fmac_f32 v205, v191, v118 :: v_dual_mul_f32 v39, v186, v115
	v_mul_f32_e32 v41, v188, v117
	v_dual_mul_f32 v23, v185, v113 :: v_dual_mul_f32 v15, v191, v119
	s_delay_alu instid0(VALU_DEP_3) | instskip(SKIP_4) | instid1(VALU_DEP_3)
	v_dual_fmac_f32 v29, v177, v104 :: v_dual_fmac_f32 v39, v187, v114
	v_add_f32_e32 v5, v5, v27
	v_add_f32_e32 v9, v9, v17
	v_dual_mul_f32 v13, v189, v117 :: v_dual_fmac_f32 v41, v189, v116
	v_dual_fmac_f32 v33, v181, v108 :: v_dual_fma_f32 v204, v190, v118, -v15
	v_dual_add_f32 v9, v9, v19 :: v_dual_fma_f32 v19, v184, v112, -v23
	s_delay_alu instid0(VALU_DEP_3) | instskip(SKIP_2) | instid1(VALU_DEP_3)
	v_dual_add_f32 v5, v5, v29 :: v_dual_fma_f32 v13, v188, v116, -v13
	v_dual_mul_f32 v17, v193, v121 :: v_dual_fmac_f32 v207, v193, v120
	v_fmac_f32_e32 v37, v185, v112
	v_add_f32_e32 v5, v5, v31
	s_delay_alu instid0(VALU_DEP_3)
	v_dual_add_f32 v9, v9, v21 :: v_dual_fma_f32 v206, v192, v120, -v17
	s_wait_loadcnt 0x4
	v_pk_mul_f32 v[82:83], v[138:139], v[122:123] op_sel:[1,1] op_sel_hi:[0,1]
	s_wait_loadcnt 0x3
	v_dual_mov_b32 v84, v125 :: v_dual_mov_b32 v88, v129
	v_add_f32_e32 v5, v5, v33
	v_add_f32_e32 v9, v9, v19
	v_pk_fma_f32 v[92:93], v[138:139], v[122:123], v[82:83] op_sel_hi:[1,0,1]
	s_delay_alu instid0(VALU_DEP_4)
	v_pk_mul_f32 v[84:85], v[196:197], v[84:85] op_sel_hi:[1,0]
	v_pk_fma_f32 v[82:83], v[138:139], v[122:123], v[82:83] neg_lo:[0,0,1] neg_hi:[0,0,1]
	v_add_f32_e32 v5, v5, v35
	v_add_f32_e32 v9, v9, v11
	v_pk_mul_f32 v[86:87], v[142:143], v[126:127] op_sel:[1,1] op_sel_hi:[0,1]
	v_mov_b32_e32 v83, v93
	v_pk_fma_f32 v[92:93], v[140:141], v[124:125], v[84:85] op_sel_hi:[1,0,1]
	v_add_f32_e32 v5, v5, v37
	v_add_f32_e32 v90, v9, v13
	v_pk_fma_f32 v[84:85], v[140:141], v[124:125], v[84:85] neg_lo:[0,0,1] neg_hi:[0,0,1]
	v_pk_fma_f32 v[96:97], v[142:143], v[126:127], v[86:87] op_sel_hi:[1,0,1]
	v_pk_mul_f32 v[88:89], v[198:199], v[88:89] op_sel_hi:[1,0]
	v_add_f32_e32 v5, v5, v39
	v_mov_b32_e32 v85, v93
	s_wait_loadcnt 0x2
	v_pk_mul_f32 v[94:95], v[146:147], v[130:131] op_sel:[1,1] op_sel_hi:[0,1]
	v_pk_fma_f32 v[86:87], v[142:143], v[126:127], v[86:87] neg_lo:[0,0,1] neg_hi:[0,0,1]
	v_mov_b32_e32 v87, v97
	v_add_f32_e32 v91, v5, v41
	v_pk_fma_f32 v[92:93], v[144:145], v[128:129], v[88:89] op_sel_hi:[1,0,1]
	v_pk_fma_f32 v[88:89], v[144:145], v[128:129], v[88:89] neg_lo:[0,0,1] neg_hi:[0,0,1]
	s_delay_alu instid0(VALU_DEP_3) | instskip(NEXT) | instid1(VALU_DEP_1)
	v_pk_add_f32 v[90:91], v[90:91], v[204:205]
	v_pk_add_f32 v[90:91], v[90:91], v[206:207]
	s_delay_alu instid0(VALU_DEP_1) | instskip(SKIP_1) | instid1(VALU_DEP_2)
	v_pk_add_f32 v[82:83], v[90:91], v[82:83]
	v_mov_b32_e32 v90, v133
	v_pk_add_f32 v[82:83], v[82:83], v[84:85]
	v_pk_fma_f32 v[84:85], v[146:147], v[130:131], v[94:95] op_sel_hi:[1,0,1]
	s_delay_alu instid0(VALU_DEP_3)
	v_pk_mul_f32 v[90:91], v[200:201], v[90:91] op_sel_hi:[1,0]
	v_mov_b32_e32 v89, v93
	v_pk_fma_f32 v[92:93], v[146:147], v[130:131], v[94:95] neg_lo:[0,0,1] neg_hi:[0,0,1]
	v_pk_add_f32 v[82:83], v[82:83], v[86:87]
	v_mov_b32_e32 v93, v85
	v_pk_fma_f32 v[84:85], v[148:149], v[132:133], v[90:91] op_sel_hi:[1,0,1]
	s_wait_loadcnt 0x1
	v_pk_mul_f32 v[86:87], v[150:151], v[134:135] op_sel:[1,1] op_sel_hi:[0,1]
	v_mov_b32_e32 v84, v137
	v_pk_add_f32 v[82:83], v[82:83], v[88:89]
	v_pk_fma_f32 v[90:91], v[148:149], v[132:133], v[90:91] neg_lo:[0,0,1] neg_hi:[0,0,1]
	v_mov_b32_e32 v91, v85
	v_pk_fma_f32 v[88:89], v[150:151], v[134:135], v[86:87] op_sel_hi:[1,0,1]
	v_pk_mul_f32 v[84:85], v[202:203], v[84:85] op_sel_hi:[1,0]
	v_pk_add_f32 v[82:83], v[82:83], v[92:93]
	v_pk_fma_f32 v[86:87], v[150:151], v[134:135], v[86:87] neg_lo:[0,0,1] neg_hi:[0,0,1]
	s_delay_alu instid0(VALU_DEP_4) | instskip(NEXT) | instid1(VALU_DEP_4)
	v_mov_b32_e32 v87, v89
	v_pk_fma_f32 v[88:89], v[152:153], v[136:137], v[84:85] op_sel_hi:[1,0,1]
	s_delay_alu instid0(VALU_DEP_4) | instskip(SKIP_1) | instid1(VALU_DEP_3)
	v_pk_add_f32 v[82:83], v[82:83], v[90:91]
	v_pk_fma_f32 v[84:85], v[152:153], v[136:137], v[84:85] neg_lo:[0,0,1] neg_hi:[0,0,1]
	v_mov_b32_e32 v85, v89
	s_delay_alu instid0(VALU_DEP_3) | instskip(NEXT) | instid1(VALU_DEP_1)
	v_pk_add_f32 v[82:83], v[82:83], v[86:87]
	v_pk_add_f32 v[82:83], v[82:83], v[84:85]
	s_wait_loadcnt 0x0
	s_delay_alu instid0(VALU_DEP_1)
	v_pk_add_f32 v[82:83], v[194:195], v[82:83] neg_lo:[0,1] neg_hi:[0,1]
	scratch_store_b64 off, v[82:83], off offset:88
	s_wait_xcnt 0x0
	v_cmpx_lt_u32_e32 10, v0
	s_cbranch_execz .LBB39_233
; %bb.232:
	scratch_load_b64 v[82:83], off, off offset:80
	v_mov_b64_e32 v[84:85], 0
	scratch_store_b64 off, v[84:85], off offset:80
	s_wait_loadcnt 0x0
	ds_store_b64 v1, v[82:83]
.LBB39_233:
	s_wait_xcnt 0x0
	s_or_b32 exec_lo, exec_lo, s0
	s_wait_storecnt_dscnt 0x0
	s_barrier_signal -1
	s_barrier_wait -1
	s_clause 0xf
	scratch_load_b128 v[82:85], off, off offset:88
	scratch_load_b128 v[86:89], off, off offset:104
	;; [unrolled: 1-line block ×14, first 2 shown]
	scratch_load_b64 v[194:195], off, off offset:312
	scratch_load_b64 v[196:197], off, off offset:80
	v_mov_b32_e32 v5, 0
	ds_load_2addr_b64 v[138:141], v5 offset0:71 offset1:72
	ds_load_2addr_b64 v[142:145], v5 offset0:73 offset1:74
	;; [unrolled: 1-line block ×14, first 2 shown]
	ds_load_b64 v[198:199], v5 offset:632
	s_mov_b32 s0, exec_lo
	s_wait_dscnt 0xe
	v_dual_mov_b32 v200, v141 :: v_dual_mov_b32 v201, v140
	s_wait_dscnt 0xb
	v_dual_mov_b32 v202, v145 :: v_dual_mov_b32 v207, v152
	v_dual_mov_b32 v203, v144 :: v_dual_mov_b32 v204, v149
	;; [unrolled: 1-line block ×3, first 2 shown]
	s_wait_loadcnt_dscnt 0xf0a
	v_dual_mul_f32 v9, v154, v83 :: v_dual_mul_f32 v47, v155, v83
	v_dual_mul_f32 v49, v157, v85 :: v_dual_mul_f32 v11, v156, v85
	s_wait_loadcnt_dscnt 0xe09
	v_mul_f32_e32 v13, v158, v87
	s_wait_loadcnt_dscnt 0xc07
	v_dual_mul_f32 v59, v167, v95 :: v_dual_fma_f32 v47, v154, v82, -v47
	v_dual_fmac_f32 v9, v155, v82 :: v_dual_mul_f32 v61, v169, v97
	v_dual_mul_f32 v51, v159, v87 :: v_dual_mul_f32 v53, v161, v89
	v_dual_fmac_f32 v11, v157, v84 :: v_dual_fma_f32 v49, v156, v84, -v49
	s_delay_alu instid0(VALU_DEP_3) | instskip(SKIP_3) | instid1(VALU_DEP_3)
	v_dual_add_f32 v9, 0, v9 :: v_dual_add_f32 v47, 0, v47
	v_dual_mul_f32 v15, v160, v89 :: v_dual_mul_f32 v17, v162, v91
	s_wait_loadcnt_dscnt 0xb06
	v_dual_mul_f32 v63, v171, v99 :: v_dual_fma_f32 v51, v158, v86, -v51
	v_dual_fmac_f32 v13, v159, v86 :: v_dual_add_f32 v9, v9, v11
	s_delay_alu instid0(VALU_DEP_3) | instskip(SKIP_2) | instid1(VALU_DEP_3)
	v_dual_add_f32 v11, v47, v49 :: v_dual_fmac_f32 v15, v161, v88
	v_dual_mul_f32 v55, v163, v91 :: v_dual_mul_f32 v57, v165, v93
	v_dual_mul_f32 v47, v173, v101 :: v_dual_fma_f32 v49, v160, v88, -v53
	v_dual_add_f32 v9, v9, v13 :: v_dual_add_f32 v11, v11, v51
	v_dual_mul_f32 v19, v164, v93 :: v_dual_mul_f32 v21, v166, v95
	s_wait_loadcnt_dscnt 0xa05
	v_dual_mul_f32 v13, v175, v103 :: v_dual_fma_f32 v51, v162, v90, -v55
	s_delay_alu instid0(VALU_DEP_3) | instskip(NEXT) | instid1(VALU_DEP_3)
	v_dual_fmac_f32 v17, v163, v90 :: v_dual_add_f32 v9, v9, v15
	v_dual_add_f32 v11, v11, v49 :: v_dual_fmac_f32 v19, v165, v92
	v_dual_mul_f32 v15, v177, v105 :: v_dual_fma_f32 v49, v164, v92, -v57
	s_delay_alu instid0(VALU_DEP_2) | instskip(SKIP_3) | instid1(VALU_DEP_3)
	v_dual_add_f32 v9, v9, v17 :: v_dual_add_f32 v11, v11, v51
	v_dual_mul_f32 v23, v168, v97 :: v_dual_mul_f32 v25, v170, v99
	s_wait_loadcnt_dscnt 0x904
	v_dual_mul_f32 v17, v179, v107 :: v_dual_fma_f32 v51, v166, v94, -v59
	v_dual_fmac_f32 v21, v167, v94 :: v_dual_add_f32 v9, v9, v19
	s_delay_alu instid0(VALU_DEP_3) | instskip(SKIP_1) | instid1(VALU_DEP_2)
	v_dual_add_f32 v11, v11, v49 :: v_dual_fmac_f32 v23, v169, v96
	v_dual_mul_f32 v19, v181, v109 :: v_dual_fma_f32 v49, v168, v96, -v61
	v_dual_add_f32 v9, v9, v21 :: v_dual_add_f32 v11, v11, v51
	v_dual_mul_f32 v27, v172, v101 :: v_dual_mul_f32 v29, v174, v103
	s_wait_loadcnt_dscnt 0x803
	v_dual_mul_f32 v21, v183, v111 :: v_dual_fma_f32 v51, v170, v98, -v63
	s_delay_alu instid0(VALU_DEP_3) | instskip(NEXT) | instid1(VALU_DEP_3)
	v_dual_fmac_f32 v25, v171, v98 :: v_dual_add_f32 v9, v9, v23
	v_dual_add_f32 v11, v11, v49 :: v_dual_fmac_f32 v27, v173, v100
	v_dual_mul_f32 v23, v185, v113 :: v_dual_fma_f32 v47, v172, v100, -v47
	s_delay_alu instid0(VALU_DEP_2) | instskip(SKIP_3) | instid1(VALU_DEP_3)
	v_dual_add_f32 v9, v9, v25 :: v_dual_add_f32 v11, v11, v51
	v_dual_mul_f32 v31, v176, v105 :: v_dual_mul_f32 v33, v178, v107
	s_wait_loadcnt_dscnt 0x702
	v_dual_mul_f32 v25, v187, v115 :: v_dual_fma_f32 v13, v174, v102, -v13
	v_dual_fmac_f32 v29, v175, v102 :: v_dual_add_f32 v9, v9, v27
	v_dual_add_f32 v11, v11, v47 :: v_dual_mul_f32 v27, v189, v117
	v_fmac_f32_e32 v31, v177, v104
	s_delay_alu instid0(VALU_DEP_3) | instskip(NEXT) | instid1(VALU_DEP_3)
	v_dual_fma_f32 v15, v176, v104, -v15 :: v_dual_add_f32 v9, v9, v29
	v_add_f32_e32 v11, v11, v13
	v_dual_mul_f32 v35, v180, v109 :: v_dual_mul_f32 v37, v182, v111
	s_wait_loadcnt_dscnt 0x601
	v_dual_mul_f32 v13, v191, v119 :: v_dual_fma_f32 v17, v178, v106, -v17
	v_dual_fmac_f32 v33, v179, v106 :: v_dual_add_f32 v9, v9, v31
	v_dual_add_f32 v11, v11, v15 :: v_dual_mul_f32 v15, v193, v121
	v_fmac_f32_e32 v35, v181, v108
	s_delay_alu instid0(VALU_DEP_3) | instskip(NEXT) | instid1(VALU_DEP_3)
	v_dual_fma_f32 v19, v180, v108, -v19 :: v_dual_add_f32 v9, v9, v33
	v_add_f32_e32 v11, v11, v17
	v_dual_mul_f32 v39, v184, v113 :: v_dual_mul_f32 v41, v186, v115
	s_wait_loadcnt 0x5
	v_dual_mul_f32 v17, v139, v123 :: v_dual_fma_f32 v21, v182, v110, -v21
	v_dual_fmac_f32 v37, v183, v110 :: v_dual_add_f32 v9, v9, v35
	v_dual_add_f32 v11, v11, v19 :: v_dual_mov_b32 v82, v125
	v_fmac_f32_e32 v39, v185, v112
	s_delay_alu instid0(VALU_DEP_3) | instskip(NEXT) | instid1(VALU_DEP_3)
	v_dual_fma_f32 v19, v184, v112, -v23 :: v_dual_add_f32 v9, v9, v37
	v_add_f32_e32 v11, v11, v21
	v_dual_mul_f32 v43, v188, v117 :: v_dual_mul_f32 v45, v190, v119
	s_delay_alu instid0(VALU_DEP_3) | instskip(NEXT) | instid1(VALU_DEP_3)
	v_dual_fmac_f32 v41, v187, v114 :: v_dual_add_f32 v9, v9, v39
	v_dual_fma_f32 v21, v186, v114, -v25 :: v_dual_add_f32 v11, v11, v19
	s_wait_loadcnt 0x4
	v_dual_mov_b32 v86, v129 :: v_dual_fma_f32 v19, v188, v116, -v27
	v_fmac_f32_e32 v43, v189, v116
	v_dual_add_f32 v9, v9, v41 :: v_dual_fmac_f32 v45, v191, v118
	v_add_f32_e32 v11, v11, v21
	v_dual_mul_f32 v209, v192, v121 :: v_dual_mul_f32 v211, v138, v123
	s_delay_alu instid0(VALU_DEP_3) | instskip(NEXT) | instid1(VALU_DEP_2)
	v_dual_fma_f32 v13, v190, v118, -v13 :: v_dual_add_f32 v9, v9, v43
	v_dual_add_f32 v11, v11, v19 :: v_dual_fmac_f32 v209, v193, v120
	v_fma_f32 v208, v192, v120, -v15
	v_pk_mul_f32 v[82:83], v[200:201], v[82:83] op_sel_hi:[1,0]
	s_delay_alu instid0(VALU_DEP_4)
	v_add_f32_e32 v91, v9, v45
	s_wait_loadcnt 0x3
	v_dual_add_f32 v90, v11, v13 :: v_dual_mov_b32 v92, v133
	v_pk_mul_f32 v[84:85], v[142:143], v[126:127] op_sel:[1,1] op_sel_hi:[0,1]
	v_dual_fmac_f32 v211, v139, v122 :: v_dual_fma_f32 v210, v138, v122, -v17
	v_pk_fma_f32 v[94:95], v[140:141], v[124:125], v[82:83] op_sel_hi:[1,0,1]
	s_delay_alu instid0(VALU_DEP_4)
	v_pk_add_f32 v[90:91], v[90:91], v[208:209]
	v_pk_fma_f32 v[82:83], v[140:141], v[124:125], v[82:83] neg_lo:[0,0,1] neg_hi:[0,0,1]
	v_pk_fma_f32 v[96:97], v[142:143], v[126:127], v[84:85] op_sel_hi:[1,0,1]
	v_pk_mul_f32 v[86:87], v[202:203], v[86:87] op_sel_hi:[1,0]
	v_mov_b32_e32 v83, v95
	v_pk_add_f32 v[90:91], v[90:91], v[210:211]
	v_pk_fma_f32 v[84:85], v[142:143], v[126:127], v[84:85] neg_lo:[0,0,1] neg_hi:[0,0,1]
	v_pk_mul_f32 v[88:89], v[146:147], v[130:131] op_sel:[1,1] op_sel_hi:[0,1]
	v_mov_b32_e32 v85, v97
	v_pk_fma_f32 v[96:97], v[144:145], v[128:129], v[86:87] op_sel_hi:[1,0,1]
	v_pk_add_f32 v[82:83], v[90:91], v[82:83]
	v_pk_fma_f32 v[86:87], v[144:145], v[128:129], v[86:87] neg_lo:[0,0,1] neg_hi:[0,0,1]
	v_pk_fma_f32 v[90:91], v[146:147], v[130:131], v[88:89] op_sel_hi:[1,0,1]
	v_pk_mul_f32 v[92:93], v[204:205], v[92:93] op_sel_hi:[1,0]
	v_mov_b32_e32 v87, v97
	v_pk_add_f32 v[82:83], v[82:83], v[84:85]
	v_pk_fma_f32 v[88:89], v[146:147], v[130:131], v[88:89] neg_lo:[0,0,1] neg_hi:[0,0,1]
	s_wait_loadcnt 0x2
	v_pk_mul_f32 v[94:95], v[150:151], v[134:135] op_sel:[1,1] op_sel_hi:[0,1]
	v_dual_mov_b32 v84, v137 :: v_dual_mov_b32 v89, v91
	v_pk_fma_f32 v[90:91], v[148:149], v[132:133], v[92:93] op_sel_hi:[1,0,1]
	v_pk_add_f32 v[82:83], v[82:83], v[86:87]
	v_pk_fma_f32 v[92:93], v[148:149], v[132:133], v[92:93] neg_lo:[0,0,1] neg_hi:[0,0,1]
	v_pk_fma_f32 v[86:87], v[150:151], v[134:135], v[94:95] op_sel_hi:[1,0,1]
	v_pk_mul_f32 v[84:85], v[206:207], v[84:85] op_sel_hi:[1,0]
	v_mov_b32_e32 v93, v91
	v_pk_add_f32 v[82:83], v[82:83], v[88:89]
	v_pk_fma_f32 v[88:89], v[150:151], v[134:135], v[94:95] neg_lo:[0,0,1] neg_hi:[0,0,1]
	v_mov_b32_e32 v89, v87
	v_pk_fma_f32 v[86:87], v[152:153], v[136:137], v[84:85] op_sel_hi:[1,0,1]
	s_wait_loadcnt_dscnt 0x100
	v_pk_mul_f32 v[90:91], v[198:199], v[194:195] op_sel:[1,1] op_sel_hi:[0,1]
	v_pk_add_f32 v[82:83], v[82:83], v[92:93]
	v_pk_fma_f32 v[84:85], v[152:153], v[136:137], v[84:85] neg_lo:[0,0,1] neg_hi:[0,0,1]
	v_mov_b32_e32 v85, v87
	s_delay_alu instid0(VALU_DEP_4) | instskip(NEXT) | instid1(VALU_DEP_4)
	v_pk_fma_f32 v[86:87], v[198:199], v[194:195], v[90:91] op_sel_hi:[1,0,1]
	v_pk_add_f32 v[82:83], v[82:83], v[88:89]
	v_pk_fma_f32 v[88:89], v[198:199], v[194:195], v[90:91] neg_lo:[0,0,1] neg_hi:[0,0,1]
	s_delay_alu instid0(VALU_DEP_3) | instskip(NEXT) | instid1(VALU_DEP_3)
	v_mov_b32_e32 v89, v87
	v_pk_add_f32 v[82:83], v[82:83], v[84:85]
	s_delay_alu instid0(VALU_DEP_1) | instskip(SKIP_1) | instid1(VALU_DEP_1)
	v_pk_add_f32 v[82:83], v[82:83], v[88:89]
	s_wait_loadcnt 0x0
	v_pk_add_f32 v[82:83], v[196:197], v[82:83] neg_lo:[0,1] neg_hi:[0,1]
	scratch_store_b64 off, v[82:83], off offset:80
	s_wait_xcnt 0x0
	v_cmpx_lt_u32_e32 9, v0
	s_cbranch_execz .LBB39_235
; %bb.234:
	scratch_load_b64 v[82:83], off, off offset:72
	v_mov_b64_e32 v[84:85], 0
	scratch_store_b64 off, v[84:85], off offset:72
	s_wait_loadcnt 0x0
	ds_store_b64 v1, v[82:83]
.LBB39_235:
	s_wait_xcnt 0x0
	s_or_b32 exec_lo, exec_lo, s0
	s_wait_storecnt_dscnt 0x0
	s_barrier_signal -1
	s_barrier_wait -1
	s_clause 0xf
	scratch_load_b128 v[82:85], off, off offset:80
	scratch_load_b128 v[86:89], off, off offset:96
	;; [unrolled: 1-line block ×15, first 2 shown]
	scratch_load_b64 v[202:203], off, off offset:72
	ds_load_b128 v[142:145], v5 offset:576
	ds_load_b128 v[146:149], v5 offset:592
	;; [unrolled: 1-line block ×15, first 2 shown]
	s_mov_b32 s0, exec_lo
	s_wait_dscnt 0xe
	v_dual_mov_b32 v204, v145 :: v_dual_mov_b32 v205, v144
	s_wait_dscnt 0xd
	v_dual_mov_b32 v206, v149 :: v_dual_mov_b32 v207, v148
	;; [unrolled: 2-line block ×4, first 2 shown]
	s_wait_loadcnt_dscnt 0xf0a
	v_dual_mul_f32 v5, v158, v83 :: v_dual_mul_f32 v9, v160, v85
	v_dual_mul_f32 v47, v159, v83 :: v_dual_mul_f32 v49, v161, v85
	s_wait_loadcnt_dscnt 0xe09
	v_dual_mul_f32 v11, v162, v87 :: v_dual_mul_f32 v13, v164, v89
	s_delay_alu instid0(VALU_DEP_2) | instskip(SKIP_3) | instid1(VALU_DEP_3)
	v_dual_fmac_f32 v5, v159, v82 :: v_dual_fma_f32 v47, v158, v82, -v47
	v_dual_mul_f32 v51, v163, v87 :: v_dual_mul_f32 v53, v165, v89
	s_wait_loadcnt_dscnt 0xc06
	v_dual_mul_f32 v59, v175, v95 :: v_dual_fmac_f32 v9, v161, v84
	v_dual_fma_f32 v49, v160, v84, -v49 :: v_dual_add_f32 v5, 0, v5
	v_dual_add_f32 v47, 0, v47 :: v_dual_mul_f32 v61, v177, v97
	v_fmac_f32_e32 v11, v163, v86
	s_delay_alu instid0(VALU_DEP_3) | instskip(NEXT) | instid1(VALU_DEP_3)
	v_dual_fma_f32 v51, v162, v86, -v51 :: v_dual_add_f32 v5, v5, v9
	v_dual_add_f32 v9, v47, v49 :: v_dual_mul_f32 v15, v170, v91
	v_dual_mul_f32 v17, v172, v93 :: v_dual_mul_f32 v55, v171, v91
	v_dual_mul_f32 v57, v173, v93 :: v_dual_fma_f32 v49, v164, v88, -v53
	s_delay_alu instid0(VALU_DEP_4) | instskip(NEXT) | instid1(VALU_DEP_4)
	v_add_f32_e32 v5, v5, v11
	v_dual_add_f32 v9, v9, v51 :: v_dual_fmac_f32 v15, v171, v90
	s_wait_loadcnt_dscnt 0xb05
	v_dual_mul_f32 v47, v179, v99 :: v_dual_fmac_f32 v13, v165, v88
	v_dual_mul_f32 v11, v181, v101 :: v_dual_fma_f32 v51, v170, v90, -v55
	s_delay_alu instid0(VALU_DEP_3) | instskip(SKIP_1) | instid1(VALU_DEP_3)
	v_dual_add_f32 v9, v9, v49 :: v_dual_fma_f32 v49, v172, v92, -v57
	s_wait_loadcnt_dscnt 0xa04
	v_dual_add_f32 v5, v5, v13 :: v_dual_mul_f32 v13, v183, v103
	v_dual_mul_f32 v19, v174, v95 :: v_dual_mul_f32 v21, v176, v97
	s_delay_alu instid0(VALU_DEP_3) | instskip(SKIP_1) | instid1(VALU_DEP_4)
	v_add_f32_e32 v9, v9, v51
	v_fmac_f32_e32 v17, v173, v92
	v_dual_add_f32 v5, v5, v15 :: v_dual_fma_f32 v51, v174, v94, -v59
	v_dual_mul_f32 v23, v178, v99 :: v_dual_mul_f32 v25, v180, v101
	s_delay_alu instid0(VALU_DEP_4) | instskip(NEXT) | instid1(VALU_DEP_3)
	v_dual_add_f32 v9, v9, v49 :: v_dual_fma_f32 v47, v178, v98, -v47
	v_dual_fmac_f32 v19, v175, v94 :: v_dual_add_f32 v5, v5, v17
	s_delay_alu instid0(VALU_DEP_3) | instskip(NEXT) | instid1(VALU_DEP_3)
	v_dual_fmac_f32 v23, v179, v98 :: v_dual_fma_f32 v49, v176, v96, -v61
	v_dual_add_f32 v9, v9, v51 :: v_dual_fma_f32 v13, v182, v102, -v13
	v_dual_mul_f32 v27, v182, v103 :: v_dual_mul_f32 v29, v184, v105
	s_wait_loadcnt_dscnt 0x903
	v_dual_mul_f32 v15, v185, v105 :: v_dual_mul_f32 v17, v187, v107
	s_delay_alu instid0(VALU_DEP_2) | instskip(SKIP_1) | instid1(VALU_DEP_3)
	v_dual_fmac_f32 v21, v177, v96 :: v_dual_fmac_f32 v27, v183, v102
	v_dual_add_f32 v5, v5, v19 :: v_dual_fma_f32 v11, v180, v100, -v11
	v_dual_add_f32 v9, v9, v49 :: v_dual_fma_f32 v15, v184, v104, -v15
	v_mul_f32_e32 v19, v189, v109
	s_wait_loadcnt_dscnt 0x802
	s_delay_alu instid0(VALU_DEP_3) | instskip(NEXT) | instid1(VALU_DEP_3)
	v_dual_add_f32 v5, v5, v21 :: v_dual_mul_f32 v21, v191, v111
	v_add_f32_e32 v9, v9, v47
	s_wait_loadcnt_dscnt 0x701
	v_dual_mul_f32 v39, v194, v115 :: v_dual_mul_f32 v41, v196, v117
	s_delay_alu instid0(VALU_DEP_3) | instskip(NEXT) | instid1(VALU_DEP_3)
	v_dual_fma_f32 v19, v188, v108, -v19 :: v_dual_fma_f32 v21, v190, v110, -v21
	v_add_f32_e32 v9, v9, v11
	s_wait_loadcnt_dscnt 0x600
	v_dual_mul_f32 v43, v198, v119 :: v_dual_mul_f32 v45, v200, v121
	v_mul_f32_e32 v11, v195, v115
	v_dual_add_f32 v5, v5, v23 :: v_dual_fma_f32 v17, v186, v106, -v17
	v_dual_add_f32 v9, v9, v13 :: v_dual_fmac_f32 v39, v195, v114
	v_dual_mul_f32 v31, v186, v107 :: v_dual_mul_f32 v33, v188, v109
	s_wait_loadcnt 0x5
	v_dual_mul_f32 v213, v166, v123 :: v_dual_mul_f32 v215, v168, v125
	s_delay_alu instid0(VALU_DEP_3) | instskip(NEXT) | instid1(VALU_DEP_3)
	v_dual_add_f32 v9, v9, v15 :: v_dual_fmac_f32 v43, v199, v118
	v_dual_fmac_f32 v25, v181, v100 :: v_dual_fmac_f32 v31, v187, v106
	v_dual_mul_f32 v35, v190, v111 :: v_dual_mul_f32 v37, v192, v113
	s_delay_alu instid0(VALU_DEP_3) | instskip(SKIP_1) | instid1(VALU_DEP_3)
	v_dual_add_f32 v9, v9, v17 :: v_dual_fmac_f32 v213, v167, v122
	v_dual_mul_f32 v23, v193, v113 :: v_dual_mul_f32 v15, v199, v119
	v_dual_add_f32 v5, v5, v25 :: v_dual_fmac_f32 v35, v191, v110
	s_delay_alu instid0(VALU_DEP_3) | instskip(SKIP_1) | instid1(VALU_DEP_3)
	v_add_f32_e32 v9, v9, v19
	v_dual_fmac_f32 v29, v185, v104 :: v_dual_mul_f32 v19, v167, v123
	v_dual_add_f32 v5, v5, v27 :: v_dual_fma_f32 v23, v192, v112, -v23
	s_delay_alu instid0(VALU_DEP_3) | instskip(SKIP_1) | instid1(VALU_DEP_3)
	v_add_f32_e32 v9, v9, v21
	v_dual_mul_f32 v13, v197, v117 :: v_dual_fma_f32 v11, v194, v114, -v11
	v_add_f32_e32 v5, v5, v29
	v_fmac_f32_e32 v33, v189, v108
	s_delay_alu instid0(VALU_DEP_4) | instskip(SKIP_1) | instid1(VALU_DEP_4)
	v_add_f32_e32 v9, v9, v23
	v_dual_mul_f32 v17, v201, v121 :: v_dual_fmac_f32 v45, v201, v120
	v_dual_fma_f32 v13, v196, v116, -v13 :: v_dual_add_f32 v5, v5, v31
	s_delay_alu instid0(VALU_DEP_3) | instskip(SKIP_2) | instid1(VALU_DEP_3)
	v_dual_add_f32 v9, v9, v11 :: v_dual_fma_f32 v11, v198, v118, -v15
	v_dual_fmac_f32 v37, v193, v112 :: v_dual_fma_f32 v212, v166, v122, -v19
	v_fmac_f32_e32 v41, v197, v116
	v_dual_add_f32 v9, v9, v13 :: v_dual_fma_f32 v13, v200, v120, -v17
	v_add_f32_e32 v5, v5, v33
	v_dual_mul_f32 v21, v169, v125 :: v_dual_fmac_f32 v215, v169, v124
	s_delay_alu instid0(VALU_DEP_3)
	v_add_f32_e32 v9, v9, v11
	s_wait_loadcnt 0x4
	v_pk_mul_f32 v[82:83], v[142:143], v[126:127] op_sel:[1,1] op_sel_hi:[0,1]
	v_add_f32_e32 v5, v5, v35
	s_wait_loadcnt 0x3
	v_dual_mov_b32 v84, v129 :: v_dual_mov_b32 v88, v133
	v_dual_add_f32 v90, v9, v13 :: v_dual_fma_f32 v214, v168, v124, -v21
	s_delay_alu instid0(VALU_DEP_3) | instskip(SKIP_1) | instid1(VALU_DEP_4)
	v_add_f32_e32 v5, v5, v37
	v_pk_fma_f32 v[92:93], v[142:143], v[126:127], v[82:83] op_sel_hi:[1,0,1]
	v_pk_mul_f32 v[84:85], v[204:205], v[84:85] op_sel_hi:[1,0]
	v_pk_fma_f32 v[82:83], v[142:143], v[126:127], v[82:83] neg_lo:[0,0,1] neg_hi:[0,0,1]
	v_pk_mul_f32 v[86:87], v[146:147], v[130:131] op_sel:[1,1] op_sel_hi:[0,1]
	v_add_f32_e32 v5, v5, v39
	v_mov_b32_e32 v83, v93
	v_pk_fma_f32 v[92:93], v[144:145], v[128:129], v[84:85] op_sel_hi:[1,0,1]
	v_pk_fma_f32 v[84:85], v[144:145], v[128:129], v[84:85] neg_lo:[0,0,1] neg_hi:[0,0,1]
	v_pk_fma_f32 v[96:97], v[146:147], v[130:131], v[86:87] op_sel_hi:[1,0,1]
	v_add_f32_e32 v5, v5, v41
	v_pk_mul_f32 v[88:89], v[206:207], v[88:89] op_sel_hi:[1,0]
	v_mov_b32_e32 v85, v93
	s_wait_loadcnt 0x2
	v_pk_mul_f32 v[94:95], v[150:151], v[134:135] op_sel:[1,1] op_sel_hi:[0,1]
	v_pk_fma_f32 v[86:87], v[146:147], v[130:131], v[86:87] neg_lo:[0,0,1] neg_hi:[0,0,1]
	v_add_f32_e32 v5, v5, v43
	v_mov_b32_e32 v87, v97
	v_pk_fma_f32 v[92:93], v[148:149], v[132:133], v[88:89] op_sel_hi:[1,0,1]
	v_pk_fma_f32 v[88:89], v[148:149], v[132:133], v[88:89] neg_lo:[0,0,1] neg_hi:[0,0,1]
	s_delay_alu instid0(VALU_DEP_4) | instskip(NEXT) | instid1(VALU_DEP_1)
	v_add_f32_e32 v91, v5, v45
	v_pk_add_f32 v[90:91], v[90:91], v[212:213]
	s_delay_alu instid0(VALU_DEP_1) | instskip(NEXT) | instid1(VALU_DEP_1)
	v_pk_add_f32 v[90:91], v[90:91], v[214:215]
	v_pk_add_f32 v[82:83], v[90:91], v[82:83]
	v_mov_b32_e32 v90, v137
	s_delay_alu instid0(VALU_DEP_2) | instskip(SKIP_1) | instid1(VALU_DEP_3)
	v_pk_add_f32 v[82:83], v[82:83], v[84:85]
	v_pk_fma_f32 v[84:85], v[150:151], v[134:135], v[94:95] op_sel_hi:[1,0,1]
	v_pk_mul_f32 v[90:91], v[208:209], v[90:91] op_sel_hi:[1,0]
	v_mov_b32_e32 v89, v93
	v_pk_fma_f32 v[92:93], v[150:151], v[134:135], v[94:95] neg_lo:[0,0,1] neg_hi:[0,0,1]
	v_pk_add_f32 v[82:83], v[82:83], v[86:87]
	v_mov_b32_e32 v93, v85
	v_pk_fma_f32 v[84:85], v[152:153], v[136:137], v[90:91] op_sel_hi:[1,0,1]
	s_wait_loadcnt 0x1
	v_pk_mul_f32 v[86:87], v[154:155], v[138:139] op_sel:[1,1] op_sel_hi:[0,1]
	v_mov_b32_e32 v84, v141
	v_pk_add_f32 v[82:83], v[82:83], v[88:89]
	v_pk_fma_f32 v[90:91], v[152:153], v[136:137], v[90:91] neg_lo:[0,0,1] neg_hi:[0,0,1]
	v_mov_b32_e32 v91, v85
	v_pk_fma_f32 v[88:89], v[154:155], v[138:139], v[86:87] op_sel_hi:[1,0,1]
	v_pk_mul_f32 v[84:85], v[210:211], v[84:85] op_sel_hi:[1,0]
	v_pk_add_f32 v[82:83], v[82:83], v[92:93]
	v_pk_fma_f32 v[86:87], v[154:155], v[138:139], v[86:87] neg_lo:[0,0,1] neg_hi:[0,0,1]
	s_delay_alu instid0(VALU_DEP_4) | instskip(NEXT) | instid1(VALU_DEP_4)
	v_mov_b32_e32 v87, v89
	v_pk_fma_f32 v[88:89], v[156:157], v[140:141], v[84:85] op_sel_hi:[1,0,1]
	s_delay_alu instid0(VALU_DEP_4) | instskip(SKIP_1) | instid1(VALU_DEP_3)
	v_pk_add_f32 v[82:83], v[82:83], v[90:91]
	v_pk_fma_f32 v[84:85], v[156:157], v[140:141], v[84:85] neg_lo:[0,0,1] neg_hi:[0,0,1]
	v_mov_b32_e32 v85, v89
	s_delay_alu instid0(VALU_DEP_3) | instskip(NEXT) | instid1(VALU_DEP_1)
	v_pk_add_f32 v[82:83], v[82:83], v[86:87]
	v_pk_add_f32 v[82:83], v[82:83], v[84:85]
	s_wait_loadcnt 0x0
	s_delay_alu instid0(VALU_DEP_1)
	v_pk_add_f32 v[82:83], v[202:203], v[82:83] neg_lo:[0,1] neg_hi:[0,1]
	scratch_store_b64 off, v[82:83], off offset:72
	s_wait_xcnt 0x0
	v_cmpx_lt_u32_e32 8, v0
	s_cbranch_execz .LBB39_237
; %bb.236:
	scratch_load_b64 v[82:83], off, off offset:64
	v_mov_b64_e32 v[84:85], 0
	scratch_store_b64 off, v[84:85], off offset:64
	s_wait_loadcnt 0x0
	ds_store_b64 v1, v[82:83]
.LBB39_237:
	s_wait_xcnt 0x0
	s_or_b32 exec_lo, exec_lo, s0
	s_wait_storecnt_dscnt 0x0
	s_barrier_signal -1
	s_barrier_wait -1
	s_clause 0x10
	scratch_load_b128 v[82:85], off, off offset:72
	scratch_load_b128 v[86:89], off, off offset:88
	scratch_load_b128 v[90:93], off, off offset:104
	scratch_load_b128 v[94:97], off, off offset:120
	scratch_load_b128 v[98:101], off, off offset:136
	scratch_load_b128 v[102:105], off, off offset:152
	scratch_load_b128 v[106:109], off, off offset:168
	scratch_load_b128 v[110:113], off, off offset:184
	scratch_load_b128 v[114:117], off, off offset:200
	scratch_load_b128 v[118:121], off, off offset:216
	scratch_load_b128 v[122:125], off, off offset:232
	scratch_load_b128 v[126:129], off, off offset:248
	scratch_load_b128 v[130:133], off, off offset:264
	scratch_load_b128 v[134:137], off, off offset:280
	scratch_load_b128 v[138:141], off, off offset:296
	scratch_load_b64 v[202:203], off, off offset:312
	scratch_load_b64 v[204:205], off, off offset:64
	v_mov_b32_e32 v5, 0
	ds_load_2addr_b64 v[142:145], v5 offset0:71 offset1:72
	ds_load_2addr_b64 v[146:149], v5 offset0:73 offset1:74
	;; [unrolled: 1-line block ×15, first 2 shown]
	ds_load_b64 v[206:207], v5 offset:632
	s_mov_b32 s0, exec_lo
	s_wait_dscnt 0xf
	v_dual_mov_b32 v208, v145 :: v_dual_mov_b32 v209, v144
	s_wait_dscnt 0xc
	v_dual_mov_b32 v210, v149 :: v_dual_mov_b32 v215, v156
	v_dual_mov_b32 v211, v148 :: v_dual_mov_b32 v212, v153
	;; [unrolled: 1-line block ×3, first 2 shown]
	s_wait_loadcnt_dscnt 0x100b
	v_dual_mul_f32 v9, v158, v83 :: v_dual_mul_f32 v51, v159, v83
	v_dual_mul_f32 v53, v161, v85 :: v_dual_mul_f32 v11, v160, v85
	s_wait_loadcnt_dscnt 0xf09
	v_mul_f32_e32 v13, v166, v87
	s_wait_loadcnt_dscnt 0xd07
	v_dual_mul_f32 v63, v175, v95 :: v_dual_fma_f32 v51, v158, v82, -v51
	v_dual_fmac_f32 v9, v159, v82 :: v_dual_mul_f32 v65, v177, v97
	v_dual_mul_f32 v55, v167, v87 :: v_dual_mul_f32 v57, v169, v89
	v_dual_fmac_f32 v11, v161, v84 :: v_dual_fma_f32 v53, v160, v84, -v53
	s_delay_alu instid0(VALU_DEP_3) | instskip(SKIP_3) | instid1(VALU_DEP_3)
	v_dual_add_f32 v9, 0, v9 :: v_dual_add_f32 v51, 0, v51
	v_dual_mul_f32 v15, v168, v89 :: v_dual_mul_f32 v17, v170, v91
	s_wait_loadcnt_dscnt 0xc06
	v_dual_mul_f32 v67, v179, v99 :: v_dual_fma_f32 v55, v166, v86, -v55
	v_dual_fmac_f32 v13, v167, v86 :: v_dual_add_f32 v9, v9, v11
	s_delay_alu instid0(VALU_DEP_3) | instskip(SKIP_2) | instid1(VALU_DEP_3)
	v_dual_add_f32 v11, v51, v53 :: v_dual_fmac_f32 v15, v169, v88
	v_dual_mul_f32 v59, v171, v91 :: v_dual_mul_f32 v61, v173, v93
	v_dual_mul_f32 v51, v181, v101 :: v_dual_fma_f32 v53, v168, v88, -v57
	v_dual_add_f32 v9, v9, v13 :: v_dual_add_f32 v11, v11, v55
	v_dual_mul_f32 v19, v172, v93 :: v_dual_mul_f32 v21, v174, v95
	s_wait_loadcnt_dscnt 0xb05
	v_dual_mul_f32 v13, v183, v103 :: v_dual_fma_f32 v55, v170, v90, -v59
	s_delay_alu instid0(VALU_DEP_3) | instskip(NEXT) | instid1(VALU_DEP_3)
	v_dual_fmac_f32 v17, v171, v90 :: v_dual_add_f32 v9, v9, v15
	v_dual_add_f32 v11, v11, v53 :: v_dual_fmac_f32 v19, v173, v92
	v_dual_mul_f32 v15, v185, v105 :: v_dual_fma_f32 v53, v172, v92, -v61
	s_delay_alu instid0(VALU_DEP_2) | instskip(SKIP_3) | instid1(VALU_DEP_3)
	v_dual_add_f32 v9, v9, v17 :: v_dual_add_f32 v11, v11, v55
	v_dual_mul_f32 v23, v176, v97 :: v_dual_mul_f32 v25, v178, v99
	s_wait_loadcnt_dscnt 0xa04
	v_dual_mul_f32 v17, v187, v107 :: v_dual_fma_f32 v55, v174, v94, -v63
	v_dual_fmac_f32 v21, v175, v94 :: v_dual_add_f32 v9, v9, v19
	s_delay_alu instid0(VALU_DEP_3) | instskip(SKIP_1) | instid1(VALU_DEP_2)
	v_dual_add_f32 v11, v11, v53 :: v_dual_fmac_f32 v23, v177, v96
	v_dual_mul_f32 v19, v189, v109 :: v_dual_fma_f32 v53, v176, v96, -v65
	v_dual_add_f32 v9, v9, v21 :: v_dual_add_f32 v11, v11, v55
	v_dual_mul_f32 v27, v180, v101 :: v_dual_mul_f32 v29, v182, v103
	s_wait_loadcnt_dscnt 0x903
	v_dual_mul_f32 v21, v191, v111 :: v_dual_fma_f32 v55, v178, v98, -v67
	s_delay_alu instid0(VALU_DEP_3) | instskip(NEXT) | instid1(VALU_DEP_3)
	v_dual_fmac_f32 v25, v179, v98 :: v_dual_add_f32 v9, v9, v23
	v_dual_add_f32 v11, v11, v53 :: v_dual_fmac_f32 v27, v181, v100
	v_dual_mul_f32 v23, v193, v113 :: v_dual_fma_f32 v51, v180, v100, -v51
	s_delay_alu instid0(VALU_DEP_2) | instskip(SKIP_3) | instid1(VALU_DEP_3)
	v_dual_add_f32 v9, v9, v25 :: v_dual_add_f32 v11, v11, v55
	v_dual_mul_f32 v31, v184, v105 :: v_dual_mul_f32 v33, v186, v107
	s_wait_loadcnt_dscnt 0x802
	v_dual_mul_f32 v25, v195, v115 :: v_dual_fma_f32 v13, v182, v102, -v13
	v_dual_fmac_f32 v29, v183, v102 :: v_dual_add_f32 v9, v9, v27
	v_dual_add_f32 v11, v11, v51 :: v_dual_mul_f32 v27, v197, v117
	v_fmac_f32_e32 v31, v185, v104
	s_delay_alu instid0(VALU_DEP_3) | instskip(NEXT) | instid1(VALU_DEP_3)
	v_dual_fma_f32 v15, v184, v104, -v15 :: v_dual_add_f32 v9, v9, v29
	v_add_f32_e32 v11, v11, v13
	v_dual_mul_f32 v35, v188, v109 :: v_dual_mul_f32 v37, v190, v111
	s_wait_loadcnt_dscnt 0x701
	v_dual_mul_f32 v13, v199, v119 :: v_dual_fma_f32 v17, v186, v106, -v17
	v_dual_fmac_f32 v33, v187, v106 :: v_dual_add_f32 v9, v9, v31
	v_dual_add_f32 v11, v11, v15 :: v_dual_mul_f32 v15, v201, v121
	v_fmac_f32_e32 v35, v189, v108
	s_delay_alu instid0(VALU_DEP_3) | instskip(NEXT) | instid1(VALU_DEP_3)
	v_dual_fma_f32 v19, v188, v108, -v19 :: v_dual_add_f32 v9, v9, v33
	v_add_f32_e32 v11, v11, v17
	v_dual_mul_f32 v39, v192, v113 :: v_dual_mul_f32 v41, v194, v115
	s_wait_loadcnt 0x6
	v_dual_mul_f32 v17, v163, v123 :: v_dual_fma_f32 v21, v190, v110, -v21
	v_dual_fmac_f32 v37, v191, v110 :: v_dual_add_f32 v9, v9, v35
	v_dual_add_f32 v11, v11, v19 :: v_dual_mul_f32 v19, v165, v125
	v_fmac_f32_e32 v39, v193, v112
	s_delay_alu instid0(VALU_DEP_3) | instskip(NEXT) | instid1(VALU_DEP_3)
	v_dual_fma_f32 v23, v192, v112, -v23 :: v_dual_add_f32 v9, v9, v37
	v_add_f32_e32 v11, v11, v21
	v_dual_mul_f32 v43, v196, v117 :: v_dual_mul_f32 v45, v198, v119
	s_wait_loadcnt 0x5
	v_dual_mul_f32 v21, v143, v127 :: v_dual_fma_f32 v25, v194, v114, -v25
	v_dual_fmac_f32 v41, v195, v114 :: v_dual_add_f32 v9, v9, v39
	v_dual_add_f32 v11, v11, v23 :: v_dual_mov_b32 v82, v129
	v_fmac_f32_e32 v43, v197, v116
	s_delay_alu instid0(VALU_DEP_3) | instskip(NEXT) | instid1(VALU_DEP_3)
	v_dual_fma_f32 v23, v196, v116, -v27 :: v_dual_add_f32 v9, v9, v41
	v_add_f32_e32 v11, v11, v25
	v_dual_mul_f32 v47, v200, v121 :: v_dual_mul_f32 v49, v162, v123
	s_delay_alu instid0(VALU_DEP_3) | instskip(NEXT) | instid1(VALU_DEP_3)
	v_dual_fmac_f32 v45, v199, v118 :: v_dual_add_f32 v9, v9, v43
	v_dual_fma_f32 v13, v198, v118, -v13 :: v_dual_add_f32 v11, v11, v23
	s_wait_loadcnt 0x4
	v_dual_mov_b32 v86, v133 :: v_dual_fma_f32 v15, v200, v120, -v15
	v_fmac_f32_e32 v47, v201, v120
	v_dual_add_f32 v9, v9, v45 :: v_dual_fmac_f32 v49, v163, v122
	v_add_f32_e32 v11, v11, v13
	v_dual_mul_f32 v217, v164, v125 :: v_dual_mul_f32 v219, v142, v127
	s_delay_alu instid0(VALU_DEP_3) | instskip(NEXT) | instid1(VALU_DEP_2)
	v_dual_fma_f32 v13, v162, v122, -v17 :: v_dual_add_f32 v9, v9, v47
	v_dual_add_f32 v11, v11, v15 :: v_dual_fmac_f32 v217, v165, v124
	v_fma_f32 v216, v164, v124, -v19
	v_pk_mul_f32 v[82:83], v[208:209], v[82:83] op_sel_hi:[1,0]
	s_delay_alu instid0(VALU_DEP_4)
	v_add_f32_e32 v91, v9, v49
	s_wait_loadcnt 0x3
	v_dual_add_f32 v90, v11, v13 :: v_dual_mov_b32 v92, v137
	v_pk_mul_f32 v[84:85], v[146:147], v[130:131] op_sel:[1,1] op_sel_hi:[0,1]
	v_dual_fmac_f32 v219, v143, v126 :: v_dual_fma_f32 v218, v142, v126, -v21
	v_pk_fma_f32 v[94:95], v[144:145], v[128:129], v[82:83] op_sel_hi:[1,0,1]
	s_delay_alu instid0(VALU_DEP_4)
	v_pk_add_f32 v[90:91], v[90:91], v[216:217]
	v_pk_fma_f32 v[82:83], v[144:145], v[128:129], v[82:83] neg_lo:[0,0,1] neg_hi:[0,0,1]
	v_pk_fma_f32 v[96:97], v[146:147], v[130:131], v[84:85] op_sel_hi:[1,0,1]
	v_pk_mul_f32 v[86:87], v[210:211], v[86:87] op_sel_hi:[1,0]
	v_mov_b32_e32 v83, v95
	v_pk_add_f32 v[90:91], v[90:91], v[218:219]
	v_pk_fma_f32 v[84:85], v[146:147], v[130:131], v[84:85] neg_lo:[0,0,1] neg_hi:[0,0,1]
	v_pk_mul_f32 v[88:89], v[150:151], v[134:135] op_sel:[1,1] op_sel_hi:[0,1]
	v_mov_b32_e32 v85, v97
	v_pk_fma_f32 v[96:97], v[148:149], v[132:133], v[86:87] op_sel_hi:[1,0,1]
	v_pk_add_f32 v[82:83], v[90:91], v[82:83]
	v_pk_fma_f32 v[86:87], v[148:149], v[132:133], v[86:87] neg_lo:[0,0,1] neg_hi:[0,0,1]
	v_pk_fma_f32 v[90:91], v[150:151], v[134:135], v[88:89] op_sel_hi:[1,0,1]
	v_pk_mul_f32 v[92:93], v[212:213], v[92:93] op_sel_hi:[1,0]
	v_mov_b32_e32 v87, v97
	v_pk_add_f32 v[82:83], v[82:83], v[84:85]
	v_pk_fma_f32 v[88:89], v[150:151], v[134:135], v[88:89] neg_lo:[0,0,1] neg_hi:[0,0,1]
	s_wait_loadcnt 0x2
	v_pk_mul_f32 v[94:95], v[154:155], v[138:139] op_sel:[1,1] op_sel_hi:[0,1]
	v_dual_mov_b32 v84, v141 :: v_dual_mov_b32 v89, v91
	v_pk_fma_f32 v[90:91], v[152:153], v[136:137], v[92:93] op_sel_hi:[1,0,1]
	v_pk_add_f32 v[82:83], v[82:83], v[86:87]
	v_pk_fma_f32 v[92:93], v[152:153], v[136:137], v[92:93] neg_lo:[0,0,1] neg_hi:[0,0,1]
	v_pk_fma_f32 v[86:87], v[154:155], v[138:139], v[94:95] op_sel_hi:[1,0,1]
	v_pk_mul_f32 v[84:85], v[214:215], v[84:85] op_sel_hi:[1,0]
	v_mov_b32_e32 v93, v91
	v_pk_add_f32 v[82:83], v[82:83], v[88:89]
	v_pk_fma_f32 v[88:89], v[154:155], v[138:139], v[94:95] neg_lo:[0,0,1] neg_hi:[0,0,1]
	v_mov_b32_e32 v89, v87
	v_pk_fma_f32 v[86:87], v[156:157], v[140:141], v[84:85] op_sel_hi:[1,0,1]
	s_wait_loadcnt_dscnt 0x100
	v_pk_mul_f32 v[90:91], v[206:207], v[202:203] op_sel:[1,1] op_sel_hi:[0,1]
	v_pk_add_f32 v[82:83], v[82:83], v[92:93]
	v_pk_fma_f32 v[84:85], v[156:157], v[140:141], v[84:85] neg_lo:[0,0,1] neg_hi:[0,0,1]
	v_mov_b32_e32 v85, v87
	s_delay_alu instid0(VALU_DEP_4) | instskip(NEXT) | instid1(VALU_DEP_4)
	v_pk_fma_f32 v[86:87], v[206:207], v[202:203], v[90:91] op_sel_hi:[1,0,1]
	v_pk_add_f32 v[82:83], v[82:83], v[88:89]
	v_pk_fma_f32 v[88:89], v[206:207], v[202:203], v[90:91] neg_lo:[0,0,1] neg_hi:[0,0,1]
	s_delay_alu instid0(VALU_DEP_3) | instskip(NEXT) | instid1(VALU_DEP_3)
	v_mov_b32_e32 v89, v87
	v_pk_add_f32 v[82:83], v[82:83], v[84:85]
	s_delay_alu instid0(VALU_DEP_1) | instskip(SKIP_1) | instid1(VALU_DEP_1)
	v_pk_add_f32 v[82:83], v[82:83], v[88:89]
	s_wait_loadcnt 0x0
	v_pk_add_f32 v[82:83], v[204:205], v[82:83] neg_lo:[0,1] neg_hi:[0,1]
	scratch_store_b64 off, v[82:83], off offset:64
	s_wait_xcnt 0x0
	v_cmpx_lt_u32_e32 7, v0
	s_cbranch_execz .LBB39_239
; %bb.238:
	scratch_load_b64 v[82:83], off, off offset:56
	v_mov_b64_e32 v[84:85], 0
	scratch_store_b64 off, v[84:85], off offset:56
	s_wait_loadcnt 0x0
	ds_store_b64 v1, v[82:83]
.LBB39_239:
	s_wait_xcnt 0x0
	s_or_b32 exec_lo, exec_lo, s0
	s_wait_storecnt_dscnt 0x0
	s_barrier_signal -1
	s_barrier_wait -1
	s_clause 0x10
	scratch_load_b128 v[82:85], off, off offset:64
	scratch_load_b128 v[86:89], off, off offset:80
	;; [unrolled: 1-line block ×16, first 2 shown]
	scratch_load_b64 v[210:211], off, off offset:56
	ds_load_b128 v[146:149], v5 offset:576
	ds_load_b128 v[150:153], v5 offset:592
	;; [unrolled: 1-line block ×16, first 2 shown]
	s_mov_b32 s0, exec_lo
	s_wait_dscnt 0xf
	v_dual_mov_b32 v212, v149 :: v_dual_mov_b32 v213, v148
	s_wait_dscnt 0xe
	v_dual_mov_b32 v214, v153 :: v_dual_mov_b32 v215, v152
	;; [unrolled: 2-line block ×4, first 2 shown]
	s_wait_loadcnt_dscnt 0x100b
	v_dual_mul_f32 v5, v162, v83 :: v_dual_mul_f32 v9, v164, v85
	v_dual_mul_f32 v51, v163, v83 :: v_dual_mul_f32 v53, v165, v85
	s_wait_loadcnt_dscnt 0xf0a
	v_dual_mul_f32 v11, v166, v87 :: v_dual_mul_f32 v13, v168, v89
	s_delay_alu instid0(VALU_DEP_2) | instskip(SKIP_3) | instid1(VALU_DEP_3)
	v_dual_fmac_f32 v5, v163, v82 :: v_dual_fma_f32 v51, v162, v82, -v51
	v_dual_mul_f32 v55, v167, v87 :: v_dual_mul_f32 v57, v169, v89
	s_wait_loadcnt_dscnt 0xd08
	v_dual_mul_f32 v63, v175, v95 :: v_dual_fmac_f32 v9, v165, v84
	v_dual_fma_f32 v53, v164, v84, -v53 :: v_dual_add_f32 v5, 0, v5
	v_dual_add_f32 v51, 0, v51 :: v_dual_mul_f32 v65, v177, v97
	v_fmac_f32_e32 v11, v167, v86
	s_delay_alu instid0(VALU_DEP_3) | instskip(NEXT) | instid1(VALU_DEP_3)
	v_dual_fma_f32 v55, v166, v86, -v55 :: v_dual_add_f32 v5, v5, v9
	v_dual_add_f32 v9, v51, v53 :: v_dual_mul_f32 v15, v170, v91
	v_dual_mul_f32 v17, v172, v93 :: v_dual_mul_f32 v59, v171, v91
	v_dual_mul_f32 v61, v173, v93 :: v_dual_fma_f32 v53, v168, v88, -v57
	s_delay_alu instid0(VALU_DEP_4) | instskip(NEXT) | instid1(VALU_DEP_4)
	v_add_f32_e32 v5, v5, v11
	v_dual_add_f32 v9, v9, v55 :: v_dual_fmac_f32 v15, v171, v90
	s_wait_loadcnt_dscnt 0xc07
	v_dual_mul_f32 v51, v179, v99 :: v_dual_fmac_f32 v13, v169, v88
	v_dual_mul_f32 v11, v181, v101 :: v_dual_fma_f32 v55, v170, v90, -v59
	s_delay_alu instid0(VALU_DEP_3) | instskip(SKIP_1) | instid1(VALU_DEP_3)
	v_dual_add_f32 v9, v9, v53 :: v_dual_fma_f32 v53, v172, v92, -v61
	s_wait_loadcnt_dscnt 0xb06
	v_dual_add_f32 v5, v5, v13 :: v_dual_mul_f32 v13, v183, v103
	v_dual_mul_f32 v19, v174, v95 :: v_dual_mul_f32 v21, v176, v97
	s_delay_alu instid0(VALU_DEP_3) | instskip(SKIP_1) | instid1(VALU_DEP_4)
	v_add_f32_e32 v9, v9, v55
	v_fmac_f32_e32 v17, v173, v92
	v_dual_add_f32 v5, v5, v15 :: v_dual_fma_f32 v55, v174, v94, -v63
	v_dual_mul_f32 v23, v178, v99 :: v_dual_mul_f32 v25, v180, v101
	s_delay_alu instid0(VALU_DEP_4) | instskip(NEXT) | instid1(VALU_DEP_3)
	v_dual_add_f32 v9, v9, v53 :: v_dual_fma_f32 v51, v178, v98, -v51
	v_dual_fmac_f32 v19, v175, v94 :: v_dual_add_f32 v5, v5, v17
	s_delay_alu instid0(VALU_DEP_3) | instskip(NEXT) | instid1(VALU_DEP_3)
	v_dual_fmac_f32 v23, v179, v98 :: v_dual_fma_f32 v53, v176, v96, -v65
	v_dual_add_f32 v9, v9, v55 :: v_dual_fma_f32 v13, v182, v102, -v13
	v_dual_mul_f32 v27, v182, v103 :: v_dual_mul_f32 v29, v184, v105
	s_wait_loadcnt_dscnt 0xa05
	v_dual_mul_f32 v15, v185, v105 :: v_dual_mul_f32 v17, v187, v107
	s_delay_alu instid0(VALU_DEP_2) | instskip(SKIP_1) | instid1(VALU_DEP_3)
	v_dual_fmac_f32 v21, v177, v96 :: v_dual_fmac_f32 v27, v183, v102
	v_dual_add_f32 v5, v5, v19 :: v_dual_fma_f32 v11, v180, v100, -v11
	v_dual_add_f32 v9, v9, v53 :: v_dual_fma_f32 v15, v184, v104, -v15
	v_mul_f32_e32 v19, v189, v109
	s_wait_loadcnt_dscnt 0x904
	s_delay_alu instid0(VALU_DEP_3) | instskip(NEXT) | instid1(VALU_DEP_3)
	v_dual_add_f32 v5, v5, v21 :: v_dual_mul_f32 v21, v191, v111
	v_add_f32_e32 v9, v9, v51
	s_wait_loadcnt_dscnt 0x803
	v_dual_mul_f32 v39, v194, v115 :: v_dual_mul_f32 v41, v196, v117
	s_delay_alu instid0(VALU_DEP_3) | instskip(NEXT) | instid1(VALU_DEP_3)
	v_dual_fma_f32 v19, v188, v108, -v19 :: v_dual_fma_f32 v21, v190, v110, -v21
	v_add_f32_e32 v9, v9, v11
	v_mul_f32_e32 v11, v195, v115
	v_dual_add_f32 v5, v5, v23 :: v_dual_fma_f32 v17, v186, v106, -v17
	s_delay_alu instid0(VALU_DEP_3) | instskip(NEXT) | instid1(VALU_DEP_3)
	v_dual_fmac_f32 v39, v195, v114 :: v_dual_add_f32 v9, v9, v13
	v_dual_mul_f32 v13, v197, v117 :: v_dual_fma_f32 v11, v194, v114, -v11
	v_dual_mul_f32 v31, v186, v107 :: v_dual_mul_f32 v33, v188, v109
	s_delay_alu instid0(VALU_DEP_2) | instskip(NEXT) | instid1(VALU_DEP_2)
	v_dual_add_f32 v9, v9, v15 :: v_dual_fma_f32 v13, v196, v116, -v13
	v_dual_fmac_f32 v25, v181, v100 :: v_dual_fmac_f32 v31, v187, v106
	v_dual_mul_f32 v35, v190, v111 :: v_dual_mul_f32 v37, v192, v113
	s_delay_alu instid0(VALU_DEP_3) | instskip(SKIP_2) | instid1(VALU_DEP_3)
	v_add_f32_e32 v9, v9, v17
	s_wait_loadcnt_dscnt 0x702
	v_dual_mul_f32 v23, v193, v113 :: v_dual_mul_f32 v15, v199, v119
	v_dual_add_f32 v5, v5, v25 :: v_dual_fmac_f32 v35, v191, v110
	s_delay_alu instid0(VALU_DEP_3) | instskip(SKIP_4) | instid1(VALU_DEP_3)
	v_add_f32_e32 v9, v9, v19
	s_wait_loadcnt_dscnt 0x500
	v_dual_mul_f32 v221, v206, v127 :: v_dual_mul_f32 v223, v208, v129
	v_dual_fmac_f32 v29, v185, v104 :: v_dual_mul_f32 v19, v203, v123
	v_dual_add_f32 v5, v5, v27 :: v_dual_fma_f32 v23, v192, v112, -v23
	v_dual_add_f32 v9, v9, v21 :: v_dual_fmac_f32 v221, v207, v126
	v_dual_mul_f32 v43, v198, v119 :: v_dual_mul_f32 v45, v200, v121
	s_delay_alu instid0(VALU_DEP_3) | instskip(NEXT) | instid1(VALU_DEP_3)
	v_add_f32_e32 v5, v5, v29
	v_add_f32_e32 v9, v9, v23
	s_delay_alu instid0(VALU_DEP_3) | instskip(SKIP_1) | instid1(VALU_DEP_4)
	v_dual_fmac_f32 v33, v189, v108 :: v_dual_fmac_f32 v43, v199, v118
	v_mul_f32_e32 v23, v207, v127
	v_dual_add_f32 v5, v5, v31 :: v_dual_fma_f32 v15, v198, v118, -v15
	s_delay_alu instid0(VALU_DEP_4) | instskip(SKIP_2) | instid1(VALU_DEP_2)
	v_add_f32_e32 v9, v9, v11
	v_dual_mul_f32 v47, v202, v123 :: v_dual_mul_f32 v49, v204, v125
	v_dual_mul_f32 v17, v201, v121 :: v_dual_fmac_f32 v45, v201, v120
	v_dual_add_f32 v5, v5, v33 :: v_dual_fmac_f32 v47, v203, v122
	s_delay_alu instid0(VALU_DEP_4) | instskip(SKIP_2) | instid1(VALU_DEP_4)
	v_add_f32_e32 v9, v9, v13
	v_dual_fmac_f32 v37, v193, v112 :: v_dual_fma_f32 v220, v206, v126, -v23
	v_dual_mul_f32 v21, v205, v125 :: v_dual_fmac_f32 v49, v205, v124
	v_dual_add_f32 v5, v5, v35 :: v_dual_fma_f32 v13, v200, v120, -v17
	s_delay_alu instid0(VALU_DEP_4) | instskip(SKIP_2) | instid1(VALU_DEP_3)
	v_add_f32_e32 v9, v9, v15
	v_dual_mul_f32 v11, v209, v129 :: v_dual_fmac_f32 v223, v209, v128
	v_dual_fmac_f32 v41, v197, v116 :: v_dual_fma_f32 v15, v202, v122, -v19
	v_dual_add_f32 v9, v9, v13 :: v_dual_fma_f32 v13, v204, v124, -v21
	s_delay_alu instid0(VALU_DEP_3) | instskip(SKIP_2) | instid1(VALU_DEP_3)
	v_dual_add_f32 v5, v5, v37 :: v_dual_fma_f32 v222, v208, v128, -v11
	s_wait_loadcnt 0x4
	v_pk_mul_f32 v[82:83], v[146:147], v[130:131] op_sel:[1,1] op_sel_hi:[0,1]
	v_add_f32_e32 v9, v9, v15
	s_wait_loadcnt 0x3
	v_dual_mov_b32 v84, v133 :: v_dual_mov_b32 v88, v137
	v_add_f32_e32 v5, v5, v39
	v_pk_fma_f32 v[92:93], v[146:147], v[130:131], v[82:83] op_sel_hi:[1,0,1]
	v_add_f32_e32 v90, v9, v13
	s_delay_alu instid0(VALU_DEP_4)
	v_pk_mul_f32 v[84:85], v[212:213], v[84:85] op_sel_hi:[1,0]
	v_pk_fma_f32 v[82:83], v[146:147], v[130:131], v[82:83] neg_lo:[0,0,1] neg_hi:[0,0,1]
	v_add_f32_e32 v5, v5, v41
	v_pk_mul_f32 v[86:87], v[150:151], v[134:135] op_sel:[1,1] op_sel_hi:[0,1]
	v_mov_b32_e32 v83, v93
	v_pk_fma_f32 v[92:93], v[148:149], v[132:133], v[84:85] op_sel_hi:[1,0,1]
	v_pk_fma_f32 v[84:85], v[148:149], v[132:133], v[84:85] neg_lo:[0,0,1] neg_hi:[0,0,1]
	v_add_f32_e32 v5, v5, v43
	v_pk_fma_f32 v[96:97], v[150:151], v[134:135], v[86:87] op_sel_hi:[1,0,1]
	v_pk_mul_f32 v[88:89], v[214:215], v[88:89] op_sel_hi:[1,0]
	v_mov_b32_e32 v85, v93
	s_wait_loadcnt 0x2
	v_pk_mul_f32 v[94:95], v[154:155], v[138:139] op_sel:[1,1] op_sel_hi:[0,1]
	v_add_f32_e32 v5, v5, v45
	v_pk_fma_f32 v[86:87], v[150:151], v[134:135], v[86:87] neg_lo:[0,0,1] neg_hi:[0,0,1]
	v_mov_b32_e32 v87, v97
	v_pk_fma_f32 v[92:93], v[152:153], v[136:137], v[88:89] op_sel_hi:[1,0,1]
	v_pk_fma_f32 v[88:89], v[152:153], v[136:137], v[88:89] neg_lo:[0,0,1] neg_hi:[0,0,1]
	v_add_f32_e32 v5, v5, v47
	s_delay_alu instid0(VALU_DEP_1) | instskip(NEXT) | instid1(VALU_DEP_1)
	v_add_f32_e32 v91, v5, v49
	v_pk_add_f32 v[90:91], v[90:91], v[220:221]
	s_delay_alu instid0(VALU_DEP_1) | instskip(NEXT) | instid1(VALU_DEP_1)
	v_pk_add_f32 v[90:91], v[90:91], v[222:223]
	v_pk_add_f32 v[82:83], v[90:91], v[82:83]
	v_mov_b32_e32 v90, v141
	s_delay_alu instid0(VALU_DEP_2) | instskip(SKIP_1) | instid1(VALU_DEP_3)
	v_pk_add_f32 v[82:83], v[82:83], v[84:85]
	v_pk_fma_f32 v[84:85], v[154:155], v[138:139], v[94:95] op_sel_hi:[1,0,1]
	v_pk_mul_f32 v[90:91], v[216:217], v[90:91] op_sel_hi:[1,0]
	v_mov_b32_e32 v89, v93
	v_pk_fma_f32 v[92:93], v[154:155], v[138:139], v[94:95] neg_lo:[0,0,1] neg_hi:[0,0,1]
	v_pk_add_f32 v[82:83], v[82:83], v[86:87]
	v_mov_b32_e32 v93, v85
	v_pk_fma_f32 v[84:85], v[156:157], v[140:141], v[90:91] op_sel_hi:[1,0,1]
	s_wait_loadcnt 0x1
	v_pk_mul_f32 v[86:87], v[158:159], v[142:143] op_sel:[1,1] op_sel_hi:[0,1]
	v_mov_b32_e32 v84, v145
	v_pk_add_f32 v[82:83], v[82:83], v[88:89]
	v_pk_fma_f32 v[90:91], v[156:157], v[140:141], v[90:91] neg_lo:[0,0,1] neg_hi:[0,0,1]
	v_mov_b32_e32 v91, v85
	v_pk_fma_f32 v[88:89], v[158:159], v[142:143], v[86:87] op_sel_hi:[1,0,1]
	v_pk_mul_f32 v[84:85], v[218:219], v[84:85] op_sel_hi:[1,0]
	v_pk_add_f32 v[82:83], v[82:83], v[92:93]
	v_pk_fma_f32 v[86:87], v[158:159], v[142:143], v[86:87] neg_lo:[0,0,1] neg_hi:[0,0,1]
	s_delay_alu instid0(VALU_DEP_4) | instskip(NEXT) | instid1(VALU_DEP_4)
	v_mov_b32_e32 v87, v89
	v_pk_fma_f32 v[88:89], v[160:161], v[144:145], v[84:85] op_sel_hi:[1,0,1]
	s_delay_alu instid0(VALU_DEP_4) | instskip(SKIP_1) | instid1(VALU_DEP_3)
	v_pk_add_f32 v[82:83], v[82:83], v[90:91]
	v_pk_fma_f32 v[84:85], v[160:161], v[144:145], v[84:85] neg_lo:[0,0,1] neg_hi:[0,0,1]
	v_mov_b32_e32 v85, v89
	s_delay_alu instid0(VALU_DEP_3) | instskip(NEXT) | instid1(VALU_DEP_1)
	v_pk_add_f32 v[82:83], v[82:83], v[86:87]
	v_pk_add_f32 v[82:83], v[82:83], v[84:85]
	s_wait_loadcnt 0x0
	s_delay_alu instid0(VALU_DEP_1)
	v_pk_add_f32 v[82:83], v[210:211], v[82:83] neg_lo:[0,1] neg_hi:[0,1]
	scratch_store_b64 off, v[82:83], off offset:56
	s_wait_xcnt 0x0
	v_cmpx_lt_u32_e32 6, v0
	s_cbranch_execz .LBB39_241
; %bb.240:
	scratch_load_b64 v[82:83], off, off offset:48
	v_mov_b64_e32 v[84:85], 0
	scratch_store_b64 off, v[84:85], off offset:48
	s_wait_loadcnt 0x0
	ds_store_b64 v1, v[82:83]
.LBB39_241:
	s_wait_xcnt 0x0
	s_or_b32 exec_lo, exec_lo, s0
	s_wait_storecnt_dscnt 0x0
	s_barrier_signal -1
	s_barrier_wait -1
	s_clause 0x11
	scratch_load_b128 v[82:85], off, off offset:56
	scratch_load_b128 v[86:89], off, off offset:72
	;; [unrolled: 1-line block ×16, first 2 shown]
	scratch_load_b64 v[210:211], off, off offset:312
	scratch_load_b64 v[212:213], off, off offset:48
	v_mov_b32_e32 v5, 0
	ds_load_2addr_b64 v[146:149], v5 offset0:71 offset1:72
	ds_load_2addr_b64 v[150:153], v5 offset0:73 offset1:74
	;; [unrolled: 1-line block ×16, first 2 shown]
	ds_load_b64 v[214:215], v5 offset:632
	s_mov_b32 s0, exec_lo
	s_wait_dscnt 0x10
	v_dual_mov_b32 v216, v149 :: v_dual_mov_b32 v217, v148
	s_wait_dscnt 0xd
	v_dual_mov_b32 v218, v153 :: v_dual_mov_b32 v223, v160
	v_dual_mov_b32 v219, v152 :: v_dual_mov_b32 v220, v157
	;; [unrolled: 1-line block ×3, first 2 shown]
	s_wait_loadcnt_dscnt 0x110c
	v_dual_mul_f32 v9, v162, v83 :: v_dual_mul_f32 v55, v163, v83
	v_dual_mul_f32 v57, v165, v85 :: v_dual_mul_f32 v11, v164, v85
	s_wait_loadcnt_dscnt 0x100b
	v_mul_f32_e32 v13, v166, v87
	s_wait_loadcnt_dscnt 0xe09
	v_dual_mul_f32 v67, v175, v95 :: v_dual_fma_f32 v55, v162, v82, -v55
	v_dual_fmac_f32 v9, v163, v82 :: v_dual_mul_f32 v69, v177, v97
	v_dual_mul_f32 v59, v167, v87 :: v_dual_mul_f32 v61, v169, v89
	v_dual_fmac_f32 v11, v165, v84 :: v_dual_fma_f32 v57, v164, v84, -v57
	s_delay_alu instid0(VALU_DEP_3) | instskip(SKIP_3) | instid1(VALU_DEP_3)
	v_dual_add_f32 v9, 0, v9 :: v_dual_add_f32 v55, 0, v55
	v_dual_mul_f32 v15, v168, v89 :: v_dual_mul_f32 v17, v170, v91
	s_wait_loadcnt_dscnt 0xd08
	v_dual_mul_f32 v71, v179, v99 :: v_dual_fma_f32 v59, v166, v86, -v59
	v_dual_fmac_f32 v13, v167, v86 :: v_dual_add_f32 v9, v9, v11
	s_delay_alu instid0(VALU_DEP_3) | instskip(SKIP_2) | instid1(VALU_DEP_3)
	v_dual_add_f32 v11, v55, v57 :: v_dual_fmac_f32 v15, v169, v88
	v_dual_mul_f32 v63, v171, v91 :: v_dual_mul_f32 v65, v173, v93
	v_dual_mul_f32 v55, v181, v101 :: v_dual_fma_f32 v57, v168, v88, -v61
	v_dual_add_f32 v9, v9, v13 :: v_dual_add_f32 v11, v11, v59
	v_dual_mul_f32 v19, v172, v93 :: v_dual_mul_f32 v21, v174, v95
	s_wait_loadcnt_dscnt 0xc07
	v_dual_mul_f32 v13, v183, v103 :: v_dual_fma_f32 v59, v170, v90, -v63
	s_delay_alu instid0(VALU_DEP_3) | instskip(NEXT) | instid1(VALU_DEP_3)
	v_dual_fmac_f32 v17, v171, v90 :: v_dual_add_f32 v9, v9, v15
	v_dual_add_f32 v11, v11, v57 :: v_dual_fmac_f32 v19, v173, v92
	v_dual_mul_f32 v15, v185, v105 :: v_dual_fma_f32 v57, v172, v92, -v65
	s_delay_alu instid0(VALU_DEP_2) | instskip(SKIP_3) | instid1(VALU_DEP_3)
	v_dual_add_f32 v9, v9, v17 :: v_dual_add_f32 v11, v11, v59
	v_dual_mul_f32 v23, v176, v97 :: v_dual_mul_f32 v25, v178, v99
	s_wait_loadcnt_dscnt 0xb06
	v_dual_mul_f32 v17, v187, v107 :: v_dual_fma_f32 v59, v174, v94, -v67
	v_dual_fmac_f32 v21, v175, v94 :: v_dual_add_f32 v9, v9, v19
	s_delay_alu instid0(VALU_DEP_3) | instskip(SKIP_1) | instid1(VALU_DEP_2)
	v_dual_add_f32 v11, v11, v57 :: v_dual_fmac_f32 v23, v177, v96
	v_dual_mul_f32 v19, v189, v109 :: v_dual_fma_f32 v57, v176, v96, -v69
	v_dual_add_f32 v9, v9, v21 :: v_dual_add_f32 v11, v11, v59
	v_dual_mul_f32 v27, v180, v101 :: v_dual_mul_f32 v29, v182, v103
	s_wait_loadcnt_dscnt 0xa05
	v_dual_mul_f32 v21, v191, v111 :: v_dual_fma_f32 v59, v178, v98, -v71
	s_delay_alu instid0(VALU_DEP_3) | instskip(NEXT) | instid1(VALU_DEP_3)
	v_dual_fmac_f32 v25, v179, v98 :: v_dual_add_f32 v9, v9, v23
	v_dual_add_f32 v11, v11, v57 :: v_dual_fmac_f32 v27, v181, v100
	v_dual_mul_f32 v23, v193, v113 :: v_dual_fma_f32 v55, v180, v100, -v55
	s_delay_alu instid0(VALU_DEP_2) | instskip(SKIP_3) | instid1(VALU_DEP_3)
	v_dual_add_f32 v9, v9, v25 :: v_dual_add_f32 v11, v11, v59
	v_dual_mul_f32 v31, v184, v105 :: v_dual_mul_f32 v33, v186, v107
	s_wait_loadcnt_dscnt 0x904
	v_dual_mul_f32 v25, v195, v115 :: v_dual_fma_f32 v13, v182, v102, -v13
	v_dual_fmac_f32 v29, v183, v102 :: v_dual_add_f32 v9, v9, v27
	v_dual_add_f32 v11, v11, v55 :: v_dual_mul_f32 v27, v197, v117
	v_fmac_f32_e32 v31, v185, v104
	s_delay_alu instid0(VALU_DEP_3) | instskip(NEXT) | instid1(VALU_DEP_3)
	v_dual_fma_f32 v15, v184, v104, -v15 :: v_dual_add_f32 v9, v9, v29
	v_add_f32_e32 v11, v11, v13
	v_dual_mul_f32 v35, v188, v109 :: v_dual_mul_f32 v37, v190, v111
	s_wait_loadcnt_dscnt 0x803
	v_dual_mul_f32 v13, v199, v119 :: v_dual_fma_f32 v17, v186, v106, -v17
	v_dual_fmac_f32 v33, v187, v106 :: v_dual_add_f32 v9, v9, v31
	v_dual_add_f32 v11, v11, v15 :: v_dual_mul_f32 v15, v201, v121
	v_fmac_f32_e32 v35, v189, v108
	s_delay_alu instid0(VALU_DEP_3) | instskip(NEXT) | instid1(VALU_DEP_3)
	v_dual_fma_f32 v19, v188, v108, -v19 :: v_dual_add_f32 v9, v9, v33
	v_add_f32_e32 v11, v11, v17
	;; [unrolled: 9-line block ×4, first 2 shown]
	v_dual_mul_f32 v47, v200, v121 :: v_dual_mul_f32 v49, v202, v123
	s_wait_loadcnt 0x5
	v_dual_mul_f32 v25, v147, v131 :: v_dual_fma_f32 v13, v198, v118, -v13
	v_dual_fmac_f32 v45, v199, v118 :: v_dual_add_f32 v9, v9, v43
	v_dual_add_f32 v11, v11, v27 :: v_dual_mov_b32 v82, v133
	v_fmac_f32_e32 v47, v201, v120
	s_delay_alu instid0(VALU_DEP_3) | instskip(NEXT) | instid1(VALU_DEP_3)
	v_dual_fma_f32 v15, v200, v120, -v15 :: v_dual_add_f32 v9, v9, v45
	v_add_f32_e32 v11, v11, v13
	v_dual_mul_f32 v51, v204, v125 :: v_dual_mul_f32 v53, v206, v127
	s_delay_alu instid0(VALU_DEP_3) | instskip(NEXT) | instid1(VALU_DEP_3)
	v_dual_fmac_f32 v49, v203, v122 :: v_dual_add_f32 v9, v9, v47
	v_dual_fma_f32 v13, v202, v122, -v17 :: v_dual_add_f32 v11, v11, v15
	s_wait_loadcnt 0x4
	v_dual_mov_b32 v86, v137 :: v_dual_fma_f32 v15, v204, v124, -v19
	v_fmac_f32_e32 v51, v205, v124
	v_dual_add_f32 v9, v9, v49 :: v_dual_fmac_f32 v53, v207, v126
	v_add_f32_e32 v11, v11, v13
	v_dual_mul_f32 v225, v208, v129 :: v_dual_mul_f32 v227, v146, v131
	s_delay_alu instid0(VALU_DEP_3) | instskip(NEXT) | instid1(VALU_DEP_2)
	v_dual_fma_f32 v13, v206, v126, -v21 :: v_dual_add_f32 v9, v9, v51
	v_dual_add_f32 v11, v11, v15 :: v_dual_fmac_f32 v225, v209, v128
	v_fma_f32 v224, v208, v128, -v23
	v_pk_mul_f32 v[82:83], v[216:217], v[82:83] op_sel_hi:[1,0]
	s_delay_alu instid0(VALU_DEP_4)
	v_add_f32_e32 v91, v9, v53
	s_wait_loadcnt 0x3
	v_dual_add_f32 v90, v11, v13 :: v_dual_mov_b32 v92, v141
	v_pk_mul_f32 v[84:85], v[150:151], v[134:135] op_sel:[1,1] op_sel_hi:[0,1]
	v_dual_fmac_f32 v227, v147, v130 :: v_dual_fma_f32 v226, v146, v130, -v25
	v_pk_fma_f32 v[94:95], v[148:149], v[132:133], v[82:83] op_sel_hi:[1,0,1]
	s_delay_alu instid0(VALU_DEP_4)
	v_pk_add_f32 v[90:91], v[90:91], v[224:225]
	v_pk_fma_f32 v[82:83], v[148:149], v[132:133], v[82:83] neg_lo:[0,0,1] neg_hi:[0,0,1]
	v_pk_fma_f32 v[96:97], v[150:151], v[134:135], v[84:85] op_sel_hi:[1,0,1]
	v_pk_mul_f32 v[86:87], v[218:219], v[86:87] op_sel_hi:[1,0]
	v_mov_b32_e32 v83, v95
	v_pk_add_f32 v[90:91], v[90:91], v[226:227]
	v_pk_fma_f32 v[84:85], v[150:151], v[134:135], v[84:85] neg_lo:[0,0,1] neg_hi:[0,0,1]
	v_pk_mul_f32 v[88:89], v[154:155], v[138:139] op_sel:[1,1] op_sel_hi:[0,1]
	v_mov_b32_e32 v85, v97
	v_pk_fma_f32 v[96:97], v[152:153], v[136:137], v[86:87] op_sel_hi:[1,0,1]
	v_pk_add_f32 v[82:83], v[90:91], v[82:83]
	v_pk_fma_f32 v[86:87], v[152:153], v[136:137], v[86:87] neg_lo:[0,0,1] neg_hi:[0,0,1]
	v_pk_fma_f32 v[90:91], v[154:155], v[138:139], v[88:89] op_sel_hi:[1,0,1]
	v_pk_mul_f32 v[92:93], v[220:221], v[92:93] op_sel_hi:[1,0]
	v_mov_b32_e32 v87, v97
	v_pk_add_f32 v[82:83], v[82:83], v[84:85]
	v_pk_fma_f32 v[88:89], v[154:155], v[138:139], v[88:89] neg_lo:[0,0,1] neg_hi:[0,0,1]
	s_wait_loadcnt 0x2
	v_pk_mul_f32 v[94:95], v[158:159], v[142:143] op_sel:[1,1] op_sel_hi:[0,1]
	v_dual_mov_b32 v84, v145 :: v_dual_mov_b32 v89, v91
	v_pk_fma_f32 v[90:91], v[156:157], v[140:141], v[92:93] op_sel_hi:[1,0,1]
	v_pk_add_f32 v[82:83], v[82:83], v[86:87]
	v_pk_fma_f32 v[92:93], v[156:157], v[140:141], v[92:93] neg_lo:[0,0,1] neg_hi:[0,0,1]
	v_pk_fma_f32 v[86:87], v[158:159], v[142:143], v[94:95] op_sel_hi:[1,0,1]
	v_pk_mul_f32 v[84:85], v[222:223], v[84:85] op_sel_hi:[1,0]
	v_mov_b32_e32 v93, v91
	v_pk_add_f32 v[82:83], v[82:83], v[88:89]
	v_pk_fma_f32 v[88:89], v[158:159], v[142:143], v[94:95] neg_lo:[0,0,1] neg_hi:[0,0,1]
	v_mov_b32_e32 v89, v87
	v_pk_fma_f32 v[86:87], v[160:161], v[144:145], v[84:85] op_sel_hi:[1,0,1]
	s_wait_loadcnt_dscnt 0x100
	v_pk_mul_f32 v[90:91], v[214:215], v[210:211] op_sel:[1,1] op_sel_hi:[0,1]
	v_pk_add_f32 v[82:83], v[82:83], v[92:93]
	v_pk_fma_f32 v[84:85], v[160:161], v[144:145], v[84:85] neg_lo:[0,0,1] neg_hi:[0,0,1]
	v_mov_b32_e32 v85, v87
	s_delay_alu instid0(VALU_DEP_4) | instskip(NEXT) | instid1(VALU_DEP_4)
	v_pk_fma_f32 v[86:87], v[214:215], v[210:211], v[90:91] op_sel_hi:[1,0,1]
	v_pk_add_f32 v[82:83], v[82:83], v[88:89]
	v_pk_fma_f32 v[88:89], v[214:215], v[210:211], v[90:91] neg_lo:[0,0,1] neg_hi:[0,0,1]
	s_delay_alu instid0(VALU_DEP_3) | instskip(NEXT) | instid1(VALU_DEP_3)
	v_mov_b32_e32 v89, v87
	v_pk_add_f32 v[82:83], v[82:83], v[84:85]
	s_delay_alu instid0(VALU_DEP_1) | instskip(SKIP_1) | instid1(VALU_DEP_1)
	v_pk_add_f32 v[82:83], v[82:83], v[88:89]
	s_wait_loadcnt 0x0
	v_pk_add_f32 v[82:83], v[212:213], v[82:83] neg_lo:[0,1] neg_hi:[0,1]
	scratch_store_b64 off, v[82:83], off offset:48
	s_wait_xcnt 0x0
	v_cmpx_lt_u32_e32 5, v0
	s_cbranch_execz .LBB39_243
; %bb.242:
	scratch_load_b64 v[82:83], off, off offset:40
	v_mov_b64_e32 v[84:85], 0
	scratch_store_b64 off, v[84:85], off offset:40
	s_wait_loadcnt 0x0
	ds_store_b64 v1, v[82:83]
.LBB39_243:
	s_wait_xcnt 0x0
	s_or_b32 exec_lo, exec_lo, s0
	s_wait_storecnt_dscnt 0x0
	s_barrier_signal -1
	s_barrier_wait -1
	s_clause 0x11
	scratch_load_b128 v[82:85], off, off offset:48
	scratch_load_b128 v[86:89], off, off offset:64
	;; [unrolled: 1-line block ×17, first 2 shown]
	scratch_load_b64 v[218:219], off, off offset:40
	ds_load_b128 v[150:153], v5 offset:576
	ds_load_b128 v[154:157], v5 offset:592
	;; [unrolled: 1-line block ×17, first 2 shown]
	s_mov_b32 s0, exec_lo
	s_wait_dscnt 0x10
	v_dual_mov_b32 v220, v153 :: v_dual_mov_b32 v221, v152
	s_wait_dscnt 0xf
	v_dual_mov_b32 v222, v157 :: v_dual_mov_b32 v223, v156
	;; [unrolled: 2-line block ×4, first 2 shown]
	s_wait_loadcnt_dscnt 0x110b
	v_dual_mul_f32 v5, v170, v83 :: v_dual_mul_f32 v9, v172, v85
	v_dual_mul_f32 v55, v171, v83 :: v_dual_mul_f32 v57, v173, v85
	s_wait_loadcnt_dscnt 0x100a
	v_dual_mul_f32 v11, v174, v87 :: v_dual_mul_f32 v13, v176, v89
	s_delay_alu instid0(VALU_DEP_2) | instskip(SKIP_3) | instid1(VALU_DEP_3)
	v_dual_fmac_f32 v5, v171, v82 :: v_dual_fma_f32 v55, v170, v82, -v55
	v_dual_mul_f32 v59, v175, v87 :: v_dual_mul_f32 v61, v177, v89
	s_wait_loadcnt_dscnt 0xe08
	v_dual_mul_f32 v67, v183, v95 :: v_dual_fmac_f32 v9, v173, v84
	v_dual_fma_f32 v57, v172, v84, -v57 :: v_dual_add_f32 v5, 0, v5
	v_dual_add_f32 v55, 0, v55 :: v_dual_mul_f32 v69, v185, v97
	v_fmac_f32_e32 v11, v175, v86
	s_delay_alu instid0(VALU_DEP_3) | instskip(NEXT) | instid1(VALU_DEP_3)
	v_dual_fma_f32 v59, v174, v86, -v59 :: v_dual_add_f32 v5, v5, v9
	v_dual_add_f32 v9, v55, v57 :: v_dual_mul_f32 v15, v178, v91
	v_dual_mul_f32 v17, v180, v93 :: v_dual_mul_f32 v63, v179, v91
	v_dual_mul_f32 v65, v181, v93 :: v_dual_fma_f32 v57, v176, v88, -v61
	s_delay_alu instid0(VALU_DEP_4) | instskip(NEXT) | instid1(VALU_DEP_4)
	v_add_f32_e32 v5, v5, v11
	v_dual_add_f32 v9, v9, v59 :: v_dual_fmac_f32 v15, v179, v90
	s_wait_loadcnt_dscnt 0xd07
	v_dual_mul_f32 v55, v187, v99 :: v_dual_fmac_f32 v13, v177, v88
	v_dual_mul_f32 v11, v189, v101 :: v_dual_fma_f32 v59, v178, v90, -v63
	s_delay_alu instid0(VALU_DEP_3) | instskip(SKIP_1) | instid1(VALU_DEP_3)
	v_dual_add_f32 v9, v9, v57 :: v_dual_fma_f32 v57, v180, v92, -v65
	s_wait_loadcnt_dscnt 0xc06
	v_dual_add_f32 v5, v5, v13 :: v_dual_mul_f32 v13, v191, v103
	v_dual_mul_f32 v19, v182, v95 :: v_dual_mul_f32 v21, v184, v97
	s_delay_alu instid0(VALU_DEP_3) | instskip(SKIP_1) | instid1(VALU_DEP_4)
	v_add_f32_e32 v9, v9, v59
	v_fmac_f32_e32 v17, v181, v92
	v_dual_add_f32 v5, v5, v15 :: v_dual_fma_f32 v59, v182, v94, -v67
	v_dual_mul_f32 v23, v186, v99 :: v_dual_mul_f32 v25, v188, v101
	s_delay_alu instid0(VALU_DEP_4) | instskip(NEXT) | instid1(VALU_DEP_3)
	v_dual_add_f32 v9, v9, v57 :: v_dual_fma_f32 v55, v186, v98, -v55
	v_dual_fmac_f32 v19, v183, v94 :: v_dual_add_f32 v5, v5, v17
	s_delay_alu instid0(VALU_DEP_3) | instskip(NEXT) | instid1(VALU_DEP_3)
	v_dual_fmac_f32 v23, v187, v98 :: v_dual_fma_f32 v57, v184, v96, -v69
	v_dual_add_f32 v9, v9, v59 :: v_dual_fma_f32 v13, v190, v102, -v13
	v_dual_mul_f32 v27, v190, v103 :: v_dual_mul_f32 v29, v192, v105
	s_wait_loadcnt_dscnt 0xb05
	v_dual_mul_f32 v15, v193, v105 :: v_dual_mul_f32 v17, v195, v107
	s_delay_alu instid0(VALU_DEP_2) | instskip(SKIP_1) | instid1(VALU_DEP_3)
	v_dual_fmac_f32 v21, v185, v96 :: v_dual_fmac_f32 v27, v191, v102
	v_dual_add_f32 v5, v5, v19 :: v_dual_fma_f32 v11, v188, v100, -v11
	v_dual_add_f32 v9, v9, v57 :: v_dual_fma_f32 v15, v192, v104, -v15
	v_mul_f32_e32 v19, v197, v109
	s_wait_loadcnt_dscnt 0xa04
	s_delay_alu instid0(VALU_DEP_3) | instskip(NEXT) | instid1(VALU_DEP_3)
	v_dual_add_f32 v5, v5, v21 :: v_dual_mul_f32 v21, v199, v111
	v_add_f32_e32 v9, v9, v55
	s_wait_loadcnt_dscnt 0x903
	v_dual_mul_f32 v39, v202, v115 :: v_dual_mul_f32 v41, v204, v117
	s_delay_alu instid0(VALU_DEP_3) | instskip(NEXT) | instid1(VALU_DEP_3)
	v_dual_fma_f32 v19, v196, v108, -v19 :: v_dual_fma_f32 v21, v198, v110, -v21
	v_add_f32_e32 v9, v9, v11
	v_mul_f32_e32 v11, v203, v115
	v_dual_add_f32 v5, v5, v23 :: v_dual_fma_f32 v17, v194, v106, -v17
	s_delay_alu instid0(VALU_DEP_3) | instskip(NEXT) | instid1(VALU_DEP_3)
	v_dual_fmac_f32 v39, v203, v114 :: v_dual_add_f32 v9, v9, v13
	v_dual_mul_f32 v13, v205, v117 :: v_dual_fma_f32 v11, v202, v114, -v11
	v_dual_mul_f32 v31, v194, v107 :: v_dual_mul_f32 v33, v196, v109
	s_delay_alu instid0(VALU_DEP_2) | instskip(NEXT) | instid1(VALU_DEP_2)
	v_dual_add_f32 v9, v9, v15 :: v_dual_fma_f32 v13, v204, v116, -v13
	v_dual_fmac_f32 v25, v189, v100 :: v_dual_fmac_f32 v31, v195, v106
	v_dual_mul_f32 v35, v198, v111 :: v_dual_mul_f32 v37, v200, v113
	s_wait_loadcnt_dscnt 0x701
	s_delay_alu instid0(VALU_DEP_3) | instskip(SKIP_3) | instid1(VALU_DEP_4)
	v_dual_add_f32 v9, v9, v17 :: v_dual_mul_f32 v47, v210, v123
	v_mul_f32_e32 v49, v212, v125
	v_dual_mul_f32 v23, v201, v113 :: v_dual_mul_f32 v15, v207, v119
	v_dual_add_f32 v5, v5, v25 :: v_dual_fmac_f32 v35, v199, v110
	v_dual_add_f32 v9, v9, v19 :: v_dual_fmac_f32 v47, v211, v122
	s_wait_loadcnt_dscnt 0x600
	v_dual_mul_f32 v51, v214, v127 :: v_dual_mul_f32 v53, v216, v129
	v_dual_fmac_f32 v29, v193, v104 :: v_dual_mul_f32 v19, v211, v123
	v_dual_add_f32 v5, v5, v27 :: v_dual_fma_f32 v23, v200, v112, -v23
	s_delay_alu instid0(VALU_DEP_3) | instskip(SKIP_1) | instid1(VALU_DEP_3)
	v_dual_add_f32 v9, v9, v21 :: v_dual_fmac_f32 v51, v215, v126
	v_dual_mul_f32 v43, v206, v119 :: v_dual_mul_f32 v45, v208, v121
	v_add_f32_e32 v5, v5, v29
	s_delay_alu instid0(VALU_DEP_3) | instskip(NEXT) | instid1(VALU_DEP_3)
	v_add_f32_e32 v9, v9, v23
	v_dual_fmac_f32 v33, v197, v108 :: v_dual_fmac_f32 v43, v207, v118
	v_mul_f32_e32 v23, v215, v127
	s_delay_alu instid0(VALU_DEP_4) | instskip(NEXT) | instid1(VALU_DEP_4)
	v_dual_add_f32 v5, v5, v31 :: v_dual_fma_f32 v15, v206, v118, -v15
	v_add_f32_e32 v9, v9, v11
	v_dual_mul_f32 v17, v209, v121 :: v_dual_fmac_f32 v45, v209, v120
	s_delay_alu instid0(VALU_DEP_3) | instskip(SKIP_1) | instid1(VALU_DEP_4)
	v_add_f32_e32 v5, v5, v33
	v_dual_fmac_f32 v37, v201, v112 :: v_dual_fma_f32 v19, v210, v122, -v19
	v_add_f32_e32 v9, v9, v13
	v_dual_mul_f32 v21, v213, v125 :: v_dual_fmac_f32 v49, v213, v124
	s_delay_alu instid0(VALU_DEP_4) | instskip(NEXT) | instid1(VALU_DEP_3)
	v_dual_fma_f32 v17, v208, v120, -v17 :: v_dual_add_f32 v5, v5, v35
	v_add_f32_e32 v9, v9, v15
	s_wait_loadcnt 0x5
	v_dual_mul_f32 v229, v166, v131 :: v_dual_mul_f32 v231, v168, v133
	v_fmac_f32_e32 v41, v205, v116
	v_mul_f32_e32 v15, v169, v133
	v_dual_add_f32 v9, v9, v17 :: v_dual_fma_f32 v17, v212, v124, -v21
	s_delay_alu instid0(VALU_DEP_4) | instskip(SKIP_1) | instid1(VALU_DEP_3)
	v_dual_add_f32 v5, v5, v37 :: v_dual_fmac_f32 v229, v167, v130
	v_fmac_f32_e32 v231, v169, v132
	v_dual_add_f32 v9, v9, v19 :: v_dual_fma_f32 v19, v214, v126, -v23
	s_delay_alu instid0(VALU_DEP_3) | instskip(SKIP_1) | instid1(VALU_DEP_3)
	v_dual_add_f32 v5, v5, v39 :: v_dual_fma_f32 v230, v168, v132, -v15
	v_dual_mul_f32 v11, v217, v129 :: v_dual_fmac_f32 v53, v217, v128
	v_add_f32_e32 v9, v9, v17
	s_delay_alu instid0(VALU_DEP_3) | instskip(NEXT) | instid1(VALU_DEP_3)
	v_dual_add_f32 v5, v5, v41 :: v_dual_mul_f32 v13, v167, v131
	v_fma_f32 v11, v216, v128, -v11
	s_wait_loadcnt 0x4
	v_pk_mul_f32 v[82:83], v[150:151], v[134:135] op_sel:[1,1] op_sel_hi:[0,1]
	v_add_f32_e32 v9, v9, v19
	v_add_f32_e32 v5, v5, v43
	s_wait_loadcnt 0x3
	v_dual_mov_b32 v84, v137 :: v_dual_mov_b32 v88, v141
	s_delay_alu instid0(VALU_DEP_3) | instskip(NEXT) | instid1(VALU_DEP_3)
	v_dual_fma_f32 v228, v166, v130, -v13 :: v_dual_add_f32 v90, v9, v11
	v_add_f32_e32 v5, v5, v45
	v_pk_fma_f32 v[92:93], v[150:151], v[134:135], v[82:83] op_sel_hi:[1,0,1]
	s_delay_alu instid0(VALU_DEP_4)
	v_pk_mul_f32 v[84:85], v[220:221], v[84:85] op_sel_hi:[1,0]
	v_pk_fma_f32 v[82:83], v[150:151], v[134:135], v[82:83] neg_lo:[0,0,1] neg_hi:[0,0,1]
	v_pk_mul_f32 v[86:87], v[154:155], v[138:139] op_sel:[1,1] op_sel_hi:[0,1]
	v_add_f32_e32 v5, v5, v47
	v_mov_b32_e32 v83, v93
	v_pk_fma_f32 v[92:93], v[152:153], v[136:137], v[84:85] op_sel_hi:[1,0,1]
	v_pk_fma_f32 v[84:85], v[152:153], v[136:137], v[84:85] neg_lo:[0,0,1] neg_hi:[0,0,1]
	v_pk_fma_f32 v[96:97], v[154:155], v[138:139], v[86:87] op_sel_hi:[1,0,1]
	v_add_f32_e32 v5, v5, v49
	v_pk_mul_f32 v[88:89], v[222:223], v[88:89] op_sel_hi:[1,0]
	v_mov_b32_e32 v85, v93
	s_wait_loadcnt 0x2
	v_pk_mul_f32 v[94:95], v[158:159], v[142:143] op_sel:[1,1] op_sel_hi:[0,1]
	v_pk_fma_f32 v[86:87], v[154:155], v[138:139], v[86:87] neg_lo:[0,0,1] neg_hi:[0,0,1]
	v_add_f32_e32 v5, v5, v51
	v_mov_b32_e32 v87, v97
	v_pk_fma_f32 v[92:93], v[156:157], v[140:141], v[88:89] op_sel_hi:[1,0,1]
	v_pk_fma_f32 v[88:89], v[156:157], v[140:141], v[88:89] neg_lo:[0,0,1] neg_hi:[0,0,1]
	s_delay_alu instid0(VALU_DEP_4) | instskip(NEXT) | instid1(VALU_DEP_1)
	v_add_f32_e32 v91, v5, v53
	v_pk_add_f32 v[90:91], v[90:91], v[228:229]
	s_delay_alu instid0(VALU_DEP_1) | instskip(NEXT) | instid1(VALU_DEP_1)
	v_pk_add_f32 v[90:91], v[90:91], v[230:231]
	v_pk_add_f32 v[82:83], v[90:91], v[82:83]
	v_mov_b32_e32 v90, v145
	s_delay_alu instid0(VALU_DEP_2) | instskip(SKIP_1) | instid1(VALU_DEP_3)
	v_pk_add_f32 v[82:83], v[82:83], v[84:85]
	v_pk_fma_f32 v[84:85], v[158:159], v[142:143], v[94:95] op_sel_hi:[1,0,1]
	v_pk_mul_f32 v[90:91], v[224:225], v[90:91] op_sel_hi:[1,0]
	v_mov_b32_e32 v89, v93
	v_pk_fma_f32 v[92:93], v[158:159], v[142:143], v[94:95] neg_lo:[0,0,1] neg_hi:[0,0,1]
	v_pk_add_f32 v[82:83], v[82:83], v[86:87]
	v_mov_b32_e32 v93, v85
	v_pk_fma_f32 v[84:85], v[160:161], v[144:145], v[90:91] op_sel_hi:[1,0,1]
	s_wait_loadcnt 0x1
	v_pk_mul_f32 v[86:87], v[162:163], v[146:147] op_sel:[1,1] op_sel_hi:[0,1]
	v_mov_b32_e32 v84, v149
	v_pk_add_f32 v[82:83], v[82:83], v[88:89]
	v_pk_fma_f32 v[90:91], v[160:161], v[144:145], v[90:91] neg_lo:[0,0,1] neg_hi:[0,0,1]
	v_mov_b32_e32 v91, v85
	v_pk_fma_f32 v[88:89], v[162:163], v[146:147], v[86:87] op_sel_hi:[1,0,1]
	v_pk_mul_f32 v[84:85], v[226:227], v[84:85] op_sel_hi:[1,0]
	v_pk_add_f32 v[82:83], v[82:83], v[92:93]
	v_pk_fma_f32 v[86:87], v[162:163], v[146:147], v[86:87] neg_lo:[0,0,1] neg_hi:[0,0,1]
	s_delay_alu instid0(VALU_DEP_4) | instskip(NEXT) | instid1(VALU_DEP_4)
	v_mov_b32_e32 v87, v89
	v_pk_fma_f32 v[88:89], v[164:165], v[148:149], v[84:85] op_sel_hi:[1,0,1]
	s_delay_alu instid0(VALU_DEP_4) | instskip(SKIP_1) | instid1(VALU_DEP_3)
	v_pk_add_f32 v[82:83], v[82:83], v[90:91]
	v_pk_fma_f32 v[84:85], v[164:165], v[148:149], v[84:85] neg_lo:[0,0,1] neg_hi:[0,0,1]
	v_mov_b32_e32 v85, v89
	s_delay_alu instid0(VALU_DEP_3) | instskip(NEXT) | instid1(VALU_DEP_1)
	v_pk_add_f32 v[82:83], v[82:83], v[86:87]
	v_pk_add_f32 v[82:83], v[82:83], v[84:85]
	s_wait_loadcnt 0x0
	s_delay_alu instid0(VALU_DEP_1)
	v_pk_add_f32 v[82:83], v[218:219], v[82:83] neg_lo:[0,1] neg_hi:[0,1]
	scratch_store_b64 off, v[82:83], off offset:40
	s_wait_xcnt 0x0
	v_cmpx_lt_u32_e32 4, v0
	s_cbranch_execz .LBB39_245
; %bb.244:
	scratch_load_b64 v[82:83], off, off offset:32
	v_mov_b64_e32 v[84:85], 0
	scratch_store_b64 off, v[84:85], off offset:32
	s_wait_loadcnt 0x0
	ds_store_b64 v1, v[82:83]
.LBB39_245:
	s_wait_xcnt 0x0
	s_or_b32 exec_lo, exec_lo, s0
	s_wait_storecnt_dscnt 0x0
	s_barrier_signal -1
	s_barrier_wait -1
	s_clause 0x12
	scratch_load_b128 v[82:85], off, off offset:40
	scratch_load_b128 v[86:89], off, off offset:56
	;; [unrolled: 1-line block ×17, first 2 shown]
	scratch_load_b64 v[218:219], off, off offset:312
	scratch_load_b64 v[220:221], off, off offset:32
	v_mov_b32_e32 v5, 0
	ds_load_2addr_b64 v[150:153], v5 offset0:71 offset1:72
	ds_load_2addr_b64 v[154:157], v5 offset0:73 offset1:74
	;; [unrolled: 1-line block ×17, first 2 shown]
	ds_load_b64 v[222:223], v5 offset:632
	s_mov_b32 s0, exec_lo
	s_wait_dscnt 0x11
	v_dual_mov_b32 v224, v153 :: v_dual_mov_b32 v225, v152
	s_wait_dscnt 0x10
	v_dual_mov_b32 v226, v157 :: v_dual_mov_b32 v227, v156
	;; [unrolled: 2-line block ×3, first 2 shown]
	v_dual_mov_b32 v229, v160 :: v_dual_mov_b32 v230, v169
	s_wait_loadcnt_dscnt 0x120c
	v_dual_mul_f32 v9, v170, v83 :: v_dual_mul_f32 v59, v171, v83
	v_dual_mul_f32 v61, v173, v85 :: v_dual_mul_f32 v11, v172, v85
	s_wait_loadcnt_dscnt 0x110b
	v_mul_f32_e32 v13, v174, v87
	s_wait_loadcnt_dscnt 0xf09
	v_dual_mul_f32 v71, v183, v95 :: v_dual_fma_f32 v59, v170, v82, -v59
	v_dual_fmac_f32 v9, v171, v82 :: v_dual_mul_f32 v73, v185, v97
	v_dual_mul_f32 v63, v175, v87 :: v_dual_mul_f32 v65, v177, v89
	v_dual_fmac_f32 v11, v173, v84 :: v_dual_fma_f32 v61, v172, v84, -v61
	s_delay_alu instid0(VALU_DEP_3) | instskip(SKIP_3) | instid1(VALU_DEP_3)
	v_dual_add_f32 v9, 0, v9 :: v_dual_add_f32 v59, 0, v59
	v_dual_mul_f32 v15, v176, v89 :: v_dual_mul_f32 v17, v178, v91
	s_wait_loadcnt_dscnt 0xe08
	v_dual_mul_f32 v75, v187, v99 :: v_dual_fma_f32 v63, v174, v86, -v63
	v_dual_fmac_f32 v13, v175, v86 :: v_dual_add_f32 v9, v9, v11
	s_delay_alu instid0(VALU_DEP_3) | instskip(SKIP_2) | instid1(VALU_DEP_3)
	v_dual_add_f32 v11, v59, v61 :: v_dual_fmac_f32 v15, v177, v88
	v_dual_mul_f32 v67, v179, v91 :: v_dual_mul_f32 v69, v181, v93
	v_dual_mul_f32 v59, v189, v101 :: v_dual_fma_f32 v61, v176, v88, -v65
	v_dual_add_f32 v9, v9, v13 :: v_dual_add_f32 v11, v11, v63
	v_dual_mul_f32 v19, v180, v93 :: v_dual_mul_f32 v21, v182, v95
	s_wait_loadcnt_dscnt 0xd07
	v_dual_mul_f32 v13, v191, v103 :: v_dual_fma_f32 v63, v178, v90, -v67
	s_delay_alu instid0(VALU_DEP_3) | instskip(NEXT) | instid1(VALU_DEP_3)
	v_dual_fmac_f32 v17, v179, v90 :: v_dual_add_f32 v9, v9, v15
	v_dual_add_f32 v11, v11, v61 :: v_dual_fmac_f32 v19, v181, v92
	v_dual_mul_f32 v15, v193, v105 :: v_dual_fma_f32 v61, v180, v92, -v69
	s_delay_alu instid0(VALU_DEP_2) | instskip(SKIP_3) | instid1(VALU_DEP_3)
	v_dual_add_f32 v9, v9, v17 :: v_dual_add_f32 v11, v11, v63
	v_dual_mul_f32 v23, v184, v97 :: v_dual_mul_f32 v25, v186, v99
	s_wait_loadcnt_dscnt 0xc06
	v_dual_mul_f32 v17, v195, v107 :: v_dual_fma_f32 v63, v182, v94, -v71
	v_dual_fmac_f32 v21, v183, v94 :: v_dual_add_f32 v9, v9, v19
	s_delay_alu instid0(VALU_DEP_3) | instskip(SKIP_1) | instid1(VALU_DEP_2)
	v_dual_add_f32 v11, v11, v61 :: v_dual_fmac_f32 v23, v185, v96
	v_dual_mul_f32 v19, v197, v109 :: v_dual_fma_f32 v61, v184, v96, -v73
	v_dual_add_f32 v9, v9, v21 :: v_dual_add_f32 v11, v11, v63
	v_dual_mul_f32 v27, v188, v101 :: v_dual_mul_f32 v29, v190, v103
	s_wait_loadcnt_dscnt 0xb05
	v_dual_mul_f32 v21, v199, v111 :: v_dual_fma_f32 v63, v186, v98, -v75
	s_delay_alu instid0(VALU_DEP_3) | instskip(NEXT) | instid1(VALU_DEP_3)
	v_dual_fmac_f32 v25, v187, v98 :: v_dual_add_f32 v9, v9, v23
	v_dual_add_f32 v11, v11, v61 :: v_dual_fmac_f32 v27, v189, v100
	v_dual_mul_f32 v23, v201, v113 :: v_dual_fma_f32 v59, v188, v100, -v59
	s_delay_alu instid0(VALU_DEP_2) | instskip(SKIP_3) | instid1(VALU_DEP_3)
	v_dual_add_f32 v9, v9, v25 :: v_dual_add_f32 v11, v11, v63
	v_dual_mul_f32 v31, v192, v105 :: v_dual_mul_f32 v33, v194, v107
	s_wait_loadcnt_dscnt 0xa04
	v_dual_mul_f32 v25, v203, v115 :: v_dual_fma_f32 v13, v190, v102, -v13
	v_dual_fmac_f32 v29, v191, v102 :: v_dual_add_f32 v9, v9, v27
	v_dual_add_f32 v11, v11, v59 :: v_dual_mul_f32 v27, v205, v117
	v_fmac_f32_e32 v31, v193, v104
	s_delay_alu instid0(VALU_DEP_3) | instskip(NEXT) | instid1(VALU_DEP_3)
	v_dual_fma_f32 v15, v192, v104, -v15 :: v_dual_add_f32 v9, v9, v29
	v_add_f32_e32 v11, v11, v13
	v_dual_mul_f32 v35, v196, v109 :: v_dual_mul_f32 v37, v198, v111
	s_wait_loadcnt_dscnt 0x903
	v_dual_mul_f32 v13, v207, v119 :: v_dual_fma_f32 v17, v194, v106, -v17
	v_dual_fmac_f32 v33, v195, v106 :: v_dual_add_f32 v9, v9, v31
	v_dual_add_f32 v11, v11, v15 :: v_dual_mul_f32 v15, v209, v121
	v_fmac_f32_e32 v35, v197, v108
	s_delay_alu instid0(VALU_DEP_3) | instskip(NEXT) | instid1(VALU_DEP_3)
	v_dual_fma_f32 v19, v196, v108, -v19 :: v_dual_add_f32 v9, v9, v33
	v_add_f32_e32 v11, v11, v17
	v_dual_mul_f32 v39, v200, v113 :: v_dual_mul_f32 v41, v202, v115
	s_wait_loadcnt_dscnt 0x802
	v_dual_mul_f32 v17, v211, v123 :: v_dual_fma_f32 v21, v198, v110, -v21
	v_dual_fmac_f32 v37, v199, v110 :: v_dual_add_f32 v9, v9, v35
	v_dual_add_f32 v11, v11, v19 :: v_dual_mul_f32 v19, v213, v125
	v_fmac_f32_e32 v39, v201, v112
	s_delay_alu instid0(VALU_DEP_3) | instskip(NEXT) | instid1(VALU_DEP_3)
	v_dual_fma_f32 v23, v200, v112, -v23 :: v_dual_add_f32 v9, v9, v37
	v_add_f32_e32 v11, v11, v21
	v_dual_mul_f32 v43, v204, v117 :: v_dual_mul_f32 v45, v206, v119
	s_wait_loadcnt_dscnt 0x701
	v_dual_mul_f32 v21, v215, v127 :: v_dual_fma_f32 v25, v202, v114, -v25
	v_dual_fmac_f32 v41, v203, v114 :: v_dual_add_f32 v9, v9, v39
	v_dual_add_f32 v11, v11, v23 :: v_dual_mul_f32 v23, v217, v129
	v_fmac_f32_e32 v43, v205, v116
	s_delay_alu instid0(VALU_DEP_3) | instskip(NEXT) | instid1(VALU_DEP_3)
	v_dual_fma_f32 v27, v204, v116, -v27 :: v_dual_add_f32 v9, v9, v41
	v_add_f32_e32 v11, v11, v25
	v_dual_mul_f32 v47, v208, v121 :: v_dual_mul_f32 v49, v210, v123
	s_wait_loadcnt 0x6
	v_dual_mul_f32 v25, v163, v131 :: v_dual_fma_f32 v13, v206, v118, -v13
	v_dual_fmac_f32 v45, v207, v118 :: v_dual_add_f32 v9, v9, v43
	v_dual_add_f32 v11, v11, v27 :: v_dual_mul_f32 v27, v165, v133
	v_fmac_f32_e32 v47, v209, v120
	s_delay_alu instid0(VALU_DEP_3) | instskip(NEXT) | instid1(VALU_DEP_3)
	v_dual_fma_f32 v15, v208, v120, -v15 :: v_dual_add_f32 v9, v9, v45
	v_add_f32_e32 v11, v11, v13
	v_dual_mul_f32 v51, v212, v125 :: v_dual_mul_f32 v53, v214, v127
	s_wait_loadcnt 0x5
	v_dual_mul_f32 v13, v151, v135 :: v_dual_fma_f32 v17, v210, v122, -v17
	v_dual_fmac_f32 v49, v211, v122 :: v_dual_add_f32 v9, v9, v47
	v_dual_add_f32 v11, v11, v15 :: v_dual_mov_b32 v82, v137
	v_fmac_f32_e32 v51, v213, v124
	s_delay_alu instid0(VALU_DEP_3) | instskip(NEXT) | instid1(VALU_DEP_3)
	v_dual_fma_f32 v15, v212, v124, -v19 :: v_dual_add_f32 v9, v9, v49
	v_add_f32_e32 v11, v11, v17
	v_dual_mul_f32 v55, v216, v129 :: v_dual_mul_f32 v57, v162, v131
	s_delay_alu instid0(VALU_DEP_3) | instskip(NEXT) | instid1(VALU_DEP_3)
	v_dual_fmac_f32 v53, v215, v126 :: v_dual_add_f32 v9, v9, v51
	v_dual_fma_f32 v17, v214, v126, -v21 :: v_dual_add_f32 v11, v11, v15
	s_wait_loadcnt 0x4
	v_dual_mov_b32 v86, v141 :: v_dual_fma_f32 v15, v216, v128, -v23
	v_fmac_f32_e32 v55, v217, v128
	v_dual_add_f32 v9, v9, v53 :: v_dual_fmac_f32 v57, v163, v130
	v_add_f32_e32 v11, v11, v17
	v_dual_mul_f32 v233, v164, v133 :: v_dual_mul_f32 v235, v150, v135
	s_delay_alu instid0(VALU_DEP_3) | instskip(NEXT) | instid1(VALU_DEP_2)
	v_dual_fma_f32 v17, v162, v130, -v25 :: v_dual_add_f32 v9, v9, v55
	v_dual_add_f32 v11, v11, v15 :: v_dual_fmac_f32 v233, v165, v132
	v_fma_f32 v232, v164, v132, -v27
	v_pk_mul_f32 v[82:83], v[224:225], v[82:83] op_sel_hi:[1,0]
	s_delay_alu instid0(VALU_DEP_4)
	v_add_f32_e32 v91, v9, v57
	s_wait_loadcnt 0x3
	v_dual_add_f32 v90, v11, v17 :: v_dual_mov_b32 v92, v145
	v_pk_mul_f32 v[84:85], v[154:155], v[138:139] op_sel:[1,1] op_sel_hi:[0,1]
	v_dual_fmac_f32 v235, v151, v134 :: v_dual_fma_f32 v234, v150, v134, -v13
	v_pk_fma_f32 v[94:95], v[152:153], v[136:137], v[82:83] op_sel_hi:[1,0,1]
	s_delay_alu instid0(VALU_DEP_4)
	v_pk_add_f32 v[90:91], v[90:91], v[232:233]
	v_pk_fma_f32 v[82:83], v[152:153], v[136:137], v[82:83] neg_lo:[0,0,1] neg_hi:[0,0,1]
	v_pk_fma_f32 v[96:97], v[154:155], v[138:139], v[84:85] op_sel_hi:[1,0,1]
	v_pk_mul_f32 v[86:87], v[226:227], v[86:87] op_sel_hi:[1,0]
	v_mov_b32_e32 v83, v95
	v_pk_add_f32 v[90:91], v[90:91], v[234:235]
	v_pk_fma_f32 v[84:85], v[154:155], v[138:139], v[84:85] neg_lo:[0,0,1] neg_hi:[0,0,1]
	v_pk_mul_f32 v[88:89], v[158:159], v[142:143] op_sel:[1,1] op_sel_hi:[0,1]
	v_mov_b32_e32 v85, v97
	v_pk_fma_f32 v[96:97], v[156:157], v[140:141], v[86:87] op_sel_hi:[1,0,1]
	v_pk_add_f32 v[82:83], v[90:91], v[82:83]
	v_pk_fma_f32 v[86:87], v[156:157], v[140:141], v[86:87] neg_lo:[0,0,1] neg_hi:[0,0,1]
	v_pk_fma_f32 v[90:91], v[158:159], v[142:143], v[88:89] op_sel_hi:[1,0,1]
	v_pk_mul_f32 v[92:93], v[228:229], v[92:93] op_sel_hi:[1,0]
	v_mov_b32_e32 v87, v97
	v_pk_add_f32 v[82:83], v[82:83], v[84:85]
	v_pk_fma_f32 v[88:89], v[158:159], v[142:143], v[88:89] neg_lo:[0,0,1] neg_hi:[0,0,1]
	s_wait_loadcnt 0x2
	v_pk_mul_f32 v[94:95], v[166:167], v[146:147] op_sel:[1,1] op_sel_hi:[0,1]
	v_dual_mov_b32 v84, v149 :: v_dual_mov_b32 v89, v91
	v_pk_fma_f32 v[90:91], v[160:161], v[144:145], v[92:93] op_sel_hi:[1,0,1]
	v_pk_add_f32 v[82:83], v[82:83], v[86:87]
	v_pk_fma_f32 v[92:93], v[160:161], v[144:145], v[92:93] neg_lo:[0,0,1] neg_hi:[0,0,1]
	v_pk_fma_f32 v[86:87], v[166:167], v[146:147], v[94:95] op_sel_hi:[1,0,1]
	v_pk_mul_f32 v[84:85], v[230:231], v[84:85] op_sel_hi:[1,0]
	v_mov_b32_e32 v93, v91
	v_pk_add_f32 v[82:83], v[82:83], v[88:89]
	v_pk_fma_f32 v[88:89], v[166:167], v[146:147], v[94:95] neg_lo:[0,0,1] neg_hi:[0,0,1]
	v_mov_b32_e32 v89, v87
	v_pk_fma_f32 v[86:87], v[168:169], v[148:149], v[84:85] op_sel_hi:[1,0,1]
	s_wait_loadcnt_dscnt 0x100
	v_pk_mul_f32 v[90:91], v[222:223], v[218:219] op_sel:[1,1] op_sel_hi:[0,1]
	v_pk_add_f32 v[82:83], v[82:83], v[92:93]
	v_pk_fma_f32 v[84:85], v[168:169], v[148:149], v[84:85] neg_lo:[0,0,1] neg_hi:[0,0,1]
	v_mov_b32_e32 v85, v87
	s_delay_alu instid0(VALU_DEP_4) | instskip(NEXT) | instid1(VALU_DEP_4)
	v_pk_fma_f32 v[86:87], v[222:223], v[218:219], v[90:91] op_sel_hi:[1,0,1]
	v_pk_add_f32 v[82:83], v[82:83], v[88:89]
	v_pk_fma_f32 v[88:89], v[222:223], v[218:219], v[90:91] neg_lo:[0,0,1] neg_hi:[0,0,1]
	s_delay_alu instid0(VALU_DEP_3) | instskip(NEXT) | instid1(VALU_DEP_3)
	v_mov_b32_e32 v89, v87
	v_pk_add_f32 v[82:83], v[82:83], v[84:85]
	s_delay_alu instid0(VALU_DEP_1) | instskip(SKIP_1) | instid1(VALU_DEP_1)
	v_pk_add_f32 v[82:83], v[82:83], v[88:89]
	s_wait_loadcnt 0x0
	v_pk_add_f32 v[82:83], v[220:221], v[82:83] neg_lo:[0,1] neg_hi:[0,1]
	scratch_store_b64 off, v[82:83], off offset:32
	s_wait_xcnt 0x0
	v_cmpx_lt_u32_e32 3, v0
	s_cbranch_execz .LBB39_247
; %bb.246:
	scratch_load_b64 v[82:83], off, off offset:24
	v_mov_b64_e32 v[84:85], 0
	scratch_store_b64 off, v[84:85], off offset:24
	s_wait_loadcnt 0x0
	ds_store_b64 v1, v[82:83]
.LBB39_247:
	s_wait_xcnt 0x0
	s_or_b32 exec_lo, exec_lo, s0
	s_wait_storecnt_dscnt 0x0
	s_barrier_signal -1
	s_barrier_wait -1
	s_clause 0x12
	scratch_load_b128 v[82:85], off, off offset:32
	scratch_load_b128 v[86:89], off, off offset:48
	;; [unrolled: 1-line block ×18, first 2 shown]
	scratch_load_b64 v[226:227], off, off offset:24
	ds_load_b128 v[154:157], v5 offset:576
	ds_load_b128 v[158:161], v5 offset:592
	ds_load_b128 v[162:165], v5 offset:608
	ds_load_b128 v[166:169], v5 offset:624
	ds_load_b128 v[170:173], v5 offset:352
	ds_load_b128 v[174:177], v5 offset:368
	ds_load_b128 v[178:181], v5 offset:384
	ds_load_b128 v[182:185], v5 offset:400
	ds_load_b128 v[186:189], v5 offset:416
	ds_load_b128 v[190:193], v5 offset:432
	ds_load_b128 v[194:197], v5 offset:448
	ds_load_b128 v[198:201], v5 offset:464
	ds_load_b128 v[202:205], v5 offset:480
	ds_load_b128 v[206:209], v5 offset:496
	ds_load_b128 v[210:213], v5 offset:512
	ds_load_b128 v[214:217], v5 offset:528
	ds_load_b128 v[218:221], v5 offset:544
	ds_load_b128 v[222:225], v5 offset:560
	s_mov_b32 s0, exec_lo
	s_wait_dscnt 0x11
	v_dual_mov_b32 v228, v157 :: v_dual_mov_b32 v229, v156
	s_wait_dscnt 0x10
	v_dual_mov_b32 v230, v161 :: v_dual_mov_b32 v231, v160
	s_wait_dscnt 0xf
	v_dual_mov_b32 v232, v165 :: v_dual_mov_b32 v233, v164
	s_wait_dscnt 0xe
	v_dual_mov_b32 v234, v169 :: v_dual_mov_b32 v235, v168
	s_wait_loadcnt_dscnt 0x120d
	v_dual_mul_f32 v5, v170, v83 :: v_dual_mul_f32 v9, v172, v85
	v_dual_mul_f32 v59, v171, v83 :: v_dual_mul_f32 v61, v173, v85
	s_wait_loadcnt_dscnt 0x110c
	v_dual_mul_f32 v11, v174, v87 :: v_dual_mul_f32 v13, v176, v89
	s_delay_alu instid0(VALU_DEP_2) | instskip(SKIP_3) | instid1(VALU_DEP_3)
	v_dual_fmac_f32 v5, v171, v82 :: v_dual_fma_f32 v59, v170, v82, -v59
	v_dual_mul_f32 v63, v175, v87 :: v_dual_mul_f32 v65, v177, v89
	s_wait_loadcnt_dscnt 0xf0a
	v_dual_mul_f32 v71, v183, v95 :: v_dual_fmac_f32 v9, v173, v84
	v_dual_fma_f32 v61, v172, v84, -v61 :: v_dual_add_f32 v5, 0, v5
	v_dual_add_f32 v59, 0, v59 :: v_dual_mul_f32 v73, v185, v97
	v_fmac_f32_e32 v11, v175, v86
	s_delay_alu instid0(VALU_DEP_3) | instskip(NEXT) | instid1(VALU_DEP_3)
	v_dual_fma_f32 v63, v174, v86, -v63 :: v_dual_add_f32 v5, v5, v9
	v_dual_add_f32 v9, v59, v61 :: v_dual_mul_f32 v15, v178, v91
	v_dual_mul_f32 v17, v180, v93 :: v_dual_mul_f32 v67, v179, v91
	v_dual_mul_f32 v69, v181, v93 :: v_dual_fma_f32 v61, v176, v88, -v65
	s_delay_alu instid0(VALU_DEP_4) | instskip(NEXT) | instid1(VALU_DEP_4)
	v_add_f32_e32 v5, v5, v11
	v_dual_add_f32 v9, v9, v63 :: v_dual_fmac_f32 v15, v179, v90
	s_wait_loadcnt_dscnt 0xe09
	v_dual_mul_f32 v59, v187, v99 :: v_dual_fmac_f32 v13, v177, v88
	v_dual_mul_f32 v11, v189, v101 :: v_dual_fma_f32 v63, v178, v90, -v67
	s_delay_alu instid0(VALU_DEP_3) | instskip(SKIP_1) | instid1(VALU_DEP_3)
	v_dual_add_f32 v9, v9, v61 :: v_dual_fma_f32 v61, v180, v92, -v69
	s_wait_loadcnt_dscnt 0xd08
	v_dual_add_f32 v5, v5, v13 :: v_dual_mul_f32 v13, v191, v103
	v_dual_mul_f32 v19, v182, v95 :: v_dual_mul_f32 v21, v184, v97
	s_delay_alu instid0(VALU_DEP_3) | instskip(SKIP_1) | instid1(VALU_DEP_4)
	v_add_f32_e32 v9, v9, v63
	v_fmac_f32_e32 v17, v181, v92
	v_dual_add_f32 v5, v5, v15 :: v_dual_fma_f32 v63, v182, v94, -v71
	v_dual_mul_f32 v23, v186, v99 :: v_dual_mul_f32 v25, v188, v101
	s_delay_alu instid0(VALU_DEP_4) | instskip(NEXT) | instid1(VALU_DEP_3)
	v_dual_add_f32 v9, v9, v61 :: v_dual_fma_f32 v59, v186, v98, -v59
	v_dual_fmac_f32 v19, v183, v94 :: v_dual_add_f32 v5, v5, v17
	s_delay_alu instid0(VALU_DEP_3) | instskip(NEXT) | instid1(VALU_DEP_3)
	v_dual_fmac_f32 v23, v187, v98 :: v_dual_fma_f32 v61, v184, v96, -v73
	v_dual_add_f32 v9, v9, v63 :: v_dual_fma_f32 v13, v190, v102, -v13
	v_dual_mul_f32 v27, v190, v103 :: v_dual_mul_f32 v29, v192, v105
	s_wait_loadcnt_dscnt 0xc07
	v_dual_mul_f32 v15, v193, v105 :: v_dual_mul_f32 v17, v195, v107
	s_delay_alu instid0(VALU_DEP_2) | instskip(SKIP_1) | instid1(VALU_DEP_3)
	v_dual_fmac_f32 v21, v185, v96 :: v_dual_fmac_f32 v27, v191, v102
	v_dual_add_f32 v5, v5, v19 :: v_dual_fma_f32 v11, v188, v100, -v11
	v_dual_add_f32 v9, v9, v61 :: v_dual_fma_f32 v15, v192, v104, -v15
	v_mul_f32_e32 v19, v197, v109
	s_wait_loadcnt_dscnt 0xb06
	s_delay_alu instid0(VALU_DEP_3) | instskip(NEXT) | instid1(VALU_DEP_3)
	v_dual_add_f32 v5, v5, v21 :: v_dual_mul_f32 v21, v199, v111
	v_add_f32_e32 v9, v9, v59
	s_wait_loadcnt_dscnt 0xa05
	v_dual_mul_f32 v39, v202, v115 :: v_dual_mul_f32 v41, v204, v117
	s_delay_alu instid0(VALU_DEP_3) | instskip(NEXT) | instid1(VALU_DEP_3)
	v_dual_fma_f32 v19, v196, v108, -v19 :: v_dual_fma_f32 v21, v198, v110, -v21
	v_add_f32_e32 v9, v9, v11
	v_mul_f32_e32 v11, v203, v115
	v_dual_add_f32 v5, v5, v23 :: v_dual_fma_f32 v17, v194, v106, -v17
	s_delay_alu instid0(VALU_DEP_3) | instskip(NEXT) | instid1(VALU_DEP_3)
	v_dual_fmac_f32 v39, v203, v114 :: v_dual_add_f32 v9, v9, v13
	v_dual_mul_f32 v13, v205, v117 :: v_dual_fma_f32 v11, v202, v114, -v11
	v_dual_mul_f32 v31, v194, v107 :: v_dual_mul_f32 v33, v196, v109
	s_delay_alu instid0(VALU_DEP_2) | instskip(NEXT) | instid1(VALU_DEP_2)
	v_dual_add_f32 v9, v9, v15 :: v_dual_fma_f32 v13, v204, v116, -v13
	v_dual_fmac_f32 v25, v189, v100 :: v_dual_fmac_f32 v31, v195, v106
	v_dual_mul_f32 v35, v198, v111 :: v_dual_mul_f32 v37, v200, v113
	s_wait_loadcnt_dscnt 0x803
	s_delay_alu instid0(VALU_DEP_3) | instskip(SKIP_3) | instid1(VALU_DEP_4)
	v_dual_add_f32 v9, v9, v17 :: v_dual_mul_f32 v47, v210, v123
	v_mul_f32_e32 v49, v212, v125
	v_dual_mul_f32 v23, v201, v113 :: v_dual_mul_f32 v15, v207, v119
	v_dual_add_f32 v5, v5, v25 :: v_dual_fmac_f32 v35, v199, v110
	v_dual_add_f32 v9, v9, v19 :: v_dual_fmac_f32 v47, v211, v122
	v_dual_fmac_f32 v29, v193, v104 :: v_dual_mul_f32 v19, v211, v123
	s_delay_alu instid0(VALU_DEP_3) | instskip(NEXT) | instid1(VALU_DEP_3)
	v_dual_add_f32 v5, v5, v27 :: v_dual_fma_f32 v23, v200, v112, -v23
	v_dual_add_f32 v9, v9, v21 :: v_dual_mul_f32 v43, v206, v119
	v_mul_f32_e32 v45, v208, v121
	s_wait_loadcnt_dscnt 0x500
	s_delay_alu instid0(VALU_DEP_3) | instskip(NEXT) | instid1(VALU_DEP_3)
	v_dual_add_f32 v5, v5, v29 :: v_dual_mul_f32 v237, v222, v135
	v_dual_mul_f32 v239, v224, v137 :: v_dual_add_f32 v9, v9, v23
	v_dual_mul_f32 v23, v215, v127 :: v_dual_fmac_f32 v33, v197, v108
	s_delay_alu instid0(VALU_DEP_3) | instskip(SKIP_1) | instid1(VALU_DEP_3)
	v_dual_fmac_f32 v43, v207, v118 :: v_dual_add_f32 v5, v5, v31
	v_fma_f32 v15, v206, v118, -v15
	v_dual_fma_f32 v23, v214, v126, -v23 :: v_dual_add_f32 v9, v9, v11
	v_dual_mul_f32 v17, v209, v121 :: v_dual_fmac_f32 v45, v209, v120
	s_delay_alu instid0(VALU_DEP_4) | instskip(NEXT) | instid1(VALU_DEP_2)
	v_dual_add_f32 v5, v5, v33 :: v_dual_fmac_f32 v237, v223, v134
	v_dual_add_f32 v9, v9, v13 :: v_dual_fma_f32 v17, v208, v120, -v17
	v_dual_fmac_f32 v37, v201, v112 :: v_dual_fma_f32 v19, v210, v122, -v19
	v_dual_mul_f32 v21, v213, v125 :: v_dual_fmac_f32 v49, v213, v124
	s_delay_alu instid0(VALU_DEP_3) | instskip(SKIP_2) | instid1(VALU_DEP_3)
	v_add_f32_e32 v9, v9, v15
	v_add_f32_e32 v5, v5, v35
	v_dual_mul_f32 v51, v214, v127 :: v_dual_mul_f32 v53, v216, v129
	v_dual_fma_f32 v21, v212, v124, -v21 :: v_dual_add_f32 v9, v9, v17
	s_delay_alu instid0(VALU_DEP_2) | instskip(SKIP_1) | instid1(VALU_DEP_3)
	v_dual_add_f32 v5, v5, v37 :: v_dual_fmac_f32 v51, v215, v126
	v_dual_mul_f32 v55, v218, v131 :: v_dual_mul_f32 v57, v220, v133
	v_add_f32_e32 v9, v9, v19
	v_fmac_f32_e32 v41, v205, v116
	v_dual_mul_f32 v11, v217, v129 :: v_dual_fmac_f32 v53, v217, v128
	v_add_f32_e32 v5, v5, v39
	s_delay_alu instid0(VALU_DEP_4) | instskip(SKIP_1) | instid1(VALU_DEP_4)
	v_add_f32_e32 v9, v9, v21
	v_dual_mul_f32 v15, v221, v133 :: v_dual_fmac_f32 v57, v221, v132
	v_fma_f32 v11, v216, v128, -v11
	s_delay_alu instid0(VALU_DEP_4) | instskip(NEXT) | instid1(VALU_DEP_4)
	v_dual_fmac_f32 v55, v219, v130 :: v_dual_add_f32 v5, v5, v41
	v_add_f32_e32 v9, v9, v23
	v_mul_f32_e32 v17, v223, v135
	v_dual_mul_f32 v13, v219, v131 :: v_dual_mul_f32 v19, v225, v137
	v_fmac_f32_e32 v239, v225, v136
	s_delay_alu instid0(VALU_DEP_4) | instskip(NEXT) | instid1(VALU_DEP_4)
	v_dual_add_f32 v9, v9, v11 :: v_dual_fma_f32 v11, v220, v132, -v15
	v_dual_add_f32 v5, v5, v43 :: v_dual_fma_f32 v236, v222, v134, -v17
	s_delay_alu instid0(VALU_DEP_4)
	v_fma_f32 v13, v218, v130, -v13
	s_wait_loadcnt 0x4
	v_pk_mul_f32 v[82:83], v[154:155], v[138:139] op_sel:[1,1] op_sel_hi:[0,1]
	s_wait_loadcnt 0x3
	v_dual_mov_b32 v84, v141 :: v_dual_mov_b32 v88, v145
	v_add_f32_e32 v5, v5, v45
	v_dual_add_f32 v9, v9, v13 :: v_dual_fma_f32 v238, v224, v136, -v19
	v_pk_fma_f32 v[92:93], v[154:155], v[138:139], v[82:83] op_sel_hi:[1,0,1]
	s_delay_alu instid0(VALU_DEP_4) | instskip(NEXT) | instid1(VALU_DEP_4)
	v_pk_mul_f32 v[84:85], v[228:229], v[84:85] op_sel_hi:[1,0]
	v_add_f32_e32 v5, v5, v47
	s_delay_alu instid0(VALU_DEP_4)
	v_add_f32_e32 v90, v9, v11
	v_pk_fma_f32 v[82:83], v[154:155], v[138:139], v[82:83] neg_lo:[0,0,1] neg_hi:[0,0,1]
	v_pk_mul_f32 v[86:87], v[158:159], v[142:143] op_sel:[1,1] op_sel_hi:[0,1]
	v_mov_b32_e32 v83, v93
	v_add_f32_e32 v5, v5, v49
	v_pk_fma_f32 v[92:93], v[156:157], v[140:141], v[84:85] op_sel_hi:[1,0,1]
	v_pk_fma_f32 v[84:85], v[156:157], v[140:141], v[84:85] neg_lo:[0,0,1] neg_hi:[0,0,1]
	v_pk_fma_f32 v[96:97], v[158:159], v[142:143], v[86:87] op_sel_hi:[1,0,1]
	v_pk_mul_f32 v[88:89], v[230:231], v[88:89] op_sel_hi:[1,0]
	v_add_f32_e32 v5, v5, v51
	v_mov_b32_e32 v85, v93
	s_wait_loadcnt 0x2
	v_pk_mul_f32 v[94:95], v[162:163], v[146:147] op_sel:[1,1] op_sel_hi:[0,1]
	v_pk_fma_f32 v[86:87], v[158:159], v[142:143], v[86:87] neg_lo:[0,0,1] neg_hi:[0,0,1]
	v_mov_b32_e32 v87, v97
	v_add_f32_e32 v5, v5, v53
	v_pk_fma_f32 v[92:93], v[160:161], v[144:145], v[88:89] op_sel_hi:[1,0,1]
	v_pk_fma_f32 v[88:89], v[160:161], v[144:145], v[88:89] neg_lo:[0,0,1] neg_hi:[0,0,1]
	s_delay_alu instid0(VALU_DEP_3) | instskip(NEXT) | instid1(VALU_DEP_1)
	v_add_f32_e32 v5, v5, v55
	v_add_f32_e32 v91, v5, v57
	s_delay_alu instid0(VALU_DEP_1) | instskip(NEXT) | instid1(VALU_DEP_1)
	v_pk_add_f32 v[90:91], v[90:91], v[236:237]
	v_pk_add_f32 v[90:91], v[90:91], v[238:239]
	s_delay_alu instid0(VALU_DEP_1) | instskip(SKIP_1) | instid1(VALU_DEP_2)
	v_pk_add_f32 v[82:83], v[90:91], v[82:83]
	v_mov_b32_e32 v90, v149
	v_pk_add_f32 v[82:83], v[82:83], v[84:85]
	v_pk_fma_f32 v[84:85], v[162:163], v[146:147], v[94:95] op_sel_hi:[1,0,1]
	s_delay_alu instid0(VALU_DEP_3)
	v_pk_mul_f32 v[90:91], v[232:233], v[90:91] op_sel_hi:[1,0]
	v_mov_b32_e32 v89, v93
	v_pk_fma_f32 v[92:93], v[162:163], v[146:147], v[94:95] neg_lo:[0,0,1] neg_hi:[0,0,1]
	v_pk_add_f32 v[82:83], v[82:83], v[86:87]
	v_mov_b32_e32 v93, v85
	v_pk_fma_f32 v[84:85], v[164:165], v[148:149], v[90:91] op_sel_hi:[1,0,1]
	s_wait_loadcnt 0x1
	v_pk_mul_f32 v[86:87], v[166:167], v[150:151] op_sel:[1,1] op_sel_hi:[0,1]
	v_mov_b32_e32 v84, v153
	v_pk_add_f32 v[82:83], v[82:83], v[88:89]
	v_pk_fma_f32 v[90:91], v[164:165], v[148:149], v[90:91] neg_lo:[0,0,1] neg_hi:[0,0,1]
	v_mov_b32_e32 v91, v85
	v_pk_fma_f32 v[88:89], v[166:167], v[150:151], v[86:87] op_sel_hi:[1,0,1]
	v_pk_mul_f32 v[84:85], v[234:235], v[84:85] op_sel_hi:[1,0]
	v_pk_add_f32 v[82:83], v[82:83], v[92:93]
	v_pk_fma_f32 v[86:87], v[166:167], v[150:151], v[86:87] neg_lo:[0,0,1] neg_hi:[0,0,1]
	s_delay_alu instid0(VALU_DEP_4) | instskip(NEXT) | instid1(VALU_DEP_4)
	v_mov_b32_e32 v87, v89
	v_pk_fma_f32 v[88:89], v[168:169], v[152:153], v[84:85] op_sel_hi:[1,0,1]
	s_delay_alu instid0(VALU_DEP_4) | instskip(SKIP_1) | instid1(VALU_DEP_3)
	v_pk_add_f32 v[82:83], v[82:83], v[90:91]
	v_pk_fma_f32 v[84:85], v[168:169], v[152:153], v[84:85] neg_lo:[0,0,1] neg_hi:[0,0,1]
	v_mov_b32_e32 v85, v89
	s_delay_alu instid0(VALU_DEP_3) | instskip(NEXT) | instid1(VALU_DEP_1)
	v_pk_add_f32 v[82:83], v[82:83], v[86:87]
	v_pk_add_f32 v[82:83], v[82:83], v[84:85]
	s_wait_loadcnt 0x0
	s_delay_alu instid0(VALU_DEP_1)
	v_pk_add_f32 v[82:83], v[226:227], v[82:83] neg_lo:[0,1] neg_hi:[0,1]
	scratch_store_b64 off, v[82:83], off offset:24
	s_wait_xcnt 0x0
	v_cmpx_lt_u32_e32 2, v0
	s_cbranch_execz .LBB39_249
; %bb.248:
	scratch_load_b64 v[82:83], off, off offset:16
	v_mov_b64_e32 v[84:85], 0
	scratch_store_b64 off, v[84:85], off offset:16
	s_wait_loadcnt 0x0
	ds_store_b64 v1, v[82:83]
.LBB39_249:
	s_wait_xcnt 0x0
	s_or_b32 exec_lo, exec_lo, s0
	s_wait_storecnt_dscnt 0x0
	s_barrier_signal -1
	s_barrier_wait -1
	s_clause 0x13
	scratch_load_b128 v[82:85], off, off offset:24
	scratch_load_b128 v[86:89], off, off offset:40
	;; [unrolled: 1-line block ×18, first 2 shown]
	scratch_load_b64 v[226:227], off, off offset:312
	scratch_load_b64 v[228:229], off, off offset:16
	v_mov_b32_e32 v61, 0
	ds_load_2addr_b64 v[154:157], v61 offset0:71 offset1:72
	ds_load_2addr_b64 v[158:161], v61 offset0:73 offset1:74
	;; [unrolled: 1-line block ×18, first 2 shown]
	ds_load_b64 v[230:231], v61 offset:632
	s_mov_b32 s0, exec_lo
	s_wait_dscnt 0x12
	v_dual_mov_b32 v232, v157 :: v_dual_mov_b32 v233, v156
	s_wait_dscnt 0x11
	v_dual_mov_b32 v234, v161 :: v_dual_mov_b32 v235, v160
	;; [unrolled: 2-line block ×3, first 2 shown]
	v_dual_mov_b32 v237, v164 :: v_dual_mov_b32 v238, v177
	s_wait_loadcnt 0x13
	v_dual_mul_f32 v5, v166, v83 :: v_dual_mul_f32 v63, v167, v83
	v_dual_mul_f32 v65, v169, v85 :: v_dual_mul_f32 v9, v168, v85
	s_wait_loadcnt 0x12
	v_mul_f32_e32 v11, v170, v87
	s_wait_loadcnt_dscnt 0x100b
	v_dual_mul_f32 v75, v183, v95 :: v_dual_fma_f32 v63, v166, v82, -v63
	v_dual_fmac_f32 v5, v167, v82 :: v_dual_mul_f32 v77, v185, v97
	v_dual_mul_f32 v67, v171, v87 :: v_dual_mul_f32 v69, v173, v89
	s_delay_alu instid0(VALU_DEP_2) | instskip(NEXT) | instid1(VALU_DEP_4)
	v_dual_fmac_f32 v9, v169, v84 :: v_dual_add_f32 v5, 0, v5
	v_dual_fma_f32 v65, v168, v84, -v65 :: v_dual_add_f32 v63, 0, v63
	v_dual_mul_f32 v13, v172, v89 :: v_dual_mul_f32 v15, v178, v91
	s_wait_loadcnt_dscnt 0xf0a
	v_dual_mul_f32 v79, v187, v99 :: v_dual_fma_f32 v67, v170, v86, -v67
	v_dual_fmac_f32 v11, v171, v86 :: v_dual_add_f32 v5, v5, v9
	s_delay_alu instid0(VALU_DEP_3) | instskip(SKIP_2) | instid1(VALU_DEP_2)
	v_dual_add_f32 v9, v63, v65 :: v_dual_fmac_f32 v13, v173, v88
	v_dual_mul_f32 v71, v179, v91 :: v_dual_mul_f32 v73, v181, v93
	v_dual_mul_f32 v63, v189, v101 :: v_dual_fma_f32 v65, v172, v88, -v69
	v_dual_add_f32 v9, v9, v67 :: v_dual_fma_f32 v67, v178, v90, -v71
	v_dual_add_f32 v5, v5, v11 :: v_dual_fmac_f32 v15, v179, v90
	s_wait_loadcnt_dscnt 0xe09
	s_delay_alu instid0(VALU_DEP_2) | instskip(NEXT) | instid1(VALU_DEP_2)
	v_dual_mul_f32 v11, v191, v103 :: v_dual_add_f32 v9, v9, v65
	v_dual_fma_f32 v65, v180, v92, -v73 :: v_dual_add_f32 v5, v5, v13
	v_dual_mul_f32 v17, v180, v93 :: v_dual_mul_f32 v19, v182, v95
	s_delay_alu instid0(VALU_DEP_3) | instskip(SKIP_1) | instid1(VALU_DEP_4)
	v_dual_add_f32 v9, v9, v67 :: v_dual_mul_f32 v21, v184, v97
	v_mul_f32_e32 v23, v186, v99
	v_dual_add_f32 v5, v5, v15 :: v_dual_fma_f32 v67, v182, v94, -v75
	s_delay_alu instid0(VALU_DEP_3) | instskip(SKIP_3) | instid1(VALU_DEP_3)
	v_add_f32_e32 v9, v9, v65
	v_dual_mul_f32 v25, v188, v101 :: v_dual_mul_f32 v27, v190, v103
	v_dual_fmac_f32 v17, v181, v92 :: v_dual_fmac_f32 v19, v183, v94
	v_dual_fma_f32 v65, v184, v96, -v77 :: v_dual_fmac_f32 v23, v187, v98
	v_dual_add_f32 v9, v9, v67 :: v_dual_fmac_f32 v27, v191, v102
	s_wait_loadcnt_dscnt 0xd08
	v_dual_mul_f32 v13, v193, v105 :: v_dual_mul_f32 v15, v195, v107
	v_add_f32_e32 v5, v5, v17
	v_dual_mul_f32 v17, v197, v109 :: v_dual_fma_f32 v67, v186, v98, -v79
	s_delay_alu instid0(VALU_DEP_3) | instskip(SKIP_1) | instid1(VALU_DEP_4)
	v_dual_add_f32 v9, v9, v65 :: v_dual_fma_f32 v13, v192, v104, -v13
	v_fmac_f32_e32 v21, v185, v96
	v_dual_add_f32 v5, v5, v19 :: v_dual_fma_f32 v63, v188, v100, -v63
	s_delay_alu instid0(VALU_DEP_3) | instskip(SKIP_2) | instid1(VALU_DEP_3)
	v_dual_add_f32 v9, v9, v67 :: v_dual_fma_f32 v17, v196, v108, -v17
	s_wait_loadcnt_dscnt 0xc07
	v_dual_mul_f32 v33, v196, v109 :: v_dual_mul_f32 v35, v198, v111
	v_dual_add_f32 v5, v5, v21 :: v_dual_fma_f32 v11, v190, v102, -v11
	s_delay_alu instid0(VALU_DEP_3) | instskip(SKIP_4) | instid1(VALU_DEP_3)
	v_dual_add_f32 v9, v9, v63 :: v_dual_mul_f32 v29, v192, v105
	v_dual_mul_f32 v31, v194, v107 :: v_dual_mul_f32 v37, v200, v113
	s_wait_loadcnt_dscnt 0xb06
	v_mul_f32_e32 v39, v202, v115
	v_dual_mul_f32 v19, v199, v111 :: v_dual_fmac_f32 v25, v189, v100
	v_dual_fmac_f32 v31, v195, v106 :: v_dual_add_f32 v5, v5, v23
	v_fma_f32 v15, v194, v106, -v15
	v_dual_fmac_f32 v35, v199, v110 :: v_dual_add_f32 v9, v9, v11
	s_delay_alu instid0(VALU_DEP_3) | instskip(SKIP_1) | instid1(VALU_DEP_3)
	v_dual_fmac_f32 v39, v203, v114 :: v_dual_add_f32 v5, v5, v25
	v_dual_mul_f32 v25, v205, v117 :: v_dual_fma_f32 v19, v198, v110, -v19
	v_add_f32_e32 v9, v9, v13
	s_wait_loadcnt_dscnt 0xa05
	v_dual_mul_f32 v13, v209, v121 :: v_dual_mul_f32 v45, v208, v121
	s_wait_loadcnt_dscnt 0x904
	v_dual_mul_f32 v47, v210, v123 :: v_dual_fma_f32 v25, v204, v116, -v25
	v_add_f32_e32 v9, v9, v15
	v_dual_mul_f32 v21, v201, v113 :: v_dual_mul_f32 v11, v207, v119
	s_wait_loadcnt_dscnt 0x803
	v_dual_mul_f32 v49, v212, v125 :: v_dual_mul_f32 v51, v214, v127
	s_delay_alu instid0(VALU_DEP_3) | instskip(SKIP_3) | instid1(VALU_DEP_4)
	v_dual_add_f32 v9, v9, v17 :: v_dual_fmac_f32 v47, v211, v122
	v_dual_mul_f32 v23, v203, v115 :: v_dual_fmac_f32 v29, v193, v104
	v_mul_f32_e32 v15, v211, v123
	v_dual_add_f32 v5, v5, v27 :: v_dual_fma_f32 v21, v200, v112, -v21
	v_dual_add_f32 v9, v9, v19 :: v_dual_fmac_f32 v51, v215, v126
	s_delay_alu instid0(VALU_DEP_2) | instskip(NEXT) | instid1(VALU_DEP_2)
	v_dual_mul_f32 v19, v215, v127 :: v_dual_add_f32 v5, v5, v29
	v_dual_fma_f32 v23, v202, v114, -v23 :: v_dual_add_f32 v9, v9, v21
	v_dual_mul_f32 v41, v204, v117 :: v_dual_mul_f32 v43, v206, v119
	v_fmac_f32_e32 v33, v197, v108
	s_delay_alu instid0(VALU_DEP_4) | instskip(NEXT) | instid1(VALU_DEP_4)
	v_dual_add_f32 v5, v5, v31 :: v_dual_fma_f32 v11, v206, v118, -v11
	v_add_f32_e32 v9, v9, v23
	s_wait_loadcnt_dscnt 0x702
	v_mul_f32_e32 v23, v219, v131
	s_delay_alu instid0(VALU_DEP_3) | instskip(NEXT) | instid1(VALU_DEP_3)
	v_dual_fmac_f32 v43, v207, v118 :: v_dual_add_f32 v5, v5, v33
	v_dual_fma_f32 v13, v208, v120, -v13 :: v_dual_add_f32 v9, v9, v25
	v_dual_mul_f32 v17, v213, v125 :: v_dual_fma_f32 v15, v210, v122, -v15
	v_dual_fmac_f32 v37, v201, v112 :: v_dual_mul_f32 v53, v216, v129
	v_mul_f32_e32 v55, v218, v131
	s_delay_alu instid0(VALU_DEP_4)
	v_add_f32_e32 v9, v9, v11
	s_wait_loadcnt_dscnt 0x601
	v_mul_f32_e32 v11, v223, v135
	v_dual_add_f32 v5, v5, v35 :: v_dual_fma_f32 v17, v212, v124, -v17
	v_dual_fmac_f32 v41, v205, v116 :: v_dual_fmac_f32 v55, v219, v130
	v_dual_add_f32 v9, v9, v13 :: v_dual_fma_f32 v19, v214, v126, -v19
	v_dual_mul_f32 v57, v220, v133 :: v_dual_mul_f32 v59, v222, v135
	s_wait_loadcnt 0x5
	v_dual_mul_f32 v241, v224, v137 :: v_dual_mul_f32 v243, v154, v139
	s_delay_alu instid0(VALU_DEP_3) | instskip(SKIP_3) | instid1(VALU_DEP_3)
	v_add_f32_e32 v9, v9, v15
	v_dual_mul_f32 v15, v155, v139 :: v_dual_add_f32 v5, v5, v37
	s_wait_loadcnt 0x4
	v_dual_mov_b32 v82, v141 :: v_dual_mov_b32 v86, v145
	v_add_f32_e32 v9, v9, v17
	v_dual_fmac_f32 v45, v209, v120 :: v_dual_fmac_f32 v243, v155, v138
	v_add_f32_e32 v5, v5, v39
	v_dual_mul_f32 v13, v225, v137 :: v_dual_fmac_f32 v241, v225, v136
	s_delay_alu instid0(VALU_DEP_4) | instskip(NEXT) | instid1(VALU_DEP_3)
	v_dual_add_f32 v9, v9, v19 :: v_dual_fma_f32 v19, v218, v130, -v23
	v_dual_add_f32 v5, v5, v41 :: v_dual_fmac_f32 v59, v223, v134
	v_pk_mul_f32 v[82:83], v[232:233], v[82:83] op_sel_hi:[1,0]
	s_delay_alu instid0(VALU_DEP_4) | instskip(SKIP_1) | instid1(VALU_DEP_4)
	v_fma_f32 v240, v224, v136, -v13
	v_fmac_f32_e32 v49, v213, v124
	v_add_f32_e32 v5, v5, v43
	v_dual_mul_f32 v21, v217, v129 :: v_dual_fmac_f32 v53, v217, v128
	v_pk_fma_f32 v[94:95], v[156:157], v[140:141], v[82:83] op_sel_hi:[1,0,1]
	v_pk_fma_f32 v[82:83], v[156:157], v[140:141], v[82:83] neg_lo:[0,0,1] neg_hi:[0,0,1]
	s_delay_alu instid0(VALU_DEP_3) | instskip(SKIP_1) | instid1(VALU_DEP_2)
	v_dual_add_f32 v5, v5, v45 :: v_dual_fma_f32 v17, v216, v128, -v21
	v_dual_mul_f32 v25, v221, v133 :: v_dual_fmac_f32 v57, v221, v132
	v_dual_mov_b32 v83, v95 :: v_dual_add_f32 v5, v5, v47
	s_delay_alu instid0(VALU_DEP_2) | instskip(SKIP_2) | instid1(VALU_DEP_4)
	v_dual_add_f32 v9, v9, v17 :: v_dual_fma_f32 v17, v220, v132, -v25
	v_fma_f32 v11, v222, v134, -v11
	v_pk_mul_f32 v[84:85], v[158:159], v[142:143] op_sel:[1,1] op_sel_hi:[0,1]
	v_add_f32_e32 v5, v5, v49
	s_delay_alu instid0(VALU_DEP_4) | instskip(SKIP_1) | instid1(VALU_DEP_4)
	v_dual_add_f32 v9, v9, v19 :: v_dual_fma_f32 v242, v154, v138, -v15
	v_pk_mul_f32 v[86:87], v[234:235], v[86:87] op_sel_hi:[1,0]
	v_pk_fma_f32 v[96:97], v[158:159], v[142:143], v[84:85] op_sel_hi:[1,0,1]
	s_delay_alu instid0(VALU_DEP_4) | instskip(NEXT) | instid1(VALU_DEP_4)
	v_add_f32_e32 v5, v5, v51
	v_add_f32_e32 v9, v9, v17
	v_pk_fma_f32 v[84:85], v[158:159], v[142:143], v[84:85] neg_lo:[0,0,1] neg_hi:[0,0,1]
	s_wait_loadcnt 0x3
	v_pk_mul_f32 v[88:89], v[162:163], v[146:147] op_sel:[1,1] op_sel_hi:[0,1]
	v_dual_mov_b32 v92, v149 :: v_dual_mov_b32 v85, v97
	v_add_f32_e32 v5, v5, v53
	v_add_f32_e32 v90, v9, v11
	v_pk_fma_f32 v[96:97], v[160:161], v[144:145], v[86:87] op_sel_hi:[1,0,1]
	v_pk_fma_f32 v[86:87], v[160:161], v[144:145], v[86:87] neg_lo:[0,0,1] neg_hi:[0,0,1]
	v_pk_mul_f32 v[92:93], v[236:237], v[92:93] op_sel_hi:[1,0]
	v_add_f32_e32 v5, v5, v55
	s_wait_loadcnt 0x2
	v_pk_mul_f32 v[94:95], v[174:175], v[150:151] op_sel:[1,1] op_sel_hi:[0,1]
	v_mov_b32_e32 v87, v97
	s_delay_alu instid0(VALU_DEP_3) | instskip(NEXT) | instid1(VALU_DEP_1)
	v_add_f32_e32 v5, v5, v57
	v_add_f32_e32 v91, v5, v59
	s_delay_alu instid0(VALU_DEP_1) | instskip(NEXT) | instid1(VALU_DEP_1)
	v_pk_add_f32 v[90:91], v[90:91], v[240:241]
	v_pk_add_f32 v[90:91], v[90:91], v[242:243]
	s_delay_alu instid0(VALU_DEP_1) | instskip(SKIP_2) | instid1(VALU_DEP_3)
	v_pk_add_f32 v[82:83], v[90:91], v[82:83]
	v_pk_fma_f32 v[90:91], v[162:163], v[146:147], v[88:89] op_sel_hi:[1,0,1]
	v_pk_fma_f32 v[88:89], v[162:163], v[146:147], v[88:89] neg_lo:[0,0,1] neg_hi:[0,0,1]
	v_pk_add_f32 v[82:83], v[82:83], v[84:85]
	s_delay_alu instid0(VALU_DEP_3) | instskip(SKIP_2) | instid1(VALU_DEP_4)
	v_dual_mov_b32 v84, v153 :: v_dual_mov_b32 v89, v91
	v_pk_fma_f32 v[90:91], v[164:165], v[148:149], v[92:93] op_sel_hi:[1,0,1]
	v_pk_fma_f32 v[92:93], v[164:165], v[148:149], v[92:93] neg_lo:[0,0,1] neg_hi:[0,0,1]
	v_pk_add_f32 v[82:83], v[82:83], v[86:87]
	v_pk_fma_f32 v[86:87], v[174:175], v[150:151], v[94:95] op_sel_hi:[1,0,1]
	v_pk_mul_f32 v[84:85], v[238:239], v[84:85] op_sel_hi:[1,0]
	v_mov_b32_e32 v93, v91
	s_wait_loadcnt_dscnt 0x100
	v_pk_mul_f32 v[90:91], v[230:231], v[226:227] op_sel:[1,1] op_sel_hi:[0,1]
	v_pk_add_f32 v[82:83], v[82:83], v[88:89]
	v_pk_fma_f32 v[88:89], v[174:175], v[150:151], v[94:95] neg_lo:[0,0,1] neg_hi:[0,0,1]
	v_mov_b32_e32 v89, v87
	v_pk_fma_f32 v[86:87], v[176:177], v[152:153], v[84:85] op_sel_hi:[1,0,1]
	v_pk_fma_f32 v[84:85], v[176:177], v[152:153], v[84:85] neg_lo:[0,0,1] neg_hi:[0,0,1]
	v_pk_add_f32 v[82:83], v[82:83], v[92:93]
	s_delay_alu instid0(VALU_DEP_3) | instskip(SKIP_1) | instid1(VALU_DEP_3)
	v_mov_b32_e32 v85, v87
	v_pk_fma_f32 v[86:87], v[230:231], v[226:227], v[90:91] op_sel_hi:[1,0,1]
	v_pk_add_f32 v[82:83], v[82:83], v[88:89]
	v_pk_fma_f32 v[88:89], v[230:231], v[226:227], v[90:91] neg_lo:[0,0,1] neg_hi:[0,0,1]
	s_delay_alu instid0(VALU_DEP_3) | instskip(NEXT) | instid1(VALU_DEP_3)
	v_mov_b32_e32 v89, v87
	v_pk_add_f32 v[82:83], v[82:83], v[84:85]
	s_delay_alu instid0(VALU_DEP_1) | instskip(SKIP_1) | instid1(VALU_DEP_1)
	v_pk_add_f32 v[82:83], v[82:83], v[88:89]
	s_wait_loadcnt 0x0
	v_pk_add_f32 v[82:83], v[228:229], v[82:83] neg_lo:[0,1] neg_hi:[0,1]
	scratch_store_b64 off, v[82:83], off offset:16
	s_wait_xcnt 0x0
	v_cmpx_lt_u32_e32 1, v0
	s_cbranch_execz .LBB39_251
; %bb.250:
	scratch_load_b64 v[82:83], off, off offset:8
	v_mov_b64_e32 v[84:85], 0
	scratch_store_b64 off, v[84:85], off offset:8
	s_wait_loadcnt 0x0
	ds_store_b64 v1, v[82:83]
.LBB39_251:
	s_wait_xcnt 0x0
	s_or_b32 exec_lo, exec_lo, s0
	s_wait_storecnt_dscnt 0x0
	s_barrier_signal -1
	s_barrier_wait -1
	s_clause 0x13
	scratch_load_b128 v[82:85], off, off offset:16
	scratch_load_b128 v[86:89], off, off offset:32
	;; [unrolled: 1-line block ×19, first 2 shown]
	scratch_load_b64 v[234:235], off, off offset:8
	ds_load_b128 v[158:161], v61 offset:560
	ds_load_b128 v[162:165], v61 offset:576
	;; [unrolled: 1-line block ×19, first 2 shown]
	v_ashrrev_i32_e32 v57, 31, v56
	v_dual_ashrrev_i32 v5, 31, v4 :: v_dual_ashrrev_i32 v11, 31, v10
	v_dual_ashrrev_i32 v9, 31, v8 :: v_dual_ashrrev_i32 v15, 31, v14
	s_wait_dscnt 0xe
	v_dual_mov_b32 v243, v176 :: v_dual_mov_b32 v241, v172
	v_dual_mov_b32 v242, v177 :: v_dual_ashrrev_i32 v13, 31, v12
	v_dual_ashrrev_i32 v19, 31, v18 :: v_dual_ashrrev_i32 v17, 31, v16
	v_dual_mov_b32 v240, v173 :: v_dual_ashrrev_i32 v23, 31, v22
	v_dual_ashrrev_i32 v21, 31, v20 :: v_dual_ashrrev_i32 v27, 31, v26
	v_dual_ashrrev_i32 v25, 31, v24 :: v_dual_ashrrev_i32 v31, 31, v30
	v_dual_mov_b32 v236, v165 :: v_dual_mov_b32 v237, v164
	v_dual_mov_b32 v238, v169 :: v_dual_mov_b32 v239, v168
	v_dual_ashrrev_i32 v29, 31, v28 :: v_dual_ashrrev_i32 v35, 31, v34
	v_dual_ashrrev_i32 v33, 31, v32 :: v_dual_ashrrev_i32 v39, 31, v38
	;; [unrolled: 1-line block ×7, first 2 shown]
	s_mov_b32 s0, exec_lo
	s_wait_loadcnt_dscnt 0x130d
	v_dual_mul_f32 v61, v178, v83 :: v_dual_mul_f32 v63, v180, v85
	s_wait_loadcnt_dscnt 0x120c
	v_mul_f32_e32 v65, v182, v87
	s_wait_loadcnt_dscnt 0xf09
	v_dual_mul_f32 v81, v179, v83 :: v_dual_mul_f32 v79, v196, v101
	s_wait_loadcnt_dscnt 0xe08
	v_dual_mul_f32 v83, v181, v85 :: v_dual_mul_f32 v244, v198, v103
	v_dual_mul_f32 v67, v184, v89 :: v_dual_mul_f32 v69, v186, v91
	v_dual_fmac_f32 v61, v179, v82 :: v_dual_fmac_f32 v63, v181, v84
	s_delay_alu instid0(VALU_DEP_3)
	v_dual_fma_f32 v81, v178, v82, -v81 :: v_dual_fma_f32 v82, v180, v84, -v83
	s_wait_loadcnt_dscnt 0xc06
	v_dual_mul_f32 v181, v208, v113 :: v_dual_mul_f32 v83, v183, v87
	s_wait_loadcnt_dscnt 0xb05
	v_dual_mul_f32 v85, v185, v89 :: v_dual_mul_f32 v87, v210, v115
	v_dual_fmac_f32 v65, v183, v86 :: v_dual_fmac_f32 v67, v185, v88
	s_delay_alu instid0(VALU_DEP_2)
	v_dual_fma_f32 v86, v182, v86, -v83 :: v_dual_fma_f32 v88, v184, v88, -v85
	s_wait_loadcnt_dscnt 0x903
	v_dual_mul_f32 v185, v220, v125 :: v_dual_mul_f32 v83, v187, v91
	v_dual_mul_f32 v71, v188, v93 :: v_dual_mul_f32 v73, v190, v95
	s_wait_loadcnt_dscnt 0x802
	v_dual_mul_f32 v85, v189, v93 :: v_dual_mul_f32 v91, v222, v127
	s_delay_alu instid0(VALU_DEP_2) | instskip(NEXT) | instid1(VALU_DEP_2)
	v_dual_fmac_f32 v69, v187, v90 :: v_dual_fmac_f32 v71, v189, v92
	v_dual_fma_f32 v90, v186, v90, -v83 :: v_dual_fma_f32 v92, v188, v92, -v85
	s_wait_loadcnt_dscnt 0x701
	v_dual_add_f32 v61, 0, v61 :: v_dual_mul_f32 v186, v226, v131
	v_add_f32_e32 v81, 0, v81
	v_mul_f32_e32 v93, v224, v129
	s_wait_loadcnt 0x5
	s_delay_alu instid0(VALU_DEP_3) | instskip(SKIP_2) | instid1(VALU_DEP_3)
	v_dual_mul_f32 v85, v160, v141 :: v_dual_add_f32 v61, v61, v63
	v_dual_mul_f32 v75, v192, v97 :: v_dual_mul_f32 v77, v194, v99
	v_add_f32_e32 v63, v81, v82
	v_dual_fmac_f32 v73, v191, v94 :: v_dual_add_f32 v61, v61, v65
	s_delay_alu instid0(VALU_DEP_3) | instskip(NEXT) | instid1(VALU_DEP_3)
	v_dual_mul_f32 v65, v191, v95 :: v_dual_fmac_f32 v75, v193, v96
	v_dual_add_f32 v63, v63, v86 :: v_dual_mul_f32 v82, v193, v97
	v_dual_mul_f32 v86, v197, v101 :: v_dual_fmac_f32 v77, v195, v98
	v_dual_mul_f32 v84, v200, v105 :: v_dual_mul_f32 v178, v202, v107
	s_delay_alu instid0(VALU_DEP_3) | instskip(SKIP_2) | instid1(VALU_DEP_3)
	v_dual_add_f32 v63, v63, v88 :: v_dual_add_f32 v61, v61, v67
	v_dual_mul_f32 v67, v195, v99 :: v_dual_fmac_f32 v79, v197, v100
	v_dual_mul_f32 v179, v204, v109 :: v_dual_mul_f32 v180, v206, v111
	v_add_f32_e32 v63, v63, v90
	s_delay_alu instid0(VALU_DEP_4) | instskip(SKIP_3) | instid1(VALU_DEP_4)
	v_dual_mul_f32 v88, v199, v103 :: v_dual_add_f32 v61, v61, v69
	v_dual_mul_f32 v69, v201, v105 :: v_dual_fma_f32 v65, v190, v94, -v65
	v_fmac_f32_e32 v244, v199, v102
	v_fmac_f32_e32 v84, v201, v104
	v_dual_add_f32 v61, v61, v71 :: v_dual_add_f32 v63, v63, v92
	s_delay_alu instid0(VALU_DEP_4) | instskip(NEXT) | instid1(VALU_DEP_2)
	v_dual_mul_f32 v71, v203, v107 :: v_dual_fma_f32 v69, v200, v104, -v69
	v_dual_fmac_f32 v178, v203, v106 :: v_dual_add_f32 v61, v61, v73
	s_delay_alu instid0(VALU_DEP_3) | instskip(SKIP_1) | instid1(VALU_DEP_3)
	v_dual_fma_f32 v82, v192, v96, -v82 :: v_dual_add_f32 v63, v63, v65
	v_dual_mul_f32 v65, v205, v109 :: v_dual_fma_f32 v67, v194, v98, -v67
	v_add_f32_e32 v61, v61, v75
	v_dual_mul_f32 v73, v207, v111 :: v_dual_fma_f32 v75, v196, v100, -v86
	s_delay_alu instid0(VALU_DEP_4) | instskip(NEXT) | instid1(VALU_DEP_3)
	v_dual_add_f32 v63, v63, v82 :: v_dual_fmac_f32 v179, v205, v108
	v_dual_add_f32 v61, v61, v77 :: v_dual_fma_f32 v65, v204, v108, -v65
	v_fmac_f32_e32 v180, v207, v110
	s_delay_alu instid0(VALU_DEP_3) | instskip(NEXT) | instid1(VALU_DEP_3)
	v_dual_add_f32 v63, v63, v67 :: v_dual_mul_f32 v67, v209, v113
	v_dual_fma_f32 v77, v198, v102, -v88 :: v_dual_add_f32 v61, v61, v79
	s_delay_alu instid0(VALU_DEP_2) | instskip(NEXT) | instid1(VALU_DEP_3)
	v_dual_fmac_f32 v181, v209, v112 :: v_dual_add_f32 v63, v63, v75
	v_dual_mul_f32 v75, v211, v115 :: v_dual_fma_f32 v67, v208, v112, -v67
	s_delay_alu instid0(VALU_DEP_3) | instskip(NEXT) | instid1(VALU_DEP_3)
	v_dual_add_f32 v61, v61, v244 :: v_dual_mul_f32 v89, v212, v117
	v_dual_mul_f32 v182, v214, v119 :: v_dual_add_f32 v63, v63, v77
	v_dual_mul_f32 v77, v213, v117 :: v_dual_fma_f32 v71, v202, v106, -v71
	s_delay_alu instid0(VALU_DEP_3) | instskip(NEXT) | instid1(VALU_DEP_3)
	v_dual_add_f32 v61, v61, v84 :: v_dual_fmac_f32 v87, v211, v114
	v_add_f32_e32 v63, v63, v69
	v_dual_mul_f32 v69, v215, v119 :: v_dual_fmac_f32 v89, v213, v116
	s_delay_alu instid0(VALU_DEP_3) | instskip(NEXT) | instid1(VALU_DEP_3)
	v_dual_add_f32 v61, v61, v178 :: v_dual_fma_f32 v77, v212, v116, -v77
	v_dual_add_f32 v63, v63, v71 :: v_dual_mul_f32 v71, v217, v121
	s_delay_alu instid0(VALU_DEP_2) | instskip(SKIP_1) | instid1(VALU_DEP_3)
	v_dual_fma_f32 v73, v206, v110, -v73 :: v_dual_add_f32 v61, v61, v179
	v_dual_mul_f32 v183, v216, v121 :: v_dual_mul_f32 v184, v218, v123
	v_add_f32_e32 v63, v63, v65
	s_delay_alu instid0(VALU_DEP_3) | instskip(NEXT) | instid1(VALU_DEP_3)
	v_dual_mul_f32 v65, v219, v123 :: v_dual_add_f32 v61, v61, v180
	v_dual_fmac_f32 v182, v215, v118 :: v_dual_fmac_f32 v183, v217, v120
	s_delay_alu instid0(VALU_DEP_3) | instskip(SKIP_1) | instid1(VALU_DEP_4)
	v_add_f32_e32 v63, v63, v73
	v_dual_mul_f32 v73, v221, v125 :: v_dual_fma_f32 v75, v210, v114, -v75
	v_dual_add_f32 v61, v61, v181 :: v_dual_fma_f32 v71, v216, v120, -v71
	s_delay_alu instid0(VALU_DEP_3) | instskip(SKIP_1) | instid1(VALU_DEP_3)
	v_add_f32_e32 v63, v63, v67
	v_mul_f32_e32 v67, v223, v127
	v_dual_fmac_f32 v184, v219, v122 :: v_dual_add_f32 v61, v61, v87
	s_delay_alu instid0(VALU_DEP_3) | instskip(SKIP_2) | instid1(VALU_DEP_4)
	v_dual_fma_f32 v69, v214, v118, -v69 :: v_dual_add_f32 v63, v63, v75
	v_mul_f32_e32 v75, v225, v129
	v_fmac_f32_e32 v185, v221, v124
	v_dual_add_f32 v61, v61, v89 :: v_dual_fma_f32 v73, v220, v124, -v73
	s_delay_alu instid0(VALU_DEP_4) | instskip(SKIP_2) | instid1(VALU_DEP_4)
	v_add_f32_e32 v63, v63, v77
	v_mul_f32_e32 v77, v227, v131
	v_fmac_f32_e32 v91, v223, v126
	v_add_f32_e32 v61, v61, v182
	s_delay_alu instid0(VALU_DEP_4) | instskip(SKIP_1) | instid1(VALU_DEP_3)
	v_dual_fmac_f32 v93, v225, v128 :: v_dual_add_f32 v63, v63, v69
	v_dual_mul_f32 v69, v229, v133 :: v_dual_fma_f32 v65, v218, v122, -v65
	v_dual_add_f32 v61, v61, v183 :: v_dual_fma_f32 v75, v224, v128, -v75
	s_delay_alu instid0(VALU_DEP_3) | instskip(SKIP_2) | instid1(VALU_DEP_3)
	v_add_f32_e32 v63, v63, v71
	s_wait_dscnt 0x0
	v_dual_mul_f32 v71, v231, v135 :: v_dual_mul_f32 v187, v228, v133
	v_dual_mul_f32 v81, v230, v135 :: v_dual_add_f32 v61, v61, v184
	s_delay_alu instid0(VALU_DEP_3) | instskip(SKIP_1) | instid1(VALU_DEP_3)
	v_add_f32_e32 v63, v63, v65
	v_dual_mul_f32 v65, v233, v137 :: v_dual_fma_f32 v67, v222, v126, -v67
	v_dual_fmac_f32 v186, v227, v130 :: v_dual_add_f32 v61, v61, v185
	s_delay_alu instid0(VALU_DEP_3) | instskip(SKIP_2) | instid1(VALU_DEP_4)
	v_add_f32_e32 v63, v63, v73
	v_dual_mul_f32 v73, v159, v139 :: v_dual_fmac_f32 v187, v229, v132
	v_dual_mul_f32 v188, v232, v137 :: v_dual_mul_f32 v83, v158, v139
	v_add_f32_e32 v61, v61, v91
	s_delay_alu instid0(VALU_DEP_4) | instskip(SKIP_2) | instid1(VALU_DEP_2)
	v_dual_add_f32 v63, v63, v67 :: v_dual_mul_f32 v67, v161, v141
	s_wait_loadcnt 0x4
	v_dual_fma_f32 v77, v226, v130, -v77 :: v_dual_mov_b32 v88, v145
	v_dual_add_f32 v61, v61, v93 :: v_dual_add_f32 v63, v63, v75
	v_fma_f32 v69, v228, v132, -v69
	v_dual_fmac_f32 v81, v231, v134 :: v_dual_fma_f32 v71, v230, v134, -v71
	s_delay_alu instid0(VALU_DEP_3) | instskip(SKIP_2) | instid1(VALU_DEP_3)
	v_dual_add_f32 v61, v61, v186 :: v_dual_add_f32 v63, v63, v77
	v_dual_fmac_f32 v188, v233, v136 :: v_dual_fma_f32 v65, v232, v136, -v65
	v_pk_mul_f32 v[86:87], v[162:163], v[142:143] op_sel:[1,1] op_sel_hi:[0,1]
	v_dual_add_f32 v61, v61, v187 :: v_dual_add_f32 v63, v63, v69
	s_wait_loadcnt 0x3
	v_dual_mov_b32 v92, v149 :: v_dual_fmac_f32 v83, v159, v138
	v_fmac_f32_e32 v85, v161, v140
	s_delay_alu instid0(VALU_DEP_3) | instskip(SKIP_3) | instid1(VALU_DEP_4)
	v_dual_add_f32 v61, v61, v81 :: v_dual_add_f32 v63, v63, v71
	v_fma_f32 v82, v158, v138, -v73
	v_pk_fma_f32 v[96:97], v[162:163], v[142:143], v[86:87] op_sel_hi:[1,0,1]
	v_fma_f32 v84, v160, v140, -v67
	v_dual_add_f32 v95, v61, v188 :: v_dual_add_f32 v94, v63, v65
	v_pk_mul_f32 v[88:89], v[236:237], v[88:89] op_sel_hi:[1,0]
	v_pk_fma_f32 v[86:87], v[162:163], v[142:143], v[86:87] neg_lo:[0,0,1] neg_hi:[0,0,1]
	v_pk_mul_f32 v[90:91], v[166:167], v[146:147] op_sel:[1,1] op_sel_hi:[0,1]
	v_mov_b32_e32 v87, v97
	v_pk_add_f32 v[82:83], v[94:95], v[82:83]
	v_pk_fma_f32 v[96:97], v[164:165], v[144:145], v[88:89] op_sel_hi:[1,0,1]
	v_pk_fma_f32 v[88:89], v[164:165], v[144:145], v[88:89] neg_lo:[0,0,1] neg_hi:[0,0,1]
	v_pk_mul_f32 v[92:93], v[238:239], v[92:93] op_sel_hi:[1,0]
	s_wait_loadcnt 0x2
	v_pk_mul_f32 v[94:95], v[170:171], v[150:151] op_sel:[1,1] op_sel_hi:[0,1]
	v_pk_add_f32 v[82:83], v[82:83], v[84:85]
	v_pk_fma_f32 v[84:85], v[166:167], v[146:147], v[90:91] op_sel_hi:[1,0,1]
	v_dual_mov_b32 v89, v97 :: v_dual_mov_b32 v84, v153
	v_ashrrev_i32_e32 v61, 31, v60
	s_delay_alu instid0(VALU_DEP_4)
	v_pk_add_f32 v[82:83], v[82:83], v[86:87]
	v_pk_fma_f32 v[86:87], v[166:167], v[146:147], v[90:91] neg_lo:[0,0,1] neg_hi:[0,0,1]
	v_pk_fma_f32 v[90:91], v[168:169], v[148:149], v[92:93] op_sel_hi:[1,0,1]
	v_mov_b32_e32 v87, v85
	v_pk_mul_f32 v[84:85], v[240:241], v[84:85] op_sel_hi:[1,0]
	v_pk_add_f32 v[82:83], v[82:83], v[88:89]
	v_pk_fma_f32 v[88:89], v[170:171], v[150:151], v[94:95] op_sel_hi:[1,0,1]
	v_pk_fma_f32 v[92:93], v[168:169], v[148:149], v[92:93] neg_lo:[0,0,1] neg_hi:[0,0,1]
	v_mov_b32_e32 v93, v91
	v_pk_fma_f32 v[90:91], v[170:171], v[150:151], v[94:95] neg_lo:[0,0,1] neg_hi:[0,0,1]
	v_pk_add_f32 v[82:83], v[82:83], v[86:87]
	v_mov_b32_e32 v91, v89
	v_pk_fma_f32 v[88:89], v[172:173], v[152:153], v[84:85] op_sel_hi:[1,0,1]
	s_wait_loadcnt 0x1
	v_pk_mul_f32 v[86:87], v[174:175], v[154:155] op_sel:[1,1] op_sel_hi:[0,1]
	v_mov_b32_e32 v88, v157
	v_pk_add_f32 v[82:83], v[82:83], v[92:93]
	v_pk_fma_f32 v[84:85], v[172:173], v[152:153], v[84:85] neg_lo:[0,0,1] neg_hi:[0,0,1]
	v_mov_b32_e32 v85, v89
	v_pk_fma_f32 v[92:93], v[174:175], v[154:155], v[86:87] op_sel_hi:[1,0,1]
	v_pk_mul_f32 v[88:89], v[242:243], v[88:89] op_sel_hi:[1,0]
	v_pk_add_f32 v[82:83], v[82:83], v[90:91]
	v_pk_fma_f32 v[86:87], v[174:175], v[154:155], v[86:87] neg_lo:[0,0,1] neg_hi:[0,0,1]
	s_delay_alu instid0(VALU_DEP_4) | instskip(SKIP_1) | instid1(VALU_DEP_4)
	v_dual_ashrrev_i32 v63, 31, v62 :: v_dual_mov_b32 v87, v93
	v_dual_ashrrev_i32 v67, 31, v66 :: v_dual_ashrrev_i32 v69, 31, v68
	v_pk_add_f32 v[82:83], v[82:83], v[84:85]
	v_pk_fma_f32 v[84:85], v[176:177], v[156:157], v[88:89] op_sel_hi:[1,0,1]
	v_pk_fma_f32 v[88:89], v[176:177], v[156:157], v[88:89] neg_lo:[0,0,1] neg_hi:[0,0,1]
	v_dual_ashrrev_i32 v65, 31, v64 :: v_dual_ashrrev_i32 v71, 31, v70
	v_ashrrev_i32_e32 v73, 31, v72
	v_pk_add_f32 v[82:83], v[82:83], v[86:87]
	v_dual_mov_b32 v89, v85 :: v_dual_ashrrev_i32 v75, 31, v74
	v_dual_ashrrev_i32 v77, 31, v76 :: v_dual_ashrrev_i32 v79, 31, v78
	v_ashrrev_i32_e32 v81, 31, v80
	s_delay_alu instid0(VALU_DEP_3) | instskip(SKIP_1) | instid1(VALU_DEP_1)
	v_pk_add_f32 v[82:83], v[82:83], v[88:89]
	s_wait_loadcnt 0x0
	v_pk_add_f32 v[82:83], v[234:235], v[82:83] neg_lo:[0,1] neg_hi:[0,1]
	scratch_store_b64 off, v[82:83], off offset:8
	s_wait_xcnt 0x0
	v_cmpx_ne_u32_e32 0, v0
	s_cbranch_execz .LBB39_253
; %bb.252:
	scratch_load_b64 v[82:83], off, off
	v_mov_b64_e32 v[84:85], 0
	scratch_store_b64 off, v[84:85], off
	s_wait_loadcnt 0x0
	ds_store_b64 v1, v[82:83]
.LBB39_253:
	s_wait_xcnt 0x0
	s_or_b32 exec_lo, exec_lo, s0
	s_wait_storecnt_dscnt 0x0
	s_barrier_signal -1
	s_barrier_wait -1
	s_clause 0xf
	scratch_load_b128 v[88:91], off, off offset:8
	scratch_load_b128 v[96:99], off, off offset:24
	scratch_load_b128 v[200:203], off, off offset:232
	scratch_load_b128 v[208:211], off, off offset:248
	scratch_load_b128 v[104:107], off, off offset:40
	scratch_load_b128 v[112:115], off, off offset:56
	scratch_load_b128 v[120:123], off, off offset:72
	scratch_load_b128 v[128:131], off, off offset:88
	scratch_load_b128 v[136:139], off, off offset:104
	scratch_load_b128 v[144:147], off, off offset:120
	scratch_load_b128 v[152:155], off, off offset:136
	scratch_load_b128 v[160:163], off, off offset:152
	scratch_load_b128 v[168:171], off, off offset:168
	scratch_load_b128 v[176:179], off, off offset:184
	scratch_load_b128 v[184:187], off, off offset:200
	scratch_load_b128 v[192:195], off, off offset:216
	v_mov_b32_e32 v82, 0
	s_and_b32 vcc_lo, exec_lo, s18
	ds_load_2addr_b64 v[84:87], v82 offset0:41 offset1:42
	ds_load_2addr_b64 v[92:95], v82 offset0:43 offset1:44
	s_wait_loadcnt_dscnt 0xf01
	v_mul_f32_e32 v0, v84, v89
	ds_load_2addr_b64 v[196:199], v82 offset0:69 offset1:70
	ds_load_2addr_b64 v[204:207], v82 offset0:71 offset1:72
	v_mul_f32_e32 v1, v86, v91
	ds_load_2addr_b64 v[100:103], v82 offset0:45 offset1:46
	ds_load_2addr_b64 v[108:111], v82 offset0:47 offset1:48
	v_fmac_f32_e32 v0, v85, v88
	ds_load_2addr_b64 v[116:119], v82 offset0:49 offset1:50
	ds_load_2addr_b64 v[124:127], v82 offset0:51 offset1:52
	v_fmac_f32_e32 v1, v87, v90
	ds_load_2addr_b64 v[132:135], v82 offset0:53 offset1:54
	ds_load_2addr_b64 v[140:143], v82 offset0:55 offset1:56
	v_add_f32_e32 v0, 0, v0
	ds_load_2addr_b64 v[148:151], v82 offset0:57 offset1:58
	ds_load_2addr_b64 v[156:159], v82 offset0:59 offset1:60
	;; [unrolled: 1-line block ×4, first 2 shown]
	v_add_f32_e32 v0, v0, v1
	s_wait_loadcnt_dscnt 0xe0c
	v_mul_f32_e32 v1, v92, v97
	ds_load_2addr_b64 v[180:183], v82 offset0:65 offset1:66
	ds_load_2addr_b64 v[188:191], v82 offset0:67 offset1:68
	s_wait_loadcnt_dscnt 0xd0d
	v_mul_f32_e32 v225, v198, v203
	s_clause 0x3
	scratch_load_b128 v[212:215], off, off offset:264
	scratch_load_b128 v[216:219], off, off offset:280
	scratch_load_b128 v[220:223], off, off offset:296
	scratch_load_b64 v[228:229], off, off offset:312
	s_wait_loadcnt_dscnt 0x100c
	v_dual_fmac_f32 v1, v93, v96 :: v_dual_mul_f32 v227, v204, v209
	v_mul_f32_e32 v83, v87, v91
	s_delay_alu instid0(VALU_DEP_2) | instskip(NEXT) | instid1(VALU_DEP_3)
	v_dual_fmac_f32 v225, v199, v202 :: v_dual_add_f32 v0, v0, v1
	v_dual_mul_f32 v1, v94, v99 :: v_dual_fmac_f32 v227, v205, v208
	s_delay_alu instid0(VALU_DEP_3) | instskip(NEXT) | instid1(VALU_DEP_2)
	v_fma_f32 v83, v86, v90, -v83
	v_fmac_f32_e32 v1, v95, v98
	s_delay_alu instid0(VALU_DEP_1) | instskip(SKIP_2) | instid1(VALU_DEP_1)
	v_add_f32_e32 v0, v0, v1
	s_wait_loadcnt_dscnt 0xf0b
	v_mul_f32_e32 v1, v100, v105
	v_fmac_f32_e32 v1, v101, v104
	s_delay_alu instid0(VALU_DEP_1) | instskip(NEXT) | instid1(VALU_DEP_1)
	v_dual_add_f32 v0, v0, v1 :: v_dual_mul_f32 v1, v102, v107
	v_fmac_f32_e32 v1, v103, v106
	s_delay_alu instid0(VALU_DEP_1) | instskip(SKIP_2) | instid1(VALU_DEP_1)
	v_add_f32_e32 v0, v0, v1
	s_wait_loadcnt_dscnt 0xe0a
	v_mul_f32_e32 v1, v108, v113
	v_fmac_f32_e32 v1, v109, v112
	s_delay_alu instid0(VALU_DEP_1) | instskip(NEXT) | instid1(VALU_DEP_1)
	v_dual_add_f32 v0, v0, v1 :: v_dual_mul_f32 v1, v110, v115
	;; [unrolled: 8-line block ×12, first 2 shown]
	v_fmac_f32_e32 v1, v191, v194
	s_delay_alu instid0(VALU_DEP_1) | instskip(SKIP_1) | instid1(VALU_DEP_1)
	v_add_f32_e32 v0, v0, v1
	v_mul_f32_e32 v1, v196, v201
	v_fmac_f32_e32 v1, v197, v200
	s_delay_alu instid0(VALU_DEP_1) | instskip(SKIP_1) | instid1(VALU_DEP_1)
	v_add_f32_e32 v1, v0, v1
	v_mul_f32_e32 v0, v85, v89
	v_fma_f32 v0, v84, v88, -v0
	s_delay_alu instid0(VALU_DEP_1) | instskip(NEXT) | instid1(VALU_DEP_1)
	v_add_f32_e32 v0, 0, v0
	v_dual_add_f32 v0, v0, v83 :: v_dual_mul_f32 v83, v93, v97
	s_delay_alu instid0(VALU_DEP_1) | instskip(NEXT) | instid1(VALU_DEP_1)
	v_fma_f32 v83, v92, v96, -v83
	v_add_f32_e32 v0, v0, v83
	v_dual_mul_f32 v83, v95, v99 :: v_dual_mov_b32 v99, v206
	s_delay_alu instid0(VALU_DEP_1)
	v_dual_fma_f32 v83, v94, v98, -v83 :: v_dual_mov_b32 v98, v207
	ds_load_2addr_b64 v[84:87], v82 offset0:73 offset1:74
	ds_load_2addr_b64 v[88:91], v82 offset0:75 offset1:76
	;; [unrolled: 1-line block ×3, first 2 shown]
	ds_load_b64 v[96:97], v82 offset:632
	v_dual_add_f32 v0, v0, v83 :: v_dual_mul_f32 v83, v101, v105
	s_delay_alu instid0(VALU_DEP_1) | instskip(NEXT) | instid1(VALU_DEP_1)
	v_dual_fma_f32 v83, v100, v104, -v83 :: v_dual_mov_b32 v100, v211
	v_add_f32_e32 v0, v0, v83
	v_mul_f32_e32 v83, v103, v107
	s_delay_alu instid0(VALU_DEP_3) | instskip(NEXT) | instid1(VALU_DEP_2)
	v_pk_mul_f32 v[98:99], v[98:99], v[100:101] op_sel_hi:[1,0]
	v_fma_f32 v83, v102, v106, -v83
	s_delay_alu instid0(VALU_DEP_2) | instskip(SKIP_1) | instid1(VALU_DEP_3)
	v_pk_fma_f32 v[100:101], v[206:207], v[210:211], v[98:99] neg_lo:[0,0,1] neg_hi:[0,0,1]
	v_pk_fma_f32 v[98:99], v[206:207], v[210:211], v[98:99] op_sel_hi:[1,0,1]
	v_dual_add_f32 v0, v0, v83 :: v_dual_mul_f32 v83, v109, v113
	s_delay_alu instid0(VALU_DEP_2) | instskip(SKIP_2) | instid1(VALU_DEP_3)
	v_mov_b32_e32 v101, v99
	s_wait_loadcnt_dscnt 0x303
	v_pk_mul_f32 v[98:99], v[84:85], v[212:213] op_sel:[1,1] op_sel_hi:[0,1]
	v_fma_f32 v83, v108, v112, -v83
	s_delay_alu instid0(VALU_DEP_1) | instskip(SKIP_1) | instid1(VALU_DEP_1)
	v_add_f32_e32 v0, v0, v83
	v_mul_f32_e32 v83, v111, v115
	v_fma_f32 v83, v110, v114, -v83
	s_delay_alu instid0(VALU_DEP_1) | instskip(NEXT) | instid1(VALU_DEP_1)
	v_dual_add_f32 v0, v0, v83 :: v_dual_mul_f32 v83, v117, v121
	v_fma_f32 v83, v116, v120, -v83
	s_delay_alu instid0(VALU_DEP_1) | instskip(SKIP_1) | instid1(VALU_DEP_1)
	v_add_f32_e32 v0, v0, v83
	v_mul_f32_e32 v83, v119, v123
	v_fma_f32 v83, v118, v122, -v83
	s_delay_alu instid0(VALU_DEP_1) | instskip(NEXT) | instid1(VALU_DEP_1)
	v_dual_add_f32 v0, v0, v83 :: v_dual_mul_f32 v83, v125, v129
	;; [unrolled: 7-line block ×11, first 2 shown]
	v_fma_f32 v83, v196, v200, -v83
	s_delay_alu instid0(VALU_DEP_1) | instskip(SKIP_1) | instid1(VALU_DEP_1)
	v_add_f32_e32 v0, v0, v83
	v_mul_f32_e32 v83, v199, v203
	v_dual_fma_f32 v224, v198, v202, -v83 :: v_dual_mul_f32 v83, v205, v209
	s_delay_alu instid0(VALU_DEP_1) | instskip(NEXT) | instid1(VALU_DEP_2)
	v_pk_add_f32 v[0:1], v[0:1], v[224:225]
	v_fma_f32 v226, v204, v208, -v83
	s_delay_alu instid0(VALU_DEP_1) | instskip(NEXT) | instid1(VALU_DEP_1)
	v_pk_add_f32 v[0:1], v[0:1], v[226:227]
	v_pk_add_f32 v[0:1], v[0:1], v[100:101]
	v_pk_fma_f32 v[100:101], v[84:85], v[212:213], v[98:99] neg_lo:[0,0,1] neg_hi:[0,0,1]
	v_pk_fma_f32 v[84:85], v[84:85], v[212:213], v[98:99] op_sel_hi:[1,0,1]
	v_dual_mov_b32 v84, v87 :: v_dual_mov_b32 v98, v215
	s_delay_alu instid0(VALU_DEP_2) | instskip(NEXT) | instid1(VALU_DEP_1)
	v_dual_mov_b32 v101, v85 :: v_dual_mov_b32 v85, v86
	v_pk_add_f32 v[0:1], v[0:1], v[100:101]
	s_delay_alu instid0(VALU_DEP_2) | instskip(NEXT) | instid1(VALU_DEP_1)
	v_pk_mul_f32 v[84:85], v[84:85], v[98:99] op_sel_hi:[1,0]
	v_pk_fma_f32 v[98:99], v[86:87], v[214:215], v[84:85] neg_lo:[0,0,1] neg_hi:[0,0,1]
	v_pk_fma_f32 v[84:85], v[86:87], v[214:215], v[84:85] op_sel_hi:[1,0,1]
	s_delay_alu instid0(VALU_DEP_1) | instskip(SKIP_2) | instid1(VALU_DEP_2)
	v_mov_b32_e32 v99, v85
	s_wait_loadcnt_dscnt 0x202
	v_pk_mul_f32 v[84:85], v[88:89], v[216:217] op_sel:[1,1] op_sel_hi:[0,1]
	v_pk_add_f32 v[0:1], v[0:1], v[98:99]
	s_delay_alu instid0(VALU_DEP_2) | instskip(SKIP_1) | instid1(VALU_DEP_1)
	v_pk_fma_f32 v[86:87], v[88:89], v[216:217], v[84:85] neg_lo:[0,0,1] neg_hi:[0,0,1]
	v_pk_fma_f32 v[84:85], v[88:89], v[216:217], v[84:85] op_sel_hi:[1,0,1]
	v_dual_mov_b32 v84, v91 :: v_dual_mov_b32 v87, v85
	v_mov_b32_e32 v85, v90
	s_delay_alu instid0(VALU_DEP_2) | instskip(SKIP_1) | instid1(VALU_DEP_1)
	v_pk_add_f32 v[0:1], v[0:1], v[86:87]
	v_mov_b32_e32 v86, v219
	v_pk_mul_f32 v[84:85], v[84:85], v[86:87] op_sel_hi:[1,0]
	s_delay_alu instid0(VALU_DEP_1) | instskip(SKIP_1) | instid1(VALU_DEP_1)
	v_pk_fma_f32 v[86:87], v[90:91], v[218:219], v[84:85] neg_lo:[0,0,1] neg_hi:[0,0,1]
	v_pk_fma_f32 v[84:85], v[90:91], v[218:219], v[84:85] op_sel_hi:[1,0,1]
	v_mov_b32_e32 v87, v85
	s_wait_loadcnt_dscnt 0x101
	v_pk_mul_f32 v[84:85], v[92:93], v[220:221] op_sel:[1,1] op_sel_hi:[0,1]
	s_delay_alu instid0(VALU_DEP_2) | instskip(NEXT) | instid1(VALU_DEP_2)
	v_pk_add_f32 v[0:1], v[0:1], v[86:87]
	v_pk_fma_f32 v[86:87], v[92:93], v[220:221], v[84:85] neg_lo:[0,0,1] neg_hi:[0,0,1]
	v_pk_fma_f32 v[84:85], v[92:93], v[220:221], v[84:85] op_sel_hi:[1,0,1]
	s_delay_alu instid0(VALU_DEP_1) | instskip(SKIP_1) | instid1(VALU_DEP_2)
	v_dual_mov_b32 v84, v95 :: v_dual_mov_b32 v87, v85
	v_mov_b32_e32 v85, v94
	v_pk_add_f32 v[0:1], v[0:1], v[86:87]
	v_mov_b32_e32 v86, v223
	s_delay_alu instid0(VALU_DEP_1) | instskip(NEXT) | instid1(VALU_DEP_1)
	v_pk_mul_f32 v[84:85], v[84:85], v[86:87] op_sel_hi:[1,0]
	v_pk_fma_f32 v[86:87], v[94:95], v[222:223], v[84:85] neg_lo:[0,0,1] neg_hi:[0,0,1]
	v_pk_fma_f32 v[84:85], v[94:95], v[222:223], v[84:85] op_sel_hi:[1,0,1]
	s_delay_alu instid0(VALU_DEP_1) | instskip(SKIP_2) | instid1(VALU_DEP_2)
	v_mov_b32_e32 v87, v85
	s_wait_loadcnt_dscnt 0x0
	v_pk_mul_f32 v[84:85], v[96:97], v[228:229] op_sel:[1,1] op_sel_hi:[0,1]
	v_pk_add_f32 v[0:1], v[0:1], v[86:87]
	s_delay_alu instid0(VALU_DEP_2) | instskip(SKIP_1) | instid1(VALU_DEP_1)
	v_pk_fma_f32 v[86:87], v[96:97], v[228:229], v[84:85] neg_lo:[0,0,1] neg_hi:[0,0,1]
	v_pk_fma_f32 v[84:85], v[96:97], v[228:229], v[84:85] op_sel_hi:[1,0,1]
	v_mov_b32_e32 v87, v85
	scratch_load_b64 v[84:85], off, off
	v_pk_add_f32 v[0:1], v[0:1], v[86:87]
	s_wait_loadcnt 0x0
	s_delay_alu instid0(VALU_DEP_1)
	v_pk_add_f32 v[0:1], v[84:85], v[0:1] neg_lo:[0,1] neg_hi:[0,1]
	scratch_store_b64 off, v[0:1], off
	s_cbranch_vccz .LBB39_332
; %bb.254:
	global_load_b32 v0, v82, s[2:3] offset:152
	s_wait_loadcnt 0x0
	v_cmp_ne_u32_e32 vcc_lo, 39, v0
	s_cbranch_vccz .LBB39_256
; %bb.255:
	v_lshlrev_b32_e32 v0, 3, v0
	s_delay_alu instid0(VALU_DEP_1)
	v_mov_b32_e32 v84, v0
	scratch_load_b64 v[0:1], v84, off offset:-8
	scratch_load_b64 v[82:83], off, off offset:304
	s_wait_loadcnt 0x1
	scratch_store_b64 off, v[0:1], off offset:304
	s_wait_loadcnt 0x0
	scratch_store_b64 v84, v[82:83], off offset:-8
.LBB39_256:
	s_wait_xcnt 0x1
	v_mov_b32_e32 v0, 0
	global_load_b32 v1, v0, s[2:3] offset:148
	s_wait_loadcnt 0x0
	v_cmp_eq_u32_e32 vcc_lo, 38, v1
	s_cbranch_vccnz .LBB39_258
; %bb.257:
	v_lshlrev_b32_e32 v1, 3, v1
	scratch_load_b64 v[82:83], v1, off offset:-8
	scratch_load_b64 v[84:85], off, off offset:296
	s_wait_loadcnt 0x1
	scratch_store_b64 off, v[82:83], off offset:296
	s_wait_loadcnt 0x0
	scratch_store_b64 v1, v[84:85], off offset:-8
.LBB39_258:
	global_load_b32 v0, v0, s[2:3] offset:144
	s_wait_loadcnt 0x0
	v_cmp_eq_u32_e32 vcc_lo, 37, v0
	s_cbranch_vccnz .LBB39_260
; %bb.259:
	s_wait_xcnt 0x0
	v_lshlrev_b32_e32 v0, 3, v0
	s_delay_alu instid0(VALU_DEP_1)
	v_mov_b32_e32 v84, v0
	scratch_load_b64 v[0:1], v84, off offset:-8
	scratch_load_b64 v[82:83], off, off offset:288
	s_wait_loadcnt 0x1
	scratch_store_b64 off, v[0:1], off offset:288
	s_wait_loadcnt 0x0
	scratch_store_b64 v84, v[82:83], off offset:-8
.LBB39_260:
	s_wait_xcnt 0x0
	v_mov_b32_e32 v0, 0
	global_load_b32 v1, v0, s[2:3] offset:140
	s_wait_loadcnt 0x0
	v_cmp_eq_u32_e32 vcc_lo, 36, v1
	s_cbranch_vccnz .LBB39_262
; %bb.261:
	v_lshlrev_b32_e32 v1, 3, v1
	scratch_load_b64 v[82:83], v1, off offset:-8
	scratch_load_b64 v[84:85], off, off offset:280
	s_wait_loadcnt 0x1
	scratch_store_b64 off, v[82:83], off offset:280
	s_wait_loadcnt 0x0
	scratch_store_b64 v1, v[84:85], off offset:-8
.LBB39_262:
	global_load_b32 v0, v0, s[2:3] offset:136
	s_wait_loadcnt 0x0
	v_cmp_eq_u32_e32 vcc_lo, 35, v0
	s_cbranch_vccnz .LBB39_264
; %bb.263:
	s_wait_xcnt 0x0
	v_lshlrev_b32_e32 v0, 3, v0
	s_delay_alu instid0(VALU_DEP_1)
	v_mov_b32_e32 v84, v0
	scratch_load_b64 v[0:1], v84, off offset:-8
	scratch_load_b64 v[82:83], off, off offset:272
	s_wait_loadcnt 0x1
	scratch_store_b64 off, v[0:1], off offset:272
	s_wait_loadcnt 0x0
	scratch_store_b64 v84, v[82:83], off offset:-8
.LBB39_264:
	;; [unrolled: 31-line block ×18, first 2 shown]
	s_wait_xcnt 0x0
	v_mov_b32_e32 v0, 0
	global_load_b32 v1, v0, s[2:3] offset:4
	s_wait_loadcnt 0x0
	v_cmp_eq_u32_e32 vcc_lo, 2, v1
	s_cbranch_vccnz .LBB39_330
; %bb.329:
	v_lshlrev_b32_e32 v1, 3, v1
	scratch_load_b64 v[82:83], v1, off offset:-8
	scratch_load_b64 v[84:85], off, off offset:8
	s_wait_loadcnt 0x1
	scratch_store_b64 off, v[82:83], off offset:8
	s_wait_loadcnt 0x0
	scratch_store_b64 v1, v[84:85], off offset:-8
.LBB39_330:
	global_load_b32 v82, v0, s[2:3]
	scratch_load_b64 v[0:1], off, off
	s_wait_loadcnt 0x1
	v_cmp_eq_u32_e32 vcc_lo, 1, v82
	s_cbranch_vccnz .LBB39_332
; %bb.331:
	v_lshlrev_b32_e32 v82, 3, v82
	s_delay_alu instid0(VALU_DEP_1)
	v_mov_b32_e32 v84, v82
	scratch_load_b64 v[82:83], v84, off offset:-8
	s_wait_loadcnt 0x0
	scratch_store_b64 off, v[82:83], off
	scratch_store_b64 v84, v[0:1], off offset:-8
	scratch_load_b64 v[0:1], off, off
.LBB39_332:
	s_clause 0x13
	scratch_load_b128 v[82:85], off, off offset:8
	scratch_load_b128 v[86:89], off, off offset:24
	;; [unrolled: 1-line block ×19, first 2 shown]
	scratch_load_b64 v[158:159], off, off offset:312
	v_lshl_add_u64 v[4:5], v[4:5], 3, s[4:5]
	v_lshl_add_u64 v[8:9], v[8:9], 3, s[4:5]
	;; [unrolled: 1-line block ×38, first 2 shown]
	s_wait_loadcnt 0x14
	global_store_b64 v[2:3], v[0:1], off
	s_wait_loadcnt 0x13
	s_clause 0x1
	global_store_b64 v[6:7], v[82:83], off
	global_store_b64 v[4:5], v[84:85], off
	s_wait_loadcnt 0x12
	s_clause 0x1
	global_store_b64 v[8:9], v[86:87], off
	;; [unrolled: 4-line block ×19, first 2 shown]
	global_store_b64 v[78:79], v[156:157], off
	s_wait_loadcnt 0x0
	global_store_b64 v[80:81], v[158:159], off
	s_sendmsg sendmsg(MSG_DEALLOC_VGPRS)
	s_endpgm
	.section	.rodata,"a",@progbits
	.p2align	6, 0x0
	.amdhsa_kernel _ZN9rocsolver6v33100L18getri_kernel_smallILi40E19rocblas_complex_numIfEPS3_EEvT1_iilPiilS6_bb
		.amdhsa_group_segment_fixed_size 644
		.amdhsa_private_segment_fixed_size 336
		.amdhsa_kernarg_size 60
		.amdhsa_user_sgpr_count 2
		.amdhsa_user_sgpr_dispatch_ptr 0
		.amdhsa_user_sgpr_queue_ptr 0
		.amdhsa_user_sgpr_kernarg_segment_ptr 1
		.amdhsa_user_sgpr_dispatch_id 0
		.amdhsa_user_sgpr_kernarg_preload_length 0
		.amdhsa_user_sgpr_kernarg_preload_offset 0
		.amdhsa_user_sgpr_private_segment_size 0
		.amdhsa_wavefront_size32 1
		.amdhsa_uses_dynamic_stack 0
		.amdhsa_enable_private_segment 1
		.amdhsa_system_sgpr_workgroup_id_x 1
		.amdhsa_system_sgpr_workgroup_id_y 0
		.amdhsa_system_sgpr_workgroup_id_z 0
		.amdhsa_system_sgpr_workgroup_info 0
		.amdhsa_system_vgpr_workitem_id 0
		.amdhsa_next_free_vgpr 245
		.amdhsa_next_free_sgpr 19
		.amdhsa_named_barrier_count 0
		.amdhsa_reserve_vcc 1
		.amdhsa_float_round_mode_32 0
		.amdhsa_float_round_mode_16_64 0
		.amdhsa_float_denorm_mode_32 3
		.amdhsa_float_denorm_mode_16_64 3
		.amdhsa_fp16_overflow 0
		.amdhsa_memory_ordered 1
		.amdhsa_forward_progress 1
		.amdhsa_inst_pref_size 255
		.amdhsa_round_robin_scheduling 0
		.amdhsa_exception_fp_ieee_invalid_op 0
		.amdhsa_exception_fp_denorm_src 0
		.amdhsa_exception_fp_ieee_div_zero 0
		.amdhsa_exception_fp_ieee_overflow 0
		.amdhsa_exception_fp_ieee_underflow 0
		.amdhsa_exception_fp_ieee_inexact 0
		.amdhsa_exception_int_div_zero 0
	.end_amdhsa_kernel
	.section	.text._ZN9rocsolver6v33100L18getri_kernel_smallILi40E19rocblas_complex_numIfEPS3_EEvT1_iilPiilS6_bb,"axG",@progbits,_ZN9rocsolver6v33100L18getri_kernel_smallILi40E19rocblas_complex_numIfEPS3_EEvT1_iilPiilS6_bb,comdat
.Lfunc_end39:
	.size	_ZN9rocsolver6v33100L18getri_kernel_smallILi40E19rocblas_complex_numIfEPS3_EEvT1_iilPiilS6_bb, .Lfunc_end39-_ZN9rocsolver6v33100L18getri_kernel_smallILi40E19rocblas_complex_numIfEPS3_EEvT1_iilPiilS6_bb
                                        ; -- End function
	.set _ZN9rocsolver6v33100L18getri_kernel_smallILi40E19rocblas_complex_numIfEPS3_EEvT1_iilPiilS6_bb.num_vgpr, 245
	.set _ZN9rocsolver6v33100L18getri_kernel_smallILi40E19rocblas_complex_numIfEPS3_EEvT1_iilPiilS6_bb.num_agpr, 0
	.set _ZN9rocsolver6v33100L18getri_kernel_smallILi40E19rocblas_complex_numIfEPS3_EEvT1_iilPiilS6_bb.numbered_sgpr, 19
	.set _ZN9rocsolver6v33100L18getri_kernel_smallILi40E19rocblas_complex_numIfEPS3_EEvT1_iilPiilS6_bb.num_named_barrier, 0
	.set _ZN9rocsolver6v33100L18getri_kernel_smallILi40E19rocblas_complex_numIfEPS3_EEvT1_iilPiilS6_bb.private_seg_size, 336
	.set _ZN9rocsolver6v33100L18getri_kernel_smallILi40E19rocblas_complex_numIfEPS3_EEvT1_iilPiilS6_bb.uses_vcc, 1
	.set _ZN9rocsolver6v33100L18getri_kernel_smallILi40E19rocblas_complex_numIfEPS3_EEvT1_iilPiilS6_bb.uses_flat_scratch, 1
	.set _ZN9rocsolver6v33100L18getri_kernel_smallILi40E19rocblas_complex_numIfEPS3_EEvT1_iilPiilS6_bb.has_dyn_sized_stack, 0
	.set _ZN9rocsolver6v33100L18getri_kernel_smallILi40E19rocblas_complex_numIfEPS3_EEvT1_iilPiilS6_bb.has_recursion, 0
	.set _ZN9rocsolver6v33100L18getri_kernel_smallILi40E19rocblas_complex_numIfEPS3_EEvT1_iilPiilS6_bb.has_indirect_call, 0
	.section	.AMDGPU.csdata,"",@progbits
; Kernel info:
; codeLenInByte = 63388
; TotalNumSgprs: 21
; NumVgprs: 245
; ScratchSize: 336
; MemoryBound: 0
; FloatMode: 240
; IeeeMode: 1
; LDSByteSize: 644 bytes/workgroup (compile time only)
; SGPRBlocks: 0
; VGPRBlocks: 15
; NumSGPRsForWavesPerEU: 21
; NumVGPRsForWavesPerEU: 245
; NamedBarCnt: 0
; Occupancy: 4
; WaveLimiterHint : 1
; COMPUTE_PGM_RSRC2:SCRATCH_EN: 1
; COMPUTE_PGM_RSRC2:USER_SGPR: 2
; COMPUTE_PGM_RSRC2:TRAP_HANDLER: 0
; COMPUTE_PGM_RSRC2:TGID_X_EN: 1
; COMPUTE_PGM_RSRC2:TGID_Y_EN: 0
; COMPUTE_PGM_RSRC2:TGID_Z_EN: 0
; COMPUTE_PGM_RSRC2:TIDIG_COMP_CNT: 0
	.section	.text._ZN9rocsolver6v33100L18getri_kernel_smallILi41E19rocblas_complex_numIfEPS3_EEvT1_iilPiilS6_bb,"axG",@progbits,_ZN9rocsolver6v33100L18getri_kernel_smallILi41E19rocblas_complex_numIfEPS3_EEvT1_iilPiilS6_bb,comdat
	.globl	_ZN9rocsolver6v33100L18getri_kernel_smallILi41E19rocblas_complex_numIfEPS3_EEvT1_iilPiilS6_bb ; -- Begin function _ZN9rocsolver6v33100L18getri_kernel_smallILi41E19rocblas_complex_numIfEPS3_EEvT1_iilPiilS6_bb
	.p2align	8
	.type	_ZN9rocsolver6v33100L18getri_kernel_smallILi41E19rocblas_complex_numIfEPS3_EEvT1_iilPiilS6_bb,@function
_ZN9rocsolver6v33100L18getri_kernel_smallILi41E19rocblas_complex_numIfEPS3_EEvT1_iilPiilS6_bb: ; @_ZN9rocsolver6v33100L18getri_kernel_smallILi41E19rocblas_complex_numIfEPS3_EEvT1_iilPiilS6_bb
; %bb.0:
	s_mov_b32 s2, exec_lo
	v_cmpx_gt_u32_e32 41, v0
	s_cbranch_execz .LBB40_178
; %bb.1:
	s_clause 0x2
	s_load_b32 s2, s[0:1], 0x38
	s_load_b128 s[12:15], s[0:1], 0x10
	s_load_b128 s[4:7], s[0:1], 0x28
	s_getreg_b32 s9, hwreg(HW_REG_IB_STS2, 6, 4)
	s_wait_kmcnt 0x0
	s_bitcmp1_b32 s2, 8
	s_cselect_b32 s18, -1, 0
	s_bfe_u32 s3, ttmp6, 0x4000c
	s_and_b32 s8, ttmp6, 15
	s_add_co_i32 s3, s3, 1
	s_delay_alu instid0(SALU_CYCLE_1) | instskip(NEXT) | instid1(SALU_CYCLE_1)
	s_mul_i32 s3, ttmp9, s3
	s_add_co_i32 s8, s8, s3
	s_cmp_eq_u32 s9, 0
	s_cselect_b32 s16, ttmp9, s8
	s_bfe_u32 s2, s2, 0x10008
	s_ashr_i32 s17, s16, 31
	s_cmp_eq_u32 s2, 0
                                        ; implicit-def: $sgpr2_sgpr3
	s_cbranch_scc1 .LBB40_3
; %bb.2:
	s_load_b32 s2, s[0:1], 0x20
	s_mul_u64 s[4:5], s[4:5], s[16:17]
	s_delay_alu instid0(SALU_CYCLE_1) | instskip(NEXT) | instid1(SALU_CYCLE_1)
	s_lshl_b64 s[4:5], s[4:5], 2
	s_add_nc_u64 s[4:5], s[14:15], s[4:5]
	s_wait_kmcnt 0x0
	s_ashr_i32 s3, s2, 31
	s_delay_alu instid0(SALU_CYCLE_1) | instskip(NEXT) | instid1(SALU_CYCLE_1)
	s_lshl_b64 s[2:3], s[2:3], 2
	s_add_nc_u64 s[2:3], s[4:5], s[2:3]
.LBB40_3:
	s_clause 0x1
	s_load_b128 s[8:11], s[0:1], 0x0
	s_load_b32 s14, s[0:1], 0x38
	s_wait_xcnt 0x0
	s_mul_u64 s[0:1], s[12:13], s[16:17]
	v_mov_b32_e32 v85, 0
	s_lshl_b64 s[0:1], s[0:1], 3
	s_wait_kmcnt 0x0
	v_add3_u32 v4, s11, s11, v0
	s_ashr_i32 s5, s10, 31
	s_mov_b32 s4, s10
	s_add_nc_u64 s[0:1], s[8:9], s[0:1]
	s_lshl_b64 s[4:5], s[4:5], 3
	v_add_nc_u32_e32 v8, s11, v4
	s_add_nc_u64 s[4:5], s[0:1], s[4:5]
	s_ashr_i32 s1, s11, 31
	s_mov_b32 s0, s11
	s_bitcmp0_b32 s14, 0
	v_add_nc_u32_e32 v10, s11, v8
	s_delay_alu instid0(VALU_DEP_1) | instskip(NEXT) | instid1(VALU_DEP_1)
	v_add_nc_u32_e32 v12, s11, v10
	v_add_nc_u32_e32 v14, s11, v12
	s_delay_alu instid0(VALU_DEP_1) | instskip(NEXT) | instid1(VALU_DEP_1)
	v_add_nc_u32_e32 v16, s11, v14
	;; [unrolled: 3-line block ×11, first 2 shown]
	v_add_nc_u32_e32 v54, s11, v52
	s_delay_alu instid0(VALU_DEP_1) | instskip(NEXT) | instid1(VALU_DEP_1)
	v_dual_lshlrev_b32 v84, 3, v0 :: v_dual_add_nc_u32 v56, s11, v54
	v_add_nc_u64_e32 v[2:3], s[4:5], v[84:85]
	s_delay_alu instid0(VALU_DEP_2) | instskip(NEXT) | instid1(VALU_DEP_2)
	v_add_nc_u32_e32 v58, s11, v56
	v_lshl_add_u64 v[6:7], s[0:1], 3, v[2:3]
	s_mov_b32 s1, -1
	s_delay_alu instid0(VALU_DEP_2)
	v_add_nc_u32_e32 v60, s11, v58
	s_clause 0x9
	global_load_b64 v[86:87], v0, s[4:5] scale_offset
	global_load_b64 v[88:89], v[6:7], off
	global_load_b64 v[90:91], v4, s[4:5] scale_offset
	global_load_b64 v[92:93], v8, s[4:5] scale_offset
	global_load_b64 v[94:95], v10, s[4:5] scale_offset
	global_load_b64 v[96:97], v12, s[4:5] scale_offset
	global_load_b64 v[98:99], v14, s[4:5] scale_offset
	global_load_b64 v[100:101], v16, s[4:5] scale_offset
	global_load_b64 v[102:103], v18, s[4:5] scale_offset
	global_load_b64 v[104:105], v20, s[4:5] scale_offset
	v_add_nc_u32_e32 v62, s11, v60
	s_clause 0xf
	global_load_b64 v[106:107], v22, s[4:5] scale_offset
	global_load_b64 v[108:109], v24, s[4:5] scale_offset
	;; [unrolled: 1-line block ×16, first 2 shown]
	v_add_nc_u32_e32 v64, s11, v62
	s_clause 0x3
	global_load_b64 v[138:139], v54, s[4:5] scale_offset
	global_load_b64 v[140:141], v56, s[4:5] scale_offset
	;; [unrolled: 1-line block ×4, first 2 shown]
	v_add_nc_u32_e32 v66, s11, v64
	s_delay_alu instid0(VALU_DEP_1) | instskip(NEXT) | instid1(VALU_DEP_1)
	v_add_nc_u32_e32 v68, s11, v66
	v_add_nc_u32_e32 v70, s11, v68
	s_delay_alu instid0(VALU_DEP_1)
	v_add_nc_u32_e32 v72, s11, v70
	s_clause 0x3
	global_load_b64 v[146:147], v62, s[4:5] scale_offset
	global_load_b64 v[148:149], v64, s[4:5] scale_offset
	;; [unrolled: 1-line block ×4, first 2 shown]
	v_add_nc_u32_e32 v74, s11, v72
	s_delay_alu instid0(VALU_DEP_1) | instskip(NEXT) | instid1(VALU_DEP_1)
	v_add_nc_u32_e32 v76, s11, v74
	v_add_nc_u32_e32 v78, s11, v76
	s_delay_alu instid0(VALU_DEP_1)
	v_add_nc_u32_e32 v80, s11, v78
	s_clause 0x3
	global_load_b64 v[154:155], v70, s[4:5] scale_offset
	global_load_b64 v[156:157], v72, s[4:5] scale_offset
	;; [unrolled: 1-line block ×4, first 2 shown]
	v_add_nc_u32_e32 v82, s11, v80
	s_clause 0x2
	global_load_b64 v[162:163], v78, s[4:5] scale_offset
	global_load_b64 v[164:165], v80, s[4:5] scale_offset
	;; [unrolled: 1-line block ×3, first 2 shown]
	s_wait_loadcnt 0x27
	scratch_store_b128 off, v[86:89], off
	s_wait_loadcnt 0x25
	scratch_store_b128 off, v[90:93], off offset:16
	s_wait_loadcnt 0x23
	scratch_store_b128 off, v[94:97], off offset:32
	;; [unrolled: 2-line block ×19, first 2 shown]
	s_wait_loadcnt 0x0
	scratch_store_b64 off, v[166:167], off offset:320
	s_cbranch_scc1 .LBB40_176
; %bb.4:
	v_cmp_eq_u32_e64 s0, 0, v0
	s_wait_xcnt 0x0
	s_and_saveexec_b32 s1, s0
; %bb.5:
	v_mov_b32_e32 v1, 0
	ds_store_b32 v1, v1 offset:328
; %bb.6:
	s_or_b32 exec_lo, exec_lo, s1
	s_wait_storecnt_dscnt 0x0
	s_barrier_signal -1
	s_barrier_wait -1
	scratch_load_b64 v[86:87], v0, off scale_offset
	s_wait_loadcnt 0x0
	v_cmp_eq_f32_e32 vcc_lo, 0, v86
	v_cmp_eq_f32_e64 s1, 0, v87
	s_and_b32 s1, vcc_lo, s1
	s_delay_alu instid0(SALU_CYCLE_1)
	s_and_saveexec_b32 s8, s1
	s_cbranch_execz .LBB40_10
; %bb.7:
	v_mov_b32_e32 v1, 0
	s_mov_b32 s9, 0
	ds_load_b32 v5, v1 offset:328
	s_wait_dscnt 0x0
	v_readfirstlane_b32 s1, v5
	v_add_nc_u32_e32 v5, 1, v0
	s_cmp_eq_u32 s1, 0
	s_delay_alu instid0(VALU_DEP_1) | instskip(SKIP_1) | instid1(SALU_CYCLE_1)
	v_cmp_gt_i32_e32 vcc_lo, s1, v5
	s_cselect_b32 s10, -1, 0
	s_or_b32 s10, s10, vcc_lo
	s_delay_alu instid0(SALU_CYCLE_1)
	s_and_b32 exec_lo, exec_lo, s10
	s_cbranch_execz .LBB40_10
; %bb.8:
	v_mov_b32_e32 v9, s1
.LBB40_9:                               ; =>This Inner Loop Header: Depth=1
	ds_cmpstore_rtn_b32 v9, v1, v5, v9 offset:328
	s_wait_dscnt 0x0
	v_cmp_ne_u32_e32 vcc_lo, 0, v9
	v_cmp_le_i32_e64 s1, v9, v5
	s_and_b32 s1, vcc_lo, s1
	s_delay_alu instid0(SALU_CYCLE_1) | instskip(NEXT) | instid1(SALU_CYCLE_1)
	s_and_b32 s1, exec_lo, s1
	s_or_b32 s9, s1, s9
	s_delay_alu instid0(SALU_CYCLE_1)
	s_and_not1_b32 exec_lo, exec_lo, s9
	s_cbranch_execnz .LBB40_9
.LBB40_10:
	s_or_b32 exec_lo, exec_lo, s8
	v_mov_b32_e32 v1, 0
	s_barrier_signal -1
	s_barrier_wait -1
	ds_load_b32 v5, v1 offset:328
	s_and_saveexec_b32 s1, s0
	s_cbranch_execz .LBB40_12
; %bb.11:
	s_lshl_b64 s[8:9], s[16:17], 2
	s_delay_alu instid0(SALU_CYCLE_1)
	s_add_nc_u64 s[8:9], s[6:7], s[8:9]
	s_wait_dscnt 0x0
	global_store_b32 v1, v5, s[8:9]
.LBB40_12:
	s_wait_xcnt 0x0
	s_or_b32 exec_lo, exec_lo, s1
	s_wait_dscnt 0x0
	v_cmp_ne_u32_e32 vcc_lo, 0, v5
	s_mov_b32 s1, 0
	s_cbranch_vccnz .LBB40_176
; %bb.13:
	v_lshl_add_u32 v5, v0, 3, 0
                                        ; implicit-def: $vgpr89
                                        ; implicit-def: $vgpr90
	scratch_load_b64 v[86:87], v5, off
	s_wait_loadcnt 0x0
	v_cmp_ngt_f32_e64 s1, |v86|, |v87|
	s_wait_xcnt 0x0
	s_and_saveexec_b32 s8, s1
	s_delay_alu instid0(SALU_CYCLE_1)
	s_xor_b32 s1, exec_lo, s8
	s_cbranch_execz .LBB40_15
; %bb.14:
	v_div_scale_f32 v1, null, v87, v87, v86
	v_div_scale_f32 v13, vcc_lo, v86, v87, v86
	s_delay_alu instid0(VALU_DEP_2) | instskip(SKIP_1) | instid1(TRANS32_DEP_1)
	v_rcp_f32_e32 v9, v1
	v_nop
	v_fma_f32 v11, -v1, v9, 1.0
	s_delay_alu instid0(VALU_DEP_1) | instskip(NEXT) | instid1(VALU_DEP_1)
	v_fmac_f32_e32 v9, v11, v9
	v_mul_f32_e32 v11, v13, v9
	s_delay_alu instid0(VALU_DEP_1) | instskip(NEXT) | instid1(VALU_DEP_1)
	v_fma_f32 v15, -v1, v11, v13
	v_fmac_f32_e32 v11, v15, v9
	s_delay_alu instid0(VALU_DEP_1) | instskip(NEXT) | instid1(VALU_DEP_1)
	v_fma_f32 v1, -v1, v11, v13
	v_div_fmas_f32 v1, v1, v9, v11
	s_delay_alu instid0(VALU_DEP_1) | instskip(NEXT) | instid1(VALU_DEP_1)
	v_div_fixup_f32 v1, v1, v87, v86
	v_fmac_f32_e32 v87, v86, v1
	s_delay_alu instid0(VALU_DEP_1) | instskip(NEXT) | instid1(VALU_DEP_1)
	v_div_scale_f32 v9, null, v87, v87, -1.0
	v_rcp_f32_e32 v11, v9
	v_nop
	s_delay_alu instid0(TRANS32_DEP_1) | instskip(NEXT) | instid1(VALU_DEP_1)
	v_fma_f32 v13, -v9, v11, 1.0
	v_fmac_f32_e32 v11, v13, v11
	v_div_scale_f32 v13, vcc_lo, -1.0, v87, -1.0
	s_delay_alu instid0(VALU_DEP_1) | instskip(NEXT) | instid1(VALU_DEP_1)
	v_mul_f32_e32 v15, v13, v11
	v_fma_f32 v17, -v9, v15, v13
	s_delay_alu instid0(VALU_DEP_1) | instskip(NEXT) | instid1(VALU_DEP_1)
	v_fmac_f32_e32 v15, v17, v11
	v_fma_f32 v9, -v9, v15, v13
	s_delay_alu instid0(VALU_DEP_1) | instskip(NEXT) | instid1(VALU_DEP_1)
	v_div_fmas_f32 v9, v9, v11, v15
	v_div_fixup_f32 v89, v9, v87, -1.0
                                        ; implicit-def: $vgpr86_vgpr87
	s_delay_alu instid0(VALU_DEP_1) | instskip(NEXT) | instid1(VALU_DEP_1)
	v_mul_f32_e32 v90, v1, v89
	v_xor_b32_e32 v88, 0x80000000, v90
.LBB40_15:
	s_and_not1_saveexec_b32 s1, s1
	s_cbranch_execz .LBB40_17
; %bb.16:
	v_div_scale_f32 v1, null, v86, v86, v87
	v_div_scale_f32 v13, vcc_lo, v87, v86, v87
	s_delay_alu instid0(VALU_DEP_2) | instskip(SKIP_1) | instid1(TRANS32_DEP_1)
	v_rcp_f32_e32 v9, v1
	v_nop
	v_fma_f32 v11, -v1, v9, 1.0
	s_delay_alu instid0(VALU_DEP_1) | instskip(NEXT) | instid1(VALU_DEP_1)
	v_fmac_f32_e32 v9, v11, v9
	v_mul_f32_e32 v11, v13, v9
	s_delay_alu instid0(VALU_DEP_1) | instskip(NEXT) | instid1(VALU_DEP_1)
	v_fma_f32 v15, -v1, v11, v13
	v_fmac_f32_e32 v11, v15, v9
	s_delay_alu instid0(VALU_DEP_1) | instskip(NEXT) | instid1(VALU_DEP_1)
	v_fma_f32 v1, -v1, v11, v13
	v_div_fmas_f32 v1, v1, v9, v11
	s_delay_alu instid0(VALU_DEP_1) | instskip(NEXT) | instid1(VALU_DEP_1)
	v_div_fixup_f32 v1, v1, v86, v87
	v_fmac_f32_e32 v86, v87, v1
	s_delay_alu instid0(VALU_DEP_1) | instskip(SKIP_1) | instid1(VALU_DEP_2)
	v_div_scale_f32 v9, null, v86, v86, 1.0
	v_div_scale_f32 v15, vcc_lo, 1.0, v86, 1.0
	v_rcp_f32_e32 v11, v9
	v_nop
	s_delay_alu instid0(TRANS32_DEP_1) | instskip(NEXT) | instid1(VALU_DEP_1)
	v_fma_f32 v13, -v9, v11, 1.0
	v_fmac_f32_e32 v11, v13, v11
	s_delay_alu instid0(VALU_DEP_1) | instskip(NEXT) | instid1(VALU_DEP_1)
	v_mul_f32_e32 v13, v15, v11
	v_fma_f32 v17, -v9, v13, v15
	s_delay_alu instid0(VALU_DEP_1) | instskip(NEXT) | instid1(VALU_DEP_1)
	v_fmac_f32_e32 v13, v17, v11
	v_fma_f32 v9, -v9, v13, v15
	s_delay_alu instid0(VALU_DEP_1) | instskip(NEXT) | instid1(VALU_DEP_1)
	v_div_fmas_f32 v9, v9, v11, v13
	v_div_fixup_f32 v88, v9, v86, 1.0
	s_delay_alu instid0(VALU_DEP_1)
	v_xor_b32_e32 v90, 0x80000000, v88
	v_mul_f32_e64 v89, v1, -v88
.LBB40_17:
	s_or_b32 exec_lo, exec_lo, s1
	scratch_store_b64 v5, v[88:89], off
	scratch_load_b64 v[86:87], off, off offset:8
	v_xor_b32_e32 v91, 0x80000000, v89
	v_add_nc_u32_e32 v1, 0x150, v84
	s_wait_loadcnt 0x0
	ds_store_2addr_b64 v84, v[90:91], v[86:87] offset1:42
	s_wait_storecnt_dscnt 0x0
	s_barrier_signal -1
	s_barrier_wait -1
	s_wait_xcnt 0x0
	s_and_saveexec_b32 s1, s0
	s_cbranch_execz .LBB40_19
; %bb.18:
	scratch_load_b64 v[86:87], v5, off
	ds_load_b64 v[88:89], v1
	s_wait_loadcnt_dscnt 0x0
	v_pk_mul_f32 v[92:93], v[88:89], v[86:87] op_sel:[1,1] op_sel_hi:[0,1]
	s_delay_alu instid0(VALU_DEP_1) | instskip(SKIP_2) | instid1(VALU_DEP_3)
	v_pk_fma_f32 v[94:95], v[88:89], v[86:87], v[92:93] op_sel_hi:[1,0,1]
	v_mov_b32_e32 v9, 0
	v_pk_fma_f32 v[86:87], v[88:89], v[86:87], v[92:93] neg_lo:[0,0,1] neg_hi:[0,0,1]
	v_mov_b32_e32 v87, v95
	ds_load_b64 v[90:91], v9 offset:8
	v_pk_add_f32 v[86:87], v[86:87], 0 op_sel_hi:[1,0]
	s_wait_dscnt 0x0
	s_delay_alu instid0(VALU_DEP_1) | instskip(NEXT) | instid1(VALU_DEP_1)
	v_pk_mul_f32 v[88:89], v[86:87], v[90:91] op_sel:[1,1] op_sel_hi:[0,1]
	v_pk_fma_f32 v[92:93], v[86:87], v[90:91], v[88:89] op_sel_hi:[1,0,1]
	v_pk_fma_f32 v[86:87], v[86:87], v[90:91], v[88:89] neg_lo:[0,0,1] neg_hi:[0,0,1]
	s_delay_alu instid0(VALU_DEP_2)
	v_mov_b32_e32 v87, v93
	scratch_store_b64 off, v[86:87], off offset:8
.LBB40_19:
	s_wait_xcnt 0x0
	s_or_b32 exec_lo, exec_lo, s1
	s_wait_storecnt 0x0
	s_barrier_signal -1
	s_barrier_wait -1
	scratch_load_b64 v[86:87], off, off offset:16
	s_mov_b32 s1, exec_lo
	s_wait_loadcnt 0x0
	ds_store_b64 v1, v[86:87]
	s_wait_dscnt 0x0
	s_barrier_signal -1
	s_barrier_wait -1
	v_cmpx_gt_u32_e32 2, v0
	s_cbranch_execz .LBB40_23
; %bb.20:
	scratch_load_b64 v[86:87], v5, off
	ds_load_b64 v[88:89], v1
	s_wait_loadcnt_dscnt 0x0
	v_pk_mul_f32 v[90:91], v[88:89], v[86:87] op_sel:[1,1] op_sel_hi:[0,1]
	s_delay_alu instid0(VALU_DEP_1) | instskip(SKIP_1) | instid1(VALU_DEP_2)
	v_pk_fma_f32 v[92:93], v[88:89], v[86:87], v[90:91] op_sel_hi:[1,0,1]
	v_pk_fma_f32 v[86:87], v[88:89], v[86:87], v[90:91] neg_lo:[0,0,1] neg_hi:[0,0,1]
	v_mov_b32_e32 v87, v93
	s_delay_alu instid0(VALU_DEP_1)
	v_pk_add_f32 v[86:87], v[86:87], 0 op_sel_hi:[1,0]
	s_and_saveexec_b32 s8, s0
	s_cbranch_execz .LBB40_22
; %bb.21:
	scratch_load_b64 v[88:89], off, off offset:8
	v_mov_b32_e32 v5, 0
	ds_load_b64 v[90:91], v5 offset:344
	s_wait_loadcnt_dscnt 0x0
	v_pk_mul_f32 v[92:93], v[90:91], v[88:89] op_sel:[1,1] op_sel_hi:[0,1]
	s_delay_alu instid0(VALU_DEP_1) | instskip(SKIP_1) | instid1(VALU_DEP_2)
	v_pk_fma_f32 v[94:95], v[90:91], v[88:89], v[92:93] op_sel_hi:[1,0,1]
	v_pk_fma_f32 v[88:89], v[90:91], v[88:89], v[92:93] neg_lo:[0,0,1] neg_hi:[0,0,1]
	v_mov_b32_e32 v89, v95
	s_delay_alu instid0(VALU_DEP_1)
	v_pk_add_f32 v[86:87], v[86:87], v[88:89]
.LBB40_22:
	s_or_b32 exec_lo, exec_lo, s8
	v_mov_b32_e32 v5, 0
	ds_load_b64 v[88:89], v5 offset:16
	s_wait_dscnt 0x0
	v_pk_mul_f32 v[90:91], v[86:87], v[88:89] op_sel:[1,1] op_sel_hi:[0,1]
	s_delay_alu instid0(VALU_DEP_1) | instskip(SKIP_1) | instid1(VALU_DEP_2)
	v_pk_fma_f32 v[92:93], v[86:87], v[88:89], v[90:91] op_sel_hi:[1,0,1]
	v_pk_fma_f32 v[86:87], v[86:87], v[88:89], v[90:91] neg_lo:[0,0,1] neg_hi:[0,0,1]
	v_mov_b32_e32 v87, v93
	scratch_store_b64 off, v[86:87], off offset:16
.LBB40_23:
	s_wait_xcnt 0x0
	s_or_b32 exec_lo, exec_lo, s1
	s_wait_storecnt 0x0
	s_barrier_signal -1
	s_barrier_wait -1
	scratch_load_b64 v[86:87], off, off offset:24
	v_add_nc_u32_e32 v5, -1, v0
	s_mov_b32 s0, exec_lo
	s_wait_loadcnt 0x0
	ds_store_b64 v1, v[86:87]
	s_wait_dscnt 0x0
	s_barrier_signal -1
	s_barrier_wait -1
	v_cmpx_gt_u32_e32 3, v0
	s_cbranch_execz .LBB40_27
; %bb.24:
	v_dual_mov_b32 v86, 0 :: v_dual_add_nc_u32 v9, -1, v0
	v_add_nc_u32_e32 v11, 0x150, v84
	v_mov_b32_e32 v13, v84
	s_mov_b32 s1, 0
	s_delay_alu instid0(VALU_DEP_3)
	v_mov_b32_e32 v87, v86
.LBB40_25:                              ; =>This Inner Loop Header: Depth=1
	scratch_load_b64 v[88:89], v13, off
	ds_load_b64 v[90:91], v11
	s_wait_xcnt 0x0
	v_dual_add_nc_u32 v11, 8, v11 :: v_dual_add_nc_u32 v13, 8, v13
	s_wait_loadcnt_dscnt 0x0
	v_pk_mul_f32 v[92:93], v[90:91], v[88:89] op_sel:[1,1] op_sel_hi:[0,1]
	s_delay_alu instid0(VALU_DEP_1) | instskip(SKIP_2) | instid1(VALU_DEP_3)
	v_pk_fma_f32 v[94:95], v[90:91], v[88:89], v[92:93] op_sel_hi:[1,0,1]
	v_add_nc_u32_e32 v9, 1, v9
	v_pk_fma_f32 v[88:89], v[90:91], v[88:89], v[92:93] neg_lo:[0,0,1] neg_hi:[0,0,1]
	v_mov_b32_e32 v89, v95
	s_delay_alu instid0(VALU_DEP_3) | instskip(NEXT) | instid1(VALU_DEP_2)
	v_cmp_lt_u32_e32 vcc_lo, 1, v9
	v_pk_add_f32 v[86:87], v[86:87], v[88:89]
	s_or_b32 s1, vcc_lo, s1
	s_delay_alu instid0(SALU_CYCLE_1)
	s_and_not1_b32 exec_lo, exec_lo, s1
	s_cbranch_execnz .LBB40_25
; %bb.26:
	s_or_b32 exec_lo, exec_lo, s1
	v_mov_b32_e32 v9, 0
	ds_load_b64 v[88:89], v9 offset:24
	s_wait_dscnt 0x0
	v_pk_mul_f32 v[90:91], v[86:87], v[88:89] op_sel:[1,1] op_sel_hi:[0,1]
	s_delay_alu instid0(VALU_DEP_1) | instskip(SKIP_1) | instid1(VALU_DEP_2)
	v_pk_fma_f32 v[92:93], v[86:87], v[88:89], v[90:91] op_sel_hi:[1,0,1]
	v_pk_fma_f32 v[86:87], v[86:87], v[88:89], v[90:91] neg_lo:[0,0,1] neg_hi:[0,0,1]
	v_mov_b32_e32 v87, v93
	scratch_store_b64 off, v[86:87], off offset:24
.LBB40_27:
	s_wait_xcnt 0x0
	s_or_b32 exec_lo, exec_lo, s0
	s_wait_storecnt 0x0
	s_barrier_signal -1
	s_barrier_wait -1
	scratch_load_b64 v[86:87], off, off offset:32
	s_mov_b32 s0, exec_lo
	s_wait_loadcnt 0x0
	ds_store_b64 v1, v[86:87]
	s_wait_dscnt 0x0
	s_barrier_signal -1
	s_barrier_wait -1
	v_cmpx_gt_u32_e32 4, v0
	s_cbranch_execz .LBB40_31
; %bb.28:
	v_dual_mov_b32 v86, 0 :: v_dual_add_nc_u32 v9, -1, v0
	v_add_nc_u32_e32 v11, 0x150, v84
	v_mov_b32_e32 v13, v84
	s_mov_b32 s1, 0
	s_delay_alu instid0(VALU_DEP_3)
	v_mov_b32_e32 v87, v86
.LBB40_29:                              ; =>This Inner Loop Header: Depth=1
	scratch_load_b64 v[88:89], v13, off
	ds_load_b64 v[90:91], v11
	s_wait_xcnt 0x0
	v_dual_add_nc_u32 v11, 8, v11 :: v_dual_add_nc_u32 v13, 8, v13
	s_wait_loadcnt_dscnt 0x0
	v_pk_mul_f32 v[92:93], v[90:91], v[88:89] op_sel:[1,1] op_sel_hi:[0,1]
	s_delay_alu instid0(VALU_DEP_1) | instskip(SKIP_2) | instid1(VALU_DEP_3)
	v_pk_fma_f32 v[94:95], v[90:91], v[88:89], v[92:93] op_sel_hi:[1,0,1]
	v_add_nc_u32_e32 v9, 1, v9
	v_pk_fma_f32 v[88:89], v[90:91], v[88:89], v[92:93] neg_lo:[0,0,1] neg_hi:[0,0,1]
	v_mov_b32_e32 v89, v95
	s_delay_alu instid0(VALU_DEP_3) | instskip(NEXT) | instid1(VALU_DEP_2)
	v_cmp_lt_u32_e32 vcc_lo, 2, v9
	v_pk_add_f32 v[86:87], v[86:87], v[88:89]
	s_or_b32 s1, vcc_lo, s1
	s_delay_alu instid0(SALU_CYCLE_1)
	s_and_not1_b32 exec_lo, exec_lo, s1
	s_cbranch_execnz .LBB40_29
; %bb.30:
	s_or_b32 exec_lo, exec_lo, s1
	v_mov_b32_e32 v9, 0
	ds_load_b64 v[88:89], v9 offset:32
	s_wait_dscnt 0x0
	v_pk_mul_f32 v[90:91], v[86:87], v[88:89] op_sel:[1,1] op_sel_hi:[0,1]
	s_delay_alu instid0(VALU_DEP_1) | instskip(SKIP_1) | instid1(VALU_DEP_2)
	v_pk_fma_f32 v[92:93], v[86:87], v[88:89], v[90:91] op_sel_hi:[1,0,1]
	v_pk_fma_f32 v[86:87], v[86:87], v[88:89], v[90:91] neg_lo:[0,0,1] neg_hi:[0,0,1]
	v_mov_b32_e32 v87, v93
	scratch_store_b64 off, v[86:87], off offset:32
.LBB40_31:
	s_wait_xcnt 0x0
	s_or_b32 exec_lo, exec_lo, s0
	s_wait_storecnt 0x0
	s_barrier_signal -1
	s_barrier_wait -1
	scratch_load_b64 v[86:87], off, off offset:40
	;; [unrolled: 52-line block ×19, first 2 shown]
	s_mov_b32 s0, exec_lo
	s_wait_loadcnt 0x0
	ds_store_b64 v1, v[86:87]
	s_wait_dscnt 0x0
	s_barrier_signal -1
	s_barrier_wait -1
	v_cmpx_gt_u32_e32 22, v0
	s_cbranch_execz .LBB40_103
; %bb.100:
	v_dual_mov_b32 v86, 0 :: v_dual_add_nc_u32 v9, -1, v0
	v_add_nc_u32_e32 v11, 0x150, v84
	v_mov_b32_e32 v13, v84
	s_mov_b32 s1, 0
	s_delay_alu instid0(VALU_DEP_3)
	v_mov_b32_e32 v87, v86
.LBB40_101:                             ; =>This Inner Loop Header: Depth=1
	scratch_load_b64 v[88:89], v13, off
	ds_load_b64 v[90:91], v11
	s_wait_xcnt 0x0
	v_dual_add_nc_u32 v11, 8, v11 :: v_dual_add_nc_u32 v13, 8, v13
	s_wait_loadcnt_dscnt 0x0
	v_pk_mul_f32 v[92:93], v[90:91], v[88:89] op_sel:[1,1] op_sel_hi:[0,1]
	s_delay_alu instid0(VALU_DEP_1) | instskip(SKIP_2) | instid1(VALU_DEP_3)
	v_pk_fma_f32 v[94:95], v[90:91], v[88:89], v[92:93] op_sel_hi:[1,0,1]
	v_add_nc_u32_e32 v9, 1, v9
	v_pk_fma_f32 v[88:89], v[90:91], v[88:89], v[92:93] neg_lo:[0,0,1] neg_hi:[0,0,1]
	v_mov_b32_e32 v89, v95
	s_delay_alu instid0(VALU_DEP_3) | instskip(NEXT) | instid1(VALU_DEP_2)
	v_cmp_lt_u32_e32 vcc_lo, 20, v9
	v_pk_add_f32 v[86:87], v[86:87], v[88:89]
	s_or_b32 s1, vcc_lo, s1
	s_delay_alu instid0(SALU_CYCLE_1)
	s_and_not1_b32 exec_lo, exec_lo, s1
	s_cbranch_execnz .LBB40_101
; %bb.102:
	s_or_b32 exec_lo, exec_lo, s1
	v_mov_b32_e32 v9, 0
	ds_load_b64 v[88:89], v9 offset:176
	s_wait_dscnt 0x0
	v_pk_mul_f32 v[90:91], v[86:87], v[88:89] op_sel:[1,1] op_sel_hi:[0,1]
	s_delay_alu instid0(VALU_DEP_1) | instskip(SKIP_1) | instid1(VALU_DEP_2)
	v_pk_fma_f32 v[92:93], v[86:87], v[88:89], v[90:91] op_sel_hi:[1,0,1]
	v_pk_fma_f32 v[86:87], v[86:87], v[88:89], v[90:91] neg_lo:[0,0,1] neg_hi:[0,0,1]
	v_mov_b32_e32 v87, v93
	scratch_store_b64 off, v[86:87], off offset:176
.LBB40_103:
	s_wait_xcnt 0x0
	s_or_b32 exec_lo, exec_lo, s0
	s_wait_storecnt 0x0
	s_barrier_signal -1
	s_barrier_wait -1
	scratch_load_b64 v[86:87], off, off offset:184
	s_mov_b32 s0, exec_lo
	s_wait_loadcnt 0x0
	ds_store_b64 v1, v[86:87]
	s_wait_dscnt 0x0
	s_barrier_signal -1
	s_barrier_wait -1
	v_cmpx_gt_u32_e32 23, v0
	s_cbranch_execz .LBB40_107
; %bb.104:
	v_dual_mov_b32 v86, 0 :: v_dual_add_nc_u32 v9, -1, v0
	v_add_nc_u32_e32 v11, 0x150, v84
	v_mov_b32_e32 v13, v84
	s_mov_b32 s1, 0
	s_delay_alu instid0(VALU_DEP_3)
	v_mov_b32_e32 v87, v86
.LBB40_105:                             ; =>This Inner Loop Header: Depth=1
	scratch_load_b64 v[88:89], v13, off
	ds_load_b64 v[90:91], v11
	s_wait_xcnt 0x0
	v_dual_add_nc_u32 v11, 8, v11 :: v_dual_add_nc_u32 v13, 8, v13
	s_wait_loadcnt_dscnt 0x0
	v_pk_mul_f32 v[92:93], v[90:91], v[88:89] op_sel:[1,1] op_sel_hi:[0,1]
	s_delay_alu instid0(VALU_DEP_1) | instskip(SKIP_2) | instid1(VALU_DEP_3)
	v_pk_fma_f32 v[94:95], v[90:91], v[88:89], v[92:93] op_sel_hi:[1,0,1]
	v_add_nc_u32_e32 v9, 1, v9
	v_pk_fma_f32 v[88:89], v[90:91], v[88:89], v[92:93] neg_lo:[0,0,1] neg_hi:[0,0,1]
	v_mov_b32_e32 v89, v95
	s_delay_alu instid0(VALU_DEP_3) | instskip(NEXT) | instid1(VALU_DEP_2)
	v_cmp_lt_u32_e32 vcc_lo, 21, v9
	v_pk_add_f32 v[86:87], v[86:87], v[88:89]
	s_or_b32 s1, vcc_lo, s1
	s_delay_alu instid0(SALU_CYCLE_1)
	s_and_not1_b32 exec_lo, exec_lo, s1
	s_cbranch_execnz .LBB40_105
; %bb.106:
	s_or_b32 exec_lo, exec_lo, s1
	v_mov_b32_e32 v9, 0
	ds_load_b64 v[88:89], v9 offset:184
	s_wait_dscnt 0x0
	v_pk_mul_f32 v[90:91], v[86:87], v[88:89] op_sel:[1,1] op_sel_hi:[0,1]
	s_delay_alu instid0(VALU_DEP_1) | instskip(SKIP_1) | instid1(VALU_DEP_2)
	v_pk_fma_f32 v[92:93], v[86:87], v[88:89], v[90:91] op_sel_hi:[1,0,1]
	v_pk_fma_f32 v[86:87], v[86:87], v[88:89], v[90:91] neg_lo:[0,0,1] neg_hi:[0,0,1]
	v_mov_b32_e32 v87, v93
	scratch_store_b64 off, v[86:87], off offset:184
.LBB40_107:
	s_wait_xcnt 0x0
	s_or_b32 exec_lo, exec_lo, s0
	s_wait_storecnt 0x0
	s_barrier_signal -1
	s_barrier_wait -1
	scratch_load_b64 v[86:87], off, off offset:192
	;; [unrolled: 52-line block ×18, first 2 shown]
	s_mov_b32 s0, exec_lo
	s_wait_loadcnt 0x0
	ds_store_b64 v1, v[86:87]
	s_wait_dscnt 0x0
	s_barrier_signal -1
	s_barrier_wait -1
	v_cmpx_ne_u32_e32 40, v0
	s_cbranch_execz .LBB40_175
; %bb.172:
	v_dual_mov_b32 v86, 0 :: v_dual_mov_b32 v9, v84
	s_mov_b32 s1, 0
	s_delay_alu instid0(VALU_DEP_1)
	v_mov_b32_e32 v87, v86
.LBB40_173:                             ; =>This Inner Loop Header: Depth=1
	scratch_load_b64 v[84:85], v9, off
	ds_load_b64 v[88:89], v1
	v_add_nc_u32_e32 v1, 8, v1
	s_wait_xcnt 0x0
	v_add_nc_u32_e32 v9, 8, v9
	s_wait_loadcnt_dscnt 0x0
	v_pk_mul_f32 v[90:91], v[88:89], v[84:85] op_sel:[1,1] op_sel_hi:[0,1]
	s_delay_alu instid0(VALU_DEP_1) | instskip(SKIP_2) | instid1(VALU_DEP_3)
	v_pk_fma_f32 v[92:93], v[88:89], v[84:85], v[90:91] op_sel_hi:[1,0,1]
	v_add_nc_u32_e32 v5, 1, v5
	v_pk_fma_f32 v[84:85], v[88:89], v[84:85], v[90:91] neg_lo:[0,0,1] neg_hi:[0,0,1]
	v_mov_b32_e32 v85, v93
	s_delay_alu instid0(VALU_DEP_3) | instskip(NEXT) | instid1(VALU_DEP_2)
	v_cmp_lt_u32_e32 vcc_lo, 38, v5
	v_pk_add_f32 v[86:87], v[86:87], v[84:85]
	s_or_b32 s1, vcc_lo, s1
	s_delay_alu instid0(SALU_CYCLE_1)
	s_and_not1_b32 exec_lo, exec_lo, s1
	s_cbranch_execnz .LBB40_173
; %bb.174:
	s_or_b32 exec_lo, exec_lo, s1
	v_mov_b32_e32 v1, 0
	ds_load_b64 v[84:85], v1 offset:320
	s_wait_dscnt 0x0
	v_pk_mul_f32 v[88:89], v[86:87], v[84:85] op_sel:[1,1] op_sel_hi:[0,1]
	s_delay_alu instid0(VALU_DEP_1) | instskip(SKIP_1) | instid1(VALU_DEP_2)
	v_pk_fma_f32 v[90:91], v[86:87], v[84:85], v[88:89] op_sel_hi:[1,0,1]
	v_pk_fma_f32 v[84:85], v[86:87], v[84:85], v[88:89] neg_lo:[0,0,1] neg_hi:[0,0,1]
	v_mov_b32_e32 v85, v91
	scratch_store_b64 off, v[84:85], off offset:320
.LBB40_175:
	s_wait_xcnt 0x0
	s_or_b32 exec_lo, exec_lo, s0
	s_mov_b32 s1, -1
	s_wait_storecnt 0x0
	s_barrier_signal -1
	s_barrier_wait -1
.LBB40_176:
	s_and_b32 vcc_lo, exec_lo, s1
	s_cbranch_vccz .LBB40_178
; %bb.177:
	v_mov_b32_e32 v1, 0
	s_lshl_b64 s[0:1], s[16:17], 2
	s_delay_alu instid0(SALU_CYCLE_1)
	s_add_nc_u64 s[0:1], s[6:7], s[0:1]
	global_load_b32 v1, v1, s[0:1]
	s_wait_loadcnt 0x0
	v_cmp_ne_u32_e32 vcc_lo, 0, v1
	s_cbranch_vccz .LBB40_179
.LBB40_178:
	s_sendmsg sendmsg(MSG_DEALLOC_VGPRS)
	s_endpgm
.LBB40_179:
	s_wait_xcnt 0x0
	v_lshl_add_u32 v1, v0, 3, 0x150
	s_mov_b32 s0, exec_lo
	v_cmpx_eq_u32_e32 40, v0
	s_cbranch_execz .LBB40_181
; %bb.180:
	scratch_load_b64 v[84:85], off, off offset:312
	v_mov_b64_e32 v[86:87], 0
	scratch_store_b64 off, v[86:87], off offset:312
	s_wait_loadcnt 0x0
	ds_store_b64 v1, v[84:85]
.LBB40_181:
	s_wait_xcnt 0x0
	s_or_b32 exec_lo, exec_lo, s0
	s_wait_storecnt_dscnt 0x0
	s_barrier_signal -1
	s_barrier_wait -1
	s_clause 0x1
	scratch_load_b64 v[84:85], off, off offset:320
	scratch_load_b64 v[86:87], off, off offset:312
	v_mov_b32_e32 v5, 0
	s_mov_b32 s0, exec_lo
	ds_load_b64 v[88:89], v5 offset:656
	s_wait_loadcnt_dscnt 0x100
	v_pk_mul_f32 v[90:91], v[88:89], v[84:85] op_sel:[1,1] op_sel_hi:[0,1]
	s_delay_alu instid0(VALU_DEP_1) | instskip(SKIP_1) | instid1(VALU_DEP_2)
	v_pk_fma_f32 v[92:93], v[88:89], v[84:85], v[90:91] op_sel_hi:[1,0,1]
	v_pk_fma_f32 v[84:85], v[88:89], v[84:85], v[90:91] neg_lo:[0,0,1] neg_hi:[0,0,1]
	v_mov_b32_e32 v85, v93
	s_delay_alu instid0(VALU_DEP_1) | instskip(SKIP_1) | instid1(VALU_DEP_1)
	v_pk_add_f32 v[84:85], v[84:85], 0 op_sel_hi:[1,0]
	s_wait_loadcnt 0x0
	v_pk_add_f32 v[84:85], v[86:87], v[84:85] neg_lo:[0,1] neg_hi:[0,1]
	scratch_store_b64 off, v[84:85], off offset:312
	s_wait_xcnt 0x0
	v_cmpx_lt_u32_e32 38, v0
	s_cbranch_execz .LBB40_183
; %bb.182:
	scratch_load_b64 v[84:85], off, off offset:304
	v_mov_b64_e32 v[86:87], 0
	scratch_store_b64 off, v[86:87], off offset:304
	s_wait_loadcnt 0x0
	ds_store_b64 v1, v[84:85]
.LBB40_183:
	s_wait_xcnt 0x0
	s_or_b32 exec_lo, exec_lo, s0
	s_wait_storecnt_dscnt 0x0
	s_barrier_signal -1
	s_barrier_wait -1
	s_clause 0x1
	scratch_load_b128 v[84:87], off, off offset:312
	scratch_load_b64 v[92:93], off, off offset:304
	ds_load_2addr_b64 v[88:91], v5 offset0:81 offset1:82
	s_mov_b32 s0, exec_lo
	s_wait_dscnt 0x0
	v_dual_mov_b32 v94, v91 :: v_dual_mov_b32 v95, v90
	s_wait_loadcnt 0x1
	v_pk_mul_f32 v[96:97], v[88:89], v[84:85] op_sel:[1,1] op_sel_hi:[0,1]
	s_delay_alu instid0(VALU_DEP_1) | instskip(SKIP_2) | instid1(VALU_DEP_3)
	v_pk_fma_f32 v[100:101], v[88:89], v[84:85], v[96:97] op_sel_hi:[1,0,1]
	v_mov_b32_e32 v98, v87
	v_pk_fma_f32 v[84:85], v[88:89], v[84:85], v[96:97] neg_lo:[0,0,1] neg_hi:[0,0,1]
	v_mov_b32_e32 v85, v101
	s_delay_alu instid0(VALU_DEP_3) | instskip(NEXT) | instid1(VALU_DEP_2)
	v_pk_mul_f32 v[94:95], v[94:95], v[98:99] op_sel_hi:[1,0]
	v_pk_add_f32 v[84:85], v[84:85], 0 op_sel_hi:[1,0]
	s_delay_alu instid0(VALU_DEP_2) | instskip(SKIP_1) | instid1(VALU_DEP_2)
	v_pk_fma_f32 v[88:89], v[90:91], v[86:87], v[94:95] op_sel_hi:[1,0,1]
	v_pk_fma_f32 v[86:87], v[90:91], v[86:87], v[94:95] neg_lo:[0,0,1] neg_hi:[0,0,1]
	v_mov_b32_e32 v87, v89
	s_delay_alu instid0(VALU_DEP_1) | instskip(SKIP_1) | instid1(VALU_DEP_1)
	v_pk_add_f32 v[84:85], v[84:85], v[86:87]
	s_wait_loadcnt 0x0
	v_pk_add_f32 v[84:85], v[92:93], v[84:85] neg_lo:[0,1] neg_hi:[0,1]
	scratch_store_b64 off, v[84:85], off offset:304
	s_wait_xcnt 0x0
	v_cmpx_lt_u32_e32 37, v0
	s_cbranch_execz .LBB40_185
; %bb.184:
	scratch_load_b64 v[84:85], off, off offset:296
	v_mov_b64_e32 v[86:87], 0
	scratch_store_b64 off, v[86:87], off offset:296
	s_wait_loadcnt 0x0
	ds_store_b64 v1, v[84:85]
.LBB40_185:
	s_wait_xcnt 0x0
	s_or_b32 exec_lo, exec_lo, s0
	s_wait_storecnt_dscnt 0x0
	s_barrier_signal -1
	s_barrier_wait -1
	s_clause 0x2
	scratch_load_b128 v[84:87], off, off offset:304
	scratch_load_b64 v[92:93], off, off offset:320
	scratch_load_b64 v[94:95], off, off offset:296
	v_mov_b32_e32 v5, 0
	ds_load_b128 v[88:91], v5 offset:640
	ds_load_b64 v[96:97], v5 offset:656
	s_mov_b32 s0, exec_lo
	s_wait_dscnt 0x1
	v_dual_mov_b32 v98, v91 :: v_dual_mov_b32 v99, v90
	s_wait_loadcnt 0x2
	v_mov_b32_e32 v102, v87
	v_pk_mul_f32 v[100:101], v[88:89], v[84:85] op_sel:[1,1] op_sel_hi:[0,1]
	s_delay_alu instid0(VALU_DEP_2) | instskip(NEXT) | instid1(VALU_DEP_2)
	v_pk_mul_f32 v[98:99], v[98:99], v[102:103] op_sel_hi:[1,0]
	v_pk_fma_f32 v[104:105], v[88:89], v[84:85], v[100:101] op_sel_hi:[1,0,1]
	v_pk_fma_f32 v[84:85], v[88:89], v[84:85], v[100:101] neg_lo:[0,0,1] neg_hi:[0,0,1]
	s_wait_loadcnt_dscnt 0x100
	v_pk_mul_f32 v[100:101], v[96:97], v[92:93] op_sel:[1,1] op_sel_hi:[0,1]
	v_pk_fma_f32 v[88:89], v[90:91], v[86:87], v[98:99] op_sel_hi:[1,0,1]
	v_mov_b32_e32 v85, v105
	v_pk_fma_f32 v[86:87], v[90:91], v[86:87], v[98:99] neg_lo:[0,0,1] neg_hi:[0,0,1]
	s_delay_alu instid0(VALU_DEP_4) | instskip(NEXT) | instid1(VALU_DEP_4)
	v_pk_fma_f32 v[90:91], v[96:97], v[92:93], v[100:101] neg_lo:[0,0,1] neg_hi:[0,0,1]
	v_mov_b32_e32 v87, v89
	s_delay_alu instid0(VALU_DEP_4) | instskip(SKIP_1) | instid1(VALU_DEP_2)
	v_pk_add_f32 v[84:85], v[84:85], 0 op_sel_hi:[1,0]
	v_pk_fma_f32 v[88:89], v[96:97], v[92:93], v[100:101] op_sel_hi:[1,0,1]
	v_pk_add_f32 v[84:85], v[84:85], v[86:87]
	s_delay_alu instid0(VALU_DEP_2) | instskip(NEXT) | instid1(VALU_DEP_1)
	v_mov_b32_e32 v91, v89
	v_pk_add_f32 v[84:85], v[84:85], v[90:91]
	s_wait_loadcnt 0x0
	s_delay_alu instid0(VALU_DEP_1)
	v_pk_add_f32 v[84:85], v[94:95], v[84:85] neg_lo:[0,1] neg_hi:[0,1]
	scratch_store_b64 off, v[84:85], off offset:296
	s_wait_xcnt 0x0
	v_cmpx_lt_u32_e32 36, v0
	s_cbranch_execz .LBB40_187
; %bb.186:
	scratch_load_b64 v[84:85], off, off offset:288
	v_mov_b64_e32 v[86:87], 0
	scratch_store_b64 off, v[86:87], off offset:288
	s_wait_loadcnt 0x0
	ds_store_b64 v1, v[84:85]
.LBB40_187:
	s_wait_xcnt 0x0
	s_or_b32 exec_lo, exec_lo, s0
	s_wait_storecnt_dscnt 0x0
	s_barrier_signal -1
	s_barrier_wait -1
	s_clause 0x2
	scratch_load_b128 v[84:87], off, off offset:296
	scratch_load_b128 v[88:91], off, off offset:312
	scratch_load_b64 v[100:101], off, off offset:288
	ds_load_2addr_b64 v[92:95], v5 offset0:79 offset1:80
	ds_load_2addr_b64 v[96:99], v5 offset0:81 offset1:82
	s_mov_b32 s0, exec_lo
	s_wait_dscnt 0x1
	v_dual_mov_b32 v102, v95 :: v_dual_mov_b32 v103, v94
	s_wait_loadcnt_dscnt 0x200
	v_dual_mov_b32 v108, v99 :: v_dual_mov_b32 v106, v87
	v_pk_mul_f32 v[104:105], v[92:93], v[84:85] op_sel:[1,1] op_sel_hi:[0,1]
	s_delay_alu instid0(VALU_DEP_2) | instskip(NEXT) | instid1(VALU_DEP_2)
	v_pk_mul_f32 v[102:103], v[102:103], v[106:107] op_sel_hi:[1,0]
	v_pk_fma_f32 v[110:111], v[92:93], v[84:85], v[104:105] op_sel_hi:[1,0,1]
	v_pk_fma_f32 v[84:85], v[92:93], v[84:85], v[104:105] neg_lo:[0,0,1] neg_hi:[0,0,1]
	v_mov_b32_e32 v109, v98
	s_wait_loadcnt 0x1
	v_pk_mul_f32 v[106:107], v[96:97], v[88:89] op_sel:[1,1] op_sel_hi:[0,1]
	v_pk_fma_f32 v[92:93], v[94:95], v[86:87], v[102:103] op_sel_hi:[1,0,1]
	v_dual_mov_b32 v85, v111 :: v_dual_mov_b32 v92, v91
	v_pk_fma_f32 v[86:87], v[94:95], v[86:87], v[102:103] neg_lo:[0,0,1] neg_hi:[0,0,1]
	s_delay_alu instid0(VALU_DEP_4) | instskip(NEXT) | instid1(VALU_DEP_4)
	v_pk_fma_f32 v[104:105], v[96:97], v[88:89], v[106:107] op_sel_hi:[1,0,1]
	v_mov_b32_e32 v87, v93
	s_delay_alu instid0(VALU_DEP_4) | instskip(SKIP_2) | instid1(VALU_DEP_3)
	v_pk_add_f32 v[84:85], v[84:85], 0 op_sel_hi:[1,0]
	v_pk_mul_f32 v[92:93], v[108:109], v[92:93] op_sel_hi:[1,0]
	v_pk_fma_f32 v[88:89], v[96:97], v[88:89], v[106:107] neg_lo:[0,0,1] neg_hi:[0,0,1]
	v_pk_add_f32 v[84:85], v[84:85], v[86:87]
	s_delay_alu instid0(VALU_DEP_3) | instskip(SKIP_2) | instid1(VALU_DEP_3)
	v_pk_fma_f32 v[86:87], v[98:99], v[90:91], v[92:93] op_sel_hi:[1,0,1]
	v_mov_b32_e32 v89, v105
	v_pk_fma_f32 v[90:91], v[98:99], v[90:91], v[92:93] neg_lo:[0,0,1] neg_hi:[0,0,1]
	v_mov_b32_e32 v91, v87
	s_delay_alu instid0(VALU_DEP_3) | instskip(NEXT) | instid1(VALU_DEP_1)
	v_pk_add_f32 v[84:85], v[84:85], v[88:89]
	v_pk_add_f32 v[84:85], v[84:85], v[90:91]
	s_wait_loadcnt 0x0
	s_delay_alu instid0(VALU_DEP_1)
	v_pk_add_f32 v[84:85], v[100:101], v[84:85] neg_lo:[0,1] neg_hi:[0,1]
	scratch_store_b64 off, v[84:85], off offset:288
	s_wait_xcnt 0x0
	v_cmpx_lt_u32_e32 35, v0
	s_cbranch_execz .LBB40_189
; %bb.188:
	scratch_load_b64 v[84:85], off, off offset:280
	v_mov_b64_e32 v[86:87], 0
	scratch_store_b64 off, v[86:87], off offset:280
	s_wait_loadcnt 0x0
	ds_store_b64 v1, v[84:85]
.LBB40_189:
	s_wait_xcnt 0x0
	s_or_b32 exec_lo, exec_lo, s0
	s_wait_storecnt_dscnt 0x0
	s_barrier_signal -1
	s_barrier_wait -1
	s_clause 0x3
	scratch_load_b128 v[84:87], off, off offset:288
	scratch_load_b128 v[88:91], off, off offset:304
	scratch_load_b64 v[100:101], off, off offset:320
	scratch_load_b64 v[102:103], off, off offset:280
	v_mov_b32_e32 v5, 0
	ds_load_b128 v[92:95], v5 offset:624
	ds_load_b128 v[96:99], v5 offset:640
	s_mov_b32 s0, exec_lo
	s_wait_dscnt 0x1
	v_dual_mov_b32 v104, v95 :: v_dual_mov_b32 v105, v94
	ds_load_b64 v[110:111], v5 offset:656
	s_wait_dscnt 0x1
	v_dual_mov_b32 v112, v99 :: v_dual_mov_b32 v113, v98
	s_wait_loadcnt 0x3
	v_pk_mul_f32 v[106:107], v[92:93], v[84:85] op_sel:[1,1] op_sel_hi:[0,1]
	v_mov_b32_e32 v108, v87
	s_delay_alu instid0(VALU_DEP_2) | instskip(NEXT) | instid1(VALU_DEP_2)
	v_pk_fma_f32 v[114:115], v[92:93], v[84:85], v[106:107] op_sel_hi:[1,0,1]
	v_pk_mul_f32 v[104:105], v[104:105], v[108:109] op_sel_hi:[1,0]
	v_pk_fma_f32 v[84:85], v[92:93], v[84:85], v[106:107] neg_lo:[0,0,1] neg_hi:[0,0,1]
	s_wait_loadcnt 0x2
	v_pk_mul_f32 v[108:109], v[96:97], v[88:89] op_sel:[1,1] op_sel_hi:[0,1]
	v_dual_mov_b32 v114, v91 :: v_dual_mov_b32 v85, v115
	v_pk_fma_f32 v[92:93], v[94:95], v[86:87], v[104:105] op_sel_hi:[1,0,1]
	v_pk_fma_f32 v[86:87], v[94:95], v[86:87], v[104:105] neg_lo:[0,0,1] neg_hi:[0,0,1]
	s_delay_alu instid0(VALU_DEP_4) | instskip(NEXT) | instid1(VALU_DEP_4)
	v_pk_fma_f32 v[106:107], v[96:97], v[88:89], v[108:109] op_sel_hi:[1,0,1]
	v_pk_mul_f32 v[112:113], v[112:113], v[114:115] op_sel_hi:[1,0]
	v_pk_add_f32 v[84:85], v[84:85], 0 op_sel_hi:[1,0]
	v_mov_b32_e32 v87, v93
	v_pk_fma_f32 v[88:89], v[96:97], v[88:89], v[108:109] neg_lo:[0,0,1] neg_hi:[0,0,1]
	v_mov_b32_e32 v89, v107
	v_pk_fma_f32 v[92:93], v[98:99], v[90:91], v[112:113] op_sel_hi:[1,0,1]
	v_pk_fma_f32 v[90:91], v[98:99], v[90:91], v[112:113] neg_lo:[0,0,1] neg_hi:[0,0,1]
	v_pk_add_f32 v[84:85], v[84:85], v[86:87]
	s_wait_loadcnt_dscnt 0x100
	v_pk_mul_f32 v[86:87], v[110:111], v[100:101] op_sel:[1,1] op_sel_hi:[0,1]
	s_delay_alu instid0(VALU_DEP_2) | instskip(NEXT) | instid1(VALU_DEP_2)
	v_pk_add_f32 v[84:85], v[84:85], v[88:89]
	v_pk_fma_f32 v[88:89], v[110:111], v[100:101], v[86:87] op_sel_hi:[1,0,1]
	v_mov_b32_e32 v91, v93
	v_pk_fma_f32 v[86:87], v[110:111], v[100:101], v[86:87] neg_lo:[0,0,1] neg_hi:[0,0,1]
	s_delay_alu instid0(VALU_DEP_3) | instskip(NEXT) | instid1(VALU_DEP_3)
	v_mov_b32_e32 v87, v89
	v_pk_add_f32 v[84:85], v[84:85], v[90:91]
	s_delay_alu instid0(VALU_DEP_1) | instskip(SKIP_1) | instid1(VALU_DEP_1)
	v_pk_add_f32 v[84:85], v[84:85], v[86:87]
	s_wait_loadcnt 0x0
	v_pk_add_f32 v[84:85], v[102:103], v[84:85] neg_lo:[0,1] neg_hi:[0,1]
	scratch_store_b64 off, v[84:85], off offset:280
	s_wait_xcnt 0x0
	v_cmpx_lt_u32_e32 34, v0
	s_cbranch_execz .LBB40_191
; %bb.190:
	scratch_load_b64 v[84:85], off, off offset:272
	v_mov_b64_e32 v[86:87], 0
	scratch_store_b64 off, v[86:87], off offset:272
	s_wait_loadcnt 0x0
	ds_store_b64 v1, v[84:85]
.LBB40_191:
	s_wait_xcnt 0x0
	s_or_b32 exec_lo, exec_lo, s0
	s_wait_storecnt_dscnt 0x0
	s_barrier_signal -1
	s_barrier_wait -1
	s_clause 0x3
	scratch_load_b128 v[84:87], off, off offset:280
	scratch_load_b128 v[88:91], off, off offset:296
	;; [unrolled: 1-line block ×3, first 2 shown]
	scratch_load_b64 v[108:109], off, off offset:272
	ds_load_2addr_b64 v[96:99], v5 offset0:77 offset1:78
	ds_load_2addr_b64 v[100:103], v5 offset0:79 offset1:80
	;; [unrolled: 1-line block ×3, first 2 shown]
	s_mov_b32 s0, exec_lo
	s_wait_dscnt 0x2
	v_dual_mov_b32 v110, v99 :: v_dual_mov_b32 v111, v98
	s_wait_dscnt 0x1
	v_dual_mov_b32 v112, v103 :: v_dual_mov_b32 v113, v102
	;; [unrolled: 2-line block ×3, first 2 shown]
	s_wait_loadcnt 0x3
	v_pk_mul_f32 v[114:115], v[96:97], v[84:85] op_sel:[1,1] op_sel_hi:[0,1]
	v_mov_b32_e32 v116, v87
	s_delay_alu instid0(VALU_DEP_2) | instskip(NEXT) | instid1(VALU_DEP_2)
	v_pk_fma_f32 v[120:121], v[96:97], v[84:85], v[114:115] op_sel_hi:[1,0,1]
	v_pk_mul_f32 v[110:111], v[110:111], v[116:117] op_sel_hi:[1,0]
	v_pk_fma_f32 v[84:85], v[96:97], v[84:85], v[114:115] neg_lo:[0,0,1] neg_hi:[0,0,1]
	s_wait_loadcnt 0x2
	v_pk_mul_f32 v[116:117], v[100:101], v[88:89] op_sel:[1,1] op_sel_hi:[0,1]
	v_mov_b32_e32 v120, v91
	v_pk_fma_f32 v[96:97], v[98:99], v[86:87], v[110:111] op_sel_hi:[1,0,1]
	v_mov_b32_e32 v85, v121
	v_pk_fma_f32 v[86:87], v[98:99], v[86:87], v[110:111] neg_lo:[0,0,1] neg_hi:[0,0,1]
	v_pk_fma_f32 v[114:115], v[100:101], v[88:89], v[116:117] op_sel_hi:[1,0,1]
	v_pk_mul_f32 v[112:113], v[112:113], v[120:121] op_sel_hi:[1,0]
	v_mov_b32_e32 v87, v97
	v_pk_add_f32 v[84:85], v[84:85], 0 op_sel_hi:[1,0]
	v_pk_fma_f32 v[88:89], v[100:101], v[88:89], v[116:117] neg_lo:[0,0,1] neg_hi:[0,0,1]
	s_wait_loadcnt 0x1
	v_pk_mul_f32 v[96:97], v[104:105], v[92:93] op_sel:[1,1] op_sel_hi:[0,1]
	v_mov_b32_e32 v89, v115
	v_pk_fma_f32 v[98:99], v[102:103], v[90:91], v[112:113] op_sel_hi:[1,0,1]
	v_pk_add_f32 v[84:85], v[84:85], v[86:87]
	v_mov_b32_e32 v86, v95
	v_pk_fma_f32 v[90:91], v[102:103], v[90:91], v[112:113] neg_lo:[0,0,1] neg_hi:[0,0,1]
	v_pk_fma_f32 v[100:101], v[104:105], v[92:93], v[96:97] op_sel_hi:[1,0,1]
	v_mov_b32_e32 v91, v99
	v_pk_add_f32 v[84:85], v[84:85], v[88:89]
	v_pk_mul_f32 v[86:87], v[118:119], v[86:87] op_sel_hi:[1,0]
	v_pk_fma_f32 v[88:89], v[104:105], v[92:93], v[96:97] neg_lo:[0,0,1] neg_hi:[0,0,1]
	v_mov_b32_e32 v89, v101
	s_delay_alu instid0(VALU_DEP_4) | instskip(NEXT) | instid1(VALU_DEP_4)
	v_pk_add_f32 v[84:85], v[84:85], v[90:91]
	v_pk_fma_f32 v[90:91], v[106:107], v[94:95], v[86:87] op_sel_hi:[1,0,1]
	v_pk_fma_f32 v[86:87], v[106:107], v[94:95], v[86:87] neg_lo:[0,0,1] neg_hi:[0,0,1]
	s_delay_alu instid0(VALU_DEP_3) | instskip(NEXT) | instid1(VALU_DEP_3)
	v_pk_add_f32 v[84:85], v[84:85], v[88:89]
	v_mov_b32_e32 v87, v91
	s_delay_alu instid0(VALU_DEP_1) | instskip(SKIP_1) | instid1(VALU_DEP_1)
	v_pk_add_f32 v[84:85], v[84:85], v[86:87]
	s_wait_loadcnt 0x0
	v_pk_add_f32 v[84:85], v[108:109], v[84:85] neg_lo:[0,1] neg_hi:[0,1]
	scratch_store_b64 off, v[84:85], off offset:272
	s_wait_xcnt 0x0
	v_cmpx_lt_u32_e32 33, v0
	s_cbranch_execz .LBB40_193
; %bb.192:
	scratch_load_b64 v[84:85], off, off offset:264
	v_mov_b64_e32 v[86:87], 0
	scratch_store_b64 off, v[86:87], off offset:264
	s_wait_loadcnt 0x0
	ds_store_b64 v1, v[84:85]
.LBB40_193:
	s_wait_xcnt 0x0
	s_or_b32 exec_lo, exec_lo, s0
	s_wait_storecnt_dscnt 0x0
	s_barrier_signal -1
	s_barrier_wait -1
	s_clause 0x4
	scratch_load_b128 v[84:87], off, off offset:272
	scratch_load_b128 v[88:91], off, off offset:288
	;; [unrolled: 1-line block ×3, first 2 shown]
	scratch_load_b64 v[108:109], off, off offset:320
	scratch_load_b64 v[110:111], off, off offset:264
	v_mov_b32_e32 v5, 0
	ds_load_b128 v[96:99], v5 offset:608
	ds_load_b128 v[100:103], v5 offset:624
	;; [unrolled: 1-line block ×3, first 2 shown]
	ds_load_b64 v[112:113], v5 offset:656
	s_mov_b32 s0, exec_lo
	s_wait_dscnt 0x3
	v_dual_mov_b32 v114, v99 :: v_dual_mov_b32 v115, v98
	s_wait_dscnt 0x2
	v_dual_mov_b32 v116, v103 :: v_dual_mov_b32 v117, v102
	;; [unrolled: 2-line block ×3, first 2 shown]
	s_wait_loadcnt 0x4
	v_pk_mul_f32 v[118:119], v[96:97], v[84:85] op_sel:[1,1] op_sel_hi:[0,1]
	v_mov_b32_e32 v120, v87
	s_wait_loadcnt 0x3
	v_pk_mul_f32 v[124:125], v[100:101], v[88:89] op_sel:[1,1] op_sel_hi:[0,1]
	s_wait_loadcnt 0x2
	v_pk_mul_f32 v[128:129], v[104:105], v[92:93] op_sel:[1,1] op_sel_hi:[0,1]
	v_pk_fma_f32 v[126:127], v[96:97], v[84:85], v[118:119] op_sel_hi:[1,0,1]
	v_pk_mul_f32 v[114:115], v[114:115], v[120:121] op_sel_hi:[1,0]
	v_pk_fma_f32 v[84:85], v[96:97], v[84:85], v[118:119] neg_lo:[0,0,1] neg_hi:[0,0,1]
	v_mov_b32_e32 v120, v91
	v_pk_fma_f32 v[118:119], v[100:101], v[88:89], v[124:125] op_sel_hi:[1,0,1]
	v_mov_b32_e32 v85, v127
	v_pk_fma_f32 v[96:97], v[98:99], v[86:87], v[114:115] op_sel_hi:[1,0,1]
	v_pk_fma_f32 v[86:87], v[98:99], v[86:87], v[114:115] neg_lo:[0,0,1] neg_hi:[0,0,1]
	v_pk_mul_f32 v[116:117], v[116:117], v[120:121] op_sel_hi:[1,0]
	v_pk_fma_f32 v[88:89], v[100:101], v[88:89], v[124:125] neg_lo:[0,0,1] neg_hi:[0,0,1]
	v_pk_add_f32 v[84:85], v[84:85], 0 op_sel_hi:[1,0]
	v_dual_mov_b32 v87, v97 :: v_dual_mov_b32 v96, v95
	s_delay_alu instid0(VALU_DEP_4) | instskip(SKIP_2) | instid1(VALU_DEP_4)
	v_pk_fma_f32 v[98:99], v[102:103], v[90:91], v[116:117] op_sel_hi:[1,0,1]
	v_mov_b32_e32 v89, v119
	v_pk_fma_f32 v[90:91], v[102:103], v[90:91], v[116:117] neg_lo:[0,0,1] neg_hi:[0,0,1]
	v_pk_add_f32 v[84:85], v[84:85], v[86:87]
	v_pk_fma_f32 v[86:87], v[104:105], v[92:93], v[128:129] op_sel_hi:[1,0,1]
	v_pk_mul_f32 v[96:97], v[122:123], v[96:97] op_sel_hi:[1,0]
	v_mov_b32_e32 v91, v99
	s_delay_alu instid0(VALU_DEP_4)
	v_pk_add_f32 v[84:85], v[84:85], v[88:89]
	v_pk_fma_f32 v[88:89], v[104:105], v[92:93], v[128:129] neg_lo:[0,0,1] neg_hi:[0,0,1]
	v_mov_b32_e32 v89, v87
	v_pk_fma_f32 v[86:87], v[106:107], v[94:95], v[96:97] op_sel_hi:[1,0,1]
	v_pk_fma_f32 v[92:93], v[106:107], v[94:95], v[96:97] neg_lo:[0,0,1] neg_hi:[0,0,1]
	v_pk_add_f32 v[84:85], v[84:85], v[90:91]
	s_wait_loadcnt_dscnt 0x100
	v_pk_mul_f32 v[90:91], v[112:113], v[108:109] op_sel:[1,1] op_sel_hi:[0,1]
	v_mov_b32_e32 v93, v87
	s_delay_alu instid0(VALU_DEP_3) | instskip(NEXT) | instid1(VALU_DEP_3)
	v_pk_add_f32 v[84:85], v[84:85], v[88:89]
	v_pk_fma_f32 v[86:87], v[112:113], v[108:109], v[90:91] op_sel_hi:[1,0,1]
	v_pk_fma_f32 v[88:89], v[112:113], v[108:109], v[90:91] neg_lo:[0,0,1] neg_hi:[0,0,1]
	s_delay_alu instid0(VALU_DEP_3) | instskip(NEXT) | instid1(VALU_DEP_3)
	v_pk_add_f32 v[84:85], v[84:85], v[92:93]
	v_mov_b32_e32 v89, v87
	s_delay_alu instid0(VALU_DEP_1) | instskip(SKIP_1) | instid1(VALU_DEP_1)
	v_pk_add_f32 v[84:85], v[84:85], v[88:89]
	s_wait_loadcnt 0x0
	v_pk_add_f32 v[84:85], v[110:111], v[84:85] neg_lo:[0,1] neg_hi:[0,1]
	scratch_store_b64 off, v[84:85], off offset:264
	s_wait_xcnt 0x0
	v_cmpx_lt_u32_e32 32, v0
	s_cbranch_execz .LBB40_195
; %bb.194:
	scratch_load_b64 v[84:85], off, off offset:256
	v_mov_b64_e32 v[86:87], 0
	scratch_store_b64 off, v[86:87], off offset:256
	s_wait_loadcnt 0x0
	ds_store_b64 v1, v[84:85]
.LBB40_195:
	s_wait_xcnt 0x0
	s_or_b32 exec_lo, exec_lo, s0
	s_wait_storecnt_dscnt 0x0
	s_barrier_signal -1
	s_barrier_wait -1
	s_clause 0x4
	scratch_load_b128 v[84:87], off, off offset:264
	scratch_load_b128 v[88:91], off, off offset:280
	;; [unrolled: 1-line block ×4, first 2 shown]
	scratch_load_b64 v[116:117], off, off offset:256
	ds_load_2addr_b64 v[100:103], v5 offset0:75 offset1:76
	ds_load_2addr_b64 v[104:107], v5 offset0:77 offset1:78
	;; [unrolled: 1-line block ×4, first 2 shown]
	s_mov_b32 s0, exec_lo
	s_wait_dscnt 0x3
	v_dual_mov_b32 v118, v103 :: v_dual_mov_b32 v119, v102
	s_wait_dscnt 0x2
	v_dual_mov_b32 v120, v107 :: v_dual_mov_b32 v121, v106
	;; [unrolled: 2-line block ×3, first 2 shown]
	v_dual_mov_b32 v123, v110 :: v_dual_mov_b32 v128, v115
	s_wait_loadcnt 0x4
	v_mov_b32_e32 v126, v87
	v_pk_mul_f32 v[124:125], v[100:101], v[84:85] op_sel:[1,1] op_sel_hi:[0,1]
	s_wait_loadcnt 0x3
	v_pk_mul_f32 v[130:131], v[104:105], v[88:89] op_sel:[1,1] op_sel_hi:[0,1]
	s_wait_loadcnt 0x2
	v_pk_mul_f32 v[134:135], v[108:109], v[92:93] op_sel:[1,1] op_sel_hi:[0,1]
	v_pk_mul_f32 v[118:119], v[118:119], v[126:127] op_sel_hi:[1,0]
	v_pk_fma_f32 v[132:133], v[100:101], v[84:85], v[124:125] op_sel_hi:[1,0,1]
	v_pk_fma_f32 v[84:85], v[100:101], v[84:85], v[124:125] neg_lo:[0,0,1] neg_hi:[0,0,1]
	v_mov_b32_e32 v126, v91
	v_pk_fma_f32 v[124:125], v[104:105], v[88:89], v[130:131] op_sel_hi:[1,0,1]
	v_pk_fma_f32 v[100:101], v[102:103], v[86:87], v[118:119] op_sel_hi:[1,0,1]
	v_mov_b32_e32 v85, v133
	v_pk_fma_f32 v[86:87], v[102:103], v[86:87], v[118:119] neg_lo:[0,0,1] neg_hi:[0,0,1]
	v_pk_mul_f32 v[120:121], v[120:121], v[126:127] op_sel_hi:[1,0]
	s_delay_alu instid0(VALU_DEP_4) | instskip(NEXT) | instid1(VALU_DEP_4)
	v_dual_mov_b32 v100, v95 :: v_dual_mov_b32 v87, v101
	v_pk_add_f32 v[84:85], v[84:85], 0 op_sel_hi:[1,0]
	v_pk_fma_f32 v[88:89], v[104:105], v[88:89], v[130:131] neg_lo:[0,0,1] neg_hi:[0,0,1]
	v_mov_b32_e32 v89, v125
	v_pk_fma_f32 v[102:103], v[106:107], v[90:91], v[120:121] op_sel_hi:[1,0,1]
	v_pk_mul_f32 v[100:101], v[122:123], v[100:101] op_sel_hi:[1,0]
	v_pk_add_f32 v[84:85], v[84:85], v[86:87]
	v_pk_fma_f32 v[86:87], v[108:109], v[92:93], v[134:135] op_sel_hi:[1,0,1]
	v_pk_fma_f32 v[90:91], v[106:107], v[90:91], v[120:121] neg_lo:[0,0,1] neg_hi:[0,0,1]
	v_mov_b32_e32 v91, v103
	v_pk_fma_f32 v[92:93], v[108:109], v[92:93], v[134:135] neg_lo:[0,0,1] neg_hi:[0,0,1]
	v_pk_add_f32 v[84:85], v[84:85], v[88:89]
	v_mov_b32_e32 v93, v87
	v_pk_fma_f32 v[86:87], v[110:111], v[94:95], v[100:101] op_sel_hi:[1,0,1]
	s_wait_loadcnt 0x1
	v_pk_mul_f32 v[88:89], v[112:113], v[96:97] op_sel:[1,1] op_sel_hi:[0,1]
	v_mov_b32_e32 v86, v99
	v_pk_add_f32 v[84:85], v[84:85], v[90:91]
	v_pk_fma_f32 v[94:95], v[110:111], v[94:95], v[100:101] neg_lo:[0,0,1] neg_hi:[0,0,1]
	v_mov_b32_e32 v95, v87
	v_pk_fma_f32 v[90:91], v[112:113], v[96:97], v[88:89] op_sel_hi:[1,0,1]
	v_pk_mul_f32 v[86:87], v[128:129], v[86:87] op_sel_hi:[1,0]
	v_pk_add_f32 v[84:85], v[84:85], v[92:93]
	v_pk_fma_f32 v[88:89], v[112:113], v[96:97], v[88:89] neg_lo:[0,0,1] neg_hi:[0,0,1]
	s_delay_alu instid0(VALU_DEP_4) | instskip(NEXT) | instid1(VALU_DEP_4)
	v_mov_b32_e32 v89, v91
	v_pk_fma_f32 v[90:91], v[114:115], v[98:99], v[86:87] op_sel_hi:[1,0,1]
	s_delay_alu instid0(VALU_DEP_4) | instskip(SKIP_1) | instid1(VALU_DEP_3)
	v_pk_add_f32 v[84:85], v[84:85], v[94:95]
	v_pk_fma_f32 v[86:87], v[114:115], v[98:99], v[86:87] neg_lo:[0,0,1] neg_hi:[0,0,1]
	v_mov_b32_e32 v87, v91
	s_delay_alu instid0(VALU_DEP_3) | instskip(NEXT) | instid1(VALU_DEP_1)
	v_pk_add_f32 v[84:85], v[84:85], v[88:89]
	v_pk_add_f32 v[84:85], v[84:85], v[86:87]
	s_wait_loadcnt 0x0
	s_delay_alu instid0(VALU_DEP_1)
	v_pk_add_f32 v[84:85], v[116:117], v[84:85] neg_lo:[0,1] neg_hi:[0,1]
	scratch_store_b64 off, v[84:85], off offset:256
	s_wait_xcnt 0x0
	v_cmpx_lt_u32_e32 31, v0
	s_cbranch_execz .LBB40_197
; %bb.196:
	scratch_load_b64 v[84:85], off, off offset:248
	v_mov_b64_e32 v[86:87], 0
	scratch_store_b64 off, v[86:87], off offset:248
	s_wait_loadcnt 0x0
	ds_store_b64 v1, v[84:85]
.LBB40_197:
	s_wait_xcnt 0x0
	s_or_b32 exec_lo, exec_lo, s0
	s_wait_storecnt_dscnt 0x0
	s_barrier_signal -1
	s_barrier_wait -1
	s_clause 0x5
	scratch_load_b128 v[84:87], off, off offset:256
	scratch_load_b128 v[88:91], off, off offset:272
	;; [unrolled: 1-line block ×4, first 2 shown]
	scratch_load_b64 v[116:117], off, off offset:320
	scratch_load_b64 v[118:119], off, off offset:248
	v_mov_b32_e32 v5, 0
	ds_load_b128 v[100:103], v5 offset:592
	ds_load_b128 v[104:107], v5 offset:608
	ds_load_b128 v[108:111], v5 offset:624
	ds_load_b128 v[112:115], v5 offset:640
	ds_load_b64 v[120:121], v5 offset:656
	s_mov_b32 s0, exec_lo
	s_wait_dscnt 0x4
	v_dual_mov_b32 v122, v103 :: v_dual_mov_b32 v123, v102
	s_wait_dscnt 0x1
	v_dual_mov_b32 v124, v107 :: v_dual_mov_b32 v129, v114
	v_dual_mov_b32 v125, v106 :: v_dual_mov_b32 v126, v111
	;; [unrolled: 1-line block ×3, first 2 shown]
	s_wait_loadcnt 0x5
	v_dual_mov_b32 v130, v87 :: v_dual_mul_f32 v131, v100, v85
	v_mul_f32_e32 v9, v101, v85
	s_wait_loadcnt 0x4
	v_pk_mul_f32 v[132:133], v[104:105], v[88:89] op_sel:[1,1] op_sel_hi:[0,1]
	v_mov_b32_e32 v134, v91
	s_wait_loadcnt 0x3
	v_pk_mul_f32 v[136:137], v[108:109], v[92:93] op_sel:[1,1] op_sel_hi:[0,1]
	v_pk_mul_f32 v[122:123], v[122:123], v[130:131] op_sel_hi:[1,0]
	v_dual_fmac_f32 v131, v101, v84 :: v_dual_fma_f32 v130, v100, v84, -v9
	v_mov_b32_e32 v84, v95
	v_pk_fma_f32 v[138:139], v[104:105], v[88:89], v[132:133] op_sel_hi:[1,0,1]
	s_delay_alu instid0(VALU_DEP_4)
	v_pk_fma_f32 v[100:101], v[102:103], v[86:87], v[122:123] op_sel_hi:[1,0,1]
	v_pk_fma_f32 v[86:87], v[102:103], v[86:87], v[122:123] neg_lo:[0,0,1] neg_hi:[0,0,1]
	v_pk_mul_f32 v[124:125], v[124:125], v[134:135] op_sel_hi:[1,0]
	v_pk_add_f32 v[130:131], v[130:131], 0 op_sel_hi:[1,0]
	v_pk_fma_f32 v[88:89], v[104:105], v[88:89], v[132:133] neg_lo:[0,0,1] neg_hi:[0,0,1]
	v_dual_mov_b32 v87, v101 :: v_dual_mov_b32 v89, v139
	s_delay_alu instid0(VALU_DEP_4) | instskip(SKIP_2) | instid1(VALU_DEP_4)
	v_pk_fma_f32 v[102:103], v[106:107], v[90:91], v[124:125] op_sel_hi:[1,0,1]
	v_pk_fma_f32 v[90:91], v[106:107], v[90:91], v[124:125] neg_lo:[0,0,1] neg_hi:[0,0,1]
	v_pk_fma_f32 v[104:105], v[108:109], v[92:93], v[136:137] op_sel_hi:[1,0,1]
	v_pk_add_f32 v[86:87], v[130:131], v[86:87]
	v_pk_mul_f32 v[84:85], v[126:127], v[84:85] op_sel_hi:[1,0]
	v_mov_b32_e32 v91, v103
	v_pk_fma_f32 v[92:93], v[108:109], v[92:93], v[136:137] neg_lo:[0,0,1] neg_hi:[0,0,1]
	s_wait_loadcnt 0x2
	v_pk_mul_f32 v[100:101], v[112:113], v[96:97] op_sel:[1,1] op_sel_hi:[0,1]
	v_pk_add_f32 v[86:87], v[86:87], v[88:89]
	v_mov_b32_e32 v88, v99
	v_pk_fma_f32 v[102:103], v[110:111], v[94:95], v[84:85] op_sel_hi:[1,0,1]
	v_mov_b32_e32 v93, v105
	v_pk_fma_f32 v[84:85], v[110:111], v[94:95], v[84:85] neg_lo:[0,0,1] neg_hi:[0,0,1]
	v_pk_add_f32 v[86:87], v[86:87], v[90:91]
	v_pk_fma_f32 v[90:91], v[112:113], v[96:97], v[100:101] op_sel_hi:[1,0,1]
	v_pk_mul_f32 v[88:89], v[128:129], v[88:89] op_sel_hi:[1,0]
	v_mov_b32_e32 v85, v103
	s_delay_alu instid0(VALU_DEP_4)
	v_pk_add_f32 v[86:87], v[86:87], v[92:93]
	v_pk_fma_f32 v[92:93], v[112:113], v[96:97], v[100:101] neg_lo:[0,0,1] neg_hi:[0,0,1]
	v_mov_b32_e32 v93, v91
	v_pk_fma_f32 v[90:91], v[114:115], v[98:99], v[88:89] op_sel_hi:[1,0,1]
	v_pk_fma_f32 v[88:89], v[114:115], v[98:99], v[88:89] neg_lo:[0,0,1] neg_hi:[0,0,1]
	v_pk_add_f32 v[84:85], v[86:87], v[84:85]
	s_wait_loadcnt_dscnt 0x100
	v_pk_mul_f32 v[86:87], v[120:121], v[116:117] op_sel:[1,1] op_sel_hi:[0,1]
	v_mov_b32_e32 v89, v91
	s_delay_alu instid0(VALU_DEP_3) | instskip(NEXT) | instid1(VALU_DEP_3)
	v_pk_add_f32 v[84:85], v[84:85], v[92:93]
	v_pk_fma_f32 v[90:91], v[120:121], v[116:117], v[86:87] op_sel_hi:[1,0,1]
	v_pk_fma_f32 v[86:87], v[120:121], v[116:117], v[86:87] neg_lo:[0,0,1] neg_hi:[0,0,1]
	s_delay_alu instid0(VALU_DEP_3) | instskip(NEXT) | instid1(VALU_DEP_3)
	v_pk_add_f32 v[84:85], v[84:85], v[88:89]
	v_mov_b32_e32 v87, v91
	s_delay_alu instid0(VALU_DEP_1) | instskip(SKIP_1) | instid1(VALU_DEP_1)
	v_pk_add_f32 v[84:85], v[84:85], v[86:87]
	s_wait_loadcnt 0x0
	v_pk_add_f32 v[84:85], v[118:119], v[84:85] neg_lo:[0,1] neg_hi:[0,1]
	scratch_store_b64 off, v[84:85], off offset:248
	s_wait_xcnt 0x0
	v_cmpx_lt_u32_e32 30, v0
	s_cbranch_execz .LBB40_199
; %bb.198:
	scratch_load_b64 v[84:85], off, off offset:240
	v_mov_b64_e32 v[86:87], 0
	scratch_store_b64 off, v[86:87], off offset:240
	s_wait_loadcnt 0x0
	ds_store_b64 v1, v[84:85]
.LBB40_199:
	s_wait_xcnt 0x0
	s_or_b32 exec_lo, exec_lo, s0
	s_wait_storecnt_dscnt 0x0
	s_barrier_signal -1
	s_barrier_wait -1
	s_clause 0x5
	scratch_load_b128 v[84:87], off, off offset:248
	scratch_load_b128 v[88:91], off, off offset:264
	;; [unrolled: 1-line block ×5, first 2 shown]
	scratch_load_b64 v[124:125], off, off offset:240
	ds_load_2addr_b64 v[104:107], v5 offset0:75 offset1:76
	ds_load_2addr_b64 v[108:111], v5 offset0:77 offset1:78
	;; [unrolled: 1-line block ×5, first 2 shown]
	s_mov_b32 s0, exec_lo
	s_wait_dscnt 0x4
	v_dual_mov_b32 v126, v107 :: v_dual_mov_b32 v127, v106
	s_wait_dscnt 0x3
	v_dual_mov_b32 v128, v111 :: v_dual_mov_b32 v129, v110
	;; [unrolled: 2-line block ×4, first 2 shown]
	s_wait_loadcnt_dscnt 0x500
	v_dual_mul_f32 v135, v120, v85 :: v_dual_mul_f32 v137, v122, v87
	v_dual_mul_f32 v5, v121, v85 :: v_dual_mul_f32 v9, v123, v87
	s_wait_loadcnt 0x4
	v_pk_mul_f32 v[138:139], v[104:105], v[88:89] op_sel:[1,1] op_sel_hi:[0,1]
	s_wait_loadcnt 0x3
	v_dual_mov_b32 v140, v91 :: v_dual_mov_b32 v144, v95
	v_dual_fmac_f32 v135, v121, v84 :: v_dual_fma_f32 v134, v120, v84, -v5
	v_fma_f32 v136, v122, v86, -v9
	v_pk_fma_f32 v[84:85], v[104:105], v[88:89], v[138:139] op_sel_hi:[1,0,1]
	v_fmac_f32_e32 v137, v123, v86
	v_pk_mul_f32 v[86:87], v[126:127], v[140:141] op_sel_hi:[1,0]
	v_pk_fma_f32 v[88:89], v[104:105], v[88:89], v[138:139] neg_lo:[0,0,1] neg_hi:[0,0,1]
	v_pk_add_f32 v[120:121], v[134:135], 0 op_sel_hi:[1,0]
	v_mov_b32_e32 v89, v85
	v_pk_mul_f32 v[142:143], v[108:109], v[92:93] op_sel:[1,1] op_sel_hi:[0,1]
	v_pk_fma_f32 v[84:85], v[106:107], v[90:91], v[86:87] op_sel_hi:[1,0,1]
	v_pk_fma_f32 v[86:87], v[106:107], v[90:91], v[86:87] neg_lo:[0,0,1] neg_hi:[0,0,1]
	v_pk_mul_f32 v[126:127], v[128:129], v[144:145] op_sel_hi:[1,0]
	s_wait_loadcnt 0x2
	v_pk_mul_f32 v[122:123], v[112:113], v[96:97] op_sel:[1,1] op_sel_hi:[0,1]
	v_pk_fma_f32 v[90:91], v[108:109], v[92:93], v[142:143] neg_lo:[0,0,1] neg_hi:[0,0,1]
	v_mov_b32_e32 v87, v85
	v_pk_add_f32 v[104:105], v[120:121], v[136:137]
	v_pk_fma_f32 v[120:121], v[108:109], v[92:93], v[142:143] op_sel_hi:[1,0,1]
	v_pk_fma_f32 v[92:93], v[110:111], v[94:95], v[126:127] op_sel_hi:[1,0,1]
	v_pk_fma_f32 v[94:95], v[110:111], v[94:95], v[126:127] neg_lo:[0,0,1] neg_hi:[0,0,1]
	s_delay_alu instid0(VALU_DEP_4) | instskip(NEXT) | instid1(VALU_DEP_4)
	v_pk_add_f32 v[84:85], v[104:105], v[88:89]
	v_dual_mov_b32 v88, v99 :: v_dual_mov_b32 v91, v121
	s_delay_alu instid0(VALU_DEP_2) | instskip(SKIP_1) | instid1(VALU_DEP_3)
	v_pk_add_f32 v[84:85], v[84:85], v[86:87]
	v_pk_fma_f32 v[86:87], v[112:113], v[96:97], v[122:123] op_sel_hi:[1,0,1]
	v_pk_mul_f32 v[88:89], v[130:131], v[88:89] op_sel_hi:[1,0]
	v_mov_b32_e32 v95, v93
	v_pk_fma_f32 v[92:93], v[112:113], v[96:97], v[122:123] neg_lo:[0,0,1] neg_hi:[0,0,1]
	v_pk_add_f32 v[84:85], v[84:85], v[90:91]
	v_mov_b32_e32 v93, v87
	v_pk_fma_f32 v[86:87], v[114:115], v[98:99], v[88:89] op_sel_hi:[1,0,1]
	s_wait_loadcnt 0x1
	v_pk_mul_f32 v[90:91], v[116:117], v[100:101] op_sel:[1,1] op_sel_hi:[0,1]
	v_mov_b32_e32 v86, v103
	v_pk_add_f32 v[84:85], v[84:85], v[94:95]
	v_pk_fma_f32 v[88:89], v[114:115], v[98:99], v[88:89] neg_lo:[0,0,1] neg_hi:[0,0,1]
	v_mov_b32_e32 v89, v87
	v_pk_fma_f32 v[94:95], v[116:117], v[100:101], v[90:91] op_sel_hi:[1,0,1]
	v_pk_mul_f32 v[86:87], v[132:133], v[86:87] op_sel_hi:[1,0]
	v_pk_add_f32 v[84:85], v[84:85], v[92:93]
	v_pk_fma_f32 v[90:91], v[116:117], v[100:101], v[90:91] neg_lo:[0,0,1] neg_hi:[0,0,1]
	s_delay_alu instid0(VALU_DEP_2) | instskip(NEXT) | instid1(VALU_DEP_4)
	v_pk_add_f32 v[84:85], v[84:85], v[88:89]
	v_pk_fma_f32 v[88:89], v[118:119], v[102:103], v[86:87] op_sel_hi:[1,0,1]
	v_mov_b32_e32 v91, v95
	v_pk_fma_f32 v[86:87], v[118:119], v[102:103], v[86:87] neg_lo:[0,0,1] neg_hi:[0,0,1]
	s_delay_alu instid0(VALU_DEP_3) | instskip(NEXT) | instid1(VALU_DEP_3)
	v_mov_b32_e32 v87, v89
	v_pk_add_f32 v[84:85], v[84:85], v[90:91]
	s_delay_alu instid0(VALU_DEP_1) | instskip(SKIP_1) | instid1(VALU_DEP_1)
	v_pk_add_f32 v[84:85], v[84:85], v[86:87]
	s_wait_loadcnt 0x0
	v_pk_add_f32 v[84:85], v[124:125], v[84:85] neg_lo:[0,1] neg_hi:[0,1]
	scratch_store_b64 off, v[84:85], off offset:240
	s_wait_xcnt 0x0
	v_cmpx_lt_u32_e32 29, v0
	s_cbranch_execz .LBB40_201
; %bb.200:
	scratch_load_b64 v[84:85], off, off offset:232
	v_mov_b64_e32 v[86:87], 0
	scratch_store_b64 off, v[86:87], off offset:232
	s_wait_loadcnt 0x0
	ds_store_b64 v1, v[84:85]
.LBB40_201:
	s_wait_xcnt 0x0
	s_or_b32 exec_lo, exec_lo, s0
	s_wait_storecnt_dscnt 0x0
	s_barrier_signal -1
	s_barrier_wait -1
	s_clause 0x6
	scratch_load_b128 v[84:87], off, off offset:240
	scratch_load_b128 v[88:91], off, off offset:256
	;; [unrolled: 1-line block ×5, first 2 shown]
	scratch_load_b64 v[124:125], off, off offset:320
	scratch_load_b64 v[126:127], off, off offset:232
	v_mov_b32_e32 v5, 0
	ds_load_b128 v[104:107], v5 offset:592
	ds_load_b128 v[108:111], v5 offset:608
	;; [unrolled: 1-line block ×5, first 2 shown]
	ds_load_b64 v[128:129], v5 offset:656
	s_mov_b32 s0, exec_lo
	s_wait_dscnt 0x5
	v_dual_mov_b32 v130, v107 :: v_dual_mov_b32 v131, v106
	s_wait_dscnt 0x2
	v_dual_mov_b32 v132, v111 :: v_dual_mov_b32 v137, v118
	v_dual_mov_b32 v133, v110 :: v_dual_mov_b32 v134, v115
	;; [unrolled: 1-line block ×3, first 2 shown]
	s_wait_loadcnt_dscnt 0x601
	v_dual_mul_f32 v9, v120, v85 :: v_dual_mul_f32 v11, v121, v85
	v_dual_mul_f32 v13, v123, v87 :: v_dual_mul_f32 v139, v122, v87
	s_wait_loadcnt 0x5
	v_dual_mul_f32 v141, v104, v89 :: v_dual_mul_f32 v15, v105, v89
	s_wait_loadcnt 0x4
	v_dual_mov_b32 v140, v91 :: v_dual_mov_b32 v144, v95
	v_dual_fmac_f32 v9, v121, v84 :: v_dual_fma_f32 v11, v120, v84, -v11
	v_dual_fma_f32 v138, v122, v86, -v13 :: v_dual_fmac_f32 v139, v123, v86
	s_delay_alu instid0(VALU_DEP_3) | instskip(NEXT) | instid1(VALU_DEP_3)
	v_pk_mul_f32 v[84:85], v[130:131], v[140:141] op_sel_hi:[1,0]
	v_dual_add_f32 v87, 0, v9 :: v_dual_add_f32 v86, 0, v11
	s_wait_loadcnt 0x3
	v_mov_b32_e32 v120, v99
	v_pk_mul_f32 v[142:143], v[108:109], v[92:93] op_sel:[1,1] op_sel_hi:[0,1]
	v_dual_fmac_f32 v141, v105, v88 :: v_dual_fma_f32 v140, v104, v88, -v15
	v_pk_fma_f32 v[88:89], v[106:107], v[90:91], v[84:85] op_sel_hi:[1,0,1]
	v_pk_add_f32 v[86:87], v[86:87], v[138:139]
	v_pk_fma_f32 v[84:85], v[106:107], v[90:91], v[84:85] neg_lo:[0,0,1] neg_hi:[0,0,1]
	v_pk_fma_f32 v[104:105], v[108:109], v[92:93], v[142:143] op_sel_hi:[1,0,1]
	v_pk_mul_f32 v[122:123], v[132:133], v[144:145] op_sel_hi:[1,0]
	v_mov_b32_e32 v85, v89
	v_pk_add_f32 v[86:87], v[86:87], v[140:141]
	v_pk_fma_f32 v[90:91], v[108:109], v[92:93], v[142:143] neg_lo:[0,0,1] neg_hi:[0,0,1]
	v_pk_mul_f32 v[146:147], v[112:113], v[96:97] op_sel:[1,1] op_sel_hi:[0,1]
	v_mov_b32_e32 v91, v105
	v_pk_fma_f32 v[92:93], v[110:111], v[94:95], v[122:123] op_sel_hi:[1,0,1]
	v_pk_add_f32 v[84:85], v[86:87], v[84:85]
	v_pk_fma_f32 v[94:95], v[110:111], v[94:95], v[122:123] neg_lo:[0,0,1] neg_hi:[0,0,1]
	v_pk_fma_f32 v[86:87], v[112:113], v[96:97], v[146:147] op_sel_hi:[1,0,1]
	v_pk_mul_f32 v[104:105], v[134:135], v[120:121] op_sel_hi:[1,0]
	s_wait_loadcnt 0x2
	v_dual_mov_b32 v95, v93 :: v_dual_mov_b32 v86, v103
	v_pk_add_f32 v[84:85], v[84:85], v[90:91]
	v_pk_fma_f32 v[90:91], v[112:113], v[96:97], v[146:147] neg_lo:[0,0,1] neg_hi:[0,0,1]
	v_pk_mul_f32 v[88:89], v[116:117], v[100:101] op_sel:[1,1] op_sel_hi:[0,1]
	v_pk_fma_f32 v[92:93], v[114:115], v[98:99], v[104:105] op_sel_hi:[1,0,1]
	v_mov_b32_e32 v91, v87
	v_pk_add_f32 v[84:85], v[84:85], v[94:95]
	v_pk_fma_f32 v[96:97], v[114:115], v[98:99], v[104:105] neg_lo:[0,0,1] neg_hi:[0,0,1]
	v_pk_fma_f32 v[94:95], v[116:117], v[100:101], v[88:89] op_sel_hi:[1,0,1]
	v_pk_mul_f32 v[86:87], v[136:137], v[86:87] op_sel_hi:[1,0]
	v_mov_b32_e32 v97, v93
	v_pk_add_f32 v[84:85], v[84:85], v[90:91]
	v_pk_fma_f32 v[88:89], v[116:117], v[100:101], v[88:89] neg_lo:[0,0,1] neg_hi:[0,0,1]
	s_wait_loadcnt_dscnt 0x100
	v_pk_mul_f32 v[92:93], v[128:129], v[124:125] op_sel:[1,1] op_sel_hi:[0,1]
	v_pk_fma_f32 v[90:91], v[118:119], v[102:103], v[86:87] op_sel_hi:[1,0,1]
	v_mov_b32_e32 v89, v95
	v_pk_add_f32 v[84:85], v[84:85], v[96:97]
	v_pk_fma_f32 v[86:87], v[118:119], v[102:103], v[86:87] neg_lo:[0,0,1] neg_hi:[0,0,1]
	s_delay_alu instid0(VALU_DEP_4) | instskip(SKIP_1) | instid1(VALU_DEP_4)
	v_mov_b32_e32 v87, v91
	v_pk_fma_f32 v[90:91], v[128:129], v[124:125], v[92:93] neg_lo:[0,0,1] neg_hi:[0,0,1]
	v_pk_add_f32 v[84:85], v[84:85], v[88:89]
	v_pk_fma_f32 v[88:89], v[128:129], v[124:125], v[92:93] op_sel_hi:[1,0,1]
	s_delay_alu instid0(VALU_DEP_2) | instskip(NEXT) | instid1(VALU_DEP_2)
	v_pk_add_f32 v[84:85], v[84:85], v[86:87]
	v_mov_b32_e32 v91, v89
	s_delay_alu instid0(VALU_DEP_1) | instskip(SKIP_1) | instid1(VALU_DEP_1)
	v_pk_add_f32 v[84:85], v[84:85], v[90:91]
	s_wait_loadcnt 0x0
	v_pk_add_f32 v[84:85], v[126:127], v[84:85] neg_lo:[0,1] neg_hi:[0,1]
	scratch_store_b64 off, v[84:85], off offset:232
	s_wait_xcnt 0x0
	v_cmpx_lt_u32_e32 28, v0
	s_cbranch_execz .LBB40_203
; %bb.202:
	scratch_load_b64 v[84:85], off, off offset:224
	v_mov_b64_e32 v[86:87], 0
	scratch_store_b64 off, v[86:87], off offset:224
	s_wait_loadcnt 0x0
	ds_store_b64 v1, v[84:85]
.LBB40_203:
	s_wait_xcnt 0x0
	s_or_b32 exec_lo, exec_lo, s0
	s_wait_storecnt_dscnt 0x0
	s_barrier_signal -1
	s_barrier_wait -1
	s_clause 0x6
	scratch_load_b128 v[84:87], off, off offset:232
	scratch_load_b128 v[88:91], off, off offset:248
	scratch_load_b128 v[92:95], off, off offset:264
	scratch_load_b128 v[96:99], off, off offset:280
	scratch_load_b128 v[100:103], off, off offset:296
	scratch_load_b128 v[104:107], off, off offset:312
	scratch_load_b64 v[132:133], off, off offset:224
	ds_load_2addr_b64 v[108:111], v5 offset0:75 offset1:76
	ds_load_2addr_b64 v[112:115], v5 offset0:77 offset1:78
	;; [unrolled: 1-line block ×6, first 2 shown]
	s_mov_b32 s0, exec_lo
	s_wait_dscnt 0x5
	v_dual_mov_b32 v134, v111 :: v_dual_mov_b32 v135, v110
	s_wait_dscnt 0x4
	v_dual_mov_b32 v136, v115 :: v_dual_mov_b32 v137, v114
	;; [unrolled: 2-line block ×4, first 2 shown]
	s_wait_loadcnt_dscnt 0x601
	v_dual_mul_f32 v5, v124, v85 :: v_dual_mul_f32 v9, v126, v87
	v_dual_mul_f32 v11, v125, v85 :: v_dual_mul_f32 v13, v127, v87
	s_wait_loadcnt 0x4
	s_delay_alu instid0(VALU_DEP_2)
	v_dual_mov_b32 v148, v95 :: v_dual_fmac_f32 v5, v125, v84
	s_wait_dscnt 0x0
	v_dual_mul_f32 v143, v128, v89 :: v_dual_mul_f32 v145, v130, v91
	v_dual_fma_f32 v11, v124, v84, -v11 :: v_dual_fmac_f32 v9, v127, v86
	v_dual_mul_f32 v15, v129, v89 :: v_dual_mul_f32 v17, v131, v91
	v_dual_fma_f32 v13, v126, v86, -v13 :: v_dual_add_f32 v5, 0, v5
	s_wait_loadcnt 0x3
	s_delay_alu instid0(VALU_DEP_3)
	v_dual_add_f32 v11, 0, v11 :: v_dual_mov_b32 v86, v99
	v_pk_mul_f32 v[146:147], v[108:109], v[92:93] op_sel:[1,1] op_sel_hi:[0,1]
	v_pk_mul_f32 v[84:85], v[112:113], v[96:97] op_sel:[1,1] op_sel_hi:[0,1]
	v_fmac_f32_e32 v143, v129, v88
	v_dual_fma_f32 v142, v128, v88, -v15 :: v_dual_add_f32 v89, v5, v9
	v_add_f32_e32 v88, v11, v13
	v_fmac_f32_e32 v145, v131, v90
	v_fma_f32 v144, v130, v90, -v17
	v_pk_fma_f32 v[90:91], v[108:109], v[92:93], v[146:147] op_sel_hi:[1,0,1]
	v_pk_mul_f32 v[124:125], v[134:135], v[148:149] op_sel_hi:[1,0]
	v_pk_add_f32 v[88:89], v[88:89], v[142:143]
	v_pk_fma_f32 v[92:93], v[108:109], v[92:93], v[146:147] neg_lo:[0,0,1] neg_hi:[0,0,1]
	v_pk_fma_f32 v[108:109], v[112:113], v[96:97], v[84:85] op_sel_hi:[1,0,1]
	v_pk_fma_f32 v[84:85], v[112:113], v[96:97], v[84:85] neg_lo:[0,0,1] neg_hi:[0,0,1]
	v_mov_b32_e32 v93, v91
	v_pk_fma_f32 v[90:91], v[110:111], v[94:95], v[124:125] op_sel_hi:[1,0,1]
	v_pk_fma_f32 v[94:95], v[110:111], v[94:95], v[124:125] neg_lo:[0,0,1] neg_hi:[0,0,1]
	v_mov_b32_e32 v85, v109
	v_pk_add_f32 v[88:89], v[88:89], v[144:145]
	v_pk_mul_f32 v[86:87], v[136:137], v[86:87] op_sel_hi:[1,0]
	s_wait_loadcnt 0x2
	v_dual_mov_b32 v95, v91 :: v_dual_mov_b32 v90, v103
	v_pk_mul_f32 v[126:127], v[116:117], v[100:101] op_sel:[1,1] op_sel_hi:[0,1]
	v_pk_add_f32 v[88:89], v[88:89], v[92:93]
	v_pk_fma_f32 v[92:93], v[114:115], v[98:99], v[86:87] op_sel_hi:[1,0,1]
	v_pk_fma_f32 v[86:87], v[114:115], v[98:99], v[86:87] neg_lo:[0,0,1] neg_hi:[0,0,1]
	v_pk_mul_f32 v[90:91], v[138:139], v[90:91] op_sel_hi:[1,0]
	s_delay_alu instid0(VALU_DEP_4) | instskip(SKIP_3) | instid1(VALU_DEP_4)
	v_pk_add_f32 v[88:89], v[88:89], v[94:95]
	v_pk_fma_f32 v[94:95], v[116:117], v[100:101], v[126:127] op_sel_hi:[1,0,1]
	v_mov_b32_e32 v87, v93
	v_pk_fma_f32 v[92:93], v[116:117], v[100:101], v[126:127] neg_lo:[0,0,1] neg_hi:[0,0,1]
	v_pk_add_f32 v[84:85], v[88:89], v[84:85]
	s_wait_loadcnt 0x1
	v_pk_mul_f32 v[88:89], v[120:121], v[104:105] op_sel:[1,1] op_sel_hi:[0,1]
	v_mov_b32_e32 v93, v95
	v_pk_fma_f32 v[94:95], v[118:119], v[102:103], v[90:91] op_sel_hi:[1,0,1]
	v_pk_fma_f32 v[90:91], v[118:119], v[102:103], v[90:91] neg_lo:[0,0,1] neg_hi:[0,0,1]
	v_pk_add_f32 v[84:85], v[84:85], v[86:87]
	v_mov_b32_e32 v86, v107
	v_pk_fma_f32 v[96:97], v[120:121], v[104:105], v[88:89] op_sel_hi:[1,0,1]
	v_mov_b32_e32 v91, v95
	v_pk_fma_f32 v[88:89], v[120:121], v[104:105], v[88:89] neg_lo:[0,0,1] neg_hi:[0,0,1]
	v_pk_add_f32 v[84:85], v[84:85], v[92:93]
	v_pk_mul_f32 v[86:87], v[140:141], v[86:87] op_sel_hi:[1,0]
	s_delay_alu instid0(VALU_DEP_2) | instskip(NEXT) | instid1(VALU_DEP_2)
	v_pk_add_f32 v[84:85], v[84:85], v[90:91]
	v_pk_fma_f32 v[90:91], v[122:123], v[106:107], v[86:87] op_sel_hi:[1,0,1]
	v_mov_b32_e32 v89, v97
	v_pk_fma_f32 v[86:87], v[122:123], v[106:107], v[86:87] neg_lo:[0,0,1] neg_hi:[0,0,1]
	s_delay_alu instid0(VALU_DEP_3) | instskip(NEXT) | instid1(VALU_DEP_3)
	v_mov_b32_e32 v87, v91
	v_pk_add_f32 v[84:85], v[84:85], v[88:89]
	s_delay_alu instid0(VALU_DEP_1) | instskip(SKIP_1) | instid1(VALU_DEP_1)
	v_pk_add_f32 v[84:85], v[84:85], v[86:87]
	s_wait_loadcnt 0x0
	v_pk_add_f32 v[84:85], v[132:133], v[84:85] neg_lo:[0,1] neg_hi:[0,1]
	scratch_store_b64 off, v[84:85], off offset:224
	s_wait_xcnt 0x0
	v_cmpx_lt_u32_e32 27, v0
	s_cbranch_execz .LBB40_205
; %bb.204:
	scratch_load_b64 v[84:85], off, off offset:216
	v_mov_b64_e32 v[86:87], 0
	scratch_store_b64 off, v[86:87], off offset:216
	s_wait_loadcnt 0x0
	ds_store_b64 v1, v[84:85]
.LBB40_205:
	s_wait_xcnt 0x0
	s_or_b32 exec_lo, exec_lo, s0
	s_wait_storecnt_dscnt 0x0
	s_barrier_signal -1
	s_barrier_wait -1
	s_clause 0x7
	scratch_load_b128 v[84:87], off, off offset:224
	scratch_load_b128 v[88:91], off, off offset:240
	;; [unrolled: 1-line block ×6, first 2 shown]
	scratch_load_b64 v[132:133], off, off offset:320
	scratch_load_b64 v[134:135], off, off offset:216
	v_mov_b32_e32 v5, 0
	ds_load_b128 v[108:111], v5 offset:592
	ds_load_b128 v[112:115], v5 offset:608
	ds_load_b128 v[116:119], v5 offset:624
	ds_load_b128 v[120:123], v5 offset:640
	ds_load_b128 v[124:127], v5 offset:560
	ds_load_b128 v[128:131], v5 offset:576
	ds_load_b64 v[136:137], v5 offset:656
	s_mov_b32 s0, exec_lo
	s_wait_dscnt 0x6
	v_dual_mov_b32 v138, v111 :: v_dual_mov_b32 v139, v110
	s_wait_dscnt 0x3
	v_dual_mov_b32 v140, v115 :: v_dual_mov_b32 v145, v122
	v_dual_mov_b32 v141, v114 :: v_dual_mov_b32 v142, v119
	;; [unrolled: 1-line block ×3, first 2 shown]
	s_wait_loadcnt_dscnt 0x702
	v_dual_mul_f32 v9, v124, v85 :: v_dual_mul_f32 v15, v125, v85
	v_dual_mul_f32 v17, v127, v87 :: v_dual_mul_f32 v11, v126, v87
	s_wait_loadcnt_dscnt 0x601
	s_delay_alu instid0(VALU_DEP_2) | instskip(NEXT) | instid1(VALU_DEP_3)
	v_dual_mul_f32 v13, v128, v89 :: v_dual_fmac_f32 v9, v125, v84
	v_dual_fma_f32 v15, v124, v84, -v15 :: v_dual_mul_f32 v19, v129, v89
	v_mul_f32_e32 v21, v131, v91
	s_wait_loadcnt 0x4
	v_dual_mov_b32 v84, v99 :: v_dual_fma_f32 v17, v126, v86, -v17
	v_dual_fmac_f32 v11, v127, v86 :: v_dual_add_f32 v9, 0, v9
	v_dual_add_f32 v15, 0, v15 :: v_dual_fmac_f32 v13, v129, v88
	v_dual_mul_f32 v147, v130, v91 :: v_dual_mul_f32 v149, v108, v93
	v_dual_mul_f32 v23, v109, v93 :: v_dual_mov_b32 v148, v95
	s_delay_alu instid0(VALU_DEP_4) | instskip(NEXT) | instid1(VALU_DEP_4)
	v_dual_fma_f32 v19, v128, v88, -v19 :: v_dual_add_f32 v9, v9, v11
	v_dual_add_f32 v11, v15, v17 :: v_dual_fma_f32 v146, v130, v90, -v21
	s_delay_alu instid0(VALU_DEP_4) | instskip(NEXT) | instid1(VALU_DEP_4)
	v_fmac_f32_e32 v147, v131, v90
	v_pk_mul_f32 v[88:89], v[138:139], v[148:149] op_sel_hi:[1,0]
	s_delay_alu instid0(VALU_DEP_3)
	v_dual_add_f32 v91, v9, v13 :: v_dual_add_f32 v90, v11, v19
	v_fmac_f32_e32 v149, v109, v92
	v_pk_mul_f32 v[150:151], v[112:113], v[96:97] op_sel:[1,1] op_sel_hi:[0,1]
	s_wait_loadcnt 0x3
	v_dual_mov_b32 v124, v103 :: v_dual_fma_f32 v148, v108, v92, -v23
	v_pk_fma_f32 v[92:93], v[110:111], v[94:95], v[88:89] op_sel_hi:[1,0,1]
	v_pk_add_f32 v[90:91], v[90:91], v[146:147]
	v_pk_fma_f32 v[88:89], v[110:111], v[94:95], v[88:89] neg_lo:[0,0,1] neg_hi:[0,0,1]
	v_pk_fma_f32 v[108:109], v[112:113], v[96:97], v[150:151] op_sel_hi:[1,0,1]
	v_pk_mul_f32 v[84:85], v[140:141], v[84:85] op_sel_hi:[1,0]
	v_mov_b32_e32 v89, v93
	v_pk_add_f32 v[90:91], v[90:91], v[148:149]
	v_pk_fma_f32 v[94:95], v[112:113], v[96:97], v[150:151] neg_lo:[0,0,1] neg_hi:[0,0,1]
	v_pk_mul_f32 v[86:87], v[116:117], v[100:101] op_sel:[1,1] op_sel_hi:[0,1]
	v_mov_b32_e32 v95, v109
	v_pk_fma_f32 v[96:97], v[114:115], v[98:99], v[84:85] op_sel_hi:[1,0,1]
	v_pk_add_f32 v[88:89], v[90:91], v[88:89]
	v_pk_fma_f32 v[84:85], v[114:115], v[98:99], v[84:85] neg_lo:[0,0,1] neg_hi:[0,0,1]
	v_pk_fma_f32 v[90:91], v[116:117], v[100:101], v[86:87] op_sel_hi:[1,0,1]
	v_pk_mul_f32 v[108:109], v[142:143], v[124:125] op_sel_hi:[1,0]
	s_wait_loadcnt 0x2
	v_dual_mov_b32 v85, v97 :: v_dual_mov_b32 v90, v107
	v_pk_add_f32 v[88:89], v[88:89], v[94:95]
	v_pk_fma_f32 v[86:87], v[116:117], v[100:101], v[86:87] neg_lo:[0,0,1] neg_hi:[0,0,1]
	v_pk_mul_f32 v[92:93], v[120:121], v[104:105] op_sel:[1,1] op_sel_hi:[0,1]
	v_pk_fma_f32 v[94:95], v[118:119], v[102:103], v[108:109] op_sel_hi:[1,0,1]
	v_mov_b32_e32 v87, v91
	v_pk_add_f32 v[84:85], v[88:89], v[84:85]
	v_pk_fma_f32 v[96:97], v[118:119], v[102:103], v[108:109] neg_lo:[0,0,1] neg_hi:[0,0,1]
	v_pk_fma_f32 v[88:89], v[120:121], v[104:105], v[92:93] op_sel_hi:[1,0,1]
	v_pk_mul_f32 v[90:91], v[144:145], v[90:91] op_sel_hi:[1,0]
	v_mov_b32_e32 v97, v95
	v_pk_add_f32 v[84:85], v[84:85], v[86:87]
	v_pk_fma_f32 v[86:87], v[120:121], v[104:105], v[92:93] neg_lo:[0,0,1] neg_hi:[0,0,1]
	v_mov_b32_e32 v87, v89
	v_pk_fma_f32 v[88:89], v[122:123], v[106:107], v[90:91] op_sel_hi:[1,0,1]
	s_wait_loadcnt_dscnt 0x100
	v_pk_mul_f32 v[92:93], v[136:137], v[132:133] op_sel:[1,1] op_sel_hi:[0,1]
	v_pk_add_f32 v[84:85], v[84:85], v[96:97]
	v_pk_fma_f32 v[90:91], v[122:123], v[106:107], v[90:91] neg_lo:[0,0,1] neg_hi:[0,0,1]
	v_mov_b32_e32 v91, v89
	s_delay_alu instid0(VALU_DEP_4) | instskip(NEXT) | instid1(VALU_DEP_4)
	v_pk_fma_f32 v[88:89], v[136:137], v[132:133], v[92:93] neg_lo:[0,0,1] neg_hi:[0,0,1]
	v_pk_add_f32 v[84:85], v[84:85], v[86:87]
	v_pk_fma_f32 v[86:87], v[136:137], v[132:133], v[92:93] op_sel_hi:[1,0,1]
	s_delay_alu instid0(VALU_DEP_2) | instskip(NEXT) | instid1(VALU_DEP_2)
	v_pk_add_f32 v[84:85], v[84:85], v[90:91]
	v_mov_b32_e32 v89, v87
	s_delay_alu instid0(VALU_DEP_1) | instskip(SKIP_1) | instid1(VALU_DEP_1)
	v_pk_add_f32 v[84:85], v[84:85], v[88:89]
	s_wait_loadcnt 0x0
	v_pk_add_f32 v[84:85], v[134:135], v[84:85] neg_lo:[0,1] neg_hi:[0,1]
	scratch_store_b64 off, v[84:85], off offset:216
	s_wait_xcnt 0x0
	v_cmpx_lt_u32_e32 26, v0
	s_cbranch_execz .LBB40_207
; %bb.206:
	scratch_load_b64 v[84:85], off, off offset:208
	v_mov_b64_e32 v[86:87], 0
	scratch_store_b64 off, v[86:87], off offset:208
	s_wait_loadcnt 0x0
	ds_store_b64 v1, v[84:85]
.LBB40_207:
	s_wait_xcnt 0x0
	s_or_b32 exec_lo, exec_lo, s0
	s_wait_storecnt_dscnt 0x0
	s_barrier_signal -1
	s_barrier_wait -1
	s_clause 0x7
	scratch_load_b128 v[84:87], off, off offset:216
	scratch_load_b128 v[88:91], off, off offset:232
	;; [unrolled: 1-line block ×7, first 2 shown]
	scratch_load_b64 v[140:141], off, off offset:208
	ds_load_2addr_b64 v[112:115], v5 offset0:75 offset1:76
	ds_load_2addr_b64 v[116:119], v5 offset0:77 offset1:78
	;; [unrolled: 1-line block ×7, first 2 shown]
	s_mov_b32 s0, exec_lo
	s_wait_dscnt 0x6
	v_dual_mov_b32 v142, v115 :: v_dual_mov_b32 v143, v114
	s_wait_dscnt 0x5
	v_dual_mov_b32 v144, v119 :: v_dual_mov_b32 v145, v118
	;; [unrolled: 2-line block ×4, first 2 shown]
	s_wait_loadcnt_dscnt 0x702
	v_dual_mul_f32 v5, v128, v85 :: v_dual_mul_f32 v9, v130, v87
	v_dual_mul_f32 v15, v129, v85 :: v_dual_mul_f32 v17, v131, v87
	s_wait_loadcnt_dscnt 0x601
	v_dual_mul_f32 v11, v132, v89 :: v_dual_mul_f32 v13, v134, v91
	s_delay_alu instid0(VALU_DEP_2) | instskip(SKIP_1) | instid1(VALU_DEP_2)
	v_dual_fmac_f32 v5, v129, v84 :: v_dual_fma_f32 v15, v128, v84, -v15
	v_dual_mul_f32 v19, v133, v89 :: v_dual_mul_f32 v21, v135, v91
	v_dual_fmac_f32 v9, v131, v86 :: v_dual_add_f32 v5, 0, v5
	s_delay_alu instid0(VALU_DEP_3) | instskip(SKIP_2) | instid1(VALU_DEP_3)
	v_dual_fma_f32 v17, v130, v86, -v17 :: v_dual_add_f32 v15, 0, v15
	s_wait_loadcnt 0x4
	v_dual_mov_b32 v86, v99 :: v_dual_fmac_f32 v11, v133, v88
	v_dual_fma_f32 v19, v132, v88, -v19 :: v_dual_add_f32 v5, v5, v9
	s_delay_alu instid0(VALU_DEP_3)
	v_dual_add_f32 v9, v15, v17 :: v_dual_fma_f32 v15, v134, v90, -v21
	s_wait_dscnt 0x0
	v_dual_mul_f32 v151, v136, v93 :: v_dual_mul_f32 v153, v138, v95
	v_dual_mul_f32 v23, v137, v93 :: v_dual_mul_f32 v25, v139, v95
	v_dual_fmac_f32 v13, v135, v90 :: v_dual_add_f32 v5, v5, v11
	s_wait_loadcnt 0x3
	v_dual_add_f32 v9, v9, v19 :: v_dual_mov_b32 v90, v103
	v_pk_mul_f32 v[84:85], v[112:113], v[96:97] op_sel:[1,1] op_sel_hi:[0,1]
	v_dual_fmac_f32 v151, v137, v92 :: v_dual_fmac_f32 v153, v139, v94
	v_dual_fma_f32 v150, v136, v92, -v23 :: v_dual_add_f32 v93, v5, v13
	s_delay_alu instid0(VALU_DEP_4) | instskip(NEXT) | instid1(VALU_DEP_4)
	v_dual_add_f32 v92, v9, v15 :: v_dual_fma_f32 v152, v138, v94, -v25
	v_pk_fma_f32 v[94:95], v[112:113], v[96:97], v[84:85] op_sel_hi:[1,0,1]
	v_pk_mul_f32 v[86:87], v[142:143], v[86:87] op_sel_hi:[1,0]
	v_pk_fma_f32 v[84:85], v[112:113], v[96:97], v[84:85] neg_lo:[0,0,1] neg_hi:[0,0,1]
	s_delay_alu instid0(VALU_DEP_4)
	v_pk_add_f32 v[92:93], v[92:93], v[150:151]
	v_pk_mul_f32 v[88:89], v[116:117], v[100:101] op_sel:[1,1] op_sel_hi:[0,1]
	v_mov_b32_e32 v85, v95
	v_pk_fma_f32 v[94:95], v[114:115], v[98:99], v[86:87] op_sel_hi:[1,0,1]
	v_pk_fma_f32 v[86:87], v[114:115], v[98:99], v[86:87] neg_lo:[0,0,1] neg_hi:[0,0,1]
	v_pk_add_f32 v[92:93], v[92:93], v[152:153]
	v_pk_fma_f32 v[96:97], v[116:117], v[100:101], v[88:89] op_sel_hi:[1,0,1]
	v_pk_mul_f32 v[90:91], v[144:145], v[90:91] op_sel_hi:[1,0]
	v_mov_b32_e32 v87, v95
	s_wait_loadcnt 0x2
	v_pk_mul_f32 v[128:129], v[120:121], v[104:105] op_sel:[1,1] op_sel_hi:[0,1]
	v_pk_add_f32 v[84:85], v[92:93], v[84:85]
	v_mov_b32_e32 v92, v107
	v_pk_fma_f32 v[88:89], v[116:117], v[100:101], v[88:89] neg_lo:[0,0,1] neg_hi:[0,0,1]
	v_mov_b32_e32 v89, v97
	v_pk_fma_f32 v[94:95], v[118:119], v[102:103], v[90:91] op_sel_hi:[1,0,1]
	v_pk_add_f32 v[84:85], v[84:85], v[86:87]
	v_pk_fma_f32 v[86:87], v[120:121], v[104:105], v[128:129] op_sel_hi:[1,0,1]
	v_pk_mul_f32 v[92:93], v[146:147], v[92:93] op_sel_hi:[1,0]
	v_pk_fma_f32 v[90:91], v[118:119], v[102:103], v[90:91] neg_lo:[0,0,1] neg_hi:[0,0,1]
	v_mov_b32_e32 v91, v95
	v_pk_add_f32 v[84:85], v[84:85], v[88:89]
	v_pk_fma_f32 v[94:95], v[120:121], v[104:105], v[128:129] neg_lo:[0,0,1] neg_hi:[0,0,1]
	v_mov_b32_e32 v95, v87
	v_pk_fma_f32 v[86:87], v[122:123], v[106:107], v[92:93] op_sel_hi:[1,0,1]
	s_wait_loadcnt 0x1
	v_pk_mul_f32 v[88:89], v[124:125], v[108:109] op_sel:[1,1] op_sel_hi:[0,1]
	v_pk_add_f32 v[84:85], v[84:85], v[90:91]
	v_mov_b32_e32 v86, v111
	v_pk_fma_f32 v[92:93], v[122:123], v[106:107], v[92:93] neg_lo:[0,0,1] neg_hi:[0,0,1]
	v_mov_b32_e32 v93, v87
	v_pk_fma_f32 v[90:91], v[124:125], v[108:109], v[88:89] op_sel_hi:[1,0,1]
	v_pk_add_f32 v[84:85], v[84:85], v[94:95]
	v_pk_mul_f32 v[86:87], v[148:149], v[86:87] op_sel_hi:[1,0]
	v_pk_fma_f32 v[88:89], v[124:125], v[108:109], v[88:89] neg_lo:[0,0,1] neg_hi:[0,0,1]
	s_delay_alu instid0(VALU_DEP_4) | instskip(NEXT) | instid1(VALU_DEP_4)
	v_mov_b32_e32 v89, v91
	v_pk_add_f32 v[84:85], v[84:85], v[92:93]
	s_delay_alu instid0(VALU_DEP_4) | instskip(SKIP_1) | instid1(VALU_DEP_2)
	v_pk_fma_f32 v[90:91], v[126:127], v[110:111], v[86:87] op_sel_hi:[1,0,1]
	v_pk_fma_f32 v[86:87], v[126:127], v[110:111], v[86:87] neg_lo:[0,0,1] neg_hi:[0,0,1]
	v_mov_b32_e32 v87, v91
	s_delay_alu instid0(VALU_DEP_4) | instskip(NEXT) | instid1(VALU_DEP_1)
	v_pk_add_f32 v[84:85], v[84:85], v[88:89]
	v_pk_add_f32 v[84:85], v[84:85], v[86:87]
	s_wait_loadcnt 0x0
	s_delay_alu instid0(VALU_DEP_1)
	v_pk_add_f32 v[84:85], v[140:141], v[84:85] neg_lo:[0,1] neg_hi:[0,1]
	scratch_store_b64 off, v[84:85], off offset:208
	s_wait_xcnt 0x0
	v_cmpx_lt_u32_e32 25, v0
	s_cbranch_execz .LBB40_209
; %bb.208:
	scratch_load_b64 v[84:85], off, off offset:200
	v_mov_b64_e32 v[86:87], 0
	scratch_store_b64 off, v[86:87], off offset:200
	s_wait_loadcnt 0x0
	ds_store_b64 v1, v[84:85]
.LBB40_209:
	s_wait_xcnt 0x0
	s_or_b32 exec_lo, exec_lo, s0
	s_wait_storecnt_dscnt 0x0
	s_barrier_signal -1
	s_barrier_wait -1
	s_clause 0x8
	scratch_load_b128 v[84:87], off, off offset:208
	scratch_load_b128 v[88:91], off, off offset:224
	;; [unrolled: 1-line block ×7, first 2 shown]
	scratch_load_b64 v[140:141], off, off offset:320
	scratch_load_b64 v[142:143], off, off offset:200
	v_mov_b32_e32 v5, 0
	ds_load_b128 v[112:115], v5 offset:592
	ds_load_b128 v[116:119], v5 offset:608
	;; [unrolled: 1-line block ×7, first 2 shown]
	ds_load_b64 v[144:145], v5 offset:656
	s_mov_b32 s0, exec_lo
	s_wait_dscnt 0x7
	v_dual_mov_b32 v146, v115 :: v_dual_mov_b32 v147, v114
	s_wait_dscnt 0x4
	v_dual_mov_b32 v148, v119 :: v_dual_mov_b32 v153, v126
	v_dual_mov_b32 v149, v118 :: v_dual_mov_b32 v150, v123
	;; [unrolled: 1-line block ×3, first 2 shown]
	s_wait_loadcnt_dscnt 0x803
	v_dual_mul_f32 v9, v128, v85 :: v_dual_mul_f32 v19, v129, v85
	v_dual_mul_f32 v21, v131, v87 :: v_dual_mul_f32 v11, v130, v87
	s_wait_loadcnt_dscnt 0x702
	v_mul_f32_e32 v13, v132, v89
	s_wait_loadcnt 0x5
	v_dual_mul_f32 v31, v113, v97 :: v_dual_fma_f32 v19, v128, v84, -v19
	v_dual_fmac_f32 v9, v129, v84 :: v_dual_mov_b32 v84, v99
	v_dual_mul_f32 v23, v133, v89 :: v_dual_mul_f32 v25, v135, v91
	v_dual_fmac_f32 v11, v131, v86 :: v_dual_fma_f32 v21, v130, v86, -v21
	s_delay_alu instid0(VALU_DEP_3) | instskip(SKIP_3) | instid1(VALU_DEP_3)
	v_dual_add_f32 v9, 0, v9 :: v_dual_add_f32 v19, 0, v19
	s_wait_dscnt 0x1
	v_dual_mul_f32 v15, v134, v91 :: v_dual_mul_f32 v17, v136, v93
	v_dual_fmac_f32 v13, v133, v88 :: v_dual_fma_f32 v23, v132, v88, -v23
	v_dual_add_f32 v9, v9, v11 :: v_dual_add_f32 v11, v19, v21
	v_dual_mul_f32 v27, v137, v93 :: v_dual_mul_f32 v29, v139, v95
	s_wait_loadcnt 0x4
	v_dual_mov_b32 v88, v103 :: v_dual_fma_f32 v19, v134, v90, -v25
	s_delay_alu instid0(VALU_DEP_3) | instskip(SKIP_2) | instid1(VALU_DEP_3)
	v_dual_fmac_f32 v15, v135, v90 :: v_dual_add_f32 v9, v9, v13
	v_dual_add_f32 v11, v11, v23 :: v_dual_fmac_f32 v17, v137, v92
	v_dual_mul_f32 v155, v138, v95 :: v_dual_mul_f32 v157, v112, v97
	v_dual_fma_f32 v13, v136, v92, -v27 :: v_dual_add_f32 v9, v9, v15
	s_delay_alu instid0(VALU_DEP_3) | instskip(NEXT) | instid1(VALU_DEP_3)
	v_dual_add_f32 v11, v11, v19 :: v_dual_fma_f32 v154, v138, v94, -v29
	v_fmac_f32_e32 v155, v139, v94
	v_pk_mul_f32 v[84:85], v[146:147], v[84:85] op_sel_hi:[1,0]
	s_delay_alu instid0(VALU_DEP_4) | instskip(NEXT) | instid1(VALU_DEP_4)
	v_add_f32_e32 v93, v9, v17
	v_dual_add_f32 v92, v11, v13 :: v_dual_fmac_f32 v157, v113, v96
	v_pk_mul_f32 v[86:87], v[116:117], v[100:101] op_sel:[1,1] op_sel_hi:[0,1]
	s_wait_loadcnt 0x3
	v_dual_mov_b32 v94, v107 :: v_dual_fma_f32 v156, v112, v96, -v31
	v_pk_fma_f32 v[96:97], v[114:115], v[98:99], v[84:85] op_sel_hi:[1,0,1]
	v_pk_add_f32 v[92:93], v[92:93], v[154:155]
	v_pk_fma_f32 v[84:85], v[114:115], v[98:99], v[84:85] neg_lo:[0,0,1] neg_hi:[0,0,1]
	v_pk_fma_f32 v[112:113], v[116:117], v[100:101], v[86:87] op_sel_hi:[1,0,1]
	v_pk_mul_f32 v[88:89], v[148:149], v[88:89] op_sel_hi:[1,0]
	v_mov_b32_e32 v85, v97
	v_pk_add_f32 v[92:93], v[92:93], v[156:157]
	v_pk_fma_f32 v[86:87], v[116:117], v[100:101], v[86:87] neg_lo:[0,0,1] neg_hi:[0,0,1]
	v_pk_mul_f32 v[90:91], v[120:121], v[104:105] op_sel:[1,1] op_sel_hi:[0,1]
	v_mov_b32_e32 v87, v113
	v_pk_fma_f32 v[98:99], v[118:119], v[102:103], v[88:89] op_sel_hi:[1,0,1]
	v_pk_add_f32 v[84:85], v[92:93], v[84:85]
	v_pk_fma_f32 v[88:89], v[118:119], v[102:103], v[88:89] neg_lo:[0,0,1] neg_hi:[0,0,1]
	v_pk_fma_f32 v[92:93], v[120:121], v[104:105], v[90:91] op_sel_hi:[1,0,1]
	v_pk_mul_f32 v[94:95], v[150:151], v[94:95] op_sel_hi:[1,0]
	v_mov_b32_e32 v89, v99
	v_pk_add_f32 v[84:85], v[84:85], v[86:87]
	v_pk_fma_f32 v[90:91], v[120:121], v[104:105], v[90:91] neg_lo:[0,0,1] neg_hi:[0,0,1]
	s_wait_loadcnt 0x2
	v_pk_mul_f32 v[96:97], v[124:125], v[108:109] op_sel:[1,1] op_sel_hi:[0,1]
	v_dual_mov_b32 v86, v111 :: v_dual_mov_b32 v91, v93
	v_pk_fma_f32 v[92:93], v[122:123], v[106:107], v[94:95] op_sel_hi:[1,0,1]
	v_pk_add_f32 v[84:85], v[84:85], v[88:89]
	v_pk_fma_f32 v[94:95], v[122:123], v[106:107], v[94:95] neg_lo:[0,0,1] neg_hi:[0,0,1]
	v_pk_fma_f32 v[88:89], v[124:125], v[108:109], v[96:97] op_sel_hi:[1,0,1]
	v_pk_mul_f32 v[86:87], v[152:153], v[86:87] op_sel_hi:[1,0]
	v_mov_b32_e32 v95, v93
	v_pk_add_f32 v[84:85], v[84:85], v[90:91]
	v_pk_fma_f32 v[90:91], v[124:125], v[108:109], v[96:97] neg_lo:[0,0,1] neg_hi:[0,0,1]
	v_mov_b32_e32 v91, v89
	v_pk_fma_f32 v[88:89], v[126:127], v[110:111], v[86:87] op_sel_hi:[1,0,1]
	s_wait_loadcnt_dscnt 0x100
	v_pk_mul_f32 v[92:93], v[144:145], v[140:141] op_sel:[1,1] op_sel_hi:[0,1]
	v_pk_add_f32 v[84:85], v[84:85], v[94:95]
	v_pk_fma_f32 v[86:87], v[126:127], v[110:111], v[86:87] neg_lo:[0,0,1] neg_hi:[0,0,1]
	v_mov_b32_e32 v87, v89
	s_delay_alu instid0(VALU_DEP_4) | instskip(NEXT) | instid1(VALU_DEP_4)
	v_pk_fma_f32 v[88:89], v[144:145], v[140:141], v[92:93] op_sel_hi:[1,0,1]
	v_pk_add_f32 v[84:85], v[84:85], v[90:91]
	v_pk_fma_f32 v[90:91], v[144:145], v[140:141], v[92:93] neg_lo:[0,0,1] neg_hi:[0,0,1]
	s_delay_alu instid0(VALU_DEP_3) | instskip(NEXT) | instid1(VALU_DEP_3)
	v_mov_b32_e32 v91, v89
	v_pk_add_f32 v[84:85], v[84:85], v[86:87]
	s_delay_alu instid0(VALU_DEP_1) | instskip(SKIP_1) | instid1(VALU_DEP_1)
	v_pk_add_f32 v[84:85], v[84:85], v[90:91]
	s_wait_loadcnt 0x0
	v_pk_add_f32 v[84:85], v[142:143], v[84:85] neg_lo:[0,1] neg_hi:[0,1]
	scratch_store_b64 off, v[84:85], off offset:200
	s_wait_xcnt 0x0
	v_cmpx_lt_u32_e32 24, v0
	s_cbranch_execz .LBB40_211
; %bb.210:
	scratch_load_b64 v[84:85], off, off offset:192
	v_mov_b64_e32 v[86:87], 0
	scratch_store_b64 off, v[86:87], off offset:192
	s_wait_loadcnt 0x0
	ds_store_b64 v1, v[84:85]
.LBB40_211:
	s_wait_xcnt 0x0
	s_or_b32 exec_lo, exec_lo, s0
	s_wait_storecnt_dscnt 0x0
	s_barrier_signal -1
	s_barrier_wait -1
	s_clause 0x8
	scratch_load_b128 v[84:87], off, off offset:200
	scratch_load_b128 v[88:91], off, off offset:216
	;; [unrolled: 1-line block ×8, first 2 shown]
	scratch_load_b64 v[148:149], off, off offset:192
	ds_load_2addr_b64 v[116:119], v5 offset0:75 offset1:76
	ds_load_2addr_b64 v[120:123], v5 offset0:77 offset1:78
	;; [unrolled: 1-line block ×8, first 2 shown]
	s_mov_b32 s0, exec_lo
	s_wait_dscnt 0x7
	v_dual_mov_b32 v150, v119 :: v_dual_mov_b32 v151, v118
	s_wait_dscnt 0x6
	v_dual_mov_b32 v152, v123 :: v_dual_mov_b32 v153, v122
	;; [unrolled: 2-line block ×4, first 2 shown]
	s_wait_loadcnt_dscnt 0x803
	v_dual_mul_f32 v5, v132, v85 :: v_dual_mul_f32 v9, v134, v87
	v_dual_mul_f32 v19, v133, v85 :: v_dual_mul_f32 v21, v135, v87
	s_wait_loadcnt_dscnt 0x702
	v_dual_mul_f32 v11, v136, v89 :: v_dual_mul_f32 v13, v138, v91
	s_delay_alu instid0(VALU_DEP_2) | instskip(SKIP_3) | instid1(VALU_DEP_3)
	v_dual_fmac_f32 v5, v133, v84 :: v_dual_fma_f32 v19, v132, v84, -v19
	v_dual_mul_f32 v23, v137, v89 :: v_dual_mul_f32 v25, v139, v91
	s_wait_loadcnt_dscnt 0x500
	v_dual_mul_f32 v31, v145, v97 :: v_dual_fmac_f32 v9, v135, v86
	v_dual_fma_f32 v21, v134, v86, -v21 :: v_dual_add_f32 v5, 0, v5
	v_dual_add_f32 v19, 0, v19 :: v_dual_fmac_f32 v11, v137, v88
	v_dual_mul_f32 v33, v147, v99 :: v_dual_fma_f32 v23, v136, v88, -v23
	s_delay_alu instid0(VALU_DEP_3) | instskip(NEXT) | instid1(VALU_DEP_3)
	v_dual_add_f32 v5, v5, v9 :: v_dual_fmac_f32 v13, v139, v90
	v_dual_add_f32 v9, v19, v21 :: v_dual_fma_f32 v19, v138, v90, -v25
	v_dual_mul_f32 v15, v140, v93 :: v_dual_mul_f32 v17, v142, v95
	v_dual_mul_f32 v27, v141, v93 :: v_dual_mul_f32 v29, v143, v95
	s_wait_loadcnt 0x4
	v_dual_add_f32 v5, v5, v11 :: v_dual_mov_b32 v86, v103
	s_delay_alu instid0(VALU_DEP_2) | instskip(SKIP_2) | instid1(VALU_DEP_4)
	v_dual_add_f32 v9, v9, v23 :: v_dual_fma_f32 v11, v140, v92, -v27
	v_pk_mul_f32 v[84:85], v[116:117], v[100:101] op_sel:[1,1] op_sel_hi:[0,1]
	v_dual_fmac_f32 v15, v141, v92 :: v_dual_fmac_f32 v17, v143, v94
	v_dual_add_f32 v5, v5, v13 :: v_dual_fma_f32 v13, v142, v94, -v29
	s_wait_loadcnt 0x3
	v_dual_add_f32 v9, v9, v19 :: v_dual_mov_b32 v90, v107
	v_dual_mul_f32 v159, v144, v97 :: v_dual_mul_f32 v161, v146, v99
	s_delay_alu instid0(VALU_DEP_3) | instskip(NEXT) | instid1(VALU_DEP_3)
	v_dual_add_f32 v5, v5, v15 :: v_dual_fma_f32 v158, v144, v96, -v31
	v_add_f32_e32 v9, v9, v11
	v_pk_fma_f32 v[94:95], v[116:117], v[100:101], v[84:85] op_sel_hi:[1,0,1]
	v_pk_mul_f32 v[86:87], v[150:151], v[86:87] op_sel_hi:[1,0]
	v_pk_fma_f32 v[84:85], v[116:117], v[100:101], v[84:85] neg_lo:[0,0,1] neg_hi:[0,0,1]
	v_dual_fmac_f32 v159, v145, v96 :: v_dual_fma_f32 v160, v146, v98, -v33
	s_delay_alu instid0(VALU_DEP_4)
	v_dual_add_f32 v93, v5, v17 :: v_dual_mov_b32 v85, v95
	v_fmac_f32_e32 v161, v147, v98
	v_pk_fma_f32 v[94:95], v[118:119], v[102:103], v[86:87] op_sel_hi:[1,0,1]
	v_add_f32_e32 v92, v9, v13
	v_pk_fma_f32 v[86:87], v[118:119], v[102:103], v[86:87] neg_lo:[0,0,1] neg_hi:[0,0,1]
	v_pk_mul_f32 v[88:89], v[120:121], v[104:105] op_sel:[1,1] op_sel_hi:[0,1]
	v_pk_mul_f32 v[90:91], v[152:153], v[90:91] op_sel_hi:[1,0]
	v_mov_b32_e32 v87, v95
	v_pk_add_f32 v[92:93], v[92:93], v[158:159]
	s_wait_loadcnt 0x2
	v_pk_mul_f32 v[96:97], v[124:125], v[108:109] op_sel:[1,1] op_sel_hi:[0,1]
	v_pk_fma_f32 v[98:99], v[120:121], v[104:105], v[88:89] op_sel_hi:[1,0,1]
	v_pk_fma_f32 v[88:89], v[120:121], v[104:105], v[88:89] neg_lo:[0,0,1] neg_hi:[0,0,1]
	v_pk_fma_f32 v[94:95], v[122:123], v[106:107], v[90:91] op_sel_hi:[1,0,1]
	v_pk_add_f32 v[92:93], v[92:93], v[160:161]
	v_pk_fma_f32 v[90:91], v[122:123], v[106:107], v[90:91] neg_lo:[0,0,1] neg_hi:[0,0,1]
	v_mov_b32_e32 v89, v99
	s_delay_alu instid0(VALU_DEP_3) | instskip(SKIP_1) | instid1(VALU_DEP_2)
	v_pk_add_f32 v[84:85], v[92:93], v[84:85]
	v_mov_b32_e32 v92, v111
	v_pk_add_f32 v[84:85], v[84:85], v[86:87]
	v_pk_fma_f32 v[86:87], v[124:125], v[108:109], v[96:97] op_sel_hi:[1,0,1]
	s_delay_alu instid0(VALU_DEP_3)
	v_pk_mul_f32 v[92:93], v[154:155], v[92:93] op_sel_hi:[1,0]
	v_mov_b32_e32 v91, v95
	v_pk_fma_f32 v[94:95], v[124:125], v[108:109], v[96:97] neg_lo:[0,0,1] neg_hi:[0,0,1]
	v_pk_add_f32 v[84:85], v[84:85], v[88:89]
	v_mov_b32_e32 v95, v87
	v_pk_fma_f32 v[86:87], v[126:127], v[110:111], v[92:93] op_sel_hi:[1,0,1]
	s_wait_loadcnt 0x1
	v_pk_mul_f32 v[88:89], v[128:129], v[112:113] op_sel:[1,1] op_sel_hi:[0,1]
	v_mov_b32_e32 v86, v115
	v_pk_add_f32 v[84:85], v[84:85], v[90:91]
	v_pk_fma_f32 v[92:93], v[126:127], v[110:111], v[92:93] neg_lo:[0,0,1] neg_hi:[0,0,1]
	v_mov_b32_e32 v93, v87
	v_pk_fma_f32 v[90:91], v[128:129], v[112:113], v[88:89] op_sel_hi:[1,0,1]
	v_pk_mul_f32 v[86:87], v[156:157], v[86:87] op_sel_hi:[1,0]
	v_pk_add_f32 v[84:85], v[84:85], v[94:95]
	v_pk_fma_f32 v[88:89], v[128:129], v[112:113], v[88:89] neg_lo:[0,0,1] neg_hi:[0,0,1]
	s_delay_alu instid0(VALU_DEP_4) | instskip(NEXT) | instid1(VALU_DEP_4)
	v_mov_b32_e32 v89, v91
	v_pk_fma_f32 v[90:91], v[130:131], v[114:115], v[86:87] op_sel_hi:[1,0,1]
	s_delay_alu instid0(VALU_DEP_4) | instskip(SKIP_1) | instid1(VALU_DEP_3)
	v_pk_add_f32 v[84:85], v[84:85], v[92:93]
	v_pk_fma_f32 v[86:87], v[130:131], v[114:115], v[86:87] neg_lo:[0,0,1] neg_hi:[0,0,1]
	v_mov_b32_e32 v87, v91
	s_delay_alu instid0(VALU_DEP_3) | instskip(NEXT) | instid1(VALU_DEP_1)
	v_pk_add_f32 v[84:85], v[84:85], v[88:89]
	v_pk_add_f32 v[84:85], v[84:85], v[86:87]
	s_wait_loadcnt 0x0
	s_delay_alu instid0(VALU_DEP_1)
	v_pk_add_f32 v[84:85], v[148:149], v[84:85] neg_lo:[0,1] neg_hi:[0,1]
	scratch_store_b64 off, v[84:85], off offset:192
	s_wait_xcnt 0x0
	v_cmpx_lt_u32_e32 23, v0
	s_cbranch_execz .LBB40_213
; %bb.212:
	scratch_load_b64 v[84:85], off, off offset:184
	v_mov_b64_e32 v[86:87], 0
	scratch_store_b64 off, v[86:87], off offset:184
	s_wait_loadcnt 0x0
	ds_store_b64 v1, v[84:85]
.LBB40_213:
	s_wait_xcnt 0x0
	s_or_b32 exec_lo, exec_lo, s0
	s_wait_storecnt_dscnt 0x0
	s_barrier_signal -1
	s_barrier_wait -1
	s_clause 0x9
	scratch_load_b128 v[84:87], off, off offset:192
	scratch_load_b128 v[88:91], off, off offset:208
	;; [unrolled: 1-line block ×8, first 2 shown]
	scratch_load_b64 v[148:149], off, off offset:320
	scratch_load_b64 v[150:151], off, off offset:184
	v_mov_b32_e32 v5, 0
	ds_load_b128 v[116:119], v5 offset:592
	ds_load_b128 v[120:123], v5 offset:608
	;; [unrolled: 1-line block ×8, first 2 shown]
	ds_load_b64 v[152:153], v5 offset:656
	s_mov_b32 s0, exec_lo
	s_wait_dscnt 0x8
	v_dual_mov_b32 v154, v119 :: v_dual_mov_b32 v155, v118
	s_wait_dscnt 0x5
	v_dual_mov_b32 v156, v123 :: v_dual_mov_b32 v161, v130
	v_dual_mov_b32 v157, v122 :: v_dual_mov_b32 v158, v127
	;; [unrolled: 1-line block ×3, first 2 shown]
	s_wait_loadcnt_dscnt 0x904
	v_dual_mul_f32 v9, v132, v85 :: v_dual_mul_f32 v23, v133, v85
	v_dual_mul_f32 v25, v135, v87 :: v_dual_mul_f32 v11, v134, v87
	s_wait_loadcnt_dscnt 0x803
	v_mul_f32_e32 v13, v136, v89
	s_wait_loadcnt_dscnt 0x601
	v_dual_mul_f32 v35, v145, v97 :: v_dual_fma_f32 v23, v132, v84, -v23
	v_dual_fmac_f32 v9, v133, v84 :: v_dual_mul_f32 v37, v147, v99
	v_dual_mul_f32 v27, v137, v89 :: v_dual_mul_f32 v29, v139, v91
	v_dual_fmac_f32 v11, v135, v86 :: v_dual_fma_f32 v25, v134, v86, -v25
	s_delay_alu instid0(VALU_DEP_3)
	v_dual_add_f32 v9, 0, v9 :: v_dual_add_f32 v23, 0, v23
	v_dual_mul_f32 v15, v138, v91 :: v_dual_mul_f32 v17, v140, v93
	s_wait_loadcnt 0x5
	v_dual_mul_f32 v39, v117, v101 :: v_dual_fma_f32 v27, v136, v88, -v27
	v_fmac_f32_e32 v13, v137, v88
	v_dual_add_f32 v9, v9, v11 :: v_dual_mov_b32 v84, v103
	v_add_f32_e32 v11, v23, v25
	v_dual_mul_f32 v31, v141, v93 :: v_dual_mul_f32 v33, v143, v95
	v_dual_fmac_f32 v15, v139, v90 :: v_dual_fma_f32 v23, v138, v90, -v29
	s_delay_alu instid0(VALU_DEP_3) | instskip(SKIP_1) | instid1(VALU_DEP_4)
	v_dual_add_f32 v9, v9, v13 :: v_dual_add_f32 v11, v11, v27
	v_dual_mul_f32 v19, v142, v95 :: v_dual_mul_f32 v21, v144, v97
	v_dual_fmac_f32 v17, v141, v92 :: v_dual_fma_f32 v13, v140, v92, -v31
	s_wait_loadcnt 0x4
	s_delay_alu instid0(VALU_DEP_3) | instskip(SKIP_1) | instid1(VALU_DEP_2)
	v_dual_add_f32 v9, v9, v15 :: v_dual_mov_b32 v88, v107
	v_dual_add_f32 v11, v11, v23 :: v_dual_fma_f32 v15, v142, v94, -v33
	v_dual_fmac_f32 v19, v143, v94 :: v_dual_add_f32 v9, v9, v17
	v_dual_mul_f32 v163, v146, v99 :: v_dual_mul_f32 v165, v116, v101
	s_delay_alu instid0(VALU_DEP_3) | instskip(NEXT) | instid1(VALU_DEP_3)
	v_dual_add_f32 v11, v11, v13 :: v_dual_fmac_f32 v21, v145, v96
	v_dual_fma_f32 v13, v144, v96, -v35 :: v_dual_add_f32 v9, v9, v19
	s_delay_alu instid0(VALU_DEP_3) | instskip(NEXT) | instid1(VALU_DEP_3)
	v_fmac_f32_e32 v163, v147, v98
	v_dual_add_f32 v11, v11, v15 :: v_dual_fma_f32 v162, v146, v98, -v37
	v_pk_mul_f32 v[84:85], v[154:155], v[84:85] op_sel_hi:[1,0]
	s_delay_alu instid0(VALU_DEP_4) | instskip(SKIP_1) | instid1(VALU_DEP_4)
	v_add_f32_e32 v93, v9, v21
	v_pk_mul_f32 v[86:87], v[120:121], v[104:105] op_sel:[1,1] op_sel_hi:[0,1]
	v_dual_add_f32 v92, v11, v13 :: v_dual_fmac_f32 v165, v117, v100
	s_wait_loadcnt 0x3
	v_dual_mov_b32 v94, v111 :: v_dual_fma_f32 v164, v116, v100, -v39
	v_pk_fma_f32 v[96:97], v[118:119], v[102:103], v[84:85] op_sel_hi:[1,0,1]
	s_delay_alu instid0(VALU_DEP_3)
	v_pk_add_f32 v[92:93], v[92:93], v[162:163]
	v_pk_fma_f32 v[84:85], v[118:119], v[102:103], v[84:85] neg_lo:[0,0,1] neg_hi:[0,0,1]
	v_pk_fma_f32 v[98:99], v[120:121], v[104:105], v[86:87] op_sel_hi:[1,0,1]
	v_pk_mul_f32 v[88:89], v[156:157], v[88:89] op_sel_hi:[1,0]
	v_mov_b32_e32 v85, v97
	v_pk_add_f32 v[92:93], v[92:93], v[164:165]
	v_pk_fma_f32 v[86:87], v[120:121], v[104:105], v[86:87] neg_lo:[0,0,1] neg_hi:[0,0,1]
	v_pk_mul_f32 v[90:91], v[124:125], v[108:109] op_sel:[1,1] op_sel_hi:[0,1]
	v_mov_b32_e32 v87, v99
	v_pk_fma_f32 v[98:99], v[122:123], v[106:107], v[88:89] op_sel_hi:[1,0,1]
	v_pk_add_f32 v[84:85], v[92:93], v[84:85]
	v_pk_fma_f32 v[88:89], v[122:123], v[106:107], v[88:89] neg_lo:[0,0,1] neg_hi:[0,0,1]
	v_pk_fma_f32 v[92:93], v[124:125], v[108:109], v[90:91] op_sel_hi:[1,0,1]
	v_pk_mul_f32 v[94:95], v[158:159], v[94:95] op_sel_hi:[1,0]
	v_mov_b32_e32 v89, v99
	v_pk_add_f32 v[84:85], v[84:85], v[86:87]
	v_pk_fma_f32 v[90:91], v[124:125], v[108:109], v[90:91] neg_lo:[0,0,1] neg_hi:[0,0,1]
	s_wait_loadcnt 0x2
	v_pk_mul_f32 v[96:97], v[128:129], v[112:113] op_sel:[1,1] op_sel_hi:[0,1]
	v_dual_mov_b32 v86, v115 :: v_dual_mov_b32 v91, v93
	v_pk_fma_f32 v[92:93], v[126:127], v[110:111], v[94:95] op_sel_hi:[1,0,1]
	v_pk_add_f32 v[84:85], v[84:85], v[88:89]
	v_pk_fma_f32 v[94:95], v[126:127], v[110:111], v[94:95] neg_lo:[0,0,1] neg_hi:[0,0,1]
	v_pk_fma_f32 v[88:89], v[128:129], v[112:113], v[96:97] op_sel_hi:[1,0,1]
	v_pk_mul_f32 v[86:87], v[160:161], v[86:87] op_sel_hi:[1,0]
	v_mov_b32_e32 v95, v93
	v_pk_add_f32 v[84:85], v[84:85], v[90:91]
	v_pk_fma_f32 v[90:91], v[128:129], v[112:113], v[96:97] neg_lo:[0,0,1] neg_hi:[0,0,1]
	v_mov_b32_e32 v91, v89
	v_pk_fma_f32 v[88:89], v[130:131], v[114:115], v[86:87] op_sel_hi:[1,0,1]
	s_wait_loadcnt_dscnt 0x100
	v_pk_mul_f32 v[92:93], v[152:153], v[148:149] op_sel:[1,1] op_sel_hi:[0,1]
	v_pk_add_f32 v[84:85], v[84:85], v[94:95]
	v_pk_fma_f32 v[86:87], v[130:131], v[114:115], v[86:87] neg_lo:[0,0,1] neg_hi:[0,0,1]
	v_mov_b32_e32 v87, v89
	s_delay_alu instid0(VALU_DEP_4) | instskip(NEXT) | instid1(VALU_DEP_4)
	v_pk_fma_f32 v[88:89], v[152:153], v[148:149], v[92:93] op_sel_hi:[1,0,1]
	v_pk_add_f32 v[84:85], v[84:85], v[90:91]
	v_pk_fma_f32 v[90:91], v[152:153], v[148:149], v[92:93] neg_lo:[0,0,1] neg_hi:[0,0,1]
	s_delay_alu instid0(VALU_DEP_3) | instskip(NEXT) | instid1(VALU_DEP_3)
	v_mov_b32_e32 v91, v89
	v_pk_add_f32 v[84:85], v[84:85], v[86:87]
	s_delay_alu instid0(VALU_DEP_1) | instskip(SKIP_1) | instid1(VALU_DEP_1)
	v_pk_add_f32 v[84:85], v[84:85], v[90:91]
	s_wait_loadcnt 0x0
	v_pk_add_f32 v[84:85], v[150:151], v[84:85] neg_lo:[0,1] neg_hi:[0,1]
	scratch_store_b64 off, v[84:85], off offset:184
	s_wait_xcnt 0x0
	v_cmpx_lt_u32_e32 22, v0
	s_cbranch_execz .LBB40_215
; %bb.214:
	scratch_load_b64 v[84:85], off, off offset:176
	v_mov_b64_e32 v[86:87], 0
	scratch_store_b64 off, v[86:87], off offset:176
	s_wait_loadcnt 0x0
	ds_store_b64 v1, v[84:85]
.LBB40_215:
	s_wait_xcnt 0x0
	s_or_b32 exec_lo, exec_lo, s0
	s_wait_storecnt_dscnt 0x0
	s_barrier_signal -1
	s_barrier_wait -1
	s_clause 0x9
	scratch_load_b128 v[84:87], off, off offset:184
	scratch_load_b128 v[88:91], off, off offset:200
	;; [unrolled: 1-line block ×9, first 2 shown]
	scratch_load_b64 v[156:157], off, off offset:176
	ds_load_2addr_b64 v[120:123], v5 offset0:75 offset1:76
	ds_load_2addr_b64 v[124:127], v5 offset0:77 offset1:78
	;; [unrolled: 1-line block ×9, first 2 shown]
	s_mov_b32 s0, exec_lo
	s_wait_dscnt 0x8
	v_dual_mov_b32 v158, v123 :: v_dual_mov_b32 v159, v122
	s_wait_dscnt 0x7
	v_dual_mov_b32 v160, v127 :: v_dual_mov_b32 v161, v126
	;; [unrolled: 2-line block ×4, first 2 shown]
	s_wait_loadcnt_dscnt 0x904
	v_dual_mul_f32 v5, v136, v85 :: v_dual_mul_f32 v9, v138, v87
	v_dual_mul_f32 v23, v137, v85 :: v_dual_mul_f32 v25, v139, v87
	s_wait_loadcnt_dscnt 0x803
	v_dual_mul_f32 v11, v140, v89 :: v_dual_mul_f32 v13, v142, v91
	s_delay_alu instid0(VALU_DEP_2) | instskip(SKIP_3) | instid1(VALU_DEP_3)
	v_dual_fmac_f32 v5, v137, v84 :: v_dual_fma_f32 v23, v136, v84, -v23
	v_dual_mul_f32 v27, v141, v89 :: v_dual_mul_f32 v29, v143, v91
	s_wait_loadcnt_dscnt 0x601
	v_dual_mul_f32 v35, v149, v97 :: v_dual_fmac_f32 v9, v139, v86
	v_dual_fma_f32 v25, v138, v86, -v25 :: v_dual_add_f32 v5, 0, v5
	v_dual_add_f32 v23, 0, v23 :: v_dual_fmac_f32 v11, v141, v88
	v_dual_mul_f32 v37, v151, v99 :: v_dual_fma_f32 v27, v140, v88, -v27
	s_delay_alu instid0(VALU_DEP_3) | instskip(NEXT) | instid1(VALU_DEP_3)
	v_dual_add_f32 v5, v5, v9 :: v_dual_fmac_f32 v13, v143, v90
	v_dual_add_f32 v9, v23, v25 :: v_dual_fma_f32 v25, v142, v90, -v29
	v_dual_mul_f32 v15, v144, v93 :: v_dual_mul_f32 v17, v146, v95
	v_dual_mul_f32 v31, v145, v93 :: v_dual_mul_f32 v33, v147, v95
	s_delay_alu instid0(VALU_DEP_4) | instskip(NEXT) | instid1(VALU_DEP_3)
	v_add_f32_e32 v5, v5, v11
	v_dual_add_f32 v9, v9, v27 :: v_dual_fmac_f32 v17, v147, v94
	s_delay_alu instid0(VALU_DEP_4) | instskip(NEXT) | instid1(VALU_DEP_3)
	v_fmac_f32_e32 v15, v145, v92
	v_dual_fma_f32 v27, v144, v92, -v31 :: v_dual_add_f32 v5, v5, v13
	s_wait_loadcnt 0x4
	s_delay_alu instid0(VALU_DEP_3) | instskip(SKIP_1) | instid1(VALU_DEP_3)
	v_dual_mov_b32 v86, v107 :: v_dual_add_f32 v9, v9, v25
	v_dual_mul_f32 v19, v148, v97 :: v_dual_mul_f32 v21, v150, v99
	v_dual_fma_f32 v13, v146, v94, -v33 :: v_dual_add_f32 v5, v5, v15
	s_delay_alu instid0(VALU_DEP_3)
	v_dual_fma_f32 v15, v148, v96, -v35 :: v_dual_add_f32 v9, v9, v27
	s_wait_dscnt 0x0
	v_dual_mul_f32 v167, v152, v101 :: v_dual_mul_f32 v169, v154, v103
	v_dual_mul_f32 v23, v153, v101 :: v_dual_mul_f32 v11, v155, v103
	v_pk_mul_f32 v[84:85], v[120:121], v[104:105] op_sel:[1,1] op_sel_hi:[0,1]
	s_wait_loadcnt 0x3
	v_dual_fmac_f32 v19, v149, v96 :: v_dual_mov_b32 v90, v111
	v_dual_add_f32 v9, v9, v13 :: v_dual_fmac_f32 v169, v155, v102
	v_dual_fmac_f32 v21, v151, v98 :: v_dual_add_f32 v5, v5, v17
	v_fma_f32 v166, v152, v100, -v23
	v_pk_mul_f32 v[88:89], v[124:125], v[108:109] op_sel:[1,1] op_sel_hi:[0,1]
	v_fma_f32 v13, v150, v98, -v37
	v_pk_fma_f32 v[94:95], v[120:121], v[104:105], v[84:85] op_sel_hi:[1,0,1]
	v_dual_add_f32 v5, v5, v19 :: v_dual_fma_f32 v168, v154, v102, -v11
	v_add_f32_e32 v9, v9, v15
	v_pk_mul_f32 v[86:87], v[158:159], v[86:87] op_sel_hi:[1,0]
	v_pk_fma_f32 v[84:85], v[120:121], v[104:105], v[84:85] neg_lo:[0,0,1] neg_hi:[0,0,1]
	s_delay_alu instid0(VALU_DEP_4)
	v_dual_add_f32 v93, v5, v21 :: v_dual_mov_b32 v85, v95
	v_pk_fma_f32 v[98:99], v[124:125], v[108:109], v[88:89] op_sel_hi:[1,0,1]
	v_add_f32_e32 v92, v9, v13
	v_pk_fma_f32 v[94:95], v[122:123], v[106:107], v[86:87] op_sel_hi:[1,0,1]
	v_fmac_f32_e32 v167, v153, v100
	v_pk_fma_f32 v[86:87], v[122:123], v[106:107], v[86:87] neg_lo:[0,0,1] neg_hi:[0,0,1]
	v_pk_fma_f32 v[88:89], v[124:125], v[108:109], v[88:89] neg_lo:[0,0,1] neg_hi:[0,0,1]
	s_delay_alu instid0(VALU_DEP_4) | instskip(NEXT) | instid1(VALU_DEP_4)
	v_dual_mov_b32 v89, v99 :: v_dual_mov_b32 v87, v95
	v_pk_add_f32 v[92:93], v[92:93], v[166:167]
	v_pk_mul_f32 v[90:91], v[160:161], v[90:91] op_sel_hi:[1,0]
	s_wait_loadcnt 0x2
	v_pk_mul_f32 v[96:97], v[128:129], v[112:113] op_sel:[1,1] op_sel_hi:[0,1]
	s_delay_alu instid0(VALU_DEP_3) | instskip(NEXT) | instid1(VALU_DEP_3)
	v_pk_add_f32 v[92:93], v[92:93], v[168:169]
	v_pk_fma_f32 v[94:95], v[126:127], v[110:111], v[90:91] op_sel_hi:[1,0,1]
	v_pk_fma_f32 v[90:91], v[126:127], v[110:111], v[90:91] neg_lo:[0,0,1] neg_hi:[0,0,1]
	s_delay_alu instid0(VALU_DEP_3) | instskip(SKIP_1) | instid1(VALU_DEP_2)
	v_pk_add_f32 v[84:85], v[92:93], v[84:85]
	v_mov_b32_e32 v92, v115
	v_pk_add_f32 v[84:85], v[84:85], v[86:87]
	v_pk_fma_f32 v[86:87], v[128:129], v[112:113], v[96:97] op_sel_hi:[1,0,1]
	s_delay_alu instid0(VALU_DEP_3)
	v_pk_mul_f32 v[92:93], v[162:163], v[92:93] op_sel_hi:[1,0]
	v_mov_b32_e32 v91, v95
	v_pk_fma_f32 v[94:95], v[128:129], v[112:113], v[96:97] neg_lo:[0,0,1] neg_hi:[0,0,1]
	v_pk_add_f32 v[84:85], v[84:85], v[88:89]
	v_mov_b32_e32 v95, v87
	v_pk_fma_f32 v[86:87], v[130:131], v[114:115], v[92:93] op_sel_hi:[1,0,1]
	s_wait_loadcnt 0x1
	v_pk_mul_f32 v[88:89], v[132:133], v[116:117] op_sel:[1,1] op_sel_hi:[0,1]
	v_mov_b32_e32 v86, v119
	v_pk_add_f32 v[84:85], v[84:85], v[90:91]
	v_pk_fma_f32 v[92:93], v[130:131], v[114:115], v[92:93] neg_lo:[0,0,1] neg_hi:[0,0,1]
	v_mov_b32_e32 v93, v87
	v_pk_fma_f32 v[90:91], v[132:133], v[116:117], v[88:89] op_sel_hi:[1,0,1]
	v_pk_mul_f32 v[86:87], v[164:165], v[86:87] op_sel_hi:[1,0]
	v_pk_add_f32 v[84:85], v[84:85], v[94:95]
	v_pk_fma_f32 v[88:89], v[132:133], v[116:117], v[88:89] neg_lo:[0,0,1] neg_hi:[0,0,1]
	s_delay_alu instid0(VALU_DEP_4) | instskip(NEXT) | instid1(VALU_DEP_4)
	v_mov_b32_e32 v89, v91
	v_pk_fma_f32 v[90:91], v[134:135], v[118:119], v[86:87] op_sel_hi:[1,0,1]
	s_delay_alu instid0(VALU_DEP_4) | instskip(SKIP_1) | instid1(VALU_DEP_3)
	v_pk_add_f32 v[84:85], v[84:85], v[92:93]
	v_pk_fma_f32 v[86:87], v[134:135], v[118:119], v[86:87] neg_lo:[0,0,1] neg_hi:[0,0,1]
	v_mov_b32_e32 v87, v91
	s_delay_alu instid0(VALU_DEP_3) | instskip(NEXT) | instid1(VALU_DEP_1)
	v_pk_add_f32 v[84:85], v[84:85], v[88:89]
	v_pk_add_f32 v[84:85], v[84:85], v[86:87]
	s_wait_loadcnt 0x0
	s_delay_alu instid0(VALU_DEP_1)
	v_pk_add_f32 v[84:85], v[156:157], v[84:85] neg_lo:[0,1] neg_hi:[0,1]
	scratch_store_b64 off, v[84:85], off offset:176
	s_wait_xcnt 0x0
	v_cmpx_lt_u32_e32 21, v0
	s_cbranch_execz .LBB40_217
; %bb.216:
	scratch_load_b64 v[84:85], off, off offset:168
	v_mov_b64_e32 v[86:87], 0
	scratch_store_b64 off, v[86:87], off offset:168
	s_wait_loadcnt 0x0
	ds_store_b64 v1, v[84:85]
.LBB40_217:
	s_wait_xcnt 0x0
	s_or_b32 exec_lo, exec_lo, s0
	s_wait_storecnt_dscnt 0x0
	s_barrier_signal -1
	s_barrier_wait -1
	s_clause 0xa
	scratch_load_b128 v[84:87], off, off offset:176
	scratch_load_b128 v[88:91], off, off offset:192
	;; [unrolled: 1-line block ×9, first 2 shown]
	scratch_load_b64 v[156:157], off, off offset:320
	scratch_load_b64 v[158:159], off, off offset:168
	v_mov_b32_e32 v5, 0
	ds_load_b128 v[120:123], v5 offset:592
	ds_load_b128 v[124:127], v5 offset:608
	;; [unrolled: 1-line block ×9, first 2 shown]
	ds_load_b64 v[160:161], v5 offset:656
	s_mov_b32 s0, exec_lo
	s_wait_dscnt 0x9
	v_dual_mov_b32 v162, v123 :: v_dual_mov_b32 v163, v122
	s_wait_dscnt 0x6
	v_dual_mov_b32 v164, v127 :: v_dual_mov_b32 v169, v134
	v_dual_mov_b32 v165, v126 :: v_dual_mov_b32 v166, v131
	;; [unrolled: 1-line block ×3, first 2 shown]
	s_wait_loadcnt_dscnt 0xa05
	v_dual_mul_f32 v9, v136, v85 :: v_dual_mul_f32 v27, v137, v85
	v_dual_mul_f32 v29, v139, v87 :: v_dual_mul_f32 v11, v138, v87
	s_wait_loadcnt_dscnt 0x904
	v_mul_f32_e32 v13, v140, v89
	s_wait_loadcnt_dscnt 0x702
	v_dual_mul_f32 v39, v149, v97 :: v_dual_fma_f32 v27, v136, v84, -v27
	v_dual_fmac_f32 v9, v137, v84 :: v_dual_mul_f32 v41, v151, v99
	v_dual_mul_f32 v31, v141, v89 :: v_dual_mul_f32 v33, v143, v91
	v_dual_fmac_f32 v11, v139, v86 :: v_dual_fma_f32 v29, v138, v86, -v29
	s_delay_alu instid0(VALU_DEP_3) | instskip(SKIP_4) | instid1(VALU_DEP_3)
	v_dual_add_f32 v9, 0, v9 :: v_dual_add_f32 v27, 0, v27
	v_dual_mul_f32 v15, v142, v91 :: v_dual_mul_f32 v17, v144, v93
	s_wait_loadcnt_dscnt 0x601
	v_dual_mul_f32 v43, v153, v101 :: v_dual_fma_f32 v31, v140, v88, -v31
	v_fmac_f32_e32 v13, v141, v88
	v_dual_add_f32 v9, v9, v11 :: v_dual_fmac_f32 v15, v143, v90
	v_add_f32_e32 v11, v27, v29
	v_dual_mul_f32 v35, v145, v93 :: v_dual_mul_f32 v37, v147, v95
	v_dual_mul_f32 v27, v155, v103 :: v_dual_fma_f32 v29, v142, v90, -v33
	s_delay_alu instid0(VALU_DEP_3) | instskip(SKIP_3) | instid1(VALU_DEP_3)
	v_dual_add_f32 v9, v9, v13 :: v_dual_add_f32 v11, v11, v31
	v_dual_mul_f32 v19, v146, v95 :: v_dual_mul_f32 v21, v148, v97
	s_wait_loadcnt 0x5
	v_dual_mul_f32 v13, v121, v105 :: v_dual_fma_f32 v31, v144, v92, -v35
	v_dual_fmac_f32 v17, v145, v92 :: v_dual_add_f32 v11, v11, v29
	v_dual_add_f32 v9, v9, v15 :: v_dual_mov_b32 v84, v107
	v_dual_fmac_f32 v19, v147, v94 :: v_dual_fma_f32 v15, v146, v94, -v37
	s_delay_alu instid0(VALU_DEP_2) | instskip(SKIP_3) | instid1(VALU_DEP_3)
	v_dual_add_f32 v11, v11, v31 :: v_dual_add_f32 v9, v9, v17
	v_dual_mul_f32 v23, v150, v99 :: v_dual_mul_f32 v25, v152, v101
	v_dual_fmac_f32 v21, v149, v96 :: v_dual_fma_f32 v17, v148, v96, -v39
	s_wait_loadcnt 0x4
	v_dual_add_f32 v9, v9, v19 :: v_dual_mov_b32 v88, v111
	v_dual_add_f32 v11, v11, v15 :: v_dual_fma_f32 v15, v150, v98, -v41
	s_delay_alu instid0(VALU_DEP_2) | instskip(SKIP_1) | instid1(VALU_DEP_3)
	v_dual_fmac_f32 v23, v151, v98 :: v_dual_add_f32 v9, v9, v21
	v_dual_mul_f32 v171, v154, v103 :: v_dual_mul_f32 v173, v120, v105
	v_dual_add_f32 v11, v11, v17 :: v_dual_fmac_f32 v25, v153, v100
	s_delay_alu instid0(VALU_DEP_3) | instskip(NEXT) | instid1(VALU_DEP_3)
	v_dual_fma_f32 v17, v152, v100, -v43 :: v_dual_add_f32 v9, v9, v23
	v_fmac_f32_e32 v171, v155, v102
	s_delay_alu instid0(VALU_DEP_3) | instskip(SKIP_1) | instid1(VALU_DEP_4)
	v_dual_add_f32 v11, v11, v15 :: v_dual_fma_f32 v170, v154, v102, -v27
	v_pk_mul_f32 v[84:85], v[162:163], v[84:85] op_sel_hi:[1,0]
	v_add_f32_e32 v93, v9, v25
	v_pk_mul_f32 v[86:87], v[124:125], v[108:109] op_sel:[1,1] op_sel_hi:[0,1]
	s_delay_alu instid0(VALU_DEP_4) | instskip(SKIP_3) | instid1(VALU_DEP_3)
	v_dual_add_f32 v92, v11, v17 :: v_dual_fmac_f32 v173, v121, v104
	s_wait_loadcnt 0x3
	v_dual_mov_b32 v94, v115 :: v_dual_fma_f32 v172, v120, v104, -v13
	v_pk_fma_f32 v[96:97], v[122:123], v[106:107], v[84:85] op_sel_hi:[1,0,1]
	v_pk_add_f32 v[92:93], v[92:93], v[170:171]
	v_pk_fma_f32 v[84:85], v[122:123], v[106:107], v[84:85] neg_lo:[0,0,1] neg_hi:[0,0,1]
	v_pk_fma_f32 v[98:99], v[124:125], v[108:109], v[86:87] op_sel_hi:[1,0,1]
	v_pk_mul_f32 v[88:89], v[164:165], v[88:89] op_sel_hi:[1,0]
	v_mov_b32_e32 v85, v97
	v_pk_add_f32 v[92:93], v[92:93], v[172:173]
	v_pk_fma_f32 v[86:87], v[124:125], v[108:109], v[86:87] neg_lo:[0,0,1] neg_hi:[0,0,1]
	v_pk_mul_f32 v[90:91], v[128:129], v[112:113] op_sel:[1,1] op_sel_hi:[0,1]
	v_mov_b32_e32 v87, v99
	v_pk_fma_f32 v[98:99], v[126:127], v[110:111], v[88:89] op_sel_hi:[1,0,1]
	v_pk_add_f32 v[84:85], v[92:93], v[84:85]
	v_pk_fma_f32 v[88:89], v[126:127], v[110:111], v[88:89] neg_lo:[0,0,1] neg_hi:[0,0,1]
	v_pk_fma_f32 v[92:93], v[128:129], v[112:113], v[90:91] op_sel_hi:[1,0,1]
	v_pk_mul_f32 v[94:95], v[166:167], v[94:95] op_sel_hi:[1,0]
	v_mov_b32_e32 v89, v99
	v_pk_add_f32 v[84:85], v[84:85], v[86:87]
	v_pk_fma_f32 v[90:91], v[128:129], v[112:113], v[90:91] neg_lo:[0,0,1] neg_hi:[0,0,1]
	s_wait_loadcnt 0x2
	v_pk_mul_f32 v[96:97], v[132:133], v[116:117] op_sel:[1,1] op_sel_hi:[0,1]
	v_dual_mov_b32 v86, v119 :: v_dual_mov_b32 v91, v93
	v_pk_fma_f32 v[92:93], v[130:131], v[114:115], v[94:95] op_sel_hi:[1,0,1]
	v_pk_add_f32 v[84:85], v[84:85], v[88:89]
	v_pk_fma_f32 v[94:95], v[130:131], v[114:115], v[94:95] neg_lo:[0,0,1] neg_hi:[0,0,1]
	v_pk_fma_f32 v[88:89], v[132:133], v[116:117], v[96:97] op_sel_hi:[1,0,1]
	v_pk_mul_f32 v[86:87], v[168:169], v[86:87] op_sel_hi:[1,0]
	v_mov_b32_e32 v95, v93
	v_pk_add_f32 v[84:85], v[84:85], v[90:91]
	v_pk_fma_f32 v[90:91], v[132:133], v[116:117], v[96:97] neg_lo:[0,0,1] neg_hi:[0,0,1]
	v_mov_b32_e32 v91, v89
	v_pk_fma_f32 v[88:89], v[134:135], v[118:119], v[86:87] op_sel_hi:[1,0,1]
	s_wait_loadcnt_dscnt 0x100
	v_pk_mul_f32 v[92:93], v[160:161], v[156:157] op_sel:[1,1] op_sel_hi:[0,1]
	v_pk_add_f32 v[84:85], v[84:85], v[94:95]
	v_pk_fma_f32 v[86:87], v[134:135], v[118:119], v[86:87] neg_lo:[0,0,1] neg_hi:[0,0,1]
	v_mov_b32_e32 v87, v89
	s_delay_alu instid0(VALU_DEP_4) | instskip(NEXT) | instid1(VALU_DEP_4)
	v_pk_fma_f32 v[88:89], v[160:161], v[156:157], v[92:93] op_sel_hi:[1,0,1]
	v_pk_add_f32 v[84:85], v[84:85], v[90:91]
	v_pk_fma_f32 v[90:91], v[160:161], v[156:157], v[92:93] neg_lo:[0,0,1] neg_hi:[0,0,1]
	s_delay_alu instid0(VALU_DEP_3) | instskip(NEXT) | instid1(VALU_DEP_3)
	v_mov_b32_e32 v91, v89
	v_pk_add_f32 v[84:85], v[84:85], v[86:87]
	s_delay_alu instid0(VALU_DEP_1) | instskip(SKIP_1) | instid1(VALU_DEP_1)
	v_pk_add_f32 v[84:85], v[84:85], v[90:91]
	s_wait_loadcnt 0x0
	v_pk_add_f32 v[84:85], v[158:159], v[84:85] neg_lo:[0,1] neg_hi:[0,1]
	scratch_store_b64 off, v[84:85], off offset:168
	s_wait_xcnt 0x0
	v_cmpx_lt_u32_e32 20, v0
	s_cbranch_execz .LBB40_219
; %bb.218:
	scratch_load_b64 v[84:85], off, off offset:160
	v_mov_b64_e32 v[86:87], 0
	scratch_store_b64 off, v[86:87], off offset:160
	s_wait_loadcnt 0x0
	ds_store_b64 v1, v[84:85]
.LBB40_219:
	s_wait_xcnt 0x0
	s_or_b32 exec_lo, exec_lo, s0
	s_wait_storecnt_dscnt 0x0
	s_barrier_signal -1
	s_barrier_wait -1
	s_clause 0xa
	scratch_load_b128 v[84:87], off, off offset:168
	scratch_load_b128 v[88:91], off, off offset:184
	;; [unrolled: 1-line block ×10, first 2 shown]
	scratch_load_b64 v[164:165], off, off offset:160
	ds_load_2addr_b64 v[124:127], v5 offset0:75 offset1:76
	ds_load_2addr_b64 v[128:131], v5 offset0:77 offset1:78
	;; [unrolled: 1-line block ×10, first 2 shown]
	s_mov_b32 s0, exec_lo
	s_wait_dscnt 0x9
	v_dual_mov_b32 v166, v127 :: v_dual_mov_b32 v167, v126
	s_wait_dscnt 0x8
	v_dual_mov_b32 v168, v131 :: v_dual_mov_b32 v169, v130
	s_wait_dscnt 0x7
	v_dual_mov_b32 v170, v135 :: v_dual_mov_b32 v171, v134
	s_wait_dscnt 0x6
	v_dual_mov_b32 v172, v139 :: v_dual_mov_b32 v173, v138
	s_wait_loadcnt_dscnt 0xa05
	v_dual_mul_f32 v5, v140, v85 :: v_dual_mul_f32 v9, v142, v87
	v_dual_mul_f32 v27, v141, v85 :: v_dual_mul_f32 v29, v143, v87
	s_wait_loadcnt_dscnt 0x904
	v_dual_mul_f32 v11, v144, v89 :: v_dual_mul_f32 v13, v146, v91
	s_delay_alu instid0(VALU_DEP_2) | instskip(SKIP_3) | instid1(VALU_DEP_3)
	v_dual_fmac_f32 v5, v141, v84 :: v_dual_fma_f32 v27, v140, v84, -v27
	v_dual_mul_f32 v31, v145, v89 :: v_dual_mul_f32 v33, v147, v91
	s_wait_loadcnt_dscnt 0x702
	v_dual_mul_f32 v39, v153, v97 :: v_dual_fmac_f32 v9, v143, v86
	v_dual_fma_f32 v29, v142, v86, -v29 :: v_dual_add_f32 v5, 0, v5
	v_dual_add_f32 v27, 0, v27 :: v_dual_fmac_f32 v11, v145, v88
	v_dual_mul_f32 v41, v155, v99 :: v_dual_fma_f32 v31, v144, v88, -v31
	s_delay_alu instid0(VALU_DEP_3) | instskip(NEXT) | instid1(VALU_DEP_3)
	v_dual_add_f32 v5, v5, v9 :: v_dual_fmac_f32 v13, v147, v90
	v_dual_add_f32 v9, v27, v29 :: v_dual_fma_f32 v29, v146, v90, -v33
	v_dual_mul_f32 v15, v148, v93 :: v_dual_mul_f32 v17, v150, v95
	v_dual_mul_f32 v35, v149, v93 :: v_dual_mul_f32 v37, v151, v95
	s_delay_alu instid0(VALU_DEP_4) | instskip(NEXT) | instid1(VALU_DEP_3)
	v_add_f32_e32 v5, v5, v11
	v_dual_add_f32 v9, v9, v31 :: v_dual_fmac_f32 v17, v151, v94
	s_delay_alu instid0(VALU_DEP_4) | instskip(NEXT) | instid1(VALU_DEP_3)
	v_fmac_f32_e32 v15, v149, v92
	v_dual_fma_f32 v31, v148, v92, -v35 :: v_dual_add_f32 v5, v5, v13
	s_delay_alu instid0(VALU_DEP_3) | instskip(SKIP_1) | instid1(VALU_DEP_3)
	v_add_f32_e32 v9, v9, v29
	v_dual_mul_f32 v19, v152, v97 :: v_dual_mul_f32 v21, v154, v99
	v_dual_fma_f32 v29, v150, v94, -v37 :: v_dual_add_f32 v5, v5, v15
	s_wait_loadcnt 0x4
	s_delay_alu instid0(VALU_DEP_3)
	v_dual_add_f32 v9, v9, v31 :: v_dual_mov_b32 v86, v111
	s_wait_dscnt 0x1
	v_dual_mul_f32 v23, v156, v101 :: v_dual_mul_f32 v25, v158, v103
	v_dual_mul_f32 v27, v157, v101 :: v_dual_mul_f32 v11, v159, v103
	v_fmac_f32_e32 v19, v153, v96
	v_dual_fma_f32 v31, v152, v96, -v39 :: v_dual_add_f32 v5, v5, v17
	s_delay_alu instid0(VALU_DEP_3) | instskip(SKIP_3) | instid1(VALU_DEP_3)
	v_dual_add_f32 v9, v9, v29 :: v_dual_fma_f32 v11, v158, v102, -v11
	s_wait_dscnt 0x0
	v_dual_mul_f32 v13, v161, v105 :: v_dual_fmac_f32 v21, v155, v98
	v_pk_mul_f32 v[84:85], v[124:125], v[108:109] op_sel:[1,1] op_sel_hi:[0,1]
	v_dual_fma_f32 v17, v154, v98, -v41 :: v_dual_add_f32 v9, v9, v31
	s_delay_alu instid0(VALU_DEP_3)
	v_fma_f32 v174, v160, v104, -v13
	v_dual_fmac_f32 v25, v159, v102 :: v_dual_add_f32 v5, v5, v19
	s_wait_loadcnt 0x3
	v_dual_mov_b32 v90, v115 :: v_dual_mul_f32 v175, v160, v105
	v_dual_mul_f32 v177, v162, v107 :: v_dual_mul_f32 v15, v163, v107
	v_fmac_f32_e32 v23, v157, v100
	v_dual_fma_f32 v19, v156, v100, -v27 :: v_dual_add_f32 v5, v5, v21
	v_pk_fma_f32 v[94:95], v[124:125], v[108:109], v[84:85] op_sel_hi:[1,0,1]
	v_add_f32_e32 v9, v9, v17
	v_pk_mul_f32 v[86:87], v[166:167], v[86:87] op_sel_hi:[1,0]
	v_pk_fma_f32 v[84:85], v[124:125], v[108:109], v[84:85] neg_lo:[0,0,1] neg_hi:[0,0,1]
	v_pk_mul_f32 v[88:89], v[128:129], v[112:113] op_sel:[1,1] op_sel_hi:[0,1]
	v_dual_fmac_f32 v177, v163, v106 :: v_dual_fma_f32 v176, v162, v106, -v15
	v_dual_mov_b32 v85, v95 :: v_dual_add_f32 v9, v9, v19
	v_pk_fma_f32 v[94:95], v[126:127], v[110:111], v[86:87] op_sel_hi:[1,0,1]
	v_add_f32_e32 v5, v5, v23
	v_pk_mul_f32 v[90:91], v[168:169], v[90:91] op_sel_hi:[1,0]
	v_pk_fma_f32 v[86:87], v[126:127], v[110:111], v[86:87] neg_lo:[0,0,1] neg_hi:[0,0,1]
	v_add_f32_e32 v92, v9, v11
	v_pk_fma_f32 v[98:99], v[128:129], v[112:113], v[88:89] op_sel_hi:[1,0,1]
	v_dual_fmac_f32 v175, v161, v104 :: v_dual_mov_b32 v87, v95
	v_pk_fma_f32 v[94:95], v[130:131], v[114:115], v[90:91] op_sel_hi:[1,0,1]
	v_add_f32_e32 v93, v5, v25
	v_pk_fma_f32 v[88:89], v[128:129], v[112:113], v[88:89] neg_lo:[0,0,1] neg_hi:[0,0,1]
	v_pk_fma_f32 v[90:91], v[130:131], v[114:115], v[90:91] neg_lo:[0,0,1] neg_hi:[0,0,1]
	s_delay_alu instid0(VALU_DEP_4) | instskip(NEXT) | instid1(VALU_DEP_4)
	v_dual_mov_b32 v89, v99 :: v_dual_mov_b32 v91, v95
	v_pk_add_f32 v[92:93], v[92:93], v[174:175]
	s_wait_loadcnt 0x2
	v_pk_mul_f32 v[96:97], v[132:133], v[116:117] op_sel:[1,1] op_sel_hi:[0,1]
	s_delay_alu instid0(VALU_DEP_2) | instskip(NEXT) | instid1(VALU_DEP_2)
	v_pk_add_f32 v[92:93], v[92:93], v[176:177]
	v_pk_fma_f32 v[94:95], v[132:133], v[116:117], v[96:97] neg_lo:[0,0,1] neg_hi:[0,0,1]
	s_delay_alu instid0(VALU_DEP_2) | instskip(SKIP_1) | instid1(VALU_DEP_2)
	v_pk_add_f32 v[84:85], v[92:93], v[84:85]
	v_mov_b32_e32 v92, v119
	v_pk_add_f32 v[84:85], v[84:85], v[86:87]
	v_pk_fma_f32 v[86:87], v[132:133], v[116:117], v[96:97] op_sel_hi:[1,0,1]
	s_delay_alu instid0(VALU_DEP_3) | instskip(NEXT) | instid1(VALU_DEP_3)
	v_pk_mul_f32 v[92:93], v[170:171], v[92:93] op_sel_hi:[1,0]
	v_pk_add_f32 v[84:85], v[84:85], v[88:89]
	s_delay_alu instid0(VALU_DEP_3) | instskip(NEXT) | instid1(VALU_DEP_3)
	v_mov_b32_e32 v95, v87
	v_pk_fma_f32 v[86:87], v[134:135], v[118:119], v[92:93] op_sel_hi:[1,0,1]
	s_wait_loadcnt 0x1
	v_pk_mul_f32 v[88:89], v[136:137], v[120:121] op_sel:[1,1] op_sel_hi:[0,1]
	v_mov_b32_e32 v86, v123
	v_pk_add_f32 v[84:85], v[84:85], v[90:91]
	v_pk_fma_f32 v[92:93], v[134:135], v[118:119], v[92:93] neg_lo:[0,0,1] neg_hi:[0,0,1]
	v_mov_b32_e32 v93, v87
	v_pk_fma_f32 v[90:91], v[136:137], v[120:121], v[88:89] op_sel_hi:[1,0,1]
	v_pk_mul_f32 v[86:87], v[172:173], v[86:87] op_sel_hi:[1,0]
	v_pk_add_f32 v[84:85], v[84:85], v[94:95]
	v_pk_fma_f32 v[88:89], v[136:137], v[120:121], v[88:89] neg_lo:[0,0,1] neg_hi:[0,0,1]
	s_delay_alu instid0(VALU_DEP_4) | instskip(NEXT) | instid1(VALU_DEP_4)
	v_mov_b32_e32 v89, v91
	v_pk_fma_f32 v[90:91], v[138:139], v[122:123], v[86:87] op_sel_hi:[1,0,1]
	s_delay_alu instid0(VALU_DEP_4) | instskip(SKIP_1) | instid1(VALU_DEP_3)
	v_pk_add_f32 v[84:85], v[84:85], v[92:93]
	v_pk_fma_f32 v[86:87], v[138:139], v[122:123], v[86:87] neg_lo:[0,0,1] neg_hi:[0,0,1]
	v_mov_b32_e32 v87, v91
	s_delay_alu instid0(VALU_DEP_3) | instskip(NEXT) | instid1(VALU_DEP_1)
	v_pk_add_f32 v[84:85], v[84:85], v[88:89]
	v_pk_add_f32 v[84:85], v[84:85], v[86:87]
	s_wait_loadcnt 0x0
	s_delay_alu instid0(VALU_DEP_1)
	v_pk_add_f32 v[84:85], v[164:165], v[84:85] neg_lo:[0,1] neg_hi:[0,1]
	scratch_store_b64 off, v[84:85], off offset:160
	s_wait_xcnt 0x0
	v_cmpx_lt_u32_e32 19, v0
	s_cbranch_execz .LBB40_221
; %bb.220:
	scratch_load_b64 v[84:85], off, off offset:152
	v_mov_b64_e32 v[86:87], 0
	scratch_store_b64 off, v[86:87], off offset:152
	s_wait_loadcnt 0x0
	ds_store_b64 v1, v[84:85]
.LBB40_221:
	s_wait_xcnt 0x0
	s_or_b32 exec_lo, exec_lo, s0
	s_wait_storecnt_dscnt 0x0
	s_barrier_signal -1
	s_barrier_wait -1
	s_clause 0xb
	scratch_load_b128 v[84:87], off, off offset:160
	scratch_load_b128 v[88:91], off, off offset:176
	scratch_load_b128 v[92:95], off, off offset:192
	scratch_load_b128 v[96:99], off, off offset:208
	scratch_load_b128 v[100:103], off, off offset:224
	scratch_load_b128 v[104:107], off, off offset:240
	scratch_load_b128 v[108:111], off, off offset:256
	scratch_load_b128 v[112:115], off, off offset:272
	scratch_load_b128 v[116:119], off, off offset:288
	scratch_load_b128 v[120:123], off, off offset:304
	scratch_load_b64 v[164:165], off, off offset:320
	scratch_load_b64 v[166:167], off, off offset:152
	v_mov_b32_e32 v5, 0
	ds_load_b128 v[124:127], v5 offset:592
	ds_load_b128 v[128:131], v5 offset:608
	;; [unrolled: 1-line block ×10, first 2 shown]
	ds_load_b64 v[168:169], v5 offset:656
	s_mov_b32 s0, exec_lo
	s_wait_dscnt 0xa
	v_dual_mov_b32 v170, v127 :: v_dual_mov_b32 v171, v126
	s_wait_dscnt 0x7
	v_dual_mov_b32 v172, v131 :: v_dual_mov_b32 v177, v138
	v_dual_mov_b32 v173, v130 :: v_dual_mov_b32 v174, v135
	;; [unrolled: 1-line block ×3, first 2 shown]
	s_wait_loadcnt_dscnt 0xb06
	v_dual_mul_f32 v9, v140, v85 :: v_dual_mul_f32 v31, v141, v85
	v_dual_mul_f32 v33, v143, v87 :: v_dual_mul_f32 v11, v142, v87
	s_wait_loadcnt_dscnt 0xa05
	v_mul_f32_e32 v13, v144, v89
	s_wait_loadcnt_dscnt 0x803
	v_dual_mul_f32 v43, v153, v97 :: v_dual_fma_f32 v31, v140, v84, -v31
	v_dual_fmac_f32 v9, v141, v84 :: v_dual_mul_f32 v45, v155, v99
	v_dual_mul_f32 v35, v145, v89 :: v_dual_mul_f32 v37, v147, v91
	v_dual_fmac_f32 v11, v143, v86 :: v_dual_fma_f32 v33, v142, v86, -v33
	s_delay_alu instid0(VALU_DEP_3) | instskip(SKIP_4) | instid1(VALU_DEP_3)
	v_dual_add_f32 v9, 0, v9 :: v_dual_add_f32 v31, 0, v31
	v_dual_mul_f32 v15, v146, v91 :: v_dual_mul_f32 v17, v148, v93
	s_wait_loadcnt_dscnt 0x702
	v_dual_mul_f32 v47, v157, v101 :: v_dual_fma_f32 v35, v144, v88, -v35
	v_fmac_f32_e32 v13, v145, v88
	v_dual_add_f32 v9, v9, v11 :: v_dual_fmac_f32 v15, v147, v90
	v_add_f32_e32 v11, v31, v33
	v_dual_mul_f32 v39, v149, v93 :: v_dual_mul_f32 v41, v151, v95
	v_dual_mul_f32 v31, v159, v103 :: v_dual_fma_f32 v33, v146, v90, -v37
	s_delay_alu instid0(VALU_DEP_3) | instskip(SKIP_3) | instid1(VALU_DEP_3)
	v_dual_add_f32 v9, v9, v13 :: v_dual_add_f32 v11, v11, v35
	v_dual_mul_f32 v19, v150, v95 :: v_dual_mul_f32 v21, v152, v97
	s_wait_loadcnt_dscnt 0x601
	v_dual_mul_f32 v13, v161, v105 :: v_dual_fma_f32 v35, v148, v92, -v39
	v_dual_fmac_f32 v17, v149, v92 :: v_dual_add_f32 v11, v11, v33
	s_delay_alu instid0(VALU_DEP_3) | instskip(SKIP_1) | instid1(VALU_DEP_2)
	v_dual_add_f32 v9, v9, v15 :: v_dual_fmac_f32 v19, v151, v94
	v_dual_mul_f32 v15, v163, v107 :: v_dual_fma_f32 v33, v150, v94, -v41
	v_dual_add_f32 v11, v11, v35 :: v_dual_add_f32 v9, v9, v17
	v_dual_mul_f32 v23, v154, v99 :: v_dual_mul_f32 v25, v156, v101
	s_wait_loadcnt 0x5
	v_dual_mul_f32 v17, v125, v109 :: v_dual_fma_f32 v35, v152, v96, -v43
	s_delay_alu instid0(VALU_DEP_3) | instskip(SKIP_2) | instid1(VALU_DEP_2)
	v_dual_fmac_f32 v21, v153, v96 :: v_dual_add_f32 v11, v11, v33
	v_dual_add_f32 v9, v9, v19 :: v_dual_mov_b32 v84, v111
	v_dual_fmac_f32 v23, v155, v98 :: v_dual_fma_f32 v19, v154, v98, -v45
	v_dual_add_f32 v11, v11, v35 :: v_dual_add_f32 v9, v9, v21
	v_dual_mul_f32 v27, v158, v103 :: v_dual_mul_f32 v29, v160, v105
	v_dual_fmac_f32 v25, v157, v100 :: v_dual_fma_f32 v21, v156, v100, -v47
	s_wait_loadcnt 0x4
	s_delay_alu instid0(VALU_DEP_3) | instskip(SKIP_1) | instid1(VALU_DEP_2)
	v_dual_add_f32 v9, v9, v23 :: v_dual_mov_b32 v88, v115
	v_dual_add_f32 v11, v11, v19 :: v_dual_fma_f32 v19, v158, v102, -v31
	v_dual_fmac_f32 v27, v159, v102 :: v_dual_add_f32 v9, v9, v25
	v_dual_mul_f32 v179, v162, v107 :: v_dual_mul_f32 v181, v124, v109
	s_delay_alu instid0(VALU_DEP_3) | instskip(NEXT) | instid1(VALU_DEP_3)
	v_dual_add_f32 v11, v11, v21 :: v_dual_fmac_f32 v29, v161, v104
	v_dual_fma_f32 v13, v160, v104, -v13 :: v_dual_add_f32 v9, v9, v27
	s_delay_alu instid0(VALU_DEP_3) | instskip(NEXT) | instid1(VALU_DEP_3)
	v_fmac_f32_e32 v179, v163, v106
	v_dual_add_f32 v11, v11, v19 :: v_dual_fma_f32 v178, v162, v106, -v15
	v_pk_mul_f32 v[84:85], v[170:171], v[84:85] op_sel_hi:[1,0]
	s_delay_alu instid0(VALU_DEP_4) | instskip(SKIP_1) | instid1(VALU_DEP_4)
	v_add_f32_e32 v93, v9, v29
	v_pk_mul_f32 v[86:87], v[128:129], v[112:113] op_sel:[1,1] op_sel_hi:[0,1]
	v_dual_add_f32 v92, v11, v13 :: v_dual_fmac_f32 v181, v125, v108
	s_wait_loadcnt 0x3
	v_dual_mov_b32 v94, v119 :: v_dual_fma_f32 v180, v124, v108, -v17
	v_pk_fma_f32 v[96:97], v[126:127], v[110:111], v[84:85] op_sel_hi:[1,0,1]
	s_delay_alu instid0(VALU_DEP_3)
	v_pk_add_f32 v[92:93], v[92:93], v[178:179]
	v_pk_fma_f32 v[84:85], v[126:127], v[110:111], v[84:85] neg_lo:[0,0,1] neg_hi:[0,0,1]
	v_pk_fma_f32 v[98:99], v[128:129], v[112:113], v[86:87] op_sel_hi:[1,0,1]
	v_pk_mul_f32 v[88:89], v[172:173], v[88:89] op_sel_hi:[1,0]
	v_mov_b32_e32 v85, v97
	v_pk_add_f32 v[92:93], v[92:93], v[180:181]
	v_pk_fma_f32 v[86:87], v[128:129], v[112:113], v[86:87] neg_lo:[0,0,1] neg_hi:[0,0,1]
	v_pk_mul_f32 v[90:91], v[132:133], v[116:117] op_sel:[1,1] op_sel_hi:[0,1]
	v_mov_b32_e32 v87, v99
	v_pk_fma_f32 v[98:99], v[130:131], v[114:115], v[88:89] op_sel_hi:[1,0,1]
	v_pk_add_f32 v[84:85], v[92:93], v[84:85]
	v_pk_fma_f32 v[88:89], v[130:131], v[114:115], v[88:89] neg_lo:[0,0,1] neg_hi:[0,0,1]
	v_pk_fma_f32 v[92:93], v[132:133], v[116:117], v[90:91] op_sel_hi:[1,0,1]
	v_pk_mul_f32 v[94:95], v[174:175], v[94:95] op_sel_hi:[1,0]
	v_mov_b32_e32 v89, v99
	v_pk_add_f32 v[84:85], v[84:85], v[86:87]
	v_pk_fma_f32 v[90:91], v[132:133], v[116:117], v[90:91] neg_lo:[0,0,1] neg_hi:[0,0,1]
	s_wait_loadcnt 0x2
	v_pk_mul_f32 v[96:97], v[136:137], v[120:121] op_sel:[1,1] op_sel_hi:[0,1]
	v_dual_mov_b32 v86, v123 :: v_dual_mov_b32 v91, v93
	v_pk_fma_f32 v[92:93], v[134:135], v[118:119], v[94:95] op_sel_hi:[1,0,1]
	v_pk_add_f32 v[84:85], v[84:85], v[88:89]
	v_pk_fma_f32 v[94:95], v[134:135], v[118:119], v[94:95] neg_lo:[0,0,1] neg_hi:[0,0,1]
	v_pk_fma_f32 v[88:89], v[136:137], v[120:121], v[96:97] op_sel_hi:[1,0,1]
	v_pk_mul_f32 v[86:87], v[176:177], v[86:87] op_sel_hi:[1,0]
	v_mov_b32_e32 v95, v93
	v_pk_add_f32 v[84:85], v[84:85], v[90:91]
	v_pk_fma_f32 v[90:91], v[136:137], v[120:121], v[96:97] neg_lo:[0,0,1] neg_hi:[0,0,1]
	v_mov_b32_e32 v91, v89
	v_pk_fma_f32 v[88:89], v[138:139], v[122:123], v[86:87] op_sel_hi:[1,0,1]
	s_wait_loadcnt_dscnt 0x100
	v_pk_mul_f32 v[92:93], v[168:169], v[164:165] op_sel:[1,1] op_sel_hi:[0,1]
	v_pk_add_f32 v[84:85], v[84:85], v[94:95]
	v_pk_fma_f32 v[86:87], v[138:139], v[122:123], v[86:87] neg_lo:[0,0,1] neg_hi:[0,0,1]
	v_mov_b32_e32 v87, v89
	s_delay_alu instid0(VALU_DEP_4) | instskip(NEXT) | instid1(VALU_DEP_4)
	v_pk_fma_f32 v[88:89], v[168:169], v[164:165], v[92:93] op_sel_hi:[1,0,1]
	v_pk_add_f32 v[84:85], v[84:85], v[90:91]
	v_pk_fma_f32 v[90:91], v[168:169], v[164:165], v[92:93] neg_lo:[0,0,1] neg_hi:[0,0,1]
	s_delay_alu instid0(VALU_DEP_3) | instskip(NEXT) | instid1(VALU_DEP_3)
	v_mov_b32_e32 v91, v89
	v_pk_add_f32 v[84:85], v[84:85], v[86:87]
	s_delay_alu instid0(VALU_DEP_1) | instskip(SKIP_1) | instid1(VALU_DEP_1)
	v_pk_add_f32 v[84:85], v[84:85], v[90:91]
	s_wait_loadcnt 0x0
	v_pk_add_f32 v[84:85], v[166:167], v[84:85] neg_lo:[0,1] neg_hi:[0,1]
	scratch_store_b64 off, v[84:85], off offset:152
	s_wait_xcnt 0x0
	v_cmpx_lt_u32_e32 18, v0
	s_cbranch_execz .LBB40_223
; %bb.222:
	scratch_load_b64 v[84:85], off, off offset:144
	v_mov_b64_e32 v[86:87], 0
	scratch_store_b64 off, v[86:87], off offset:144
	s_wait_loadcnt 0x0
	ds_store_b64 v1, v[84:85]
.LBB40_223:
	s_wait_xcnt 0x0
	s_or_b32 exec_lo, exec_lo, s0
	s_wait_storecnt_dscnt 0x0
	s_barrier_signal -1
	s_barrier_wait -1
	s_clause 0xb
	scratch_load_b128 v[84:87], off, off offset:152
	scratch_load_b128 v[88:91], off, off offset:168
	;; [unrolled: 1-line block ×11, first 2 shown]
	scratch_load_b64 v[172:173], off, off offset:144
	ds_load_2addr_b64 v[128:131], v5 offset0:75 offset1:76
	ds_load_2addr_b64 v[132:135], v5 offset0:77 offset1:78
	;; [unrolled: 1-line block ×11, first 2 shown]
	s_mov_b32 s0, exec_lo
	s_wait_dscnt 0xa
	v_dual_mov_b32 v174, v131 :: v_dual_mov_b32 v175, v130
	s_wait_dscnt 0x9
	v_dual_mov_b32 v176, v135 :: v_dual_mov_b32 v177, v134
	;; [unrolled: 2-line block ×4, first 2 shown]
	s_wait_loadcnt_dscnt 0xb06
	v_dual_mul_f32 v5, v144, v85 :: v_dual_mul_f32 v9, v146, v87
	v_dual_mul_f32 v31, v145, v85 :: v_dual_mul_f32 v33, v147, v87
	s_wait_loadcnt_dscnt 0xa05
	v_dual_mul_f32 v11, v148, v89 :: v_dual_mul_f32 v13, v150, v91
	s_delay_alu instid0(VALU_DEP_2) | instskip(SKIP_3) | instid1(VALU_DEP_3)
	v_dual_fmac_f32 v5, v145, v84 :: v_dual_fma_f32 v31, v144, v84, -v31
	v_dual_mul_f32 v35, v149, v89 :: v_dual_mul_f32 v37, v151, v91
	s_wait_loadcnt_dscnt 0x803
	v_dual_mul_f32 v43, v157, v97 :: v_dual_fmac_f32 v9, v147, v86
	v_dual_fma_f32 v33, v146, v86, -v33 :: v_dual_add_f32 v5, 0, v5
	v_dual_add_f32 v31, 0, v31 :: v_dual_fmac_f32 v11, v149, v88
	v_dual_mul_f32 v45, v159, v99 :: v_dual_fma_f32 v35, v148, v88, -v35
	s_delay_alu instid0(VALU_DEP_3) | instskip(NEXT) | instid1(VALU_DEP_3)
	v_dual_add_f32 v5, v5, v9 :: v_dual_fmac_f32 v13, v151, v90
	v_dual_add_f32 v9, v31, v33 :: v_dual_fma_f32 v33, v150, v90, -v37
	v_dual_mul_f32 v15, v152, v93 :: v_dual_mul_f32 v17, v154, v95
	v_dual_mul_f32 v39, v153, v93 :: v_dual_mul_f32 v41, v155, v95
	s_delay_alu instid0(VALU_DEP_3) | instskip(NEXT) | instid1(VALU_DEP_3)
	v_add_f32_e32 v9, v9, v35
	v_dual_add_f32 v5, v5, v11 :: v_dual_fmac_f32 v17, v155, v94
	s_wait_loadcnt_dscnt 0x702
	s_delay_alu instid0(VALU_DEP_3) | instskip(NEXT) | instid1(VALU_DEP_3)
	v_dual_fma_f32 v35, v152, v92, -v39 :: v_dual_mul_f32 v31, v161, v101
	v_dual_mul_f32 v11, v163, v103 :: v_dual_add_f32 v9, v9, v33
	v_dual_fmac_f32 v15, v153, v92 :: v_dual_fma_f32 v33, v154, v94, -v41
	v_add_f32_e32 v5, v5, v13
	v_dual_mul_f32 v19, v156, v97 :: v_dual_mul_f32 v21, v158, v99
	s_delay_alu instid0(VALU_DEP_4) | instskip(NEXT) | instid1(VALU_DEP_3)
	v_dual_add_f32 v9, v9, v35 :: v_dual_fma_f32 v31, v160, v100, -v31
	v_dual_add_f32 v5, v5, v15 :: v_dual_fma_f32 v35, v156, v96, -v43
	v_dual_mul_f32 v23, v160, v101 :: v_dual_mul_f32 v25, v162, v103
	s_delay_alu instid0(VALU_DEP_3) | instskip(SKIP_2) | instid1(VALU_DEP_3)
	v_dual_add_f32 v9, v9, v33 :: v_dual_fma_f32 v11, v162, v102, -v11
	s_wait_loadcnt_dscnt 0x601
	v_dual_mul_f32 v27, v164, v105 :: v_dual_mul_f32 v29, v166, v107
	v_dual_fmac_f32 v19, v157, v96 :: v_dual_fmac_f32 v25, v163, v102
	v_dual_fma_f32 v33, v158, v98, -v45 :: v_dual_add_f32 v5, v5, v17
	s_delay_alu instid0(VALU_DEP_3) | instskip(SKIP_3) | instid1(VALU_DEP_2)
	v_dual_add_f32 v9, v9, v35 :: v_dual_fmac_f32 v29, v167, v106
	v_dual_mul_f32 v13, v165, v105 :: v_dual_fmac_f32 v21, v159, v98
	s_wait_loadcnt_dscnt 0x400
	v_dual_mul_f32 v17, v169, v109 :: v_dual_mov_b32 v86, v115
	v_dual_add_f32 v5, v5, v19 :: v_dual_fma_f32 v13, v164, v104, -v13
	s_delay_alu instid0(VALU_DEP_2)
	v_dual_add_f32 v9, v9, v33 :: v_dual_fma_f32 v182, v168, v108, -v17
	v_mul_f32_e32 v15, v167, v107
	v_dual_mul_f32 v19, v171, v111 :: v_dual_fmac_f32 v23, v161, v100
	s_wait_loadcnt 0x3
	v_dual_mov_b32 v90, v119 :: v_dual_add_f32 v5, v5, v21
	v_pk_mul_f32 v[84:85], v[128:129], v[112:113] op_sel:[1,1] op_sel_hi:[0,1]
	s_delay_alu instid0(VALU_DEP_3) | instskip(SKIP_1) | instid1(VALU_DEP_3)
	v_dual_add_f32 v9, v9, v31 :: v_dual_fma_f32 v184, v170, v110, -v19
	v_dual_mul_f32 v183, v168, v109 :: v_dual_mul_f32 v185, v170, v111
	v_pk_fma_f32 v[94:95], v[128:129], v[112:113], v[84:85] op_sel_hi:[1,0,1]
	s_delay_alu instid0(VALU_DEP_3) | instskip(NEXT) | instid1(VALU_DEP_3)
	v_dual_add_f32 v9, v9, v11 :: v_dual_fma_f32 v11, v166, v106, -v15
	v_dual_add_f32 v5, v5, v23 :: v_dual_fmac_f32 v185, v171, v110
	v_pk_mul_f32 v[86:87], v[174:175], v[86:87] op_sel_hi:[1,0]
	v_pk_fma_f32 v[84:85], v[128:129], v[112:113], v[84:85] neg_lo:[0,0,1] neg_hi:[0,0,1]
	v_dual_fmac_f32 v27, v165, v104 :: v_dual_mov_b32 v85, v95
	v_pk_mul_f32 v[88:89], v[132:133], v[116:117] op_sel:[1,1] op_sel_hi:[0,1]
	s_delay_alu instid0(VALU_DEP_4) | instskip(SKIP_4) | instid1(VALU_DEP_4)
	v_pk_fma_f32 v[94:95], v[130:131], v[114:115], v[86:87] op_sel_hi:[1,0,1]
	v_add_f32_e32 v5, v5, v25
	v_pk_mul_f32 v[90:91], v[176:177], v[90:91] op_sel_hi:[1,0]
	v_pk_fma_f32 v[86:87], v[130:131], v[114:115], v[86:87] neg_lo:[0,0,1] neg_hi:[0,0,1]
	v_pk_fma_f32 v[98:99], v[132:133], v[116:117], v[88:89] op_sel_hi:[1,0,1]
	v_dual_mov_b32 v87, v95 :: v_dual_add_f32 v5, v5, v27
	s_delay_alu instid0(VALU_DEP_4)
	v_pk_fma_f32 v[94:95], v[134:135], v[118:119], v[90:91] op_sel_hi:[1,0,1]
	v_add_f32_e32 v9, v9, v13
	v_pk_fma_f32 v[88:89], v[132:133], v[116:117], v[88:89] neg_lo:[0,0,1] neg_hi:[0,0,1]
	v_pk_fma_f32 v[90:91], v[134:135], v[118:119], v[90:91] neg_lo:[0,0,1] neg_hi:[0,0,1]
	v_dual_fmac_f32 v183, v169, v108 :: v_dual_mov_b32 v89, v99
	v_dual_add_f32 v93, v5, v29 :: v_dual_mov_b32 v91, v95
	v_add_f32_e32 v92, v9, v11
	s_wait_loadcnt 0x2
	v_pk_mul_f32 v[96:97], v[136:137], v[120:121] op_sel:[1,1] op_sel_hi:[0,1]
	s_delay_alu instid0(VALU_DEP_2) | instskip(NEXT) | instid1(VALU_DEP_2)
	v_pk_add_f32 v[92:93], v[92:93], v[182:183]
	v_pk_fma_f32 v[94:95], v[136:137], v[120:121], v[96:97] neg_lo:[0,0,1] neg_hi:[0,0,1]
	s_delay_alu instid0(VALU_DEP_2) | instskip(NEXT) | instid1(VALU_DEP_1)
	v_pk_add_f32 v[92:93], v[92:93], v[184:185]
	v_pk_add_f32 v[84:85], v[92:93], v[84:85]
	v_mov_b32_e32 v92, v123
	s_delay_alu instid0(VALU_DEP_2) | instskip(SKIP_1) | instid1(VALU_DEP_3)
	v_pk_add_f32 v[84:85], v[84:85], v[86:87]
	v_pk_fma_f32 v[86:87], v[136:137], v[120:121], v[96:97] op_sel_hi:[1,0,1]
	v_pk_mul_f32 v[92:93], v[178:179], v[92:93] op_sel_hi:[1,0]
	s_delay_alu instid0(VALU_DEP_3) | instskip(NEXT) | instid1(VALU_DEP_3)
	v_pk_add_f32 v[84:85], v[84:85], v[88:89]
	v_mov_b32_e32 v95, v87
	s_delay_alu instid0(VALU_DEP_3)
	v_pk_fma_f32 v[86:87], v[138:139], v[122:123], v[92:93] op_sel_hi:[1,0,1]
	s_wait_loadcnt 0x1
	v_pk_mul_f32 v[88:89], v[140:141], v[124:125] op_sel:[1,1] op_sel_hi:[0,1]
	v_mov_b32_e32 v86, v127
	v_pk_add_f32 v[84:85], v[84:85], v[90:91]
	v_pk_fma_f32 v[92:93], v[138:139], v[122:123], v[92:93] neg_lo:[0,0,1] neg_hi:[0,0,1]
	v_mov_b32_e32 v93, v87
	v_pk_fma_f32 v[90:91], v[140:141], v[124:125], v[88:89] op_sel_hi:[1,0,1]
	v_pk_mul_f32 v[86:87], v[180:181], v[86:87] op_sel_hi:[1,0]
	v_pk_add_f32 v[84:85], v[84:85], v[94:95]
	v_pk_fma_f32 v[88:89], v[140:141], v[124:125], v[88:89] neg_lo:[0,0,1] neg_hi:[0,0,1]
	s_delay_alu instid0(VALU_DEP_4) | instskip(NEXT) | instid1(VALU_DEP_4)
	v_mov_b32_e32 v89, v91
	v_pk_fma_f32 v[90:91], v[142:143], v[126:127], v[86:87] op_sel_hi:[1,0,1]
	s_delay_alu instid0(VALU_DEP_4) | instskip(SKIP_1) | instid1(VALU_DEP_3)
	v_pk_add_f32 v[84:85], v[84:85], v[92:93]
	v_pk_fma_f32 v[86:87], v[142:143], v[126:127], v[86:87] neg_lo:[0,0,1] neg_hi:[0,0,1]
	v_mov_b32_e32 v87, v91
	s_delay_alu instid0(VALU_DEP_3) | instskip(NEXT) | instid1(VALU_DEP_1)
	v_pk_add_f32 v[84:85], v[84:85], v[88:89]
	v_pk_add_f32 v[84:85], v[84:85], v[86:87]
	s_wait_loadcnt 0x0
	s_delay_alu instid0(VALU_DEP_1)
	v_pk_add_f32 v[84:85], v[172:173], v[84:85] neg_lo:[0,1] neg_hi:[0,1]
	scratch_store_b64 off, v[84:85], off offset:144
	s_wait_xcnt 0x0
	v_cmpx_lt_u32_e32 17, v0
	s_cbranch_execz .LBB40_225
; %bb.224:
	scratch_load_b64 v[84:85], off, off offset:136
	v_mov_b64_e32 v[86:87], 0
	scratch_store_b64 off, v[86:87], off offset:136
	s_wait_loadcnt 0x0
	ds_store_b64 v1, v[84:85]
.LBB40_225:
	s_wait_xcnt 0x0
	s_or_b32 exec_lo, exec_lo, s0
	s_wait_storecnt_dscnt 0x0
	s_barrier_signal -1
	s_barrier_wait -1
	s_clause 0xc
	scratch_load_b128 v[84:87], off, off offset:144
	scratch_load_b128 v[88:91], off, off offset:160
	;; [unrolled: 1-line block ×11, first 2 shown]
	scratch_load_b64 v[172:173], off, off offset:320
	scratch_load_b64 v[174:175], off, off offset:136
	v_mov_b32_e32 v5, 0
	ds_load_b128 v[128:131], v5 offset:592
	ds_load_b128 v[132:135], v5 offset:608
	;; [unrolled: 1-line block ×11, first 2 shown]
	ds_load_b64 v[176:177], v5 offset:656
	s_mov_b32 s0, exec_lo
	s_wait_dscnt 0xb
	v_dual_mov_b32 v178, v131 :: v_dual_mov_b32 v179, v130
	s_wait_dscnt 0x8
	v_dual_mov_b32 v180, v135 :: v_dual_mov_b32 v185, v142
	v_dual_mov_b32 v181, v134 :: v_dual_mov_b32 v182, v139
	;; [unrolled: 1-line block ×3, first 2 shown]
	s_wait_loadcnt_dscnt 0xc07
	v_dual_mul_f32 v9, v144, v85 :: v_dual_mul_f32 v35, v145, v85
	v_dual_mul_f32 v37, v147, v87 :: v_dual_mul_f32 v11, v146, v87
	s_wait_loadcnt_dscnt 0xb06
	v_mul_f32_e32 v13, v148, v89
	s_wait_loadcnt_dscnt 0x904
	v_dual_mul_f32 v47, v157, v97 :: v_dual_fma_f32 v35, v144, v84, -v35
	v_dual_fmac_f32 v9, v145, v84 :: v_dual_mul_f32 v49, v159, v99
	v_dual_mul_f32 v39, v149, v89 :: v_dual_mul_f32 v41, v151, v91
	v_dual_fmac_f32 v11, v147, v86 :: v_dual_fma_f32 v37, v146, v86, -v37
	s_delay_alu instid0(VALU_DEP_3) | instskip(SKIP_4) | instid1(VALU_DEP_3)
	v_dual_add_f32 v9, 0, v9 :: v_dual_add_f32 v35, 0, v35
	v_dual_mul_f32 v15, v150, v91 :: v_dual_mul_f32 v17, v152, v93
	s_wait_loadcnt_dscnt 0x803
	v_dual_mul_f32 v51, v161, v101 :: v_dual_fma_f32 v39, v148, v88, -v39
	v_fmac_f32_e32 v13, v149, v88
	v_dual_add_f32 v9, v9, v11 :: v_dual_fmac_f32 v15, v151, v90
	v_add_f32_e32 v11, v35, v37
	v_dual_mul_f32 v43, v153, v93 :: v_dual_mul_f32 v45, v155, v95
	v_dual_mul_f32 v35, v163, v103 :: v_dual_fma_f32 v37, v150, v90, -v41
	s_delay_alu instid0(VALU_DEP_3) | instskip(SKIP_3) | instid1(VALU_DEP_3)
	v_dual_add_f32 v9, v9, v13 :: v_dual_add_f32 v11, v11, v39
	v_dual_mul_f32 v19, v154, v95 :: v_dual_mul_f32 v21, v156, v97
	s_wait_loadcnt_dscnt 0x701
	v_dual_mul_f32 v13, v169, v105 :: v_dual_fma_f32 v39, v152, v92, -v43
	v_dual_fmac_f32 v17, v153, v92 :: v_dual_add_f32 v11, v11, v37
	s_delay_alu instid0(VALU_DEP_3) | instskip(SKIP_1) | instid1(VALU_DEP_2)
	v_dual_add_f32 v9, v9, v15 :: v_dual_fmac_f32 v19, v155, v94
	v_dual_mul_f32 v15, v171, v107 :: v_dual_fma_f32 v37, v154, v94, -v45
	v_dual_add_f32 v11, v11, v39 :: v_dual_add_f32 v9, v9, v17
	v_dual_mul_f32 v23, v158, v99 :: v_dual_mul_f32 v25, v160, v101
	s_wait_loadcnt 0x6
	v_dual_mul_f32 v17, v165, v109 :: v_dual_fma_f32 v39, v156, v96, -v47
	s_delay_alu instid0(VALU_DEP_3) | instskip(NEXT) | instid1(VALU_DEP_3)
	v_dual_fmac_f32 v21, v157, v96 :: v_dual_add_f32 v11, v11, v37
	v_dual_add_f32 v9, v9, v19 :: v_dual_fmac_f32 v23, v159, v98
	v_dual_mul_f32 v19, v167, v111 :: v_dual_fma_f32 v37, v158, v98, -v49
	s_delay_alu instid0(VALU_DEP_2) | instskip(SKIP_3) | instid1(VALU_DEP_3)
	v_dual_add_f32 v11, v11, v39 :: v_dual_add_f32 v9, v9, v21
	v_dual_mul_f32 v27, v162, v103 :: v_dual_mul_f32 v29, v168, v105
	s_wait_loadcnt 0x5
	v_dual_mul_f32 v21, v129, v113 :: v_dual_fma_f32 v39, v160, v100, -v51
	v_dual_fmac_f32 v25, v161, v100 :: v_dual_add_f32 v11, v11, v37
	v_dual_add_f32 v9, v9, v23 :: v_dual_mov_b32 v84, v115
	v_fmac_f32_e32 v27, v163, v102
	s_delay_alu instid0(VALU_DEP_3) | instskip(NEXT) | instid1(VALU_DEP_3)
	v_dual_fma_f32 v23, v162, v102, -v35 :: v_dual_add_f32 v11, v11, v39
	v_dual_add_f32 v9, v9, v25 :: v_dual_mul_f32 v31, v170, v107
	v_dual_mul_f32 v33, v164, v109 :: v_dual_fmac_f32 v29, v169, v104
	s_delay_alu instid0(VALU_DEP_3) | instskip(SKIP_1) | instid1(VALU_DEP_3)
	v_dual_add_f32 v11, v11, v23 :: v_dual_fma_f32 v13, v168, v104, -v13
	s_wait_loadcnt 0x4
	v_dual_add_f32 v9, v9, v27 :: v_dual_mov_b32 v88, v119
	v_fma_f32 v15, v170, v106, -v15
	v_fmac_f32_e32 v31, v171, v106
	v_dual_add_f32 v11, v11, v13 :: v_dual_fmac_f32 v33, v165, v108
	s_delay_alu instid0(VALU_DEP_4) | instskip(SKIP_1) | instid1(VALU_DEP_3)
	v_dual_add_f32 v9, v9, v29 :: v_dual_mul_f32 v187, v166, v111
	v_mul_f32_e32 v189, v128, v113
	v_dual_fma_f32 v13, v164, v108, -v17 :: v_dual_add_f32 v11, v11, v15
	s_delay_alu instid0(VALU_DEP_3) | instskip(NEXT) | instid1(VALU_DEP_4)
	v_dual_fma_f32 v186, v166, v110, -v19 :: v_dual_add_f32 v9, v9, v31
	v_fmac_f32_e32 v187, v167, v110
	v_pk_mul_f32 v[84:85], v[178:179], v[84:85] op_sel_hi:[1,0]
	s_delay_alu instid0(VALU_DEP_4) | instskip(NEXT) | instid1(VALU_DEP_4)
	v_dual_add_f32 v92, v11, v13 :: v_dual_fmac_f32 v189, v129, v112
	v_add_f32_e32 v93, v9, v33
	v_pk_mul_f32 v[86:87], v[132:133], v[116:117] op_sel:[1,1] op_sel_hi:[0,1]
	s_wait_loadcnt 0x3
	v_dual_mov_b32 v94, v123 :: v_dual_fma_f32 v188, v128, v112, -v21
	v_pk_fma_f32 v[96:97], v[130:131], v[114:115], v[84:85] op_sel_hi:[1,0,1]
	v_pk_add_f32 v[92:93], v[92:93], v[186:187]
	v_pk_fma_f32 v[84:85], v[130:131], v[114:115], v[84:85] neg_lo:[0,0,1] neg_hi:[0,0,1]
	v_pk_fma_f32 v[98:99], v[132:133], v[116:117], v[86:87] op_sel_hi:[1,0,1]
	v_pk_mul_f32 v[88:89], v[180:181], v[88:89] op_sel_hi:[1,0]
	v_mov_b32_e32 v85, v97
	v_pk_add_f32 v[92:93], v[92:93], v[188:189]
	v_pk_fma_f32 v[86:87], v[132:133], v[116:117], v[86:87] neg_lo:[0,0,1] neg_hi:[0,0,1]
	v_pk_mul_f32 v[90:91], v[136:137], v[120:121] op_sel:[1,1] op_sel_hi:[0,1]
	v_mov_b32_e32 v87, v99
	v_pk_fma_f32 v[98:99], v[134:135], v[118:119], v[88:89] op_sel_hi:[1,0,1]
	v_pk_add_f32 v[84:85], v[92:93], v[84:85]
	v_pk_fma_f32 v[88:89], v[134:135], v[118:119], v[88:89] neg_lo:[0,0,1] neg_hi:[0,0,1]
	v_pk_fma_f32 v[92:93], v[136:137], v[120:121], v[90:91] op_sel_hi:[1,0,1]
	v_pk_mul_f32 v[94:95], v[182:183], v[94:95] op_sel_hi:[1,0]
	v_mov_b32_e32 v89, v99
	v_pk_add_f32 v[84:85], v[84:85], v[86:87]
	v_pk_fma_f32 v[90:91], v[136:137], v[120:121], v[90:91] neg_lo:[0,0,1] neg_hi:[0,0,1]
	s_wait_loadcnt 0x2
	v_pk_mul_f32 v[96:97], v[140:141], v[124:125] op_sel:[1,1] op_sel_hi:[0,1]
	v_dual_mov_b32 v86, v127 :: v_dual_mov_b32 v91, v93
	v_pk_fma_f32 v[92:93], v[138:139], v[122:123], v[94:95] op_sel_hi:[1,0,1]
	v_pk_add_f32 v[84:85], v[84:85], v[88:89]
	v_pk_fma_f32 v[94:95], v[138:139], v[122:123], v[94:95] neg_lo:[0,0,1] neg_hi:[0,0,1]
	v_pk_fma_f32 v[88:89], v[140:141], v[124:125], v[96:97] op_sel_hi:[1,0,1]
	v_pk_mul_f32 v[86:87], v[184:185], v[86:87] op_sel_hi:[1,0]
	v_mov_b32_e32 v95, v93
	v_pk_add_f32 v[84:85], v[84:85], v[90:91]
	v_pk_fma_f32 v[90:91], v[140:141], v[124:125], v[96:97] neg_lo:[0,0,1] neg_hi:[0,0,1]
	v_mov_b32_e32 v91, v89
	v_pk_fma_f32 v[88:89], v[142:143], v[126:127], v[86:87] op_sel_hi:[1,0,1]
	s_wait_loadcnt_dscnt 0x100
	v_pk_mul_f32 v[92:93], v[176:177], v[172:173] op_sel:[1,1] op_sel_hi:[0,1]
	v_pk_add_f32 v[84:85], v[84:85], v[94:95]
	v_pk_fma_f32 v[86:87], v[142:143], v[126:127], v[86:87] neg_lo:[0,0,1] neg_hi:[0,0,1]
	v_mov_b32_e32 v87, v89
	s_delay_alu instid0(VALU_DEP_4) | instskip(NEXT) | instid1(VALU_DEP_4)
	v_pk_fma_f32 v[88:89], v[176:177], v[172:173], v[92:93] op_sel_hi:[1,0,1]
	v_pk_add_f32 v[84:85], v[84:85], v[90:91]
	v_pk_fma_f32 v[90:91], v[176:177], v[172:173], v[92:93] neg_lo:[0,0,1] neg_hi:[0,0,1]
	s_delay_alu instid0(VALU_DEP_3) | instskip(NEXT) | instid1(VALU_DEP_3)
	v_mov_b32_e32 v91, v89
	v_pk_add_f32 v[84:85], v[84:85], v[86:87]
	s_delay_alu instid0(VALU_DEP_1) | instskip(SKIP_1) | instid1(VALU_DEP_1)
	v_pk_add_f32 v[84:85], v[84:85], v[90:91]
	s_wait_loadcnt 0x0
	v_pk_add_f32 v[84:85], v[174:175], v[84:85] neg_lo:[0,1] neg_hi:[0,1]
	scratch_store_b64 off, v[84:85], off offset:136
	s_wait_xcnt 0x0
	v_cmpx_lt_u32_e32 16, v0
	s_cbranch_execz .LBB40_227
; %bb.226:
	scratch_load_b64 v[84:85], off, off offset:128
	v_mov_b64_e32 v[86:87], 0
	scratch_store_b64 off, v[86:87], off offset:128
	s_wait_loadcnt 0x0
	ds_store_b64 v1, v[84:85]
.LBB40_227:
	s_wait_xcnt 0x0
	s_or_b32 exec_lo, exec_lo, s0
	s_wait_storecnt_dscnt 0x0
	s_barrier_signal -1
	s_barrier_wait -1
	s_clause 0xc
	scratch_load_b128 v[84:87], off, off offset:136
	scratch_load_b128 v[88:91], off, off offset:152
	;; [unrolled: 1-line block ×12, first 2 shown]
	scratch_load_b64 v[180:181], off, off offset:128
	ds_load_2addr_b64 v[132:135], v5 offset0:75 offset1:76
	ds_load_2addr_b64 v[136:139], v5 offset0:77 offset1:78
	;; [unrolled: 1-line block ×12, first 2 shown]
	s_mov_b32 s0, exec_lo
	s_wait_dscnt 0xb
	v_dual_mov_b32 v182, v135 :: v_dual_mov_b32 v183, v134
	s_wait_dscnt 0xa
	v_dual_mov_b32 v184, v139 :: v_dual_mov_b32 v185, v138
	;; [unrolled: 2-line block ×4, first 2 shown]
	s_wait_loadcnt_dscnt 0xc07
	v_dual_mul_f32 v5, v148, v85 :: v_dual_mul_f32 v9, v150, v87
	v_dual_mul_f32 v35, v149, v85 :: v_dual_mul_f32 v37, v151, v87
	s_wait_loadcnt_dscnt 0xb06
	v_dual_mul_f32 v11, v152, v89 :: v_dual_mul_f32 v13, v154, v91
	s_delay_alu instid0(VALU_DEP_2) | instskip(SKIP_3) | instid1(VALU_DEP_3)
	v_dual_fmac_f32 v5, v149, v84 :: v_dual_fma_f32 v35, v148, v84, -v35
	v_dual_mul_f32 v39, v153, v89 :: v_dual_mul_f32 v41, v155, v91
	s_wait_loadcnt_dscnt 0x904
	v_dual_mul_f32 v47, v161, v97 :: v_dual_fmac_f32 v9, v151, v86
	v_dual_fma_f32 v37, v150, v86, -v37 :: v_dual_add_f32 v5, 0, v5
	v_dual_add_f32 v35, 0, v35 :: v_dual_fmac_f32 v11, v153, v88
	v_dual_mul_f32 v49, v163, v99 :: v_dual_fma_f32 v39, v152, v88, -v39
	s_delay_alu instid0(VALU_DEP_3) | instskip(NEXT) | instid1(VALU_DEP_3)
	v_dual_add_f32 v5, v5, v9 :: v_dual_fmac_f32 v13, v155, v90
	v_dual_add_f32 v9, v35, v37 :: v_dual_fma_f32 v37, v154, v90, -v41
	v_dual_mul_f32 v15, v156, v93 :: v_dual_mul_f32 v17, v158, v95
	v_dual_mul_f32 v43, v157, v93 :: v_dual_mul_f32 v45, v159, v95
	s_delay_alu instid0(VALU_DEP_3) | instskip(NEXT) | instid1(VALU_DEP_3)
	v_add_f32_e32 v9, v9, v39
	v_dual_add_f32 v5, v5, v11 :: v_dual_fmac_f32 v17, v159, v94
	s_wait_loadcnt_dscnt 0x803
	s_delay_alu instid0(VALU_DEP_3) | instskip(NEXT) | instid1(VALU_DEP_3)
	v_dual_fma_f32 v39, v156, v92, -v43 :: v_dual_mul_f32 v35, v165, v101
	v_dual_mul_f32 v11, v167, v103 :: v_dual_add_f32 v9, v9, v37
	v_dual_fmac_f32 v15, v157, v92 :: v_dual_fma_f32 v37, v158, v94, -v45
	v_add_f32_e32 v5, v5, v13
	v_dual_mul_f32 v19, v160, v97 :: v_dual_mul_f32 v21, v162, v99
	s_delay_alu instid0(VALU_DEP_4) | instskip(NEXT) | instid1(VALU_DEP_3)
	v_dual_add_f32 v9, v9, v39 :: v_dual_fma_f32 v35, v164, v100, -v35
	v_dual_add_f32 v5, v5, v15 :: v_dual_fma_f32 v39, v160, v96, -v47
	v_dual_mul_f32 v23, v164, v101 :: v_dual_mul_f32 v25, v166, v103
	s_delay_alu instid0(VALU_DEP_3) | instskip(SKIP_2) | instid1(VALU_DEP_3)
	v_dual_add_f32 v9, v9, v37 :: v_dual_fma_f32 v11, v166, v102, -v11
	s_wait_loadcnt_dscnt 0x702
	v_dual_mul_f32 v27, v168, v105 :: v_dual_mul_f32 v29, v170, v107
	v_dual_fmac_f32 v19, v161, v96 :: v_dual_fmac_f32 v25, v167, v102
	v_dual_fma_f32 v37, v162, v98, -v49 :: v_dual_add_f32 v5, v5, v17
	s_delay_alu instid0(VALU_DEP_3)
	v_dual_add_f32 v9, v9, v39 :: v_dual_fmac_f32 v29, v171, v106
	v_dual_mul_f32 v13, v169, v105 :: v_dual_fmac_f32 v21, v163, v98
	s_wait_loadcnt_dscnt 0x601
	v_mul_f32_e32 v17, v173, v109
	v_add_f32_e32 v5, v5, v19
	v_dual_add_f32 v9, v9, v37 :: v_dual_mul_f32 v15, v171, v107
	s_wait_loadcnt 0x4
	v_dual_fmac_f32 v23, v165, v100 :: v_dual_mov_b32 v86, v119
	s_delay_alu instid0(VALU_DEP_3) | instskip(SKIP_4) | instid1(VALU_DEP_3)
	v_dual_fma_f32 v13, v168, v104, -v13 :: v_dual_add_f32 v5, v5, v21
	s_wait_loadcnt 0x3
	v_dual_add_f32 v9, v9, v35 :: v_dual_mov_b32 v90, v123
	v_dual_mul_f32 v19, v175, v111 :: v_dual_mul_f32 v31, v172, v109
	v_mul_f32_e32 v33, v174, v111
	v_dual_add_f32 v9, v9, v11 :: v_dual_fma_f32 v11, v170, v106, -v15
	v_add_f32_e32 v5, v5, v23
	s_wait_dscnt 0x0
	v_mul_f32_e32 v23, v179, v115
	v_pk_mul_f32 v[84:85], v[132:133], v[116:117] op_sel:[1,1] op_sel_hi:[0,1]
	v_dual_mul_f32 v191, v176, v113 :: v_dual_mul_f32 v193, v178, v115
	v_dual_mul_f32 v21, v177, v113 :: v_dual_fmac_f32 v33, v175, v110
	s_delay_alu instid0(VALU_DEP_4) | instskip(NEXT) | instid1(VALU_DEP_3)
	v_dual_fma_f32 v192, v178, v114, -v23 :: v_dual_add_f32 v9, v9, v13
	v_dual_fmac_f32 v27, v169, v104 :: v_dual_fmac_f32 v193, v179, v114
	v_pk_fma_f32 v[94:95], v[132:133], v[116:117], v[84:85] op_sel_hi:[1,0,1]
	v_pk_mul_f32 v[86:87], v[182:183], v[86:87] op_sel_hi:[1,0]
	s_delay_alu instid0(VALU_DEP_4) | instskip(SKIP_3) | instid1(VALU_DEP_3)
	v_dual_add_f32 v9, v9, v11 :: v_dual_fma_f32 v11, v174, v110, -v19
	v_dual_add_f32 v5, v5, v25 :: v_dual_fma_f32 v190, v176, v112, -v21
	v_pk_fma_f32 v[84:85], v[132:133], v[116:117], v[84:85] neg_lo:[0,0,1] neg_hi:[0,0,1]
	v_pk_mul_f32 v[88:89], v[136:137], v[120:121] op_sel:[1,1] op_sel_hi:[0,1]
	v_dual_mov_b32 v85, v95 :: v_dual_add_f32 v5, v5, v27
	v_pk_fma_f32 v[94:95], v[134:135], v[118:119], v[86:87] op_sel_hi:[1,0,1]
	v_pk_mul_f32 v[90:91], v[184:185], v[90:91] op_sel_hi:[1,0]
	v_pk_fma_f32 v[86:87], v[134:135], v[118:119], v[86:87] neg_lo:[0,0,1] neg_hi:[0,0,1]
	v_dual_fmac_f32 v31, v173, v108 :: v_dual_fma_f32 v13, v172, v108, -v17
	v_pk_fma_f32 v[98:99], v[136:137], v[120:121], v[88:89] op_sel_hi:[1,0,1]
	v_dual_add_f32 v5, v5, v29 :: v_dual_mov_b32 v87, v95
	v_pk_fma_f32 v[94:95], v[138:139], v[122:123], v[90:91] op_sel_hi:[1,0,1]
	v_pk_fma_f32 v[88:89], v[136:137], v[120:121], v[88:89] neg_lo:[0,0,1] neg_hi:[0,0,1]
	v_pk_fma_f32 v[90:91], v[138:139], v[122:123], v[90:91] neg_lo:[0,0,1] neg_hi:[0,0,1]
	s_delay_alu instid0(VALU_DEP_4) | instskip(NEXT) | instid1(VALU_DEP_4)
	v_dual_mov_b32 v89, v99 :: v_dual_add_f32 v5, v5, v31
	v_dual_mov_b32 v91, v95 :: v_dual_add_f32 v9, v9, v13
	v_fmac_f32_e32 v191, v177, v112
	s_wait_loadcnt 0x2
	v_pk_mul_f32 v[96:97], v[140:141], v[124:125] op_sel:[1,1] op_sel_hi:[0,1]
	v_add_f32_e32 v93, v5, v33
	v_add_f32_e32 v92, v9, v11
	s_delay_alu instid0(VALU_DEP_3) | instskip(NEXT) | instid1(VALU_DEP_2)
	v_pk_fma_f32 v[94:95], v[140:141], v[124:125], v[96:97] neg_lo:[0,0,1] neg_hi:[0,0,1]
	v_pk_add_f32 v[92:93], v[92:93], v[190:191]
	s_delay_alu instid0(VALU_DEP_1) | instskip(NEXT) | instid1(VALU_DEP_1)
	v_pk_add_f32 v[92:93], v[92:93], v[192:193]
	v_pk_add_f32 v[84:85], v[92:93], v[84:85]
	v_mov_b32_e32 v92, v127
	s_delay_alu instid0(VALU_DEP_2) | instskip(SKIP_1) | instid1(VALU_DEP_3)
	v_pk_add_f32 v[84:85], v[84:85], v[86:87]
	v_pk_fma_f32 v[86:87], v[140:141], v[124:125], v[96:97] op_sel_hi:[1,0,1]
	v_pk_mul_f32 v[92:93], v[186:187], v[92:93] op_sel_hi:[1,0]
	s_delay_alu instid0(VALU_DEP_3) | instskip(NEXT) | instid1(VALU_DEP_3)
	v_pk_add_f32 v[84:85], v[84:85], v[88:89]
	v_mov_b32_e32 v95, v87
	s_delay_alu instid0(VALU_DEP_3)
	v_pk_fma_f32 v[86:87], v[142:143], v[126:127], v[92:93] op_sel_hi:[1,0,1]
	s_wait_loadcnt 0x1
	v_pk_mul_f32 v[88:89], v[144:145], v[128:129] op_sel:[1,1] op_sel_hi:[0,1]
	v_mov_b32_e32 v86, v131
	v_pk_add_f32 v[84:85], v[84:85], v[90:91]
	v_pk_fma_f32 v[92:93], v[142:143], v[126:127], v[92:93] neg_lo:[0,0,1] neg_hi:[0,0,1]
	v_mov_b32_e32 v93, v87
	v_pk_fma_f32 v[90:91], v[144:145], v[128:129], v[88:89] op_sel_hi:[1,0,1]
	v_pk_mul_f32 v[86:87], v[188:189], v[86:87] op_sel_hi:[1,0]
	v_pk_add_f32 v[84:85], v[84:85], v[94:95]
	v_pk_fma_f32 v[88:89], v[144:145], v[128:129], v[88:89] neg_lo:[0,0,1] neg_hi:[0,0,1]
	s_delay_alu instid0(VALU_DEP_4) | instskip(NEXT) | instid1(VALU_DEP_4)
	v_mov_b32_e32 v89, v91
	v_pk_fma_f32 v[90:91], v[146:147], v[130:131], v[86:87] op_sel_hi:[1,0,1]
	s_delay_alu instid0(VALU_DEP_4) | instskip(SKIP_1) | instid1(VALU_DEP_3)
	v_pk_add_f32 v[84:85], v[84:85], v[92:93]
	v_pk_fma_f32 v[86:87], v[146:147], v[130:131], v[86:87] neg_lo:[0,0,1] neg_hi:[0,0,1]
	v_mov_b32_e32 v87, v91
	s_delay_alu instid0(VALU_DEP_3) | instskip(NEXT) | instid1(VALU_DEP_1)
	v_pk_add_f32 v[84:85], v[84:85], v[88:89]
	v_pk_add_f32 v[84:85], v[84:85], v[86:87]
	s_wait_loadcnt 0x0
	s_delay_alu instid0(VALU_DEP_1)
	v_pk_add_f32 v[84:85], v[180:181], v[84:85] neg_lo:[0,1] neg_hi:[0,1]
	scratch_store_b64 off, v[84:85], off offset:128
	s_wait_xcnt 0x0
	v_cmpx_lt_u32_e32 15, v0
	s_cbranch_execz .LBB40_229
; %bb.228:
	scratch_load_b64 v[84:85], off, off offset:120
	v_mov_b64_e32 v[86:87], 0
	scratch_store_b64 off, v[86:87], off offset:120
	s_wait_loadcnt 0x0
	ds_store_b64 v1, v[84:85]
.LBB40_229:
	s_wait_xcnt 0x0
	s_or_b32 exec_lo, exec_lo, s0
	s_wait_storecnt_dscnt 0x0
	s_barrier_signal -1
	s_barrier_wait -1
	s_clause 0xd
	scratch_load_b128 v[84:87], off, off offset:128
	scratch_load_b128 v[88:91], off, off offset:144
	;; [unrolled: 1-line block ×12, first 2 shown]
	scratch_load_b64 v[180:181], off, off offset:320
	scratch_load_b64 v[182:183], off, off offset:120
	v_mov_b32_e32 v5, 0
	ds_load_b128 v[132:135], v5 offset:592
	ds_load_b128 v[136:139], v5 offset:608
	;; [unrolled: 1-line block ×12, first 2 shown]
	ds_load_b64 v[184:185], v5 offset:656
	s_mov_b32 s0, exec_lo
	s_wait_dscnt 0xc
	v_dual_mov_b32 v186, v135 :: v_dual_mov_b32 v187, v134
	s_wait_dscnt 0x9
	v_dual_mov_b32 v188, v139 :: v_dual_mov_b32 v193, v146
	v_dual_mov_b32 v189, v138 :: v_dual_mov_b32 v190, v143
	v_dual_mov_b32 v191, v142 :: v_dual_mov_b32 v192, v147
	s_wait_loadcnt_dscnt 0xd08
	v_dual_mul_f32 v9, v148, v85 :: v_dual_mul_f32 v39, v149, v85
	v_dual_mul_f32 v41, v151, v87 :: v_dual_mul_f32 v11, v150, v87
	s_wait_loadcnt_dscnt 0xc07
	v_mul_f32_e32 v13, v152, v89
	s_wait_loadcnt_dscnt 0xa05
	v_dual_mul_f32 v51, v161, v97 :: v_dual_fma_f32 v39, v148, v84, -v39
	v_dual_fmac_f32 v9, v149, v84 :: v_dual_mul_f32 v53, v163, v99
	v_dual_mul_f32 v43, v153, v89 :: v_dual_mul_f32 v45, v155, v91
	v_dual_fmac_f32 v11, v151, v86 :: v_dual_fma_f32 v41, v150, v86, -v41
	s_delay_alu instid0(VALU_DEP_3) | instskip(SKIP_4) | instid1(VALU_DEP_3)
	v_dual_add_f32 v9, 0, v9 :: v_dual_add_f32 v39, 0, v39
	v_dual_mul_f32 v15, v154, v91 :: v_dual_mul_f32 v17, v156, v93
	s_wait_loadcnt_dscnt 0x904
	v_dual_mul_f32 v55, v165, v101 :: v_dual_fma_f32 v43, v152, v88, -v43
	v_fmac_f32_e32 v13, v153, v88
	v_dual_add_f32 v9, v9, v11 :: v_dual_fmac_f32 v15, v155, v90
	v_add_f32_e32 v11, v39, v41
	v_dual_mul_f32 v47, v157, v93 :: v_dual_mul_f32 v49, v159, v95
	v_dual_mul_f32 v39, v167, v103 :: v_dual_fma_f32 v41, v154, v90, -v45
	s_delay_alu instid0(VALU_DEP_3) | instskip(SKIP_3) | instid1(VALU_DEP_3)
	v_dual_add_f32 v9, v9, v13 :: v_dual_add_f32 v11, v11, v43
	v_dual_mul_f32 v19, v158, v95 :: v_dual_mul_f32 v21, v160, v97
	s_wait_loadcnt_dscnt 0x803
	v_dual_mul_f32 v13, v169, v105 :: v_dual_fma_f32 v43, v156, v92, -v47
	v_dual_fmac_f32 v17, v157, v92 :: v_dual_add_f32 v11, v11, v41
	s_delay_alu instid0(VALU_DEP_3) | instskip(SKIP_1) | instid1(VALU_DEP_2)
	v_dual_add_f32 v9, v9, v15 :: v_dual_fmac_f32 v19, v159, v94
	v_dual_mul_f32 v15, v171, v107 :: v_dual_fma_f32 v41, v158, v94, -v49
	v_dual_add_f32 v11, v11, v43 :: v_dual_add_f32 v9, v9, v17
	v_dual_mul_f32 v23, v162, v99 :: v_dual_mul_f32 v25, v164, v101
	s_wait_loadcnt_dscnt 0x702
	v_dual_mul_f32 v17, v173, v109 :: v_dual_fma_f32 v43, v160, v96, -v51
	s_delay_alu instid0(VALU_DEP_3) | instskip(NEXT) | instid1(VALU_DEP_3)
	v_dual_fmac_f32 v21, v161, v96 :: v_dual_add_f32 v11, v11, v41
	v_dual_add_f32 v9, v9, v19 :: v_dual_fmac_f32 v23, v163, v98
	v_dual_mul_f32 v19, v175, v111 :: v_dual_fma_f32 v41, v162, v98, -v53
	s_delay_alu instid0(VALU_DEP_2) | instskip(SKIP_3) | instid1(VALU_DEP_3)
	v_dual_add_f32 v11, v11, v43 :: v_dual_add_f32 v9, v9, v21
	v_dual_mul_f32 v27, v166, v103 :: v_dual_mul_f32 v29, v168, v105
	s_wait_loadcnt_dscnt 0x601
	v_dual_mul_f32 v21, v177, v113 :: v_dual_fma_f32 v43, v164, v100, -v55
	v_dual_fmac_f32 v25, v165, v100 :: v_dual_add_f32 v11, v11, v41
	s_delay_alu instid0(VALU_DEP_3) | instskip(SKIP_1) | instid1(VALU_DEP_2)
	v_dual_add_f32 v9, v9, v23 :: v_dual_fmac_f32 v27, v167, v102
	v_dual_mul_f32 v23, v179, v115 :: v_dual_fma_f32 v39, v166, v102, -v39
	v_dual_add_f32 v11, v11, v43 :: v_dual_add_f32 v9, v9, v25
	v_dual_mul_f32 v31, v170, v107 :: v_dual_mul_f32 v33, v172, v109
	s_wait_loadcnt 0x5
	v_dual_mul_f32 v25, v133, v117 :: v_dual_fma_f32 v13, v168, v104, -v13
	s_delay_alu instid0(VALU_DEP_3) | instskip(SKIP_2) | instid1(VALU_DEP_3)
	v_dual_fmac_f32 v29, v169, v104 :: v_dual_add_f32 v11, v11, v39
	v_dual_add_f32 v9, v9, v27 :: v_dual_mov_b32 v84, v119
	v_fmac_f32_e32 v31, v171, v106
	v_dual_fma_f32 v15, v170, v106, -v15 :: v_dual_add_f32 v11, v11, v13
	s_delay_alu instid0(VALU_DEP_3) | instskip(SKIP_1) | instid1(VALU_DEP_3)
	v_dual_add_f32 v9, v9, v29 :: v_dual_mul_f32 v35, v174, v111
	v_dual_mul_f32 v37, v176, v113 :: v_dual_fmac_f32 v33, v173, v108
	v_dual_add_f32 v11, v11, v15 :: v_dual_fma_f32 v13, v172, v108, -v17
	s_wait_loadcnt 0x4
	s_delay_alu instid0(VALU_DEP_3) | instskip(SKIP_3) | instid1(VALU_DEP_4)
	v_dual_add_f32 v9, v9, v31 :: v_dual_mov_b32 v88, v123
	v_fma_f32 v15, v174, v110, -v19
	v_fmac_f32_e32 v35, v175, v110
	v_dual_add_f32 v11, v11, v13 :: v_dual_fmac_f32 v37, v177, v112
	v_dual_add_f32 v9, v9, v33 :: v_dual_mul_f32 v195, v178, v115
	v_mul_f32_e32 v197, v132, v117
	s_delay_alu instid0(VALU_DEP_3) | instskip(NEXT) | instid1(VALU_DEP_3)
	v_dual_fma_f32 v13, v176, v112, -v21 :: v_dual_add_f32 v11, v11, v15
	v_dual_fma_f32 v194, v178, v114, -v23 :: v_dual_add_f32 v9, v9, v35
	s_delay_alu instid0(VALU_DEP_4) | instskip(SKIP_1) | instid1(VALU_DEP_4)
	v_fmac_f32_e32 v195, v179, v114
	v_pk_mul_f32 v[84:85], v[186:187], v[84:85] op_sel_hi:[1,0]
	v_dual_add_f32 v92, v11, v13 :: v_dual_fmac_f32 v197, v133, v116
	s_delay_alu instid0(VALU_DEP_4)
	v_add_f32_e32 v93, v9, v37
	v_pk_mul_f32 v[86:87], v[136:137], v[120:121] op_sel:[1,1] op_sel_hi:[0,1]
	s_wait_loadcnt 0x3
	v_dual_mov_b32 v94, v127 :: v_dual_fma_f32 v196, v132, v116, -v25
	v_pk_fma_f32 v[96:97], v[134:135], v[118:119], v[84:85] op_sel_hi:[1,0,1]
	v_pk_add_f32 v[92:93], v[92:93], v[194:195]
	v_pk_fma_f32 v[84:85], v[134:135], v[118:119], v[84:85] neg_lo:[0,0,1] neg_hi:[0,0,1]
	v_pk_fma_f32 v[98:99], v[136:137], v[120:121], v[86:87] op_sel_hi:[1,0,1]
	v_pk_mul_f32 v[88:89], v[188:189], v[88:89] op_sel_hi:[1,0]
	v_mov_b32_e32 v85, v97
	v_pk_add_f32 v[92:93], v[92:93], v[196:197]
	v_pk_fma_f32 v[86:87], v[136:137], v[120:121], v[86:87] neg_lo:[0,0,1] neg_hi:[0,0,1]
	v_pk_mul_f32 v[90:91], v[140:141], v[124:125] op_sel:[1,1] op_sel_hi:[0,1]
	v_mov_b32_e32 v87, v99
	v_pk_fma_f32 v[98:99], v[138:139], v[122:123], v[88:89] op_sel_hi:[1,0,1]
	v_pk_add_f32 v[84:85], v[92:93], v[84:85]
	v_pk_fma_f32 v[88:89], v[138:139], v[122:123], v[88:89] neg_lo:[0,0,1] neg_hi:[0,0,1]
	v_pk_fma_f32 v[92:93], v[140:141], v[124:125], v[90:91] op_sel_hi:[1,0,1]
	v_pk_mul_f32 v[94:95], v[190:191], v[94:95] op_sel_hi:[1,0]
	v_mov_b32_e32 v89, v99
	v_pk_add_f32 v[84:85], v[84:85], v[86:87]
	v_pk_fma_f32 v[90:91], v[140:141], v[124:125], v[90:91] neg_lo:[0,0,1] neg_hi:[0,0,1]
	s_wait_loadcnt 0x2
	v_pk_mul_f32 v[96:97], v[144:145], v[128:129] op_sel:[1,1] op_sel_hi:[0,1]
	v_dual_mov_b32 v86, v131 :: v_dual_mov_b32 v91, v93
	v_pk_fma_f32 v[92:93], v[142:143], v[126:127], v[94:95] op_sel_hi:[1,0,1]
	v_pk_add_f32 v[84:85], v[84:85], v[88:89]
	v_pk_fma_f32 v[94:95], v[142:143], v[126:127], v[94:95] neg_lo:[0,0,1] neg_hi:[0,0,1]
	v_pk_fma_f32 v[88:89], v[144:145], v[128:129], v[96:97] op_sel_hi:[1,0,1]
	v_pk_mul_f32 v[86:87], v[192:193], v[86:87] op_sel_hi:[1,0]
	v_mov_b32_e32 v95, v93
	v_pk_add_f32 v[84:85], v[84:85], v[90:91]
	v_pk_fma_f32 v[90:91], v[144:145], v[128:129], v[96:97] neg_lo:[0,0,1] neg_hi:[0,0,1]
	v_mov_b32_e32 v91, v89
	v_pk_fma_f32 v[88:89], v[146:147], v[130:131], v[86:87] op_sel_hi:[1,0,1]
	s_wait_loadcnt_dscnt 0x100
	v_pk_mul_f32 v[92:93], v[184:185], v[180:181] op_sel:[1,1] op_sel_hi:[0,1]
	v_pk_add_f32 v[84:85], v[84:85], v[94:95]
	v_pk_fma_f32 v[86:87], v[146:147], v[130:131], v[86:87] neg_lo:[0,0,1] neg_hi:[0,0,1]
	v_mov_b32_e32 v87, v89
	s_delay_alu instid0(VALU_DEP_4) | instskip(NEXT) | instid1(VALU_DEP_4)
	v_pk_fma_f32 v[88:89], v[184:185], v[180:181], v[92:93] op_sel_hi:[1,0,1]
	v_pk_add_f32 v[84:85], v[84:85], v[90:91]
	v_pk_fma_f32 v[90:91], v[184:185], v[180:181], v[92:93] neg_lo:[0,0,1] neg_hi:[0,0,1]
	s_delay_alu instid0(VALU_DEP_3) | instskip(NEXT) | instid1(VALU_DEP_3)
	v_mov_b32_e32 v91, v89
	v_pk_add_f32 v[84:85], v[84:85], v[86:87]
	s_delay_alu instid0(VALU_DEP_1) | instskip(SKIP_1) | instid1(VALU_DEP_1)
	v_pk_add_f32 v[84:85], v[84:85], v[90:91]
	s_wait_loadcnt 0x0
	v_pk_add_f32 v[84:85], v[182:183], v[84:85] neg_lo:[0,1] neg_hi:[0,1]
	scratch_store_b64 off, v[84:85], off offset:120
	s_wait_xcnt 0x0
	v_cmpx_lt_u32_e32 14, v0
	s_cbranch_execz .LBB40_231
; %bb.230:
	scratch_load_b64 v[84:85], off, off offset:112
	v_mov_b64_e32 v[86:87], 0
	scratch_store_b64 off, v[86:87], off offset:112
	s_wait_loadcnt 0x0
	ds_store_b64 v1, v[84:85]
.LBB40_231:
	s_wait_xcnt 0x0
	s_or_b32 exec_lo, exec_lo, s0
	s_wait_storecnt_dscnt 0x0
	s_barrier_signal -1
	s_barrier_wait -1
	s_clause 0xd
	scratch_load_b128 v[84:87], off, off offset:120
	scratch_load_b128 v[88:91], off, off offset:136
	;; [unrolled: 1-line block ×13, first 2 shown]
	scratch_load_b64 v[188:189], off, off offset:112
	ds_load_2addr_b64 v[136:139], v5 offset0:75 offset1:76
	ds_load_2addr_b64 v[140:143], v5 offset0:77 offset1:78
	;; [unrolled: 1-line block ×13, first 2 shown]
	s_mov_b32 s0, exec_lo
	s_wait_dscnt 0xc
	v_dual_mov_b32 v190, v139 :: v_dual_mov_b32 v191, v138
	s_wait_dscnt 0xb
	v_dual_mov_b32 v192, v143 :: v_dual_mov_b32 v193, v142
	;; [unrolled: 2-line block ×4, first 2 shown]
	s_wait_loadcnt_dscnt 0xd08
	v_dual_mul_f32 v5, v152, v85 :: v_dual_mul_f32 v9, v154, v87
	v_dual_mul_f32 v39, v153, v85 :: v_dual_mul_f32 v41, v155, v87
	s_wait_loadcnt_dscnt 0xc07
	v_dual_mul_f32 v11, v156, v89 :: v_dual_mul_f32 v13, v158, v91
	s_delay_alu instid0(VALU_DEP_2) | instskip(SKIP_3) | instid1(VALU_DEP_3)
	v_dual_fmac_f32 v5, v153, v84 :: v_dual_fma_f32 v39, v152, v84, -v39
	v_dual_mul_f32 v43, v157, v89 :: v_dual_mul_f32 v45, v159, v91
	s_wait_loadcnt_dscnt 0xa05
	v_dual_mul_f32 v51, v165, v97 :: v_dual_fmac_f32 v9, v155, v86
	v_dual_fma_f32 v41, v154, v86, -v41 :: v_dual_add_f32 v5, 0, v5
	v_dual_add_f32 v39, 0, v39 :: v_dual_fmac_f32 v11, v157, v88
	v_dual_mul_f32 v53, v167, v99 :: v_dual_fma_f32 v43, v156, v88, -v43
	s_delay_alu instid0(VALU_DEP_3) | instskip(NEXT) | instid1(VALU_DEP_3)
	v_dual_add_f32 v5, v5, v9 :: v_dual_fmac_f32 v13, v159, v90
	v_dual_add_f32 v9, v39, v41 :: v_dual_fma_f32 v41, v158, v90, -v45
	v_dual_mul_f32 v15, v160, v93 :: v_dual_mul_f32 v17, v162, v95
	v_dual_mul_f32 v47, v161, v93 :: v_dual_mul_f32 v49, v163, v95
	s_delay_alu instid0(VALU_DEP_3) | instskip(NEXT) | instid1(VALU_DEP_3)
	v_add_f32_e32 v9, v9, v43
	v_dual_add_f32 v5, v5, v11 :: v_dual_fmac_f32 v17, v163, v94
	s_wait_loadcnt_dscnt 0x903
	s_delay_alu instid0(VALU_DEP_3) | instskip(NEXT) | instid1(VALU_DEP_3)
	v_dual_fma_f32 v43, v160, v92, -v47 :: v_dual_mul_f32 v39, v173, v101
	v_dual_mul_f32 v11, v175, v103 :: v_dual_add_f32 v9, v9, v41
	v_dual_fmac_f32 v15, v161, v92 :: v_dual_fma_f32 v41, v162, v94, -v49
	s_delay_alu instid0(VALU_DEP_3) | instskip(NEXT) | instid1(VALU_DEP_3)
	v_dual_add_f32 v5, v5, v13 :: v_dual_fma_f32 v39, v172, v100, -v39
	v_dual_add_f32 v9, v9, v43 :: v_dual_fma_f32 v43, v164, v96, -v51
	v_dual_mul_f32 v19, v164, v97 :: v_dual_mul_f32 v21, v166, v99
	s_wait_loadcnt_dscnt 0x802
	v_dual_mul_f32 v27, v176, v105 :: v_dual_mul_f32 v29, v178, v107
	s_delay_alu instid0(VALU_DEP_3) | instskip(SKIP_2) | instid1(VALU_DEP_3)
	v_dual_add_f32 v9, v9, v41 :: v_dual_fma_f32 v11, v174, v102, -v11
	v_dual_add_f32 v5, v5, v15 :: v_dual_fma_f32 v41, v166, v98, -v53
	v_dual_mul_f32 v23, v172, v101 :: v_dual_mul_f32 v25, v174, v103
	v_dual_add_f32 v9, v9, v43 :: v_dual_fmac_f32 v29, v179, v106
	v_fmac_f32_e32 v19, v165, v96
	s_delay_alu instid0(VALU_DEP_4)
	v_add_f32_e32 v5, v5, v17
	s_wait_loadcnt_dscnt 0x701
	v_mul_f32_e32 v17, v181, v109
	v_add_f32_e32 v9, v9, v41
	v_dual_mul_f32 v13, v177, v105 :: v_dual_fmac_f32 v21, v167, v98
	v_dual_fmac_f32 v25, v175, v102 :: v_dual_add_f32 v5, v5, v19
	s_wait_loadcnt 0x4
	s_delay_alu instid0(VALU_DEP_3) | instskip(SKIP_1) | instid1(VALU_DEP_3)
	v_dual_add_f32 v9, v9, v39 :: v_dual_mov_b32 v86, v123
	v_dual_mul_f32 v15, v179, v107 :: v_dual_fmac_f32 v23, v173, v100
	v_dual_fma_f32 v13, v176, v104, -v13 :: v_dual_add_f32 v5, v5, v21
	s_delay_alu instid0(VALU_DEP_3) | instskip(SKIP_3) | instid1(VALU_DEP_4)
	v_dual_add_f32 v9, v9, v11 :: v_dual_mul_f32 v31, v180, v109
	v_dual_mul_f32 v33, v182, v111 :: v_dual_mul_f32 v199, v168, v117
	v_mul_f32_e32 v201, v170, v119
	v_dual_mul_f32 v19, v183, v111 :: v_dual_fma_f32 v15, v178, v106, -v15
	v_dual_add_f32 v9, v9, v13 :: v_dual_mul_f32 v13, v171, v119
	s_wait_dscnt 0x0
	v_dual_add_f32 v5, v5, v23 :: v_dual_mul_f32 v35, v184, v113
	v_dual_mul_f32 v37, v186, v115 :: v_dual_mul_f32 v21, v185, v113
	v_fmac_f32_e32 v33, v183, v110
	v_dual_mul_f32 v23, v187, v115 :: v_dual_fmac_f32 v27, v177, v104
	s_delay_alu instid0(VALU_DEP_3)
	v_fmac_f32_e32 v37, v187, v114
	v_fma_f32 v17, v180, v108, -v17
	s_wait_loadcnt 0x3
	v_pk_mul_f32 v[88:89], v[140:141], v[124:125] op_sel:[1,1] op_sel_hi:[0,1]
	v_dual_fmac_f32 v201, v171, v118 :: v_dual_add_f32 v9, v9, v15
	v_dual_fma_f32 v15, v182, v110, -v19 :: v_dual_add_f32 v5, v5, v25
	v_dual_mul_f32 v11, v169, v117 :: v_dual_mov_b32 v90, v127
	v_pk_mul_f32 v[84:85], v[136:137], v[120:121] op_sel:[1,1] op_sel_hi:[0,1]
	v_pk_fma_f32 v[98:99], v[140:141], v[124:125], v[88:89] op_sel_hi:[1,0,1]
	v_dual_add_f32 v9, v9, v17 :: v_dual_fma_f32 v17, v184, v112, -v21
	s_delay_alu instid0(VALU_DEP_4) | instskip(SKIP_2) | instid1(VALU_DEP_3)
	v_dual_add_f32 v5, v5, v27 :: v_dual_fma_f32 v198, v168, v116, -v11
	v_dual_fmac_f32 v31, v181, v108 :: v_dual_fma_f32 v200, v170, v118, -v13
	v_pk_fma_f32 v[94:95], v[136:137], v[120:121], v[84:85] op_sel_hi:[1,0,1]
	v_add_f32_e32 v5, v5, v29
	v_pk_mul_f32 v[86:87], v[190:191], v[86:87] op_sel_hi:[1,0]
	v_pk_fma_f32 v[84:85], v[136:137], v[120:121], v[84:85] neg_lo:[0,0,1] neg_hi:[0,0,1]
	v_pk_mul_f32 v[90:91], v[192:193], v[90:91] op_sel_hi:[1,0]
	s_delay_alu instid0(VALU_DEP_4) | instskip(NEXT) | instid1(VALU_DEP_4)
	v_dual_mov_b32 v85, v95 :: v_dual_add_f32 v5, v5, v31
	v_pk_fma_f32 v[94:95], v[138:139], v[122:123], v[86:87] op_sel_hi:[1,0,1]
	v_pk_fma_f32 v[86:87], v[138:139], v[122:123], v[86:87] neg_lo:[0,0,1] neg_hi:[0,0,1]
	v_pk_fma_f32 v[88:89], v[140:141], v[124:125], v[88:89] neg_lo:[0,0,1] neg_hi:[0,0,1]
	s_delay_alu instid0(VALU_DEP_4) | instskip(NEXT) | instid1(VALU_DEP_4)
	v_dual_mov_b32 v89, v99 :: v_dual_add_f32 v5, v5, v33
	v_dual_add_f32 v9, v9, v15 :: v_dual_mov_b32 v87, v95
	v_pk_fma_f32 v[94:95], v[142:143], v[126:127], v[90:91] op_sel_hi:[1,0,1]
	v_fmac_f32_e32 v35, v185, v112
	v_pk_fma_f32 v[90:91], v[142:143], v[126:127], v[90:91] neg_lo:[0,0,1] neg_hi:[0,0,1]
	s_delay_alu instid0(VALU_DEP_4) | instskip(NEXT) | instid1(VALU_DEP_3)
	v_dual_fma_f32 v15, v186, v114, -v23 :: v_dual_add_f32 v9, v9, v17
	v_dual_mov_b32 v91, v95 :: v_dual_add_f32 v5, v5, v35
	v_fmac_f32_e32 v199, v169, v116
	s_wait_loadcnt 0x2
	v_pk_mul_f32 v[96:97], v[144:145], v[128:129] op_sel:[1,1] op_sel_hi:[0,1]
	v_add_f32_e32 v92, v9, v15
	v_add_f32_e32 v93, v5, v37
	s_delay_alu instid0(VALU_DEP_3) | instskip(NEXT) | instid1(VALU_DEP_2)
	v_pk_fma_f32 v[94:95], v[144:145], v[128:129], v[96:97] neg_lo:[0,0,1] neg_hi:[0,0,1]
	v_pk_add_f32 v[92:93], v[92:93], v[198:199]
	s_delay_alu instid0(VALU_DEP_1) | instskip(NEXT) | instid1(VALU_DEP_1)
	v_pk_add_f32 v[92:93], v[92:93], v[200:201]
	v_pk_add_f32 v[84:85], v[92:93], v[84:85]
	v_mov_b32_e32 v92, v131
	s_delay_alu instid0(VALU_DEP_2) | instskip(SKIP_1) | instid1(VALU_DEP_3)
	v_pk_add_f32 v[84:85], v[84:85], v[86:87]
	v_pk_fma_f32 v[86:87], v[144:145], v[128:129], v[96:97] op_sel_hi:[1,0,1]
	v_pk_mul_f32 v[92:93], v[194:195], v[92:93] op_sel_hi:[1,0]
	s_delay_alu instid0(VALU_DEP_3) | instskip(NEXT) | instid1(VALU_DEP_3)
	v_pk_add_f32 v[84:85], v[84:85], v[88:89]
	v_mov_b32_e32 v95, v87
	s_delay_alu instid0(VALU_DEP_3)
	v_pk_fma_f32 v[86:87], v[146:147], v[130:131], v[92:93] op_sel_hi:[1,0,1]
	s_wait_loadcnt 0x1
	v_pk_mul_f32 v[88:89], v[148:149], v[132:133] op_sel:[1,1] op_sel_hi:[0,1]
	v_mov_b32_e32 v86, v135
	v_pk_add_f32 v[84:85], v[84:85], v[90:91]
	v_pk_fma_f32 v[92:93], v[146:147], v[130:131], v[92:93] neg_lo:[0,0,1] neg_hi:[0,0,1]
	v_mov_b32_e32 v93, v87
	v_pk_fma_f32 v[90:91], v[148:149], v[132:133], v[88:89] op_sel_hi:[1,0,1]
	v_pk_mul_f32 v[86:87], v[196:197], v[86:87] op_sel_hi:[1,0]
	v_pk_add_f32 v[84:85], v[84:85], v[94:95]
	v_pk_fma_f32 v[88:89], v[148:149], v[132:133], v[88:89] neg_lo:[0,0,1] neg_hi:[0,0,1]
	s_delay_alu instid0(VALU_DEP_4) | instskip(NEXT) | instid1(VALU_DEP_4)
	v_mov_b32_e32 v89, v91
	v_pk_fma_f32 v[90:91], v[150:151], v[134:135], v[86:87] op_sel_hi:[1,0,1]
	s_delay_alu instid0(VALU_DEP_4) | instskip(SKIP_1) | instid1(VALU_DEP_3)
	v_pk_add_f32 v[84:85], v[84:85], v[92:93]
	v_pk_fma_f32 v[86:87], v[150:151], v[134:135], v[86:87] neg_lo:[0,0,1] neg_hi:[0,0,1]
	v_mov_b32_e32 v87, v91
	s_delay_alu instid0(VALU_DEP_3) | instskip(NEXT) | instid1(VALU_DEP_1)
	v_pk_add_f32 v[84:85], v[84:85], v[88:89]
	v_pk_add_f32 v[84:85], v[84:85], v[86:87]
	s_wait_loadcnt 0x0
	s_delay_alu instid0(VALU_DEP_1)
	v_pk_add_f32 v[84:85], v[188:189], v[84:85] neg_lo:[0,1] neg_hi:[0,1]
	scratch_store_b64 off, v[84:85], off offset:112
	s_wait_xcnt 0x0
	v_cmpx_lt_u32_e32 13, v0
	s_cbranch_execz .LBB40_233
; %bb.232:
	scratch_load_b64 v[84:85], off, off offset:104
	v_mov_b64_e32 v[86:87], 0
	scratch_store_b64 off, v[86:87], off offset:104
	s_wait_loadcnt 0x0
	ds_store_b64 v1, v[84:85]
.LBB40_233:
	s_wait_xcnt 0x0
	s_or_b32 exec_lo, exec_lo, s0
	s_wait_storecnt_dscnt 0x0
	s_barrier_signal -1
	s_barrier_wait -1
	s_clause 0xe
	scratch_load_b128 v[84:87], off, off offset:112
	scratch_load_b128 v[88:91], off, off offset:128
	;; [unrolled: 1-line block ×13, first 2 shown]
	scratch_load_b64 v[188:189], off, off offset:320
	scratch_load_b64 v[190:191], off, off offset:104
	v_mov_b32_e32 v5, 0
	ds_load_b128 v[136:139], v5 offset:592
	ds_load_b128 v[140:143], v5 offset:608
	;; [unrolled: 1-line block ×13, first 2 shown]
	ds_load_b64 v[192:193], v5 offset:656
	s_mov_b32 s0, exec_lo
	s_wait_dscnt 0xd
	v_dual_mov_b32 v194, v139 :: v_dual_mov_b32 v195, v138
	s_wait_dscnt 0xa
	v_dual_mov_b32 v196, v143 :: v_dual_mov_b32 v201, v150
	v_dual_mov_b32 v197, v142 :: v_dual_mov_b32 v198, v147
	v_dual_mov_b32 v199, v146 :: v_dual_mov_b32 v200, v151
	s_wait_loadcnt_dscnt 0xe09
	v_dual_mul_f32 v9, v152, v85 :: v_dual_mul_f32 v43, v153, v85
	v_dual_mul_f32 v45, v155, v87 :: v_dual_mul_f32 v11, v154, v87
	s_wait_loadcnt_dscnt 0xd08
	v_mul_f32_e32 v13, v156, v89
	s_wait_loadcnt_dscnt 0xb05
	v_dual_mul_f32 v55, v169, v97 :: v_dual_fma_f32 v43, v152, v84, -v43
	v_dual_fmac_f32 v9, v153, v84 :: v_dual_mul_f32 v57, v171, v99
	v_dual_mul_f32 v47, v157, v89 :: v_dual_mul_f32 v49, v159, v91
	v_dual_fmac_f32 v11, v155, v86 :: v_dual_fma_f32 v45, v154, v86, -v45
	s_delay_alu instid0(VALU_DEP_3) | instskip(SKIP_4) | instid1(VALU_DEP_3)
	v_dual_add_f32 v9, 0, v9 :: v_dual_add_f32 v43, 0, v43
	v_dual_mul_f32 v15, v158, v91 :: v_dual_mul_f32 v17, v160, v93
	s_wait_loadcnt_dscnt 0xa04
	v_dual_mul_f32 v59, v173, v101 :: v_dual_fma_f32 v47, v156, v88, -v47
	v_fmac_f32_e32 v13, v157, v88
	v_dual_add_f32 v9, v9, v11 :: v_dual_fmac_f32 v15, v159, v90
	v_add_f32_e32 v11, v43, v45
	v_dual_mul_f32 v51, v161, v93 :: v_dual_mul_f32 v53, v163, v95
	v_dual_mul_f32 v43, v175, v103 :: v_dual_fma_f32 v45, v158, v90, -v49
	s_delay_alu instid0(VALU_DEP_3) | instskip(SKIP_3) | instid1(VALU_DEP_3)
	v_dual_add_f32 v9, v9, v13 :: v_dual_add_f32 v11, v11, v47
	v_dual_mul_f32 v19, v162, v95 :: v_dual_mul_f32 v21, v168, v97
	s_wait_loadcnt_dscnt 0x903
	v_dual_mul_f32 v13, v177, v105 :: v_dual_fma_f32 v47, v160, v92, -v51
	v_dual_fmac_f32 v17, v161, v92 :: v_dual_add_f32 v11, v11, v45
	s_delay_alu instid0(VALU_DEP_3) | instskip(SKIP_1) | instid1(VALU_DEP_2)
	v_dual_add_f32 v9, v9, v15 :: v_dual_fmac_f32 v19, v163, v94
	v_dual_mul_f32 v15, v179, v107 :: v_dual_fma_f32 v45, v162, v94, -v53
	v_dual_add_f32 v11, v11, v47 :: v_dual_add_f32 v9, v9, v17
	v_dual_mul_f32 v23, v170, v99 :: v_dual_mul_f32 v25, v172, v101
	s_wait_loadcnt_dscnt 0x802
	v_dual_mul_f32 v17, v181, v109 :: v_dual_fma_f32 v47, v168, v96, -v55
	s_delay_alu instid0(VALU_DEP_3) | instskip(NEXT) | instid1(VALU_DEP_3)
	v_dual_fmac_f32 v21, v169, v96 :: v_dual_add_f32 v11, v11, v45
	v_dual_add_f32 v9, v9, v19 :: v_dual_fmac_f32 v23, v171, v98
	v_dual_mul_f32 v19, v183, v111 :: v_dual_fma_f32 v45, v170, v98, -v57
	s_delay_alu instid0(VALU_DEP_2) | instskip(SKIP_3) | instid1(VALU_DEP_3)
	v_dual_add_f32 v11, v11, v47 :: v_dual_add_f32 v9, v9, v21
	v_dual_mul_f32 v27, v174, v103 :: v_dual_mul_f32 v29, v176, v105
	s_wait_loadcnt_dscnt 0x701
	v_dual_mul_f32 v21, v185, v113 :: v_dual_fma_f32 v47, v172, v100, -v59
	v_dual_fmac_f32 v25, v173, v100 :: v_dual_add_f32 v11, v11, v45
	s_delay_alu instid0(VALU_DEP_3) | instskip(SKIP_1) | instid1(VALU_DEP_2)
	v_dual_add_f32 v9, v9, v23 :: v_dual_fmac_f32 v27, v175, v102
	v_dual_mul_f32 v23, v187, v115 :: v_dual_fma_f32 v43, v174, v102, -v43
	v_dual_add_f32 v11, v11, v47 :: v_dual_add_f32 v9, v9, v25
	v_dual_mul_f32 v31, v178, v107 :: v_dual_mul_f32 v33, v180, v109
	s_wait_loadcnt 0x6
	v_dual_mul_f32 v25, v165, v117 :: v_dual_fma_f32 v13, v176, v104, -v13
	s_delay_alu instid0(VALU_DEP_3) | instskip(NEXT) | instid1(VALU_DEP_3)
	v_dual_fmac_f32 v29, v177, v104 :: v_dual_add_f32 v11, v11, v43
	v_dual_add_f32 v9, v9, v27 :: v_dual_fmac_f32 v31, v179, v106
	v_dual_mul_f32 v27, v167, v119 :: v_dual_fma_f32 v15, v178, v106, -v15
	s_delay_alu instid0(VALU_DEP_3) | instskip(NEXT) | instid1(VALU_DEP_3)
	v_dual_add_f32 v11, v11, v13 :: v_dual_fmac_f32 v33, v181, v108
	v_dual_add_f32 v9, v9, v29 :: v_dual_fma_f32 v17, v180, v108, -v17
	v_dual_mul_f32 v35, v182, v111 :: v_dual_mul_f32 v37, v184, v113
	s_wait_loadcnt 0x5
	s_delay_alu instid0(VALU_DEP_3) | instskip(NEXT) | instid1(VALU_DEP_3)
	v_dual_mul_f32 v13, v137, v121 :: v_dual_add_f32 v11, v11, v15
	v_dual_add_f32 v9, v9, v31 :: v_dual_mov_b32 v84, v123
	s_delay_alu instid0(VALU_DEP_3) | instskip(NEXT) | instid1(VALU_DEP_3)
	v_fmac_f32_e32 v35, v183, v110
	v_dual_fma_f32 v15, v182, v110, -v19 :: v_dual_add_f32 v11, v11, v17
	s_delay_alu instid0(VALU_DEP_3) | instskip(SKIP_1) | instid1(VALU_DEP_3)
	v_dual_add_f32 v9, v9, v33 :: v_dual_mul_f32 v39, v186, v115
	v_dual_mul_f32 v41, v164, v117 :: v_dual_fmac_f32 v37, v185, v112
	v_dual_add_f32 v11, v11, v15 :: v_dual_fma_f32 v17, v184, v112, -v21
	s_wait_loadcnt 0x4
	s_delay_alu instid0(VALU_DEP_3) | instskip(SKIP_3) | instid1(VALU_DEP_4)
	v_dual_add_f32 v9, v9, v35 :: v_dual_mov_b32 v88, v127
	v_fma_f32 v15, v186, v114, -v23
	v_fmac_f32_e32 v39, v187, v114
	v_dual_add_f32 v11, v11, v17 :: v_dual_fmac_f32 v41, v165, v116
	v_dual_add_f32 v9, v9, v37 :: v_dual_mul_f32 v203, v166, v119
	v_mul_f32_e32 v205, v136, v121
	s_delay_alu instid0(VALU_DEP_3) | instskip(NEXT) | instid1(VALU_DEP_3)
	v_dual_fma_f32 v17, v164, v116, -v25 :: v_dual_add_f32 v11, v11, v15
	v_dual_fma_f32 v202, v166, v118, -v27 :: v_dual_add_f32 v9, v9, v39
	s_delay_alu instid0(VALU_DEP_4) | instskip(SKIP_1) | instid1(VALU_DEP_4)
	v_fmac_f32_e32 v203, v167, v118
	v_pk_mul_f32 v[84:85], v[194:195], v[84:85] op_sel_hi:[1,0]
	v_dual_add_f32 v92, v11, v17 :: v_dual_fmac_f32 v205, v137, v120
	s_delay_alu instid0(VALU_DEP_4)
	v_add_f32_e32 v93, v9, v41
	v_pk_mul_f32 v[86:87], v[140:141], v[124:125] op_sel:[1,1] op_sel_hi:[0,1]
	s_wait_loadcnt 0x3
	v_dual_mov_b32 v94, v131 :: v_dual_fma_f32 v204, v136, v120, -v13
	v_pk_fma_f32 v[96:97], v[138:139], v[122:123], v[84:85] op_sel_hi:[1,0,1]
	v_pk_add_f32 v[92:93], v[92:93], v[202:203]
	v_pk_fma_f32 v[84:85], v[138:139], v[122:123], v[84:85] neg_lo:[0,0,1] neg_hi:[0,0,1]
	v_pk_fma_f32 v[98:99], v[140:141], v[124:125], v[86:87] op_sel_hi:[1,0,1]
	v_pk_mul_f32 v[88:89], v[196:197], v[88:89] op_sel_hi:[1,0]
	v_mov_b32_e32 v85, v97
	v_pk_add_f32 v[92:93], v[92:93], v[204:205]
	v_pk_fma_f32 v[86:87], v[140:141], v[124:125], v[86:87] neg_lo:[0,0,1] neg_hi:[0,0,1]
	v_pk_mul_f32 v[90:91], v[144:145], v[128:129] op_sel:[1,1] op_sel_hi:[0,1]
	v_mov_b32_e32 v87, v99
	v_pk_fma_f32 v[98:99], v[142:143], v[126:127], v[88:89] op_sel_hi:[1,0,1]
	v_pk_add_f32 v[84:85], v[92:93], v[84:85]
	v_pk_fma_f32 v[88:89], v[142:143], v[126:127], v[88:89] neg_lo:[0,0,1] neg_hi:[0,0,1]
	v_pk_fma_f32 v[92:93], v[144:145], v[128:129], v[90:91] op_sel_hi:[1,0,1]
	v_pk_mul_f32 v[94:95], v[198:199], v[94:95] op_sel_hi:[1,0]
	v_mov_b32_e32 v89, v99
	v_pk_add_f32 v[84:85], v[84:85], v[86:87]
	v_pk_fma_f32 v[90:91], v[144:145], v[128:129], v[90:91] neg_lo:[0,0,1] neg_hi:[0,0,1]
	s_wait_loadcnt 0x2
	v_pk_mul_f32 v[96:97], v[148:149], v[132:133] op_sel:[1,1] op_sel_hi:[0,1]
	v_dual_mov_b32 v86, v135 :: v_dual_mov_b32 v91, v93
	v_pk_fma_f32 v[92:93], v[146:147], v[130:131], v[94:95] op_sel_hi:[1,0,1]
	v_pk_add_f32 v[84:85], v[84:85], v[88:89]
	v_pk_fma_f32 v[94:95], v[146:147], v[130:131], v[94:95] neg_lo:[0,0,1] neg_hi:[0,0,1]
	v_pk_fma_f32 v[88:89], v[148:149], v[132:133], v[96:97] op_sel_hi:[1,0,1]
	v_pk_mul_f32 v[86:87], v[200:201], v[86:87] op_sel_hi:[1,0]
	v_mov_b32_e32 v95, v93
	v_pk_add_f32 v[84:85], v[84:85], v[90:91]
	v_pk_fma_f32 v[90:91], v[148:149], v[132:133], v[96:97] neg_lo:[0,0,1] neg_hi:[0,0,1]
	v_mov_b32_e32 v91, v89
	v_pk_fma_f32 v[88:89], v[150:151], v[134:135], v[86:87] op_sel_hi:[1,0,1]
	s_wait_loadcnt_dscnt 0x100
	v_pk_mul_f32 v[92:93], v[192:193], v[188:189] op_sel:[1,1] op_sel_hi:[0,1]
	v_pk_add_f32 v[84:85], v[84:85], v[94:95]
	v_pk_fma_f32 v[86:87], v[150:151], v[134:135], v[86:87] neg_lo:[0,0,1] neg_hi:[0,0,1]
	v_mov_b32_e32 v87, v89
	s_delay_alu instid0(VALU_DEP_4) | instskip(NEXT) | instid1(VALU_DEP_4)
	v_pk_fma_f32 v[88:89], v[192:193], v[188:189], v[92:93] op_sel_hi:[1,0,1]
	v_pk_add_f32 v[84:85], v[84:85], v[90:91]
	v_pk_fma_f32 v[90:91], v[192:193], v[188:189], v[92:93] neg_lo:[0,0,1] neg_hi:[0,0,1]
	s_delay_alu instid0(VALU_DEP_3) | instskip(NEXT) | instid1(VALU_DEP_3)
	v_mov_b32_e32 v91, v89
	v_pk_add_f32 v[84:85], v[84:85], v[86:87]
	s_delay_alu instid0(VALU_DEP_1) | instskip(SKIP_1) | instid1(VALU_DEP_1)
	v_pk_add_f32 v[84:85], v[84:85], v[90:91]
	s_wait_loadcnt 0x0
	v_pk_add_f32 v[84:85], v[190:191], v[84:85] neg_lo:[0,1] neg_hi:[0,1]
	scratch_store_b64 off, v[84:85], off offset:104
	s_wait_xcnt 0x0
	v_cmpx_lt_u32_e32 12, v0
	s_cbranch_execz .LBB40_235
; %bb.234:
	scratch_load_b64 v[84:85], off, off offset:96
	v_mov_b64_e32 v[86:87], 0
	scratch_store_b64 off, v[86:87], off offset:96
	s_wait_loadcnt 0x0
	ds_store_b64 v1, v[84:85]
.LBB40_235:
	s_wait_xcnt 0x0
	s_or_b32 exec_lo, exec_lo, s0
	s_wait_storecnt_dscnt 0x0
	s_barrier_signal -1
	s_barrier_wait -1
	s_clause 0xe
	scratch_load_b128 v[84:87], off, off offset:104
	scratch_load_b128 v[88:91], off, off offset:120
	;; [unrolled: 1-line block ×14, first 2 shown]
	scratch_load_b64 v[196:197], off, off offset:96
	ds_load_2addr_b64 v[140:143], v5 offset0:75 offset1:76
	ds_load_2addr_b64 v[144:147], v5 offset0:77 offset1:78
	;; [unrolled: 1-line block ×14, first 2 shown]
	s_mov_b32 s0, exec_lo
	s_wait_dscnt 0xd
	v_dual_mov_b32 v198, v143 :: v_dual_mov_b32 v199, v142
	s_wait_dscnt 0xc
	v_dual_mov_b32 v200, v147 :: v_dual_mov_b32 v201, v146
	;; [unrolled: 2-line block ×4, first 2 shown]
	s_wait_loadcnt_dscnt 0xe09
	v_dual_mul_f32 v5, v156, v85 :: v_dual_mul_f32 v9, v158, v87
	v_dual_mul_f32 v43, v157, v85 :: v_dual_mul_f32 v45, v159, v87
	s_wait_loadcnt_dscnt 0xd08
	v_dual_mul_f32 v11, v160, v89 :: v_dual_mul_f32 v13, v162, v91
	s_delay_alu instid0(VALU_DEP_2) | instskip(SKIP_3) | instid1(VALU_DEP_3)
	v_dual_fmac_f32 v5, v157, v84 :: v_dual_fma_f32 v43, v156, v84, -v43
	v_dual_mul_f32 v47, v161, v89 :: v_dual_mul_f32 v49, v163, v91
	s_wait_loadcnt_dscnt 0xb06
	v_dual_mul_f32 v55, v169, v97 :: v_dual_fmac_f32 v9, v159, v86
	v_dual_fma_f32 v45, v158, v86, -v45 :: v_dual_add_f32 v5, 0, v5
	v_dual_add_f32 v43, 0, v43 :: v_dual_fmac_f32 v11, v161, v88
	v_dual_mul_f32 v57, v171, v99 :: v_dual_fma_f32 v47, v160, v88, -v47
	s_delay_alu instid0(VALU_DEP_3) | instskip(NEXT) | instid1(VALU_DEP_3)
	v_dual_add_f32 v5, v5, v9 :: v_dual_fmac_f32 v13, v163, v90
	v_dual_add_f32 v9, v43, v45 :: v_dual_fma_f32 v45, v162, v90, -v49
	v_dual_mul_f32 v15, v164, v93 :: v_dual_mul_f32 v17, v166, v95
	v_dual_mul_f32 v51, v165, v93 :: v_dual_mul_f32 v53, v167, v95
	s_delay_alu instid0(VALU_DEP_3) | instskip(NEXT) | instid1(VALU_DEP_3)
	v_add_f32_e32 v9, v9, v47
	v_dual_add_f32 v5, v5, v11 :: v_dual_fmac_f32 v17, v167, v94
	s_wait_loadcnt_dscnt 0xa05
	s_delay_alu instid0(VALU_DEP_3) | instskip(NEXT) | instid1(VALU_DEP_3)
	v_dual_fma_f32 v47, v164, v92, -v51 :: v_dual_mul_f32 v43, v173, v101
	v_dual_mul_f32 v11, v175, v103 :: v_dual_add_f32 v9, v9, v45
	v_dual_fmac_f32 v15, v165, v92 :: v_dual_fma_f32 v45, v166, v94, -v53
	v_add_f32_e32 v5, v5, v13
	v_dual_mul_f32 v19, v168, v97 :: v_dual_mul_f32 v21, v170, v99
	s_delay_alu instid0(VALU_DEP_4) | instskip(NEXT) | instid1(VALU_DEP_3)
	v_dual_add_f32 v9, v9, v47 :: v_dual_fma_f32 v43, v172, v100, -v43
	v_dual_add_f32 v5, v5, v15 :: v_dual_fma_f32 v47, v168, v96, -v55
	v_dual_mul_f32 v23, v172, v101 :: v_dual_mul_f32 v25, v174, v103
	s_delay_alu instid0(VALU_DEP_3) | instskip(SKIP_2) | instid1(VALU_DEP_3)
	v_dual_add_f32 v9, v9, v45 :: v_dual_fma_f32 v11, v174, v102, -v11
	s_wait_loadcnt_dscnt 0x904
	v_dual_mul_f32 v27, v176, v105 :: v_dual_mul_f32 v29, v178, v107
	v_dual_fmac_f32 v19, v169, v96 :: v_dual_fmac_f32 v25, v175, v102
	v_dual_fma_f32 v45, v170, v98, -v57 :: v_dual_add_f32 v5, v5, v17
	s_delay_alu instid0(VALU_DEP_3)
	v_dual_add_f32 v9, v9, v47 :: v_dual_fmac_f32 v29, v179, v106
	s_wait_loadcnt_dscnt 0x803
	v_dual_mul_f32 v31, v180, v109 :: v_dual_mul_f32 v33, v182, v111
	v_dual_mul_f32 v13, v177, v105 :: v_dual_fmac_f32 v21, v171, v98
	v_mul_f32_e32 v17, v181, v109
	v_add_f32_e32 v5, v5, v19
	v_dual_add_f32 v9, v9, v45 :: v_dual_mul_f32 v15, v179, v107
	s_delay_alu instid0(VALU_DEP_4) | instskip(NEXT) | instid1(VALU_DEP_3)
	v_fma_f32 v13, v176, v104, -v13
	v_dual_fmac_f32 v33, v183, v110 :: v_dual_add_f32 v5, v5, v21
	s_wait_loadcnt_dscnt 0x702
	v_mul_f32_e32 v21, v185, v113
	v_add_f32_e32 v9, v9, v43
	s_wait_loadcnt_dscnt 0x601
	v_dual_fmac_f32 v23, v173, v100 :: v_dual_mul_f32 v39, v188, v117
	s_delay_alu instid0(VALU_DEP_3) | instskip(NEXT) | instid1(VALU_DEP_3)
	v_dual_mul_f32 v41, v190, v119 :: v_dual_fma_f32 v21, v184, v112, -v21
	v_add_f32_e32 v9, v9, v11
	v_dual_mul_f32 v19, v183, v111 :: v_dual_fma_f32 v15, v178, v106, -v15
	v_dual_mul_f32 v35, v184, v113 :: v_dual_mul_f32 v37, v186, v115
	s_delay_alu instid0(VALU_DEP_3) | instskip(SKIP_1) | instid1(VALU_DEP_4)
	v_dual_add_f32 v9, v9, v13 :: v_dual_fmac_f32 v41, v191, v118
	v_mul_f32_e32 v13, v191, v119
	v_dual_add_f32 v5, v5, v23 :: v_dual_fma_f32 v19, v182, v110, -v19
	s_wait_loadcnt_dscnt 0x500
	v_dual_mul_f32 v207, v192, v121 :: v_dual_mul_f32 v209, v194, v123
	v_dual_mul_f32 v23, v187, v115 :: v_dual_fmac_f32 v27, v177, v104
	s_delay_alu instid0(VALU_DEP_3) | instskip(SKIP_1) | instid1(VALU_DEP_4)
	v_dual_add_f32 v5, v5, v25 :: v_dual_fmac_f32 v37, v187, v114
	v_dual_fma_f32 v17, v180, v108, -v17 :: v_dual_add_f32 v9, v9, v15
	v_dual_mul_f32 v15, v193, v121 :: v_dual_fmac_f32 v207, v193, v120
	s_wait_loadcnt 0x4
	v_dual_mul_f32 v11, v189, v117 :: v_dual_mov_b32 v86, v127
	v_dual_fmac_f32 v31, v181, v108 :: v_dual_fma_f32 v13, v190, v118, -v13
	s_delay_alu instid0(VALU_DEP_3) | instskip(SKIP_1) | instid1(VALU_DEP_4)
	v_dual_fma_f32 v206, v192, v120, -v15 :: v_dual_add_f32 v9, v9, v17
	v_mul_f32_e32 v17, v195, v123
	v_dual_add_f32 v5, v5, v27 :: v_dual_fma_f32 v11, v188, v116, -v11
	v_pk_mul_f32 v[84:85], v[140:141], v[124:125] op_sel:[1,1] op_sel_hi:[0,1]
	s_wait_loadcnt 0x3
	v_mov_b32_e32 v90, v131
	v_pk_mul_f32 v[86:87], v[198:199], v[86:87] op_sel_hi:[1,0]
	v_add_f32_e32 v5, v5, v29
	v_pk_mul_f32 v[88:89], v[144:145], v[128:129] op_sel:[1,1] op_sel_hi:[0,1]
	v_pk_fma_f32 v[94:95], v[140:141], v[124:125], v[84:85] op_sel_hi:[1,0,1]
	v_pk_fma_f32 v[84:85], v[140:141], v[124:125], v[84:85] neg_lo:[0,0,1] neg_hi:[0,0,1]
	v_fmac_f32_e32 v35, v185, v112
	v_dual_add_f32 v5, v5, v31 :: v_dual_fmac_f32 v209, v195, v122
	v_dual_fma_f32 v208, v194, v122, -v17 :: v_dual_add_f32 v9, v9, v19
	v_mov_b32_e32 v85, v95
	v_pk_fma_f32 v[94:95], v[142:143], v[126:127], v[86:87] op_sel_hi:[1,0,1]
	s_delay_alu instid0(VALU_DEP_4)
	v_add_f32_e32 v5, v5, v33
	v_pk_mul_f32 v[90:91], v[200:201], v[90:91] op_sel_hi:[1,0]
	v_pk_fma_f32 v[86:87], v[142:143], v[126:127], v[86:87] neg_lo:[0,0,1] neg_hi:[0,0,1]
	v_fma_f32 v19, v186, v114, -v23
	v_pk_fma_f32 v[98:99], v[144:145], v[128:129], v[88:89] op_sel_hi:[1,0,1]
	v_dual_mov_b32 v87, v95 :: v_dual_add_f32 v5, v5, v35
	v_pk_fma_f32 v[94:95], v[146:147], v[130:131], v[90:91] op_sel_hi:[1,0,1]
	v_add_f32_e32 v9, v9, v21
	v_pk_fma_f32 v[88:89], v[144:145], v[128:129], v[88:89] neg_lo:[0,0,1] neg_hi:[0,0,1]
	v_pk_fma_f32 v[90:91], v[146:147], v[130:131], v[90:91] neg_lo:[0,0,1] neg_hi:[0,0,1]
	v_dual_fmac_f32 v39, v189, v116 :: v_dual_mov_b32 v89, v99
	v_dual_add_f32 v5, v5, v37 :: v_dual_mov_b32 v91, v95
	v_add_f32_e32 v9, v9, v19
	s_wait_loadcnt 0x2
	v_pk_mul_f32 v[96:97], v[148:149], v[132:133] op_sel:[1,1] op_sel_hi:[0,1]
	s_delay_alu instid0(VALU_DEP_3) | instskip(NEXT) | instid1(VALU_DEP_3)
	v_add_f32_e32 v5, v5, v39
	v_add_f32_e32 v9, v9, v11
	s_delay_alu instid0(VALU_DEP_3) | instskip(NEXT) | instid1(VALU_DEP_3)
	v_pk_fma_f32 v[94:95], v[148:149], v[132:133], v[96:97] neg_lo:[0,0,1] neg_hi:[0,0,1]
	v_add_f32_e32 v93, v5, v41
	s_delay_alu instid0(VALU_DEP_3) | instskip(NEXT) | instid1(VALU_DEP_1)
	v_add_f32_e32 v92, v9, v13
	v_pk_add_f32 v[92:93], v[92:93], v[206:207]
	s_delay_alu instid0(VALU_DEP_1) | instskip(NEXT) | instid1(VALU_DEP_1)
	v_pk_add_f32 v[92:93], v[92:93], v[208:209]
	v_pk_add_f32 v[84:85], v[92:93], v[84:85]
	v_mov_b32_e32 v92, v135
	s_delay_alu instid0(VALU_DEP_2) | instskip(SKIP_1) | instid1(VALU_DEP_3)
	v_pk_add_f32 v[84:85], v[84:85], v[86:87]
	v_pk_fma_f32 v[86:87], v[148:149], v[132:133], v[96:97] op_sel_hi:[1,0,1]
	v_pk_mul_f32 v[92:93], v[202:203], v[92:93] op_sel_hi:[1,0]
	s_delay_alu instid0(VALU_DEP_3) | instskip(NEXT) | instid1(VALU_DEP_3)
	v_pk_add_f32 v[84:85], v[84:85], v[88:89]
	v_mov_b32_e32 v95, v87
	s_delay_alu instid0(VALU_DEP_3)
	v_pk_fma_f32 v[86:87], v[150:151], v[134:135], v[92:93] op_sel_hi:[1,0,1]
	s_wait_loadcnt 0x1
	v_pk_mul_f32 v[88:89], v[152:153], v[136:137] op_sel:[1,1] op_sel_hi:[0,1]
	v_mov_b32_e32 v86, v139
	v_pk_add_f32 v[84:85], v[84:85], v[90:91]
	v_pk_fma_f32 v[92:93], v[150:151], v[134:135], v[92:93] neg_lo:[0,0,1] neg_hi:[0,0,1]
	v_mov_b32_e32 v93, v87
	v_pk_fma_f32 v[90:91], v[152:153], v[136:137], v[88:89] op_sel_hi:[1,0,1]
	v_pk_mul_f32 v[86:87], v[204:205], v[86:87] op_sel_hi:[1,0]
	v_pk_add_f32 v[84:85], v[84:85], v[94:95]
	v_pk_fma_f32 v[88:89], v[152:153], v[136:137], v[88:89] neg_lo:[0,0,1] neg_hi:[0,0,1]
	s_delay_alu instid0(VALU_DEP_4) | instskip(NEXT) | instid1(VALU_DEP_4)
	v_mov_b32_e32 v89, v91
	v_pk_fma_f32 v[90:91], v[154:155], v[138:139], v[86:87] op_sel_hi:[1,0,1]
	s_delay_alu instid0(VALU_DEP_4) | instskip(SKIP_1) | instid1(VALU_DEP_3)
	v_pk_add_f32 v[84:85], v[84:85], v[92:93]
	v_pk_fma_f32 v[86:87], v[154:155], v[138:139], v[86:87] neg_lo:[0,0,1] neg_hi:[0,0,1]
	v_mov_b32_e32 v87, v91
	s_delay_alu instid0(VALU_DEP_3) | instskip(NEXT) | instid1(VALU_DEP_1)
	v_pk_add_f32 v[84:85], v[84:85], v[88:89]
	v_pk_add_f32 v[84:85], v[84:85], v[86:87]
	s_wait_loadcnt 0x0
	s_delay_alu instid0(VALU_DEP_1)
	v_pk_add_f32 v[84:85], v[196:197], v[84:85] neg_lo:[0,1] neg_hi:[0,1]
	scratch_store_b64 off, v[84:85], off offset:96
	s_wait_xcnt 0x0
	v_cmpx_lt_u32_e32 11, v0
	s_cbranch_execz .LBB40_237
; %bb.236:
	scratch_load_b64 v[84:85], off, off offset:88
	v_mov_b64_e32 v[86:87], 0
	scratch_store_b64 off, v[86:87], off offset:88
	s_wait_loadcnt 0x0
	ds_store_b64 v1, v[84:85]
.LBB40_237:
	s_wait_xcnt 0x0
	s_or_b32 exec_lo, exec_lo, s0
	s_wait_storecnt_dscnt 0x0
	s_barrier_signal -1
	s_barrier_wait -1
	s_clause 0xf
	scratch_load_b128 v[84:87], off, off offset:96
	scratch_load_b128 v[88:91], off, off offset:112
	;; [unrolled: 1-line block ×14, first 2 shown]
	scratch_load_b64 v[196:197], off, off offset:320
	scratch_load_b64 v[198:199], off, off offset:88
	v_mov_b32_e32 v5, 0
	ds_load_b128 v[140:143], v5 offset:592
	ds_load_b128 v[144:147], v5 offset:608
	;; [unrolled: 1-line block ×14, first 2 shown]
	ds_load_b64 v[200:201], v5 offset:656
	s_mov_b32 s0, exec_lo
	s_wait_dscnt 0xe
	v_dual_mov_b32 v202, v143 :: v_dual_mov_b32 v203, v142
	s_wait_dscnt 0xb
	v_dual_mov_b32 v204, v147 :: v_dual_mov_b32 v209, v154
	v_dual_mov_b32 v205, v146 :: v_dual_mov_b32 v206, v151
	;; [unrolled: 1-line block ×3, first 2 shown]
	s_wait_loadcnt_dscnt 0xf0a
	v_dual_mul_f32 v9, v156, v85 :: v_dual_mul_f32 v47, v157, v85
	v_dual_mul_f32 v49, v159, v87 :: v_dual_mul_f32 v11, v158, v87
	s_wait_loadcnt_dscnt 0xe09
	v_mul_f32_e32 v13, v160, v89
	s_wait_loadcnt_dscnt 0xc07
	v_dual_mul_f32 v59, v169, v97 :: v_dual_fma_f32 v47, v156, v84, -v47
	v_dual_fmac_f32 v9, v157, v84 :: v_dual_mul_f32 v61, v171, v99
	v_dual_mul_f32 v51, v161, v89 :: v_dual_mul_f32 v53, v163, v91
	v_dual_fmac_f32 v11, v159, v86 :: v_dual_fma_f32 v49, v158, v86, -v49
	s_delay_alu instid0(VALU_DEP_3) | instskip(SKIP_4) | instid1(VALU_DEP_3)
	v_dual_add_f32 v9, 0, v9 :: v_dual_add_f32 v47, 0, v47
	v_dual_mul_f32 v15, v162, v91 :: v_dual_mul_f32 v17, v164, v93
	s_wait_loadcnt_dscnt 0xb06
	v_dual_mul_f32 v63, v173, v101 :: v_dual_fma_f32 v51, v160, v88, -v51
	v_fmac_f32_e32 v13, v161, v88
	v_dual_add_f32 v9, v9, v11 :: v_dual_fmac_f32 v15, v163, v90
	v_add_f32_e32 v11, v47, v49
	v_dual_mul_f32 v55, v165, v93 :: v_dual_mul_f32 v57, v167, v95
	v_dual_mul_f32 v47, v175, v103 :: v_dual_fma_f32 v49, v162, v90, -v53
	s_delay_alu instid0(VALU_DEP_3) | instskip(SKIP_3) | instid1(VALU_DEP_3)
	v_dual_add_f32 v9, v9, v13 :: v_dual_add_f32 v11, v11, v51
	v_dual_mul_f32 v19, v166, v95 :: v_dual_mul_f32 v21, v168, v97
	s_wait_loadcnt_dscnt 0xa05
	v_dual_mul_f32 v13, v177, v105 :: v_dual_fma_f32 v51, v164, v92, -v55
	v_dual_fmac_f32 v17, v165, v92 :: v_dual_add_f32 v11, v11, v49
	s_delay_alu instid0(VALU_DEP_3) | instskip(SKIP_1) | instid1(VALU_DEP_2)
	v_dual_add_f32 v9, v9, v15 :: v_dual_fmac_f32 v19, v167, v94
	v_dual_mul_f32 v15, v179, v107 :: v_dual_fma_f32 v49, v166, v94, -v57
	v_dual_add_f32 v11, v11, v51 :: v_dual_add_f32 v9, v9, v17
	v_dual_mul_f32 v23, v170, v99 :: v_dual_mul_f32 v25, v172, v101
	s_wait_loadcnt_dscnt 0x904
	v_dual_mul_f32 v17, v181, v109 :: v_dual_fma_f32 v51, v168, v96, -v59
	s_delay_alu instid0(VALU_DEP_3) | instskip(NEXT) | instid1(VALU_DEP_3)
	v_dual_fmac_f32 v21, v169, v96 :: v_dual_add_f32 v11, v11, v49
	v_dual_add_f32 v9, v9, v19 :: v_dual_fmac_f32 v23, v171, v98
	v_dual_mul_f32 v19, v183, v111 :: v_dual_fma_f32 v49, v170, v98, -v61
	s_delay_alu instid0(VALU_DEP_2) | instskip(SKIP_3) | instid1(VALU_DEP_3)
	v_dual_add_f32 v11, v11, v51 :: v_dual_add_f32 v9, v9, v21
	v_dual_mul_f32 v27, v174, v103 :: v_dual_mul_f32 v29, v176, v105
	s_wait_loadcnt_dscnt 0x803
	v_dual_mul_f32 v21, v185, v113 :: v_dual_fma_f32 v51, v172, v100, -v63
	v_dual_fmac_f32 v25, v173, v100 :: v_dual_add_f32 v11, v11, v49
	s_delay_alu instid0(VALU_DEP_3) | instskip(SKIP_1) | instid1(VALU_DEP_2)
	v_dual_add_f32 v9, v9, v23 :: v_dual_fmac_f32 v27, v175, v102
	v_dual_mul_f32 v23, v187, v115 :: v_dual_fma_f32 v47, v174, v102, -v47
	v_dual_add_f32 v11, v11, v51 :: v_dual_add_f32 v9, v9, v25
	v_dual_mul_f32 v31, v178, v107 :: v_dual_mul_f32 v33, v180, v109
	s_wait_loadcnt_dscnt 0x702
	v_dual_mul_f32 v25, v189, v117 :: v_dual_fma_f32 v13, v176, v104, -v13
	s_delay_alu instid0(VALU_DEP_3) | instskip(NEXT) | instid1(VALU_DEP_3)
	v_dual_fmac_f32 v29, v177, v104 :: v_dual_add_f32 v11, v11, v47
	v_dual_add_f32 v9, v9, v27 :: v_dual_fmac_f32 v31, v179, v106
	v_dual_mul_f32 v27, v191, v119 :: v_dual_fma_f32 v15, v178, v106, -v15
	s_delay_alu instid0(VALU_DEP_3) | instskip(NEXT) | instid1(VALU_DEP_3)
	v_dual_add_f32 v11, v11, v13 :: v_dual_fmac_f32 v33, v181, v108
	v_dual_add_f32 v9, v9, v29 :: v_dual_fma_f32 v17, v180, v108, -v17
	v_dual_mul_f32 v35, v182, v111 :: v_dual_mul_f32 v37, v184, v113
	s_wait_loadcnt_dscnt 0x601
	s_delay_alu instid0(VALU_DEP_3) | instskip(NEXT) | instid1(VALU_DEP_2)
	v_dual_mul_f32 v13, v193, v121 :: v_dual_add_f32 v11, v11, v15
	v_dual_add_f32 v9, v9, v31 :: v_dual_fmac_f32 v35, v183, v110
	v_dual_mul_f32 v15, v195, v123 :: v_dual_fma_f32 v19, v182, v110, -v19
	s_delay_alu instid0(VALU_DEP_3) | instskip(NEXT) | instid1(VALU_DEP_3)
	v_dual_add_f32 v11, v11, v17 :: v_dual_fmac_f32 v37, v185, v112
	v_dual_add_f32 v9, v9, v33 :: v_dual_fma_f32 v21, v184, v112, -v21
	v_dual_mul_f32 v39, v186, v115 :: v_dual_mul_f32 v41, v188, v117
	s_wait_loadcnt 0x5
	s_delay_alu instid0(VALU_DEP_3) | instskip(NEXT) | instid1(VALU_DEP_3)
	v_dual_mul_f32 v17, v141, v125 :: v_dual_add_f32 v11, v11, v19
	v_dual_add_f32 v9, v9, v35 :: v_dual_mov_b32 v84, v127
	s_delay_alu instid0(VALU_DEP_3) | instskip(NEXT) | instid1(VALU_DEP_3)
	v_fmac_f32_e32 v39, v187, v114
	v_dual_fma_f32 v19, v186, v114, -v23 :: v_dual_add_f32 v11, v11, v21
	s_delay_alu instid0(VALU_DEP_3) | instskip(SKIP_1) | instid1(VALU_DEP_3)
	v_dual_add_f32 v9, v9, v37 :: v_dual_mul_f32 v43, v190, v119
	v_dual_mul_f32 v45, v192, v121 :: v_dual_fmac_f32 v41, v189, v116
	v_dual_add_f32 v11, v11, v19 :: v_dual_fma_f32 v21, v188, v116, -v25
	s_wait_loadcnt 0x4
	s_delay_alu instid0(VALU_DEP_3) | instskip(SKIP_3) | instid1(VALU_DEP_4)
	v_dual_add_f32 v9, v9, v39 :: v_dual_mov_b32 v88, v131
	v_fma_f32 v19, v190, v118, -v27
	v_fmac_f32_e32 v43, v191, v118
	v_dual_add_f32 v11, v11, v21 :: v_dual_fmac_f32 v45, v193, v120
	v_dual_add_f32 v9, v9, v41 :: v_dual_mul_f32 v211, v194, v123
	v_mul_f32_e32 v213, v140, v125
	s_delay_alu instid0(VALU_DEP_3) | instskip(NEXT) | instid1(VALU_DEP_3)
	v_dual_fma_f32 v13, v192, v120, -v13 :: v_dual_add_f32 v11, v11, v19
	v_dual_fma_f32 v210, v194, v122, -v15 :: v_dual_add_f32 v9, v9, v43
	s_delay_alu instid0(VALU_DEP_4) | instskip(SKIP_1) | instid1(VALU_DEP_4)
	v_fmac_f32_e32 v211, v195, v122
	v_pk_mul_f32 v[84:85], v[202:203], v[84:85] op_sel_hi:[1,0]
	v_dual_add_f32 v92, v11, v13 :: v_dual_fmac_f32 v213, v141, v124
	s_delay_alu instid0(VALU_DEP_4)
	v_add_f32_e32 v93, v9, v45
	v_pk_mul_f32 v[86:87], v[144:145], v[128:129] op_sel:[1,1] op_sel_hi:[0,1]
	s_wait_loadcnt 0x3
	v_dual_mov_b32 v94, v135 :: v_dual_fma_f32 v212, v140, v124, -v17
	v_pk_fma_f32 v[96:97], v[142:143], v[126:127], v[84:85] op_sel_hi:[1,0,1]
	v_pk_add_f32 v[92:93], v[92:93], v[210:211]
	v_pk_fma_f32 v[84:85], v[142:143], v[126:127], v[84:85] neg_lo:[0,0,1] neg_hi:[0,0,1]
	v_pk_fma_f32 v[98:99], v[144:145], v[128:129], v[86:87] op_sel_hi:[1,0,1]
	v_pk_mul_f32 v[88:89], v[204:205], v[88:89] op_sel_hi:[1,0]
	v_mov_b32_e32 v85, v97
	v_pk_add_f32 v[92:93], v[92:93], v[212:213]
	v_pk_fma_f32 v[86:87], v[144:145], v[128:129], v[86:87] neg_lo:[0,0,1] neg_hi:[0,0,1]
	v_pk_mul_f32 v[90:91], v[148:149], v[132:133] op_sel:[1,1] op_sel_hi:[0,1]
	v_mov_b32_e32 v87, v99
	v_pk_fma_f32 v[98:99], v[146:147], v[130:131], v[88:89] op_sel_hi:[1,0,1]
	v_pk_add_f32 v[84:85], v[92:93], v[84:85]
	v_pk_fma_f32 v[88:89], v[146:147], v[130:131], v[88:89] neg_lo:[0,0,1] neg_hi:[0,0,1]
	v_pk_fma_f32 v[92:93], v[148:149], v[132:133], v[90:91] op_sel_hi:[1,0,1]
	v_pk_mul_f32 v[94:95], v[206:207], v[94:95] op_sel_hi:[1,0]
	v_mov_b32_e32 v89, v99
	v_pk_add_f32 v[84:85], v[84:85], v[86:87]
	v_pk_fma_f32 v[90:91], v[148:149], v[132:133], v[90:91] neg_lo:[0,0,1] neg_hi:[0,0,1]
	s_wait_loadcnt 0x2
	v_pk_mul_f32 v[96:97], v[152:153], v[136:137] op_sel:[1,1] op_sel_hi:[0,1]
	v_dual_mov_b32 v86, v139 :: v_dual_mov_b32 v91, v93
	v_pk_fma_f32 v[92:93], v[150:151], v[134:135], v[94:95] op_sel_hi:[1,0,1]
	v_pk_add_f32 v[84:85], v[84:85], v[88:89]
	v_pk_fma_f32 v[94:95], v[150:151], v[134:135], v[94:95] neg_lo:[0,0,1] neg_hi:[0,0,1]
	v_pk_fma_f32 v[88:89], v[152:153], v[136:137], v[96:97] op_sel_hi:[1,0,1]
	v_pk_mul_f32 v[86:87], v[208:209], v[86:87] op_sel_hi:[1,0]
	v_mov_b32_e32 v95, v93
	v_pk_add_f32 v[84:85], v[84:85], v[90:91]
	v_pk_fma_f32 v[90:91], v[152:153], v[136:137], v[96:97] neg_lo:[0,0,1] neg_hi:[0,0,1]
	v_mov_b32_e32 v91, v89
	v_pk_fma_f32 v[88:89], v[154:155], v[138:139], v[86:87] op_sel_hi:[1,0,1]
	s_wait_loadcnt_dscnt 0x100
	v_pk_mul_f32 v[92:93], v[200:201], v[196:197] op_sel:[1,1] op_sel_hi:[0,1]
	v_pk_add_f32 v[84:85], v[84:85], v[94:95]
	v_pk_fma_f32 v[86:87], v[154:155], v[138:139], v[86:87] neg_lo:[0,0,1] neg_hi:[0,0,1]
	v_mov_b32_e32 v87, v89
	s_delay_alu instid0(VALU_DEP_4) | instskip(NEXT) | instid1(VALU_DEP_4)
	v_pk_fma_f32 v[88:89], v[200:201], v[196:197], v[92:93] op_sel_hi:[1,0,1]
	v_pk_add_f32 v[84:85], v[84:85], v[90:91]
	v_pk_fma_f32 v[90:91], v[200:201], v[196:197], v[92:93] neg_lo:[0,0,1] neg_hi:[0,0,1]
	s_delay_alu instid0(VALU_DEP_3) | instskip(NEXT) | instid1(VALU_DEP_3)
	v_mov_b32_e32 v91, v89
	v_pk_add_f32 v[84:85], v[84:85], v[86:87]
	s_delay_alu instid0(VALU_DEP_1) | instskip(SKIP_1) | instid1(VALU_DEP_1)
	v_pk_add_f32 v[84:85], v[84:85], v[90:91]
	s_wait_loadcnt 0x0
	v_pk_add_f32 v[84:85], v[198:199], v[84:85] neg_lo:[0,1] neg_hi:[0,1]
	scratch_store_b64 off, v[84:85], off offset:88
	s_wait_xcnt 0x0
	v_cmpx_lt_u32_e32 10, v0
	s_cbranch_execz .LBB40_239
; %bb.238:
	scratch_load_b64 v[84:85], off, off offset:80
	v_mov_b64_e32 v[86:87], 0
	scratch_store_b64 off, v[86:87], off offset:80
	s_wait_loadcnt 0x0
	ds_store_b64 v1, v[84:85]
.LBB40_239:
	s_wait_xcnt 0x0
	s_or_b32 exec_lo, exec_lo, s0
	s_wait_storecnt_dscnt 0x0
	s_barrier_signal -1
	s_barrier_wait -1
	s_clause 0xf
	scratch_load_b128 v[84:87], off, off offset:88
	scratch_load_b128 v[88:91], off, off offset:104
	;; [unrolled: 1-line block ×15, first 2 shown]
	scratch_load_b64 v[204:205], off, off offset:80
	ds_load_2addr_b64 v[144:147], v5 offset0:75 offset1:76
	ds_load_2addr_b64 v[148:151], v5 offset0:77 offset1:78
	;; [unrolled: 1-line block ×15, first 2 shown]
	s_mov_b32 s0, exec_lo
	s_wait_dscnt 0xe
	v_dual_mov_b32 v206, v147 :: v_dual_mov_b32 v207, v146
	s_wait_dscnt 0xd
	v_dual_mov_b32 v208, v151 :: v_dual_mov_b32 v209, v150
	;; [unrolled: 2-line block ×4, first 2 shown]
	s_wait_loadcnt_dscnt 0xf0a
	v_dual_mul_f32 v5, v160, v85 :: v_dual_mul_f32 v9, v162, v87
	v_dual_mul_f32 v47, v161, v85 :: v_dual_mul_f32 v49, v163, v87
	s_wait_loadcnt_dscnt 0xe09
	v_dual_mul_f32 v11, v164, v89 :: v_dual_mul_f32 v13, v166, v91
	s_delay_alu instid0(VALU_DEP_2) | instskip(SKIP_3) | instid1(VALU_DEP_3)
	v_dual_fmac_f32 v5, v161, v84 :: v_dual_fma_f32 v47, v160, v84, -v47
	v_dual_mul_f32 v51, v165, v89 :: v_dual_mul_f32 v53, v167, v91
	s_wait_loadcnt_dscnt 0xc06
	v_dual_mul_f32 v59, v177, v97 :: v_dual_fmac_f32 v9, v163, v86
	v_dual_fma_f32 v49, v162, v86, -v49 :: v_dual_add_f32 v5, 0, v5
	v_dual_add_f32 v47, 0, v47 :: v_dual_fmac_f32 v11, v165, v88
	v_dual_mul_f32 v61, v179, v99 :: v_dual_fma_f32 v51, v164, v88, -v51
	s_delay_alu instid0(VALU_DEP_3) | instskip(NEXT) | instid1(VALU_DEP_3)
	v_dual_add_f32 v5, v5, v9 :: v_dual_fmac_f32 v13, v167, v90
	v_dual_add_f32 v9, v47, v49 :: v_dual_fma_f32 v49, v166, v90, -v53
	v_dual_mul_f32 v15, v172, v93 :: v_dual_mul_f32 v17, v174, v95
	v_dual_mul_f32 v55, v173, v93 :: v_dual_mul_f32 v57, v175, v95
	s_delay_alu instid0(VALU_DEP_3) | instskip(NEXT) | instid1(VALU_DEP_3)
	v_add_f32_e32 v9, v9, v51
	v_dual_add_f32 v5, v5, v11 :: v_dual_fmac_f32 v17, v175, v94
	s_wait_loadcnt_dscnt 0xb05
	s_delay_alu instid0(VALU_DEP_3) | instskip(NEXT) | instid1(VALU_DEP_3)
	v_dual_fma_f32 v51, v172, v92, -v55 :: v_dual_mul_f32 v47, v181, v101
	v_dual_mul_f32 v11, v183, v103 :: v_dual_add_f32 v9, v9, v49
	v_dual_fmac_f32 v15, v173, v92 :: v_dual_fma_f32 v49, v174, v94, -v57
	v_add_f32_e32 v5, v5, v13
	v_dual_mul_f32 v19, v176, v97 :: v_dual_mul_f32 v21, v178, v99
	s_delay_alu instid0(VALU_DEP_4) | instskip(NEXT) | instid1(VALU_DEP_3)
	v_dual_add_f32 v9, v9, v51 :: v_dual_fma_f32 v47, v180, v100, -v47
	v_dual_add_f32 v5, v5, v15 :: v_dual_fma_f32 v51, v176, v96, -v59
	v_dual_mul_f32 v23, v180, v101 :: v_dual_mul_f32 v25, v182, v103
	s_delay_alu instid0(VALU_DEP_3) | instskip(SKIP_2) | instid1(VALU_DEP_3)
	v_dual_add_f32 v9, v9, v49 :: v_dual_fma_f32 v11, v182, v102, -v11
	s_wait_loadcnt_dscnt 0xa04
	v_dual_mul_f32 v27, v184, v105 :: v_dual_mul_f32 v29, v186, v107
	v_dual_fmac_f32 v19, v177, v96 :: v_dual_fmac_f32 v25, v183, v102
	v_dual_fma_f32 v49, v178, v98, -v61 :: v_dual_add_f32 v5, v5, v17
	s_delay_alu instid0(VALU_DEP_3)
	v_dual_add_f32 v9, v9, v51 :: v_dual_fmac_f32 v29, v187, v106
	s_wait_loadcnt_dscnt 0x903
	v_dual_mul_f32 v31, v188, v109 :: v_dual_mul_f32 v33, v190, v111
	v_dual_mul_f32 v13, v185, v105 :: v_dual_fmac_f32 v21, v179, v98
	v_mul_f32_e32 v17, v189, v109
	v_add_f32_e32 v5, v5, v19
	v_dual_add_f32 v9, v9, v49 :: v_dual_mul_f32 v15, v187, v107
	s_delay_alu instid0(VALU_DEP_4) | instskip(NEXT) | instid1(VALU_DEP_3)
	v_fma_f32 v13, v184, v104, -v13
	v_dual_fmac_f32 v33, v191, v110 :: v_dual_add_f32 v5, v5, v21
	s_wait_loadcnt_dscnt 0x802
	v_mul_f32_e32 v21, v193, v113
	s_wait_loadcnt_dscnt 0x701
	v_dual_add_f32 v9, v9, v47 :: v_dual_mul_f32 v39, v196, v117
	v_dual_mul_f32 v41, v198, v119 :: v_dual_fmac_f32 v23, v181, v100
	s_delay_alu instid0(VALU_DEP_2) | instskip(SKIP_1) | instid1(VALU_DEP_3)
	v_dual_fma_f32 v21, v192, v112, -v21 :: v_dual_add_f32 v9, v9, v11
	v_dual_fma_f32 v15, v186, v106, -v15 :: v_dual_mul_f32 v19, v191, v111
	v_dual_fmac_f32 v41, v199, v118 :: v_dual_mul_f32 v35, v192, v113
	s_delay_alu instid0(VALU_DEP_3) | instskip(SKIP_1) | instid1(VALU_DEP_4)
	v_dual_mul_f32 v37, v194, v115 :: v_dual_add_f32 v9, v9, v13
	v_mul_f32_e32 v13, v199, v119
	v_dual_add_f32 v5, v5, v23 :: v_dual_fma_f32 v19, v190, v110, -v19
	v_dual_mul_f32 v23, v195, v115 :: v_dual_fma_f32 v17, v188, v108, -v17
	s_wait_loadcnt 0x5
	v_dual_add_f32 v9, v9, v15 :: v_dual_mul_f32 v215, v168, v125
	v_dual_mul_f32 v217, v170, v127 :: v_dual_fmac_f32 v27, v185, v104
	v_dual_add_f32 v5, v5, v25 :: v_dual_fmac_f32 v37, v195, v114
	s_delay_alu instid0(VALU_DEP_3)
	v_add_f32_e32 v9, v9, v17
	s_wait_loadcnt 0x4
	v_pk_mul_f32 v[84:85], v[144:145], v[128:129] op_sel:[1,1] op_sel_hi:[0,1]
	s_wait_dscnt 0x0
	v_dual_mul_f32 v11, v197, v117 :: v_dual_mul_f32 v17, v203, v123
	v_dual_fmac_f32 v217, v171, v126 :: v_dual_add_f32 v9, v9, v19
	s_delay_alu instid0(VALU_DEP_3) | instskip(SKIP_2) | instid1(VALU_DEP_4)
	v_pk_fma_f32 v[94:95], v[144:145], v[128:129], v[84:85] op_sel_hi:[1,0,1]
	v_dual_fmac_f32 v31, v189, v108 :: v_dual_fma_f32 v13, v198, v118, -v13
	v_dual_mul_f32 v43, v200, v121 :: v_dual_mul_f32 v45, v202, v123
	v_dual_add_f32 v9, v9, v21 :: v_dual_mul_f32 v21, v171, v127
	v_dual_add_f32 v5, v5, v27 :: v_dual_fma_f32 v11, v196, v116, -v11
	v_dual_mov_b32 v86, v131 :: v_dual_fmac_f32 v35, v193, v112
	s_wait_loadcnt 0x3
	s_delay_alu instid0(VALU_DEP_2) | instskip(SKIP_2) | instid1(VALU_DEP_3)
	v_dual_mov_b32 v90, v135 :: v_dual_add_f32 v5, v5, v29
	v_dual_mul_f32 v19, v169, v125 :: v_dual_fmac_f32 v215, v169, v124
	v_fmac_f32_e32 v45, v203, v122
	v_dual_fma_f32 v23, v194, v114, -v23 :: v_dual_add_f32 v5, v5, v31
	v_pk_mul_f32 v[88:89], v[148:149], v[132:133] op_sel:[1,1] op_sel_hi:[0,1]
	s_delay_alu instid0(VALU_DEP_4) | instskip(SKIP_4) | instid1(VALU_DEP_4)
	v_fma_f32 v214, v168, v124, -v19
	v_pk_mul_f32 v[86:87], v[206:207], v[86:87] op_sel_hi:[1,0]
	v_pk_fma_f32 v[84:85], v[144:145], v[128:129], v[84:85] neg_lo:[0,0,1] neg_hi:[0,0,1]
	v_dual_add_f32 v5, v5, v33 :: v_dual_fma_f32 v216, v170, v126, -v21
	v_mov_b32_e32 v85, v95
	v_pk_fma_f32 v[94:95], v[146:147], v[130:131], v[86:87] op_sel_hi:[1,0,1]
	v_fmac_f32_e32 v39, v197, v116
	s_delay_alu instid0(VALU_DEP_4)
	v_add_f32_e32 v5, v5, v35
	v_pk_fma_f32 v[98:99], v[148:149], v[132:133], v[88:89] op_sel_hi:[1,0,1]
	v_add_f32_e32 v9, v9, v23
	v_pk_mul_f32 v[90:91], v[208:209], v[90:91] op_sel_hi:[1,0]
	v_pk_fma_f32 v[86:87], v[146:147], v[130:131], v[86:87] neg_lo:[0,0,1] neg_hi:[0,0,1]
	v_add_f32_e32 v5, v5, v37
	v_pk_fma_f32 v[88:89], v[148:149], v[132:133], v[88:89] neg_lo:[0,0,1] neg_hi:[0,0,1]
	v_dual_mul_f32 v15, v201, v121 :: v_dual_fmac_f32 v43, v201, v120
	v_dual_mov_b32 v87, v95 :: v_dual_mov_b32 v89, v99
	v_add_f32_e32 v9, v9, v11
	v_pk_fma_f32 v[94:95], v[150:151], v[134:135], v[90:91] op_sel_hi:[1,0,1]
	v_add_f32_e32 v5, v5, v39
	v_pk_fma_f32 v[90:91], v[150:151], v[134:135], v[90:91] neg_lo:[0,0,1] neg_hi:[0,0,1]
	s_delay_alu instid0(VALU_DEP_4) | instskip(NEXT) | instid1(VALU_DEP_3)
	v_dual_fma_f32 v11, v200, v120, -v15 :: v_dual_add_f32 v9, v9, v13
	v_dual_mov_b32 v91, v95 :: v_dual_add_f32 v5, v5, v41
	v_fma_f32 v13, v202, v122, -v17
	s_wait_loadcnt 0x2
	v_pk_mul_f32 v[96:97], v[152:153], v[136:137] op_sel:[1,1] op_sel_hi:[0,1]
	v_add_f32_e32 v9, v9, v11
	v_add_f32_e32 v5, v5, v43
	s_delay_alu instid0(VALU_DEP_3) | instskip(NEXT) | instid1(VALU_DEP_3)
	v_pk_fma_f32 v[94:95], v[152:153], v[136:137], v[96:97] neg_lo:[0,0,1] neg_hi:[0,0,1]
	v_add_f32_e32 v92, v9, v13
	s_delay_alu instid0(VALU_DEP_3) | instskip(NEXT) | instid1(VALU_DEP_1)
	v_add_f32_e32 v93, v5, v45
	v_pk_add_f32 v[92:93], v[92:93], v[214:215]
	s_delay_alu instid0(VALU_DEP_1) | instskip(NEXT) | instid1(VALU_DEP_1)
	v_pk_add_f32 v[92:93], v[92:93], v[216:217]
	v_pk_add_f32 v[84:85], v[92:93], v[84:85]
	v_mov_b32_e32 v92, v139
	s_delay_alu instid0(VALU_DEP_2) | instskip(SKIP_1) | instid1(VALU_DEP_3)
	v_pk_add_f32 v[84:85], v[84:85], v[86:87]
	v_pk_fma_f32 v[86:87], v[152:153], v[136:137], v[96:97] op_sel_hi:[1,0,1]
	v_pk_mul_f32 v[92:93], v[210:211], v[92:93] op_sel_hi:[1,0]
	s_delay_alu instid0(VALU_DEP_3) | instskip(NEXT) | instid1(VALU_DEP_3)
	v_pk_add_f32 v[84:85], v[84:85], v[88:89]
	v_mov_b32_e32 v95, v87
	s_delay_alu instid0(VALU_DEP_3)
	v_pk_fma_f32 v[86:87], v[154:155], v[138:139], v[92:93] op_sel_hi:[1,0,1]
	s_wait_loadcnt 0x1
	v_pk_mul_f32 v[88:89], v[156:157], v[140:141] op_sel:[1,1] op_sel_hi:[0,1]
	v_mov_b32_e32 v86, v143
	v_pk_add_f32 v[84:85], v[84:85], v[90:91]
	v_pk_fma_f32 v[92:93], v[154:155], v[138:139], v[92:93] neg_lo:[0,0,1] neg_hi:[0,0,1]
	v_mov_b32_e32 v93, v87
	v_pk_fma_f32 v[90:91], v[156:157], v[140:141], v[88:89] op_sel_hi:[1,0,1]
	v_pk_mul_f32 v[86:87], v[212:213], v[86:87] op_sel_hi:[1,0]
	v_pk_add_f32 v[84:85], v[84:85], v[94:95]
	v_pk_fma_f32 v[88:89], v[156:157], v[140:141], v[88:89] neg_lo:[0,0,1] neg_hi:[0,0,1]
	s_delay_alu instid0(VALU_DEP_4) | instskip(NEXT) | instid1(VALU_DEP_4)
	v_mov_b32_e32 v89, v91
	v_pk_fma_f32 v[90:91], v[158:159], v[142:143], v[86:87] op_sel_hi:[1,0,1]
	s_delay_alu instid0(VALU_DEP_4) | instskip(SKIP_1) | instid1(VALU_DEP_3)
	v_pk_add_f32 v[84:85], v[84:85], v[92:93]
	v_pk_fma_f32 v[86:87], v[158:159], v[142:143], v[86:87] neg_lo:[0,0,1] neg_hi:[0,0,1]
	v_mov_b32_e32 v87, v91
	s_delay_alu instid0(VALU_DEP_3) | instskip(NEXT) | instid1(VALU_DEP_1)
	v_pk_add_f32 v[84:85], v[84:85], v[88:89]
	v_pk_add_f32 v[84:85], v[84:85], v[86:87]
	s_wait_loadcnt 0x0
	s_delay_alu instid0(VALU_DEP_1)
	v_pk_add_f32 v[84:85], v[204:205], v[84:85] neg_lo:[0,1] neg_hi:[0,1]
	scratch_store_b64 off, v[84:85], off offset:80
	s_wait_xcnt 0x0
	v_cmpx_lt_u32_e32 9, v0
	s_cbranch_execz .LBB40_241
; %bb.240:
	scratch_load_b64 v[84:85], off, off offset:72
	v_mov_b64_e32 v[86:87], 0
	scratch_store_b64 off, v[86:87], off offset:72
	s_wait_loadcnt 0x0
	ds_store_b64 v1, v[84:85]
.LBB40_241:
	s_wait_xcnt 0x0
	s_or_b32 exec_lo, exec_lo, s0
	s_wait_storecnt_dscnt 0x0
	s_barrier_signal -1
	s_barrier_wait -1
	s_clause 0x10
	scratch_load_b128 v[84:87], off, off offset:80
	scratch_load_b128 v[88:91], off, off offset:96
	;; [unrolled: 1-line block ×15, first 2 shown]
	scratch_load_b64 v[204:205], off, off offset:320
	scratch_load_b64 v[206:207], off, off offset:72
	v_mov_b32_e32 v5, 0
	ds_load_b128 v[144:147], v5 offset:592
	ds_load_b128 v[148:151], v5 offset:608
	;; [unrolled: 1-line block ×15, first 2 shown]
	ds_load_b64 v[208:209], v5 offset:656
	s_mov_b32 s0, exec_lo
	s_wait_dscnt 0xf
	v_dual_mov_b32 v210, v147 :: v_dual_mov_b32 v211, v146
	s_wait_dscnt 0xc
	v_dual_mov_b32 v212, v151 :: v_dual_mov_b32 v217, v158
	v_dual_mov_b32 v213, v150 :: v_dual_mov_b32 v214, v155
	;; [unrolled: 1-line block ×3, first 2 shown]
	s_wait_loadcnt_dscnt 0x100b
	v_dual_mul_f32 v9, v160, v85 :: v_dual_mul_f32 v51, v161, v85
	v_dual_mul_f32 v53, v163, v87 :: v_dual_mul_f32 v11, v162, v87
	s_wait_loadcnt_dscnt 0xf09
	v_mul_f32_e32 v13, v168, v89
	s_wait_loadcnt_dscnt 0xd07
	v_dual_mul_f32 v63, v177, v97 :: v_dual_fma_f32 v51, v160, v84, -v51
	v_dual_fmac_f32 v9, v161, v84 :: v_dual_mul_f32 v65, v179, v99
	v_dual_mul_f32 v55, v169, v89 :: v_dual_mul_f32 v57, v171, v91
	v_dual_fmac_f32 v11, v163, v86 :: v_dual_fma_f32 v53, v162, v86, -v53
	s_delay_alu instid0(VALU_DEP_3) | instskip(SKIP_4) | instid1(VALU_DEP_3)
	v_dual_add_f32 v9, 0, v9 :: v_dual_add_f32 v51, 0, v51
	v_dual_mul_f32 v15, v170, v91 :: v_dual_mul_f32 v17, v172, v93
	s_wait_loadcnt_dscnt 0xc06
	v_dual_mul_f32 v67, v181, v101 :: v_dual_fma_f32 v55, v168, v88, -v55
	v_fmac_f32_e32 v13, v169, v88
	v_dual_add_f32 v9, v9, v11 :: v_dual_fmac_f32 v15, v171, v90
	v_add_f32_e32 v11, v51, v53
	v_dual_mul_f32 v59, v173, v93 :: v_dual_mul_f32 v61, v175, v95
	v_dual_mul_f32 v51, v183, v103 :: v_dual_fma_f32 v53, v170, v90, -v57
	s_delay_alu instid0(VALU_DEP_3) | instskip(SKIP_3) | instid1(VALU_DEP_3)
	v_dual_add_f32 v9, v9, v13 :: v_dual_add_f32 v11, v11, v55
	v_dual_mul_f32 v19, v174, v95 :: v_dual_mul_f32 v21, v176, v97
	s_wait_loadcnt_dscnt 0xb05
	v_dual_mul_f32 v13, v185, v105 :: v_dual_fma_f32 v55, v172, v92, -v59
	v_dual_fmac_f32 v17, v173, v92 :: v_dual_add_f32 v11, v11, v53
	s_delay_alu instid0(VALU_DEP_3) | instskip(SKIP_1) | instid1(VALU_DEP_2)
	v_dual_add_f32 v9, v9, v15 :: v_dual_fmac_f32 v19, v175, v94
	v_dual_mul_f32 v15, v187, v107 :: v_dual_fma_f32 v53, v174, v94, -v61
	v_dual_add_f32 v11, v11, v55 :: v_dual_add_f32 v9, v9, v17
	v_dual_mul_f32 v23, v178, v99 :: v_dual_mul_f32 v25, v180, v101
	s_wait_loadcnt_dscnt 0xa04
	v_dual_mul_f32 v17, v189, v109 :: v_dual_fma_f32 v55, v176, v96, -v63
	s_delay_alu instid0(VALU_DEP_3) | instskip(NEXT) | instid1(VALU_DEP_3)
	v_dual_fmac_f32 v21, v177, v96 :: v_dual_add_f32 v11, v11, v53
	v_dual_add_f32 v9, v9, v19 :: v_dual_fmac_f32 v23, v179, v98
	v_dual_mul_f32 v19, v191, v111 :: v_dual_fma_f32 v53, v178, v98, -v65
	s_delay_alu instid0(VALU_DEP_2) | instskip(SKIP_3) | instid1(VALU_DEP_3)
	v_dual_add_f32 v11, v11, v55 :: v_dual_add_f32 v9, v9, v21
	v_dual_mul_f32 v27, v182, v103 :: v_dual_mul_f32 v29, v184, v105
	s_wait_loadcnt_dscnt 0x903
	v_dual_mul_f32 v21, v193, v113 :: v_dual_fma_f32 v55, v180, v100, -v67
	v_dual_fmac_f32 v25, v181, v100 :: v_dual_add_f32 v11, v11, v53
	s_delay_alu instid0(VALU_DEP_3) | instskip(SKIP_1) | instid1(VALU_DEP_2)
	v_dual_add_f32 v9, v9, v23 :: v_dual_fmac_f32 v27, v183, v102
	v_dual_mul_f32 v23, v195, v115 :: v_dual_fma_f32 v51, v182, v102, -v51
	v_dual_add_f32 v11, v11, v55 :: v_dual_add_f32 v9, v9, v25
	v_dual_mul_f32 v31, v186, v107 :: v_dual_mul_f32 v33, v188, v109
	s_wait_loadcnt_dscnt 0x802
	v_dual_mul_f32 v25, v197, v117 :: v_dual_fma_f32 v13, v184, v104, -v13
	s_delay_alu instid0(VALU_DEP_3) | instskip(NEXT) | instid1(VALU_DEP_3)
	v_dual_fmac_f32 v29, v185, v104 :: v_dual_add_f32 v11, v11, v51
	v_dual_add_f32 v9, v9, v27 :: v_dual_fmac_f32 v31, v187, v106
	v_dual_mul_f32 v27, v199, v119 :: v_dual_fma_f32 v15, v186, v106, -v15
	s_delay_alu instid0(VALU_DEP_3) | instskip(NEXT) | instid1(VALU_DEP_3)
	v_dual_add_f32 v11, v11, v13 :: v_dual_fmac_f32 v33, v189, v108
	v_dual_add_f32 v9, v9, v29 :: v_dual_fma_f32 v17, v188, v108, -v17
	v_dual_mul_f32 v35, v190, v111 :: v_dual_mul_f32 v37, v192, v113
	s_wait_loadcnt_dscnt 0x701
	s_delay_alu instid0(VALU_DEP_3) | instskip(NEXT) | instid1(VALU_DEP_2)
	v_dual_mul_f32 v13, v201, v121 :: v_dual_add_f32 v11, v11, v15
	v_dual_add_f32 v9, v9, v31 :: v_dual_fmac_f32 v35, v191, v110
	v_dual_mul_f32 v15, v203, v123 :: v_dual_fma_f32 v19, v190, v110, -v19
	s_delay_alu instid0(VALU_DEP_3) | instskip(NEXT) | instid1(VALU_DEP_3)
	v_dual_add_f32 v11, v11, v17 :: v_dual_fmac_f32 v37, v193, v112
	v_dual_add_f32 v9, v9, v33 :: v_dual_fma_f32 v21, v192, v112, -v21
	v_dual_mul_f32 v39, v194, v115 :: v_dual_mul_f32 v41, v196, v117
	s_wait_loadcnt 0x6
	s_delay_alu instid0(VALU_DEP_3) | instskip(NEXT) | instid1(VALU_DEP_2)
	v_dual_mul_f32 v17, v165, v125 :: v_dual_add_f32 v11, v11, v19
	v_dual_add_f32 v9, v9, v35 :: v_dual_fmac_f32 v39, v195, v114
	v_dual_mul_f32 v19, v167, v127 :: v_dual_fma_f32 v23, v194, v114, -v23
	s_delay_alu instid0(VALU_DEP_3) | instskip(NEXT) | instid1(VALU_DEP_3)
	v_dual_add_f32 v11, v11, v21 :: v_dual_fmac_f32 v41, v197, v116
	v_dual_add_f32 v9, v9, v37 :: v_dual_fma_f32 v25, v196, v116, -v25
	v_dual_mul_f32 v43, v198, v119 :: v_dual_mul_f32 v45, v200, v121
	s_wait_loadcnt 0x5
	s_delay_alu instid0(VALU_DEP_3) | instskip(NEXT) | instid1(VALU_DEP_3)
	v_dual_mul_f32 v21, v145, v129 :: v_dual_add_f32 v11, v11, v23
	v_dual_add_f32 v9, v9, v39 :: v_dual_mov_b32 v84, v131
	s_delay_alu instid0(VALU_DEP_3) | instskip(NEXT) | instid1(VALU_DEP_3)
	v_fmac_f32_e32 v43, v199, v118
	v_dual_fma_f32 v23, v198, v118, -v27 :: v_dual_add_f32 v11, v11, v25
	s_delay_alu instid0(VALU_DEP_3) | instskip(SKIP_1) | instid1(VALU_DEP_3)
	v_dual_add_f32 v9, v9, v41 :: v_dual_mul_f32 v47, v202, v123
	v_dual_mul_f32 v49, v164, v125 :: v_dual_fmac_f32 v45, v201, v120
	v_dual_add_f32 v11, v11, v23 :: v_dual_fma_f32 v13, v200, v120, -v13
	s_wait_loadcnt 0x4
	s_delay_alu instid0(VALU_DEP_3) | instskip(SKIP_3) | instid1(VALU_DEP_4)
	v_dual_add_f32 v9, v9, v43 :: v_dual_mov_b32 v88, v135
	v_fma_f32 v15, v202, v122, -v15
	v_fmac_f32_e32 v47, v203, v122
	v_dual_add_f32 v11, v11, v13 :: v_dual_fmac_f32 v49, v165, v124
	v_dual_add_f32 v9, v9, v45 :: v_dual_mul_f32 v219, v166, v127
	v_mul_f32_e32 v221, v144, v129
	s_delay_alu instid0(VALU_DEP_3) | instskip(NEXT) | instid1(VALU_DEP_3)
	v_dual_fma_f32 v13, v164, v124, -v17 :: v_dual_add_f32 v11, v11, v15
	v_dual_fma_f32 v218, v166, v126, -v19 :: v_dual_add_f32 v9, v9, v47
	s_delay_alu instid0(VALU_DEP_4) | instskip(SKIP_1) | instid1(VALU_DEP_4)
	v_fmac_f32_e32 v219, v167, v126
	v_pk_mul_f32 v[84:85], v[210:211], v[84:85] op_sel_hi:[1,0]
	v_dual_add_f32 v92, v11, v13 :: v_dual_fmac_f32 v221, v145, v128
	s_delay_alu instid0(VALU_DEP_4)
	v_add_f32_e32 v93, v9, v49
	v_pk_mul_f32 v[86:87], v[148:149], v[132:133] op_sel:[1,1] op_sel_hi:[0,1]
	s_wait_loadcnt 0x3
	v_dual_mov_b32 v94, v139 :: v_dual_fma_f32 v220, v144, v128, -v21
	v_pk_fma_f32 v[96:97], v[146:147], v[130:131], v[84:85] op_sel_hi:[1,0,1]
	v_pk_add_f32 v[92:93], v[92:93], v[218:219]
	v_pk_fma_f32 v[84:85], v[146:147], v[130:131], v[84:85] neg_lo:[0,0,1] neg_hi:[0,0,1]
	v_pk_fma_f32 v[98:99], v[148:149], v[132:133], v[86:87] op_sel_hi:[1,0,1]
	v_pk_mul_f32 v[88:89], v[212:213], v[88:89] op_sel_hi:[1,0]
	v_mov_b32_e32 v85, v97
	v_pk_add_f32 v[92:93], v[92:93], v[220:221]
	v_pk_fma_f32 v[86:87], v[148:149], v[132:133], v[86:87] neg_lo:[0,0,1] neg_hi:[0,0,1]
	v_pk_mul_f32 v[90:91], v[152:153], v[136:137] op_sel:[1,1] op_sel_hi:[0,1]
	v_mov_b32_e32 v87, v99
	v_pk_fma_f32 v[98:99], v[150:151], v[134:135], v[88:89] op_sel_hi:[1,0,1]
	v_pk_add_f32 v[84:85], v[92:93], v[84:85]
	v_pk_fma_f32 v[88:89], v[150:151], v[134:135], v[88:89] neg_lo:[0,0,1] neg_hi:[0,0,1]
	v_pk_fma_f32 v[92:93], v[152:153], v[136:137], v[90:91] op_sel_hi:[1,0,1]
	v_pk_mul_f32 v[94:95], v[214:215], v[94:95] op_sel_hi:[1,0]
	v_mov_b32_e32 v89, v99
	v_pk_add_f32 v[84:85], v[84:85], v[86:87]
	v_pk_fma_f32 v[90:91], v[152:153], v[136:137], v[90:91] neg_lo:[0,0,1] neg_hi:[0,0,1]
	s_wait_loadcnt 0x2
	v_pk_mul_f32 v[96:97], v[156:157], v[140:141] op_sel:[1,1] op_sel_hi:[0,1]
	v_dual_mov_b32 v86, v143 :: v_dual_mov_b32 v91, v93
	v_pk_fma_f32 v[92:93], v[154:155], v[138:139], v[94:95] op_sel_hi:[1,0,1]
	v_pk_add_f32 v[84:85], v[84:85], v[88:89]
	v_pk_fma_f32 v[94:95], v[154:155], v[138:139], v[94:95] neg_lo:[0,0,1] neg_hi:[0,0,1]
	v_pk_fma_f32 v[88:89], v[156:157], v[140:141], v[96:97] op_sel_hi:[1,0,1]
	v_pk_mul_f32 v[86:87], v[216:217], v[86:87] op_sel_hi:[1,0]
	v_mov_b32_e32 v95, v93
	v_pk_add_f32 v[84:85], v[84:85], v[90:91]
	v_pk_fma_f32 v[90:91], v[156:157], v[140:141], v[96:97] neg_lo:[0,0,1] neg_hi:[0,0,1]
	v_mov_b32_e32 v91, v89
	v_pk_fma_f32 v[88:89], v[158:159], v[142:143], v[86:87] op_sel_hi:[1,0,1]
	s_wait_loadcnt_dscnt 0x100
	v_pk_mul_f32 v[92:93], v[208:209], v[204:205] op_sel:[1,1] op_sel_hi:[0,1]
	v_pk_add_f32 v[84:85], v[84:85], v[94:95]
	v_pk_fma_f32 v[86:87], v[158:159], v[142:143], v[86:87] neg_lo:[0,0,1] neg_hi:[0,0,1]
	v_mov_b32_e32 v87, v89
	s_delay_alu instid0(VALU_DEP_4) | instskip(NEXT) | instid1(VALU_DEP_4)
	v_pk_fma_f32 v[88:89], v[208:209], v[204:205], v[92:93] op_sel_hi:[1,0,1]
	v_pk_add_f32 v[84:85], v[84:85], v[90:91]
	v_pk_fma_f32 v[90:91], v[208:209], v[204:205], v[92:93] neg_lo:[0,0,1] neg_hi:[0,0,1]
	s_delay_alu instid0(VALU_DEP_3) | instskip(NEXT) | instid1(VALU_DEP_3)
	v_mov_b32_e32 v91, v89
	v_pk_add_f32 v[84:85], v[84:85], v[86:87]
	s_delay_alu instid0(VALU_DEP_1) | instskip(SKIP_1) | instid1(VALU_DEP_1)
	v_pk_add_f32 v[84:85], v[84:85], v[90:91]
	s_wait_loadcnt 0x0
	v_pk_add_f32 v[84:85], v[206:207], v[84:85] neg_lo:[0,1] neg_hi:[0,1]
	scratch_store_b64 off, v[84:85], off offset:72
	s_wait_xcnt 0x0
	v_cmpx_lt_u32_e32 8, v0
	s_cbranch_execz .LBB40_243
; %bb.242:
	scratch_load_b64 v[84:85], off, off offset:64
	v_mov_b64_e32 v[86:87], 0
	scratch_store_b64 off, v[86:87], off offset:64
	s_wait_loadcnt 0x0
	ds_store_b64 v1, v[84:85]
.LBB40_243:
	s_wait_xcnt 0x0
	s_or_b32 exec_lo, exec_lo, s0
	s_wait_storecnt_dscnt 0x0
	s_barrier_signal -1
	s_barrier_wait -1
	s_clause 0x10
	scratch_load_b128 v[84:87], off, off offset:72
	scratch_load_b128 v[88:91], off, off offset:88
	;; [unrolled: 1-line block ×16, first 2 shown]
	scratch_load_b64 v[212:213], off, off offset:64
	ds_load_2addr_b64 v[148:151], v5 offset0:75 offset1:76
	ds_load_2addr_b64 v[152:155], v5 offset0:77 offset1:78
	;; [unrolled: 1-line block ×16, first 2 shown]
	s_mov_b32 s0, exec_lo
	s_wait_dscnt 0xf
	v_dual_mov_b32 v214, v151 :: v_dual_mov_b32 v215, v150
	s_wait_dscnt 0xe
	v_dual_mov_b32 v216, v155 :: v_dual_mov_b32 v217, v154
	;; [unrolled: 2-line block ×4, first 2 shown]
	s_wait_loadcnt_dscnt 0x100b
	v_dual_mul_f32 v5, v164, v85 :: v_dual_mul_f32 v9, v166, v87
	v_dual_mul_f32 v51, v165, v85 :: v_dual_mul_f32 v53, v167, v87
	s_wait_loadcnt_dscnt 0xf0a
	v_dual_mul_f32 v11, v168, v89 :: v_dual_mul_f32 v13, v170, v91
	s_delay_alu instid0(VALU_DEP_2) | instskip(SKIP_3) | instid1(VALU_DEP_3)
	v_dual_fmac_f32 v5, v165, v84 :: v_dual_fma_f32 v51, v164, v84, -v51
	v_dual_mul_f32 v55, v169, v89 :: v_dual_mul_f32 v57, v171, v91
	s_wait_loadcnt_dscnt 0xd08
	v_dual_mul_f32 v63, v177, v97 :: v_dual_fmac_f32 v9, v167, v86
	v_dual_fma_f32 v53, v166, v86, -v53 :: v_dual_add_f32 v5, 0, v5
	v_dual_add_f32 v51, 0, v51 :: v_dual_fmac_f32 v11, v169, v88
	v_dual_mul_f32 v65, v179, v99 :: v_dual_fma_f32 v55, v168, v88, -v55
	s_delay_alu instid0(VALU_DEP_3) | instskip(NEXT) | instid1(VALU_DEP_3)
	v_dual_add_f32 v5, v5, v9 :: v_dual_fmac_f32 v13, v171, v90
	v_dual_add_f32 v9, v51, v53 :: v_dual_fma_f32 v53, v170, v90, -v57
	v_dual_mul_f32 v15, v172, v93 :: v_dual_mul_f32 v17, v174, v95
	v_dual_mul_f32 v59, v173, v93 :: v_dual_mul_f32 v61, v175, v95
	s_delay_alu instid0(VALU_DEP_3) | instskip(NEXT) | instid1(VALU_DEP_3)
	v_add_f32_e32 v9, v9, v55
	v_dual_add_f32 v5, v5, v11 :: v_dual_fmac_f32 v17, v175, v94
	s_wait_loadcnt_dscnt 0xc07
	s_delay_alu instid0(VALU_DEP_3) | instskip(NEXT) | instid1(VALU_DEP_3)
	v_dual_fma_f32 v55, v172, v92, -v59 :: v_dual_mul_f32 v51, v181, v101
	v_dual_mul_f32 v11, v183, v103 :: v_dual_add_f32 v9, v9, v53
	v_dual_fmac_f32 v15, v173, v92 :: v_dual_fma_f32 v53, v174, v94, -v61
	v_add_f32_e32 v5, v5, v13
	v_dual_mul_f32 v19, v176, v97 :: v_dual_mul_f32 v21, v178, v99
	s_delay_alu instid0(VALU_DEP_4) | instskip(NEXT) | instid1(VALU_DEP_3)
	v_dual_add_f32 v9, v9, v55 :: v_dual_fma_f32 v51, v180, v100, -v51
	v_dual_add_f32 v5, v5, v15 :: v_dual_fma_f32 v55, v176, v96, -v63
	v_dual_mul_f32 v23, v180, v101 :: v_dual_mul_f32 v25, v182, v103
	s_delay_alu instid0(VALU_DEP_3) | instskip(SKIP_2) | instid1(VALU_DEP_3)
	v_dual_add_f32 v9, v9, v53 :: v_dual_fma_f32 v11, v182, v102, -v11
	s_wait_loadcnt_dscnt 0xb06
	v_dual_mul_f32 v27, v184, v105 :: v_dual_mul_f32 v29, v186, v107
	v_dual_fmac_f32 v19, v177, v96 :: v_dual_fmac_f32 v25, v183, v102
	v_dual_fma_f32 v53, v178, v98, -v65 :: v_dual_add_f32 v5, v5, v17
	s_delay_alu instid0(VALU_DEP_3)
	v_dual_add_f32 v9, v9, v55 :: v_dual_fmac_f32 v29, v187, v106
	s_wait_loadcnt_dscnt 0xa05
	v_dual_mul_f32 v31, v188, v109 :: v_dual_mul_f32 v33, v190, v111
	v_dual_mul_f32 v13, v185, v105 :: v_dual_fmac_f32 v21, v179, v98
	v_mul_f32_e32 v17, v189, v109
	v_add_f32_e32 v5, v5, v19
	v_dual_add_f32 v9, v9, v53 :: v_dual_mul_f32 v15, v187, v107
	s_delay_alu instid0(VALU_DEP_4) | instskip(NEXT) | instid1(VALU_DEP_3)
	v_fma_f32 v13, v184, v104, -v13
	v_dual_fmac_f32 v33, v191, v110 :: v_dual_add_f32 v5, v5, v21
	s_wait_loadcnt_dscnt 0x904
	v_mul_f32_e32 v21, v193, v113
	s_wait_loadcnt_dscnt 0x803
	v_dual_add_f32 v9, v9, v51 :: v_dual_mul_f32 v39, v196, v117
	v_dual_mul_f32 v41, v198, v119 :: v_dual_fmac_f32 v23, v181, v100
	s_delay_alu instid0(VALU_DEP_2) | instskip(SKIP_3) | instid1(VALU_DEP_3)
	v_dual_fma_f32 v21, v192, v112, -v21 :: v_dual_add_f32 v9, v9, v11
	s_wait_loadcnt_dscnt 0x702
	v_dual_fma_f32 v15, v186, v106, -v15 :: v_dual_mul_f32 v43, v200, v121
	v_mul_f32_e32 v45, v202, v123
	v_dual_mul_f32 v19, v191, v111 :: v_dual_add_f32 v9, v9, v13
	v_dual_fmac_f32 v41, v199, v118 :: v_dual_mul_f32 v13, v199, v119
	s_delay_alu instid0(VALU_DEP_2) | instskip(SKIP_1) | instid1(VALU_DEP_4)
	v_dual_add_f32 v5, v5, v23 :: v_dual_fma_f32 v19, v190, v110, -v19
	v_dual_mul_f32 v23, v195, v115 :: v_dual_fma_f32 v17, v188, v108, -v17
	v_add_f32_e32 v9, v9, v15
	v_dual_mul_f32 v15, v201, v121 :: v_dual_fmac_f32 v43, v201, v120
	v_dual_mul_f32 v35, v192, v113 :: v_dual_mul_f32 v37, v194, v115
	s_wait_loadcnt_dscnt 0x601
	v_dual_mul_f32 v47, v204, v125 :: v_dual_mul_f32 v49, v206, v127
	s_delay_alu instid0(VALU_DEP_3) | instskip(SKIP_2) | instid1(VALU_DEP_3)
	v_dual_fma_f32 v15, v200, v120, -v15 :: v_dual_add_f32 v9, v9, v17
	v_dual_fmac_f32 v27, v185, v104 :: v_dual_mul_f32 v17, v203, v123
	v_dual_add_f32 v5, v5, v25 :: v_dual_fmac_f32 v37, v195, v114
	v_dual_add_f32 v9, v9, v19 :: v_dual_fmac_f32 v49, v207, v126
	v_dual_mul_f32 v11, v197, v117 :: v_dual_fma_f32 v23, v194, v114, -v23
	v_dual_fmac_f32 v31, v189, v108 :: v_dual_fma_f32 v13, v198, v118, -v13
	s_wait_loadcnt 0x3
	s_delay_alu instid0(VALU_DEP_3) | instskip(SKIP_2) | instid1(VALU_DEP_3)
	v_dual_add_f32 v9, v9, v21 :: v_dual_mov_b32 v90, v139
	v_mul_f32_e32 v21, v207, v127
	v_dual_add_f32 v5, v5, v27 :: v_dual_fma_f32 v11, v196, v116, -v11
	v_add_f32_e32 v9, v9, v23
	v_pk_mul_f32 v[88:89], v[152:153], v[136:137] op_sel:[1,1] op_sel_hi:[0,1]
	v_dual_fmac_f32 v35, v193, v112 :: v_dual_mov_b32 v86, v135
	s_delay_alu instid0(VALU_DEP_4) | instskip(NEXT) | instid1(VALU_DEP_4)
	v_add_f32_e32 v5, v5, v29
	v_add_f32_e32 v9, v9, v11
	s_wait_dscnt 0x0
	v_dual_mul_f32 v11, v211, v131 :: v_dual_mul_f32 v19, v205, v125
	v_fmac_f32_e32 v47, v205, v124
	v_dual_add_f32 v5, v5, v31 :: v_dual_fmac_f32 v45, v203, v122
	v_pk_fma_f32 v[98:99], v[152:153], v[136:137], v[88:89] op_sel_hi:[1,0,1]
	v_add_f32_e32 v9, v9, v13
	v_pk_fma_f32 v[88:89], v[152:153], v[136:137], v[88:89] neg_lo:[0,0,1] neg_hi:[0,0,1]
	s_delay_alu instid0(VALU_DEP_4) | instskip(SKIP_3) | instid1(VALU_DEP_4)
	v_add_f32_e32 v5, v5, v33
	v_dual_mul_f32 v223, v208, v129 :: v_dual_mul_f32 v225, v210, v131
	v_dual_fma_f32 v13, v202, v122, -v17 :: v_dual_mov_b32 v89, v99
	v_dual_add_f32 v9, v9, v15 :: v_dual_fma_f32 v15, v204, v124, -v19
	v_add_f32_e32 v5, v5, v35
	s_delay_alu instid0(VALU_DEP_4) | instskip(SKIP_3) | instid1(VALU_DEP_3)
	v_dual_fmac_f32 v39, v197, v116 :: v_dual_fmac_f32 v225, v211, v130
	v_dual_mul_f32 v23, v209, v129 :: v_dual_fmac_f32 v223, v209, v128
	v_pk_mul_f32 v[84:85], v[148:149], v[132:133] op_sel:[1,1] op_sel_hi:[0,1]
	v_dual_add_f32 v9, v9, v13 :: v_dual_fma_f32 v13, v206, v126, -v21
	v_dual_add_f32 v5, v5, v37 :: v_dual_fma_f32 v222, v208, v128, -v23
	s_delay_alu instid0(VALU_DEP_3) | instskip(SKIP_2) | instid1(VALU_DEP_4)
	v_pk_fma_f32 v[94:95], v[148:149], v[132:133], v[84:85] op_sel_hi:[1,0,1]
	v_pk_mul_f32 v[86:87], v[214:215], v[86:87] op_sel_hi:[1,0]
	v_pk_fma_f32 v[84:85], v[148:149], v[132:133], v[84:85] neg_lo:[0,0,1] neg_hi:[0,0,1]
	v_add_f32_e32 v5, v5, v39
	v_pk_mul_f32 v[90:91], v[216:217], v[90:91] op_sel_hi:[1,0]
	v_mov_b32_e32 v85, v95
	v_pk_fma_f32 v[94:95], v[150:151], v[134:135], v[86:87] op_sel_hi:[1,0,1]
	v_pk_fma_f32 v[86:87], v[150:151], v[134:135], v[86:87] neg_lo:[0,0,1] neg_hi:[0,0,1]
	v_add_f32_e32 v5, v5, v41
	v_dual_add_f32 v9, v9, v15 :: v_dual_fma_f32 v224, v210, v130, -v11
	s_delay_alu instid0(VALU_DEP_4) | instskip(SKIP_1) | instid1(VALU_DEP_4)
	v_mov_b32_e32 v87, v95
	v_pk_fma_f32 v[94:95], v[154:155], v[138:139], v[90:91] op_sel_hi:[1,0,1]
	v_add_f32_e32 v5, v5, v43
	v_pk_fma_f32 v[90:91], v[154:155], v[138:139], v[90:91] neg_lo:[0,0,1] neg_hi:[0,0,1]
	v_add_f32_e32 v92, v9, v13
	s_wait_loadcnt 0x2
	v_pk_mul_f32 v[96:97], v[156:157], v[140:141] op_sel:[1,1] op_sel_hi:[0,1]
	v_dual_mov_b32 v91, v95 :: v_dual_add_f32 v5, v5, v45
	s_delay_alu instid0(VALU_DEP_2) | instskip(NEXT) | instid1(VALU_DEP_2)
	v_pk_fma_f32 v[94:95], v[156:157], v[140:141], v[96:97] neg_lo:[0,0,1] neg_hi:[0,0,1]
	v_add_f32_e32 v5, v5, v47
	s_delay_alu instid0(VALU_DEP_1) | instskip(NEXT) | instid1(VALU_DEP_1)
	v_add_f32_e32 v93, v5, v49
	v_pk_add_f32 v[92:93], v[92:93], v[222:223]
	s_delay_alu instid0(VALU_DEP_1) | instskip(NEXT) | instid1(VALU_DEP_1)
	v_pk_add_f32 v[92:93], v[92:93], v[224:225]
	v_pk_add_f32 v[84:85], v[92:93], v[84:85]
	v_mov_b32_e32 v92, v143
	s_delay_alu instid0(VALU_DEP_2) | instskip(SKIP_1) | instid1(VALU_DEP_3)
	v_pk_add_f32 v[84:85], v[84:85], v[86:87]
	v_pk_fma_f32 v[86:87], v[156:157], v[140:141], v[96:97] op_sel_hi:[1,0,1]
	v_pk_mul_f32 v[92:93], v[218:219], v[92:93] op_sel_hi:[1,0]
	s_delay_alu instid0(VALU_DEP_3) | instskip(NEXT) | instid1(VALU_DEP_3)
	v_pk_add_f32 v[84:85], v[84:85], v[88:89]
	v_mov_b32_e32 v95, v87
	s_delay_alu instid0(VALU_DEP_3)
	v_pk_fma_f32 v[86:87], v[158:159], v[142:143], v[92:93] op_sel_hi:[1,0,1]
	s_wait_loadcnt 0x1
	v_pk_mul_f32 v[88:89], v[160:161], v[144:145] op_sel:[1,1] op_sel_hi:[0,1]
	v_mov_b32_e32 v86, v147
	v_pk_add_f32 v[84:85], v[84:85], v[90:91]
	v_pk_fma_f32 v[92:93], v[158:159], v[142:143], v[92:93] neg_lo:[0,0,1] neg_hi:[0,0,1]
	v_mov_b32_e32 v93, v87
	v_pk_fma_f32 v[90:91], v[160:161], v[144:145], v[88:89] op_sel_hi:[1,0,1]
	v_pk_mul_f32 v[86:87], v[220:221], v[86:87] op_sel_hi:[1,0]
	v_pk_add_f32 v[84:85], v[84:85], v[94:95]
	v_pk_fma_f32 v[88:89], v[160:161], v[144:145], v[88:89] neg_lo:[0,0,1] neg_hi:[0,0,1]
	s_delay_alu instid0(VALU_DEP_4) | instskip(NEXT) | instid1(VALU_DEP_4)
	v_mov_b32_e32 v89, v91
	v_pk_fma_f32 v[90:91], v[162:163], v[146:147], v[86:87] op_sel_hi:[1,0,1]
	s_delay_alu instid0(VALU_DEP_4) | instskip(SKIP_1) | instid1(VALU_DEP_3)
	v_pk_add_f32 v[84:85], v[84:85], v[92:93]
	v_pk_fma_f32 v[86:87], v[162:163], v[146:147], v[86:87] neg_lo:[0,0,1] neg_hi:[0,0,1]
	v_mov_b32_e32 v87, v91
	s_delay_alu instid0(VALU_DEP_3) | instskip(NEXT) | instid1(VALU_DEP_1)
	v_pk_add_f32 v[84:85], v[84:85], v[88:89]
	v_pk_add_f32 v[84:85], v[84:85], v[86:87]
	s_wait_loadcnt 0x0
	s_delay_alu instid0(VALU_DEP_1)
	v_pk_add_f32 v[84:85], v[212:213], v[84:85] neg_lo:[0,1] neg_hi:[0,1]
	scratch_store_b64 off, v[84:85], off offset:64
	s_wait_xcnt 0x0
	v_cmpx_lt_u32_e32 7, v0
	s_cbranch_execz .LBB40_245
; %bb.244:
	scratch_load_b64 v[84:85], off, off offset:56
	v_mov_b64_e32 v[86:87], 0
	scratch_store_b64 off, v[86:87], off offset:56
	s_wait_loadcnt 0x0
	ds_store_b64 v1, v[84:85]
.LBB40_245:
	s_wait_xcnt 0x0
	s_or_b32 exec_lo, exec_lo, s0
	s_wait_storecnt_dscnt 0x0
	s_barrier_signal -1
	s_barrier_wait -1
	s_clause 0x11
	scratch_load_b128 v[84:87], off, off offset:64
	scratch_load_b128 v[88:91], off, off offset:80
	scratch_load_b128 v[92:95], off, off offset:96
	scratch_load_b128 v[96:99], off, off offset:112
	scratch_load_b128 v[100:103], off, off offset:128
	scratch_load_b128 v[104:107], off, off offset:144
	scratch_load_b128 v[108:111], off, off offset:160
	scratch_load_b128 v[112:115], off, off offset:176
	scratch_load_b128 v[116:119], off, off offset:192
	scratch_load_b128 v[120:123], off, off offset:208
	scratch_load_b128 v[124:127], off, off offset:224
	scratch_load_b128 v[128:131], off, off offset:240
	scratch_load_b128 v[132:135], off, off offset:256
	scratch_load_b128 v[136:139], off, off offset:272
	scratch_load_b128 v[140:143], off, off offset:288
	scratch_load_b128 v[144:147], off, off offset:304
	scratch_load_b64 v[212:213], off, off offset:320
	scratch_load_b64 v[214:215], off, off offset:56
	v_mov_b32_e32 v5, 0
	ds_load_b128 v[148:151], v5 offset:592
	ds_load_b128 v[152:155], v5 offset:608
	;; [unrolled: 1-line block ×16, first 2 shown]
	ds_load_b64 v[216:217], v5 offset:656
	s_mov_b32 s0, exec_lo
	s_wait_dscnt 0x10
	v_dual_mov_b32 v218, v151 :: v_dual_mov_b32 v219, v150
	s_wait_dscnt 0xd
	v_dual_mov_b32 v220, v155 :: v_dual_mov_b32 v225, v162
	v_dual_mov_b32 v221, v154 :: v_dual_mov_b32 v222, v159
	;; [unrolled: 1-line block ×3, first 2 shown]
	s_wait_loadcnt_dscnt 0x110c
	v_dual_mul_f32 v9, v164, v85 :: v_dual_mul_f32 v55, v165, v85
	v_dual_mul_f32 v57, v167, v87 :: v_dual_mul_f32 v11, v166, v87
	s_wait_loadcnt_dscnt 0x100b
	v_mul_f32_e32 v13, v168, v89
	s_wait_loadcnt_dscnt 0xe09
	v_dual_mul_f32 v67, v177, v97 :: v_dual_fma_f32 v55, v164, v84, -v55
	v_dual_fmac_f32 v9, v165, v84 :: v_dual_mul_f32 v69, v179, v99
	v_dual_mul_f32 v59, v169, v89 :: v_dual_mul_f32 v61, v171, v91
	v_dual_fmac_f32 v11, v167, v86 :: v_dual_fma_f32 v57, v166, v86, -v57
	s_delay_alu instid0(VALU_DEP_3) | instskip(SKIP_4) | instid1(VALU_DEP_3)
	v_dual_add_f32 v9, 0, v9 :: v_dual_add_f32 v55, 0, v55
	v_dual_mul_f32 v15, v170, v91 :: v_dual_mul_f32 v17, v172, v93
	s_wait_loadcnt_dscnt 0xd08
	v_dual_mul_f32 v71, v181, v101 :: v_dual_fma_f32 v59, v168, v88, -v59
	v_fmac_f32_e32 v13, v169, v88
	v_dual_add_f32 v9, v9, v11 :: v_dual_fmac_f32 v15, v171, v90
	v_add_f32_e32 v11, v55, v57
	v_dual_mul_f32 v63, v173, v93 :: v_dual_mul_f32 v65, v175, v95
	v_dual_mul_f32 v55, v183, v103 :: v_dual_fma_f32 v57, v170, v90, -v61
	s_delay_alu instid0(VALU_DEP_3) | instskip(SKIP_3) | instid1(VALU_DEP_3)
	v_dual_add_f32 v9, v9, v13 :: v_dual_add_f32 v11, v11, v59
	v_dual_mul_f32 v19, v174, v95 :: v_dual_mul_f32 v21, v176, v97
	s_wait_loadcnt_dscnt 0xc07
	v_dual_mul_f32 v13, v185, v105 :: v_dual_fma_f32 v59, v172, v92, -v63
	v_dual_fmac_f32 v17, v173, v92 :: v_dual_add_f32 v11, v11, v57
	s_delay_alu instid0(VALU_DEP_3) | instskip(SKIP_1) | instid1(VALU_DEP_2)
	v_dual_add_f32 v9, v9, v15 :: v_dual_fmac_f32 v19, v175, v94
	v_dual_mul_f32 v15, v187, v107 :: v_dual_fma_f32 v57, v174, v94, -v65
	v_dual_add_f32 v11, v11, v59 :: v_dual_add_f32 v9, v9, v17
	v_dual_mul_f32 v23, v178, v99 :: v_dual_mul_f32 v25, v180, v101
	s_wait_loadcnt_dscnt 0xb06
	v_dual_mul_f32 v17, v189, v109 :: v_dual_fma_f32 v59, v176, v96, -v67
	s_delay_alu instid0(VALU_DEP_3) | instskip(NEXT) | instid1(VALU_DEP_3)
	v_dual_fmac_f32 v21, v177, v96 :: v_dual_add_f32 v11, v11, v57
	v_dual_add_f32 v9, v9, v19 :: v_dual_fmac_f32 v23, v179, v98
	v_dual_mul_f32 v19, v191, v111 :: v_dual_fma_f32 v57, v178, v98, -v69
	s_delay_alu instid0(VALU_DEP_2) | instskip(SKIP_3) | instid1(VALU_DEP_3)
	v_dual_add_f32 v11, v11, v59 :: v_dual_add_f32 v9, v9, v21
	v_dual_mul_f32 v27, v182, v103 :: v_dual_mul_f32 v29, v184, v105
	s_wait_loadcnt_dscnt 0xa05
	v_dual_mul_f32 v21, v193, v113 :: v_dual_fma_f32 v59, v180, v100, -v71
	v_dual_fmac_f32 v25, v181, v100 :: v_dual_add_f32 v11, v11, v57
	s_delay_alu instid0(VALU_DEP_3) | instskip(SKIP_1) | instid1(VALU_DEP_2)
	v_dual_add_f32 v9, v9, v23 :: v_dual_fmac_f32 v27, v183, v102
	v_dual_mul_f32 v23, v195, v115 :: v_dual_fma_f32 v55, v182, v102, -v55
	v_dual_add_f32 v11, v11, v59 :: v_dual_add_f32 v9, v9, v25
	v_dual_mul_f32 v31, v186, v107 :: v_dual_mul_f32 v33, v188, v109
	s_wait_loadcnt_dscnt 0x904
	v_dual_mul_f32 v25, v197, v117 :: v_dual_fma_f32 v13, v184, v104, -v13
	s_delay_alu instid0(VALU_DEP_3) | instskip(NEXT) | instid1(VALU_DEP_3)
	v_dual_fmac_f32 v29, v185, v104 :: v_dual_add_f32 v11, v11, v55
	v_dual_add_f32 v9, v9, v27 :: v_dual_fmac_f32 v31, v187, v106
	v_dual_mul_f32 v27, v199, v119 :: v_dual_fma_f32 v15, v186, v106, -v15
	s_delay_alu instid0(VALU_DEP_3) | instskip(NEXT) | instid1(VALU_DEP_3)
	v_dual_add_f32 v11, v11, v13 :: v_dual_fmac_f32 v33, v189, v108
	v_dual_add_f32 v9, v9, v29 :: v_dual_fma_f32 v17, v188, v108, -v17
	v_dual_mul_f32 v35, v190, v111 :: v_dual_mul_f32 v37, v192, v113
	s_wait_loadcnt_dscnt 0x803
	s_delay_alu instid0(VALU_DEP_3) | instskip(NEXT) | instid1(VALU_DEP_2)
	v_dual_mul_f32 v13, v201, v121 :: v_dual_add_f32 v11, v11, v15
	v_dual_add_f32 v9, v9, v31 :: v_dual_fmac_f32 v35, v191, v110
	v_dual_mul_f32 v15, v203, v123 :: v_dual_fma_f32 v19, v190, v110, -v19
	s_delay_alu instid0(VALU_DEP_3) | instskip(NEXT) | instid1(VALU_DEP_3)
	v_dual_add_f32 v11, v11, v17 :: v_dual_fmac_f32 v37, v193, v112
	v_dual_add_f32 v9, v9, v33 :: v_dual_fma_f32 v21, v192, v112, -v21
	v_dual_mul_f32 v39, v194, v115 :: v_dual_mul_f32 v41, v196, v117
	s_wait_loadcnt_dscnt 0x702
	s_delay_alu instid0(VALU_DEP_3) | instskip(NEXT) | instid1(VALU_DEP_2)
	v_dual_mul_f32 v17, v205, v125 :: v_dual_add_f32 v11, v11, v19
	;; [unrolled: 9-line block ×3, first 2 shown]
	v_dual_add_f32 v9, v9, v39 :: v_dual_fmac_f32 v43, v199, v118
	v_dual_mul_f32 v23, v211, v131 :: v_dual_fma_f32 v27, v198, v118, -v27
	s_delay_alu instid0(VALU_DEP_3) | instskip(NEXT) | instid1(VALU_DEP_3)
	v_dual_add_f32 v11, v11, v25 :: v_dual_fmac_f32 v45, v201, v120
	v_dual_add_f32 v9, v9, v41 :: v_dual_fma_f32 v13, v200, v120, -v13
	v_dual_mul_f32 v47, v202, v123 :: v_dual_mul_f32 v49, v204, v125
	s_wait_loadcnt 0x5
	s_delay_alu instid0(VALU_DEP_3) | instskip(NEXT) | instid1(VALU_DEP_3)
	v_dual_mul_f32 v25, v149, v133 :: v_dual_add_f32 v11, v11, v27
	v_dual_add_f32 v9, v9, v43 :: v_dual_mov_b32 v84, v135
	s_delay_alu instid0(VALU_DEP_3) | instskip(NEXT) | instid1(VALU_DEP_3)
	v_fmac_f32_e32 v47, v203, v122
	v_dual_fma_f32 v15, v202, v122, -v15 :: v_dual_add_f32 v11, v11, v13
	s_delay_alu instid0(VALU_DEP_3) | instskip(SKIP_1) | instid1(VALU_DEP_3)
	v_dual_add_f32 v9, v9, v45 :: v_dual_mul_f32 v51, v206, v127
	v_dual_mul_f32 v53, v208, v129 :: v_dual_fmac_f32 v49, v205, v124
	v_dual_add_f32 v11, v11, v15 :: v_dual_fma_f32 v13, v204, v124, -v17
	s_wait_loadcnt 0x4
	s_delay_alu instid0(VALU_DEP_3) | instskip(SKIP_3) | instid1(VALU_DEP_4)
	v_dual_add_f32 v9, v9, v47 :: v_dual_mov_b32 v88, v139
	v_fma_f32 v15, v206, v126, -v19
	v_fmac_f32_e32 v51, v207, v126
	v_dual_add_f32 v11, v11, v13 :: v_dual_fmac_f32 v53, v209, v128
	v_dual_add_f32 v9, v9, v49 :: v_dual_mul_f32 v227, v210, v131
	v_mul_f32_e32 v229, v148, v133
	s_delay_alu instid0(VALU_DEP_3) | instskip(NEXT) | instid1(VALU_DEP_3)
	v_dual_fma_f32 v13, v208, v128, -v21 :: v_dual_add_f32 v11, v11, v15
	v_dual_fma_f32 v226, v210, v130, -v23 :: v_dual_add_f32 v9, v9, v51
	s_delay_alu instid0(VALU_DEP_4) | instskip(SKIP_1) | instid1(VALU_DEP_4)
	v_fmac_f32_e32 v227, v211, v130
	v_pk_mul_f32 v[84:85], v[218:219], v[84:85] op_sel_hi:[1,0]
	v_dual_add_f32 v92, v11, v13 :: v_dual_fmac_f32 v229, v149, v132
	s_delay_alu instid0(VALU_DEP_4)
	v_add_f32_e32 v93, v9, v53
	v_pk_mul_f32 v[86:87], v[152:153], v[136:137] op_sel:[1,1] op_sel_hi:[0,1]
	s_wait_loadcnt 0x3
	v_dual_mov_b32 v94, v143 :: v_dual_fma_f32 v228, v148, v132, -v25
	v_pk_fma_f32 v[96:97], v[150:151], v[134:135], v[84:85] op_sel_hi:[1,0,1]
	v_pk_add_f32 v[92:93], v[92:93], v[226:227]
	v_pk_fma_f32 v[84:85], v[150:151], v[134:135], v[84:85] neg_lo:[0,0,1] neg_hi:[0,0,1]
	v_pk_fma_f32 v[98:99], v[152:153], v[136:137], v[86:87] op_sel_hi:[1,0,1]
	v_pk_mul_f32 v[88:89], v[220:221], v[88:89] op_sel_hi:[1,0]
	v_mov_b32_e32 v85, v97
	v_pk_add_f32 v[92:93], v[92:93], v[228:229]
	v_pk_fma_f32 v[86:87], v[152:153], v[136:137], v[86:87] neg_lo:[0,0,1] neg_hi:[0,0,1]
	v_pk_mul_f32 v[90:91], v[156:157], v[140:141] op_sel:[1,1] op_sel_hi:[0,1]
	v_mov_b32_e32 v87, v99
	v_pk_fma_f32 v[98:99], v[154:155], v[138:139], v[88:89] op_sel_hi:[1,0,1]
	v_pk_add_f32 v[84:85], v[92:93], v[84:85]
	v_pk_fma_f32 v[88:89], v[154:155], v[138:139], v[88:89] neg_lo:[0,0,1] neg_hi:[0,0,1]
	v_pk_fma_f32 v[92:93], v[156:157], v[140:141], v[90:91] op_sel_hi:[1,0,1]
	v_pk_mul_f32 v[94:95], v[222:223], v[94:95] op_sel_hi:[1,0]
	v_mov_b32_e32 v89, v99
	v_pk_add_f32 v[84:85], v[84:85], v[86:87]
	v_pk_fma_f32 v[90:91], v[156:157], v[140:141], v[90:91] neg_lo:[0,0,1] neg_hi:[0,0,1]
	s_wait_loadcnt 0x2
	v_pk_mul_f32 v[96:97], v[160:161], v[144:145] op_sel:[1,1] op_sel_hi:[0,1]
	v_dual_mov_b32 v86, v147 :: v_dual_mov_b32 v91, v93
	v_pk_fma_f32 v[92:93], v[158:159], v[142:143], v[94:95] op_sel_hi:[1,0,1]
	v_pk_add_f32 v[84:85], v[84:85], v[88:89]
	v_pk_fma_f32 v[94:95], v[158:159], v[142:143], v[94:95] neg_lo:[0,0,1] neg_hi:[0,0,1]
	v_pk_fma_f32 v[88:89], v[160:161], v[144:145], v[96:97] op_sel_hi:[1,0,1]
	v_pk_mul_f32 v[86:87], v[224:225], v[86:87] op_sel_hi:[1,0]
	v_mov_b32_e32 v95, v93
	v_pk_add_f32 v[84:85], v[84:85], v[90:91]
	v_pk_fma_f32 v[90:91], v[160:161], v[144:145], v[96:97] neg_lo:[0,0,1] neg_hi:[0,0,1]
	v_mov_b32_e32 v91, v89
	v_pk_fma_f32 v[88:89], v[162:163], v[146:147], v[86:87] op_sel_hi:[1,0,1]
	s_wait_loadcnt_dscnt 0x100
	v_pk_mul_f32 v[92:93], v[216:217], v[212:213] op_sel:[1,1] op_sel_hi:[0,1]
	v_pk_add_f32 v[84:85], v[84:85], v[94:95]
	v_pk_fma_f32 v[86:87], v[162:163], v[146:147], v[86:87] neg_lo:[0,0,1] neg_hi:[0,0,1]
	v_mov_b32_e32 v87, v89
	s_delay_alu instid0(VALU_DEP_4) | instskip(NEXT) | instid1(VALU_DEP_4)
	v_pk_fma_f32 v[88:89], v[216:217], v[212:213], v[92:93] op_sel_hi:[1,0,1]
	v_pk_add_f32 v[84:85], v[84:85], v[90:91]
	v_pk_fma_f32 v[90:91], v[216:217], v[212:213], v[92:93] neg_lo:[0,0,1] neg_hi:[0,0,1]
	s_delay_alu instid0(VALU_DEP_3) | instskip(NEXT) | instid1(VALU_DEP_3)
	v_mov_b32_e32 v91, v89
	v_pk_add_f32 v[84:85], v[84:85], v[86:87]
	s_delay_alu instid0(VALU_DEP_1) | instskip(SKIP_1) | instid1(VALU_DEP_1)
	v_pk_add_f32 v[84:85], v[84:85], v[90:91]
	s_wait_loadcnt 0x0
	v_pk_add_f32 v[84:85], v[214:215], v[84:85] neg_lo:[0,1] neg_hi:[0,1]
	scratch_store_b64 off, v[84:85], off offset:56
	s_wait_xcnt 0x0
	v_cmpx_lt_u32_e32 6, v0
	s_cbranch_execz .LBB40_247
; %bb.246:
	scratch_load_b64 v[84:85], off, off offset:48
	v_mov_b64_e32 v[86:87], 0
	scratch_store_b64 off, v[86:87], off offset:48
	s_wait_loadcnt 0x0
	ds_store_b64 v1, v[84:85]
.LBB40_247:
	s_wait_xcnt 0x0
	s_or_b32 exec_lo, exec_lo, s0
	s_wait_storecnt_dscnt 0x0
	s_barrier_signal -1
	s_barrier_wait -1
	s_clause 0x11
	scratch_load_b128 v[84:87], off, off offset:56
	scratch_load_b128 v[88:91], off, off offset:72
	;; [unrolled: 1-line block ×17, first 2 shown]
	scratch_load_b64 v[220:221], off, off offset:48
	ds_load_2addr_b64 v[152:155], v5 offset0:75 offset1:76
	ds_load_2addr_b64 v[156:159], v5 offset0:77 offset1:78
	;; [unrolled: 1-line block ×17, first 2 shown]
	s_mov_b32 s0, exec_lo
	s_wait_dscnt 0x10
	v_dual_mov_b32 v222, v155 :: v_dual_mov_b32 v223, v154
	s_wait_dscnt 0xf
	v_dual_mov_b32 v224, v159 :: v_dual_mov_b32 v225, v158
	;; [unrolled: 2-line block ×4, first 2 shown]
	s_wait_loadcnt_dscnt 0x110b
	v_dual_mul_f32 v5, v172, v85 :: v_dual_mul_f32 v9, v174, v87
	v_dual_mul_f32 v55, v173, v85 :: v_dual_mul_f32 v57, v175, v87
	s_wait_loadcnt_dscnt 0x100a
	v_dual_mul_f32 v11, v176, v89 :: v_dual_mul_f32 v13, v178, v91
	s_delay_alu instid0(VALU_DEP_2) | instskip(SKIP_3) | instid1(VALU_DEP_3)
	v_dual_fmac_f32 v5, v173, v84 :: v_dual_fma_f32 v55, v172, v84, -v55
	v_dual_mul_f32 v59, v177, v89 :: v_dual_mul_f32 v61, v179, v91
	s_wait_loadcnt_dscnt 0xe08
	v_dual_mul_f32 v67, v185, v97 :: v_dual_fmac_f32 v9, v175, v86
	v_dual_fma_f32 v57, v174, v86, -v57 :: v_dual_add_f32 v5, 0, v5
	v_dual_add_f32 v55, 0, v55 :: v_dual_fmac_f32 v11, v177, v88
	v_dual_mul_f32 v69, v187, v99 :: v_dual_fma_f32 v59, v176, v88, -v59
	s_delay_alu instid0(VALU_DEP_3) | instskip(NEXT) | instid1(VALU_DEP_3)
	v_dual_add_f32 v5, v5, v9 :: v_dual_fmac_f32 v13, v179, v90
	v_dual_add_f32 v9, v55, v57 :: v_dual_fma_f32 v57, v178, v90, -v61
	v_dual_mul_f32 v15, v180, v93 :: v_dual_mul_f32 v17, v182, v95
	v_dual_mul_f32 v63, v181, v93 :: v_dual_mul_f32 v65, v183, v95
	s_delay_alu instid0(VALU_DEP_3) | instskip(NEXT) | instid1(VALU_DEP_3)
	v_add_f32_e32 v9, v9, v59
	v_dual_add_f32 v5, v5, v11 :: v_dual_fmac_f32 v17, v183, v94
	s_wait_loadcnt_dscnt 0xd07
	s_delay_alu instid0(VALU_DEP_3) | instskip(NEXT) | instid1(VALU_DEP_3)
	v_dual_fma_f32 v59, v180, v92, -v63 :: v_dual_mul_f32 v55, v189, v101
	v_dual_mul_f32 v11, v191, v103 :: v_dual_add_f32 v9, v9, v57
	v_dual_fmac_f32 v15, v181, v92 :: v_dual_fma_f32 v57, v182, v94, -v65
	v_add_f32_e32 v5, v5, v13
	v_dual_mul_f32 v19, v184, v97 :: v_dual_mul_f32 v21, v186, v99
	s_delay_alu instid0(VALU_DEP_4) | instskip(NEXT) | instid1(VALU_DEP_3)
	v_dual_add_f32 v9, v9, v59 :: v_dual_fma_f32 v55, v188, v100, -v55
	v_dual_add_f32 v5, v5, v15 :: v_dual_fma_f32 v59, v184, v96, -v67
	v_dual_mul_f32 v23, v188, v101 :: v_dual_mul_f32 v25, v190, v103
	s_delay_alu instid0(VALU_DEP_3) | instskip(SKIP_2) | instid1(VALU_DEP_3)
	v_dual_add_f32 v9, v9, v57 :: v_dual_fma_f32 v11, v190, v102, -v11
	s_wait_loadcnt_dscnt 0xc06
	v_dual_mul_f32 v27, v192, v105 :: v_dual_mul_f32 v29, v194, v107
	v_dual_fmac_f32 v19, v185, v96 :: v_dual_fmac_f32 v25, v191, v102
	v_dual_fma_f32 v57, v186, v98, -v69 :: v_dual_add_f32 v5, v5, v17
	s_delay_alu instid0(VALU_DEP_3)
	v_dual_add_f32 v9, v9, v59 :: v_dual_fmac_f32 v29, v195, v106
	s_wait_loadcnt_dscnt 0xb05
	v_dual_mul_f32 v31, v196, v109 :: v_dual_mul_f32 v33, v198, v111
	v_dual_mul_f32 v13, v193, v105 :: v_dual_fmac_f32 v21, v187, v98
	v_mul_f32_e32 v17, v197, v109
	v_add_f32_e32 v5, v5, v19
	v_dual_add_f32 v9, v9, v57 :: v_dual_mul_f32 v15, v195, v107
	s_delay_alu instid0(VALU_DEP_4) | instskip(NEXT) | instid1(VALU_DEP_3)
	v_fma_f32 v13, v192, v104, -v13
	v_dual_fmac_f32 v33, v199, v110 :: v_dual_add_f32 v5, v5, v21
	s_wait_loadcnt_dscnt 0xa04
	v_mul_f32_e32 v21, v201, v113
	s_wait_loadcnt_dscnt 0x903
	v_dual_add_f32 v9, v9, v55 :: v_dual_mul_f32 v39, v204, v117
	v_dual_mul_f32 v41, v206, v119 :: v_dual_fmac_f32 v23, v189, v100
	s_delay_alu instid0(VALU_DEP_2) | instskip(SKIP_3) | instid1(VALU_DEP_3)
	v_dual_fma_f32 v21, v200, v112, -v21 :: v_dual_add_f32 v9, v9, v11
	s_wait_loadcnt_dscnt 0x802
	v_dual_fma_f32 v15, v194, v106, -v15 :: v_dual_mul_f32 v43, v208, v121
	v_mul_f32_e32 v45, v210, v123
	v_dual_mul_f32 v19, v199, v111 :: v_dual_add_f32 v9, v9, v13
	v_dual_fmac_f32 v41, v207, v118 :: v_dual_mul_f32 v13, v207, v119
	s_delay_alu instid0(VALU_DEP_2) | instskip(SKIP_1) | instid1(VALU_DEP_4)
	v_dual_add_f32 v5, v5, v23 :: v_dual_fma_f32 v19, v198, v110, -v19
	v_dual_mul_f32 v23, v203, v115 :: v_dual_fma_f32 v17, v196, v108, -v17
	v_add_f32_e32 v9, v9, v15
	v_dual_mul_f32 v15, v209, v121 :: v_dual_fmac_f32 v43, v209, v120
	v_dual_fmac_f32 v27, v193, v104 :: v_dual_mul_f32 v35, v200, v113
	s_delay_alu instid0(VALU_DEP_2) | instskip(NEXT) | instid1(VALU_DEP_4)
	v_dual_mul_f32 v37, v202, v115 :: v_dual_fma_f32 v15, v208, v120, -v15
	v_dual_add_f32 v9, v9, v17 :: v_dual_mul_f32 v17, v211, v123
	s_wait_loadcnt_dscnt 0x701
	v_dual_mul_f32 v47, v212, v125 :: v_dual_mul_f32 v49, v214, v127
	s_delay_alu instid0(VALU_DEP_3) | instskip(NEXT) | instid1(VALU_DEP_3)
	v_dual_add_f32 v5, v5, v25 :: v_dual_fmac_f32 v37, v203, v114
	v_dual_fma_f32 v17, v210, v122, -v17 :: v_dual_add_f32 v9, v9, v19
	s_delay_alu instid0(VALU_DEP_3)
	v_dual_fmac_f32 v49, v215, v126 :: v_dual_mul_f32 v11, v205, v117
	v_fma_f32 v23, v202, v114, -v23
	v_dual_fmac_f32 v31, v197, v108 :: v_dual_fma_f32 v13, v206, v118, -v13
	s_wait_loadcnt 0x4
	v_dual_add_f32 v9, v9, v21 :: v_dual_mov_b32 v86, v139
	v_mul_f32_e32 v21, v215, v127
	v_dual_add_f32 v5, v5, v27 :: v_dual_fma_f32 v11, v204, v116, -v11
	s_delay_alu instid0(VALU_DEP_3) | instskip(SKIP_2) | instid1(VALU_DEP_4)
	v_add_f32_e32 v9, v9, v23
	v_fmac_f32_e32 v35, v201, v112
	v_dual_mul_f32 v19, v213, v125 :: v_dual_fmac_f32 v47, v213, v124
	v_add_f32_e32 v5, v5, v29
	s_delay_alu instid0(VALU_DEP_4)
	v_add_f32_e32 v9, v9, v11
	s_wait_dscnt 0x0
	v_mul_f32_e32 v11, v219, v131
	v_dual_fmac_f32 v45, v211, v122 :: v_dual_mul_f32 v51, v216, v129
	v_mul_f32_e32 v53, v218, v131
	v_add_f32_e32 v5, v5, v31
	v_dual_add_f32 v9, v9, v13 :: v_dual_fma_f32 v19, v212, v124, -v19
	s_wait_loadcnt 0x3
	v_pk_mul_f32 v[88:89], v[156:157], v[140:141] op_sel:[1,1] op_sel_hi:[0,1]
	v_dual_fmac_f32 v39, v205, v116 :: v_dual_fmac_f32 v53, v219, v130
	v_add_f32_e32 v5, v5, v33
	v_add_f32_e32 v9, v9, v15
	v_dual_mul_f32 v15, v171, v135 :: v_dual_mul_f32 v23, v217, v129
	v_fmac_f32_e32 v51, v217, v128
	s_delay_alu instid0(VALU_DEP_4) | instskip(SKIP_3) | instid1(VALU_DEP_3)
	v_add_f32_e32 v5, v5, v35
	v_pk_fma_f32 v[98:99], v[156:157], v[140:141], v[88:89] op_sel_hi:[1,0,1]
	v_dual_add_f32 v9, v9, v17 :: v_dual_fma_f32 v17, v214, v126, -v21
	v_pk_fma_f32 v[88:89], v[156:157], v[140:141], v[88:89] neg_lo:[0,0,1] neg_hi:[0,0,1]
	v_dual_add_f32 v5, v5, v37 :: v_dual_mov_b32 v89, v99
	s_delay_alu instid0(VALU_DEP_3) | instskip(SKIP_1) | instid1(VALU_DEP_3)
	v_dual_add_f32 v9, v9, v19 :: v_dual_fma_f32 v19, v216, v128, -v23
	v_dual_mul_f32 v231, v168, v133 :: v_dual_mul_f32 v233, v170, v135
	v_dual_add_f32 v5, v5, v39 :: v_dual_mov_b32 v90, v143
	v_pk_mul_f32 v[84:85], v[152:153], v[136:137] op_sel:[1,1] op_sel_hi:[0,1]
	v_pk_mul_f32 v[86:87], v[222:223], v[86:87] op_sel_hi:[1,0]
	s_delay_alu instid0(VALU_DEP_3) | instskip(NEXT) | instid1(VALU_DEP_4)
	v_dual_fmac_f32 v233, v171, v134 :: v_dual_add_f32 v5, v5, v41
	v_pk_mul_f32 v[90:91], v[224:225], v[90:91] op_sel_hi:[1,0]
	s_delay_alu instid0(VALU_DEP_4)
	v_pk_fma_f32 v[94:95], v[152:153], v[136:137], v[84:85] op_sel_hi:[1,0,1]
	v_pk_fma_f32 v[84:85], v[152:153], v[136:137], v[84:85] neg_lo:[0,0,1] neg_hi:[0,0,1]
	v_add_f32_e32 v9, v9, v17
	v_add_f32_e32 v5, v5, v43
	v_dual_mul_f32 v13, v169, v133 :: v_dual_fmac_f32 v231, v169, v132
	v_mov_b32_e32 v85, v95
	v_pk_fma_f32 v[94:95], v[154:155], v[138:139], v[86:87] op_sel_hi:[1,0,1]
	s_delay_alu instid0(VALU_DEP_4) | instskip(SKIP_2) | instid1(VALU_DEP_4)
	v_add_f32_e32 v5, v5, v45
	v_pk_fma_f32 v[86:87], v[154:155], v[138:139], v[86:87] neg_lo:[0,0,1] neg_hi:[0,0,1]
	v_dual_fma_f32 v11, v218, v130, -v11 :: v_dual_add_f32 v9, v9, v19
	v_mov_b32_e32 v87, v95
	v_pk_fma_f32 v[94:95], v[158:159], v[142:143], v[90:91] op_sel_hi:[1,0,1]
	v_add_f32_e32 v5, v5, v47
	v_pk_fma_f32 v[90:91], v[158:159], v[142:143], v[90:91] neg_lo:[0,0,1] neg_hi:[0,0,1]
	v_dual_fma_f32 v230, v168, v132, -v13 :: v_dual_add_f32 v92, v9, v11
	s_delay_alu instid0(VALU_DEP_3) | instskip(SKIP_3) | instid1(VALU_DEP_3)
	v_dual_mov_b32 v91, v95 :: v_dual_add_f32 v5, v5, v49
	v_fma_f32 v232, v170, v134, -v15
	s_wait_loadcnt 0x2
	v_pk_mul_f32 v[96:97], v[160:161], v[144:145] op_sel:[1,1] op_sel_hi:[0,1]
	v_add_f32_e32 v5, v5, v51
	s_delay_alu instid0(VALU_DEP_2) | instskip(NEXT) | instid1(VALU_DEP_2)
	v_pk_fma_f32 v[94:95], v[160:161], v[144:145], v[96:97] neg_lo:[0,0,1] neg_hi:[0,0,1]
	v_add_f32_e32 v93, v5, v53
	s_delay_alu instid0(VALU_DEP_1) | instskip(NEXT) | instid1(VALU_DEP_1)
	v_pk_add_f32 v[92:93], v[92:93], v[230:231]
	v_pk_add_f32 v[92:93], v[92:93], v[232:233]
	s_delay_alu instid0(VALU_DEP_1) | instskip(SKIP_1) | instid1(VALU_DEP_2)
	v_pk_add_f32 v[84:85], v[92:93], v[84:85]
	v_mov_b32_e32 v92, v147
	v_pk_add_f32 v[84:85], v[84:85], v[86:87]
	v_pk_fma_f32 v[86:87], v[160:161], v[144:145], v[96:97] op_sel_hi:[1,0,1]
	s_delay_alu instid0(VALU_DEP_3) | instskip(NEXT) | instid1(VALU_DEP_3)
	v_pk_mul_f32 v[92:93], v[226:227], v[92:93] op_sel_hi:[1,0]
	v_pk_add_f32 v[84:85], v[84:85], v[88:89]
	s_delay_alu instid0(VALU_DEP_3) | instskip(NEXT) | instid1(VALU_DEP_3)
	v_mov_b32_e32 v95, v87
	v_pk_fma_f32 v[86:87], v[162:163], v[146:147], v[92:93] op_sel_hi:[1,0,1]
	s_wait_loadcnt 0x1
	v_pk_mul_f32 v[88:89], v[164:165], v[148:149] op_sel:[1,1] op_sel_hi:[0,1]
	v_mov_b32_e32 v86, v151
	v_pk_add_f32 v[84:85], v[84:85], v[90:91]
	v_pk_fma_f32 v[92:93], v[162:163], v[146:147], v[92:93] neg_lo:[0,0,1] neg_hi:[0,0,1]
	v_mov_b32_e32 v93, v87
	v_pk_fma_f32 v[90:91], v[164:165], v[148:149], v[88:89] op_sel_hi:[1,0,1]
	v_pk_mul_f32 v[86:87], v[228:229], v[86:87] op_sel_hi:[1,0]
	v_pk_add_f32 v[84:85], v[84:85], v[94:95]
	v_pk_fma_f32 v[88:89], v[164:165], v[148:149], v[88:89] neg_lo:[0,0,1] neg_hi:[0,0,1]
	s_delay_alu instid0(VALU_DEP_4) | instskip(NEXT) | instid1(VALU_DEP_4)
	v_mov_b32_e32 v89, v91
	v_pk_fma_f32 v[90:91], v[166:167], v[150:151], v[86:87] op_sel_hi:[1,0,1]
	s_delay_alu instid0(VALU_DEP_4) | instskip(SKIP_1) | instid1(VALU_DEP_3)
	v_pk_add_f32 v[84:85], v[84:85], v[92:93]
	v_pk_fma_f32 v[86:87], v[166:167], v[150:151], v[86:87] neg_lo:[0,0,1] neg_hi:[0,0,1]
	v_mov_b32_e32 v87, v91
	s_delay_alu instid0(VALU_DEP_3) | instskip(NEXT) | instid1(VALU_DEP_1)
	v_pk_add_f32 v[84:85], v[84:85], v[88:89]
	v_pk_add_f32 v[84:85], v[84:85], v[86:87]
	s_wait_loadcnt 0x0
	s_delay_alu instid0(VALU_DEP_1)
	v_pk_add_f32 v[84:85], v[220:221], v[84:85] neg_lo:[0,1] neg_hi:[0,1]
	scratch_store_b64 off, v[84:85], off offset:48
	s_wait_xcnt 0x0
	v_cmpx_lt_u32_e32 5, v0
	s_cbranch_execz .LBB40_249
; %bb.248:
	scratch_load_b64 v[84:85], off, off offset:40
	v_mov_b64_e32 v[86:87], 0
	scratch_store_b64 off, v[86:87], off offset:40
	s_wait_loadcnt 0x0
	ds_store_b64 v1, v[84:85]
.LBB40_249:
	s_wait_xcnt 0x0
	s_or_b32 exec_lo, exec_lo, s0
	s_wait_storecnt_dscnt 0x0
	s_barrier_signal -1
	s_barrier_wait -1
	s_clause 0x12
	scratch_load_b128 v[84:87], off, off offset:48
	scratch_load_b128 v[88:91], off, off offset:64
	;; [unrolled: 1-line block ×17, first 2 shown]
	scratch_load_b64 v[220:221], off, off offset:320
	scratch_load_b64 v[222:223], off, off offset:40
	v_mov_b32_e32 v5, 0
	ds_load_b128 v[152:155], v5 offset:592
	ds_load_b128 v[156:159], v5 offset:608
	;; [unrolled: 1-line block ×17, first 2 shown]
	ds_load_b64 v[224:225], v5 offset:656
	s_mov_b32 s0, exec_lo
	s_wait_dscnt 0x11
	v_dual_mov_b32 v226, v155 :: v_dual_mov_b32 v227, v154
	s_wait_dscnt 0x10
	v_dual_mov_b32 v228, v159 :: v_dual_mov_b32 v229, v158
	;; [unrolled: 2-line block ×3, first 2 shown]
	v_dual_mov_b32 v231, v162 :: v_dual_mov_b32 v232, v171
	s_wait_loadcnt_dscnt 0x120c
	v_dual_mul_f32 v9, v172, v85 :: v_dual_mul_f32 v59, v173, v85
	v_dual_mul_f32 v61, v175, v87 :: v_dual_mul_f32 v11, v174, v87
	s_wait_loadcnt_dscnt 0x110b
	v_mul_f32_e32 v13, v176, v89
	s_wait_loadcnt_dscnt 0xf09
	v_dual_mul_f32 v71, v185, v97 :: v_dual_fma_f32 v59, v172, v84, -v59
	v_dual_fmac_f32 v9, v173, v84 :: v_dual_mul_f32 v73, v187, v99
	v_dual_mul_f32 v63, v177, v89 :: v_dual_mul_f32 v65, v179, v91
	v_dual_fmac_f32 v11, v175, v86 :: v_dual_fma_f32 v61, v174, v86, -v61
	s_delay_alu instid0(VALU_DEP_3) | instskip(SKIP_4) | instid1(VALU_DEP_3)
	v_dual_add_f32 v9, 0, v9 :: v_dual_add_f32 v59, 0, v59
	v_dual_mul_f32 v15, v178, v91 :: v_dual_mul_f32 v17, v180, v93
	s_wait_loadcnt_dscnt 0xe08
	v_dual_mul_f32 v75, v189, v101 :: v_dual_fma_f32 v63, v176, v88, -v63
	v_fmac_f32_e32 v13, v177, v88
	v_dual_add_f32 v9, v9, v11 :: v_dual_fmac_f32 v15, v179, v90
	v_add_f32_e32 v11, v59, v61
	v_dual_mul_f32 v67, v181, v93 :: v_dual_mul_f32 v69, v183, v95
	v_dual_mul_f32 v59, v191, v103 :: v_dual_fma_f32 v61, v178, v90, -v65
	s_delay_alu instid0(VALU_DEP_3) | instskip(SKIP_3) | instid1(VALU_DEP_3)
	v_dual_add_f32 v9, v9, v13 :: v_dual_add_f32 v11, v11, v63
	v_dual_mul_f32 v19, v182, v95 :: v_dual_mul_f32 v21, v184, v97
	s_wait_loadcnt_dscnt 0xd07
	v_dual_mul_f32 v13, v193, v105 :: v_dual_fma_f32 v63, v180, v92, -v67
	v_dual_fmac_f32 v17, v181, v92 :: v_dual_add_f32 v11, v11, v61
	s_delay_alu instid0(VALU_DEP_3) | instskip(SKIP_1) | instid1(VALU_DEP_2)
	v_dual_add_f32 v9, v9, v15 :: v_dual_fmac_f32 v19, v183, v94
	v_dual_mul_f32 v15, v195, v107 :: v_dual_fma_f32 v61, v182, v94, -v69
	v_dual_add_f32 v11, v11, v63 :: v_dual_add_f32 v9, v9, v17
	v_dual_mul_f32 v23, v186, v99 :: v_dual_mul_f32 v25, v188, v101
	s_wait_loadcnt_dscnt 0xc06
	v_dual_mul_f32 v17, v197, v109 :: v_dual_fma_f32 v63, v184, v96, -v71
	s_delay_alu instid0(VALU_DEP_3) | instskip(NEXT) | instid1(VALU_DEP_3)
	v_dual_fmac_f32 v21, v185, v96 :: v_dual_add_f32 v11, v11, v61
	v_dual_add_f32 v9, v9, v19 :: v_dual_fmac_f32 v23, v187, v98
	v_dual_mul_f32 v19, v199, v111 :: v_dual_fma_f32 v61, v186, v98, -v73
	s_delay_alu instid0(VALU_DEP_2) | instskip(SKIP_3) | instid1(VALU_DEP_3)
	v_dual_add_f32 v11, v11, v63 :: v_dual_add_f32 v9, v9, v21
	v_dual_mul_f32 v27, v190, v103 :: v_dual_mul_f32 v29, v192, v105
	s_wait_loadcnt_dscnt 0xb05
	v_dual_mul_f32 v21, v201, v113 :: v_dual_fma_f32 v63, v188, v100, -v75
	v_dual_fmac_f32 v25, v189, v100 :: v_dual_add_f32 v11, v11, v61
	s_delay_alu instid0(VALU_DEP_3) | instskip(SKIP_1) | instid1(VALU_DEP_2)
	v_dual_add_f32 v9, v9, v23 :: v_dual_fmac_f32 v27, v191, v102
	v_dual_mul_f32 v23, v203, v115 :: v_dual_fma_f32 v59, v190, v102, -v59
	v_dual_add_f32 v11, v11, v63 :: v_dual_add_f32 v9, v9, v25
	v_dual_mul_f32 v31, v194, v107 :: v_dual_mul_f32 v33, v196, v109
	s_wait_loadcnt_dscnt 0xa04
	v_dual_mul_f32 v25, v205, v117 :: v_dual_fma_f32 v13, v192, v104, -v13
	s_delay_alu instid0(VALU_DEP_3) | instskip(NEXT) | instid1(VALU_DEP_3)
	v_dual_fmac_f32 v29, v193, v104 :: v_dual_add_f32 v11, v11, v59
	v_dual_add_f32 v9, v9, v27 :: v_dual_fmac_f32 v31, v195, v106
	v_dual_mul_f32 v27, v207, v119 :: v_dual_fma_f32 v15, v194, v106, -v15
	s_delay_alu instid0(VALU_DEP_3) | instskip(NEXT) | instid1(VALU_DEP_3)
	v_dual_add_f32 v11, v11, v13 :: v_dual_fmac_f32 v33, v197, v108
	v_dual_add_f32 v9, v9, v29 :: v_dual_fma_f32 v17, v196, v108, -v17
	v_dual_mul_f32 v35, v198, v111 :: v_dual_mul_f32 v37, v200, v113
	s_wait_loadcnt_dscnt 0x903
	s_delay_alu instid0(VALU_DEP_3) | instskip(NEXT) | instid1(VALU_DEP_2)
	v_dual_mul_f32 v13, v209, v121 :: v_dual_add_f32 v11, v11, v15
	v_dual_add_f32 v9, v9, v31 :: v_dual_fmac_f32 v35, v199, v110
	v_dual_mul_f32 v15, v211, v123 :: v_dual_fma_f32 v19, v198, v110, -v19
	s_delay_alu instid0(VALU_DEP_3) | instskip(NEXT) | instid1(VALU_DEP_3)
	v_dual_add_f32 v11, v11, v17 :: v_dual_fmac_f32 v37, v201, v112
	v_dual_add_f32 v9, v9, v33 :: v_dual_fma_f32 v21, v200, v112, -v21
	v_dual_mul_f32 v39, v202, v115 :: v_dual_mul_f32 v41, v204, v117
	s_wait_loadcnt_dscnt 0x802
	s_delay_alu instid0(VALU_DEP_3) | instskip(NEXT) | instid1(VALU_DEP_2)
	v_dual_mul_f32 v17, v213, v125 :: v_dual_add_f32 v11, v11, v19
	;; [unrolled: 9-line block ×3, first 2 shown]
	v_dual_add_f32 v9, v9, v39 :: v_dual_fmac_f32 v43, v207, v118
	v_dual_mul_f32 v23, v219, v131 :: v_dual_fma_f32 v27, v206, v118, -v27
	s_delay_alu instid0(VALU_DEP_3) | instskip(NEXT) | instid1(VALU_DEP_3)
	v_dual_add_f32 v11, v11, v25 :: v_dual_fmac_f32 v45, v209, v120
	v_dual_add_f32 v9, v9, v41 :: v_dual_fma_f32 v13, v208, v120, -v13
	v_dual_mul_f32 v47, v210, v123 :: v_dual_mul_f32 v49, v212, v125
	s_wait_loadcnt 0x6
	s_delay_alu instid0(VALU_DEP_3) | instskip(NEXT) | instid1(VALU_DEP_2)
	v_dual_mul_f32 v25, v165, v133 :: v_dual_add_f32 v11, v11, v27
	v_dual_add_f32 v9, v9, v43 :: v_dual_fmac_f32 v47, v211, v122
	v_dual_mul_f32 v27, v167, v135 :: v_dual_fma_f32 v15, v210, v122, -v15
	s_delay_alu instid0(VALU_DEP_3) | instskip(NEXT) | instid1(VALU_DEP_3)
	v_dual_add_f32 v11, v11, v13 :: v_dual_fmac_f32 v49, v213, v124
	v_dual_add_f32 v9, v9, v45 :: v_dual_fma_f32 v17, v212, v124, -v17
	v_dual_mul_f32 v51, v214, v127 :: v_dual_mul_f32 v53, v216, v129
	s_wait_loadcnt 0x5
	s_delay_alu instid0(VALU_DEP_3) | instskip(NEXT) | instid1(VALU_DEP_3)
	v_dual_mul_f32 v13, v153, v137 :: v_dual_add_f32 v11, v11, v15
	v_dual_add_f32 v9, v9, v47 :: v_dual_mov_b32 v84, v139
	s_delay_alu instid0(VALU_DEP_3) | instskip(NEXT) | instid1(VALU_DEP_3)
	v_fmac_f32_e32 v51, v215, v126
	v_dual_fma_f32 v15, v214, v126, -v19 :: v_dual_add_f32 v11, v11, v17
	s_delay_alu instid0(VALU_DEP_3) | instskip(SKIP_1) | instid1(VALU_DEP_3)
	v_dual_add_f32 v9, v9, v49 :: v_dual_mul_f32 v55, v218, v131
	v_dual_mul_f32 v57, v164, v133 :: v_dual_fmac_f32 v53, v217, v128
	v_dual_add_f32 v11, v11, v15 :: v_dual_fma_f32 v17, v216, v128, -v21
	s_wait_loadcnt 0x4
	s_delay_alu instid0(VALU_DEP_3) | instskip(SKIP_3) | instid1(VALU_DEP_4)
	v_dual_add_f32 v9, v9, v51 :: v_dual_mov_b32 v88, v143
	v_fma_f32 v15, v218, v130, -v23
	v_fmac_f32_e32 v55, v219, v130
	v_dual_add_f32 v11, v11, v17 :: v_dual_fmac_f32 v57, v165, v132
	v_dual_add_f32 v9, v9, v53 :: v_dual_mul_f32 v235, v166, v135
	v_mul_f32_e32 v237, v152, v137
	s_delay_alu instid0(VALU_DEP_3) | instskip(NEXT) | instid1(VALU_DEP_3)
	v_dual_fma_f32 v17, v164, v132, -v25 :: v_dual_add_f32 v11, v11, v15
	v_dual_fma_f32 v234, v166, v134, -v27 :: v_dual_add_f32 v9, v9, v55
	s_delay_alu instid0(VALU_DEP_4) | instskip(SKIP_1) | instid1(VALU_DEP_4)
	v_fmac_f32_e32 v235, v167, v134
	v_pk_mul_f32 v[84:85], v[226:227], v[84:85] op_sel_hi:[1,0]
	v_dual_add_f32 v92, v11, v17 :: v_dual_fmac_f32 v237, v153, v136
	s_delay_alu instid0(VALU_DEP_4)
	v_add_f32_e32 v93, v9, v57
	v_pk_mul_f32 v[86:87], v[156:157], v[140:141] op_sel:[1,1] op_sel_hi:[0,1]
	s_wait_loadcnt 0x3
	v_dual_mov_b32 v94, v147 :: v_dual_fma_f32 v236, v152, v136, -v13
	v_pk_fma_f32 v[96:97], v[154:155], v[138:139], v[84:85] op_sel_hi:[1,0,1]
	v_pk_add_f32 v[92:93], v[92:93], v[234:235]
	v_pk_fma_f32 v[84:85], v[154:155], v[138:139], v[84:85] neg_lo:[0,0,1] neg_hi:[0,0,1]
	v_pk_fma_f32 v[98:99], v[156:157], v[140:141], v[86:87] op_sel_hi:[1,0,1]
	v_pk_mul_f32 v[88:89], v[228:229], v[88:89] op_sel_hi:[1,0]
	v_mov_b32_e32 v85, v97
	v_pk_add_f32 v[92:93], v[92:93], v[236:237]
	v_pk_fma_f32 v[86:87], v[156:157], v[140:141], v[86:87] neg_lo:[0,0,1] neg_hi:[0,0,1]
	v_pk_mul_f32 v[90:91], v[160:161], v[144:145] op_sel:[1,1] op_sel_hi:[0,1]
	v_mov_b32_e32 v87, v99
	v_pk_fma_f32 v[98:99], v[158:159], v[142:143], v[88:89] op_sel_hi:[1,0,1]
	v_pk_add_f32 v[84:85], v[92:93], v[84:85]
	v_pk_fma_f32 v[88:89], v[158:159], v[142:143], v[88:89] neg_lo:[0,0,1] neg_hi:[0,0,1]
	v_pk_fma_f32 v[92:93], v[160:161], v[144:145], v[90:91] op_sel_hi:[1,0,1]
	v_pk_mul_f32 v[94:95], v[230:231], v[94:95] op_sel_hi:[1,0]
	v_mov_b32_e32 v89, v99
	v_pk_add_f32 v[84:85], v[84:85], v[86:87]
	v_pk_fma_f32 v[90:91], v[160:161], v[144:145], v[90:91] neg_lo:[0,0,1] neg_hi:[0,0,1]
	s_wait_loadcnt 0x2
	v_pk_mul_f32 v[96:97], v[168:169], v[148:149] op_sel:[1,1] op_sel_hi:[0,1]
	v_dual_mov_b32 v86, v151 :: v_dual_mov_b32 v91, v93
	v_pk_fma_f32 v[92:93], v[162:163], v[146:147], v[94:95] op_sel_hi:[1,0,1]
	v_pk_add_f32 v[84:85], v[84:85], v[88:89]
	v_pk_fma_f32 v[94:95], v[162:163], v[146:147], v[94:95] neg_lo:[0,0,1] neg_hi:[0,0,1]
	v_pk_fma_f32 v[88:89], v[168:169], v[148:149], v[96:97] op_sel_hi:[1,0,1]
	v_pk_mul_f32 v[86:87], v[232:233], v[86:87] op_sel_hi:[1,0]
	v_mov_b32_e32 v95, v93
	v_pk_add_f32 v[84:85], v[84:85], v[90:91]
	v_pk_fma_f32 v[90:91], v[168:169], v[148:149], v[96:97] neg_lo:[0,0,1] neg_hi:[0,0,1]
	v_mov_b32_e32 v91, v89
	v_pk_fma_f32 v[88:89], v[170:171], v[150:151], v[86:87] op_sel_hi:[1,0,1]
	s_wait_loadcnt_dscnt 0x100
	v_pk_mul_f32 v[92:93], v[224:225], v[220:221] op_sel:[1,1] op_sel_hi:[0,1]
	v_pk_add_f32 v[84:85], v[84:85], v[94:95]
	v_pk_fma_f32 v[86:87], v[170:171], v[150:151], v[86:87] neg_lo:[0,0,1] neg_hi:[0,0,1]
	v_mov_b32_e32 v87, v89
	s_delay_alu instid0(VALU_DEP_4) | instskip(NEXT) | instid1(VALU_DEP_4)
	v_pk_fma_f32 v[88:89], v[224:225], v[220:221], v[92:93] op_sel_hi:[1,0,1]
	v_pk_add_f32 v[84:85], v[84:85], v[90:91]
	v_pk_fma_f32 v[90:91], v[224:225], v[220:221], v[92:93] neg_lo:[0,0,1] neg_hi:[0,0,1]
	s_delay_alu instid0(VALU_DEP_3) | instskip(NEXT) | instid1(VALU_DEP_3)
	v_mov_b32_e32 v91, v89
	v_pk_add_f32 v[84:85], v[84:85], v[86:87]
	s_delay_alu instid0(VALU_DEP_1) | instskip(SKIP_1) | instid1(VALU_DEP_1)
	v_pk_add_f32 v[84:85], v[84:85], v[90:91]
	s_wait_loadcnt 0x0
	v_pk_add_f32 v[84:85], v[222:223], v[84:85] neg_lo:[0,1] neg_hi:[0,1]
	scratch_store_b64 off, v[84:85], off offset:40
	s_wait_xcnt 0x0
	v_cmpx_lt_u32_e32 4, v0
	s_cbranch_execz .LBB40_251
; %bb.250:
	scratch_load_b64 v[84:85], off, off offset:32
	v_mov_b64_e32 v[86:87], 0
	scratch_store_b64 off, v[86:87], off offset:32
	s_wait_loadcnt 0x0
	ds_store_b64 v1, v[84:85]
.LBB40_251:
	s_wait_xcnt 0x0
	s_or_b32 exec_lo, exec_lo, s0
	s_wait_storecnt_dscnt 0x0
	s_barrier_signal -1
	s_barrier_wait -1
	s_clause 0x12
	scratch_load_b128 v[84:87], off, off offset:40
	scratch_load_b128 v[88:91], off, off offset:56
	;; [unrolled: 1-line block ×18, first 2 shown]
	scratch_load_b64 v[228:229], off, off offset:32
	ds_load_2addr_b64 v[156:159], v5 offset0:75 offset1:76
	ds_load_2addr_b64 v[160:163], v5 offset0:77 offset1:78
	;; [unrolled: 1-line block ×18, first 2 shown]
	s_mov_b32 s0, exec_lo
	s_wait_dscnt 0x11
	v_dual_mov_b32 v230, v159 :: v_dual_mov_b32 v231, v158
	s_wait_dscnt 0x10
	v_dual_mov_b32 v232, v163 :: v_dual_mov_b32 v233, v162
	;; [unrolled: 2-line block ×4, first 2 shown]
	s_wait_loadcnt_dscnt 0x120d
	v_dual_mul_f32 v5, v172, v85 :: v_dual_mul_f32 v9, v174, v87
	v_dual_mul_f32 v59, v173, v85 :: v_dual_mul_f32 v61, v175, v87
	s_wait_loadcnt_dscnt 0x110c
	v_dual_mul_f32 v11, v176, v89 :: v_dual_mul_f32 v13, v178, v91
	s_delay_alu instid0(VALU_DEP_2) | instskip(SKIP_3) | instid1(VALU_DEP_3)
	v_dual_fmac_f32 v5, v173, v84 :: v_dual_fma_f32 v59, v172, v84, -v59
	v_dual_mul_f32 v63, v177, v89 :: v_dual_mul_f32 v65, v179, v91
	s_wait_loadcnt_dscnt 0xf0a
	v_dual_mul_f32 v71, v185, v97 :: v_dual_fmac_f32 v9, v175, v86
	v_dual_fma_f32 v61, v174, v86, -v61 :: v_dual_add_f32 v5, 0, v5
	v_dual_add_f32 v59, 0, v59 :: v_dual_fmac_f32 v11, v177, v88
	v_dual_mul_f32 v73, v187, v99 :: v_dual_fma_f32 v63, v176, v88, -v63
	s_delay_alu instid0(VALU_DEP_3) | instskip(NEXT) | instid1(VALU_DEP_3)
	v_dual_add_f32 v5, v5, v9 :: v_dual_fmac_f32 v13, v179, v90
	v_dual_add_f32 v9, v59, v61 :: v_dual_fma_f32 v61, v178, v90, -v65
	v_dual_mul_f32 v15, v180, v93 :: v_dual_mul_f32 v17, v182, v95
	v_dual_mul_f32 v67, v181, v93 :: v_dual_mul_f32 v69, v183, v95
	s_delay_alu instid0(VALU_DEP_3) | instskip(NEXT) | instid1(VALU_DEP_3)
	v_add_f32_e32 v9, v9, v63
	v_dual_add_f32 v5, v5, v11 :: v_dual_fmac_f32 v17, v183, v94
	s_wait_loadcnt_dscnt 0xe09
	s_delay_alu instid0(VALU_DEP_3) | instskip(NEXT) | instid1(VALU_DEP_3)
	v_dual_fma_f32 v63, v180, v92, -v67 :: v_dual_mul_f32 v59, v189, v101
	v_dual_mul_f32 v11, v191, v103 :: v_dual_add_f32 v9, v9, v61
	v_dual_fmac_f32 v15, v181, v92 :: v_dual_fma_f32 v61, v182, v94, -v69
	v_add_f32_e32 v5, v5, v13
	v_dual_mul_f32 v19, v184, v97 :: v_dual_mul_f32 v21, v186, v99
	s_delay_alu instid0(VALU_DEP_4) | instskip(NEXT) | instid1(VALU_DEP_3)
	v_dual_add_f32 v9, v9, v63 :: v_dual_fma_f32 v59, v188, v100, -v59
	v_dual_add_f32 v5, v5, v15 :: v_dual_fma_f32 v63, v184, v96, -v71
	v_dual_mul_f32 v23, v188, v101 :: v_dual_mul_f32 v25, v190, v103
	s_delay_alu instid0(VALU_DEP_3) | instskip(SKIP_2) | instid1(VALU_DEP_3)
	v_dual_add_f32 v9, v9, v61 :: v_dual_fma_f32 v11, v190, v102, -v11
	s_wait_loadcnt_dscnt 0xd08
	v_dual_mul_f32 v27, v192, v105 :: v_dual_mul_f32 v29, v194, v107
	v_dual_fmac_f32 v19, v185, v96 :: v_dual_fmac_f32 v25, v191, v102
	v_dual_fma_f32 v61, v186, v98, -v73 :: v_dual_add_f32 v5, v5, v17
	s_delay_alu instid0(VALU_DEP_3)
	v_dual_add_f32 v9, v9, v63 :: v_dual_fmac_f32 v29, v195, v106
	s_wait_loadcnt_dscnt 0xc07
	v_dual_mul_f32 v31, v196, v109 :: v_dual_mul_f32 v33, v198, v111
	v_dual_mul_f32 v13, v193, v105 :: v_dual_fmac_f32 v21, v187, v98
	v_mul_f32_e32 v17, v197, v109
	v_add_f32_e32 v5, v5, v19
	v_dual_add_f32 v9, v9, v61 :: v_dual_mul_f32 v15, v195, v107
	s_delay_alu instid0(VALU_DEP_4) | instskip(NEXT) | instid1(VALU_DEP_3)
	v_fma_f32 v13, v192, v104, -v13
	v_dual_fmac_f32 v33, v199, v110 :: v_dual_add_f32 v5, v5, v21
	s_wait_loadcnt_dscnt 0xb06
	v_mul_f32_e32 v21, v201, v113
	s_wait_loadcnt_dscnt 0xa05
	v_dual_add_f32 v9, v9, v59 :: v_dual_mul_f32 v39, v204, v117
	v_dual_mul_f32 v41, v206, v119 :: v_dual_fmac_f32 v23, v189, v100
	s_delay_alu instid0(VALU_DEP_2) | instskip(SKIP_3) | instid1(VALU_DEP_3)
	v_dual_fma_f32 v21, v200, v112, -v21 :: v_dual_add_f32 v9, v9, v11
	s_wait_loadcnt_dscnt 0x904
	v_dual_fma_f32 v15, v194, v106, -v15 :: v_dual_mul_f32 v43, v208, v121
	v_mul_f32_e32 v45, v210, v123
	v_dual_mul_f32 v19, v199, v111 :: v_dual_add_f32 v9, v9, v13
	v_dual_fmac_f32 v41, v207, v118 :: v_dual_mul_f32 v13, v207, v119
	s_delay_alu instid0(VALU_DEP_2) | instskip(SKIP_1) | instid1(VALU_DEP_4)
	v_dual_add_f32 v5, v5, v23 :: v_dual_fma_f32 v19, v198, v110, -v19
	v_dual_mul_f32 v23, v203, v115 :: v_dual_fma_f32 v17, v196, v108, -v17
	v_add_f32_e32 v9, v9, v15
	v_dual_mul_f32 v15, v209, v121 :: v_dual_fmac_f32 v43, v209, v120
	v_dual_fmac_f32 v27, v193, v104 :: v_dual_mul_f32 v35, v200, v113
	s_delay_alu instid0(VALU_DEP_2) | instskip(NEXT) | instid1(VALU_DEP_4)
	v_dual_mul_f32 v37, v202, v115 :: v_dual_fma_f32 v15, v208, v120, -v15
	v_dual_add_f32 v9, v9, v17 :: v_dual_mul_f32 v17, v211, v123
	s_wait_loadcnt_dscnt 0x803
	v_dual_mul_f32 v47, v212, v125 :: v_dual_mul_f32 v49, v214, v127
	s_delay_alu instid0(VALU_DEP_3) | instskip(NEXT) | instid1(VALU_DEP_3)
	v_dual_add_f32 v5, v5, v25 :: v_dual_fmac_f32 v37, v203, v114
	v_dual_fma_f32 v17, v210, v122, -v17 :: v_dual_add_f32 v9, v9, v19
	s_delay_alu instid0(VALU_DEP_3) | instskip(SKIP_2) | instid1(VALU_DEP_4)
	v_dual_fmac_f32 v49, v215, v126 :: v_dual_mul_f32 v11, v205, v117
	v_fma_f32 v23, v202, v114, -v23
	v_dual_fmac_f32 v31, v197, v108 :: v_dual_fma_f32 v13, v206, v118, -v13
	v_dual_add_f32 v9, v9, v21 :: v_dual_mul_f32 v21, v215, v127
	s_delay_alu instid0(VALU_DEP_4) | instskip(SKIP_1) | instid1(VALU_DEP_3)
	v_dual_add_f32 v5, v5, v27 :: v_dual_fma_f32 v11, v204, v116, -v11
	v_fmac_f32_e32 v35, v201, v112
	v_add_f32_e32 v9, v9, v23
	v_dual_mul_f32 v19, v213, v125 :: v_dual_fmac_f32 v47, v213, v124
	s_delay_alu instid0(VALU_DEP_4) | instskip(NEXT) | instid1(VALU_DEP_3)
	v_dual_add_f32 v5, v5, v29 :: v_dual_fmac_f32 v45, v211, v122
	v_add_f32_e32 v9, v9, v11
	s_wait_loadcnt_dscnt 0x702
	v_dual_mul_f32 v11, v219, v131 :: v_dual_mul_f32 v51, v216, v129
	v_mul_f32_e32 v53, v218, v131
	v_add_f32_e32 v5, v5, v31
	v_dual_add_f32 v9, v9, v13 :: v_dual_fma_f32 v19, v212, v124, -v19
	s_delay_alu instid0(VALU_DEP_3) | instskip(NEXT) | instid1(VALU_DEP_3)
	v_dual_fmac_f32 v39, v205, v116 :: v_dual_fmac_f32 v53, v219, v130
	v_add_f32_e32 v5, v5, v33
	s_delay_alu instid0(VALU_DEP_3)
	v_add_f32_e32 v9, v9, v15
	s_wait_loadcnt_dscnt 0x601
	v_dual_mul_f32 v15, v223, v135 :: v_dual_mul_f32 v23, v217, v129
	v_fmac_f32_e32 v51, v217, v128
	v_dual_add_f32 v5, v5, v35 :: v_dual_fma_f32 v21, v214, v126, -v21
	v_dual_mul_f32 v55, v220, v133 :: v_dual_mul_f32 v57, v222, v135
	s_delay_alu instid0(VALU_DEP_2)
	v_dual_fma_f32 v23, v216, v128, -v23 :: v_dual_add_f32 v5, v5, v37
	s_wait_loadcnt 0x4
	v_mov_b32_e32 v86, v143
	v_pk_mul_f32 v[84:85], v[156:157], v[140:141] op_sel:[1,1] op_sel_hi:[0,1]
	s_wait_dscnt 0x0
	v_dual_fmac_f32 v57, v223, v134 :: v_dual_mul_f32 v239, v224, v137
	v_mul_f32_e32 v241, v226, v139
	v_add_f32_e32 v5, v5, v39
	s_wait_loadcnt 0x3
	v_dual_add_f32 v9, v9, v17 :: v_dual_mov_b32 v90, v147
	v_pk_fma_f32 v[94:95], v[156:157], v[140:141], v[84:85] op_sel_hi:[1,0,1]
	v_pk_mul_f32 v[86:87], v[230:231], v[86:87] op_sel_hi:[1,0]
	v_add_f32_e32 v5, v5, v41
	v_pk_fma_f32 v[84:85], v[156:157], v[140:141], v[84:85] neg_lo:[0,0,1] neg_hi:[0,0,1]
	v_pk_mul_f32 v[88:89], v[160:161], v[144:145] op_sel:[1,1] op_sel_hi:[0,1]
	v_fmac_f32_e32 v241, v227, v138
	s_delay_alu instid0(VALU_DEP_4)
	v_dual_mov_b32 v85, v95 :: v_dual_add_f32 v5, v5, v43
	v_pk_fma_f32 v[94:95], v[158:159], v[142:143], v[86:87] op_sel_hi:[1,0,1]
	v_add_f32_e32 v9, v9, v19
	v_pk_fma_f32 v[86:87], v[158:159], v[142:143], v[86:87] neg_lo:[0,0,1] neg_hi:[0,0,1]
	v_pk_fma_f32 v[98:99], v[160:161], v[144:145], v[88:89] op_sel_hi:[1,0,1]
	v_add_f32_e32 v5, v5, v45
	v_pk_mul_f32 v[90:91], v[232:233], v[90:91] op_sel_hi:[1,0]
	v_dual_mov_b32 v87, v95 :: v_dual_add_f32 v9, v9, v21
	v_pk_fma_f32 v[88:89], v[160:161], v[144:145], v[88:89] neg_lo:[0,0,1] neg_hi:[0,0,1]
	s_delay_alu instid0(VALU_DEP_4) | instskip(SKIP_2) | instid1(VALU_DEP_3)
	v_add_f32_e32 v5, v5, v47
	v_dual_mul_f32 v13, v221, v133 :: v_dual_fmac_f32 v55, v221, v132
	v_dual_fma_f32 v11, v218, v130, -v11 :: v_dual_mov_b32 v89, v99
	v_add_f32_e32 v5, v5, v49
	v_add_f32_e32 v9, v9, v23
	v_pk_fma_f32 v[94:95], v[162:163], v[146:147], v[90:91] op_sel_hi:[1,0,1]
	v_pk_fma_f32 v[90:91], v[162:163], v[146:147], v[90:91] neg_lo:[0,0,1] neg_hi:[0,0,1]
	s_delay_alu instid0(VALU_DEP_4) | instskip(NEXT) | instid1(VALU_DEP_3)
	v_dual_fma_f32 v13, v220, v132, -v13 :: v_dual_add_f32 v5, v5, v51
	v_dual_add_f32 v9, v9, v11 :: v_dual_mov_b32 v91, v95
	v_dual_mul_f32 v17, v225, v137 :: v_dual_fmac_f32 v239, v225, v136
	s_delay_alu instid0(VALU_DEP_3) | instskip(NEXT) | instid1(VALU_DEP_3)
	v_dual_add_f32 v5, v5, v53 :: v_dual_fma_f32 v11, v222, v134, -v15
	v_dual_add_f32 v9, v9, v13 :: v_dual_mul_f32 v19, v227, v139
	s_delay_alu instid0(VALU_DEP_2) | instskip(SKIP_2) | instid1(VALU_DEP_3)
	v_dual_fma_f32 v238, v224, v136, -v17 :: v_dual_add_f32 v5, v5, v55
	s_wait_loadcnt 0x2
	v_pk_mul_f32 v[96:97], v[164:165], v[148:149] op_sel:[1,1] op_sel_hi:[0,1]
	v_dual_add_f32 v92, v9, v11 :: v_dual_fma_f32 v240, v226, v138, -v19
	s_delay_alu instid0(VALU_DEP_3) | instskip(NEXT) | instid1(VALU_DEP_3)
	v_add_f32_e32 v93, v5, v57
	v_pk_fma_f32 v[94:95], v[164:165], v[148:149], v[96:97] neg_lo:[0,0,1] neg_hi:[0,0,1]
	s_delay_alu instid0(VALU_DEP_2) | instskip(NEXT) | instid1(VALU_DEP_1)
	v_pk_add_f32 v[92:93], v[92:93], v[238:239]
	v_pk_add_f32 v[92:93], v[92:93], v[240:241]
	s_delay_alu instid0(VALU_DEP_1) | instskip(SKIP_1) | instid1(VALU_DEP_2)
	v_pk_add_f32 v[84:85], v[92:93], v[84:85]
	v_mov_b32_e32 v92, v151
	v_pk_add_f32 v[84:85], v[84:85], v[86:87]
	v_pk_fma_f32 v[86:87], v[164:165], v[148:149], v[96:97] op_sel_hi:[1,0,1]
	s_delay_alu instid0(VALU_DEP_3) | instskip(NEXT) | instid1(VALU_DEP_3)
	v_pk_mul_f32 v[92:93], v[234:235], v[92:93] op_sel_hi:[1,0]
	v_pk_add_f32 v[84:85], v[84:85], v[88:89]
	s_delay_alu instid0(VALU_DEP_3) | instskip(NEXT) | instid1(VALU_DEP_3)
	v_mov_b32_e32 v95, v87
	v_pk_fma_f32 v[86:87], v[166:167], v[150:151], v[92:93] op_sel_hi:[1,0,1]
	s_wait_loadcnt 0x1
	v_pk_mul_f32 v[88:89], v[168:169], v[152:153] op_sel:[1,1] op_sel_hi:[0,1]
	v_mov_b32_e32 v86, v155
	v_pk_add_f32 v[84:85], v[84:85], v[90:91]
	v_pk_fma_f32 v[92:93], v[166:167], v[150:151], v[92:93] neg_lo:[0,0,1] neg_hi:[0,0,1]
	v_mov_b32_e32 v93, v87
	v_pk_fma_f32 v[90:91], v[168:169], v[152:153], v[88:89] op_sel_hi:[1,0,1]
	v_pk_mul_f32 v[86:87], v[236:237], v[86:87] op_sel_hi:[1,0]
	v_pk_add_f32 v[84:85], v[84:85], v[94:95]
	v_pk_fma_f32 v[88:89], v[168:169], v[152:153], v[88:89] neg_lo:[0,0,1] neg_hi:[0,0,1]
	s_delay_alu instid0(VALU_DEP_4) | instskip(NEXT) | instid1(VALU_DEP_4)
	v_mov_b32_e32 v89, v91
	v_pk_fma_f32 v[90:91], v[170:171], v[154:155], v[86:87] op_sel_hi:[1,0,1]
	s_delay_alu instid0(VALU_DEP_4) | instskip(SKIP_1) | instid1(VALU_DEP_3)
	v_pk_add_f32 v[84:85], v[84:85], v[92:93]
	v_pk_fma_f32 v[86:87], v[170:171], v[154:155], v[86:87] neg_lo:[0,0,1] neg_hi:[0,0,1]
	v_mov_b32_e32 v87, v91
	s_delay_alu instid0(VALU_DEP_3) | instskip(NEXT) | instid1(VALU_DEP_1)
	v_pk_add_f32 v[84:85], v[84:85], v[88:89]
	v_pk_add_f32 v[84:85], v[84:85], v[86:87]
	s_wait_loadcnt 0x0
	s_delay_alu instid0(VALU_DEP_1)
	v_pk_add_f32 v[84:85], v[228:229], v[84:85] neg_lo:[0,1] neg_hi:[0,1]
	scratch_store_b64 off, v[84:85], off offset:32
	s_wait_xcnt 0x0
	v_cmpx_lt_u32_e32 3, v0
	s_cbranch_execz .LBB40_253
; %bb.252:
	scratch_load_b64 v[84:85], off, off offset:24
	v_mov_b64_e32 v[86:87], 0
	scratch_store_b64 off, v[86:87], off offset:24
	s_wait_loadcnt 0x0
	ds_store_b64 v1, v[84:85]
.LBB40_253:
	s_wait_xcnt 0x0
	s_or_b32 exec_lo, exec_lo, s0
	s_wait_storecnt_dscnt 0x0
	s_barrier_signal -1
	s_barrier_wait -1
	s_clause 0x13
	scratch_load_b128 v[84:87], off, off offset:32
	scratch_load_b128 v[88:91], off, off offset:48
	;; [unrolled: 1-line block ×18, first 2 shown]
	scratch_load_b64 v[228:229], off, off offset:320
	scratch_load_b64 v[230:231], off, off offset:24
	v_mov_b32_e32 v5, 0
	ds_load_b128 v[156:159], v5 offset:592
	ds_load_b128 v[160:163], v5 offset:608
	;; [unrolled: 1-line block ×18, first 2 shown]
	ds_load_b64 v[232:233], v5 offset:656
	s_mov_b32 s0, exec_lo
	s_wait_dscnt 0x12
	v_dual_mov_b32 v234, v159 :: v_dual_mov_b32 v235, v158
	s_wait_dscnt 0x11
	v_dual_mov_b32 v236, v163 :: v_dual_mov_b32 v237, v162
	;; [unrolled: 2-line block ×3, first 2 shown]
	v_dual_mov_b32 v239, v166 :: v_dual_mov_b32 v240, v179
	s_wait_loadcnt 0x13
	v_dual_mul_f32 v9, v168, v85 :: v_dual_mul_f32 v63, v169, v85
	v_dual_mul_f32 v65, v171, v87 :: v_dual_mul_f32 v11, v170, v87
	s_wait_loadcnt 0x12
	v_mul_f32_e32 v13, v172, v89
	s_wait_loadcnt_dscnt 0x100b
	v_dual_mul_f32 v75, v185, v97 :: v_dual_fma_f32 v63, v168, v84, -v63
	v_dual_fmac_f32 v9, v169, v84 :: v_dual_mul_f32 v77, v187, v99
	v_dual_mul_f32 v67, v173, v89 :: v_dual_mul_f32 v69, v175, v91
	v_dual_fmac_f32 v11, v171, v86 :: v_dual_fma_f32 v65, v170, v86, -v65
	s_delay_alu instid0(VALU_DEP_3) | instskip(SKIP_4) | instid1(VALU_DEP_3)
	v_dual_add_f32 v9, 0, v9 :: v_dual_add_f32 v63, 0, v63
	v_dual_mul_f32 v15, v174, v91 :: v_dual_mul_f32 v17, v180, v93
	s_wait_loadcnt_dscnt 0xf0a
	v_dual_mul_f32 v79, v189, v101 :: v_dual_fma_f32 v67, v172, v88, -v67
	v_fmac_f32_e32 v13, v173, v88
	v_dual_add_f32 v9, v9, v11 :: v_dual_fmac_f32 v15, v175, v90
	v_add_f32_e32 v11, v63, v65
	v_dual_mul_f32 v71, v181, v93 :: v_dual_mul_f32 v73, v183, v95
	v_dual_mul_f32 v63, v191, v103 :: v_dual_fma_f32 v65, v174, v90, -v69
	s_delay_alu instid0(VALU_DEP_3) | instskip(SKIP_3) | instid1(VALU_DEP_3)
	v_dual_add_f32 v9, v9, v13 :: v_dual_add_f32 v11, v11, v67
	v_dual_mul_f32 v19, v182, v95 :: v_dual_mul_f32 v21, v184, v97
	s_wait_loadcnt_dscnt 0xe09
	v_dual_mul_f32 v13, v193, v105 :: v_dual_fma_f32 v67, v180, v92, -v71
	v_dual_fmac_f32 v17, v181, v92 :: v_dual_add_f32 v11, v11, v65
	s_delay_alu instid0(VALU_DEP_3) | instskip(SKIP_1) | instid1(VALU_DEP_2)
	v_dual_add_f32 v9, v9, v15 :: v_dual_fmac_f32 v19, v183, v94
	v_dual_mul_f32 v15, v195, v107 :: v_dual_fma_f32 v65, v182, v94, -v73
	v_dual_add_f32 v11, v11, v67 :: v_dual_add_f32 v9, v9, v17
	v_dual_mul_f32 v23, v186, v99 :: v_dual_mul_f32 v25, v188, v101
	s_wait_loadcnt_dscnt 0xd08
	v_dual_mul_f32 v17, v197, v109 :: v_dual_fma_f32 v67, v184, v96, -v75
	s_delay_alu instid0(VALU_DEP_3) | instskip(NEXT) | instid1(VALU_DEP_3)
	v_dual_fmac_f32 v21, v185, v96 :: v_dual_add_f32 v11, v11, v65
	v_dual_add_f32 v9, v9, v19 :: v_dual_fmac_f32 v23, v187, v98
	v_dual_mul_f32 v19, v199, v111 :: v_dual_fma_f32 v65, v186, v98, -v77
	s_delay_alu instid0(VALU_DEP_2) | instskip(SKIP_3) | instid1(VALU_DEP_3)
	v_dual_add_f32 v11, v11, v67 :: v_dual_add_f32 v9, v9, v21
	v_dual_mul_f32 v27, v190, v103 :: v_dual_mul_f32 v29, v192, v105
	s_wait_loadcnt_dscnt 0xc07
	v_dual_mul_f32 v21, v201, v113 :: v_dual_fma_f32 v67, v188, v100, -v79
	v_dual_fmac_f32 v25, v189, v100 :: v_dual_add_f32 v11, v11, v65
	s_delay_alu instid0(VALU_DEP_3) | instskip(SKIP_1) | instid1(VALU_DEP_2)
	v_dual_add_f32 v9, v9, v23 :: v_dual_fmac_f32 v27, v191, v102
	v_dual_mul_f32 v23, v203, v115 :: v_dual_fma_f32 v63, v190, v102, -v63
	v_dual_add_f32 v11, v11, v67 :: v_dual_add_f32 v9, v9, v25
	v_dual_mul_f32 v31, v194, v107 :: v_dual_mul_f32 v33, v196, v109
	s_wait_loadcnt_dscnt 0xb06
	v_dual_mul_f32 v25, v205, v117 :: v_dual_fma_f32 v13, v192, v104, -v13
	s_delay_alu instid0(VALU_DEP_3) | instskip(NEXT) | instid1(VALU_DEP_3)
	v_dual_fmac_f32 v29, v193, v104 :: v_dual_add_f32 v11, v11, v63
	v_dual_add_f32 v9, v9, v27 :: v_dual_fmac_f32 v31, v195, v106
	v_dual_mul_f32 v27, v207, v119 :: v_dual_fma_f32 v15, v194, v106, -v15
	s_delay_alu instid0(VALU_DEP_3) | instskip(NEXT) | instid1(VALU_DEP_3)
	v_dual_add_f32 v11, v11, v13 :: v_dual_fmac_f32 v33, v197, v108
	v_dual_add_f32 v9, v9, v29 :: v_dual_fma_f32 v17, v196, v108, -v17
	v_dual_mul_f32 v35, v198, v111 :: v_dual_mul_f32 v37, v200, v113
	s_wait_loadcnt_dscnt 0xa05
	s_delay_alu instid0(VALU_DEP_3) | instskip(NEXT) | instid1(VALU_DEP_2)
	v_dual_mul_f32 v13, v209, v121 :: v_dual_add_f32 v11, v11, v15
	v_dual_add_f32 v9, v9, v31 :: v_dual_fmac_f32 v35, v199, v110
	v_dual_mul_f32 v15, v211, v123 :: v_dual_fma_f32 v19, v198, v110, -v19
	s_delay_alu instid0(VALU_DEP_3) | instskip(NEXT) | instid1(VALU_DEP_3)
	v_dual_add_f32 v11, v11, v17 :: v_dual_fmac_f32 v37, v201, v112
	v_dual_add_f32 v9, v9, v33 :: v_dual_fma_f32 v21, v200, v112, -v21
	v_dual_mul_f32 v39, v202, v115 :: v_dual_mul_f32 v41, v204, v117
	s_wait_loadcnt_dscnt 0x904
	s_delay_alu instid0(VALU_DEP_3) | instskip(NEXT) | instid1(VALU_DEP_2)
	v_dual_mul_f32 v17, v213, v125 :: v_dual_add_f32 v11, v11, v19
	;; [unrolled: 9-line block ×5, first 2 shown]
	v_dual_add_f32 v9, v9, v47 :: v_dual_fmac_f32 v51, v215, v126
	v_dual_mul_f32 v15, v227, v139 :: v_dual_fma_f32 v19, v214, v126, -v19
	s_delay_alu instid0(VALU_DEP_3) | instskip(NEXT) | instid1(VALU_DEP_3)
	v_dual_add_f32 v11, v11, v17 :: v_dual_fmac_f32 v53, v217, v128
	v_dual_add_f32 v9, v9, v49 :: v_dual_fma_f32 v21, v216, v128, -v21
	v_dual_mul_f32 v55, v218, v131 :: v_dual_mul_f32 v57, v220, v133
	s_wait_loadcnt 0x5
	s_delay_alu instid0(VALU_DEP_3) | instskip(NEXT) | instid1(VALU_DEP_3)
	v_dual_mul_f32 v17, v157, v141 :: v_dual_add_f32 v11, v11, v19
	v_dual_add_f32 v9, v9, v51 :: v_dual_mov_b32 v84, v143
	s_delay_alu instid0(VALU_DEP_3) | instskip(NEXT) | instid1(VALU_DEP_3)
	v_fmac_f32_e32 v55, v219, v130
	v_dual_fma_f32 v19, v218, v130, -v23 :: v_dual_add_f32 v11, v11, v21
	s_delay_alu instid0(VALU_DEP_3) | instskip(SKIP_1) | instid1(VALU_DEP_3)
	v_dual_add_f32 v9, v9, v53 :: v_dual_mul_f32 v59, v222, v135
	v_dual_mul_f32 v61, v224, v137 :: v_dual_fmac_f32 v57, v221, v132
	v_dual_add_f32 v11, v11, v19 :: v_dual_fma_f32 v21, v220, v132, -v25
	s_wait_loadcnt 0x4
	s_delay_alu instid0(VALU_DEP_3) | instskip(SKIP_3) | instid1(VALU_DEP_4)
	v_dual_add_f32 v9, v9, v55 :: v_dual_mov_b32 v88, v147
	v_fma_f32 v19, v222, v134, -v27
	v_fmac_f32_e32 v59, v223, v134
	v_dual_add_f32 v11, v11, v21 :: v_dual_fmac_f32 v61, v225, v136
	v_dual_add_f32 v9, v9, v57 :: v_dual_mul_f32 v243, v226, v139
	v_mul_f32_e32 v245, v156, v141
	s_delay_alu instid0(VALU_DEP_3) | instskip(NEXT) | instid1(VALU_DEP_3)
	v_dual_fma_f32 v13, v224, v136, -v13 :: v_dual_add_f32 v11, v11, v19
	v_dual_fma_f32 v242, v226, v138, -v15 :: v_dual_add_f32 v9, v9, v59
	s_delay_alu instid0(VALU_DEP_4) | instskip(SKIP_1) | instid1(VALU_DEP_4)
	v_fmac_f32_e32 v243, v227, v138
	v_pk_mul_f32 v[84:85], v[234:235], v[84:85] op_sel_hi:[1,0]
	v_dual_add_f32 v92, v11, v13 :: v_dual_fmac_f32 v245, v157, v140
	s_delay_alu instid0(VALU_DEP_4)
	v_add_f32_e32 v93, v9, v61
	v_pk_mul_f32 v[86:87], v[160:161], v[144:145] op_sel:[1,1] op_sel_hi:[0,1]
	s_wait_loadcnt 0x3
	v_dual_mov_b32 v94, v151 :: v_dual_fma_f32 v244, v156, v140, -v17
	v_pk_fma_f32 v[96:97], v[158:159], v[142:143], v[84:85] op_sel_hi:[1,0,1]
	v_pk_add_f32 v[92:93], v[92:93], v[242:243]
	v_pk_fma_f32 v[84:85], v[158:159], v[142:143], v[84:85] neg_lo:[0,0,1] neg_hi:[0,0,1]
	v_pk_fma_f32 v[98:99], v[160:161], v[144:145], v[86:87] op_sel_hi:[1,0,1]
	v_pk_mul_f32 v[88:89], v[236:237], v[88:89] op_sel_hi:[1,0]
	v_mov_b32_e32 v85, v97
	v_pk_add_f32 v[92:93], v[92:93], v[244:245]
	v_pk_fma_f32 v[86:87], v[160:161], v[144:145], v[86:87] neg_lo:[0,0,1] neg_hi:[0,0,1]
	v_pk_mul_f32 v[90:91], v[164:165], v[148:149] op_sel:[1,1] op_sel_hi:[0,1]
	v_mov_b32_e32 v87, v99
	v_pk_fma_f32 v[98:99], v[162:163], v[146:147], v[88:89] op_sel_hi:[1,0,1]
	v_pk_add_f32 v[84:85], v[92:93], v[84:85]
	v_pk_fma_f32 v[88:89], v[162:163], v[146:147], v[88:89] neg_lo:[0,0,1] neg_hi:[0,0,1]
	v_pk_fma_f32 v[92:93], v[164:165], v[148:149], v[90:91] op_sel_hi:[1,0,1]
	v_pk_mul_f32 v[94:95], v[238:239], v[94:95] op_sel_hi:[1,0]
	v_mov_b32_e32 v89, v99
	v_pk_add_f32 v[84:85], v[84:85], v[86:87]
	v_pk_fma_f32 v[90:91], v[164:165], v[148:149], v[90:91] neg_lo:[0,0,1] neg_hi:[0,0,1]
	s_wait_loadcnt 0x2
	v_pk_mul_f32 v[96:97], v[176:177], v[152:153] op_sel:[1,1] op_sel_hi:[0,1]
	v_dual_mov_b32 v86, v155 :: v_dual_mov_b32 v91, v93
	v_pk_fma_f32 v[92:93], v[166:167], v[150:151], v[94:95] op_sel_hi:[1,0,1]
	v_pk_add_f32 v[84:85], v[84:85], v[88:89]
	v_pk_fma_f32 v[94:95], v[166:167], v[150:151], v[94:95] neg_lo:[0,0,1] neg_hi:[0,0,1]
	v_pk_fma_f32 v[88:89], v[176:177], v[152:153], v[96:97] op_sel_hi:[1,0,1]
	v_pk_mul_f32 v[86:87], v[240:241], v[86:87] op_sel_hi:[1,0]
	v_mov_b32_e32 v95, v93
	v_pk_add_f32 v[84:85], v[84:85], v[90:91]
	v_pk_fma_f32 v[90:91], v[176:177], v[152:153], v[96:97] neg_lo:[0,0,1] neg_hi:[0,0,1]
	v_mov_b32_e32 v91, v89
	v_pk_fma_f32 v[88:89], v[178:179], v[154:155], v[86:87] op_sel_hi:[1,0,1]
	s_wait_loadcnt_dscnt 0x100
	v_pk_mul_f32 v[92:93], v[232:233], v[228:229] op_sel:[1,1] op_sel_hi:[0,1]
	v_pk_add_f32 v[84:85], v[84:85], v[94:95]
	v_pk_fma_f32 v[86:87], v[178:179], v[154:155], v[86:87] neg_lo:[0,0,1] neg_hi:[0,0,1]
	v_mov_b32_e32 v87, v89
	s_delay_alu instid0(VALU_DEP_4) | instskip(NEXT) | instid1(VALU_DEP_4)
	v_pk_fma_f32 v[88:89], v[232:233], v[228:229], v[92:93] op_sel_hi:[1,0,1]
	v_pk_add_f32 v[84:85], v[84:85], v[90:91]
	v_pk_fma_f32 v[90:91], v[232:233], v[228:229], v[92:93] neg_lo:[0,0,1] neg_hi:[0,0,1]
	s_delay_alu instid0(VALU_DEP_3) | instskip(NEXT) | instid1(VALU_DEP_3)
	v_mov_b32_e32 v91, v89
	v_pk_add_f32 v[84:85], v[84:85], v[86:87]
	s_delay_alu instid0(VALU_DEP_1) | instskip(SKIP_1) | instid1(VALU_DEP_1)
	v_pk_add_f32 v[84:85], v[84:85], v[90:91]
	s_wait_loadcnt 0x0
	v_pk_add_f32 v[84:85], v[230:231], v[84:85] neg_lo:[0,1] neg_hi:[0,1]
	scratch_store_b64 off, v[84:85], off offset:24
	s_wait_xcnt 0x0
	v_cmpx_lt_u32_e32 2, v0
	s_cbranch_execz .LBB40_255
; %bb.254:
	scratch_load_b64 v[84:85], off, off offset:16
	v_mov_b64_e32 v[86:87], 0
	scratch_store_b64 off, v[86:87], off offset:16
	s_wait_loadcnt 0x0
	ds_store_b64 v1, v[84:85]
.LBB40_255:
	s_wait_xcnt 0x0
	s_or_b32 exec_lo, exec_lo, s0
	s_wait_storecnt_dscnt 0x0
	s_barrier_signal -1
	s_barrier_wait -1
	s_clause 0x13
	scratch_load_b128 v[84:87], off, off offset:24
	scratch_load_b128 v[88:91], off, off offset:40
	;; [unrolled: 1-line block ×19, first 2 shown]
	scratch_load_b64 v[236:237], off, off offset:16
	ds_load_2addr_b64 v[160:163], v5 offset0:75 offset1:76
	ds_load_2addr_b64 v[164:167], v5 offset0:77 offset1:78
	;; [unrolled: 1-line block ×19, first 2 shown]
	s_mov_b32 s0, exec_lo
	s_wait_dscnt 0x12
	v_dual_mov_b32 v238, v163 :: v_dual_mov_b32 v239, v162
	s_wait_dscnt 0x11
	v_dual_mov_b32 v240, v167 :: v_dual_mov_b32 v241, v166
	;; [unrolled: 2-line block ×4, first 2 shown]
	s_wait_loadcnt_dscnt 0x130d
	v_dual_mul_f32 v5, v180, v85 :: v_dual_mul_f32 v9, v182, v87
	v_dual_mul_f32 v63, v181, v85 :: v_dual_mul_f32 v65, v183, v87
	s_wait_loadcnt_dscnt 0x120c
	v_dual_mul_f32 v11, v184, v89 :: v_dual_mul_f32 v13, v186, v91
	s_delay_alu instid0(VALU_DEP_2) | instskip(SKIP_3) | instid1(VALU_DEP_3)
	v_dual_fmac_f32 v5, v181, v84 :: v_dual_fma_f32 v63, v180, v84, -v63
	v_dual_mul_f32 v67, v185, v89 :: v_dual_mul_f32 v69, v187, v91
	s_wait_loadcnt_dscnt 0x100a
	v_dual_mul_f32 v75, v193, v97 :: v_dual_fmac_f32 v9, v183, v86
	v_dual_fma_f32 v65, v182, v86, -v65 :: v_dual_add_f32 v5, 0, v5
	v_dual_add_f32 v63, 0, v63 :: v_dual_fmac_f32 v11, v185, v88
	v_dual_mul_f32 v77, v195, v99 :: v_dual_fma_f32 v67, v184, v88, -v67
	s_delay_alu instid0(VALU_DEP_3) | instskip(NEXT) | instid1(VALU_DEP_3)
	v_dual_add_f32 v5, v5, v9 :: v_dual_fmac_f32 v13, v187, v90
	v_dual_add_f32 v9, v63, v65 :: v_dual_fma_f32 v65, v186, v90, -v69
	v_dual_mul_f32 v15, v188, v93 :: v_dual_mul_f32 v17, v190, v95
	v_dual_mul_f32 v71, v189, v93 :: v_dual_mul_f32 v73, v191, v95
	s_delay_alu instid0(VALU_DEP_3) | instskip(NEXT) | instid1(VALU_DEP_3)
	v_add_f32_e32 v9, v9, v67
	v_dual_add_f32 v5, v5, v11 :: v_dual_fmac_f32 v17, v191, v94
	s_wait_loadcnt_dscnt 0xf09
	s_delay_alu instid0(VALU_DEP_3) | instskip(NEXT) | instid1(VALU_DEP_3)
	v_dual_fma_f32 v67, v188, v92, -v71 :: v_dual_mul_f32 v63, v197, v101
	v_dual_mul_f32 v11, v199, v103 :: v_dual_add_f32 v9, v9, v65
	v_dual_fmac_f32 v15, v189, v92 :: v_dual_fma_f32 v65, v190, v94, -v73
	v_add_f32_e32 v5, v5, v13
	v_dual_mul_f32 v19, v192, v97 :: v_dual_mul_f32 v21, v194, v99
	s_delay_alu instid0(VALU_DEP_4) | instskip(NEXT) | instid1(VALU_DEP_3)
	v_dual_add_f32 v9, v9, v67 :: v_dual_fma_f32 v63, v196, v100, -v63
	v_dual_add_f32 v5, v5, v15 :: v_dual_fma_f32 v67, v192, v96, -v75
	v_dual_mul_f32 v23, v196, v101 :: v_dual_mul_f32 v25, v198, v103
	s_delay_alu instid0(VALU_DEP_3) | instskip(SKIP_2) | instid1(VALU_DEP_3)
	v_dual_add_f32 v9, v9, v65 :: v_dual_fma_f32 v11, v198, v102, -v11
	s_wait_loadcnt_dscnt 0xe08
	v_dual_mul_f32 v27, v200, v105 :: v_dual_mul_f32 v29, v202, v107
	v_dual_fmac_f32 v19, v193, v96 :: v_dual_fmac_f32 v25, v199, v102
	v_dual_fma_f32 v65, v194, v98, -v77 :: v_dual_add_f32 v5, v5, v17
	s_delay_alu instid0(VALU_DEP_3)
	v_dual_add_f32 v9, v9, v67 :: v_dual_fmac_f32 v29, v203, v106
	s_wait_loadcnt_dscnt 0xd07
	v_dual_mul_f32 v31, v204, v109 :: v_dual_mul_f32 v33, v206, v111
	v_dual_mul_f32 v13, v201, v105 :: v_dual_fmac_f32 v21, v195, v98
	v_mul_f32_e32 v17, v205, v109
	v_add_f32_e32 v5, v5, v19
	v_dual_add_f32 v9, v9, v65 :: v_dual_mul_f32 v15, v203, v107
	s_delay_alu instid0(VALU_DEP_4) | instskip(NEXT) | instid1(VALU_DEP_3)
	v_fma_f32 v13, v200, v104, -v13
	v_dual_fmac_f32 v33, v207, v110 :: v_dual_add_f32 v5, v5, v21
	s_wait_loadcnt_dscnt 0xc06
	v_mul_f32_e32 v21, v209, v113
	s_wait_loadcnt_dscnt 0xb05
	v_dual_add_f32 v9, v9, v63 :: v_dual_mul_f32 v39, v212, v117
	v_dual_mul_f32 v41, v214, v119 :: v_dual_fmac_f32 v23, v197, v100
	s_delay_alu instid0(VALU_DEP_2) | instskip(SKIP_3) | instid1(VALU_DEP_3)
	v_dual_fma_f32 v21, v208, v112, -v21 :: v_dual_add_f32 v9, v9, v11
	s_wait_loadcnt_dscnt 0xa04
	v_dual_fma_f32 v15, v202, v106, -v15 :: v_dual_mul_f32 v43, v216, v121
	v_mul_f32_e32 v45, v218, v123
	v_dual_mul_f32 v19, v207, v111 :: v_dual_add_f32 v9, v9, v13
	v_dual_fmac_f32 v41, v215, v118 :: v_dual_mul_f32 v13, v215, v119
	s_delay_alu instid0(VALU_DEP_2) | instskip(SKIP_1) | instid1(VALU_DEP_4)
	v_dual_add_f32 v5, v5, v23 :: v_dual_fma_f32 v19, v206, v110, -v19
	v_dual_mul_f32 v23, v211, v115 :: v_dual_fma_f32 v17, v204, v108, -v17
	v_add_f32_e32 v9, v9, v15
	v_dual_mul_f32 v15, v217, v121 :: v_dual_fmac_f32 v43, v217, v120
	v_dual_fmac_f32 v27, v201, v104 :: v_dual_mul_f32 v35, v208, v113
	s_delay_alu instid0(VALU_DEP_2) | instskip(NEXT) | instid1(VALU_DEP_4)
	v_dual_mul_f32 v37, v210, v115 :: v_dual_fma_f32 v15, v216, v120, -v15
	v_dual_add_f32 v9, v9, v17 :: v_dual_mul_f32 v17, v219, v123
	s_wait_loadcnt_dscnt 0x903
	v_dual_mul_f32 v47, v220, v125 :: v_dual_mul_f32 v49, v222, v127
	s_delay_alu instid0(VALU_DEP_3) | instskip(NEXT) | instid1(VALU_DEP_3)
	v_dual_add_f32 v5, v5, v25 :: v_dual_fmac_f32 v37, v211, v114
	v_dual_fma_f32 v17, v218, v122, -v17 :: v_dual_add_f32 v9, v9, v19
	s_delay_alu instid0(VALU_DEP_3) | instskip(SKIP_2) | instid1(VALU_DEP_4)
	v_dual_fmac_f32 v49, v223, v126 :: v_dual_mul_f32 v11, v213, v117
	v_fma_f32 v23, v210, v114, -v23
	v_dual_fmac_f32 v31, v205, v108 :: v_dual_fma_f32 v13, v214, v118, -v13
	v_dual_add_f32 v9, v9, v21 :: v_dual_mul_f32 v21, v223, v127
	s_delay_alu instid0(VALU_DEP_4) | instskip(SKIP_2) | instid1(VALU_DEP_3)
	v_dual_add_f32 v5, v5, v27 :: v_dual_fma_f32 v11, v212, v116, -v11
	s_wait_loadcnt_dscnt 0x701
	v_dual_mul_f32 v55, v228, v133 :: v_dual_mul_f32 v57, v230, v135
	v_add_f32_e32 v9, v9, v23
	s_delay_alu instid0(VALU_DEP_3) | instskip(SKIP_2) | instid1(VALU_DEP_4)
	v_add_f32_e32 v5, v5, v29
	v_fmac_f32_e32 v35, v209, v112
	v_dual_mul_f32 v19, v221, v125 :: v_dual_fmac_f32 v47, v221, v124
	v_dual_add_f32 v9, v9, v11 :: v_dual_fmac_f32 v57, v231, v134
	v_mul_f32_e32 v11, v227, v131
	v_dual_add_f32 v5, v5, v31 :: v_dual_fmac_f32 v45, v219, v122
	s_delay_alu instid0(VALU_DEP_3) | instskip(SKIP_1) | instid1(VALU_DEP_3)
	v_add_f32_e32 v9, v9, v13
	v_dual_mul_f32 v51, v224, v129 :: v_dual_mul_f32 v53, v226, v131
	v_dual_add_f32 v5, v5, v33 :: v_dual_fma_f32 v19, v220, v124, -v19
	s_delay_alu instid0(VALU_DEP_3) | instskip(SKIP_1) | instid1(VALU_DEP_3)
	v_add_f32_e32 v9, v9, v15
	v_dual_mul_f32 v15, v231, v135 :: v_dual_fmac_f32 v39, v213, v116
	v_dual_fmac_f32 v53, v227, v130 :: v_dual_add_f32 v5, v5, v35
	v_dual_fma_f32 v21, v222, v126, -v21 :: v_dual_mul_f32 v23, v225, v129
	v_fmac_f32_e32 v51, v225, v128
	v_add_f32_e32 v9, v9, v17
	s_delay_alu instid0(VALU_DEP_4) | instskip(SKIP_1) | instid1(VALU_DEP_3)
	v_add_f32_e32 v5, v5, v37
	v_dual_mul_f32 v13, v229, v133 :: v_dual_fmac_f32 v55, v229, v132
	v_dual_fma_f32 v23, v224, v128, -v23 :: v_dual_add_f32 v9, v9, v19
	s_delay_alu instid0(VALU_DEP_2) | instskip(SKIP_2) | instid1(VALU_DEP_3)
	v_dual_add_f32 v5, v5, v39 :: v_dual_fma_f32 v13, v228, v132, -v13
	s_wait_loadcnt_dscnt 0x600
	v_dual_mul_f32 v59, v232, v137 :: v_dual_mul_f32 v61, v234, v139
	v_add_f32_e32 v9, v9, v21
	s_wait_loadcnt 0x4
	v_dual_add_f32 v5, v5, v41 :: v_dual_mov_b32 v86, v147
	v_pk_mul_f32 v[84:85], v[160:161], v[144:145] op_sel:[1,1] op_sel_hi:[0,1]
	s_delay_alu instid0(VALU_DEP_3) | instskip(SKIP_1) | instid1(VALU_DEP_4)
	v_dual_fmac_f32 v61, v235, v138 :: v_dual_add_f32 v9, v9, v23
	v_mul_f32_e32 v23, v171, v143
	v_dual_add_f32 v5, v5, v43 :: v_dual_mul_f32 v247, v168, v141
	s_wait_loadcnt 0x3
	v_dual_mul_f32 v249, v170, v143 :: v_dual_mov_b32 v90, v151
	v_pk_fma_f32 v[94:95], v[160:161], v[144:145], v[84:85] op_sel_hi:[1,0,1]
	s_delay_alu instid0(VALU_DEP_3)
	v_add_f32_e32 v5, v5, v45
	v_pk_mul_f32 v[86:87], v[238:239], v[86:87] op_sel_hi:[1,0]
	v_pk_fma_f32 v[84:85], v[160:161], v[144:145], v[84:85] neg_lo:[0,0,1] neg_hi:[0,0,1]
	v_fma_f32 v11, v226, v130, -v11
	v_pk_mul_f32 v[88:89], v[164:165], v[148:149] op_sel:[1,1] op_sel_hi:[0,1]
	v_dual_add_f32 v5, v5, v47 :: v_dual_fmac_f32 v249, v171, v142
	v_mov_b32_e32 v85, v95
	v_pk_fma_f32 v[94:95], v[162:163], v[146:147], v[86:87] op_sel_hi:[1,0,1]
	v_pk_fma_f32 v[86:87], v[162:163], v[146:147], v[86:87] neg_lo:[0,0,1] neg_hi:[0,0,1]
	s_delay_alu instid0(VALU_DEP_4) | instskip(SKIP_3) | instid1(VALU_DEP_4)
	v_add_f32_e32 v5, v5, v49
	v_pk_fma_f32 v[98:99], v[164:165], v[148:149], v[88:89] op_sel_hi:[1,0,1]
	v_pk_mul_f32 v[90:91], v[240:241], v[90:91] op_sel_hi:[1,0]
	v_dual_mov_b32 v87, v95 :: v_dual_add_f32 v9, v9, v11
	v_add_f32_e32 v5, v5, v51
	v_pk_fma_f32 v[88:89], v[164:165], v[148:149], v[88:89] neg_lo:[0,0,1] neg_hi:[0,0,1]
	v_dual_mul_f32 v17, v233, v137 :: v_dual_fmac_f32 v59, v233, v136
	s_delay_alu instid0(VALU_DEP_3) | instskip(SKIP_3) | instid1(VALU_DEP_4)
	v_dual_fma_f32 v11, v230, v134, -v15 :: v_dual_add_f32 v5, v5, v53
	v_dual_mov_b32 v89, v99 :: v_dual_add_f32 v9, v9, v13
	v_pk_fma_f32 v[94:95], v[166:167], v[150:151], v[90:91] op_sel_hi:[1,0,1]
	v_pk_fma_f32 v[90:91], v[166:167], v[150:151], v[90:91] neg_lo:[0,0,1] neg_hi:[0,0,1]
	v_add_f32_e32 v5, v5, v55
	v_dual_mul_f32 v19, v235, v139 :: v_dual_fma_f32 v13, v232, v136, -v17
	s_delay_alu instid0(VALU_DEP_4) | instskip(NEXT) | instid1(VALU_DEP_3)
	v_dual_add_f32 v9, v9, v11 :: v_dual_mov_b32 v91, v95
	v_add_f32_e32 v5, v5, v57
	v_dual_mul_f32 v21, v169, v141 :: v_dual_fmac_f32 v247, v169, v140
	s_delay_alu instid0(VALU_DEP_3) | instskip(NEXT) | instid1(VALU_DEP_2)
	v_dual_fma_f32 v11, v234, v138, -v19 :: v_dual_add_f32 v9, v9, v13
	v_dual_add_f32 v5, v5, v59 :: v_dual_fma_f32 v246, v168, v140, -v21
	v_fma_f32 v248, v170, v142, -v23
	s_wait_loadcnt 0x2
	v_pk_mul_f32 v[96:97], v[172:173], v[152:153] op_sel:[1,1] op_sel_hi:[0,1]
	v_add_f32_e32 v92, v9, v11
	v_add_f32_e32 v93, v5, v61
	s_delay_alu instid0(VALU_DEP_3) | instskip(NEXT) | instid1(VALU_DEP_2)
	v_pk_fma_f32 v[94:95], v[172:173], v[152:153], v[96:97] neg_lo:[0,0,1] neg_hi:[0,0,1]
	v_pk_add_f32 v[92:93], v[92:93], v[246:247]
	s_delay_alu instid0(VALU_DEP_1) | instskip(NEXT) | instid1(VALU_DEP_1)
	v_pk_add_f32 v[92:93], v[92:93], v[248:249]
	v_pk_add_f32 v[84:85], v[92:93], v[84:85]
	v_mov_b32_e32 v92, v155
	s_delay_alu instid0(VALU_DEP_2) | instskip(SKIP_1) | instid1(VALU_DEP_3)
	v_pk_add_f32 v[84:85], v[84:85], v[86:87]
	v_pk_fma_f32 v[86:87], v[172:173], v[152:153], v[96:97] op_sel_hi:[1,0,1]
	v_pk_mul_f32 v[92:93], v[242:243], v[92:93] op_sel_hi:[1,0]
	s_delay_alu instid0(VALU_DEP_3) | instskip(NEXT) | instid1(VALU_DEP_3)
	v_pk_add_f32 v[84:85], v[84:85], v[88:89]
	v_mov_b32_e32 v95, v87
	s_delay_alu instid0(VALU_DEP_3)
	v_pk_fma_f32 v[86:87], v[174:175], v[154:155], v[92:93] op_sel_hi:[1,0,1]
	s_wait_loadcnt 0x1
	v_pk_mul_f32 v[88:89], v[176:177], v[156:157] op_sel:[1,1] op_sel_hi:[0,1]
	v_mov_b32_e32 v86, v159
	v_pk_add_f32 v[84:85], v[84:85], v[90:91]
	v_pk_fma_f32 v[92:93], v[174:175], v[154:155], v[92:93] neg_lo:[0,0,1] neg_hi:[0,0,1]
	v_mov_b32_e32 v93, v87
	v_pk_fma_f32 v[90:91], v[176:177], v[156:157], v[88:89] op_sel_hi:[1,0,1]
	v_pk_mul_f32 v[86:87], v[244:245], v[86:87] op_sel_hi:[1,0]
	v_pk_add_f32 v[84:85], v[84:85], v[94:95]
	v_pk_fma_f32 v[88:89], v[176:177], v[156:157], v[88:89] neg_lo:[0,0,1] neg_hi:[0,0,1]
	s_delay_alu instid0(VALU_DEP_4) | instskip(NEXT) | instid1(VALU_DEP_4)
	v_mov_b32_e32 v89, v91
	v_pk_fma_f32 v[90:91], v[178:179], v[158:159], v[86:87] op_sel_hi:[1,0,1]
	s_delay_alu instid0(VALU_DEP_4) | instskip(SKIP_1) | instid1(VALU_DEP_3)
	v_pk_add_f32 v[84:85], v[84:85], v[92:93]
	v_pk_fma_f32 v[86:87], v[178:179], v[158:159], v[86:87] neg_lo:[0,0,1] neg_hi:[0,0,1]
	v_mov_b32_e32 v87, v91
	s_delay_alu instid0(VALU_DEP_3) | instskip(NEXT) | instid1(VALU_DEP_1)
	v_pk_add_f32 v[84:85], v[84:85], v[88:89]
	v_pk_add_f32 v[84:85], v[84:85], v[86:87]
	s_wait_loadcnt 0x0
	s_delay_alu instid0(VALU_DEP_1)
	v_pk_add_f32 v[84:85], v[236:237], v[84:85] neg_lo:[0,1] neg_hi:[0,1]
	scratch_store_b64 off, v[84:85], off offset:16
	s_wait_xcnt 0x0
	v_cmpx_lt_u32_e32 1, v0
	s_cbranch_execz .LBB40_257
; %bb.256:
	scratch_load_b64 v[84:85], off, off offset:8
	v_mov_b64_e32 v[86:87], 0
	scratch_store_b64 off, v[86:87], off offset:8
	s_wait_loadcnt 0x0
	ds_store_b64 v1, v[84:85]
.LBB40_257:
	s_wait_xcnt 0x0
	s_or_b32 exec_lo, exec_lo, s0
	s_wait_storecnt_dscnt 0x0
	s_barrier_signal -1
	s_barrier_wait -1
	s_clause 0x14
	scratch_load_b128 v[86:89], off, off offset:16
	scratch_load_b128 v[90:93], off, off offset:32
	;; [unrolled: 1-line block ×19, first 2 shown]
	scratch_load_b64 v[238:239], off, off offset:320
	scratch_load_b64 v[240:241], off, off offset:8
	v_dual_mov_b32 v84, 0 :: v_dual_ashrrev_i32 v45, 31, v44
	ds_load_b128 v[162:165], v84 offset:576
	ds_load_b128 v[166:169], v84 offset:592
	;; [unrolled: 1-line block ×19, first 2 shown]
	ds_load_b64 v[242:243], v84 offset:656
	v_dual_ashrrev_i32 v5, 31, v4 :: v_dual_ashrrev_i32 v11, 31, v10
	s_wait_dscnt 0x11
	v_dual_mov_b32 v246, v173 :: v_dual_mov_b32 v247, v172
	s_wait_dscnt 0x10
	v_dual_mov_b32 v248, v177 :: v_dual_mov_b32 v249, v176
	;; [unrolled: 2-line block ×3, first 2 shown]
	v_dual_ashrrev_i32 v9, 31, v8 :: v_dual_ashrrev_i32 v15, 31, v14
	v_dual_ashrrev_i32 v13, 31, v12 :: v_dual_ashrrev_i32 v19, 31, v18
	;; [unrolled: 1-line block ×5, first 2 shown]
	v_dual_mov_b32 v244, v169 :: v_dual_mov_b32 v245, v168
	v_dual_ashrrev_i32 v29, 31, v28 :: v_dual_ashrrev_i32 v35, 31, v34
	v_dual_ashrrev_i32 v33, 31, v32 :: v_dual_ashrrev_i32 v39, 31, v38
	;; [unrolled: 1-line block ×7, first 2 shown]
	s_mov_b32 s0, exec_lo
	s_wait_loadcnt 0x14
	v_dual_mul_f32 v61, v178, v87 :: v_dual_mul_f32 v63, v180, v89
	s_wait_loadcnt 0x13
	v_dual_mul_f32 v67, v179, v87 :: v_dual_mul_f32 v71, v184, v93
	v_dual_mul_f32 v65, v182, v91 :: v_dual_mul_f32 v69, v181, v89
	s_delay_alu instid0(VALU_DEP_3) | instskip(NEXT) | instid1(VALU_DEP_3)
	v_dual_fmac_f32 v61, v179, v86 :: v_dual_fmac_f32 v63, v181, v88
	v_dual_fma_f32 v67, v178, v86, -v67 :: v_dual_mul_f32 v83, v183, v91
	s_wait_loadcnt_dscnt 0x100a
	v_mul_f32_e32 v86, v200, v105
	s_delay_alu instid0(VALU_DEP_3)
	v_dual_fma_f32 v69, v180, v88, -v69 :: v_dual_add_f32 v61, 0, v61
	s_wait_loadcnt_dscnt 0xa04
	v_mul_f32_e32 v181, v222, v127
	v_add_f32_e32 v67, 0, v67
	v_dual_mul_f32 v81, v198, v103 :: v_dual_mul_f32 v85, v185, v93
	v_dual_fmac_f32 v65, v183, v90 :: v_dual_fmac_f32 v71, v185, v92
	v_dual_fma_f32 v83, v182, v90, -v83 :: v_dual_mul_f32 v182, v224, v129
	s_delay_alu instid0(VALU_DEP_4)
	v_dual_add_f32 v61, v61, v63 :: v_dual_add_f32 v67, v67, v69
	v_dual_mul_f32 v73, v190, v95 :: v_dual_mul_f32 v75, v192, v97
	v_dual_fma_f32 v85, v184, v92, -v85 :: v_dual_mul_f32 v87, v191, v95
	s_wait_loadcnt_dscnt 0x802
	v_dual_mul_f32 v95, v212, v117 :: v_dual_mul_f32 v69, v230, v135
	v_dual_add_f32 v61, v61, v65 :: v_dual_add_f32 v67, v67, v83
	v_dual_mul_f32 v83, v232, v137 :: v_dual_mul_f32 v93, v210, v115
	v_dual_mul_f32 v89, v193, v97 :: v_dual_fmac_f32 v73, v191, v94
	v_fmac_f32_e32 v75, v193, v96
	s_delay_alu instid0(VALU_DEP_4)
	v_dual_fma_f32 v94, v190, v94, -v87 :: v_dual_add_f32 v61, v61, v71
	v_dual_add_f32 v67, v67, v85 :: v_dual_mul_f32 v77, v194, v99
	v_mul_f32_e32 v79, v196, v101
	v_dual_fma_f32 v96, v192, v96, -v89 :: v_dual_mul_f32 v87, v195, v99
	s_wait_loadcnt 0x5
	v_dual_mul_f32 v65, v197, v101 :: v_dual_mul_f32 v89, v166, v147
	v_dual_add_f32 v61, v61, v73 :: v_dual_add_f32 v67, v67, v94
	v_dual_mul_f32 v85, v201, v105 :: v_dual_fmac_f32 v77, v195, v98
	v_fmac_f32_e32 v79, v197, v100
	s_delay_alu instid0(VALU_DEP_4) | instskip(NEXT) | instid1(VALU_DEP_4)
	v_dual_fma_f32 v98, v194, v98, -v87 :: v_dual_fma_f32 v65, v196, v100, -v65
	v_dual_add_f32 v61, v61, v75 :: v_dual_add_f32 v67, v67, v96
	v_dual_mul_f32 v73, v199, v103 :: v_dual_mul_f32 v75, v205, v109
	s_delay_alu instid0(VALU_DEP_2) | instskip(NEXT) | instid1(VALU_DEP_3)
	v_dual_mul_f32 v96, v207, v111 :: v_dual_add_f32 v61, v61, v77
	v_add_f32_e32 v67, v67, v98
	s_delay_alu instid0(VALU_DEP_3) | instskip(SKIP_1) | instid1(VALU_DEP_3)
	v_dual_mul_f32 v77, v211, v115 :: v_dual_fma_f32 v73, v198, v102, -v73
	v_dual_mul_f32 v88, v202, v107 :: v_dual_mul_f32 v90, v204, v109
	v_dual_add_f32 v61, v61, v79 :: v_dual_add_f32 v65, v67, v65
	v_dual_fmac_f32 v86, v201, v104 :: v_dual_mul_f32 v94, v203, v107
	v_dual_mul_f32 v101, v209, v113 :: v_dual_fmac_f32 v81, v199, v102
	v_dual_mul_f32 v67, v213, v117 :: v_dual_fma_f32 v79, v200, v104, -v85
	s_delay_alu instid0(VALU_DEP_4) | instskip(SKIP_1) | instid1(VALU_DEP_4)
	v_dual_add_f32 v65, v65, v73 :: v_dual_mul_f32 v73, v215, v119
	v_dual_mul_f32 v91, v206, v111 :: v_dual_mul_f32 v92, v208, v113
	v_dual_add_f32 v61, v61, v81 :: v_dual_fmac_f32 v88, v203, v106
	s_delay_alu instid0(VALU_DEP_3) | instskip(NEXT) | instid1(VALU_DEP_3)
	v_dual_fma_f32 v81, v202, v106, -v94 :: v_dual_add_f32 v65, v65, v79
	v_fmac_f32_e32 v91, v207, v110
	s_delay_alu instid0(VALU_DEP_3) | instskip(SKIP_1) | instid1(VALU_DEP_4)
	v_dual_add_f32 v61, v61, v86 :: v_dual_fma_f32 v75, v204, v108, -v75
	v_dual_fmac_f32 v90, v205, v108 :: v_dual_fma_f32 v85, v206, v110, -v96
	v_dual_add_f32 v65, v65, v81 :: v_dual_fma_f32 v86, v208, v112, -v101
	v_dual_fmac_f32 v93, v211, v114 :: v_dual_mul_f32 v79, v217, v121
	v_mul_f32_e32 v81, v219, v123
	s_delay_alu instid0(VALU_DEP_3) | instskip(SKIP_2) | instid1(VALU_DEP_3)
	v_add_f32_e32 v65, v65, v75
	v_add_f32_e32 v61, v61, v88
	v_dual_mul_f32 v75, v221, v125 :: v_dual_fma_f32 v77, v210, v114, -v77
	v_dual_fma_f32 v73, v214, v118, -v73 :: v_dual_add_f32 v65, v65, v85
	s_delay_alu instid0(VALU_DEP_3) | instskip(SKIP_1) | instid1(VALU_DEP_3)
	v_dual_mul_f32 v85, v223, v127 :: v_dual_add_f32 v61, v61, v90
	v_fma_f32 v67, v212, v116, -v67
	v_dual_fma_f32 v79, v216, v120, -v79 :: v_dual_add_f32 v65, v65, v86
	v_dual_mul_f32 v97, v214, v119 :: v_dual_mul_f32 v178, v216, v121
	v_fmac_f32_e32 v92, v209, v112
	v_add_f32_e32 v61, v61, v91
	s_delay_alu instid0(VALU_DEP_4) | instskip(SKIP_1) | instid1(VALU_DEP_2)
	v_dual_add_f32 v65, v65, v77 :: v_dual_mul_f32 v77, v227, v131
	v_dual_fma_f32 v85, v222, v126, -v85 :: v_dual_fmac_f32 v95, v213, v116
	v_dual_fma_f32 v81, v218, v122, -v81 :: v_dual_add_f32 v65, v65, v67
	s_delay_alu instid0(VALU_DEP_4) | instskip(NEXT) | instid1(VALU_DEP_4)
	v_dual_fmac_f32 v97, v215, v118 :: v_dual_add_f32 v61, v61, v92
	v_fma_f32 v77, v226, v130, -v77
	s_wait_dscnt 0x1
	v_dual_mul_f32 v99, v234, v139 :: v_dual_mul_f32 v100, v236, v141
	v_dual_add_f32 v65, v65, v73 :: v_dual_mul_f32 v73, v231, v135
	v_dual_add_f32 v61, v61, v93 :: v_dual_fma_f32 v75, v220, v124, -v75
	s_delay_alu instid0(VALU_DEP_2) | instskip(SKIP_2) | instid1(VALU_DEP_4)
	v_dual_fmac_f32 v69, v231, v134 :: v_dual_add_f32 v65, v65, v79
	v_dual_mul_f32 v179, v218, v123 :: v_dual_mul_f32 v180, v220, v125
	v_mul_f32_e32 v86, v225, v129
	v_dual_add_f32 v61, v61, v95 :: v_dual_fmac_f32 v181, v223, v126
	s_delay_alu instid0(VALU_DEP_4) | instskip(SKIP_2) | instid1(VALU_DEP_3)
	v_dual_add_f32 v65, v65, v81 :: v_dual_fmac_f32 v99, v235, v138
	v_mul_f32_e32 v81, v235, v139
	v_dual_mul_f32 v183, v226, v131 :: v_dual_mul_f32 v63, v228, v133
	v_add_f32_e32 v65, v65, v75
	v_fmac_f32_e32 v178, v217, v120
	s_delay_alu instid0(VALU_DEP_3) | instskip(SKIP_1) | instid1(VALU_DEP_4)
	v_dual_add_f32 v61, v61, v97 :: v_dual_fmac_f32 v183, v227, v130
	v_dual_fmac_f32 v179, v219, v122 :: v_dual_mul_f32 v67, v229, v133
	v_dual_fma_f32 v86, v224, v128, -v86 :: v_dual_add_f32 v65, v65, v85
	v_dual_mul_f32 v71, v162, v143 :: v_dual_mul_f32 v87, v164, v145
	s_delay_alu instid0(VALU_DEP_4) | instskip(NEXT) | instid1(VALU_DEP_3)
	v_dual_mul_f32 v85, v163, v143 :: v_dual_add_f32 v61, v61, v178
	v_dual_fma_f32 v67, v228, v132, -v67 :: v_dual_add_f32 v65, v65, v86
	s_delay_alu instid0(VALU_DEP_3) | instskip(SKIP_2) | instid1(VALU_DEP_3)
	v_dual_mul_f32 v86, v165, v145 :: v_dual_fmac_f32 v71, v163, v142
	v_mul_f32_e32 v79, v233, v137
	v_dual_fmac_f32 v180, v221, v124 :: v_dual_fma_f32 v73, v230, v134, -v73
	v_dual_fma_f32 v86, v164, v144, -v86 :: v_dual_add_f32 v65, v65, v77
	v_mul_f32_e32 v77, v167, v147
	v_add_f32_e32 v61, v61, v179
	v_dual_mul_f32 v75, v237, v141 :: v_dual_fmac_f32 v100, v237, v140
	v_fmac_f32_e32 v182, v225, v128
	s_wait_loadcnt 0x4
	v_dual_mov_b32 v88, v149 :: v_dual_mov_b32 v92, v153
	v_add_f32_e32 v61, v61, v180
	v_fmac_f32_e32 v63, v229, v132
	v_fmac_f32_e32 v83, v233, v136
	s_delay_alu instid0(VALU_DEP_4) | instskip(NEXT) | instid1(VALU_DEP_4)
	v_pk_mul_f32 v[96:97], v[244:245], v[88:89] op_sel_hi:[1,0]
	v_dual_fmac_f32 v89, v167, v146 :: v_dual_add_f32 v61, v61, v181
	v_dual_fma_f32 v88, v166, v146, -v77 :: v_dual_fmac_f32 v87, v165, v144
	s_delay_alu instid0(VALU_DEP_3) | instskip(SKIP_1) | instid1(VALU_DEP_4)
	v_pk_fma_f32 v[102:103], v[168:169], v[148:149], v[96:97] op_sel_hi:[1,0,1]
	v_pk_fma_f32 v[96:97], v[168:169], v[148:149], v[96:97] neg_lo:[0,0,1] neg_hi:[0,0,1]
	v_add_f32_e32 v61, v61, v182
	v_pk_mul_f32 v[90:91], v[170:171], v[150:151] op_sel:[1,1] op_sel_hi:[0,1]
	v_pk_mul_f32 v[92:93], v[246:247], v[92:93] op_sel_hi:[1,0]
	v_mov_b32_e32 v97, v103
	s_wait_loadcnt 0x3
	v_pk_mul_f32 v[94:95], v[174:175], v[154:155] op_sel:[1,1] op_sel_hi:[0,1]
	v_dual_add_f32 v61, v61, v183 :: v_dual_ashrrev_i32 v77, 31, v76
	s_delay_alu instid0(VALU_DEP_1) | instskip(SKIP_2) | instid1(VALU_DEP_3)
	v_add_f32_e32 v61, v61, v63
	v_dual_add_f32 v63, v65, v67 :: v_dual_fma_f32 v65, v232, v136, -v79
	v_fma_f32 v67, v234, v138, -v81
	v_dual_ashrrev_i32 v79, 31, v78 :: v_dual_add_f32 v61, v61, v69
	s_delay_alu instid0(VALU_DEP_3) | instskip(SKIP_1) | instid1(VALU_DEP_3)
	v_dual_add_f32 v63, v63, v73 :: v_dual_ashrrev_i32 v73, 31, v72
	v_ashrrev_i32_e32 v81, 31, v80
	v_dual_ashrrev_i32 v69, 31, v68 :: v_dual_add_f32 v61, v61, v83
	s_delay_alu instid0(VALU_DEP_3) | instskip(SKIP_1) | instid1(VALU_DEP_2)
	v_dual_add_f32 v63, v63, v65 :: v_dual_fma_f32 v65, v236, v140, -v75
	v_ashrrev_i32_e32 v75, 31, v74
	v_dual_ashrrev_i32 v83, 31, v82 :: v_dual_add_f32 v63, v63, v67
	s_delay_alu instid0(VALU_DEP_1) | instskip(NEXT) | instid1(VALU_DEP_1)
	v_dual_fma_f32 v67, v162, v142, -v85 :: v_dual_add_f32 v63, v63, v65
	v_dual_add_f32 v98, v63, v67 :: v_dual_ashrrev_i32 v65, 31, v64
	v_dual_ashrrev_i32 v63, 31, v62 :: v_dual_add_f32 v61, v61, v99
	s_delay_alu instid0(VALU_DEP_1) | instskip(SKIP_1) | instid1(VALU_DEP_2)
	v_dual_ashrrev_i32 v67, 31, v66 :: v_dual_add_f32 v61, v61, v100
	v_mov_b32_e32 v100, v157
	v_dual_add_f32 v99, v61, v71 :: v_dual_ashrrev_i32 v61, 31, v60
	v_ashrrev_i32_e32 v71, 31, v70
	s_delay_alu instid0(VALU_DEP_2) | instskip(SKIP_2) | instid1(VALU_DEP_3)
	v_pk_add_f32 v[86:87], v[98:99], v[86:87]
	v_pk_fma_f32 v[98:99], v[170:171], v[150:151], v[90:91] op_sel_hi:[1,0,1]
	v_pk_fma_f32 v[90:91], v[170:171], v[150:151], v[90:91] neg_lo:[0,0,1] neg_hi:[0,0,1]
	v_pk_add_f32 v[86:87], v[86:87], v[88:89]
	s_delay_alu instid0(VALU_DEP_3)
	v_mov_b32_e32 v91, v99
	v_pk_fma_f32 v[98:99], v[172:173], v[152:153], v[92:93] op_sel_hi:[1,0,1]
	v_pk_fma_f32 v[92:93], v[172:173], v[152:153], v[92:93] neg_lo:[0,0,1] neg_hi:[0,0,1]
	s_wait_loadcnt 0x2
	v_pk_mul_f32 v[88:89], v[186:187], v[158:159] op_sel:[1,1] op_sel_hi:[0,1]
	v_pk_add_f32 v[86:87], v[86:87], v[96:97]
	v_pk_fma_f32 v[96:97], v[174:175], v[154:155], v[94:95] op_sel_hi:[1,0,1]
	v_mov_b32_e32 v93, v99
	v_pk_fma_f32 v[94:95], v[174:175], v[154:155], v[94:95] neg_lo:[0,0,1] neg_hi:[0,0,1]
	s_delay_alu instid0(VALU_DEP_4) | instskip(SKIP_3) | instid1(VALU_DEP_4)
	v_pk_add_f32 v[86:87], v[86:87], v[90:91]
	v_mov_b32_e32 v90, v161
	v_pk_mul_f32 v[100:101], v[248:249], v[100:101] op_sel_hi:[1,0]
	v_mov_b32_e32 v95, v97
	v_pk_add_f32 v[86:87], v[86:87], v[92:93]
	v_pk_fma_f32 v[92:93], v[186:187], v[158:159], v[88:89] op_sel_hi:[1,0,1]
	s_delay_alu instid0(VALU_DEP_4) | instskip(SKIP_3) | instid1(VALU_DEP_4)
	v_pk_fma_f32 v[96:97], v[176:177], v[156:157], v[100:101] op_sel_hi:[1,0,1]
	v_pk_fma_f32 v[98:99], v[176:177], v[156:157], v[100:101] neg_lo:[0,0,1] neg_hi:[0,0,1]
	v_pk_mul_f32 v[90:91], v[250:251], v[90:91] op_sel_hi:[1,0]
	v_pk_fma_f32 v[88:89], v[186:187], v[158:159], v[88:89] neg_lo:[0,0,1] neg_hi:[0,0,1]
	v_dual_mov_b32 v89, v93 :: v_dual_mov_b32 v99, v97
	v_pk_add_f32 v[86:87], v[86:87], v[94:95]
	s_delay_alu instid0(VALU_DEP_4)
	v_pk_fma_f32 v[92:93], v[188:189], v[160:161], v[90:91] op_sel_hi:[1,0,1]
	s_wait_loadcnt_dscnt 0x100
	v_pk_mul_f32 v[94:95], v[242:243], v[238:239] op_sel:[1,1] op_sel_hi:[0,1]
	v_pk_fma_f32 v[90:91], v[188:189], v[160:161], v[90:91] neg_lo:[0,0,1] neg_hi:[0,0,1]
	v_pk_add_f32 v[86:87], v[86:87], v[98:99]
	v_mov_b32_e32 v91, v93
	s_delay_alu instid0(VALU_DEP_4) | instskip(NEXT) | instid1(VALU_DEP_3)
	v_pk_fma_f32 v[92:93], v[242:243], v[238:239], v[94:95] neg_lo:[0,0,1] neg_hi:[0,0,1]
	v_pk_add_f32 v[86:87], v[86:87], v[88:89]
	v_pk_fma_f32 v[88:89], v[242:243], v[238:239], v[94:95] op_sel_hi:[1,0,1]
	s_delay_alu instid0(VALU_DEP_2) | instskip(NEXT) | instid1(VALU_DEP_2)
	v_pk_add_f32 v[86:87], v[86:87], v[90:91]
	v_mov_b32_e32 v93, v89
	s_delay_alu instid0(VALU_DEP_1) | instskip(SKIP_1) | instid1(VALU_DEP_1)
	v_pk_add_f32 v[86:87], v[86:87], v[92:93]
	s_wait_loadcnt 0x0
	v_pk_add_f32 v[86:87], v[240:241], v[86:87] neg_lo:[0,1] neg_hi:[0,1]
	scratch_store_b64 off, v[86:87], off offset:8
	s_wait_xcnt 0x0
	v_cmpx_ne_u32_e32 0, v0
	s_cbranch_execz .LBB40_259
; %bb.258:
	scratch_load_b64 v[86:87], off, off
	v_mov_b64_e32 v[88:89], 0
	scratch_store_b64 off, v[88:89], off
	s_wait_loadcnt 0x0
	ds_store_b64 v1, v[86:87]
.LBB40_259:
	s_wait_xcnt 0x0
	s_or_b32 exec_lo, exec_lo, s0
	s_wait_storecnt_dscnt 0x0
	s_barrier_signal -1
	s_barrier_wait -1
	s_clause 0xf
	scratch_load_b128 v[90:93], off, off offset:8
	scratch_load_b128 v[98:101], off, off offset:24
	;; [unrolled: 1-line block ×16, first 2 shown]
	ds_load_2addr_b64 v[86:89], v84 offset0:43 offset1:44
	ds_load_2addr_b64 v[94:97], v84 offset0:45 offset1:46
	;; [unrolled: 1-line block ×16, first 2 shown]
	s_clause 0x3
	scratch_load_b128 v[214:217], off, off offset:264
	scratch_load_b128 v[218:221], off, off offset:280
	;; [unrolled: 1-line block ×4, first 2 shown]
	s_and_b32 vcc_lo, exec_lo, s18
	s_wait_loadcnt_dscnt 0x130f
	v_dual_mul_f32 v0, v86, v91 :: v_dual_mul_f32 v1, v88, v93
	s_wait_loadcnt_dscnt 0x100c
	v_dual_mul_f32 v85, v89, v93 :: v_dual_mul_f32 v231, v206, v211
	s_delay_alu instid0(VALU_DEP_2) | instskip(NEXT) | instid1(VALU_DEP_3)
	v_dual_mul_f32 v233, v208, v213 :: v_dual_fmac_f32 v0, v87, v90
	v_fmac_f32_e32 v1, v89, v92
	s_delay_alu instid0(VALU_DEP_3) | instskip(NEXT) | instid1(VALU_DEP_3)
	v_dual_fma_f32 v85, v88, v92, -v85 :: v_dual_fmac_f32 v231, v207, v210
	v_fmac_f32_e32 v233, v209, v212
	s_delay_alu instid0(VALU_DEP_4) | instskip(NEXT) | instid1(VALU_DEP_1)
	v_add_f32_e32 v0, 0, v0
	v_dual_add_f32 v0, v0, v1 :: v_dual_mul_f32 v1, v94, v99
	s_delay_alu instid0(VALU_DEP_1) | instskip(NEXT) | instid1(VALU_DEP_1)
	v_fmac_f32_e32 v1, v95, v98
	v_add_f32_e32 v0, v0, v1
	v_mul_f32_e32 v1, v96, v101
	s_delay_alu instid0(VALU_DEP_1) | instskip(SKIP_1) | instid1(VALU_DEP_1)
	v_fmac_f32_e32 v1, v97, v100
	s_wait_loadcnt_dscnt 0xf0b
	v_dual_add_f32 v0, v0, v1 :: v_dual_mul_f32 v1, v102, v107
	s_delay_alu instid0(VALU_DEP_1) | instskip(NEXT) | instid1(VALU_DEP_1)
	v_fmac_f32_e32 v1, v103, v106
	v_add_f32_e32 v0, v0, v1
	v_mul_f32_e32 v1, v104, v109
	s_delay_alu instid0(VALU_DEP_1) | instskip(SKIP_1) | instid1(VALU_DEP_1)
	v_fmac_f32_e32 v1, v105, v108
	s_wait_loadcnt_dscnt 0xe0a
	;; [unrolled: 8-line block ×12, first 2 shown]
	v_dual_add_f32 v0, v0, v1 :: v_dual_mul_f32 v1, v190, v195
	s_delay_alu instid0(VALU_DEP_1) | instskip(NEXT) | instid1(VALU_DEP_1)
	v_fmac_f32_e32 v1, v191, v194
	v_add_f32_e32 v0, v0, v1
	v_mul_f32_e32 v1, v192, v197
	s_delay_alu instid0(VALU_DEP_1) | instskip(NEXT) | instid1(VALU_DEP_1)
	v_fmac_f32_e32 v1, v193, v196
	v_dual_add_f32 v0, v0, v1 :: v_dual_mul_f32 v1, v198, v203
	s_delay_alu instid0(VALU_DEP_1) | instskip(NEXT) | instid1(VALU_DEP_1)
	v_fmac_f32_e32 v1, v199, v202
	v_add_f32_e32 v0, v0, v1
	v_mul_f32_e32 v1, v200, v205
	s_delay_alu instid0(VALU_DEP_1) | instskip(NEXT) | instid1(VALU_DEP_1)
	v_fmac_f32_e32 v1, v201, v204
	v_dual_add_f32 v1, v0, v1 :: v_dual_mul_f32 v0, v87, v91
	s_delay_alu instid0(VALU_DEP_1) | instskip(NEXT) | instid1(VALU_DEP_1)
	v_fma_f32 v0, v86, v90, -v0
	v_add_f32_e32 v0, 0, v0
	s_delay_alu instid0(VALU_DEP_1) | instskip(NEXT) | instid1(VALU_DEP_1)
	v_dual_add_f32 v0, v0, v85 :: v_dual_mul_f32 v85, v95, v99
	v_fma_f32 v85, v94, v98, -v85
	s_delay_alu instid0(VALU_DEP_1) | instskip(SKIP_1) | instid1(VALU_DEP_1)
	v_add_f32_e32 v0, v0, v85
	v_mul_f32_e32 v85, v97, v101
	v_fma_f32 v85, v96, v100, -v85
	ds_load_2addr_b64 v[86:89], v84 offset0:75 offset1:76
	ds_load_2addr_b64 v[90:93], v84 offset0:77 offset1:78
	;; [unrolled: 1-line block ×4, first 2 shown]
	v_dual_add_f32 v0, v0, v85 :: v_dual_mul_f32 v85, v103, v107
	s_delay_alu instid0(VALU_DEP_1) | instskip(NEXT) | instid1(VALU_DEP_1)
	v_fma_f32 v85, v102, v106, -v85
	v_add_f32_e32 v0, v0, v85
	v_mul_f32_e32 v85, v105, v109
	s_delay_alu instid0(VALU_DEP_1) | instskip(NEXT) | instid1(VALU_DEP_1)
	v_fma_f32 v85, v104, v108, -v85
	v_dual_add_f32 v0, v0, v85 :: v_dual_mul_f32 v85, v111, v115
	s_delay_alu instid0(VALU_DEP_1) | instskip(NEXT) | instid1(VALU_DEP_1)
	v_fma_f32 v85, v110, v114, -v85
	v_add_f32_e32 v0, v0, v85
	v_mul_f32_e32 v85, v113, v117
	s_delay_alu instid0(VALU_DEP_1) | instskip(NEXT) | instid1(VALU_DEP_1)
	v_fma_f32 v85, v112, v116, -v85
	;; [unrolled: 7-line block ×13, first 2 shown]
	v_dual_add_f32 v0, v0, v85 :: v_dual_mul_f32 v85, v207, v211
	s_delay_alu instid0(VALU_DEP_1) | instskip(NEXT) | instid1(VALU_DEP_1)
	v_dual_fma_f32 v230, v206, v210, -v85 :: v_dual_mul_f32 v85, v209, v213
	v_fma_f32 v232, v208, v212, -v85
	s_wait_loadcnt_dscnt 0x303
	v_pk_mul_f32 v[84:85], v[86:87], v[214:215] op_sel:[1,1] op_sel_hi:[0,1]
	s_delay_alu instid0(VALU_DEP_1) | instskip(SKIP_2) | instid1(VALU_DEP_2)
	v_pk_fma_f32 v[102:103], v[86:87], v[214:215], v[84:85] neg_lo:[0,0,1] neg_hi:[0,0,1]
	v_pk_fma_f32 v[84:85], v[86:87], v[214:215], v[84:85] op_sel_hi:[1,0,1]
	v_dual_mov_b32 v84, v89 :: v_dual_mov_b32 v86, v217
	v_dual_mov_b32 v103, v85 :: v_dual_mov_b32 v85, v88
	s_delay_alu instid0(VALU_DEP_1) | instskip(NEXT) | instid1(VALU_DEP_1)
	v_pk_mul_f32 v[84:85], v[84:85], v[86:87] op_sel_hi:[1,0]
	v_pk_fma_f32 v[86:87], v[88:89], v[216:217], v[84:85] neg_lo:[0,0,1] neg_hi:[0,0,1]
	v_pk_fma_f32 v[84:85], v[88:89], v[216:217], v[84:85] op_sel_hi:[1,0,1]
	s_delay_alu instid0(VALU_DEP_1) | instskip(SKIP_3) | instid1(VALU_DEP_2)
	v_mov_b32_e32 v87, v85
	v_pk_add_f32 v[0:1], v[0:1], v[230:231]
	s_wait_loadcnt_dscnt 0x202
	v_pk_mul_f32 v[84:85], v[90:91], v[218:219] op_sel:[1,1] op_sel_hi:[0,1]
	v_pk_add_f32 v[0:1], v[0:1], v[232:233]
	s_delay_alu instid0(VALU_DEP_1) | instskip(NEXT) | instid1(VALU_DEP_1)
	v_pk_add_f32 v[0:1], v[0:1], v[102:103]
	v_pk_add_f32 v[0:1], v[0:1], v[86:87]
	s_delay_alu instid0(VALU_DEP_4) | instskip(SKIP_1) | instid1(VALU_DEP_1)
	v_pk_fma_f32 v[86:87], v[90:91], v[218:219], v[84:85] neg_lo:[0,0,1] neg_hi:[0,0,1]
	v_pk_fma_f32 v[84:85], v[90:91], v[218:219], v[84:85] op_sel_hi:[1,0,1]
	v_dual_mov_b32 v84, v93 :: v_dual_mov_b32 v87, v85
	v_mov_b32_e32 v85, v92
	s_delay_alu instid0(VALU_DEP_2) | instskip(SKIP_1) | instid1(VALU_DEP_1)
	v_pk_add_f32 v[0:1], v[0:1], v[86:87]
	v_mov_b32_e32 v86, v221
	v_pk_mul_f32 v[84:85], v[84:85], v[86:87] op_sel_hi:[1,0]
	s_delay_alu instid0(VALU_DEP_1) | instskip(SKIP_1) | instid1(VALU_DEP_1)
	v_pk_fma_f32 v[86:87], v[92:93], v[220:221], v[84:85] neg_lo:[0,0,1] neg_hi:[0,0,1]
	v_pk_fma_f32 v[84:85], v[92:93], v[220:221], v[84:85] op_sel_hi:[1,0,1]
	v_mov_b32_e32 v87, v85
	s_wait_loadcnt_dscnt 0x101
	v_pk_mul_f32 v[84:85], v[94:95], v[222:223] op_sel:[1,1] op_sel_hi:[0,1]
	s_delay_alu instid0(VALU_DEP_2) | instskip(NEXT) | instid1(VALU_DEP_2)
	v_pk_add_f32 v[0:1], v[0:1], v[86:87]
	v_pk_fma_f32 v[86:87], v[94:95], v[222:223], v[84:85] neg_lo:[0,0,1] neg_hi:[0,0,1]
	v_pk_fma_f32 v[84:85], v[94:95], v[222:223], v[84:85] op_sel_hi:[1,0,1]
	s_delay_alu instid0(VALU_DEP_1) | instskip(SKIP_1) | instid1(VALU_DEP_2)
	v_dual_mov_b32 v84, v97 :: v_dual_mov_b32 v87, v85
	v_mov_b32_e32 v85, v96
	v_pk_add_f32 v[0:1], v[0:1], v[86:87]
	v_mov_b32_e32 v86, v225
	s_delay_alu instid0(VALU_DEP_1) | instskip(NEXT) | instid1(VALU_DEP_1)
	v_pk_mul_f32 v[84:85], v[84:85], v[86:87] op_sel_hi:[1,0]
	v_pk_fma_f32 v[86:87], v[96:97], v[224:225], v[84:85] neg_lo:[0,0,1] neg_hi:[0,0,1]
	v_pk_fma_f32 v[84:85], v[96:97], v[224:225], v[84:85] op_sel_hi:[1,0,1]
	s_delay_alu instid0(VALU_DEP_1) | instskip(SKIP_2) | instid1(VALU_DEP_2)
	v_mov_b32_e32 v87, v85
	s_wait_loadcnt_dscnt 0x0
	v_pk_mul_f32 v[84:85], v[98:99], v[226:227] op_sel:[1,1] op_sel_hi:[0,1]
	v_pk_add_f32 v[0:1], v[0:1], v[86:87]
	s_delay_alu instid0(VALU_DEP_2) | instskip(SKIP_1) | instid1(VALU_DEP_1)
	v_pk_fma_f32 v[86:87], v[98:99], v[226:227], v[84:85] neg_lo:[0,0,1] neg_hi:[0,0,1]
	v_pk_fma_f32 v[84:85], v[98:99], v[226:227], v[84:85] op_sel_hi:[1,0,1]
	v_dual_mov_b32 v84, v101 :: v_dual_mov_b32 v87, v85
	v_mov_b32_e32 v85, v100
	s_delay_alu instid0(VALU_DEP_2) | instskip(SKIP_1) | instid1(VALU_DEP_1)
	v_pk_add_f32 v[0:1], v[0:1], v[86:87]
	v_mov_b32_e32 v86, v229
	v_pk_mul_f32 v[84:85], v[84:85], v[86:87] op_sel_hi:[1,0]
	s_delay_alu instid0(VALU_DEP_1) | instskip(SKIP_1) | instid1(VALU_DEP_1)
	v_pk_fma_f32 v[86:87], v[100:101], v[228:229], v[84:85] neg_lo:[0,0,1] neg_hi:[0,0,1]
	v_pk_fma_f32 v[84:85], v[100:101], v[228:229], v[84:85] op_sel_hi:[1,0,1]
	v_mov_b32_e32 v87, v85
	scratch_load_b64 v[84:85], off, off
	v_pk_add_f32 v[0:1], v[0:1], v[86:87]
	s_wait_loadcnt 0x0
	s_delay_alu instid0(VALU_DEP_1)
	v_pk_add_f32 v[0:1], v[84:85], v[0:1] neg_lo:[0,1] neg_hi:[0,1]
	scratch_store_b64 off, v[0:1], off
	s_cbranch_vccz .LBB40_340
; %bb.260:
	s_wait_xcnt 0x0
	v_mov_b32_e32 v0, 0
	global_load_b32 v1, v0, s[2:3] offset:156
	s_wait_loadcnt 0x0
	v_cmp_ne_u32_e32 vcc_lo, 40, v1
	s_cbranch_vccz .LBB40_262
; %bb.261:
	v_lshlrev_b32_e32 v1, 3, v1
	scratch_load_b64 v[84:85], v1, off offset:-8
	scratch_load_b64 v[86:87], off, off offset:312
	s_wait_loadcnt 0x1
	scratch_store_b64 off, v[84:85], off offset:312
	s_wait_loadcnt 0x0
	scratch_store_b64 v1, v[86:87], off offset:-8
.LBB40_262:
	global_load_b32 v0, v0, s[2:3] offset:152
	s_wait_loadcnt 0x0
	v_cmp_eq_u32_e32 vcc_lo, 39, v0
	s_cbranch_vccnz .LBB40_264
; %bb.263:
	s_wait_xcnt 0x0
	v_lshlrev_b32_e32 v0, 3, v0
	s_delay_alu instid0(VALU_DEP_1)
	v_mov_b32_e32 v86, v0
	scratch_load_b64 v[0:1], v86, off offset:-8
	scratch_load_b64 v[84:85], off, off offset:304
	s_wait_loadcnt 0x1
	scratch_store_b64 off, v[0:1], off offset:304
	s_wait_loadcnt 0x0
	scratch_store_b64 v86, v[84:85], off offset:-8
.LBB40_264:
	s_wait_xcnt 0x0
	v_mov_b32_e32 v0, 0
	global_load_b32 v1, v0, s[2:3] offset:148
	s_wait_loadcnt 0x0
	v_cmp_eq_u32_e32 vcc_lo, 38, v1
	s_cbranch_vccnz .LBB40_266
; %bb.265:
	v_lshlrev_b32_e32 v1, 3, v1
	scratch_load_b64 v[84:85], v1, off offset:-8
	scratch_load_b64 v[86:87], off, off offset:296
	s_wait_loadcnt 0x1
	scratch_store_b64 off, v[84:85], off offset:296
	s_wait_loadcnt 0x0
	scratch_store_b64 v1, v[86:87], off offset:-8
.LBB40_266:
	global_load_b32 v0, v0, s[2:3] offset:144
	s_wait_loadcnt 0x0
	v_cmp_eq_u32_e32 vcc_lo, 37, v0
	s_cbranch_vccnz .LBB40_268
; %bb.267:
	s_wait_xcnt 0x0
	v_lshlrev_b32_e32 v0, 3, v0
	s_delay_alu instid0(VALU_DEP_1)
	v_mov_b32_e32 v86, v0
	scratch_load_b64 v[0:1], v86, off offset:-8
	scratch_load_b64 v[84:85], off, off offset:288
	s_wait_loadcnt 0x1
	scratch_store_b64 off, v[0:1], off offset:288
	s_wait_loadcnt 0x0
	scratch_store_b64 v86, v[84:85], off offset:-8
.LBB40_268:
	s_wait_xcnt 0x0
	v_mov_b32_e32 v0, 0
	global_load_b32 v1, v0, s[2:3] offset:140
	s_wait_loadcnt 0x0
	v_cmp_eq_u32_e32 vcc_lo, 36, v1
	s_cbranch_vccnz .LBB40_270
; %bb.269:
	v_lshlrev_b32_e32 v1, 3, v1
	scratch_load_b64 v[84:85], v1, off offset:-8
	scratch_load_b64 v[86:87], off, off offset:280
	s_wait_loadcnt 0x1
	scratch_store_b64 off, v[84:85], off offset:280
	s_wait_loadcnt 0x0
	scratch_store_b64 v1, v[86:87], off offset:-8
.LBB40_270:
	;; [unrolled: 31-line block ×19, first 2 shown]
	global_load_b32 v84, v0, s[2:3]
	scratch_load_b64 v[0:1], off, off
	s_wait_loadcnt 0x1
	v_cmp_eq_u32_e32 vcc_lo, 1, v84
	s_cbranch_vccnz .LBB40_340
; %bb.339:
	v_lshlrev_b32_e32 v84, 3, v84
	s_delay_alu instid0(VALU_DEP_1)
	v_mov_b32_e32 v86, v84
	scratch_load_b64 v[84:85], v86, off offset:-8
	s_wait_loadcnt 0x0
	scratch_store_b64 off, v[84:85], off
	scratch_store_b64 v86, v[0:1], off offset:-8
	scratch_load_b64 v[0:1], off, off
.LBB40_340:
	v_lshl_add_u64 v[84:85], v[4:5], 3, s[4:5]
	v_lshl_add_u64 v[86:87], v[8:9], 3, s[4:5]
	;; [unrolled: 1-line block ×4, first 2 shown]
	s_clause 0x13
	scratch_load_b128 v[80:83], off, off offset:8
	scratch_load_b128 v[88:91], off, off offset:24
	;; [unrolled: 1-line block ×20, first 2 shown]
	v_lshl_add_u64 v[10:11], v[10:11], 3, s[4:5]
	v_lshl_add_u64 v[12:13], v[12:13], 3, s[4:5]
	;; [unrolled: 1-line block ×35, first 2 shown]
	s_wait_loadcnt 0x14
	global_store_b64 v[2:3], v[0:1], off
	s_wait_loadcnt 0x13
	s_clause 0x1
	global_store_b64 v[6:7], v[80:81], off
	global_store_b64 v[84:85], v[82:83], off
	s_wait_loadcnt 0x12
	s_clause 0x1
	global_store_b64 v[86:87], v[88:89], off
	;; [unrolled: 4-line block ×20, first 2 shown]
	global_store_b64 v[8:9], v[162:163], off
	s_sendmsg sendmsg(MSG_DEALLOC_VGPRS)
	s_endpgm
	.section	.rodata,"a",@progbits
	.p2align	6, 0x0
	.amdhsa_kernel _ZN9rocsolver6v33100L18getri_kernel_smallILi41E19rocblas_complex_numIfEPS3_EEvT1_iilPiilS6_bb
		.amdhsa_group_segment_fixed_size 664
		.amdhsa_private_segment_fixed_size 336
		.amdhsa_kernarg_size 60
		.amdhsa_user_sgpr_count 2
		.amdhsa_user_sgpr_dispatch_ptr 0
		.amdhsa_user_sgpr_queue_ptr 0
		.amdhsa_user_sgpr_kernarg_segment_ptr 1
		.amdhsa_user_sgpr_dispatch_id 0
		.amdhsa_user_sgpr_kernarg_preload_length 0
		.amdhsa_user_sgpr_kernarg_preload_offset 0
		.amdhsa_user_sgpr_private_segment_size 0
		.amdhsa_wavefront_size32 1
		.amdhsa_uses_dynamic_stack 0
		.amdhsa_enable_private_segment 1
		.amdhsa_system_sgpr_workgroup_id_x 1
		.amdhsa_system_sgpr_workgroup_id_y 0
		.amdhsa_system_sgpr_workgroup_id_z 0
		.amdhsa_system_sgpr_workgroup_info 0
		.amdhsa_system_vgpr_workitem_id 0
		.amdhsa_next_free_vgpr 252
		.amdhsa_next_free_sgpr 19
		.amdhsa_named_barrier_count 0
		.amdhsa_reserve_vcc 1
		.amdhsa_float_round_mode_32 0
		.amdhsa_float_round_mode_16_64 0
		.amdhsa_float_denorm_mode_32 3
		.amdhsa_float_denorm_mode_16_64 3
		.amdhsa_fp16_overflow 0
		.amdhsa_memory_ordered 1
		.amdhsa_forward_progress 1
		.amdhsa_inst_pref_size 255
		.amdhsa_round_robin_scheduling 0
		.amdhsa_exception_fp_ieee_invalid_op 0
		.amdhsa_exception_fp_denorm_src 0
		.amdhsa_exception_fp_ieee_div_zero 0
		.amdhsa_exception_fp_ieee_overflow 0
		.amdhsa_exception_fp_ieee_underflow 0
		.amdhsa_exception_fp_ieee_inexact 0
		.amdhsa_exception_int_div_zero 0
	.end_amdhsa_kernel
	.section	.text._ZN9rocsolver6v33100L18getri_kernel_smallILi41E19rocblas_complex_numIfEPS3_EEvT1_iilPiilS6_bb,"axG",@progbits,_ZN9rocsolver6v33100L18getri_kernel_smallILi41E19rocblas_complex_numIfEPS3_EEvT1_iilPiilS6_bb,comdat
.Lfunc_end40:
	.size	_ZN9rocsolver6v33100L18getri_kernel_smallILi41E19rocblas_complex_numIfEPS3_EEvT1_iilPiilS6_bb, .Lfunc_end40-_ZN9rocsolver6v33100L18getri_kernel_smallILi41E19rocblas_complex_numIfEPS3_EEvT1_iilPiilS6_bb
                                        ; -- End function
	.set _ZN9rocsolver6v33100L18getri_kernel_smallILi41E19rocblas_complex_numIfEPS3_EEvT1_iilPiilS6_bb.num_vgpr, 252
	.set _ZN9rocsolver6v33100L18getri_kernel_smallILi41E19rocblas_complex_numIfEPS3_EEvT1_iilPiilS6_bb.num_agpr, 0
	.set _ZN9rocsolver6v33100L18getri_kernel_smallILi41E19rocblas_complex_numIfEPS3_EEvT1_iilPiilS6_bb.numbered_sgpr, 19
	.set _ZN9rocsolver6v33100L18getri_kernel_smallILi41E19rocblas_complex_numIfEPS3_EEvT1_iilPiilS6_bb.num_named_barrier, 0
	.set _ZN9rocsolver6v33100L18getri_kernel_smallILi41E19rocblas_complex_numIfEPS3_EEvT1_iilPiilS6_bb.private_seg_size, 336
	.set _ZN9rocsolver6v33100L18getri_kernel_smallILi41E19rocblas_complex_numIfEPS3_EEvT1_iilPiilS6_bb.uses_vcc, 1
	.set _ZN9rocsolver6v33100L18getri_kernel_smallILi41E19rocblas_complex_numIfEPS3_EEvT1_iilPiilS6_bb.uses_flat_scratch, 1
	.set _ZN9rocsolver6v33100L18getri_kernel_smallILi41E19rocblas_complex_numIfEPS3_EEvT1_iilPiilS6_bb.has_dyn_sized_stack, 0
	.set _ZN9rocsolver6v33100L18getri_kernel_smallILi41E19rocblas_complex_numIfEPS3_EEvT1_iilPiilS6_bb.has_recursion, 0
	.set _ZN9rocsolver6v33100L18getri_kernel_smallILi41E19rocblas_complex_numIfEPS3_EEvT1_iilPiilS6_bb.has_indirect_call, 0
	.section	.AMDGPU.csdata,"",@progbits
; Kernel info:
; codeLenInByte = 66156
; TotalNumSgprs: 21
; NumVgprs: 252
; ScratchSize: 336
; MemoryBound: 0
; FloatMode: 240
; IeeeMode: 1
; LDSByteSize: 664 bytes/workgroup (compile time only)
; SGPRBlocks: 0
; VGPRBlocks: 15
; NumSGPRsForWavesPerEU: 21
; NumVGPRsForWavesPerEU: 252
; NamedBarCnt: 0
; Occupancy: 4
; WaveLimiterHint : 1
; COMPUTE_PGM_RSRC2:SCRATCH_EN: 1
; COMPUTE_PGM_RSRC2:USER_SGPR: 2
; COMPUTE_PGM_RSRC2:TRAP_HANDLER: 0
; COMPUTE_PGM_RSRC2:TGID_X_EN: 1
; COMPUTE_PGM_RSRC2:TGID_Y_EN: 0
; COMPUTE_PGM_RSRC2:TGID_Z_EN: 0
; COMPUTE_PGM_RSRC2:TIDIG_COMP_CNT: 0
	.section	.text._ZN9rocsolver6v33100L18getri_kernel_smallILi42E19rocblas_complex_numIfEPS3_EEvT1_iilPiilS6_bb,"axG",@progbits,_ZN9rocsolver6v33100L18getri_kernel_smallILi42E19rocblas_complex_numIfEPS3_EEvT1_iilPiilS6_bb,comdat
	.globl	_ZN9rocsolver6v33100L18getri_kernel_smallILi42E19rocblas_complex_numIfEPS3_EEvT1_iilPiilS6_bb ; -- Begin function _ZN9rocsolver6v33100L18getri_kernel_smallILi42E19rocblas_complex_numIfEPS3_EEvT1_iilPiilS6_bb
	.p2align	8
	.type	_ZN9rocsolver6v33100L18getri_kernel_smallILi42E19rocblas_complex_numIfEPS3_EEvT1_iilPiilS6_bb,@function
_ZN9rocsolver6v33100L18getri_kernel_smallILi42E19rocblas_complex_numIfEPS3_EEvT1_iilPiilS6_bb: ; @_ZN9rocsolver6v33100L18getri_kernel_smallILi42E19rocblas_complex_numIfEPS3_EEvT1_iilPiilS6_bb
; %bb.0:
	s_mov_b32 s2, exec_lo
	v_cmpx_gt_u32_e32 42, v0
	s_cbranch_execz .LBB41_182
; %bb.1:
	s_clause 0x2
	s_load_b32 s2, s[0:1], 0x38
	s_load_b128 s[12:15], s[0:1], 0x10
	s_load_b128 s[4:7], s[0:1], 0x28
	s_getreg_b32 s9, hwreg(HW_REG_IB_STS2, 6, 4)
	s_wait_kmcnt 0x0
	s_bitcmp1_b32 s2, 8
	s_cselect_b32 s18, -1, 0
	s_bfe_u32 s3, ttmp6, 0x4000c
	s_and_b32 s8, ttmp6, 15
	s_add_co_i32 s3, s3, 1
	s_delay_alu instid0(SALU_CYCLE_1) | instskip(NEXT) | instid1(SALU_CYCLE_1)
	s_mul_i32 s3, ttmp9, s3
	s_add_co_i32 s8, s8, s3
	s_cmp_eq_u32 s9, 0
	s_cselect_b32 s16, ttmp9, s8
	s_bfe_u32 s2, s2, 0x10008
	s_ashr_i32 s17, s16, 31
	s_cmp_eq_u32 s2, 0
                                        ; implicit-def: $sgpr2_sgpr3
	s_cbranch_scc1 .LBB41_3
; %bb.2:
	s_load_b32 s2, s[0:1], 0x20
	s_mul_u64 s[4:5], s[4:5], s[16:17]
	s_delay_alu instid0(SALU_CYCLE_1) | instskip(NEXT) | instid1(SALU_CYCLE_1)
	s_lshl_b64 s[4:5], s[4:5], 2
	s_add_nc_u64 s[4:5], s[14:15], s[4:5]
	s_wait_kmcnt 0x0
	s_ashr_i32 s3, s2, 31
	s_delay_alu instid0(SALU_CYCLE_1) | instskip(NEXT) | instid1(SALU_CYCLE_1)
	s_lshl_b64 s[2:3], s[2:3], 2
	s_add_nc_u64 s[2:3], s[4:5], s[2:3]
.LBB41_3:
	s_clause 0x1
	s_load_b128 s[8:11], s[0:1], 0x0
	s_load_b32 s14, s[0:1], 0x38
	s_wait_xcnt 0x0
	s_mul_u64 s[0:1], s[12:13], s[16:17]
	v_lshlrev_b32_e32 v86, 3, v0
	s_lshl_b64 s[0:1], s[0:1], 3
	v_mov_b32_e32 v87, 0
	s_wait_kmcnt 0x0
	v_add3_u32 v4, s11, s11, v0
	s_ashr_i32 s5, s10, 31
	s_mov_b32 s4, s10
	s_add_nc_u64 s[0:1], s[8:9], s[0:1]
	s_lshl_b64 s[4:5], s[4:5], 3
	v_add_nc_u32_e32 v6, s11, v4
	s_add_nc_u64 s[4:5], s[0:1], s[4:5]
	s_ashr_i32 s1, s11, 31
	s_mov_b32 s0, s11
	s_bitcmp0_b32 s14, 0
	v_add_nc_u32_e32 v10, s11, v6
	v_add_nc_u64_e32 v[2:3], s[4:5], v[86:87]
	s_delay_alu instid0(VALU_DEP_2) | instskip(NEXT) | instid1(VALU_DEP_2)
	v_add_nc_u32_e32 v12, s11, v10
	v_lshl_add_u64 v[8:9], s[0:1], 3, v[2:3]
	s_mov_b32 s1, -1
	s_delay_alu instid0(VALU_DEP_2)
	v_add_nc_u32_e32 v14, s11, v12
	s_clause 0x5
	global_load_b64 v[88:89], v0, s[4:5] scale_offset
	global_load_b64 v[90:91], v[8:9], off
	global_load_b64 v[92:93], v4, s[4:5] scale_offset
	global_load_b64 v[94:95], v6, s[4:5] scale_offset
	;; [unrolled: 1-line block ×4, first 2 shown]
	v_add_nc_u32_e32 v16, s11, v14
	s_delay_alu instid0(VALU_DEP_1) | instskip(NEXT) | instid1(VALU_DEP_1)
	v_add_nc_u32_e32 v18, s11, v16
	v_add_nc_u32_e32 v20, s11, v18
	s_delay_alu instid0(VALU_DEP_1) | instskip(NEXT) | instid1(VALU_DEP_1)
	v_add_nc_u32_e32 v22, s11, v20
	v_add_nc_u32_e32 v24, s11, v22
	s_delay_alu instid0(VALU_DEP_1)
	v_add_nc_u32_e32 v26, s11, v24
	s_clause 0x3
	global_load_b64 v[100:101], v14, s[4:5] scale_offset
	global_load_b64 v[102:103], v16, s[4:5] scale_offset
	;; [unrolled: 1-line block ×4, first 2 shown]
	v_add_nc_u32_e32 v28, s11, v26
	s_delay_alu instid0(VALU_DEP_1) | instskip(NEXT) | instid1(VALU_DEP_1)
	v_add_nc_u32_e32 v30, s11, v28
	v_add_nc_u32_e32 v32, s11, v30
	s_delay_alu instid0(VALU_DEP_1)
	v_add_nc_u32_e32 v34, s11, v32
	s_clause 0x3
	global_load_b64 v[108:109], v22, s[4:5] scale_offset
	global_load_b64 v[110:111], v24, s[4:5] scale_offset
	global_load_b64 v[112:113], v26, s[4:5] scale_offset
	global_load_b64 v[114:115], v28, s[4:5] scale_offset
	v_add_nc_u32_e32 v36, s11, v34
	s_delay_alu instid0(VALU_DEP_1)
	v_add_nc_u32_e32 v38, s11, v36
	s_clause 0x3
	global_load_b64 v[116:117], v30, s[4:5] scale_offset
	global_load_b64 v[118:119], v32, s[4:5] scale_offset
	;; [unrolled: 1-line block ×4, first 2 shown]
	v_add_nc_u32_e32 v40, s11, v38
	s_delay_alu instid0(VALU_DEP_1) | instskip(NEXT) | instid1(VALU_DEP_1)
	v_add_nc_u32_e32 v42, s11, v40
	v_add_nc_u32_e32 v44, s11, v42
	s_delay_alu instid0(VALU_DEP_1) | instskip(NEXT) | instid1(VALU_DEP_1)
	v_add_nc_u32_e32 v46, s11, v44
	v_add_nc_u32_e32 v48, s11, v46
	s_delay_alu instid0(VALU_DEP_1)
	v_add_nc_u32_e32 v50, s11, v48
	s_clause 0x3
	global_load_b64 v[124:125], v38, s[4:5] scale_offset
	global_load_b64 v[126:127], v40, s[4:5] scale_offset
	;; [unrolled: 1-line block ×4, first 2 shown]
	v_add_nc_u32_e32 v52, s11, v50
	s_clause 0x3
	global_load_b64 v[132:133], v46, s[4:5] scale_offset
	global_load_b64 v[134:135], v48, s[4:5] scale_offset
	;; [unrolled: 1-line block ×4, first 2 shown]
	v_add_nc_u32_e32 v54, s11, v52
	s_delay_alu instid0(VALU_DEP_1) | instskip(NEXT) | instid1(VALU_DEP_1)
	v_add_nc_u32_e32 v56, s11, v54
	v_add_nc_u32_e32 v58, s11, v56
	s_delay_alu instid0(VALU_DEP_1) | instskip(NEXT) | instid1(VALU_DEP_1)
	v_add_nc_u32_e32 v60, s11, v58
	;; [unrolled: 3-line block ×3, first 2 shown]
	v_add_nc_u32_e32 v66, s11, v64
	s_clause 0x3
	global_load_b64 v[140:141], v54, s[4:5] scale_offset
	global_load_b64 v[142:143], v56, s[4:5] scale_offset
	;; [unrolled: 1-line block ×4, first 2 shown]
	v_add_nc_u32_e32 v68, s11, v66
	s_delay_alu instid0(VALU_DEP_1) | instskip(NEXT) | instid1(VALU_DEP_1)
	v_add_nc_u32_e32 v70, s11, v68
	v_add_nc_u32_e32 v72, s11, v70
	s_delay_alu instid0(VALU_DEP_1)
	v_add_nc_u32_e32 v74, s11, v72
	s_clause 0x3
	global_load_b64 v[148:149], v62, s[4:5] scale_offset
	global_load_b64 v[150:151], v64, s[4:5] scale_offset
	;; [unrolled: 1-line block ×4, first 2 shown]
	v_add_nc_u32_e32 v76, s11, v74
	s_delay_alu instid0(VALU_DEP_1)
	v_add_nc_u32_e32 v78, s11, v76
	s_clause 0x3
	global_load_b64 v[156:157], v70, s[4:5] scale_offset
	global_load_b64 v[158:159], v72, s[4:5] scale_offset
	;; [unrolled: 1-line block ×4, first 2 shown]
	v_add_nc_u32_e32 v80, s11, v78
	s_delay_alu instid0(VALU_DEP_1) | instskip(NEXT) | instid1(VALU_DEP_1)
	v_add_nc_u32_e32 v82, s11, v80
	v_add_nc_u32_e32 v84, s11, v82
	s_clause 0x3
	global_load_b64 v[164:165], v78, s[4:5] scale_offset
	global_load_b64 v[166:167], v80, s[4:5] scale_offset
	;; [unrolled: 1-line block ×4, first 2 shown]
	s_wait_loadcnt 0x28
	scratch_store_b128 off, v[88:91], off
	s_wait_loadcnt 0x26
	scratch_store_b128 off, v[92:95], off offset:16
	s_wait_loadcnt 0x24
	scratch_store_b128 off, v[96:99], off offset:32
	;; [unrolled: 2-line block ×20, first 2 shown]
	s_cbranch_scc1 .LBB41_180
; %bb.4:
	v_cmp_eq_u32_e64 s0, 0, v0
	s_wait_xcnt 0x0
	s_and_saveexec_b32 s1, s0
; %bb.5:
	v_mov_b32_e32 v1, 0
	ds_store_b32 v1, v1 offset:672
; %bb.6:
	s_or_b32 exec_lo, exec_lo, s1
	s_wait_storecnt_dscnt 0x0
	s_barrier_signal -1
	s_barrier_wait -1
	scratch_load_b64 v[88:89], v0, off scale_offset
	s_wait_loadcnt 0x0
	v_cmp_eq_f32_e32 vcc_lo, 0, v88
	v_cmp_eq_f32_e64 s1, 0, v89
	s_and_b32 s1, vcc_lo, s1
	s_delay_alu instid0(SALU_CYCLE_1)
	s_and_saveexec_b32 s8, s1
	s_cbranch_execz .LBB41_10
; %bb.7:
	v_mov_b32_e32 v1, 0
	s_mov_b32 s9, 0
	ds_load_b32 v5, v1 offset:672
	s_wait_dscnt 0x0
	v_readfirstlane_b32 s1, v5
	v_add_nc_u32_e32 v5, 1, v0
	s_cmp_eq_u32 s1, 0
	s_delay_alu instid0(VALU_DEP_1) | instskip(SKIP_1) | instid1(SALU_CYCLE_1)
	v_cmp_gt_i32_e32 vcc_lo, s1, v5
	s_cselect_b32 s10, -1, 0
	s_or_b32 s10, s10, vcc_lo
	s_delay_alu instid0(SALU_CYCLE_1)
	s_and_b32 exec_lo, exec_lo, s10
	s_cbranch_execz .LBB41_10
; %bb.8:
	v_mov_b32_e32 v7, s1
.LBB41_9:                               ; =>This Inner Loop Header: Depth=1
	ds_cmpstore_rtn_b32 v7, v1, v5, v7 offset:672
	s_wait_dscnt 0x0
	v_cmp_ne_u32_e32 vcc_lo, 0, v7
	v_cmp_le_i32_e64 s1, v7, v5
	s_and_b32 s1, vcc_lo, s1
	s_delay_alu instid0(SALU_CYCLE_1) | instskip(NEXT) | instid1(SALU_CYCLE_1)
	s_and_b32 s1, exec_lo, s1
	s_or_b32 s9, s1, s9
	s_delay_alu instid0(SALU_CYCLE_1)
	s_and_not1_b32 exec_lo, exec_lo, s9
	s_cbranch_execnz .LBB41_9
.LBB41_10:
	s_or_b32 exec_lo, exec_lo, s8
	v_mov_b32_e32 v1, 0
	s_barrier_signal -1
	s_barrier_wait -1
	ds_load_b32 v5, v1 offset:672
	s_and_saveexec_b32 s1, s0
	s_cbranch_execz .LBB41_12
; %bb.11:
	s_lshl_b64 s[8:9], s[16:17], 2
	s_delay_alu instid0(SALU_CYCLE_1)
	s_add_nc_u64 s[8:9], s[6:7], s[8:9]
	s_wait_dscnt 0x0
	global_store_b32 v1, v5, s[8:9]
.LBB41_12:
	s_wait_xcnt 0x0
	s_or_b32 exec_lo, exec_lo, s1
	s_wait_dscnt 0x0
	v_cmp_ne_u32_e32 vcc_lo, 0, v5
	s_mov_b32 s1, 0
	s_cbranch_vccnz .LBB41_180
; %bb.13:
	v_lshl_add_u32 v5, v0, 3, 0
                                        ; implicit-def: $vgpr91
                                        ; implicit-def: $vgpr92
	scratch_load_b64 v[88:89], v5, off
	s_wait_loadcnt 0x0
	v_cmp_ngt_f32_e64 s1, |v88|, |v89|
	s_wait_xcnt 0x0
	s_and_saveexec_b32 s8, s1
	s_delay_alu instid0(SALU_CYCLE_1)
	s_xor_b32 s1, exec_lo, s8
	s_cbranch_execz .LBB41_15
; %bb.14:
	v_div_scale_f32 v1, null, v89, v89, v88
	v_div_scale_f32 v13, vcc_lo, v88, v89, v88
	s_delay_alu instid0(VALU_DEP_2) | instskip(SKIP_1) | instid1(TRANS32_DEP_1)
	v_rcp_f32_e32 v7, v1
	v_nop
	v_fma_f32 v11, -v1, v7, 1.0
	s_delay_alu instid0(VALU_DEP_1) | instskip(NEXT) | instid1(VALU_DEP_1)
	v_fmac_f32_e32 v7, v11, v7
	v_mul_f32_e32 v11, v13, v7
	s_delay_alu instid0(VALU_DEP_1) | instskip(NEXT) | instid1(VALU_DEP_1)
	v_fma_f32 v15, -v1, v11, v13
	v_fmac_f32_e32 v11, v15, v7
	s_delay_alu instid0(VALU_DEP_1) | instskip(NEXT) | instid1(VALU_DEP_1)
	v_fma_f32 v1, -v1, v11, v13
	v_div_fmas_f32 v1, v1, v7, v11
	s_delay_alu instid0(VALU_DEP_1) | instskip(NEXT) | instid1(VALU_DEP_1)
	v_div_fixup_f32 v1, v1, v89, v88
	v_fmac_f32_e32 v89, v88, v1
	s_delay_alu instid0(VALU_DEP_1) | instskip(NEXT) | instid1(VALU_DEP_1)
	v_div_scale_f32 v7, null, v89, v89, -1.0
	v_rcp_f32_e32 v11, v7
	v_nop
	s_delay_alu instid0(TRANS32_DEP_1) | instskip(NEXT) | instid1(VALU_DEP_1)
	v_fma_f32 v13, -v7, v11, 1.0
	v_fmac_f32_e32 v11, v13, v11
	v_div_scale_f32 v13, vcc_lo, -1.0, v89, -1.0
	s_delay_alu instid0(VALU_DEP_1) | instskip(NEXT) | instid1(VALU_DEP_1)
	v_mul_f32_e32 v15, v13, v11
	v_fma_f32 v17, -v7, v15, v13
	s_delay_alu instid0(VALU_DEP_1) | instskip(NEXT) | instid1(VALU_DEP_1)
	v_fmac_f32_e32 v15, v17, v11
	v_fma_f32 v7, -v7, v15, v13
	s_delay_alu instid0(VALU_DEP_1) | instskip(NEXT) | instid1(VALU_DEP_1)
	v_div_fmas_f32 v7, v7, v11, v15
	v_div_fixup_f32 v91, v7, v89, -1.0
                                        ; implicit-def: $vgpr88_vgpr89
	s_delay_alu instid0(VALU_DEP_1) | instskip(NEXT) | instid1(VALU_DEP_1)
	v_mul_f32_e32 v92, v1, v91
	v_xor_b32_e32 v90, 0x80000000, v92
.LBB41_15:
	s_and_not1_saveexec_b32 s1, s1
	s_cbranch_execz .LBB41_17
; %bb.16:
	v_div_scale_f32 v1, null, v88, v88, v89
	v_div_scale_f32 v13, vcc_lo, v89, v88, v89
	s_delay_alu instid0(VALU_DEP_2) | instskip(SKIP_1) | instid1(TRANS32_DEP_1)
	v_rcp_f32_e32 v7, v1
	v_nop
	v_fma_f32 v11, -v1, v7, 1.0
	s_delay_alu instid0(VALU_DEP_1) | instskip(NEXT) | instid1(VALU_DEP_1)
	v_fmac_f32_e32 v7, v11, v7
	v_mul_f32_e32 v11, v13, v7
	s_delay_alu instid0(VALU_DEP_1) | instskip(NEXT) | instid1(VALU_DEP_1)
	v_fma_f32 v15, -v1, v11, v13
	v_fmac_f32_e32 v11, v15, v7
	s_delay_alu instid0(VALU_DEP_1) | instskip(NEXT) | instid1(VALU_DEP_1)
	v_fma_f32 v1, -v1, v11, v13
	v_div_fmas_f32 v1, v1, v7, v11
	s_delay_alu instid0(VALU_DEP_1) | instskip(NEXT) | instid1(VALU_DEP_1)
	v_div_fixup_f32 v1, v1, v88, v89
	v_fmac_f32_e32 v88, v89, v1
	s_delay_alu instid0(VALU_DEP_1) | instskip(SKIP_1) | instid1(VALU_DEP_2)
	v_div_scale_f32 v7, null, v88, v88, 1.0
	v_div_scale_f32 v15, vcc_lo, 1.0, v88, 1.0
	v_rcp_f32_e32 v11, v7
	v_nop
	s_delay_alu instid0(TRANS32_DEP_1) | instskip(NEXT) | instid1(VALU_DEP_1)
	v_fma_f32 v13, -v7, v11, 1.0
	v_fmac_f32_e32 v11, v13, v11
	s_delay_alu instid0(VALU_DEP_1) | instskip(NEXT) | instid1(VALU_DEP_1)
	v_mul_f32_e32 v13, v15, v11
	v_fma_f32 v17, -v7, v13, v15
	s_delay_alu instid0(VALU_DEP_1) | instskip(NEXT) | instid1(VALU_DEP_1)
	v_fmac_f32_e32 v13, v17, v11
	v_fma_f32 v7, -v7, v13, v15
	s_delay_alu instid0(VALU_DEP_1) | instskip(NEXT) | instid1(VALU_DEP_1)
	v_div_fmas_f32 v7, v7, v11, v13
	v_div_fixup_f32 v90, v7, v88, 1.0
	s_delay_alu instid0(VALU_DEP_1)
	v_xor_b32_e32 v92, 0x80000000, v90
	v_mul_f32_e64 v91, v1, -v90
.LBB41_17:
	s_or_b32 exec_lo, exec_lo, s1
	scratch_store_b64 v5, v[90:91], off
	scratch_load_b64 v[88:89], off, off offset:8
	v_xor_b32_e32 v93, 0x80000000, v91
	v_add_nc_u32_e32 v1, 0x150, v86
	s_wait_loadcnt 0x0
	ds_store_2addr_b64 v86, v[92:93], v[88:89] offset1:42
	s_wait_storecnt_dscnt 0x0
	s_barrier_signal -1
	s_barrier_wait -1
	s_wait_xcnt 0x0
	s_and_saveexec_b32 s1, s0
	s_cbranch_execz .LBB41_19
; %bb.18:
	scratch_load_b64 v[88:89], v5, off
	ds_load_b64 v[90:91], v1
	s_wait_loadcnt_dscnt 0x0
	v_pk_mul_f32 v[94:95], v[90:91], v[88:89] op_sel:[1,1] op_sel_hi:[0,1]
	s_delay_alu instid0(VALU_DEP_1) | instskip(SKIP_2) | instid1(VALU_DEP_3)
	v_pk_fma_f32 v[96:97], v[90:91], v[88:89], v[94:95] op_sel_hi:[1,0,1]
	v_mov_b32_e32 v7, 0
	v_pk_fma_f32 v[88:89], v[90:91], v[88:89], v[94:95] neg_lo:[0,0,1] neg_hi:[0,0,1]
	v_mov_b32_e32 v89, v97
	ds_load_b64 v[92:93], v7 offset:8
	v_pk_add_f32 v[88:89], v[88:89], 0 op_sel_hi:[1,0]
	s_wait_dscnt 0x0
	s_delay_alu instid0(VALU_DEP_1) | instskip(NEXT) | instid1(VALU_DEP_1)
	v_pk_mul_f32 v[90:91], v[88:89], v[92:93] op_sel:[1,1] op_sel_hi:[0,1]
	v_pk_fma_f32 v[94:95], v[88:89], v[92:93], v[90:91] op_sel_hi:[1,0,1]
	v_pk_fma_f32 v[88:89], v[88:89], v[92:93], v[90:91] neg_lo:[0,0,1] neg_hi:[0,0,1]
	s_delay_alu instid0(VALU_DEP_2)
	v_mov_b32_e32 v89, v95
	scratch_store_b64 off, v[88:89], off offset:8
.LBB41_19:
	s_wait_xcnt 0x0
	s_or_b32 exec_lo, exec_lo, s1
	s_wait_storecnt 0x0
	s_barrier_signal -1
	s_barrier_wait -1
	scratch_load_b64 v[88:89], off, off offset:16
	s_mov_b32 s1, exec_lo
	s_wait_loadcnt 0x0
	ds_store_b64 v1, v[88:89]
	s_wait_dscnt 0x0
	s_barrier_signal -1
	s_barrier_wait -1
	v_cmpx_gt_u32_e32 2, v0
	s_cbranch_execz .LBB41_23
; %bb.20:
	scratch_load_b64 v[88:89], v5, off
	ds_load_b64 v[90:91], v1
	s_wait_loadcnt_dscnt 0x0
	v_pk_mul_f32 v[92:93], v[90:91], v[88:89] op_sel:[1,1] op_sel_hi:[0,1]
	s_delay_alu instid0(VALU_DEP_1) | instskip(SKIP_1) | instid1(VALU_DEP_2)
	v_pk_fma_f32 v[94:95], v[90:91], v[88:89], v[92:93] op_sel_hi:[1,0,1]
	v_pk_fma_f32 v[88:89], v[90:91], v[88:89], v[92:93] neg_lo:[0,0,1] neg_hi:[0,0,1]
	v_mov_b32_e32 v89, v95
	s_delay_alu instid0(VALU_DEP_1)
	v_pk_add_f32 v[88:89], v[88:89], 0 op_sel_hi:[1,0]
	s_and_saveexec_b32 s8, s0
	s_cbranch_execz .LBB41_22
; %bb.21:
	scratch_load_b64 v[90:91], off, off offset:8
	v_mov_b32_e32 v5, 0
	ds_load_b64 v[92:93], v5 offset:344
	s_wait_loadcnt_dscnt 0x0
	v_pk_mul_f32 v[94:95], v[92:93], v[90:91] op_sel:[1,1] op_sel_hi:[0,1]
	s_delay_alu instid0(VALU_DEP_1) | instskip(SKIP_1) | instid1(VALU_DEP_2)
	v_pk_fma_f32 v[96:97], v[92:93], v[90:91], v[94:95] op_sel_hi:[1,0,1]
	v_pk_fma_f32 v[90:91], v[92:93], v[90:91], v[94:95] neg_lo:[0,0,1] neg_hi:[0,0,1]
	v_mov_b32_e32 v91, v97
	s_delay_alu instid0(VALU_DEP_1)
	v_pk_add_f32 v[88:89], v[88:89], v[90:91]
.LBB41_22:
	s_or_b32 exec_lo, exec_lo, s8
	v_mov_b32_e32 v5, 0
	ds_load_b64 v[90:91], v5 offset:16
	s_wait_dscnt 0x0
	v_pk_mul_f32 v[92:93], v[88:89], v[90:91] op_sel:[1,1] op_sel_hi:[0,1]
	s_delay_alu instid0(VALU_DEP_1) | instskip(SKIP_1) | instid1(VALU_DEP_2)
	v_pk_fma_f32 v[94:95], v[88:89], v[90:91], v[92:93] op_sel_hi:[1,0,1]
	v_pk_fma_f32 v[88:89], v[88:89], v[90:91], v[92:93] neg_lo:[0,0,1] neg_hi:[0,0,1]
	v_mov_b32_e32 v89, v95
	scratch_store_b64 off, v[88:89], off offset:16
.LBB41_23:
	s_wait_xcnt 0x0
	s_or_b32 exec_lo, exec_lo, s1
	s_wait_storecnt 0x0
	s_barrier_signal -1
	s_barrier_wait -1
	scratch_load_b64 v[88:89], off, off offset:24
	v_add_nc_u32_e32 v5, -1, v0
	s_mov_b32 s0, exec_lo
	s_wait_loadcnt 0x0
	ds_store_b64 v1, v[88:89]
	s_wait_dscnt 0x0
	s_barrier_signal -1
	s_barrier_wait -1
	v_cmpx_gt_u32_e32 3, v0
	s_cbranch_execz .LBB41_27
; %bb.24:
	v_dual_mov_b32 v88, 0 :: v_dual_add_nc_u32 v7, -1, v0
	v_add_nc_u32_e32 v11, 0x150, v86
	v_mov_b32_e32 v13, v86
	s_mov_b32 s1, 0
	s_delay_alu instid0(VALU_DEP_3)
	v_mov_b32_e32 v89, v88
.LBB41_25:                              ; =>This Inner Loop Header: Depth=1
	scratch_load_b64 v[90:91], v13, off
	ds_load_b64 v[92:93], v11
	s_wait_xcnt 0x0
	v_dual_add_nc_u32 v11, 8, v11 :: v_dual_add_nc_u32 v13, 8, v13
	s_wait_loadcnt_dscnt 0x0
	v_pk_mul_f32 v[94:95], v[92:93], v[90:91] op_sel:[1,1] op_sel_hi:[0,1]
	s_delay_alu instid0(VALU_DEP_1) | instskip(SKIP_2) | instid1(VALU_DEP_3)
	v_pk_fma_f32 v[96:97], v[92:93], v[90:91], v[94:95] op_sel_hi:[1,0,1]
	v_add_nc_u32_e32 v7, 1, v7
	v_pk_fma_f32 v[90:91], v[92:93], v[90:91], v[94:95] neg_lo:[0,0,1] neg_hi:[0,0,1]
	v_mov_b32_e32 v91, v97
	s_delay_alu instid0(VALU_DEP_3) | instskip(NEXT) | instid1(VALU_DEP_2)
	v_cmp_lt_u32_e32 vcc_lo, 1, v7
	v_pk_add_f32 v[88:89], v[88:89], v[90:91]
	s_or_b32 s1, vcc_lo, s1
	s_delay_alu instid0(SALU_CYCLE_1)
	s_and_not1_b32 exec_lo, exec_lo, s1
	s_cbranch_execnz .LBB41_25
; %bb.26:
	s_or_b32 exec_lo, exec_lo, s1
	v_mov_b32_e32 v7, 0
	ds_load_b64 v[90:91], v7 offset:24
	s_wait_dscnt 0x0
	v_pk_mul_f32 v[92:93], v[88:89], v[90:91] op_sel:[1,1] op_sel_hi:[0,1]
	s_delay_alu instid0(VALU_DEP_1) | instskip(SKIP_1) | instid1(VALU_DEP_2)
	v_pk_fma_f32 v[94:95], v[88:89], v[90:91], v[92:93] op_sel_hi:[1,0,1]
	v_pk_fma_f32 v[88:89], v[88:89], v[90:91], v[92:93] neg_lo:[0,0,1] neg_hi:[0,0,1]
	v_mov_b32_e32 v89, v95
	scratch_store_b64 off, v[88:89], off offset:24
.LBB41_27:
	s_wait_xcnt 0x0
	s_or_b32 exec_lo, exec_lo, s0
	s_wait_storecnt 0x0
	s_barrier_signal -1
	s_barrier_wait -1
	scratch_load_b64 v[88:89], off, off offset:32
	s_mov_b32 s0, exec_lo
	s_wait_loadcnt 0x0
	ds_store_b64 v1, v[88:89]
	s_wait_dscnt 0x0
	s_barrier_signal -1
	s_barrier_wait -1
	v_cmpx_gt_u32_e32 4, v0
	s_cbranch_execz .LBB41_31
; %bb.28:
	v_dual_mov_b32 v88, 0 :: v_dual_add_nc_u32 v7, -1, v0
	v_add_nc_u32_e32 v11, 0x150, v86
	v_mov_b32_e32 v13, v86
	s_mov_b32 s1, 0
	s_delay_alu instid0(VALU_DEP_3)
	v_mov_b32_e32 v89, v88
.LBB41_29:                              ; =>This Inner Loop Header: Depth=1
	scratch_load_b64 v[90:91], v13, off
	ds_load_b64 v[92:93], v11
	s_wait_xcnt 0x0
	v_dual_add_nc_u32 v11, 8, v11 :: v_dual_add_nc_u32 v13, 8, v13
	s_wait_loadcnt_dscnt 0x0
	v_pk_mul_f32 v[94:95], v[92:93], v[90:91] op_sel:[1,1] op_sel_hi:[0,1]
	s_delay_alu instid0(VALU_DEP_1) | instskip(SKIP_2) | instid1(VALU_DEP_3)
	v_pk_fma_f32 v[96:97], v[92:93], v[90:91], v[94:95] op_sel_hi:[1,0,1]
	v_add_nc_u32_e32 v7, 1, v7
	v_pk_fma_f32 v[90:91], v[92:93], v[90:91], v[94:95] neg_lo:[0,0,1] neg_hi:[0,0,1]
	v_mov_b32_e32 v91, v97
	s_delay_alu instid0(VALU_DEP_3) | instskip(NEXT) | instid1(VALU_DEP_2)
	v_cmp_lt_u32_e32 vcc_lo, 2, v7
	v_pk_add_f32 v[88:89], v[88:89], v[90:91]
	s_or_b32 s1, vcc_lo, s1
	s_delay_alu instid0(SALU_CYCLE_1)
	s_and_not1_b32 exec_lo, exec_lo, s1
	s_cbranch_execnz .LBB41_29
; %bb.30:
	s_or_b32 exec_lo, exec_lo, s1
	v_mov_b32_e32 v7, 0
	ds_load_b64 v[90:91], v7 offset:32
	s_wait_dscnt 0x0
	v_pk_mul_f32 v[92:93], v[88:89], v[90:91] op_sel:[1,1] op_sel_hi:[0,1]
	s_delay_alu instid0(VALU_DEP_1) | instskip(SKIP_1) | instid1(VALU_DEP_2)
	v_pk_fma_f32 v[94:95], v[88:89], v[90:91], v[92:93] op_sel_hi:[1,0,1]
	v_pk_fma_f32 v[88:89], v[88:89], v[90:91], v[92:93] neg_lo:[0,0,1] neg_hi:[0,0,1]
	v_mov_b32_e32 v89, v95
	scratch_store_b64 off, v[88:89], off offset:32
.LBB41_31:
	s_wait_xcnt 0x0
	s_or_b32 exec_lo, exec_lo, s0
	s_wait_storecnt 0x0
	s_barrier_signal -1
	s_barrier_wait -1
	scratch_load_b64 v[88:89], off, off offset:40
	;; [unrolled: 52-line block ×19, first 2 shown]
	s_mov_b32 s0, exec_lo
	s_wait_loadcnt 0x0
	ds_store_b64 v1, v[88:89]
	s_wait_dscnt 0x0
	s_barrier_signal -1
	s_barrier_wait -1
	v_cmpx_gt_u32_e32 22, v0
	s_cbranch_execz .LBB41_103
; %bb.100:
	v_dual_mov_b32 v88, 0 :: v_dual_add_nc_u32 v7, -1, v0
	v_add_nc_u32_e32 v11, 0x150, v86
	v_mov_b32_e32 v13, v86
	s_mov_b32 s1, 0
	s_delay_alu instid0(VALU_DEP_3)
	v_mov_b32_e32 v89, v88
.LBB41_101:                             ; =>This Inner Loop Header: Depth=1
	scratch_load_b64 v[90:91], v13, off
	ds_load_b64 v[92:93], v11
	s_wait_xcnt 0x0
	v_dual_add_nc_u32 v11, 8, v11 :: v_dual_add_nc_u32 v13, 8, v13
	s_wait_loadcnt_dscnt 0x0
	v_pk_mul_f32 v[94:95], v[92:93], v[90:91] op_sel:[1,1] op_sel_hi:[0,1]
	s_delay_alu instid0(VALU_DEP_1) | instskip(SKIP_2) | instid1(VALU_DEP_3)
	v_pk_fma_f32 v[96:97], v[92:93], v[90:91], v[94:95] op_sel_hi:[1,0,1]
	v_add_nc_u32_e32 v7, 1, v7
	v_pk_fma_f32 v[90:91], v[92:93], v[90:91], v[94:95] neg_lo:[0,0,1] neg_hi:[0,0,1]
	v_mov_b32_e32 v91, v97
	s_delay_alu instid0(VALU_DEP_3) | instskip(NEXT) | instid1(VALU_DEP_2)
	v_cmp_lt_u32_e32 vcc_lo, 20, v7
	v_pk_add_f32 v[88:89], v[88:89], v[90:91]
	s_or_b32 s1, vcc_lo, s1
	s_delay_alu instid0(SALU_CYCLE_1)
	s_and_not1_b32 exec_lo, exec_lo, s1
	s_cbranch_execnz .LBB41_101
; %bb.102:
	s_or_b32 exec_lo, exec_lo, s1
	v_mov_b32_e32 v7, 0
	ds_load_b64 v[90:91], v7 offset:176
	s_wait_dscnt 0x0
	v_pk_mul_f32 v[92:93], v[88:89], v[90:91] op_sel:[1,1] op_sel_hi:[0,1]
	s_delay_alu instid0(VALU_DEP_1) | instskip(SKIP_1) | instid1(VALU_DEP_2)
	v_pk_fma_f32 v[94:95], v[88:89], v[90:91], v[92:93] op_sel_hi:[1,0,1]
	v_pk_fma_f32 v[88:89], v[88:89], v[90:91], v[92:93] neg_lo:[0,0,1] neg_hi:[0,0,1]
	v_mov_b32_e32 v89, v95
	scratch_store_b64 off, v[88:89], off offset:176
.LBB41_103:
	s_wait_xcnt 0x0
	s_or_b32 exec_lo, exec_lo, s0
	s_wait_storecnt 0x0
	s_barrier_signal -1
	s_barrier_wait -1
	scratch_load_b64 v[88:89], off, off offset:184
	s_mov_b32 s0, exec_lo
	s_wait_loadcnt 0x0
	ds_store_b64 v1, v[88:89]
	s_wait_dscnt 0x0
	s_barrier_signal -1
	s_barrier_wait -1
	v_cmpx_gt_u32_e32 23, v0
	s_cbranch_execz .LBB41_107
; %bb.104:
	v_dual_mov_b32 v88, 0 :: v_dual_add_nc_u32 v7, -1, v0
	v_add_nc_u32_e32 v11, 0x150, v86
	v_mov_b32_e32 v13, v86
	s_mov_b32 s1, 0
	s_delay_alu instid0(VALU_DEP_3)
	v_mov_b32_e32 v89, v88
.LBB41_105:                             ; =>This Inner Loop Header: Depth=1
	scratch_load_b64 v[90:91], v13, off
	ds_load_b64 v[92:93], v11
	s_wait_xcnt 0x0
	v_dual_add_nc_u32 v11, 8, v11 :: v_dual_add_nc_u32 v13, 8, v13
	s_wait_loadcnt_dscnt 0x0
	v_pk_mul_f32 v[94:95], v[92:93], v[90:91] op_sel:[1,1] op_sel_hi:[0,1]
	s_delay_alu instid0(VALU_DEP_1) | instskip(SKIP_2) | instid1(VALU_DEP_3)
	v_pk_fma_f32 v[96:97], v[92:93], v[90:91], v[94:95] op_sel_hi:[1,0,1]
	v_add_nc_u32_e32 v7, 1, v7
	v_pk_fma_f32 v[90:91], v[92:93], v[90:91], v[94:95] neg_lo:[0,0,1] neg_hi:[0,0,1]
	v_mov_b32_e32 v91, v97
	s_delay_alu instid0(VALU_DEP_3) | instskip(NEXT) | instid1(VALU_DEP_2)
	v_cmp_lt_u32_e32 vcc_lo, 21, v7
	v_pk_add_f32 v[88:89], v[88:89], v[90:91]
	s_or_b32 s1, vcc_lo, s1
	s_delay_alu instid0(SALU_CYCLE_1)
	s_and_not1_b32 exec_lo, exec_lo, s1
	s_cbranch_execnz .LBB41_105
; %bb.106:
	s_or_b32 exec_lo, exec_lo, s1
	v_mov_b32_e32 v7, 0
	ds_load_b64 v[90:91], v7 offset:184
	s_wait_dscnt 0x0
	v_pk_mul_f32 v[92:93], v[88:89], v[90:91] op_sel:[1,1] op_sel_hi:[0,1]
	s_delay_alu instid0(VALU_DEP_1) | instskip(SKIP_1) | instid1(VALU_DEP_2)
	v_pk_fma_f32 v[94:95], v[88:89], v[90:91], v[92:93] op_sel_hi:[1,0,1]
	v_pk_fma_f32 v[88:89], v[88:89], v[90:91], v[92:93] neg_lo:[0,0,1] neg_hi:[0,0,1]
	v_mov_b32_e32 v89, v95
	scratch_store_b64 off, v[88:89], off offset:184
.LBB41_107:
	s_wait_xcnt 0x0
	s_or_b32 exec_lo, exec_lo, s0
	s_wait_storecnt 0x0
	s_barrier_signal -1
	s_barrier_wait -1
	scratch_load_b64 v[88:89], off, off offset:192
	s_mov_b32 s0, exec_lo
	s_wait_loadcnt 0x0
	ds_store_b64 v1, v[88:89]
	s_wait_dscnt 0x0
	s_barrier_signal -1
	s_barrier_wait -1
	v_cmpx_gt_u32_e32 24, v0
	s_cbranch_execz .LBB41_111
; %bb.108:
	v_dual_mov_b32 v88, 0 :: v_dual_add_nc_u32 v7, -1, v0
	v_add_nc_u32_e32 v11, 0x150, v86
	v_mov_b32_e32 v13, v86
	s_mov_b32 s1, 0
	s_delay_alu instid0(VALU_DEP_3)
	v_mov_b32_e32 v89, v88
.LBB41_109:                             ; =>This Inner Loop Header: Depth=1
	scratch_load_b64 v[90:91], v13, off
	ds_load_b64 v[92:93], v11
	s_wait_xcnt 0x0
	v_dual_add_nc_u32 v11, 8, v11 :: v_dual_add_nc_u32 v13, 8, v13
	s_wait_loadcnt_dscnt 0x0
	v_pk_mul_f32 v[94:95], v[92:93], v[90:91] op_sel:[1,1] op_sel_hi:[0,1]
	s_delay_alu instid0(VALU_DEP_1) | instskip(SKIP_2) | instid1(VALU_DEP_3)
	v_pk_fma_f32 v[96:97], v[92:93], v[90:91], v[94:95] op_sel_hi:[1,0,1]
	v_add_nc_u32_e32 v7, 1, v7
	v_pk_fma_f32 v[90:91], v[92:93], v[90:91], v[94:95] neg_lo:[0,0,1] neg_hi:[0,0,1]
	v_mov_b32_e32 v91, v97
	s_delay_alu instid0(VALU_DEP_3) | instskip(NEXT) | instid1(VALU_DEP_2)
	v_cmp_lt_u32_e32 vcc_lo, 22, v7
	v_pk_add_f32 v[88:89], v[88:89], v[90:91]
	s_or_b32 s1, vcc_lo, s1
	s_delay_alu instid0(SALU_CYCLE_1)
	s_and_not1_b32 exec_lo, exec_lo, s1
	s_cbranch_execnz .LBB41_109
; %bb.110:
	s_or_b32 exec_lo, exec_lo, s1
	v_mov_b32_e32 v7, 0
	ds_load_b64 v[90:91], v7 offset:192
	s_wait_dscnt 0x0
	v_pk_mul_f32 v[92:93], v[88:89], v[90:91] op_sel:[1,1] op_sel_hi:[0,1]
	s_delay_alu instid0(VALU_DEP_1) | instskip(SKIP_1) | instid1(VALU_DEP_2)
	v_pk_fma_f32 v[94:95], v[88:89], v[90:91], v[92:93] op_sel_hi:[1,0,1]
	v_pk_fma_f32 v[88:89], v[88:89], v[90:91], v[92:93] neg_lo:[0,0,1] neg_hi:[0,0,1]
	v_mov_b32_e32 v89, v95
	scratch_store_b64 off, v[88:89], off offset:192
.LBB41_111:
	s_wait_xcnt 0x0
	s_or_b32 exec_lo, exec_lo, s0
	s_wait_storecnt 0x0
	s_barrier_signal -1
	s_barrier_wait -1
	scratch_load_b64 v[88:89], off, off offset:200
	s_mov_b32 s0, exec_lo
	s_wait_loadcnt 0x0
	ds_store_b64 v1, v[88:89]
	s_wait_dscnt 0x0
	s_barrier_signal -1
	s_barrier_wait -1
	v_cmpx_gt_u32_e32 25, v0
	s_cbranch_execz .LBB41_115
; %bb.112:
	v_dual_mov_b32 v88, 0 :: v_dual_add_nc_u32 v7, -1, v0
	v_add_nc_u32_e32 v11, 0x150, v86
	v_mov_b32_e32 v13, v86
	s_mov_b32 s1, 0
	s_delay_alu instid0(VALU_DEP_3)
	v_mov_b32_e32 v89, v88
.LBB41_113:                             ; =>This Inner Loop Header: Depth=1
	scratch_load_b64 v[90:91], v13, off
	ds_load_b64 v[92:93], v11
	s_wait_xcnt 0x0
	v_dual_add_nc_u32 v11, 8, v11 :: v_dual_add_nc_u32 v13, 8, v13
	s_wait_loadcnt_dscnt 0x0
	v_pk_mul_f32 v[94:95], v[92:93], v[90:91] op_sel:[1,1] op_sel_hi:[0,1]
	s_delay_alu instid0(VALU_DEP_1) | instskip(SKIP_2) | instid1(VALU_DEP_3)
	v_pk_fma_f32 v[96:97], v[92:93], v[90:91], v[94:95] op_sel_hi:[1,0,1]
	v_add_nc_u32_e32 v7, 1, v7
	v_pk_fma_f32 v[90:91], v[92:93], v[90:91], v[94:95] neg_lo:[0,0,1] neg_hi:[0,0,1]
	v_mov_b32_e32 v91, v97
	s_delay_alu instid0(VALU_DEP_3) | instskip(NEXT) | instid1(VALU_DEP_2)
	v_cmp_lt_u32_e32 vcc_lo, 23, v7
	v_pk_add_f32 v[88:89], v[88:89], v[90:91]
	s_or_b32 s1, vcc_lo, s1
	s_delay_alu instid0(SALU_CYCLE_1)
	s_and_not1_b32 exec_lo, exec_lo, s1
	s_cbranch_execnz .LBB41_113
; %bb.114:
	s_or_b32 exec_lo, exec_lo, s1
	v_mov_b32_e32 v7, 0
	ds_load_b64 v[90:91], v7 offset:200
	s_wait_dscnt 0x0
	v_pk_mul_f32 v[92:93], v[88:89], v[90:91] op_sel:[1,1] op_sel_hi:[0,1]
	s_delay_alu instid0(VALU_DEP_1) | instskip(SKIP_1) | instid1(VALU_DEP_2)
	v_pk_fma_f32 v[94:95], v[88:89], v[90:91], v[92:93] op_sel_hi:[1,0,1]
	v_pk_fma_f32 v[88:89], v[88:89], v[90:91], v[92:93] neg_lo:[0,0,1] neg_hi:[0,0,1]
	v_mov_b32_e32 v89, v95
	scratch_store_b64 off, v[88:89], off offset:200
.LBB41_115:
	s_wait_xcnt 0x0
	s_or_b32 exec_lo, exec_lo, s0
	s_wait_storecnt 0x0
	s_barrier_signal -1
	s_barrier_wait -1
	scratch_load_b64 v[88:89], off, off offset:208
	s_mov_b32 s0, exec_lo
	s_wait_loadcnt 0x0
	ds_store_b64 v1, v[88:89]
	s_wait_dscnt 0x0
	s_barrier_signal -1
	s_barrier_wait -1
	v_cmpx_gt_u32_e32 26, v0
	s_cbranch_execz .LBB41_119
; %bb.116:
	v_dual_mov_b32 v88, 0 :: v_dual_add_nc_u32 v7, -1, v0
	v_add_nc_u32_e32 v11, 0x150, v86
	v_mov_b32_e32 v13, v86
	s_mov_b32 s1, 0
	s_delay_alu instid0(VALU_DEP_3)
	v_mov_b32_e32 v89, v88
.LBB41_117:                             ; =>This Inner Loop Header: Depth=1
	scratch_load_b64 v[90:91], v13, off
	ds_load_b64 v[92:93], v11
	s_wait_xcnt 0x0
	v_dual_add_nc_u32 v11, 8, v11 :: v_dual_add_nc_u32 v13, 8, v13
	s_wait_loadcnt_dscnt 0x0
	v_pk_mul_f32 v[94:95], v[92:93], v[90:91] op_sel:[1,1] op_sel_hi:[0,1]
	s_delay_alu instid0(VALU_DEP_1) | instskip(SKIP_2) | instid1(VALU_DEP_3)
	v_pk_fma_f32 v[96:97], v[92:93], v[90:91], v[94:95] op_sel_hi:[1,0,1]
	v_add_nc_u32_e32 v7, 1, v7
	v_pk_fma_f32 v[90:91], v[92:93], v[90:91], v[94:95] neg_lo:[0,0,1] neg_hi:[0,0,1]
	v_mov_b32_e32 v91, v97
	s_delay_alu instid0(VALU_DEP_3) | instskip(NEXT) | instid1(VALU_DEP_2)
	v_cmp_lt_u32_e32 vcc_lo, 24, v7
	v_pk_add_f32 v[88:89], v[88:89], v[90:91]
	s_or_b32 s1, vcc_lo, s1
	s_delay_alu instid0(SALU_CYCLE_1)
	s_and_not1_b32 exec_lo, exec_lo, s1
	s_cbranch_execnz .LBB41_117
; %bb.118:
	s_or_b32 exec_lo, exec_lo, s1
	v_mov_b32_e32 v7, 0
	ds_load_b64 v[90:91], v7 offset:208
	s_wait_dscnt 0x0
	v_pk_mul_f32 v[92:93], v[88:89], v[90:91] op_sel:[1,1] op_sel_hi:[0,1]
	s_delay_alu instid0(VALU_DEP_1) | instskip(SKIP_1) | instid1(VALU_DEP_2)
	v_pk_fma_f32 v[94:95], v[88:89], v[90:91], v[92:93] op_sel_hi:[1,0,1]
	v_pk_fma_f32 v[88:89], v[88:89], v[90:91], v[92:93] neg_lo:[0,0,1] neg_hi:[0,0,1]
	v_mov_b32_e32 v89, v95
	scratch_store_b64 off, v[88:89], off offset:208
.LBB41_119:
	s_wait_xcnt 0x0
	s_or_b32 exec_lo, exec_lo, s0
	s_wait_storecnt 0x0
	s_barrier_signal -1
	s_barrier_wait -1
	scratch_load_b64 v[88:89], off, off offset:216
	s_mov_b32 s0, exec_lo
	s_wait_loadcnt 0x0
	ds_store_b64 v1, v[88:89]
	s_wait_dscnt 0x0
	s_barrier_signal -1
	s_barrier_wait -1
	v_cmpx_gt_u32_e32 27, v0
	s_cbranch_execz .LBB41_123
; %bb.120:
	v_dual_mov_b32 v88, 0 :: v_dual_add_nc_u32 v7, -1, v0
	v_add_nc_u32_e32 v11, 0x150, v86
	v_mov_b32_e32 v13, v86
	s_mov_b32 s1, 0
	s_delay_alu instid0(VALU_DEP_3)
	v_mov_b32_e32 v89, v88
.LBB41_121:                             ; =>This Inner Loop Header: Depth=1
	scratch_load_b64 v[90:91], v13, off
	ds_load_b64 v[92:93], v11
	s_wait_xcnt 0x0
	v_dual_add_nc_u32 v11, 8, v11 :: v_dual_add_nc_u32 v13, 8, v13
	s_wait_loadcnt_dscnt 0x0
	v_pk_mul_f32 v[94:95], v[92:93], v[90:91] op_sel:[1,1] op_sel_hi:[0,1]
	s_delay_alu instid0(VALU_DEP_1) | instskip(SKIP_2) | instid1(VALU_DEP_3)
	v_pk_fma_f32 v[96:97], v[92:93], v[90:91], v[94:95] op_sel_hi:[1,0,1]
	v_add_nc_u32_e32 v7, 1, v7
	v_pk_fma_f32 v[90:91], v[92:93], v[90:91], v[94:95] neg_lo:[0,0,1] neg_hi:[0,0,1]
	v_mov_b32_e32 v91, v97
	s_delay_alu instid0(VALU_DEP_3) | instskip(NEXT) | instid1(VALU_DEP_2)
	v_cmp_lt_u32_e32 vcc_lo, 25, v7
	v_pk_add_f32 v[88:89], v[88:89], v[90:91]
	s_or_b32 s1, vcc_lo, s1
	s_delay_alu instid0(SALU_CYCLE_1)
	s_and_not1_b32 exec_lo, exec_lo, s1
	s_cbranch_execnz .LBB41_121
; %bb.122:
	s_or_b32 exec_lo, exec_lo, s1
	v_mov_b32_e32 v7, 0
	ds_load_b64 v[90:91], v7 offset:216
	s_wait_dscnt 0x0
	v_pk_mul_f32 v[92:93], v[88:89], v[90:91] op_sel:[1,1] op_sel_hi:[0,1]
	s_delay_alu instid0(VALU_DEP_1) | instskip(SKIP_1) | instid1(VALU_DEP_2)
	v_pk_fma_f32 v[94:95], v[88:89], v[90:91], v[92:93] op_sel_hi:[1,0,1]
	v_pk_fma_f32 v[88:89], v[88:89], v[90:91], v[92:93] neg_lo:[0,0,1] neg_hi:[0,0,1]
	v_mov_b32_e32 v89, v95
	scratch_store_b64 off, v[88:89], off offset:216
.LBB41_123:
	s_wait_xcnt 0x0
	s_or_b32 exec_lo, exec_lo, s0
	s_wait_storecnt 0x0
	s_barrier_signal -1
	s_barrier_wait -1
	scratch_load_b64 v[88:89], off, off offset:224
	s_mov_b32 s0, exec_lo
	s_wait_loadcnt 0x0
	ds_store_b64 v1, v[88:89]
	s_wait_dscnt 0x0
	s_barrier_signal -1
	s_barrier_wait -1
	v_cmpx_gt_u32_e32 28, v0
	s_cbranch_execz .LBB41_127
; %bb.124:
	v_dual_mov_b32 v88, 0 :: v_dual_add_nc_u32 v7, -1, v0
	v_add_nc_u32_e32 v11, 0x150, v86
	v_mov_b32_e32 v13, v86
	s_mov_b32 s1, 0
	s_delay_alu instid0(VALU_DEP_3)
	v_mov_b32_e32 v89, v88
.LBB41_125:                             ; =>This Inner Loop Header: Depth=1
	scratch_load_b64 v[90:91], v13, off
	ds_load_b64 v[92:93], v11
	s_wait_xcnt 0x0
	v_dual_add_nc_u32 v11, 8, v11 :: v_dual_add_nc_u32 v13, 8, v13
	s_wait_loadcnt_dscnt 0x0
	v_pk_mul_f32 v[94:95], v[92:93], v[90:91] op_sel:[1,1] op_sel_hi:[0,1]
	s_delay_alu instid0(VALU_DEP_1) | instskip(SKIP_2) | instid1(VALU_DEP_3)
	v_pk_fma_f32 v[96:97], v[92:93], v[90:91], v[94:95] op_sel_hi:[1,0,1]
	v_add_nc_u32_e32 v7, 1, v7
	v_pk_fma_f32 v[90:91], v[92:93], v[90:91], v[94:95] neg_lo:[0,0,1] neg_hi:[0,0,1]
	v_mov_b32_e32 v91, v97
	s_delay_alu instid0(VALU_DEP_3) | instskip(NEXT) | instid1(VALU_DEP_2)
	v_cmp_lt_u32_e32 vcc_lo, 26, v7
	v_pk_add_f32 v[88:89], v[88:89], v[90:91]
	s_or_b32 s1, vcc_lo, s1
	s_delay_alu instid0(SALU_CYCLE_1)
	s_and_not1_b32 exec_lo, exec_lo, s1
	s_cbranch_execnz .LBB41_125
; %bb.126:
	s_or_b32 exec_lo, exec_lo, s1
	v_mov_b32_e32 v7, 0
	ds_load_b64 v[90:91], v7 offset:224
	s_wait_dscnt 0x0
	v_pk_mul_f32 v[92:93], v[88:89], v[90:91] op_sel:[1,1] op_sel_hi:[0,1]
	s_delay_alu instid0(VALU_DEP_1) | instskip(SKIP_1) | instid1(VALU_DEP_2)
	v_pk_fma_f32 v[94:95], v[88:89], v[90:91], v[92:93] op_sel_hi:[1,0,1]
	v_pk_fma_f32 v[88:89], v[88:89], v[90:91], v[92:93] neg_lo:[0,0,1] neg_hi:[0,0,1]
	v_mov_b32_e32 v89, v95
	scratch_store_b64 off, v[88:89], off offset:224
.LBB41_127:
	s_wait_xcnt 0x0
	s_or_b32 exec_lo, exec_lo, s0
	s_wait_storecnt 0x0
	s_barrier_signal -1
	s_barrier_wait -1
	scratch_load_b64 v[88:89], off, off offset:232
	s_mov_b32 s0, exec_lo
	s_wait_loadcnt 0x0
	ds_store_b64 v1, v[88:89]
	s_wait_dscnt 0x0
	s_barrier_signal -1
	s_barrier_wait -1
	v_cmpx_gt_u32_e32 29, v0
	s_cbranch_execz .LBB41_131
; %bb.128:
	v_dual_mov_b32 v88, 0 :: v_dual_add_nc_u32 v7, -1, v0
	v_add_nc_u32_e32 v11, 0x150, v86
	v_mov_b32_e32 v13, v86
	s_mov_b32 s1, 0
	s_delay_alu instid0(VALU_DEP_3)
	v_mov_b32_e32 v89, v88
.LBB41_129:                             ; =>This Inner Loop Header: Depth=1
	scratch_load_b64 v[90:91], v13, off
	ds_load_b64 v[92:93], v11
	s_wait_xcnt 0x0
	v_dual_add_nc_u32 v11, 8, v11 :: v_dual_add_nc_u32 v13, 8, v13
	s_wait_loadcnt_dscnt 0x0
	v_pk_mul_f32 v[94:95], v[92:93], v[90:91] op_sel:[1,1] op_sel_hi:[0,1]
	s_delay_alu instid0(VALU_DEP_1) | instskip(SKIP_2) | instid1(VALU_DEP_3)
	v_pk_fma_f32 v[96:97], v[92:93], v[90:91], v[94:95] op_sel_hi:[1,0,1]
	v_add_nc_u32_e32 v7, 1, v7
	v_pk_fma_f32 v[90:91], v[92:93], v[90:91], v[94:95] neg_lo:[0,0,1] neg_hi:[0,0,1]
	v_mov_b32_e32 v91, v97
	s_delay_alu instid0(VALU_DEP_3) | instskip(NEXT) | instid1(VALU_DEP_2)
	v_cmp_lt_u32_e32 vcc_lo, 27, v7
	v_pk_add_f32 v[88:89], v[88:89], v[90:91]
	s_or_b32 s1, vcc_lo, s1
	s_delay_alu instid0(SALU_CYCLE_1)
	s_and_not1_b32 exec_lo, exec_lo, s1
	s_cbranch_execnz .LBB41_129
; %bb.130:
	s_or_b32 exec_lo, exec_lo, s1
	v_mov_b32_e32 v7, 0
	ds_load_b64 v[90:91], v7 offset:232
	s_wait_dscnt 0x0
	v_pk_mul_f32 v[92:93], v[88:89], v[90:91] op_sel:[1,1] op_sel_hi:[0,1]
	s_delay_alu instid0(VALU_DEP_1) | instskip(SKIP_1) | instid1(VALU_DEP_2)
	v_pk_fma_f32 v[94:95], v[88:89], v[90:91], v[92:93] op_sel_hi:[1,0,1]
	v_pk_fma_f32 v[88:89], v[88:89], v[90:91], v[92:93] neg_lo:[0,0,1] neg_hi:[0,0,1]
	v_mov_b32_e32 v89, v95
	scratch_store_b64 off, v[88:89], off offset:232
.LBB41_131:
	s_wait_xcnt 0x0
	s_or_b32 exec_lo, exec_lo, s0
	s_wait_storecnt 0x0
	s_barrier_signal -1
	s_barrier_wait -1
	scratch_load_b64 v[88:89], off, off offset:240
	s_mov_b32 s0, exec_lo
	s_wait_loadcnt 0x0
	ds_store_b64 v1, v[88:89]
	s_wait_dscnt 0x0
	s_barrier_signal -1
	s_barrier_wait -1
	v_cmpx_gt_u32_e32 30, v0
	s_cbranch_execz .LBB41_135
; %bb.132:
	v_dual_mov_b32 v88, 0 :: v_dual_add_nc_u32 v7, -1, v0
	v_add_nc_u32_e32 v11, 0x150, v86
	v_mov_b32_e32 v13, v86
	s_mov_b32 s1, 0
	s_delay_alu instid0(VALU_DEP_3)
	v_mov_b32_e32 v89, v88
.LBB41_133:                             ; =>This Inner Loop Header: Depth=1
	scratch_load_b64 v[90:91], v13, off
	ds_load_b64 v[92:93], v11
	s_wait_xcnt 0x0
	v_dual_add_nc_u32 v11, 8, v11 :: v_dual_add_nc_u32 v13, 8, v13
	s_wait_loadcnt_dscnt 0x0
	v_pk_mul_f32 v[94:95], v[92:93], v[90:91] op_sel:[1,1] op_sel_hi:[0,1]
	s_delay_alu instid0(VALU_DEP_1) | instskip(SKIP_2) | instid1(VALU_DEP_3)
	v_pk_fma_f32 v[96:97], v[92:93], v[90:91], v[94:95] op_sel_hi:[1,0,1]
	v_add_nc_u32_e32 v7, 1, v7
	v_pk_fma_f32 v[90:91], v[92:93], v[90:91], v[94:95] neg_lo:[0,0,1] neg_hi:[0,0,1]
	v_mov_b32_e32 v91, v97
	s_delay_alu instid0(VALU_DEP_3) | instskip(NEXT) | instid1(VALU_DEP_2)
	v_cmp_lt_u32_e32 vcc_lo, 28, v7
	v_pk_add_f32 v[88:89], v[88:89], v[90:91]
	s_or_b32 s1, vcc_lo, s1
	s_delay_alu instid0(SALU_CYCLE_1)
	s_and_not1_b32 exec_lo, exec_lo, s1
	s_cbranch_execnz .LBB41_133
; %bb.134:
	s_or_b32 exec_lo, exec_lo, s1
	v_mov_b32_e32 v7, 0
	ds_load_b64 v[90:91], v7 offset:240
	s_wait_dscnt 0x0
	v_pk_mul_f32 v[92:93], v[88:89], v[90:91] op_sel:[1,1] op_sel_hi:[0,1]
	s_delay_alu instid0(VALU_DEP_1) | instskip(SKIP_1) | instid1(VALU_DEP_2)
	v_pk_fma_f32 v[94:95], v[88:89], v[90:91], v[92:93] op_sel_hi:[1,0,1]
	v_pk_fma_f32 v[88:89], v[88:89], v[90:91], v[92:93] neg_lo:[0,0,1] neg_hi:[0,0,1]
	v_mov_b32_e32 v89, v95
	scratch_store_b64 off, v[88:89], off offset:240
.LBB41_135:
	s_wait_xcnt 0x0
	s_or_b32 exec_lo, exec_lo, s0
	s_wait_storecnt 0x0
	s_barrier_signal -1
	s_barrier_wait -1
	scratch_load_b64 v[88:89], off, off offset:248
	s_mov_b32 s0, exec_lo
	s_wait_loadcnt 0x0
	ds_store_b64 v1, v[88:89]
	s_wait_dscnt 0x0
	s_barrier_signal -1
	s_barrier_wait -1
	v_cmpx_gt_u32_e32 31, v0
	s_cbranch_execz .LBB41_139
; %bb.136:
	v_dual_mov_b32 v88, 0 :: v_dual_add_nc_u32 v7, -1, v0
	v_add_nc_u32_e32 v11, 0x150, v86
	v_mov_b32_e32 v13, v86
	s_mov_b32 s1, 0
	s_delay_alu instid0(VALU_DEP_3)
	v_mov_b32_e32 v89, v88
.LBB41_137:                             ; =>This Inner Loop Header: Depth=1
	scratch_load_b64 v[90:91], v13, off
	ds_load_b64 v[92:93], v11
	s_wait_xcnt 0x0
	v_dual_add_nc_u32 v11, 8, v11 :: v_dual_add_nc_u32 v13, 8, v13
	s_wait_loadcnt_dscnt 0x0
	v_pk_mul_f32 v[94:95], v[92:93], v[90:91] op_sel:[1,1] op_sel_hi:[0,1]
	s_delay_alu instid0(VALU_DEP_1) | instskip(SKIP_2) | instid1(VALU_DEP_3)
	v_pk_fma_f32 v[96:97], v[92:93], v[90:91], v[94:95] op_sel_hi:[1,0,1]
	v_add_nc_u32_e32 v7, 1, v7
	v_pk_fma_f32 v[90:91], v[92:93], v[90:91], v[94:95] neg_lo:[0,0,1] neg_hi:[0,0,1]
	v_mov_b32_e32 v91, v97
	s_delay_alu instid0(VALU_DEP_3) | instskip(NEXT) | instid1(VALU_DEP_2)
	v_cmp_lt_u32_e32 vcc_lo, 29, v7
	v_pk_add_f32 v[88:89], v[88:89], v[90:91]
	s_or_b32 s1, vcc_lo, s1
	s_delay_alu instid0(SALU_CYCLE_1)
	s_and_not1_b32 exec_lo, exec_lo, s1
	s_cbranch_execnz .LBB41_137
; %bb.138:
	s_or_b32 exec_lo, exec_lo, s1
	v_mov_b32_e32 v7, 0
	ds_load_b64 v[90:91], v7 offset:248
	s_wait_dscnt 0x0
	v_pk_mul_f32 v[92:93], v[88:89], v[90:91] op_sel:[1,1] op_sel_hi:[0,1]
	s_delay_alu instid0(VALU_DEP_1) | instskip(SKIP_1) | instid1(VALU_DEP_2)
	v_pk_fma_f32 v[94:95], v[88:89], v[90:91], v[92:93] op_sel_hi:[1,0,1]
	v_pk_fma_f32 v[88:89], v[88:89], v[90:91], v[92:93] neg_lo:[0,0,1] neg_hi:[0,0,1]
	v_mov_b32_e32 v89, v95
	scratch_store_b64 off, v[88:89], off offset:248
.LBB41_139:
	s_wait_xcnt 0x0
	s_or_b32 exec_lo, exec_lo, s0
	s_wait_storecnt 0x0
	s_barrier_signal -1
	s_barrier_wait -1
	scratch_load_b64 v[88:89], off, off offset:256
	s_mov_b32 s0, exec_lo
	s_wait_loadcnt 0x0
	ds_store_b64 v1, v[88:89]
	s_wait_dscnt 0x0
	s_barrier_signal -1
	s_barrier_wait -1
	v_cmpx_gt_u32_e32 32, v0
	s_cbranch_execz .LBB41_143
; %bb.140:
	v_dual_mov_b32 v88, 0 :: v_dual_add_nc_u32 v7, -1, v0
	v_add_nc_u32_e32 v11, 0x150, v86
	v_mov_b32_e32 v13, v86
	s_mov_b32 s1, 0
	s_delay_alu instid0(VALU_DEP_3)
	v_mov_b32_e32 v89, v88
.LBB41_141:                             ; =>This Inner Loop Header: Depth=1
	scratch_load_b64 v[90:91], v13, off
	ds_load_b64 v[92:93], v11
	s_wait_xcnt 0x0
	v_dual_add_nc_u32 v11, 8, v11 :: v_dual_add_nc_u32 v13, 8, v13
	s_wait_loadcnt_dscnt 0x0
	v_pk_mul_f32 v[94:95], v[92:93], v[90:91] op_sel:[1,1] op_sel_hi:[0,1]
	s_delay_alu instid0(VALU_DEP_1) | instskip(SKIP_2) | instid1(VALU_DEP_3)
	v_pk_fma_f32 v[96:97], v[92:93], v[90:91], v[94:95] op_sel_hi:[1,0,1]
	v_add_nc_u32_e32 v7, 1, v7
	v_pk_fma_f32 v[90:91], v[92:93], v[90:91], v[94:95] neg_lo:[0,0,1] neg_hi:[0,0,1]
	v_mov_b32_e32 v91, v97
	s_delay_alu instid0(VALU_DEP_3) | instskip(NEXT) | instid1(VALU_DEP_2)
	v_cmp_lt_u32_e32 vcc_lo, 30, v7
	v_pk_add_f32 v[88:89], v[88:89], v[90:91]
	s_or_b32 s1, vcc_lo, s1
	s_delay_alu instid0(SALU_CYCLE_1)
	s_and_not1_b32 exec_lo, exec_lo, s1
	s_cbranch_execnz .LBB41_141
; %bb.142:
	s_or_b32 exec_lo, exec_lo, s1
	v_mov_b32_e32 v7, 0
	ds_load_b64 v[90:91], v7 offset:256
	s_wait_dscnt 0x0
	v_pk_mul_f32 v[92:93], v[88:89], v[90:91] op_sel:[1,1] op_sel_hi:[0,1]
	s_delay_alu instid0(VALU_DEP_1) | instskip(SKIP_1) | instid1(VALU_DEP_2)
	v_pk_fma_f32 v[94:95], v[88:89], v[90:91], v[92:93] op_sel_hi:[1,0,1]
	v_pk_fma_f32 v[88:89], v[88:89], v[90:91], v[92:93] neg_lo:[0,0,1] neg_hi:[0,0,1]
	v_mov_b32_e32 v89, v95
	scratch_store_b64 off, v[88:89], off offset:256
.LBB41_143:
	s_wait_xcnt 0x0
	s_or_b32 exec_lo, exec_lo, s0
	s_wait_storecnt 0x0
	s_barrier_signal -1
	s_barrier_wait -1
	scratch_load_b64 v[88:89], off, off offset:264
	s_mov_b32 s0, exec_lo
	s_wait_loadcnt 0x0
	ds_store_b64 v1, v[88:89]
	s_wait_dscnt 0x0
	s_barrier_signal -1
	s_barrier_wait -1
	v_cmpx_gt_u32_e32 33, v0
	s_cbranch_execz .LBB41_147
; %bb.144:
	v_dual_mov_b32 v88, 0 :: v_dual_add_nc_u32 v7, -1, v0
	v_add_nc_u32_e32 v11, 0x150, v86
	v_mov_b32_e32 v13, v86
	s_mov_b32 s1, 0
	s_delay_alu instid0(VALU_DEP_3)
	v_mov_b32_e32 v89, v88
.LBB41_145:                             ; =>This Inner Loop Header: Depth=1
	scratch_load_b64 v[90:91], v13, off
	ds_load_b64 v[92:93], v11
	s_wait_xcnt 0x0
	v_dual_add_nc_u32 v11, 8, v11 :: v_dual_add_nc_u32 v13, 8, v13
	s_wait_loadcnt_dscnt 0x0
	v_pk_mul_f32 v[94:95], v[92:93], v[90:91] op_sel:[1,1] op_sel_hi:[0,1]
	s_delay_alu instid0(VALU_DEP_1) | instskip(SKIP_2) | instid1(VALU_DEP_3)
	v_pk_fma_f32 v[96:97], v[92:93], v[90:91], v[94:95] op_sel_hi:[1,0,1]
	v_add_nc_u32_e32 v7, 1, v7
	v_pk_fma_f32 v[90:91], v[92:93], v[90:91], v[94:95] neg_lo:[0,0,1] neg_hi:[0,0,1]
	v_mov_b32_e32 v91, v97
	s_delay_alu instid0(VALU_DEP_3) | instskip(NEXT) | instid1(VALU_DEP_2)
	v_cmp_lt_u32_e32 vcc_lo, 31, v7
	v_pk_add_f32 v[88:89], v[88:89], v[90:91]
	s_or_b32 s1, vcc_lo, s1
	s_delay_alu instid0(SALU_CYCLE_1)
	s_and_not1_b32 exec_lo, exec_lo, s1
	s_cbranch_execnz .LBB41_145
; %bb.146:
	s_or_b32 exec_lo, exec_lo, s1
	v_mov_b32_e32 v7, 0
	ds_load_b64 v[90:91], v7 offset:264
	s_wait_dscnt 0x0
	v_pk_mul_f32 v[92:93], v[88:89], v[90:91] op_sel:[1,1] op_sel_hi:[0,1]
	s_delay_alu instid0(VALU_DEP_1) | instskip(SKIP_1) | instid1(VALU_DEP_2)
	v_pk_fma_f32 v[94:95], v[88:89], v[90:91], v[92:93] op_sel_hi:[1,0,1]
	v_pk_fma_f32 v[88:89], v[88:89], v[90:91], v[92:93] neg_lo:[0,0,1] neg_hi:[0,0,1]
	v_mov_b32_e32 v89, v95
	scratch_store_b64 off, v[88:89], off offset:264
.LBB41_147:
	s_wait_xcnt 0x0
	s_or_b32 exec_lo, exec_lo, s0
	s_wait_storecnt 0x0
	s_barrier_signal -1
	s_barrier_wait -1
	scratch_load_b64 v[88:89], off, off offset:272
	s_mov_b32 s0, exec_lo
	s_wait_loadcnt 0x0
	ds_store_b64 v1, v[88:89]
	s_wait_dscnt 0x0
	s_barrier_signal -1
	s_barrier_wait -1
	v_cmpx_gt_u32_e32 34, v0
	s_cbranch_execz .LBB41_151
; %bb.148:
	v_dual_mov_b32 v88, 0 :: v_dual_add_nc_u32 v7, -1, v0
	v_add_nc_u32_e32 v11, 0x150, v86
	v_mov_b32_e32 v13, v86
	s_mov_b32 s1, 0
	s_delay_alu instid0(VALU_DEP_3)
	v_mov_b32_e32 v89, v88
.LBB41_149:                             ; =>This Inner Loop Header: Depth=1
	scratch_load_b64 v[90:91], v13, off
	ds_load_b64 v[92:93], v11
	s_wait_xcnt 0x0
	v_dual_add_nc_u32 v11, 8, v11 :: v_dual_add_nc_u32 v13, 8, v13
	s_wait_loadcnt_dscnt 0x0
	v_pk_mul_f32 v[94:95], v[92:93], v[90:91] op_sel:[1,1] op_sel_hi:[0,1]
	s_delay_alu instid0(VALU_DEP_1) | instskip(SKIP_2) | instid1(VALU_DEP_3)
	v_pk_fma_f32 v[96:97], v[92:93], v[90:91], v[94:95] op_sel_hi:[1,0,1]
	v_add_nc_u32_e32 v7, 1, v7
	v_pk_fma_f32 v[90:91], v[92:93], v[90:91], v[94:95] neg_lo:[0,0,1] neg_hi:[0,0,1]
	v_mov_b32_e32 v91, v97
	s_delay_alu instid0(VALU_DEP_3) | instskip(NEXT) | instid1(VALU_DEP_2)
	v_cmp_lt_u32_e32 vcc_lo, 32, v7
	v_pk_add_f32 v[88:89], v[88:89], v[90:91]
	s_or_b32 s1, vcc_lo, s1
	s_delay_alu instid0(SALU_CYCLE_1)
	s_and_not1_b32 exec_lo, exec_lo, s1
	s_cbranch_execnz .LBB41_149
; %bb.150:
	s_or_b32 exec_lo, exec_lo, s1
	v_mov_b32_e32 v7, 0
	ds_load_b64 v[90:91], v7 offset:272
	s_wait_dscnt 0x0
	v_pk_mul_f32 v[92:93], v[88:89], v[90:91] op_sel:[1,1] op_sel_hi:[0,1]
	s_delay_alu instid0(VALU_DEP_1) | instskip(SKIP_1) | instid1(VALU_DEP_2)
	v_pk_fma_f32 v[94:95], v[88:89], v[90:91], v[92:93] op_sel_hi:[1,0,1]
	v_pk_fma_f32 v[88:89], v[88:89], v[90:91], v[92:93] neg_lo:[0,0,1] neg_hi:[0,0,1]
	v_mov_b32_e32 v89, v95
	scratch_store_b64 off, v[88:89], off offset:272
.LBB41_151:
	s_wait_xcnt 0x0
	s_or_b32 exec_lo, exec_lo, s0
	s_wait_storecnt 0x0
	s_barrier_signal -1
	s_barrier_wait -1
	scratch_load_b64 v[88:89], off, off offset:280
	s_mov_b32 s0, exec_lo
	s_wait_loadcnt 0x0
	ds_store_b64 v1, v[88:89]
	s_wait_dscnt 0x0
	s_barrier_signal -1
	s_barrier_wait -1
	v_cmpx_gt_u32_e32 35, v0
	s_cbranch_execz .LBB41_155
; %bb.152:
	v_dual_mov_b32 v88, 0 :: v_dual_add_nc_u32 v7, -1, v0
	v_add_nc_u32_e32 v11, 0x150, v86
	v_mov_b32_e32 v13, v86
	s_mov_b32 s1, 0
	s_delay_alu instid0(VALU_DEP_3)
	v_mov_b32_e32 v89, v88
.LBB41_153:                             ; =>This Inner Loop Header: Depth=1
	scratch_load_b64 v[90:91], v13, off
	ds_load_b64 v[92:93], v11
	s_wait_xcnt 0x0
	v_dual_add_nc_u32 v11, 8, v11 :: v_dual_add_nc_u32 v13, 8, v13
	s_wait_loadcnt_dscnt 0x0
	v_pk_mul_f32 v[94:95], v[92:93], v[90:91] op_sel:[1,1] op_sel_hi:[0,1]
	s_delay_alu instid0(VALU_DEP_1) | instskip(SKIP_2) | instid1(VALU_DEP_3)
	v_pk_fma_f32 v[96:97], v[92:93], v[90:91], v[94:95] op_sel_hi:[1,0,1]
	v_add_nc_u32_e32 v7, 1, v7
	v_pk_fma_f32 v[90:91], v[92:93], v[90:91], v[94:95] neg_lo:[0,0,1] neg_hi:[0,0,1]
	v_mov_b32_e32 v91, v97
	s_delay_alu instid0(VALU_DEP_3) | instskip(NEXT) | instid1(VALU_DEP_2)
	v_cmp_lt_u32_e32 vcc_lo, 33, v7
	v_pk_add_f32 v[88:89], v[88:89], v[90:91]
	s_or_b32 s1, vcc_lo, s1
	s_delay_alu instid0(SALU_CYCLE_1)
	s_and_not1_b32 exec_lo, exec_lo, s1
	s_cbranch_execnz .LBB41_153
; %bb.154:
	s_or_b32 exec_lo, exec_lo, s1
	v_mov_b32_e32 v7, 0
	ds_load_b64 v[90:91], v7 offset:280
	s_wait_dscnt 0x0
	v_pk_mul_f32 v[92:93], v[88:89], v[90:91] op_sel:[1,1] op_sel_hi:[0,1]
	s_delay_alu instid0(VALU_DEP_1) | instskip(SKIP_1) | instid1(VALU_DEP_2)
	v_pk_fma_f32 v[94:95], v[88:89], v[90:91], v[92:93] op_sel_hi:[1,0,1]
	v_pk_fma_f32 v[88:89], v[88:89], v[90:91], v[92:93] neg_lo:[0,0,1] neg_hi:[0,0,1]
	v_mov_b32_e32 v89, v95
	scratch_store_b64 off, v[88:89], off offset:280
.LBB41_155:
	s_wait_xcnt 0x0
	s_or_b32 exec_lo, exec_lo, s0
	s_wait_storecnt 0x0
	s_barrier_signal -1
	s_barrier_wait -1
	scratch_load_b64 v[88:89], off, off offset:288
	s_mov_b32 s0, exec_lo
	s_wait_loadcnt 0x0
	ds_store_b64 v1, v[88:89]
	s_wait_dscnt 0x0
	s_barrier_signal -1
	s_barrier_wait -1
	v_cmpx_gt_u32_e32 36, v0
	s_cbranch_execz .LBB41_159
; %bb.156:
	v_dual_mov_b32 v88, 0 :: v_dual_add_nc_u32 v7, -1, v0
	v_add_nc_u32_e32 v11, 0x150, v86
	v_mov_b32_e32 v13, v86
	s_mov_b32 s1, 0
	s_delay_alu instid0(VALU_DEP_3)
	v_mov_b32_e32 v89, v88
.LBB41_157:                             ; =>This Inner Loop Header: Depth=1
	scratch_load_b64 v[90:91], v13, off
	ds_load_b64 v[92:93], v11
	s_wait_xcnt 0x0
	v_dual_add_nc_u32 v11, 8, v11 :: v_dual_add_nc_u32 v13, 8, v13
	s_wait_loadcnt_dscnt 0x0
	v_pk_mul_f32 v[94:95], v[92:93], v[90:91] op_sel:[1,1] op_sel_hi:[0,1]
	s_delay_alu instid0(VALU_DEP_1) | instskip(SKIP_2) | instid1(VALU_DEP_3)
	v_pk_fma_f32 v[96:97], v[92:93], v[90:91], v[94:95] op_sel_hi:[1,0,1]
	v_add_nc_u32_e32 v7, 1, v7
	v_pk_fma_f32 v[90:91], v[92:93], v[90:91], v[94:95] neg_lo:[0,0,1] neg_hi:[0,0,1]
	v_mov_b32_e32 v91, v97
	s_delay_alu instid0(VALU_DEP_3) | instskip(NEXT) | instid1(VALU_DEP_2)
	v_cmp_lt_u32_e32 vcc_lo, 34, v7
	v_pk_add_f32 v[88:89], v[88:89], v[90:91]
	s_or_b32 s1, vcc_lo, s1
	s_delay_alu instid0(SALU_CYCLE_1)
	s_and_not1_b32 exec_lo, exec_lo, s1
	s_cbranch_execnz .LBB41_157
; %bb.158:
	s_or_b32 exec_lo, exec_lo, s1
	v_mov_b32_e32 v7, 0
	ds_load_b64 v[90:91], v7 offset:288
	s_wait_dscnt 0x0
	v_pk_mul_f32 v[92:93], v[88:89], v[90:91] op_sel:[1,1] op_sel_hi:[0,1]
	s_delay_alu instid0(VALU_DEP_1) | instskip(SKIP_1) | instid1(VALU_DEP_2)
	v_pk_fma_f32 v[94:95], v[88:89], v[90:91], v[92:93] op_sel_hi:[1,0,1]
	v_pk_fma_f32 v[88:89], v[88:89], v[90:91], v[92:93] neg_lo:[0,0,1] neg_hi:[0,0,1]
	v_mov_b32_e32 v89, v95
	scratch_store_b64 off, v[88:89], off offset:288
.LBB41_159:
	s_wait_xcnt 0x0
	s_or_b32 exec_lo, exec_lo, s0
	s_wait_storecnt 0x0
	s_barrier_signal -1
	s_barrier_wait -1
	scratch_load_b64 v[88:89], off, off offset:296
	s_mov_b32 s0, exec_lo
	s_wait_loadcnt 0x0
	ds_store_b64 v1, v[88:89]
	s_wait_dscnt 0x0
	s_barrier_signal -1
	s_barrier_wait -1
	v_cmpx_gt_u32_e32 37, v0
	s_cbranch_execz .LBB41_163
; %bb.160:
	v_dual_mov_b32 v88, 0 :: v_dual_add_nc_u32 v7, -1, v0
	v_add_nc_u32_e32 v11, 0x150, v86
	v_mov_b32_e32 v13, v86
	s_mov_b32 s1, 0
	s_delay_alu instid0(VALU_DEP_3)
	v_mov_b32_e32 v89, v88
.LBB41_161:                             ; =>This Inner Loop Header: Depth=1
	scratch_load_b64 v[90:91], v13, off
	ds_load_b64 v[92:93], v11
	s_wait_xcnt 0x0
	v_dual_add_nc_u32 v11, 8, v11 :: v_dual_add_nc_u32 v13, 8, v13
	s_wait_loadcnt_dscnt 0x0
	v_pk_mul_f32 v[94:95], v[92:93], v[90:91] op_sel:[1,1] op_sel_hi:[0,1]
	s_delay_alu instid0(VALU_DEP_1) | instskip(SKIP_2) | instid1(VALU_DEP_3)
	v_pk_fma_f32 v[96:97], v[92:93], v[90:91], v[94:95] op_sel_hi:[1,0,1]
	v_add_nc_u32_e32 v7, 1, v7
	v_pk_fma_f32 v[90:91], v[92:93], v[90:91], v[94:95] neg_lo:[0,0,1] neg_hi:[0,0,1]
	v_mov_b32_e32 v91, v97
	s_delay_alu instid0(VALU_DEP_3) | instskip(NEXT) | instid1(VALU_DEP_2)
	v_cmp_lt_u32_e32 vcc_lo, 35, v7
	v_pk_add_f32 v[88:89], v[88:89], v[90:91]
	s_or_b32 s1, vcc_lo, s1
	s_delay_alu instid0(SALU_CYCLE_1)
	s_and_not1_b32 exec_lo, exec_lo, s1
	s_cbranch_execnz .LBB41_161
; %bb.162:
	s_or_b32 exec_lo, exec_lo, s1
	v_mov_b32_e32 v7, 0
	ds_load_b64 v[90:91], v7 offset:296
	s_wait_dscnt 0x0
	v_pk_mul_f32 v[92:93], v[88:89], v[90:91] op_sel:[1,1] op_sel_hi:[0,1]
	s_delay_alu instid0(VALU_DEP_1) | instskip(SKIP_1) | instid1(VALU_DEP_2)
	v_pk_fma_f32 v[94:95], v[88:89], v[90:91], v[92:93] op_sel_hi:[1,0,1]
	v_pk_fma_f32 v[88:89], v[88:89], v[90:91], v[92:93] neg_lo:[0,0,1] neg_hi:[0,0,1]
	v_mov_b32_e32 v89, v95
	scratch_store_b64 off, v[88:89], off offset:296
.LBB41_163:
	s_wait_xcnt 0x0
	s_or_b32 exec_lo, exec_lo, s0
	s_wait_storecnt 0x0
	s_barrier_signal -1
	s_barrier_wait -1
	scratch_load_b64 v[88:89], off, off offset:304
	s_mov_b32 s0, exec_lo
	s_wait_loadcnt 0x0
	ds_store_b64 v1, v[88:89]
	s_wait_dscnt 0x0
	s_barrier_signal -1
	s_barrier_wait -1
	v_cmpx_gt_u32_e32 38, v0
	s_cbranch_execz .LBB41_167
; %bb.164:
	v_dual_mov_b32 v88, 0 :: v_dual_add_nc_u32 v7, -1, v0
	v_add_nc_u32_e32 v11, 0x150, v86
	v_mov_b32_e32 v13, v86
	s_mov_b32 s1, 0
	s_delay_alu instid0(VALU_DEP_3)
	v_mov_b32_e32 v89, v88
.LBB41_165:                             ; =>This Inner Loop Header: Depth=1
	scratch_load_b64 v[90:91], v13, off
	ds_load_b64 v[92:93], v11
	s_wait_xcnt 0x0
	v_dual_add_nc_u32 v11, 8, v11 :: v_dual_add_nc_u32 v13, 8, v13
	s_wait_loadcnt_dscnt 0x0
	v_pk_mul_f32 v[94:95], v[92:93], v[90:91] op_sel:[1,1] op_sel_hi:[0,1]
	s_delay_alu instid0(VALU_DEP_1) | instskip(SKIP_2) | instid1(VALU_DEP_3)
	v_pk_fma_f32 v[96:97], v[92:93], v[90:91], v[94:95] op_sel_hi:[1,0,1]
	v_add_nc_u32_e32 v7, 1, v7
	v_pk_fma_f32 v[90:91], v[92:93], v[90:91], v[94:95] neg_lo:[0,0,1] neg_hi:[0,0,1]
	v_mov_b32_e32 v91, v97
	s_delay_alu instid0(VALU_DEP_3) | instskip(NEXT) | instid1(VALU_DEP_2)
	v_cmp_lt_u32_e32 vcc_lo, 36, v7
	v_pk_add_f32 v[88:89], v[88:89], v[90:91]
	s_or_b32 s1, vcc_lo, s1
	s_delay_alu instid0(SALU_CYCLE_1)
	s_and_not1_b32 exec_lo, exec_lo, s1
	s_cbranch_execnz .LBB41_165
; %bb.166:
	s_or_b32 exec_lo, exec_lo, s1
	v_mov_b32_e32 v7, 0
	ds_load_b64 v[90:91], v7 offset:304
	s_wait_dscnt 0x0
	v_pk_mul_f32 v[92:93], v[88:89], v[90:91] op_sel:[1,1] op_sel_hi:[0,1]
	s_delay_alu instid0(VALU_DEP_1) | instskip(SKIP_1) | instid1(VALU_DEP_2)
	v_pk_fma_f32 v[94:95], v[88:89], v[90:91], v[92:93] op_sel_hi:[1,0,1]
	v_pk_fma_f32 v[88:89], v[88:89], v[90:91], v[92:93] neg_lo:[0,0,1] neg_hi:[0,0,1]
	v_mov_b32_e32 v89, v95
	scratch_store_b64 off, v[88:89], off offset:304
.LBB41_167:
	s_wait_xcnt 0x0
	s_or_b32 exec_lo, exec_lo, s0
	s_wait_storecnt 0x0
	s_barrier_signal -1
	s_barrier_wait -1
	scratch_load_b64 v[88:89], off, off offset:312
	s_mov_b32 s0, exec_lo
	s_wait_loadcnt 0x0
	ds_store_b64 v1, v[88:89]
	s_wait_dscnt 0x0
	s_barrier_signal -1
	s_barrier_wait -1
	v_cmpx_gt_u32_e32 39, v0
	s_cbranch_execz .LBB41_171
; %bb.168:
	v_dual_mov_b32 v88, 0 :: v_dual_add_nc_u32 v7, -1, v0
	v_add_nc_u32_e32 v11, 0x150, v86
	v_mov_b32_e32 v13, v86
	s_mov_b32 s1, 0
	s_delay_alu instid0(VALU_DEP_3)
	v_mov_b32_e32 v89, v88
.LBB41_169:                             ; =>This Inner Loop Header: Depth=1
	scratch_load_b64 v[90:91], v13, off
	ds_load_b64 v[92:93], v11
	s_wait_xcnt 0x0
	v_dual_add_nc_u32 v11, 8, v11 :: v_dual_add_nc_u32 v13, 8, v13
	s_wait_loadcnt_dscnt 0x0
	v_pk_mul_f32 v[94:95], v[92:93], v[90:91] op_sel:[1,1] op_sel_hi:[0,1]
	s_delay_alu instid0(VALU_DEP_1) | instskip(SKIP_2) | instid1(VALU_DEP_3)
	v_pk_fma_f32 v[96:97], v[92:93], v[90:91], v[94:95] op_sel_hi:[1,0,1]
	v_add_nc_u32_e32 v7, 1, v7
	v_pk_fma_f32 v[90:91], v[92:93], v[90:91], v[94:95] neg_lo:[0,0,1] neg_hi:[0,0,1]
	v_mov_b32_e32 v91, v97
	s_delay_alu instid0(VALU_DEP_3) | instskip(NEXT) | instid1(VALU_DEP_2)
	v_cmp_lt_u32_e32 vcc_lo, 37, v7
	v_pk_add_f32 v[88:89], v[88:89], v[90:91]
	s_or_b32 s1, vcc_lo, s1
	s_delay_alu instid0(SALU_CYCLE_1)
	s_and_not1_b32 exec_lo, exec_lo, s1
	s_cbranch_execnz .LBB41_169
; %bb.170:
	s_or_b32 exec_lo, exec_lo, s1
	v_mov_b32_e32 v7, 0
	ds_load_b64 v[90:91], v7 offset:312
	s_wait_dscnt 0x0
	v_pk_mul_f32 v[92:93], v[88:89], v[90:91] op_sel:[1,1] op_sel_hi:[0,1]
	s_delay_alu instid0(VALU_DEP_1) | instskip(SKIP_1) | instid1(VALU_DEP_2)
	v_pk_fma_f32 v[94:95], v[88:89], v[90:91], v[92:93] op_sel_hi:[1,0,1]
	v_pk_fma_f32 v[88:89], v[88:89], v[90:91], v[92:93] neg_lo:[0,0,1] neg_hi:[0,0,1]
	v_mov_b32_e32 v89, v95
	scratch_store_b64 off, v[88:89], off offset:312
.LBB41_171:
	s_wait_xcnt 0x0
	s_or_b32 exec_lo, exec_lo, s0
	s_wait_storecnt 0x0
	s_barrier_signal -1
	s_barrier_wait -1
	scratch_load_b64 v[88:89], off, off offset:320
	s_mov_b32 s0, exec_lo
	s_wait_loadcnt 0x0
	ds_store_b64 v1, v[88:89]
	s_wait_dscnt 0x0
	s_barrier_signal -1
	s_barrier_wait -1
	v_cmpx_gt_u32_e32 40, v0
	s_cbranch_execz .LBB41_175
; %bb.172:
	v_dual_mov_b32 v88, 0 :: v_dual_add_nc_u32 v7, -1, v0
	v_add_nc_u32_e32 v11, 0x150, v86
	v_mov_b32_e32 v13, v86
	s_mov_b32 s1, 0
	s_delay_alu instid0(VALU_DEP_3)
	v_mov_b32_e32 v89, v88
.LBB41_173:                             ; =>This Inner Loop Header: Depth=1
	scratch_load_b64 v[90:91], v13, off
	ds_load_b64 v[92:93], v11
	s_wait_xcnt 0x0
	v_dual_add_nc_u32 v11, 8, v11 :: v_dual_add_nc_u32 v13, 8, v13
	s_wait_loadcnt_dscnt 0x0
	v_pk_mul_f32 v[94:95], v[92:93], v[90:91] op_sel:[1,1] op_sel_hi:[0,1]
	s_delay_alu instid0(VALU_DEP_1) | instskip(SKIP_2) | instid1(VALU_DEP_3)
	v_pk_fma_f32 v[96:97], v[92:93], v[90:91], v[94:95] op_sel_hi:[1,0,1]
	v_add_nc_u32_e32 v7, 1, v7
	v_pk_fma_f32 v[90:91], v[92:93], v[90:91], v[94:95] neg_lo:[0,0,1] neg_hi:[0,0,1]
	v_mov_b32_e32 v91, v97
	s_delay_alu instid0(VALU_DEP_3) | instskip(NEXT) | instid1(VALU_DEP_2)
	v_cmp_lt_u32_e32 vcc_lo, 38, v7
	v_pk_add_f32 v[88:89], v[88:89], v[90:91]
	s_or_b32 s1, vcc_lo, s1
	s_delay_alu instid0(SALU_CYCLE_1)
	s_and_not1_b32 exec_lo, exec_lo, s1
	s_cbranch_execnz .LBB41_173
; %bb.174:
	s_or_b32 exec_lo, exec_lo, s1
	v_mov_b32_e32 v7, 0
	ds_load_b64 v[90:91], v7 offset:320
	s_wait_dscnt 0x0
	v_pk_mul_f32 v[92:93], v[88:89], v[90:91] op_sel:[1,1] op_sel_hi:[0,1]
	s_delay_alu instid0(VALU_DEP_1) | instskip(SKIP_1) | instid1(VALU_DEP_2)
	v_pk_fma_f32 v[94:95], v[88:89], v[90:91], v[92:93] op_sel_hi:[1,0,1]
	v_pk_fma_f32 v[88:89], v[88:89], v[90:91], v[92:93] neg_lo:[0,0,1] neg_hi:[0,0,1]
	v_mov_b32_e32 v89, v95
	scratch_store_b64 off, v[88:89], off offset:320
.LBB41_175:
	s_wait_xcnt 0x0
	s_or_b32 exec_lo, exec_lo, s0
	s_wait_storecnt 0x0
	s_barrier_signal -1
	s_barrier_wait -1
	scratch_load_b64 v[88:89], off, off offset:328
	s_mov_b32 s0, exec_lo
	s_wait_loadcnt 0x0
	ds_store_b64 v1, v[88:89]
	s_wait_dscnt 0x0
	s_barrier_signal -1
	s_barrier_wait -1
	v_cmpx_ne_u32_e32 41, v0
	s_cbranch_execz .LBB41_179
; %bb.176:
	v_dual_mov_b32 v88, 0 :: v_dual_mov_b32 v7, v86
	s_mov_b32 s1, 0
	s_delay_alu instid0(VALU_DEP_1)
	v_mov_b32_e32 v89, v88
.LBB41_177:                             ; =>This Inner Loop Header: Depth=1
	scratch_load_b64 v[86:87], v7, off
	ds_load_b64 v[90:91], v1
	s_wait_xcnt 0x0
	v_dual_add_nc_u32 v1, 8, v1 :: v_dual_add_nc_u32 v7, 8, v7
	s_wait_loadcnt_dscnt 0x0
	v_pk_mul_f32 v[92:93], v[90:91], v[86:87] op_sel:[1,1] op_sel_hi:[0,1]
	s_delay_alu instid0(VALU_DEP_1) | instskip(SKIP_2) | instid1(VALU_DEP_3)
	v_pk_fma_f32 v[94:95], v[90:91], v[86:87], v[92:93] op_sel_hi:[1,0,1]
	v_add_nc_u32_e32 v5, 1, v5
	v_pk_fma_f32 v[86:87], v[90:91], v[86:87], v[92:93] neg_lo:[0,0,1] neg_hi:[0,0,1]
	v_mov_b32_e32 v87, v95
	s_delay_alu instid0(VALU_DEP_3) | instskip(NEXT) | instid1(VALU_DEP_2)
	v_cmp_lt_u32_e32 vcc_lo, 39, v5
	v_pk_add_f32 v[88:89], v[88:89], v[86:87]
	s_or_b32 s1, vcc_lo, s1
	s_delay_alu instid0(SALU_CYCLE_1)
	s_and_not1_b32 exec_lo, exec_lo, s1
	s_cbranch_execnz .LBB41_177
; %bb.178:
	s_or_b32 exec_lo, exec_lo, s1
	v_mov_b32_e32 v1, 0
	ds_load_b64 v[86:87], v1 offset:328
	s_wait_dscnt 0x0
	v_pk_mul_f32 v[90:91], v[88:89], v[86:87] op_sel:[1,1] op_sel_hi:[0,1]
	s_delay_alu instid0(VALU_DEP_1) | instskip(SKIP_1) | instid1(VALU_DEP_2)
	v_pk_fma_f32 v[92:93], v[88:89], v[86:87], v[90:91] op_sel_hi:[1,0,1]
	v_pk_fma_f32 v[86:87], v[88:89], v[86:87], v[90:91] neg_lo:[0,0,1] neg_hi:[0,0,1]
	v_mov_b32_e32 v87, v93
	scratch_store_b64 off, v[86:87], off offset:328
.LBB41_179:
	s_wait_xcnt 0x0
	s_or_b32 exec_lo, exec_lo, s0
	s_mov_b32 s1, -1
	s_wait_storecnt 0x0
	s_barrier_signal -1
	s_barrier_wait -1
.LBB41_180:
	s_and_b32 vcc_lo, exec_lo, s1
	s_cbranch_vccz .LBB41_182
; %bb.181:
	v_mov_b32_e32 v1, 0
	s_lshl_b64 s[0:1], s[16:17], 2
	s_delay_alu instid0(SALU_CYCLE_1)
	s_add_nc_u64 s[0:1], s[6:7], s[0:1]
	global_load_b32 v1, v1, s[0:1]
	s_wait_loadcnt 0x0
	v_cmp_ne_u32_e32 vcc_lo, 0, v1
	s_cbranch_vccz .LBB41_183
.LBB41_182:
	s_sendmsg sendmsg(MSG_DEALLOC_VGPRS)
	s_endpgm
.LBB41_183:
	s_wait_xcnt 0x0
	v_lshl_add_u32 v1, v0, 3, 0x150
	s_mov_b32 s0, exec_lo
	v_cmpx_eq_u32_e32 41, v0
	s_cbranch_execz .LBB41_185
; %bb.184:
	scratch_load_b64 v[86:87], off, off offset:320
	v_mov_b64_e32 v[88:89], 0
	scratch_store_b64 off, v[88:89], off offset:320
	s_wait_loadcnt 0x0
	ds_store_b64 v1, v[86:87]
.LBB41_185:
	s_wait_xcnt 0x0
	s_or_b32 exec_lo, exec_lo, s0
	s_wait_storecnt_dscnt 0x0
	s_barrier_signal -1
	s_barrier_wait -1
	s_clause 0x1
	scratch_load_b64 v[86:87], off, off offset:328
	scratch_load_b64 v[88:89], off, off offset:320
	v_mov_b32_e32 v5, 0
	s_mov_b32 s0, exec_lo
	ds_load_b64 v[90:91], v5 offset:664
	s_wait_loadcnt_dscnt 0x100
	v_pk_mul_f32 v[92:93], v[90:91], v[86:87] op_sel:[1,1] op_sel_hi:[0,1]
	s_delay_alu instid0(VALU_DEP_1) | instskip(SKIP_1) | instid1(VALU_DEP_2)
	v_pk_fma_f32 v[94:95], v[90:91], v[86:87], v[92:93] op_sel_hi:[1,0,1]
	v_pk_fma_f32 v[86:87], v[90:91], v[86:87], v[92:93] neg_lo:[0,0,1] neg_hi:[0,0,1]
	v_mov_b32_e32 v87, v95
	s_delay_alu instid0(VALU_DEP_1) | instskip(SKIP_1) | instid1(VALU_DEP_1)
	v_pk_add_f32 v[86:87], v[86:87], 0 op_sel_hi:[1,0]
	s_wait_loadcnt 0x0
	v_pk_add_f32 v[86:87], v[88:89], v[86:87] neg_lo:[0,1] neg_hi:[0,1]
	scratch_store_b64 off, v[86:87], off offset:320
	s_wait_xcnt 0x0
	v_cmpx_lt_u32_e32 39, v0
	s_cbranch_execz .LBB41_187
; %bb.186:
	scratch_load_b64 v[86:87], off, off offset:312
	v_mov_b64_e32 v[88:89], 0
	scratch_store_b64 off, v[88:89], off offset:312
	s_wait_loadcnt 0x0
	ds_store_b64 v1, v[86:87]
.LBB41_187:
	s_wait_xcnt 0x0
	s_or_b32 exec_lo, exec_lo, s0
	s_wait_storecnt_dscnt 0x0
	s_barrier_signal -1
	s_barrier_wait -1
	s_clause 0x1
	scratch_load_b128 v[86:89], off, off offset:320
	scratch_load_b64 v[94:95], off, off offset:312
	ds_load_b128 v[90:93], v5 offset:656
	s_mov_b32 s0, exec_lo
	s_wait_dscnt 0x0
	v_dual_mov_b32 v96, v93 :: v_dual_mov_b32 v97, v92
	s_wait_loadcnt 0x1
	v_pk_mul_f32 v[98:99], v[90:91], v[86:87] op_sel:[1,1] op_sel_hi:[0,1]
	s_delay_alu instid0(VALU_DEP_1) | instskip(SKIP_2) | instid1(VALU_DEP_3)
	v_pk_fma_f32 v[102:103], v[90:91], v[86:87], v[98:99] op_sel_hi:[1,0,1]
	v_mov_b32_e32 v100, v89
	v_pk_fma_f32 v[86:87], v[90:91], v[86:87], v[98:99] neg_lo:[0,0,1] neg_hi:[0,0,1]
	v_mov_b32_e32 v87, v103
	s_delay_alu instid0(VALU_DEP_3) | instskip(NEXT) | instid1(VALU_DEP_2)
	v_pk_mul_f32 v[96:97], v[96:97], v[100:101] op_sel_hi:[1,0]
	v_pk_add_f32 v[86:87], v[86:87], 0 op_sel_hi:[1,0]
	s_delay_alu instid0(VALU_DEP_2) | instskip(SKIP_1) | instid1(VALU_DEP_2)
	v_pk_fma_f32 v[90:91], v[92:93], v[88:89], v[96:97] op_sel_hi:[1,0,1]
	v_pk_fma_f32 v[88:89], v[92:93], v[88:89], v[96:97] neg_lo:[0,0,1] neg_hi:[0,0,1]
	v_mov_b32_e32 v89, v91
	s_delay_alu instid0(VALU_DEP_1) | instskip(SKIP_1) | instid1(VALU_DEP_1)
	v_pk_add_f32 v[86:87], v[86:87], v[88:89]
	s_wait_loadcnt 0x0
	v_pk_add_f32 v[86:87], v[94:95], v[86:87] neg_lo:[0,1] neg_hi:[0,1]
	scratch_store_b64 off, v[86:87], off offset:312
	s_wait_xcnt 0x0
	v_cmpx_lt_u32_e32 38, v0
	s_cbranch_execz .LBB41_189
; %bb.188:
	scratch_load_b64 v[86:87], off, off offset:304
	v_mov_b64_e32 v[88:89], 0
	scratch_store_b64 off, v[88:89], off offset:304
	s_wait_loadcnt 0x0
	ds_store_b64 v1, v[86:87]
.LBB41_189:
	s_wait_xcnt 0x0
	s_or_b32 exec_lo, exec_lo, s0
	s_wait_storecnt_dscnt 0x0
	s_barrier_signal -1
	s_barrier_wait -1
	s_clause 0x2
	scratch_load_b128 v[86:89], off, off offset:312
	scratch_load_b64 v[94:95], off, off offset:328
	scratch_load_b64 v[96:97], off, off offset:304
	v_mov_b32_e32 v5, 0
	ds_load_2addr_b64 v[90:93], v5 offset0:81 offset1:82
	ds_load_b64 v[98:99], v5 offset:664
	s_mov_b32 s0, exec_lo
	s_wait_dscnt 0x1
	v_dual_mov_b32 v100, v93 :: v_dual_mov_b32 v101, v92
	s_wait_loadcnt 0x2
	v_mov_b32_e32 v104, v89
	v_pk_mul_f32 v[102:103], v[90:91], v[86:87] op_sel:[1,1] op_sel_hi:[0,1]
	s_delay_alu instid0(VALU_DEP_2) | instskip(NEXT) | instid1(VALU_DEP_2)
	v_pk_mul_f32 v[100:101], v[100:101], v[104:105] op_sel_hi:[1,0]
	v_pk_fma_f32 v[106:107], v[90:91], v[86:87], v[102:103] op_sel_hi:[1,0,1]
	v_pk_fma_f32 v[86:87], v[90:91], v[86:87], v[102:103] neg_lo:[0,0,1] neg_hi:[0,0,1]
	s_wait_loadcnt_dscnt 0x100
	v_pk_mul_f32 v[102:103], v[98:99], v[94:95] op_sel:[1,1] op_sel_hi:[0,1]
	v_pk_fma_f32 v[90:91], v[92:93], v[88:89], v[100:101] op_sel_hi:[1,0,1]
	v_mov_b32_e32 v87, v107
	v_pk_fma_f32 v[88:89], v[92:93], v[88:89], v[100:101] neg_lo:[0,0,1] neg_hi:[0,0,1]
	s_delay_alu instid0(VALU_DEP_4) | instskip(NEXT) | instid1(VALU_DEP_4)
	v_pk_fma_f32 v[92:93], v[98:99], v[94:95], v[102:103] neg_lo:[0,0,1] neg_hi:[0,0,1]
	v_mov_b32_e32 v89, v91
	s_delay_alu instid0(VALU_DEP_4) | instskip(SKIP_1) | instid1(VALU_DEP_2)
	v_pk_add_f32 v[86:87], v[86:87], 0 op_sel_hi:[1,0]
	v_pk_fma_f32 v[90:91], v[98:99], v[94:95], v[102:103] op_sel_hi:[1,0,1]
	v_pk_add_f32 v[86:87], v[86:87], v[88:89]
	s_delay_alu instid0(VALU_DEP_2) | instskip(NEXT) | instid1(VALU_DEP_1)
	v_mov_b32_e32 v93, v91
	v_pk_add_f32 v[86:87], v[86:87], v[92:93]
	s_wait_loadcnt 0x0
	s_delay_alu instid0(VALU_DEP_1)
	v_pk_add_f32 v[86:87], v[96:97], v[86:87] neg_lo:[0,1] neg_hi:[0,1]
	scratch_store_b64 off, v[86:87], off offset:304
	s_wait_xcnt 0x0
	v_cmpx_lt_u32_e32 37, v0
	s_cbranch_execz .LBB41_191
; %bb.190:
	scratch_load_b64 v[86:87], off, off offset:296
	v_mov_b64_e32 v[88:89], 0
	scratch_store_b64 off, v[88:89], off offset:296
	s_wait_loadcnt 0x0
	ds_store_b64 v1, v[86:87]
.LBB41_191:
	s_wait_xcnt 0x0
	s_or_b32 exec_lo, exec_lo, s0
	s_wait_storecnt_dscnt 0x0
	s_barrier_signal -1
	s_barrier_wait -1
	s_clause 0x2
	scratch_load_b128 v[86:89], off, off offset:304
	scratch_load_b128 v[90:93], off, off offset:320
	scratch_load_b64 v[102:103], off, off offset:296
	ds_load_b128 v[94:97], v5 offset:640
	ds_load_b128 v[98:101], v5 offset:656
	s_mov_b32 s0, exec_lo
	s_wait_dscnt 0x1
	v_dual_mov_b32 v104, v97 :: v_dual_mov_b32 v105, v96
	s_wait_loadcnt_dscnt 0x200
	v_dual_mov_b32 v110, v101 :: v_dual_mov_b32 v108, v89
	v_pk_mul_f32 v[106:107], v[94:95], v[86:87] op_sel:[1,1] op_sel_hi:[0,1]
	s_delay_alu instid0(VALU_DEP_2) | instskip(NEXT) | instid1(VALU_DEP_2)
	v_pk_mul_f32 v[104:105], v[104:105], v[108:109] op_sel_hi:[1,0]
	v_pk_fma_f32 v[112:113], v[94:95], v[86:87], v[106:107] op_sel_hi:[1,0,1]
	v_pk_fma_f32 v[86:87], v[94:95], v[86:87], v[106:107] neg_lo:[0,0,1] neg_hi:[0,0,1]
	v_mov_b32_e32 v111, v100
	s_wait_loadcnt 0x1
	v_pk_mul_f32 v[108:109], v[98:99], v[90:91] op_sel:[1,1] op_sel_hi:[0,1]
	v_pk_fma_f32 v[94:95], v[96:97], v[88:89], v[104:105] op_sel_hi:[1,0,1]
	v_dual_mov_b32 v87, v113 :: v_dual_mov_b32 v94, v93
	v_pk_fma_f32 v[88:89], v[96:97], v[88:89], v[104:105] neg_lo:[0,0,1] neg_hi:[0,0,1]
	s_delay_alu instid0(VALU_DEP_4) | instskip(NEXT) | instid1(VALU_DEP_4)
	v_pk_fma_f32 v[106:107], v[98:99], v[90:91], v[108:109] op_sel_hi:[1,0,1]
	v_mov_b32_e32 v89, v95
	s_delay_alu instid0(VALU_DEP_4) | instskip(SKIP_2) | instid1(VALU_DEP_3)
	v_pk_add_f32 v[86:87], v[86:87], 0 op_sel_hi:[1,0]
	v_pk_mul_f32 v[94:95], v[110:111], v[94:95] op_sel_hi:[1,0]
	v_pk_fma_f32 v[90:91], v[98:99], v[90:91], v[108:109] neg_lo:[0,0,1] neg_hi:[0,0,1]
	v_pk_add_f32 v[86:87], v[86:87], v[88:89]
	s_delay_alu instid0(VALU_DEP_3) | instskip(SKIP_2) | instid1(VALU_DEP_3)
	v_pk_fma_f32 v[88:89], v[100:101], v[92:93], v[94:95] op_sel_hi:[1,0,1]
	v_mov_b32_e32 v91, v107
	v_pk_fma_f32 v[92:93], v[100:101], v[92:93], v[94:95] neg_lo:[0,0,1] neg_hi:[0,0,1]
	v_mov_b32_e32 v93, v89
	s_delay_alu instid0(VALU_DEP_3) | instskip(NEXT) | instid1(VALU_DEP_1)
	v_pk_add_f32 v[86:87], v[86:87], v[90:91]
	v_pk_add_f32 v[86:87], v[86:87], v[92:93]
	s_wait_loadcnt 0x0
	s_delay_alu instid0(VALU_DEP_1)
	v_pk_add_f32 v[86:87], v[102:103], v[86:87] neg_lo:[0,1] neg_hi:[0,1]
	scratch_store_b64 off, v[86:87], off offset:296
	s_wait_xcnt 0x0
	v_cmpx_lt_u32_e32 36, v0
	s_cbranch_execz .LBB41_193
; %bb.192:
	scratch_load_b64 v[86:87], off, off offset:288
	v_mov_b64_e32 v[88:89], 0
	scratch_store_b64 off, v[88:89], off offset:288
	s_wait_loadcnt 0x0
	ds_store_b64 v1, v[86:87]
.LBB41_193:
	s_wait_xcnt 0x0
	s_or_b32 exec_lo, exec_lo, s0
	s_wait_storecnt_dscnt 0x0
	s_barrier_signal -1
	s_barrier_wait -1
	s_clause 0x3
	scratch_load_b128 v[86:89], off, off offset:296
	scratch_load_b128 v[90:93], off, off offset:312
	scratch_load_b64 v[102:103], off, off offset:328
	scratch_load_b64 v[104:105], off, off offset:288
	v_mov_b32_e32 v5, 0
	ds_load_2addr_b64 v[94:97], v5 offset0:79 offset1:80
	ds_load_2addr_b64 v[98:101], v5 offset0:81 offset1:82
	s_mov_b32 s0, exec_lo
	s_wait_dscnt 0x1
	v_dual_mov_b32 v106, v97 :: v_dual_mov_b32 v107, v96
	ds_load_b64 v[112:113], v5 offset:664
	s_wait_dscnt 0x1
	v_dual_mov_b32 v114, v101 :: v_dual_mov_b32 v115, v100
	s_wait_loadcnt 0x3
	v_pk_mul_f32 v[108:109], v[94:95], v[86:87] op_sel:[1,1] op_sel_hi:[0,1]
	v_mov_b32_e32 v110, v89
	s_delay_alu instid0(VALU_DEP_2) | instskip(NEXT) | instid1(VALU_DEP_2)
	v_pk_fma_f32 v[116:117], v[94:95], v[86:87], v[108:109] op_sel_hi:[1,0,1]
	v_pk_mul_f32 v[106:107], v[106:107], v[110:111] op_sel_hi:[1,0]
	v_pk_fma_f32 v[86:87], v[94:95], v[86:87], v[108:109] neg_lo:[0,0,1] neg_hi:[0,0,1]
	s_wait_loadcnt 0x2
	v_pk_mul_f32 v[110:111], v[98:99], v[90:91] op_sel:[1,1] op_sel_hi:[0,1]
	v_dual_mov_b32 v116, v93 :: v_dual_mov_b32 v87, v117
	v_pk_fma_f32 v[94:95], v[96:97], v[88:89], v[106:107] op_sel_hi:[1,0,1]
	v_pk_fma_f32 v[88:89], v[96:97], v[88:89], v[106:107] neg_lo:[0,0,1] neg_hi:[0,0,1]
	s_delay_alu instid0(VALU_DEP_4) | instskip(NEXT) | instid1(VALU_DEP_4)
	v_pk_fma_f32 v[108:109], v[98:99], v[90:91], v[110:111] op_sel_hi:[1,0,1]
	v_pk_mul_f32 v[114:115], v[114:115], v[116:117] op_sel_hi:[1,0]
	v_pk_add_f32 v[86:87], v[86:87], 0 op_sel_hi:[1,0]
	v_mov_b32_e32 v89, v95
	v_pk_fma_f32 v[90:91], v[98:99], v[90:91], v[110:111] neg_lo:[0,0,1] neg_hi:[0,0,1]
	v_mov_b32_e32 v91, v109
	v_pk_fma_f32 v[94:95], v[100:101], v[92:93], v[114:115] op_sel_hi:[1,0,1]
	v_pk_fma_f32 v[92:93], v[100:101], v[92:93], v[114:115] neg_lo:[0,0,1] neg_hi:[0,0,1]
	v_pk_add_f32 v[86:87], v[86:87], v[88:89]
	s_wait_loadcnt_dscnt 0x100
	v_pk_mul_f32 v[88:89], v[112:113], v[102:103] op_sel:[1,1] op_sel_hi:[0,1]
	s_delay_alu instid0(VALU_DEP_2) | instskip(NEXT) | instid1(VALU_DEP_2)
	v_pk_add_f32 v[86:87], v[86:87], v[90:91]
	v_pk_fma_f32 v[90:91], v[112:113], v[102:103], v[88:89] op_sel_hi:[1,0,1]
	v_mov_b32_e32 v93, v95
	v_pk_fma_f32 v[88:89], v[112:113], v[102:103], v[88:89] neg_lo:[0,0,1] neg_hi:[0,0,1]
	s_delay_alu instid0(VALU_DEP_3) | instskip(NEXT) | instid1(VALU_DEP_3)
	v_mov_b32_e32 v89, v91
	v_pk_add_f32 v[86:87], v[86:87], v[92:93]
	s_delay_alu instid0(VALU_DEP_1) | instskip(SKIP_1) | instid1(VALU_DEP_1)
	v_pk_add_f32 v[86:87], v[86:87], v[88:89]
	s_wait_loadcnt 0x0
	v_pk_add_f32 v[86:87], v[104:105], v[86:87] neg_lo:[0,1] neg_hi:[0,1]
	scratch_store_b64 off, v[86:87], off offset:288
	s_wait_xcnt 0x0
	v_cmpx_lt_u32_e32 35, v0
	s_cbranch_execz .LBB41_195
; %bb.194:
	scratch_load_b64 v[86:87], off, off offset:280
	v_mov_b64_e32 v[88:89], 0
	scratch_store_b64 off, v[88:89], off offset:280
	s_wait_loadcnt 0x0
	ds_store_b64 v1, v[86:87]
.LBB41_195:
	s_wait_xcnt 0x0
	s_or_b32 exec_lo, exec_lo, s0
	s_wait_storecnt_dscnt 0x0
	s_barrier_signal -1
	s_barrier_wait -1
	s_clause 0x3
	scratch_load_b128 v[86:89], off, off offset:288
	scratch_load_b128 v[90:93], off, off offset:304
	;; [unrolled: 1-line block ×3, first 2 shown]
	scratch_load_b64 v[110:111], off, off offset:280
	ds_load_b128 v[98:101], v5 offset:624
	ds_load_b128 v[102:105], v5 offset:640
	;; [unrolled: 1-line block ×3, first 2 shown]
	s_mov_b32 s0, exec_lo
	s_wait_dscnt 0x2
	v_dual_mov_b32 v112, v101 :: v_dual_mov_b32 v113, v100
	s_wait_dscnt 0x1
	v_dual_mov_b32 v114, v105 :: v_dual_mov_b32 v115, v104
	;; [unrolled: 2-line block ×3, first 2 shown]
	s_wait_loadcnt 0x3
	v_pk_mul_f32 v[116:117], v[98:99], v[86:87] op_sel:[1,1] op_sel_hi:[0,1]
	v_mov_b32_e32 v118, v89
	s_delay_alu instid0(VALU_DEP_2) | instskip(NEXT) | instid1(VALU_DEP_2)
	v_pk_fma_f32 v[122:123], v[98:99], v[86:87], v[116:117] op_sel_hi:[1,0,1]
	v_pk_mul_f32 v[112:113], v[112:113], v[118:119] op_sel_hi:[1,0]
	v_pk_fma_f32 v[86:87], v[98:99], v[86:87], v[116:117] neg_lo:[0,0,1] neg_hi:[0,0,1]
	s_wait_loadcnt 0x2
	v_pk_mul_f32 v[118:119], v[102:103], v[90:91] op_sel:[1,1] op_sel_hi:[0,1]
	v_mov_b32_e32 v122, v93
	v_pk_fma_f32 v[98:99], v[100:101], v[88:89], v[112:113] op_sel_hi:[1,0,1]
	v_mov_b32_e32 v87, v123
	v_pk_fma_f32 v[88:89], v[100:101], v[88:89], v[112:113] neg_lo:[0,0,1] neg_hi:[0,0,1]
	v_pk_fma_f32 v[116:117], v[102:103], v[90:91], v[118:119] op_sel_hi:[1,0,1]
	v_pk_mul_f32 v[114:115], v[114:115], v[122:123] op_sel_hi:[1,0]
	v_mov_b32_e32 v89, v99
	v_pk_add_f32 v[86:87], v[86:87], 0 op_sel_hi:[1,0]
	v_pk_fma_f32 v[90:91], v[102:103], v[90:91], v[118:119] neg_lo:[0,0,1] neg_hi:[0,0,1]
	s_wait_loadcnt 0x1
	v_pk_mul_f32 v[98:99], v[106:107], v[94:95] op_sel:[1,1] op_sel_hi:[0,1]
	v_mov_b32_e32 v91, v117
	v_pk_fma_f32 v[100:101], v[104:105], v[92:93], v[114:115] op_sel_hi:[1,0,1]
	v_pk_add_f32 v[86:87], v[86:87], v[88:89]
	v_mov_b32_e32 v88, v97
	v_pk_fma_f32 v[92:93], v[104:105], v[92:93], v[114:115] neg_lo:[0,0,1] neg_hi:[0,0,1]
	v_pk_fma_f32 v[102:103], v[106:107], v[94:95], v[98:99] op_sel_hi:[1,0,1]
	v_mov_b32_e32 v93, v101
	v_pk_add_f32 v[86:87], v[86:87], v[90:91]
	v_pk_mul_f32 v[88:89], v[120:121], v[88:89] op_sel_hi:[1,0]
	v_pk_fma_f32 v[90:91], v[106:107], v[94:95], v[98:99] neg_lo:[0,0,1] neg_hi:[0,0,1]
	v_mov_b32_e32 v91, v103
	s_delay_alu instid0(VALU_DEP_4) | instskip(NEXT) | instid1(VALU_DEP_4)
	v_pk_add_f32 v[86:87], v[86:87], v[92:93]
	v_pk_fma_f32 v[92:93], v[108:109], v[96:97], v[88:89] op_sel_hi:[1,0,1]
	v_pk_fma_f32 v[88:89], v[108:109], v[96:97], v[88:89] neg_lo:[0,0,1] neg_hi:[0,0,1]
	s_delay_alu instid0(VALU_DEP_3) | instskip(NEXT) | instid1(VALU_DEP_3)
	v_pk_add_f32 v[86:87], v[86:87], v[90:91]
	v_mov_b32_e32 v89, v93
	s_delay_alu instid0(VALU_DEP_1) | instskip(SKIP_1) | instid1(VALU_DEP_1)
	v_pk_add_f32 v[86:87], v[86:87], v[88:89]
	s_wait_loadcnt 0x0
	v_pk_add_f32 v[86:87], v[110:111], v[86:87] neg_lo:[0,1] neg_hi:[0,1]
	scratch_store_b64 off, v[86:87], off offset:280
	s_wait_xcnt 0x0
	v_cmpx_lt_u32_e32 34, v0
	s_cbranch_execz .LBB41_197
; %bb.196:
	scratch_load_b64 v[86:87], off, off offset:272
	v_mov_b64_e32 v[88:89], 0
	scratch_store_b64 off, v[88:89], off offset:272
	s_wait_loadcnt 0x0
	ds_store_b64 v1, v[86:87]
.LBB41_197:
	s_wait_xcnt 0x0
	s_or_b32 exec_lo, exec_lo, s0
	s_wait_storecnt_dscnt 0x0
	s_barrier_signal -1
	s_barrier_wait -1
	s_clause 0x4
	scratch_load_b128 v[86:89], off, off offset:280
	scratch_load_b128 v[90:93], off, off offset:296
	;; [unrolled: 1-line block ×3, first 2 shown]
	scratch_load_b64 v[110:111], off, off offset:328
	scratch_load_b64 v[112:113], off, off offset:272
	v_mov_b32_e32 v5, 0
	ds_load_2addr_b64 v[98:101], v5 offset0:77 offset1:78
	ds_load_2addr_b64 v[102:105], v5 offset0:79 offset1:80
	;; [unrolled: 1-line block ×3, first 2 shown]
	ds_load_b64 v[114:115], v5 offset:664
	s_mov_b32 s0, exec_lo
	s_wait_dscnt 0x3
	v_dual_mov_b32 v116, v101 :: v_dual_mov_b32 v117, v100
	s_wait_dscnt 0x2
	v_dual_mov_b32 v118, v105 :: v_dual_mov_b32 v119, v104
	;; [unrolled: 2-line block ×3, first 2 shown]
	s_wait_loadcnt 0x4
	v_pk_mul_f32 v[120:121], v[98:99], v[86:87] op_sel:[1,1] op_sel_hi:[0,1]
	v_mov_b32_e32 v122, v89
	s_wait_loadcnt 0x3
	v_pk_mul_f32 v[126:127], v[102:103], v[90:91] op_sel:[1,1] op_sel_hi:[0,1]
	s_wait_loadcnt 0x2
	v_pk_mul_f32 v[130:131], v[106:107], v[94:95] op_sel:[1,1] op_sel_hi:[0,1]
	v_pk_fma_f32 v[128:129], v[98:99], v[86:87], v[120:121] op_sel_hi:[1,0,1]
	v_pk_mul_f32 v[116:117], v[116:117], v[122:123] op_sel_hi:[1,0]
	v_pk_fma_f32 v[86:87], v[98:99], v[86:87], v[120:121] neg_lo:[0,0,1] neg_hi:[0,0,1]
	v_mov_b32_e32 v122, v93
	v_pk_fma_f32 v[120:121], v[102:103], v[90:91], v[126:127] op_sel_hi:[1,0,1]
	v_mov_b32_e32 v87, v129
	v_pk_fma_f32 v[98:99], v[100:101], v[88:89], v[116:117] op_sel_hi:[1,0,1]
	v_pk_fma_f32 v[88:89], v[100:101], v[88:89], v[116:117] neg_lo:[0,0,1] neg_hi:[0,0,1]
	v_pk_mul_f32 v[118:119], v[118:119], v[122:123] op_sel_hi:[1,0]
	v_pk_fma_f32 v[90:91], v[102:103], v[90:91], v[126:127] neg_lo:[0,0,1] neg_hi:[0,0,1]
	v_pk_add_f32 v[86:87], v[86:87], 0 op_sel_hi:[1,0]
	v_dual_mov_b32 v89, v99 :: v_dual_mov_b32 v98, v97
	s_delay_alu instid0(VALU_DEP_4) | instskip(SKIP_2) | instid1(VALU_DEP_4)
	v_pk_fma_f32 v[100:101], v[104:105], v[92:93], v[118:119] op_sel_hi:[1,0,1]
	v_mov_b32_e32 v91, v121
	v_pk_fma_f32 v[92:93], v[104:105], v[92:93], v[118:119] neg_lo:[0,0,1] neg_hi:[0,0,1]
	v_pk_add_f32 v[86:87], v[86:87], v[88:89]
	v_pk_fma_f32 v[88:89], v[106:107], v[94:95], v[130:131] op_sel_hi:[1,0,1]
	v_pk_mul_f32 v[98:99], v[124:125], v[98:99] op_sel_hi:[1,0]
	v_mov_b32_e32 v93, v101
	s_delay_alu instid0(VALU_DEP_4)
	v_pk_add_f32 v[86:87], v[86:87], v[90:91]
	v_pk_fma_f32 v[90:91], v[106:107], v[94:95], v[130:131] neg_lo:[0,0,1] neg_hi:[0,0,1]
	v_mov_b32_e32 v91, v89
	v_pk_fma_f32 v[88:89], v[108:109], v[96:97], v[98:99] op_sel_hi:[1,0,1]
	v_pk_fma_f32 v[94:95], v[108:109], v[96:97], v[98:99] neg_lo:[0,0,1] neg_hi:[0,0,1]
	v_pk_add_f32 v[86:87], v[86:87], v[92:93]
	s_wait_loadcnt_dscnt 0x100
	v_pk_mul_f32 v[92:93], v[114:115], v[110:111] op_sel:[1,1] op_sel_hi:[0,1]
	v_mov_b32_e32 v95, v89
	s_delay_alu instid0(VALU_DEP_3) | instskip(NEXT) | instid1(VALU_DEP_3)
	v_pk_add_f32 v[86:87], v[86:87], v[90:91]
	v_pk_fma_f32 v[88:89], v[114:115], v[110:111], v[92:93] op_sel_hi:[1,0,1]
	v_pk_fma_f32 v[90:91], v[114:115], v[110:111], v[92:93] neg_lo:[0,0,1] neg_hi:[0,0,1]
	s_delay_alu instid0(VALU_DEP_3) | instskip(NEXT) | instid1(VALU_DEP_3)
	v_pk_add_f32 v[86:87], v[86:87], v[94:95]
	v_mov_b32_e32 v91, v89
	s_delay_alu instid0(VALU_DEP_1) | instskip(SKIP_1) | instid1(VALU_DEP_1)
	v_pk_add_f32 v[86:87], v[86:87], v[90:91]
	s_wait_loadcnt 0x0
	v_pk_add_f32 v[86:87], v[112:113], v[86:87] neg_lo:[0,1] neg_hi:[0,1]
	scratch_store_b64 off, v[86:87], off offset:272
	s_wait_xcnt 0x0
	v_cmpx_lt_u32_e32 33, v0
	s_cbranch_execz .LBB41_199
; %bb.198:
	scratch_load_b64 v[86:87], off, off offset:264
	v_mov_b64_e32 v[88:89], 0
	scratch_store_b64 off, v[88:89], off offset:264
	s_wait_loadcnt 0x0
	ds_store_b64 v1, v[86:87]
.LBB41_199:
	s_wait_xcnt 0x0
	s_or_b32 exec_lo, exec_lo, s0
	s_wait_storecnt_dscnt 0x0
	s_barrier_signal -1
	s_barrier_wait -1
	s_clause 0x4
	scratch_load_b128 v[86:89], off, off offset:272
	scratch_load_b128 v[90:93], off, off offset:288
	scratch_load_b128 v[94:97], off, off offset:304
	scratch_load_b128 v[98:101], off, off offset:320
	scratch_load_b64 v[118:119], off, off offset:264
	ds_load_b128 v[102:105], v5 offset:608
	ds_load_b128 v[106:109], v5 offset:624
	;; [unrolled: 1-line block ×4, first 2 shown]
	s_mov_b32 s0, exec_lo
	s_wait_dscnt 0x3
	v_dual_mov_b32 v120, v105 :: v_dual_mov_b32 v121, v104
	s_wait_dscnt 0x2
	v_dual_mov_b32 v122, v109 :: v_dual_mov_b32 v123, v108
	;; [unrolled: 2-line block ×3, first 2 shown]
	v_dual_mov_b32 v125, v112 :: v_dual_mov_b32 v130, v117
	s_wait_loadcnt 0x4
	v_mov_b32_e32 v128, v89
	v_pk_mul_f32 v[126:127], v[102:103], v[86:87] op_sel:[1,1] op_sel_hi:[0,1]
	s_wait_loadcnt 0x3
	v_pk_mul_f32 v[132:133], v[106:107], v[90:91] op_sel:[1,1] op_sel_hi:[0,1]
	s_wait_loadcnt 0x2
	v_pk_mul_f32 v[136:137], v[110:111], v[94:95] op_sel:[1,1] op_sel_hi:[0,1]
	v_pk_mul_f32 v[120:121], v[120:121], v[128:129] op_sel_hi:[1,0]
	v_pk_fma_f32 v[134:135], v[102:103], v[86:87], v[126:127] op_sel_hi:[1,0,1]
	v_pk_fma_f32 v[86:87], v[102:103], v[86:87], v[126:127] neg_lo:[0,0,1] neg_hi:[0,0,1]
	v_mov_b32_e32 v128, v93
	v_pk_fma_f32 v[126:127], v[106:107], v[90:91], v[132:133] op_sel_hi:[1,0,1]
	v_pk_fma_f32 v[102:103], v[104:105], v[88:89], v[120:121] op_sel_hi:[1,0,1]
	v_mov_b32_e32 v87, v135
	v_pk_fma_f32 v[88:89], v[104:105], v[88:89], v[120:121] neg_lo:[0,0,1] neg_hi:[0,0,1]
	v_pk_mul_f32 v[122:123], v[122:123], v[128:129] op_sel_hi:[1,0]
	s_delay_alu instid0(VALU_DEP_4) | instskip(NEXT) | instid1(VALU_DEP_4)
	v_dual_mov_b32 v102, v97 :: v_dual_mov_b32 v89, v103
	v_pk_add_f32 v[86:87], v[86:87], 0 op_sel_hi:[1,0]
	v_pk_fma_f32 v[90:91], v[106:107], v[90:91], v[132:133] neg_lo:[0,0,1] neg_hi:[0,0,1]
	v_mov_b32_e32 v91, v127
	v_pk_fma_f32 v[104:105], v[108:109], v[92:93], v[122:123] op_sel_hi:[1,0,1]
	v_pk_mul_f32 v[102:103], v[124:125], v[102:103] op_sel_hi:[1,0]
	v_pk_add_f32 v[86:87], v[86:87], v[88:89]
	v_pk_fma_f32 v[88:89], v[110:111], v[94:95], v[136:137] op_sel_hi:[1,0,1]
	v_pk_fma_f32 v[92:93], v[108:109], v[92:93], v[122:123] neg_lo:[0,0,1] neg_hi:[0,0,1]
	v_mov_b32_e32 v93, v105
	v_pk_fma_f32 v[94:95], v[110:111], v[94:95], v[136:137] neg_lo:[0,0,1] neg_hi:[0,0,1]
	v_pk_add_f32 v[86:87], v[86:87], v[90:91]
	v_mov_b32_e32 v95, v89
	v_pk_fma_f32 v[88:89], v[112:113], v[96:97], v[102:103] op_sel_hi:[1,0,1]
	s_wait_loadcnt 0x1
	v_pk_mul_f32 v[90:91], v[114:115], v[98:99] op_sel:[1,1] op_sel_hi:[0,1]
	v_mov_b32_e32 v88, v101
	v_pk_add_f32 v[86:87], v[86:87], v[92:93]
	v_pk_fma_f32 v[96:97], v[112:113], v[96:97], v[102:103] neg_lo:[0,0,1] neg_hi:[0,0,1]
	v_mov_b32_e32 v97, v89
	v_pk_fma_f32 v[92:93], v[114:115], v[98:99], v[90:91] op_sel_hi:[1,0,1]
	v_pk_mul_f32 v[88:89], v[130:131], v[88:89] op_sel_hi:[1,0]
	v_pk_add_f32 v[86:87], v[86:87], v[94:95]
	v_pk_fma_f32 v[90:91], v[114:115], v[98:99], v[90:91] neg_lo:[0,0,1] neg_hi:[0,0,1]
	s_delay_alu instid0(VALU_DEP_4) | instskip(NEXT) | instid1(VALU_DEP_4)
	v_mov_b32_e32 v91, v93
	v_pk_fma_f32 v[92:93], v[116:117], v[100:101], v[88:89] op_sel_hi:[1,0,1]
	s_delay_alu instid0(VALU_DEP_4) | instskip(SKIP_1) | instid1(VALU_DEP_3)
	v_pk_add_f32 v[86:87], v[86:87], v[96:97]
	v_pk_fma_f32 v[88:89], v[116:117], v[100:101], v[88:89] neg_lo:[0,0,1] neg_hi:[0,0,1]
	v_mov_b32_e32 v89, v93
	s_delay_alu instid0(VALU_DEP_3) | instskip(NEXT) | instid1(VALU_DEP_1)
	v_pk_add_f32 v[86:87], v[86:87], v[90:91]
	v_pk_add_f32 v[86:87], v[86:87], v[88:89]
	s_wait_loadcnt 0x0
	s_delay_alu instid0(VALU_DEP_1)
	v_pk_add_f32 v[86:87], v[118:119], v[86:87] neg_lo:[0,1] neg_hi:[0,1]
	scratch_store_b64 off, v[86:87], off offset:264
	s_wait_xcnt 0x0
	v_cmpx_lt_u32_e32 32, v0
	s_cbranch_execz .LBB41_201
; %bb.200:
	scratch_load_b64 v[86:87], off, off offset:256
	v_mov_b64_e32 v[88:89], 0
	scratch_store_b64 off, v[88:89], off offset:256
	s_wait_loadcnt 0x0
	ds_store_b64 v1, v[86:87]
.LBB41_201:
	s_wait_xcnt 0x0
	s_or_b32 exec_lo, exec_lo, s0
	s_wait_storecnt_dscnt 0x0
	s_barrier_signal -1
	s_barrier_wait -1
	s_clause 0x5
	scratch_load_b128 v[86:89], off, off offset:264
	scratch_load_b128 v[90:93], off, off offset:280
	;; [unrolled: 1-line block ×4, first 2 shown]
	scratch_load_b64 v[118:119], off, off offset:328
	scratch_load_b64 v[120:121], off, off offset:256
	v_mov_b32_e32 v5, 0
	ds_load_2addr_b64 v[102:105], v5 offset0:75 offset1:76
	ds_load_2addr_b64 v[106:109], v5 offset0:77 offset1:78
	ds_load_2addr_b64 v[110:113], v5 offset0:79 offset1:80
	ds_load_2addr_b64 v[114:117], v5 offset0:81 offset1:82
	ds_load_b64 v[122:123], v5 offset:664
	s_mov_b32 s0, exec_lo
	s_wait_dscnt 0x4
	v_dual_mov_b32 v124, v105 :: v_dual_mov_b32 v125, v104
	s_wait_dscnt 0x1
	v_dual_mov_b32 v126, v109 :: v_dual_mov_b32 v131, v116
	v_dual_mov_b32 v127, v108 :: v_dual_mov_b32 v128, v113
	;; [unrolled: 1-line block ×3, first 2 shown]
	s_wait_loadcnt 0x5
	v_dual_mov_b32 v132, v89 :: v_dual_mul_f32 v133, v102, v87
	v_mul_f32_e32 v7, v103, v87
	s_wait_loadcnt 0x4
	v_pk_mul_f32 v[134:135], v[106:107], v[90:91] op_sel:[1,1] op_sel_hi:[0,1]
	v_mov_b32_e32 v136, v93
	s_wait_loadcnt 0x3
	v_pk_mul_f32 v[138:139], v[110:111], v[94:95] op_sel:[1,1] op_sel_hi:[0,1]
	v_pk_mul_f32 v[124:125], v[124:125], v[132:133] op_sel_hi:[1,0]
	v_dual_fmac_f32 v133, v103, v86 :: v_dual_fma_f32 v132, v102, v86, -v7
	v_mov_b32_e32 v86, v97
	v_pk_fma_f32 v[140:141], v[106:107], v[90:91], v[134:135] op_sel_hi:[1,0,1]
	s_delay_alu instid0(VALU_DEP_4)
	v_pk_fma_f32 v[102:103], v[104:105], v[88:89], v[124:125] op_sel_hi:[1,0,1]
	v_pk_fma_f32 v[88:89], v[104:105], v[88:89], v[124:125] neg_lo:[0,0,1] neg_hi:[0,0,1]
	v_pk_mul_f32 v[126:127], v[126:127], v[136:137] op_sel_hi:[1,0]
	v_pk_add_f32 v[132:133], v[132:133], 0 op_sel_hi:[1,0]
	v_pk_fma_f32 v[90:91], v[106:107], v[90:91], v[134:135] neg_lo:[0,0,1] neg_hi:[0,0,1]
	v_dual_mov_b32 v89, v103 :: v_dual_mov_b32 v91, v141
	s_delay_alu instid0(VALU_DEP_4) | instskip(SKIP_2) | instid1(VALU_DEP_4)
	v_pk_fma_f32 v[104:105], v[108:109], v[92:93], v[126:127] op_sel_hi:[1,0,1]
	v_pk_fma_f32 v[92:93], v[108:109], v[92:93], v[126:127] neg_lo:[0,0,1] neg_hi:[0,0,1]
	v_pk_fma_f32 v[106:107], v[110:111], v[94:95], v[138:139] op_sel_hi:[1,0,1]
	v_pk_add_f32 v[88:89], v[132:133], v[88:89]
	v_pk_mul_f32 v[86:87], v[128:129], v[86:87] op_sel_hi:[1,0]
	v_mov_b32_e32 v93, v105
	v_pk_fma_f32 v[94:95], v[110:111], v[94:95], v[138:139] neg_lo:[0,0,1] neg_hi:[0,0,1]
	s_wait_loadcnt 0x2
	v_pk_mul_f32 v[102:103], v[114:115], v[98:99] op_sel:[1,1] op_sel_hi:[0,1]
	v_pk_add_f32 v[88:89], v[88:89], v[90:91]
	v_mov_b32_e32 v90, v101
	v_pk_fma_f32 v[104:105], v[112:113], v[96:97], v[86:87] op_sel_hi:[1,0,1]
	v_mov_b32_e32 v95, v107
	v_pk_fma_f32 v[86:87], v[112:113], v[96:97], v[86:87] neg_lo:[0,0,1] neg_hi:[0,0,1]
	v_pk_add_f32 v[88:89], v[88:89], v[92:93]
	v_pk_fma_f32 v[92:93], v[114:115], v[98:99], v[102:103] op_sel_hi:[1,0,1]
	v_pk_mul_f32 v[90:91], v[130:131], v[90:91] op_sel_hi:[1,0]
	v_mov_b32_e32 v87, v105
	s_delay_alu instid0(VALU_DEP_4)
	v_pk_add_f32 v[88:89], v[88:89], v[94:95]
	v_pk_fma_f32 v[94:95], v[114:115], v[98:99], v[102:103] neg_lo:[0,0,1] neg_hi:[0,0,1]
	v_mov_b32_e32 v95, v93
	v_pk_fma_f32 v[92:93], v[116:117], v[100:101], v[90:91] op_sel_hi:[1,0,1]
	v_pk_fma_f32 v[90:91], v[116:117], v[100:101], v[90:91] neg_lo:[0,0,1] neg_hi:[0,0,1]
	v_pk_add_f32 v[86:87], v[88:89], v[86:87]
	s_wait_loadcnt_dscnt 0x100
	v_pk_mul_f32 v[88:89], v[122:123], v[118:119] op_sel:[1,1] op_sel_hi:[0,1]
	v_mov_b32_e32 v91, v93
	s_delay_alu instid0(VALU_DEP_3) | instskip(NEXT) | instid1(VALU_DEP_3)
	v_pk_add_f32 v[86:87], v[86:87], v[94:95]
	v_pk_fma_f32 v[92:93], v[122:123], v[118:119], v[88:89] op_sel_hi:[1,0,1]
	v_pk_fma_f32 v[88:89], v[122:123], v[118:119], v[88:89] neg_lo:[0,0,1] neg_hi:[0,0,1]
	s_delay_alu instid0(VALU_DEP_3) | instskip(NEXT) | instid1(VALU_DEP_3)
	v_pk_add_f32 v[86:87], v[86:87], v[90:91]
	v_mov_b32_e32 v89, v93
	s_delay_alu instid0(VALU_DEP_1) | instskip(SKIP_1) | instid1(VALU_DEP_1)
	v_pk_add_f32 v[86:87], v[86:87], v[88:89]
	s_wait_loadcnt 0x0
	v_pk_add_f32 v[86:87], v[120:121], v[86:87] neg_lo:[0,1] neg_hi:[0,1]
	scratch_store_b64 off, v[86:87], off offset:256
	s_wait_xcnt 0x0
	v_cmpx_lt_u32_e32 31, v0
	s_cbranch_execz .LBB41_203
; %bb.202:
	scratch_load_b64 v[86:87], off, off offset:248
	v_mov_b64_e32 v[88:89], 0
	scratch_store_b64 off, v[88:89], off offset:248
	s_wait_loadcnt 0x0
	ds_store_b64 v1, v[86:87]
.LBB41_203:
	s_wait_xcnt 0x0
	s_or_b32 exec_lo, exec_lo, s0
	s_wait_storecnt_dscnt 0x0
	s_barrier_signal -1
	s_barrier_wait -1
	s_clause 0x5
	scratch_load_b128 v[86:89], off, off offset:256
	scratch_load_b128 v[90:93], off, off offset:272
	;; [unrolled: 1-line block ×5, first 2 shown]
	scratch_load_b64 v[126:127], off, off offset:248
	ds_load_b128 v[106:109], v5 offset:608
	ds_load_b128 v[110:113], v5 offset:624
	;; [unrolled: 1-line block ×5, first 2 shown]
	s_mov_b32 s0, exec_lo
	s_wait_dscnt 0x4
	v_dual_mov_b32 v128, v109 :: v_dual_mov_b32 v129, v108
	s_wait_dscnt 0x3
	v_dual_mov_b32 v130, v113 :: v_dual_mov_b32 v131, v112
	;; [unrolled: 2-line block ×4, first 2 shown]
	s_wait_loadcnt_dscnt 0x500
	v_dual_mul_f32 v137, v122, v87 :: v_dual_mul_f32 v139, v124, v89
	v_dual_mul_f32 v5, v123, v87 :: v_dual_mul_f32 v7, v125, v89
	s_wait_loadcnt 0x4
	v_pk_mul_f32 v[140:141], v[106:107], v[90:91] op_sel:[1,1] op_sel_hi:[0,1]
	s_wait_loadcnt 0x3
	v_dual_mov_b32 v142, v93 :: v_dual_mov_b32 v146, v97
	v_dual_fmac_f32 v137, v123, v86 :: v_dual_fmac_f32 v139, v125, v88
	v_dual_fma_f32 v136, v122, v86, -v5 :: v_dual_fma_f32 v138, v124, v88, -v7
	v_pk_fma_f32 v[86:87], v[106:107], v[90:91], v[140:141] op_sel_hi:[1,0,1]
	s_delay_alu instid0(VALU_DEP_4) | instskip(SKIP_1) | instid1(VALU_DEP_4)
	v_pk_mul_f32 v[88:89], v[128:129], v[142:143] op_sel_hi:[1,0]
	v_pk_fma_f32 v[90:91], v[106:107], v[90:91], v[140:141] neg_lo:[0,0,1] neg_hi:[0,0,1]
	v_pk_add_f32 v[122:123], v[136:137], 0 op_sel_hi:[1,0]
	v_pk_mul_f32 v[144:145], v[110:111], v[94:95] op_sel:[1,1] op_sel_hi:[0,1]
	v_mov_b32_e32 v91, v87
	v_pk_fma_f32 v[86:87], v[108:109], v[92:93], v[88:89] op_sel_hi:[1,0,1]
	v_pk_fma_f32 v[88:89], v[108:109], v[92:93], v[88:89] neg_lo:[0,0,1] neg_hi:[0,0,1]
	v_pk_add_f32 v[106:107], v[122:123], v[138:139]
	v_pk_fma_f32 v[122:123], v[110:111], v[94:95], v[144:145] op_sel_hi:[1,0,1]
	v_pk_mul_f32 v[128:129], v[130:131], v[146:147] op_sel_hi:[1,0]
	v_mov_b32_e32 v89, v87
	s_wait_loadcnt 0x2
	v_pk_mul_f32 v[124:125], v[114:115], v[98:99] op_sel:[1,1] op_sel_hi:[0,1]
	v_pk_add_f32 v[86:87], v[106:107], v[90:91]
	v_mov_b32_e32 v90, v101
	v_pk_fma_f32 v[92:93], v[110:111], v[94:95], v[144:145] neg_lo:[0,0,1] neg_hi:[0,0,1]
	v_mov_b32_e32 v93, v123
	v_pk_fma_f32 v[94:95], v[112:113], v[96:97], v[128:129] op_sel_hi:[1,0,1]
	v_pk_add_f32 v[86:87], v[86:87], v[88:89]
	v_pk_fma_f32 v[88:89], v[114:115], v[98:99], v[124:125] op_sel_hi:[1,0,1]
	v_pk_mul_f32 v[90:91], v[132:133], v[90:91] op_sel_hi:[1,0]
	v_pk_fma_f32 v[96:97], v[112:113], v[96:97], v[128:129] neg_lo:[0,0,1] neg_hi:[0,0,1]
	v_mov_b32_e32 v97, v95
	v_pk_add_f32 v[86:87], v[86:87], v[92:93]
	v_pk_fma_f32 v[94:95], v[114:115], v[98:99], v[124:125] neg_lo:[0,0,1] neg_hi:[0,0,1]
	v_mov_b32_e32 v95, v89
	v_pk_fma_f32 v[88:89], v[116:117], v[100:101], v[90:91] op_sel_hi:[1,0,1]
	s_wait_loadcnt 0x1
	v_pk_mul_f32 v[92:93], v[118:119], v[102:103] op_sel:[1,1] op_sel_hi:[0,1]
	v_pk_add_f32 v[86:87], v[86:87], v[96:97]
	v_mov_b32_e32 v88, v105
	v_pk_fma_f32 v[90:91], v[116:117], v[100:101], v[90:91] neg_lo:[0,0,1] neg_hi:[0,0,1]
	v_mov_b32_e32 v91, v89
	v_pk_fma_f32 v[96:97], v[118:119], v[102:103], v[92:93] op_sel_hi:[1,0,1]
	v_pk_add_f32 v[86:87], v[86:87], v[94:95]
	v_pk_mul_f32 v[88:89], v[134:135], v[88:89] op_sel_hi:[1,0]
	v_pk_fma_f32 v[92:93], v[118:119], v[102:103], v[92:93] neg_lo:[0,0,1] neg_hi:[0,0,1]
	s_delay_alu instid0(VALU_DEP_3) | instskip(NEXT) | instid1(VALU_DEP_3)
	v_pk_add_f32 v[86:87], v[86:87], v[90:91]
	v_pk_fma_f32 v[90:91], v[120:121], v[104:105], v[88:89] op_sel_hi:[1,0,1]
	v_mov_b32_e32 v93, v97
	v_pk_fma_f32 v[88:89], v[120:121], v[104:105], v[88:89] neg_lo:[0,0,1] neg_hi:[0,0,1]
	s_delay_alu instid0(VALU_DEP_3) | instskip(NEXT) | instid1(VALU_DEP_3)
	v_mov_b32_e32 v89, v91
	v_pk_add_f32 v[86:87], v[86:87], v[92:93]
	s_delay_alu instid0(VALU_DEP_1) | instskip(SKIP_1) | instid1(VALU_DEP_1)
	v_pk_add_f32 v[86:87], v[86:87], v[88:89]
	s_wait_loadcnt 0x0
	v_pk_add_f32 v[86:87], v[126:127], v[86:87] neg_lo:[0,1] neg_hi:[0,1]
	scratch_store_b64 off, v[86:87], off offset:248
	s_wait_xcnt 0x0
	v_cmpx_lt_u32_e32 30, v0
	s_cbranch_execz .LBB41_205
; %bb.204:
	scratch_load_b64 v[86:87], off, off offset:240
	v_mov_b64_e32 v[88:89], 0
	scratch_store_b64 off, v[88:89], off offset:240
	s_wait_loadcnt 0x0
	ds_store_b64 v1, v[86:87]
.LBB41_205:
	s_wait_xcnt 0x0
	s_or_b32 exec_lo, exec_lo, s0
	s_wait_storecnt_dscnt 0x0
	s_barrier_signal -1
	s_barrier_wait -1
	s_clause 0x6
	scratch_load_b128 v[86:89], off, off offset:248
	scratch_load_b128 v[90:93], off, off offset:264
	;; [unrolled: 1-line block ×5, first 2 shown]
	scratch_load_b64 v[126:127], off, off offset:328
	scratch_load_b64 v[128:129], off, off offset:240
	v_mov_b32_e32 v5, 0
	ds_load_2addr_b64 v[106:109], v5 offset0:75 offset1:76
	ds_load_2addr_b64 v[110:113], v5 offset0:77 offset1:78
	;; [unrolled: 1-line block ×5, first 2 shown]
	ds_load_b64 v[130:131], v5 offset:664
	s_mov_b32 s0, exec_lo
	s_wait_dscnt 0x5
	v_dual_mov_b32 v132, v109 :: v_dual_mov_b32 v133, v108
	s_wait_dscnt 0x2
	v_dual_mov_b32 v134, v113 :: v_dual_mov_b32 v139, v120
	v_dual_mov_b32 v135, v112 :: v_dual_mov_b32 v136, v117
	;; [unrolled: 1-line block ×3, first 2 shown]
	s_wait_loadcnt_dscnt 0x601
	v_dual_mul_f32 v7, v122, v87 :: v_dual_mul_f32 v11, v123, v87
	v_dual_mul_f32 v13, v125, v89 :: v_dual_mul_f32 v141, v124, v89
	s_wait_loadcnt 0x5
	v_dual_mul_f32 v143, v106, v91 :: v_dual_mul_f32 v15, v107, v91
	s_wait_loadcnt 0x4
	v_dual_mov_b32 v142, v93 :: v_dual_mov_b32 v146, v97
	v_fmac_f32_e32 v7, v123, v86
	v_dual_fma_f32 v11, v122, v86, -v11 :: v_dual_fmac_f32 v141, v125, v88
	v_pk_mul_f32 v[144:145], v[110:111], v[94:95] op_sel:[1,1] op_sel_hi:[0,1]
	s_delay_alu instid0(VALU_DEP_3)
	v_dual_fma_f32 v140, v124, v88, -v13 :: v_dual_add_f32 v89, 0, v7
	v_pk_mul_f32 v[86:87], v[132:133], v[142:143] op_sel_hi:[1,0]
	s_wait_loadcnt 0x3
	v_dual_add_f32 v88, 0, v11 :: v_dual_mov_b32 v122, v101
	v_fmac_f32_e32 v143, v107, v90
	v_fma_f32 v142, v106, v90, -v15
	v_pk_fma_f32 v[90:91], v[108:109], v[92:93], v[86:87] op_sel_hi:[1,0,1]
	s_delay_alu instid0(VALU_DEP_4) | instskip(SKIP_4) | instid1(VALU_DEP_4)
	v_pk_add_f32 v[88:89], v[88:89], v[140:141]
	v_pk_fma_f32 v[106:107], v[110:111], v[94:95], v[144:145] op_sel_hi:[1,0,1]
	v_pk_fma_f32 v[86:87], v[108:109], v[92:93], v[86:87] neg_lo:[0,0,1] neg_hi:[0,0,1]
	v_pk_fma_f32 v[92:93], v[110:111], v[94:95], v[144:145] neg_lo:[0,0,1] neg_hi:[0,0,1]
	v_pk_mul_f32 v[124:125], v[134:135], v[146:147] op_sel_hi:[1,0]
	v_dual_mov_b32 v87, v91 :: v_dual_mov_b32 v93, v107
	v_pk_add_f32 v[88:89], v[88:89], v[142:143]
	v_pk_mul_f32 v[148:149], v[114:115], v[98:99] op_sel:[1,1] op_sel_hi:[0,1]
	s_delay_alu instid0(VALU_DEP_4)
	v_pk_fma_f32 v[94:95], v[112:113], v[96:97], v[124:125] op_sel_hi:[1,0,1]
	v_pk_fma_f32 v[96:97], v[112:113], v[96:97], v[124:125] neg_lo:[0,0,1] neg_hi:[0,0,1]
	v_pk_mul_f32 v[106:107], v[136:137], v[122:123] op_sel_hi:[1,0]
	v_pk_add_f32 v[86:87], v[88:89], v[86:87]
	v_pk_fma_f32 v[88:89], v[114:115], v[98:99], v[148:149] op_sel_hi:[1,0,1]
	s_wait_loadcnt 0x2
	v_dual_mov_b32 v97, v95 :: v_dual_mov_b32 v88, v105
	v_pk_mul_f32 v[90:91], v[118:119], v[102:103] op_sel:[1,1] op_sel_hi:[0,1]
	v_pk_add_f32 v[86:87], v[86:87], v[92:93]
	v_pk_fma_f32 v[92:93], v[114:115], v[98:99], v[148:149] neg_lo:[0,0,1] neg_hi:[0,0,1]
	v_pk_fma_f32 v[94:95], v[116:117], v[100:101], v[106:107] op_sel_hi:[1,0,1]
	v_mov_b32_e32 v93, v89
	v_pk_fma_f32 v[98:99], v[116:117], v[100:101], v[106:107] neg_lo:[0,0,1] neg_hi:[0,0,1]
	v_pk_add_f32 v[86:87], v[86:87], v[96:97]
	v_pk_fma_f32 v[96:97], v[118:119], v[102:103], v[90:91] op_sel_hi:[1,0,1]
	v_pk_mul_f32 v[88:89], v[138:139], v[88:89] op_sel_hi:[1,0]
	v_mov_b32_e32 v99, v95
	v_pk_fma_f32 v[90:91], v[118:119], v[102:103], v[90:91] neg_lo:[0,0,1] neg_hi:[0,0,1]
	v_pk_add_f32 v[86:87], v[86:87], v[92:93]
	s_wait_loadcnt_dscnt 0x100
	v_pk_mul_f32 v[94:95], v[130:131], v[126:127] op_sel:[1,1] op_sel_hi:[0,1]
	v_pk_fma_f32 v[92:93], v[120:121], v[104:105], v[88:89] op_sel_hi:[1,0,1]
	v_mov_b32_e32 v91, v97
	v_pk_fma_f32 v[88:89], v[120:121], v[104:105], v[88:89] neg_lo:[0,0,1] neg_hi:[0,0,1]
	v_pk_add_f32 v[86:87], v[86:87], v[98:99]
	s_delay_alu instid0(VALU_DEP_4) | instskip(SKIP_1) | instid1(VALU_DEP_3)
	v_mov_b32_e32 v89, v93
	v_pk_fma_f32 v[92:93], v[130:131], v[126:127], v[94:95] neg_lo:[0,0,1] neg_hi:[0,0,1]
	v_pk_add_f32 v[86:87], v[86:87], v[90:91]
	v_pk_fma_f32 v[90:91], v[130:131], v[126:127], v[94:95] op_sel_hi:[1,0,1]
	s_delay_alu instid0(VALU_DEP_2) | instskip(NEXT) | instid1(VALU_DEP_2)
	v_pk_add_f32 v[86:87], v[86:87], v[88:89]
	v_mov_b32_e32 v93, v91
	s_delay_alu instid0(VALU_DEP_1) | instskip(SKIP_1) | instid1(VALU_DEP_1)
	v_pk_add_f32 v[86:87], v[86:87], v[92:93]
	s_wait_loadcnt 0x0
	v_pk_add_f32 v[86:87], v[128:129], v[86:87] neg_lo:[0,1] neg_hi:[0,1]
	scratch_store_b64 off, v[86:87], off offset:240
	s_wait_xcnt 0x0
	v_cmpx_lt_u32_e32 29, v0
	s_cbranch_execz .LBB41_207
; %bb.206:
	scratch_load_b64 v[86:87], off, off offset:232
	v_mov_b64_e32 v[88:89], 0
	scratch_store_b64 off, v[88:89], off offset:232
	s_wait_loadcnt 0x0
	ds_store_b64 v1, v[86:87]
.LBB41_207:
	s_wait_xcnt 0x0
	s_or_b32 exec_lo, exec_lo, s0
	s_wait_storecnt_dscnt 0x0
	s_barrier_signal -1
	s_barrier_wait -1
	s_clause 0x6
	scratch_load_b128 v[86:89], off, off offset:240
	scratch_load_b128 v[90:93], off, off offset:256
	;; [unrolled: 1-line block ×6, first 2 shown]
	scratch_load_b64 v[134:135], off, off offset:232
	ds_load_b128 v[110:113], v5 offset:608
	ds_load_b128 v[114:117], v5 offset:624
	;; [unrolled: 1-line block ×6, first 2 shown]
	s_mov_b32 s0, exec_lo
	s_wait_dscnt 0x5
	v_dual_mov_b32 v136, v113 :: v_dual_mov_b32 v137, v112
	s_wait_dscnt 0x4
	v_dual_mov_b32 v138, v117 :: v_dual_mov_b32 v139, v116
	;; [unrolled: 2-line block ×4, first 2 shown]
	s_wait_loadcnt_dscnt 0x601
	v_dual_mul_f32 v5, v126, v87 :: v_dual_mul_f32 v7, v128, v89
	v_dual_mul_f32 v11, v127, v87 :: v_dual_mul_f32 v13, v129, v89
	s_wait_loadcnt 0x4
	s_delay_alu instid0(VALU_DEP_2)
	v_dual_mov_b32 v150, v97 :: v_dual_fmac_f32 v5, v127, v86
	s_wait_dscnt 0x0
	v_dual_mul_f32 v145, v130, v91 :: v_dual_mul_f32 v147, v132, v93
	v_dual_fma_f32 v11, v126, v86, -v11 :: v_dual_fma_f32 v13, v128, v88, -v13
	v_dual_mul_f32 v15, v131, v91 :: v_dual_mul_f32 v17, v133, v93
	v_dual_fmac_f32 v7, v129, v88 :: v_dual_add_f32 v5, 0, v5
	s_wait_loadcnt 0x3
	s_delay_alu instid0(VALU_DEP_3) | instskip(SKIP_2) | instid1(VALU_DEP_3)
	v_dual_add_f32 v11, 0, v11 :: v_dual_mov_b32 v88, v101
	v_pk_mul_f32 v[148:149], v[110:111], v[94:95] op_sel:[1,1] op_sel_hi:[0,1]
	v_dual_fmac_f32 v145, v131, v90 :: v_dual_fma_f32 v144, v130, v90, -v15
	v_dual_add_f32 v91, v5, v7 :: v_dual_add_f32 v90, v11, v13
	v_dual_fmac_f32 v147, v133, v92 :: v_dual_fma_f32 v146, v132, v92, -v17
	s_delay_alu instid0(VALU_DEP_4) | instskip(SKIP_1) | instid1(VALU_DEP_4)
	v_pk_fma_f32 v[92:93], v[110:111], v[94:95], v[148:149] op_sel_hi:[1,0,1]
	v_pk_mul_f32 v[126:127], v[136:137], v[150:151] op_sel_hi:[1,0]
	v_pk_add_f32 v[90:91], v[90:91], v[144:145]
	v_pk_fma_f32 v[94:95], v[110:111], v[94:95], v[148:149] neg_lo:[0,0,1] neg_hi:[0,0,1]
	v_pk_mul_f32 v[86:87], v[114:115], v[98:99] op_sel:[1,1] op_sel_hi:[0,1]
	v_mov_b32_e32 v95, v93
	v_pk_fma_f32 v[92:93], v[112:113], v[96:97], v[126:127] op_sel_hi:[1,0,1]
	v_pk_add_f32 v[90:91], v[90:91], v[146:147]
	v_pk_fma_f32 v[96:97], v[112:113], v[96:97], v[126:127] neg_lo:[0,0,1] neg_hi:[0,0,1]
	v_pk_fma_f32 v[110:111], v[114:115], v[98:99], v[86:87] op_sel_hi:[1,0,1]
	v_pk_mul_f32 v[88:89], v[138:139], v[88:89] op_sel_hi:[1,0]
	v_mov_b32_e32 v97, v93
	v_pk_add_f32 v[90:91], v[90:91], v[94:95]
	v_pk_fma_f32 v[86:87], v[114:115], v[98:99], v[86:87] neg_lo:[0,0,1] neg_hi:[0,0,1]
	s_wait_loadcnt 0x2
	v_pk_mul_f32 v[128:129], v[118:119], v[102:103] op_sel:[1,1] op_sel_hi:[0,1]
	v_dual_mov_b32 v92, v105 :: v_dual_mov_b32 v87, v111
	v_pk_fma_f32 v[94:95], v[116:117], v[100:101], v[88:89] op_sel_hi:[1,0,1]
	v_pk_add_f32 v[90:91], v[90:91], v[96:97]
	v_pk_fma_f32 v[88:89], v[116:117], v[100:101], v[88:89] neg_lo:[0,0,1] neg_hi:[0,0,1]
	v_pk_fma_f32 v[96:97], v[118:119], v[102:103], v[128:129] op_sel_hi:[1,0,1]
	v_pk_mul_f32 v[92:93], v[140:141], v[92:93] op_sel_hi:[1,0]
	v_mov_b32_e32 v89, v95
	v_pk_add_f32 v[86:87], v[90:91], v[86:87]
	v_pk_fma_f32 v[94:95], v[118:119], v[102:103], v[128:129] neg_lo:[0,0,1] neg_hi:[0,0,1]
	s_wait_loadcnt 0x1
	v_pk_mul_f32 v[90:91], v[122:123], v[106:107] op_sel:[1,1] op_sel_hi:[0,1]
	v_mov_b32_e32 v95, v97
	v_pk_fma_f32 v[96:97], v[120:121], v[104:105], v[92:93] op_sel_hi:[1,0,1]
	v_pk_add_f32 v[86:87], v[86:87], v[88:89]
	v_mov_b32_e32 v88, v109
	v_pk_fma_f32 v[92:93], v[120:121], v[104:105], v[92:93] neg_lo:[0,0,1] neg_hi:[0,0,1]
	v_pk_fma_f32 v[98:99], v[122:123], v[106:107], v[90:91] op_sel_hi:[1,0,1]
	v_mov_b32_e32 v93, v97
	v_pk_add_f32 v[86:87], v[86:87], v[94:95]
	v_pk_mul_f32 v[88:89], v[142:143], v[88:89] op_sel_hi:[1,0]
	v_pk_fma_f32 v[90:91], v[122:123], v[106:107], v[90:91] neg_lo:[0,0,1] neg_hi:[0,0,1]
	s_delay_alu instid0(VALU_DEP_3) | instskip(NEXT) | instid1(VALU_DEP_3)
	v_pk_add_f32 v[86:87], v[86:87], v[92:93]
	v_pk_fma_f32 v[92:93], v[124:125], v[108:109], v[88:89] op_sel_hi:[1,0,1]
	v_mov_b32_e32 v91, v99
	v_pk_fma_f32 v[88:89], v[124:125], v[108:109], v[88:89] neg_lo:[0,0,1] neg_hi:[0,0,1]
	s_delay_alu instid0(VALU_DEP_3) | instskip(NEXT) | instid1(VALU_DEP_3)
	v_mov_b32_e32 v89, v93
	v_pk_add_f32 v[86:87], v[86:87], v[90:91]
	s_delay_alu instid0(VALU_DEP_1) | instskip(SKIP_1) | instid1(VALU_DEP_1)
	v_pk_add_f32 v[86:87], v[86:87], v[88:89]
	s_wait_loadcnt 0x0
	v_pk_add_f32 v[86:87], v[134:135], v[86:87] neg_lo:[0,1] neg_hi:[0,1]
	scratch_store_b64 off, v[86:87], off offset:232
	s_wait_xcnt 0x0
	v_cmpx_lt_u32_e32 28, v0
	s_cbranch_execz .LBB41_209
; %bb.208:
	scratch_load_b64 v[86:87], off, off offset:224
	v_mov_b64_e32 v[88:89], 0
	scratch_store_b64 off, v[88:89], off offset:224
	s_wait_loadcnt 0x0
	ds_store_b64 v1, v[86:87]
.LBB41_209:
	s_wait_xcnt 0x0
	s_or_b32 exec_lo, exec_lo, s0
	s_wait_storecnt_dscnt 0x0
	s_barrier_signal -1
	s_barrier_wait -1
	s_clause 0x7
	scratch_load_b128 v[86:89], off, off offset:232
	scratch_load_b128 v[90:93], off, off offset:248
	;; [unrolled: 1-line block ×6, first 2 shown]
	scratch_load_b64 v[134:135], off, off offset:328
	scratch_load_b64 v[136:137], off, off offset:224
	v_mov_b32_e32 v5, 0
	ds_load_2addr_b64 v[110:113], v5 offset0:75 offset1:76
	ds_load_2addr_b64 v[114:117], v5 offset0:77 offset1:78
	;; [unrolled: 1-line block ×6, first 2 shown]
	ds_load_b64 v[138:139], v5 offset:664
	s_mov_b32 s0, exec_lo
	s_wait_dscnt 0x6
	v_dual_mov_b32 v140, v113 :: v_dual_mov_b32 v141, v112
	s_wait_dscnt 0x3
	v_dual_mov_b32 v142, v117 :: v_dual_mov_b32 v147, v124
	v_dual_mov_b32 v143, v116 :: v_dual_mov_b32 v144, v121
	;; [unrolled: 1-line block ×3, first 2 shown]
	s_wait_loadcnt_dscnt 0x702
	v_dual_mul_f32 v7, v126, v87 :: v_dual_mul_f32 v15, v127, v87
	v_dual_mul_f32 v17, v129, v89 :: v_dual_mul_f32 v11, v128, v89
	s_wait_loadcnt_dscnt 0x601
	s_delay_alu instid0(VALU_DEP_2) | instskip(NEXT) | instid1(VALU_DEP_2)
	v_dual_mul_f32 v13, v130, v91 :: v_dual_fmac_f32 v7, v127, v86
	v_dual_fma_f32 v15, v126, v86, -v15 :: v_dual_fma_f32 v17, v128, v88, -v17
	v_dual_mul_f32 v19, v131, v91 :: v_dual_mul_f32 v21, v133, v93
	s_wait_loadcnt 0x4
	v_mov_b32_e32 v86, v101
	v_dual_fmac_f32 v11, v129, v88 :: v_dual_add_f32 v7, 0, v7
	v_dual_add_f32 v15, 0, v15 :: v_dual_fmac_f32 v13, v131, v90
	v_dual_mul_f32 v149, v132, v93 :: v_dual_mul_f32 v151, v110, v95
	v_dual_mul_f32 v23, v111, v95 :: v_dual_mov_b32 v150, v97
	s_delay_alu instid0(VALU_DEP_4) | instskip(NEXT) | instid1(VALU_DEP_3)
	v_dual_fma_f32 v19, v130, v90, -v19 :: v_dual_add_f32 v7, v7, v11
	v_dual_add_f32 v11, v15, v17 :: v_dual_fmac_f32 v149, v133, v92
	v_pk_mul_f32 v[152:153], v[114:115], v[98:99] op_sel:[1,1] op_sel_hi:[0,1]
	s_delay_alu instid0(VALU_DEP_3)
	v_dual_fma_f32 v148, v132, v92, -v21 :: v_dual_add_f32 v93, v7, v13
	v_pk_mul_f32 v[90:91], v[140:141], v[150:151] op_sel_hi:[1,0]
	s_wait_loadcnt 0x3
	v_dual_add_f32 v92, v11, v19 :: v_dual_mov_b32 v126, v105
	v_fmac_f32_e32 v151, v111, v94
	v_fma_f32 v150, v110, v94, -v23
	v_pk_fma_f32 v[94:95], v[112:113], v[96:97], v[90:91] op_sel_hi:[1,0,1]
	s_delay_alu instid0(VALU_DEP_4) | instskip(SKIP_4) | instid1(VALU_DEP_4)
	v_pk_add_f32 v[92:93], v[92:93], v[148:149]
	v_pk_fma_f32 v[110:111], v[114:115], v[98:99], v[152:153] op_sel_hi:[1,0,1]
	v_pk_fma_f32 v[90:91], v[112:113], v[96:97], v[90:91] neg_lo:[0,0,1] neg_hi:[0,0,1]
	v_pk_fma_f32 v[96:97], v[114:115], v[98:99], v[152:153] neg_lo:[0,0,1] neg_hi:[0,0,1]
	v_pk_mul_f32 v[86:87], v[142:143], v[86:87] op_sel_hi:[1,0]
	v_dual_mov_b32 v91, v95 :: v_dual_mov_b32 v97, v111
	v_pk_add_f32 v[92:93], v[92:93], v[150:151]
	v_pk_mul_f32 v[88:89], v[118:119], v[102:103] op_sel:[1,1] op_sel_hi:[0,1]
	s_delay_alu instid0(VALU_DEP_4)
	v_pk_fma_f32 v[98:99], v[116:117], v[100:101], v[86:87] op_sel_hi:[1,0,1]
	v_pk_fma_f32 v[86:87], v[116:117], v[100:101], v[86:87] neg_lo:[0,0,1] neg_hi:[0,0,1]
	v_pk_mul_f32 v[110:111], v[144:145], v[126:127] op_sel_hi:[1,0]
	v_pk_add_f32 v[90:91], v[92:93], v[90:91]
	v_pk_fma_f32 v[92:93], v[118:119], v[102:103], v[88:89] op_sel_hi:[1,0,1]
	s_wait_loadcnt 0x2
	v_dual_mov_b32 v87, v99 :: v_dual_mov_b32 v92, v109
	v_pk_fma_f32 v[88:89], v[118:119], v[102:103], v[88:89] neg_lo:[0,0,1] neg_hi:[0,0,1]
	v_pk_add_f32 v[90:91], v[90:91], v[96:97]
	v_pk_mul_f32 v[94:95], v[122:123], v[106:107] op_sel:[1,1] op_sel_hi:[0,1]
	v_pk_fma_f32 v[96:97], v[120:121], v[104:105], v[110:111] op_sel_hi:[1,0,1]
	v_mov_b32_e32 v89, v93
	v_pk_fma_f32 v[98:99], v[120:121], v[104:105], v[110:111] neg_lo:[0,0,1] neg_hi:[0,0,1]
	v_pk_add_f32 v[86:87], v[90:91], v[86:87]
	v_pk_fma_f32 v[90:91], v[122:123], v[106:107], v[94:95] op_sel_hi:[1,0,1]
	v_pk_mul_f32 v[92:93], v[146:147], v[92:93] op_sel_hi:[1,0]
	v_mov_b32_e32 v99, v97
	s_delay_alu instid0(VALU_DEP_4)
	v_pk_add_f32 v[86:87], v[86:87], v[88:89]
	v_pk_fma_f32 v[88:89], v[122:123], v[106:107], v[94:95] neg_lo:[0,0,1] neg_hi:[0,0,1]
	v_mov_b32_e32 v89, v91
	v_pk_fma_f32 v[90:91], v[124:125], v[108:109], v[92:93] op_sel_hi:[1,0,1]
	s_wait_loadcnt_dscnt 0x100
	v_pk_mul_f32 v[94:95], v[138:139], v[134:135] op_sel:[1,1] op_sel_hi:[0,1]
	v_pk_add_f32 v[86:87], v[86:87], v[98:99]
	v_pk_fma_f32 v[92:93], v[124:125], v[108:109], v[92:93] neg_lo:[0,0,1] neg_hi:[0,0,1]
	v_mov_b32_e32 v93, v91
	s_delay_alu instid0(VALU_DEP_4) | instskip(NEXT) | instid1(VALU_DEP_4)
	v_pk_fma_f32 v[90:91], v[138:139], v[134:135], v[94:95] neg_lo:[0,0,1] neg_hi:[0,0,1]
	v_pk_add_f32 v[86:87], v[86:87], v[88:89]
	v_pk_fma_f32 v[88:89], v[138:139], v[134:135], v[94:95] op_sel_hi:[1,0,1]
	s_delay_alu instid0(VALU_DEP_2) | instskip(NEXT) | instid1(VALU_DEP_2)
	v_pk_add_f32 v[86:87], v[86:87], v[92:93]
	v_mov_b32_e32 v91, v89
	s_delay_alu instid0(VALU_DEP_1) | instskip(SKIP_1) | instid1(VALU_DEP_1)
	v_pk_add_f32 v[86:87], v[86:87], v[90:91]
	s_wait_loadcnt 0x0
	v_pk_add_f32 v[86:87], v[136:137], v[86:87] neg_lo:[0,1] neg_hi:[0,1]
	scratch_store_b64 off, v[86:87], off offset:224
	s_wait_xcnt 0x0
	v_cmpx_lt_u32_e32 27, v0
	s_cbranch_execz .LBB41_211
; %bb.210:
	scratch_load_b64 v[86:87], off, off offset:216
	v_mov_b64_e32 v[88:89], 0
	scratch_store_b64 off, v[88:89], off offset:216
	s_wait_loadcnt 0x0
	ds_store_b64 v1, v[86:87]
.LBB41_211:
	s_wait_xcnt 0x0
	s_or_b32 exec_lo, exec_lo, s0
	s_wait_storecnt_dscnt 0x0
	s_barrier_signal -1
	s_barrier_wait -1
	s_clause 0x7
	scratch_load_b128 v[86:89], off, off offset:224
	scratch_load_b128 v[90:93], off, off offset:240
	;; [unrolled: 1-line block ×7, first 2 shown]
	scratch_load_b64 v[142:143], off, off offset:216
	ds_load_b128 v[114:117], v5 offset:608
	ds_load_b128 v[118:121], v5 offset:624
	;; [unrolled: 1-line block ×7, first 2 shown]
	s_mov_b32 s0, exec_lo
	s_wait_dscnt 0x6
	v_dual_mov_b32 v144, v117 :: v_dual_mov_b32 v145, v116
	s_wait_dscnt 0x5
	v_dual_mov_b32 v146, v121 :: v_dual_mov_b32 v147, v120
	;; [unrolled: 2-line block ×4, first 2 shown]
	s_wait_loadcnt_dscnt 0x702
	v_dual_mul_f32 v5, v130, v87 :: v_dual_mul_f32 v7, v132, v89
	v_dual_mul_f32 v15, v131, v87 :: v_dual_mul_f32 v17, v133, v89
	s_wait_loadcnt_dscnt 0x601
	v_dual_mul_f32 v11, v134, v91 :: v_dual_mul_f32 v13, v136, v93
	s_delay_alu instid0(VALU_DEP_2) | instskip(SKIP_2) | instid1(VALU_DEP_3)
	v_dual_fmac_f32 v5, v131, v86 :: v_dual_fma_f32 v15, v130, v86, -v15
	v_dual_mul_f32 v19, v135, v91 :: v_dual_mul_f32 v21, v137, v93
	v_dual_fmac_f32 v7, v133, v88 :: v_dual_fma_f32 v17, v132, v88, -v17
	v_dual_add_f32 v5, 0, v5 :: v_dual_add_f32 v15, 0, v15
	s_wait_loadcnt 0x4
	v_dual_mov_b32 v88, v101 :: v_dual_fmac_f32 v11, v135, v90
	s_delay_alu instid0(VALU_DEP_2) | instskip(NEXT) | instid1(VALU_DEP_3)
	v_dual_fma_f32 v19, v134, v90, -v19 :: v_dual_add_f32 v5, v5, v7
	v_dual_add_f32 v7, v15, v17 :: v_dual_fmac_f32 v13, v137, v92
	s_wait_dscnt 0x0
	v_dual_mul_f32 v153, v138, v95 :: v_dual_mul_f32 v155, v140, v97
	v_dual_mul_f32 v23, v139, v95 :: v_dual_mul_f32 v25, v141, v97
	v_dual_fma_f32 v15, v136, v92, -v21 :: v_dual_add_f32 v5, v5, v11
	s_wait_loadcnt 0x3
	v_dual_add_f32 v7, v7, v19 :: v_dual_mov_b32 v92, v105
	v_pk_mul_f32 v[86:87], v[114:115], v[98:99] op_sel:[1,1] op_sel_hi:[0,1]
	v_dual_fmac_f32 v153, v139, v94 :: v_dual_fma_f32 v152, v138, v94, -v23
	s_delay_alu instid0(VALU_DEP_3) | instskip(SKIP_1) | instid1(VALU_DEP_4)
	v_dual_add_f32 v95, v5, v13 :: v_dual_add_f32 v94, v7, v15
	v_dual_fmac_f32 v155, v141, v96 :: v_dual_fma_f32 v154, v140, v96, -v25
	v_pk_fma_f32 v[96:97], v[114:115], v[98:99], v[86:87] op_sel_hi:[1,0,1]
	v_pk_mul_f32 v[88:89], v[144:145], v[88:89] op_sel_hi:[1,0]
	s_delay_alu instid0(VALU_DEP_4)
	v_pk_add_f32 v[94:95], v[94:95], v[152:153]
	v_pk_fma_f32 v[86:87], v[114:115], v[98:99], v[86:87] neg_lo:[0,0,1] neg_hi:[0,0,1]
	v_pk_mul_f32 v[90:91], v[118:119], v[102:103] op_sel:[1,1] op_sel_hi:[0,1]
	v_mov_b32_e32 v87, v97
	v_pk_fma_f32 v[96:97], v[116:117], v[100:101], v[88:89] op_sel_hi:[1,0,1]
	v_pk_add_f32 v[94:95], v[94:95], v[154:155]
	v_pk_fma_f32 v[88:89], v[116:117], v[100:101], v[88:89] neg_lo:[0,0,1] neg_hi:[0,0,1]
	v_pk_fma_f32 v[98:99], v[118:119], v[102:103], v[90:91] op_sel_hi:[1,0,1]
	v_pk_mul_f32 v[92:93], v[146:147], v[92:93] op_sel_hi:[1,0]
	v_mov_b32_e32 v89, v97
	v_pk_add_f32 v[86:87], v[94:95], v[86:87]
	s_wait_loadcnt 0x2
	v_pk_mul_f32 v[130:131], v[122:123], v[106:107] op_sel:[1,1] op_sel_hi:[0,1]
	v_mov_b32_e32 v94, v109
	v_pk_fma_f32 v[90:91], v[118:119], v[102:103], v[90:91] neg_lo:[0,0,1] neg_hi:[0,0,1]
	v_mov_b32_e32 v91, v99
	v_pk_fma_f32 v[96:97], v[120:121], v[104:105], v[92:93] op_sel_hi:[1,0,1]
	v_pk_add_f32 v[86:87], v[86:87], v[88:89]
	v_pk_fma_f32 v[88:89], v[122:123], v[106:107], v[130:131] op_sel_hi:[1,0,1]
	v_pk_mul_f32 v[94:95], v[148:149], v[94:95] op_sel_hi:[1,0]
	v_pk_fma_f32 v[92:93], v[120:121], v[104:105], v[92:93] neg_lo:[0,0,1] neg_hi:[0,0,1]
	v_mov_b32_e32 v93, v97
	v_pk_add_f32 v[86:87], v[86:87], v[90:91]
	v_pk_fma_f32 v[96:97], v[122:123], v[106:107], v[130:131] neg_lo:[0,0,1] neg_hi:[0,0,1]
	v_mov_b32_e32 v97, v89
	v_pk_fma_f32 v[88:89], v[124:125], v[108:109], v[94:95] op_sel_hi:[1,0,1]
	s_wait_loadcnt 0x1
	v_pk_mul_f32 v[90:91], v[126:127], v[110:111] op_sel:[1,1] op_sel_hi:[0,1]
	v_pk_add_f32 v[86:87], v[86:87], v[92:93]
	v_mov_b32_e32 v88, v113
	v_pk_fma_f32 v[94:95], v[124:125], v[108:109], v[94:95] neg_lo:[0,0,1] neg_hi:[0,0,1]
	v_mov_b32_e32 v95, v89
	v_pk_fma_f32 v[92:93], v[126:127], v[110:111], v[90:91] op_sel_hi:[1,0,1]
	v_pk_add_f32 v[86:87], v[86:87], v[96:97]
	v_pk_mul_f32 v[88:89], v[150:151], v[88:89] op_sel_hi:[1,0]
	v_pk_fma_f32 v[90:91], v[126:127], v[110:111], v[90:91] neg_lo:[0,0,1] neg_hi:[0,0,1]
	s_delay_alu instid0(VALU_DEP_4) | instskip(NEXT) | instid1(VALU_DEP_4)
	v_mov_b32_e32 v91, v93
	v_pk_add_f32 v[86:87], v[86:87], v[94:95]
	s_delay_alu instid0(VALU_DEP_4) | instskip(SKIP_1) | instid1(VALU_DEP_2)
	v_pk_fma_f32 v[92:93], v[128:129], v[112:113], v[88:89] op_sel_hi:[1,0,1]
	v_pk_fma_f32 v[88:89], v[128:129], v[112:113], v[88:89] neg_lo:[0,0,1] neg_hi:[0,0,1]
	v_mov_b32_e32 v89, v93
	s_delay_alu instid0(VALU_DEP_4) | instskip(NEXT) | instid1(VALU_DEP_1)
	v_pk_add_f32 v[86:87], v[86:87], v[90:91]
	v_pk_add_f32 v[86:87], v[86:87], v[88:89]
	s_wait_loadcnt 0x0
	s_delay_alu instid0(VALU_DEP_1)
	v_pk_add_f32 v[86:87], v[142:143], v[86:87] neg_lo:[0,1] neg_hi:[0,1]
	scratch_store_b64 off, v[86:87], off offset:216
	s_wait_xcnt 0x0
	v_cmpx_lt_u32_e32 26, v0
	s_cbranch_execz .LBB41_213
; %bb.212:
	scratch_load_b64 v[86:87], off, off offset:208
	v_mov_b64_e32 v[88:89], 0
	scratch_store_b64 off, v[88:89], off offset:208
	s_wait_loadcnt 0x0
	ds_store_b64 v1, v[86:87]
.LBB41_213:
	s_wait_xcnt 0x0
	s_or_b32 exec_lo, exec_lo, s0
	s_wait_storecnt_dscnt 0x0
	s_barrier_signal -1
	s_barrier_wait -1
	s_clause 0x8
	scratch_load_b128 v[86:89], off, off offset:216
	scratch_load_b128 v[90:93], off, off offset:232
	;; [unrolled: 1-line block ×7, first 2 shown]
	scratch_load_b64 v[142:143], off, off offset:328
	scratch_load_b64 v[144:145], off, off offset:208
	v_mov_b32_e32 v5, 0
	ds_load_2addr_b64 v[114:117], v5 offset0:75 offset1:76
	ds_load_2addr_b64 v[118:121], v5 offset0:77 offset1:78
	;; [unrolled: 1-line block ×7, first 2 shown]
	ds_load_b64 v[146:147], v5 offset:664
	s_mov_b32 s0, exec_lo
	s_wait_dscnt 0x7
	v_dual_mov_b32 v148, v117 :: v_dual_mov_b32 v149, v116
	s_wait_dscnt 0x4
	v_dual_mov_b32 v150, v121 :: v_dual_mov_b32 v155, v128
	v_dual_mov_b32 v151, v120 :: v_dual_mov_b32 v152, v125
	;; [unrolled: 1-line block ×3, first 2 shown]
	s_wait_loadcnt_dscnt 0x803
	v_dual_mul_f32 v7, v130, v87 :: v_dual_mul_f32 v19, v131, v87
	v_dual_mul_f32 v21, v133, v89 :: v_dual_mul_f32 v11, v132, v89
	s_wait_loadcnt_dscnt 0x702
	v_mul_f32_e32 v13, v134, v91
	s_wait_loadcnt 0x5
	v_dual_mul_f32 v31, v115, v99 :: v_dual_fma_f32 v19, v130, v86, -v19
	v_dual_fmac_f32 v7, v131, v86 :: v_dual_mov_b32 v86, v101
	v_dual_mul_f32 v23, v135, v91 :: v_dual_mul_f32 v25, v137, v93
	v_dual_fmac_f32 v11, v133, v88 :: v_dual_fma_f32 v21, v132, v88, -v21
	s_delay_alu instid0(VALU_DEP_3) | instskip(NEXT) | instid1(VALU_DEP_3)
	v_dual_add_f32 v7, 0, v7 :: v_dual_fmac_f32 v13, v135, v90
	v_dual_add_f32 v19, 0, v19 :: v_dual_fma_f32 v23, v134, v90, -v23
	s_wait_dscnt 0x1
	v_dual_mul_f32 v15, v136, v93 :: v_dual_mul_f32 v17, v138, v95
	s_wait_loadcnt 0x4
	v_dual_add_f32 v7, v7, v11 :: v_dual_mov_b32 v90, v105
	s_delay_alu instid0(VALU_DEP_2) | instskip(SKIP_1) | instid1(VALU_DEP_3)
	v_dual_add_f32 v11, v19, v21 :: v_dual_fmac_f32 v15, v137, v92
	v_dual_mul_f32 v27, v139, v95 :: v_dual_mul_f32 v29, v141, v97
	v_dual_fma_f32 v19, v136, v92, -v25 :: v_dual_add_f32 v7, v7, v13
	s_delay_alu instid0(VALU_DEP_2) | instskip(SKIP_2) | instid1(VALU_DEP_4)
	v_dual_add_f32 v11, v11, v23 :: v_dual_fma_f32 v13, v138, v94, -v27
	v_dual_mul_f32 v157, v140, v97 :: v_dual_mul_f32 v159, v114, v99
	v_fmac_f32_e32 v17, v139, v94
	v_add_f32_e32 v7, v7, v15
	s_delay_alu instid0(VALU_DEP_4)
	v_dual_add_f32 v11, v11, v19 :: v_dual_fma_f32 v156, v140, v96, -v29
	v_pk_mul_f32 v[86:87], v[148:149], v[86:87] op_sel_hi:[1,0]
	v_pk_mul_f32 v[90:91], v[150:151], v[90:91] op_sel_hi:[1,0]
	v_pk_mul_f32 v[88:89], v[118:119], v[102:103] op_sel:[1,1] op_sel_hi:[0,1]
	v_fmac_f32_e32 v157, v141, v96
	s_wait_loadcnt 0x3
	v_dual_mov_b32 v96, v109 :: v_dual_add_f32 v95, v7, v17
	v_fma_f32 v158, v114, v98, -v31
	v_fmac_f32_e32 v159, v115, v98
	v_pk_fma_f32 v[98:99], v[116:117], v[100:101], v[86:87] op_sel_hi:[1,0,1]
	v_pk_fma_f32 v[86:87], v[116:117], v[100:101], v[86:87] neg_lo:[0,0,1] neg_hi:[0,0,1]
	v_pk_fma_f32 v[100:101], v[120:121], v[104:105], v[90:91] op_sel_hi:[1,0,1]
	v_add_f32_e32 v94, v11, v13
	v_pk_fma_f32 v[90:91], v[120:121], v[104:105], v[90:91] neg_lo:[0,0,1] neg_hi:[0,0,1]
	v_pk_fma_f32 v[114:115], v[118:119], v[102:103], v[88:89] op_sel_hi:[1,0,1]
	v_pk_fma_f32 v[88:89], v[118:119], v[102:103], v[88:89] neg_lo:[0,0,1] neg_hi:[0,0,1]
	v_mov_b32_e32 v91, v101
	v_pk_add_f32 v[94:95], v[94:95], v[156:157]
	s_delay_alu instid0(VALU_DEP_4) | instskip(SKIP_2) | instid1(VALU_DEP_4)
	v_dual_mov_b32 v87, v99 :: v_dual_mov_b32 v89, v115
	v_pk_mul_f32 v[92:93], v[122:123], v[106:107] op_sel:[1,1] op_sel_hi:[0,1]
	v_pk_mul_f32 v[96:97], v[152:153], v[96:97] op_sel_hi:[1,0]
	v_pk_add_f32 v[94:95], v[94:95], v[158:159]
	s_wait_loadcnt 0x2
	v_pk_mul_f32 v[98:99], v[126:127], v[110:111] op_sel:[1,1] op_sel_hi:[0,1]
	s_delay_alu instid0(VALU_DEP_2) | instskip(SKIP_2) | instid1(VALU_DEP_3)
	v_pk_add_f32 v[86:87], v[94:95], v[86:87]
	v_pk_fma_f32 v[94:95], v[122:123], v[106:107], v[92:93] op_sel_hi:[1,0,1]
	v_pk_fma_f32 v[92:93], v[122:123], v[106:107], v[92:93] neg_lo:[0,0,1] neg_hi:[0,0,1]
	v_pk_add_f32 v[86:87], v[86:87], v[88:89]
	s_delay_alu instid0(VALU_DEP_3) | instskip(SKIP_2) | instid1(VALU_DEP_4)
	v_dual_mov_b32 v88, v113 :: v_dual_mov_b32 v93, v95
	v_pk_fma_f32 v[94:95], v[124:125], v[108:109], v[96:97] op_sel_hi:[1,0,1]
	v_pk_fma_f32 v[96:97], v[124:125], v[108:109], v[96:97] neg_lo:[0,0,1] neg_hi:[0,0,1]
	v_pk_add_f32 v[86:87], v[86:87], v[90:91]
	v_pk_fma_f32 v[90:91], v[126:127], v[110:111], v[98:99] op_sel_hi:[1,0,1]
	v_pk_mul_f32 v[88:89], v[154:155], v[88:89] op_sel_hi:[1,0]
	v_mov_b32_e32 v97, v95
	s_wait_loadcnt_dscnt 0x100
	v_pk_mul_f32 v[94:95], v[146:147], v[142:143] op_sel:[1,1] op_sel_hi:[0,1]
	v_pk_add_f32 v[86:87], v[86:87], v[92:93]
	v_pk_fma_f32 v[92:93], v[126:127], v[110:111], v[98:99] neg_lo:[0,0,1] neg_hi:[0,0,1]
	v_mov_b32_e32 v93, v91
	v_pk_fma_f32 v[90:91], v[128:129], v[112:113], v[88:89] op_sel_hi:[1,0,1]
	v_pk_fma_f32 v[88:89], v[128:129], v[112:113], v[88:89] neg_lo:[0,0,1] neg_hi:[0,0,1]
	v_pk_add_f32 v[86:87], v[86:87], v[96:97]
	s_delay_alu instid0(VALU_DEP_3) | instskip(SKIP_1) | instid1(VALU_DEP_3)
	v_mov_b32_e32 v89, v91
	v_pk_fma_f32 v[90:91], v[146:147], v[142:143], v[94:95] op_sel_hi:[1,0,1]
	v_pk_add_f32 v[86:87], v[86:87], v[92:93]
	v_pk_fma_f32 v[92:93], v[146:147], v[142:143], v[94:95] neg_lo:[0,0,1] neg_hi:[0,0,1]
	s_delay_alu instid0(VALU_DEP_3) | instskip(NEXT) | instid1(VALU_DEP_3)
	v_mov_b32_e32 v93, v91
	v_pk_add_f32 v[86:87], v[86:87], v[88:89]
	s_delay_alu instid0(VALU_DEP_1) | instskip(SKIP_1) | instid1(VALU_DEP_1)
	v_pk_add_f32 v[86:87], v[86:87], v[92:93]
	s_wait_loadcnt 0x0
	v_pk_add_f32 v[86:87], v[144:145], v[86:87] neg_lo:[0,1] neg_hi:[0,1]
	scratch_store_b64 off, v[86:87], off offset:208
	s_wait_xcnt 0x0
	v_cmpx_lt_u32_e32 25, v0
	s_cbranch_execz .LBB41_215
; %bb.214:
	scratch_load_b64 v[86:87], off, off offset:200
	v_mov_b64_e32 v[88:89], 0
	scratch_store_b64 off, v[88:89], off offset:200
	s_wait_loadcnt 0x0
	ds_store_b64 v1, v[86:87]
.LBB41_215:
	s_wait_xcnt 0x0
	s_or_b32 exec_lo, exec_lo, s0
	s_wait_storecnt_dscnt 0x0
	s_barrier_signal -1
	s_barrier_wait -1
	s_clause 0x8
	scratch_load_b128 v[86:89], off, off offset:208
	scratch_load_b128 v[90:93], off, off offset:224
	;; [unrolled: 1-line block ×8, first 2 shown]
	scratch_load_b64 v[150:151], off, off offset:200
	ds_load_b128 v[118:121], v5 offset:608
	ds_load_b128 v[122:125], v5 offset:624
	;; [unrolled: 1-line block ×8, first 2 shown]
	s_mov_b32 s0, exec_lo
	s_wait_dscnt 0x7
	v_dual_mov_b32 v152, v121 :: v_dual_mov_b32 v153, v120
	s_wait_dscnt 0x6
	v_dual_mov_b32 v154, v125 :: v_dual_mov_b32 v155, v124
	;; [unrolled: 2-line block ×4, first 2 shown]
	s_wait_loadcnt_dscnt 0x803
	v_dual_mul_f32 v5, v134, v87 :: v_dual_mul_f32 v7, v136, v89
	v_dual_mul_f32 v19, v135, v87 :: v_dual_mul_f32 v21, v137, v89
	s_wait_loadcnt_dscnt 0x702
	v_dual_mul_f32 v11, v138, v91 :: v_dual_mul_f32 v13, v140, v93
	s_delay_alu instid0(VALU_DEP_2) | instskip(SKIP_3) | instid1(VALU_DEP_3)
	v_dual_fmac_f32 v5, v135, v86 :: v_dual_fma_f32 v19, v134, v86, -v19
	v_dual_mul_f32 v23, v139, v91 :: v_dual_mul_f32 v25, v141, v93
	s_wait_loadcnt_dscnt 0x500
	v_dual_mul_f32 v31, v147, v99 :: v_dual_fmac_f32 v7, v137, v88
	v_dual_fma_f32 v21, v136, v88, -v21 :: v_dual_add_f32 v5, 0, v5
	v_dual_add_f32 v19, 0, v19 :: v_dual_mul_f32 v33, v149, v101
	v_fmac_f32_e32 v11, v139, v90
	s_delay_alu instid0(VALU_DEP_3) | instskip(NEXT) | instid1(VALU_DEP_3)
	v_dual_fma_f32 v23, v138, v90, -v23 :: v_dual_add_f32 v5, v5, v7
	v_dual_add_f32 v7, v19, v21 :: v_dual_mul_f32 v15, v142, v95
	v_dual_mul_f32 v17, v144, v97 :: v_dual_mul_f32 v27, v143, v95
	v_mul_f32_e32 v29, v145, v97
	s_delay_alu instid0(VALU_DEP_3) | instskip(SKIP_3) | instid1(VALU_DEP_2)
	v_dual_fmac_f32 v13, v141, v92 :: v_dual_add_f32 v7, v7, v23
	v_dual_fma_f32 v19, v140, v92, -v25 :: v_dual_add_f32 v5, v5, v11
	s_wait_loadcnt 0x4
	v_dual_mov_b32 v88, v105 :: v_dual_fmac_f32 v15, v143, v94
	v_dual_fma_f32 v11, v142, v94, -v27 :: v_dual_add_f32 v7, v7, v19
	v_fmac_f32_e32 v17, v145, v96
	v_dual_add_f32 v5, v5, v13 :: v_dual_mul_f32 v161, v146, v99
	v_mul_f32_e32 v163, v148, v101
	s_delay_alu instid0(VALU_DEP_4)
	v_dual_fma_f32 v13, v144, v96, -v29 :: v_dual_add_f32 v7, v7, v11
	s_wait_loadcnt 0x3
	v_mov_b32_e32 v92, v109
	v_add_f32_e32 v5, v5, v15
	v_pk_mul_f32 v[86:87], v[118:119], v[102:103] op_sel:[1,1] op_sel_hi:[0,1]
	v_dual_fmac_f32 v161, v147, v98 :: v_dual_fma_f32 v160, v146, v98, -v31
	v_dual_add_f32 v94, v7, v13 :: v_dual_fmac_f32 v163, v149, v100
	s_delay_alu instid0(VALU_DEP_4) | instskip(NEXT) | instid1(VALU_DEP_4)
	v_dual_add_f32 v95, v5, v17 :: v_dual_fma_f32 v162, v148, v100, -v33
	v_pk_fma_f32 v[96:97], v[118:119], v[102:103], v[86:87] op_sel_hi:[1,0,1]
	v_pk_mul_f32 v[88:89], v[152:153], v[88:89] op_sel_hi:[1,0]
	v_pk_fma_f32 v[86:87], v[118:119], v[102:103], v[86:87] neg_lo:[0,0,1] neg_hi:[0,0,1]
	s_delay_alu instid0(VALU_DEP_4)
	v_pk_add_f32 v[94:95], v[94:95], v[160:161]
	v_pk_mul_f32 v[90:91], v[122:123], v[106:107] op_sel:[1,1] op_sel_hi:[0,1]
	v_mov_b32_e32 v87, v97
	v_pk_fma_f32 v[96:97], v[120:121], v[104:105], v[88:89] op_sel_hi:[1,0,1]
	v_pk_fma_f32 v[88:89], v[120:121], v[104:105], v[88:89] neg_lo:[0,0,1] neg_hi:[0,0,1]
	v_pk_add_f32 v[94:95], v[94:95], v[162:163]
	v_pk_fma_f32 v[100:101], v[122:123], v[106:107], v[90:91] op_sel_hi:[1,0,1]
	v_pk_mul_f32 v[92:93], v[154:155], v[92:93] op_sel_hi:[1,0]
	v_mov_b32_e32 v89, v97
	s_wait_loadcnt 0x2
	v_pk_mul_f32 v[98:99], v[126:127], v[110:111] op_sel:[1,1] op_sel_hi:[0,1]
	v_pk_add_f32 v[86:87], v[94:95], v[86:87]
	v_mov_b32_e32 v94, v113
	v_pk_fma_f32 v[90:91], v[122:123], v[106:107], v[90:91] neg_lo:[0,0,1] neg_hi:[0,0,1]
	v_mov_b32_e32 v91, v101
	v_pk_fma_f32 v[96:97], v[124:125], v[108:109], v[92:93] op_sel_hi:[1,0,1]
	v_pk_add_f32 v[86:87], v[86:87], v[88:89]
	v_pk_fma_f32 v[88:89], v[126:127], v[110:111], v[98:99] op_sel_hi:[1,0,1]
	v_pk_mul_f32 v[94:95], v[156:157], v[94:95] op_sel_hi:[1,0]
	v_pk_fma_f32 v[92:93], v[124:125], v[108:109], v[92:93] neg_lo:[0,0,1] neg_hi:[0,0,1]
	v_mov_b32_e32 v93, v97
	v_pk_add_f32 v[86:87], v[86:87], v[90:91]
	v_pk_fma_f32 v[96:97], v[126:127], v[110:111], v[98:99] neg_lo:[0,0,1] neg_hi:[0,0,1]
	v_mov_b32_e32 v97, v89
	v_pk_fma_f32 v[88:89], v[128:129], v[112:113], v[94:95] op_sel_hi:[1,0,1]
	s_wait_loadcnt 0x1
	v_pk_mul_f32 v[90:91], v[130:131], v[114:115] op_sel:[1,1] op_sel_hi:[0,1]
	v_pk_add_f32 v[86:87], v[86:87], v[92:93]
	v_mov_b32_e32 v88, v117
	v_pk_fma_f32 v[94:95], v[128:129], v[112:113], v[94:95] neg_lo:[0,0,1] neg_hi:[0,0,1]
	v_mov_b32_e32 v95, v89
	v_pk_fma_f32 v[92:93], v[130:131], v[114:115], v[90:91] op_sel_hi:[1,0,1]
	v_pk_add_f32 v[86:87], v[86:87], v[96:97]
	v_pk_mul_f32 v[88:89], v[158:159], v[88:89] op_sel_hi:[1,0]
	v_pk_fma_f32 v[90:91], v[130:131], v[114:115], v[90:91] neg_lo:[0,0,1] neg_hi:[0,0,1]
	s_delay_alu instid0(VALU_DEP_4) | instskip(NEXT) | instid1(VALU_DEP_4)
	v_mov_b32_e32 v91, v93
	v_pk_add_f32 v[86:87], v[86:87], v[94:95]
	s_delay_alu instid0(VALU_DEP_4) | instskip(SKIP_1) | instid1(VALU_DEP_2)
	v_pk_fma_f32 v[92:93], v[132:133], v[116:117], v[88:89] op_sel_hi:[1,0,1]
	v_pk_fma_f32 v[88:89], v[132:133], v[116:117], v[88:89] neg_lo:[0,0,1] neg_hi:[0,0,1]
	v_mov_b32_e32 v89, v93
	s_delay_alu instid0(VALU_DEP_4) | instskip(NEXT) | instid1(VALU_DEP_1)
	v_pk_add_f32 v[86:87], v[86:87], v[90:91]
	v_pk_add_f32 v[86:87], v[86:87], v[88:89]
	s_wait_loadcnt 0x0
	s_delay_alu instid0(VALU_DEP_1)
	v_pk_add_f32 v[86:87], v[150:151], v[86:87] neg_lo:[0,1] neg_hi:[0,1]
	scratch_store_b64 off, v[86:87], off offset:200
	s_wait_xcnt 0x0
	v_cmpx_lt_u32_e32 24, v0
	s_cbranch_execz .LBB41_217
; %bb.216:
	scratch_load_b64 v[86:87], off, off offset:192
	v_mov_b64_e32 v[88:89], 0
	scratch_store_b64 off, v[88:89], off offset:192
	s_wait_loadcnt 0x0
	ds_store_b64 v1, v[86:87]
.LBB41_217:
	s_wait_xcnt 0x0
	s_or_b32 exec_lo, exec_lo, s0
	s_wait_storecnt_dscnt 0x0
	s_barrier_signal -1
	s_barrier_wait -1
	s_clause 0x9
	scratch_load_b128 v[86:89], off, off offset:200
	scratch_load_b128 v[90:93], off, off offset:216
	;; [unrolled: 1-line block ×8, first 2 shown]
	scratch_load_b64 v[150:151], off, off offset:328
	scratch_load_b64 v[152:153], off, off offset:192
	v_mov_b32_e32 v5, 0
	ds_load_2addr_b64 v[118:121], v5 offset0:75 offset1:76
	ds_load_2addr_b64 v[122:125], v5 offset0:77 offset1:78
	;; [unrolled: 1-line block ×8, first 2 shown]
	ds_load_b64 v[154:155], v5 offset:664
	s_mov_b32 s0, exec_lo
	s_wait_dscnt 0x7
	v_dual_mov_b32 v157, v120 :: v_dual_mov_b32 v158, v125
	s_wait_dscnt 0x6
	v_dual_mov_b32 v159, v124 :: v_dual_mov_b32 v160, v129
	;; [unrolled: 2-line block ×3, first 2 shown]
	v_dual_mov_b32 v161, v128 :: v_dual_mov_b32 v162, v133
	s_wait_loadcnt_dscnt 0x904
	v_dual_mul_f32 v7, v134, v87 :: v_dual_mul_f32 v23, v135, v87
	v_dual_mul_f32 v25, v137, v89 :: v_dual_mul_f32 v11, v136, v89
	s_wait_loadcnt_dscnt 0x803
	v_mul_f32_e32 v13, v138, v91
	s_wait_loadcnt_dscnt 0x601
	v_dual_mul_f32 v35, v147, v99 :: v_dual_fma_f32 v23, v134, v86, -v23
	v_dual_fmac_f32 v7, v135, v86 :: v_dual_mul_f32 v37, v149, v101
	v_dual_mul_f32 v27, v139, v91 :: v_dual_mul_f32 v29, v141, v93
	v_dual_fmac_f32 v11, v137, v88 :: v_dual_fma_f32 v25, v136, v88, -v25
	s_delay_alu instid0(VALU_DEP_3) | instskip(NEXT) | instid1(VALU_DEP_3)
	v_dual_add_f32 v7, 0, v7 :: v_dual_fmac_f32 v13, v139, v90
	v_dual_add_f32 v23, 0, v23 :: v_dual_fma_f32 v27, v138, v90, -v27
	v_dual_mul_f32 v15, v140, v93 :: v_dual_mul_f32 v17, v142, v95
	s_delay_alu instid0(VALU_DEP_3) | instskip(NEXT) | instid1(VALU_DEP_3)
	v_add_f32_e32 v7, v7, v11
	v_dual_add_f32 v11, v23, v25 :: v_dual_fma_f32 v23, v140, v92, -v29
	v_dual_mul_f32 v31, v143, v95 :: v_dual_mul_f32 v33, v145, v97
	s_delay_alu instid0(VALU_DEP_3) | instskip(SKIP_1) | instid1(VALU_DEP_3)
	v_dual_fmac_f32 v15, v141, v92 :: v_dual_add_f32 v7, v7, v13
	s_wait_loadcnt 0x4
	v_dual_add_f32 v11, v11, v27 :: v_dual_mov_b32 v90, v109
	v_dual_mul_f32 v19, v144, v97 :: v_dual_mul_f32 v21, v146, v99
	v_dual_fmac_f32 v17, v143, v94 :: v_dual_fma_f32 v13, v142, v94, -v31
	v_dual_add_f32 v7, v7, v15 :: v_dual_fma_f32 v15, v144, v96, -v33
	s_delay_alu instid0(VALU_DEP_4) | instskip(SKIP_2) | instid1(VALU_DEP_4)
	v_dual_add_f32 v11, v11, v23 :: v_dual_mul_f32 v165, v148, v101
	v_mul_f32_e32 v167, v118, v103
	v_pk_mul_f32 v[88:89], v[122:123], v[106:107] op_sel:[1,1] op_sel_hi:[0,1]
	v_dual_fmac_f32 v19, v145, v96 :: v_dual_add_f32 v7, v7, v17
	s_delay_alu instid0(VALU_DEP_4) | instskip(SKIP_4) | instid1(VALU_DEP_3)
	v_dual_fmac_f32 v165, v149, v100 :: v_dual_add_f32 v11, v11, v13
	v_dual_fma_f32 v164, v148, v100, -v37 :: v_dual_mul_f32 v39, v119, v103
	v_dual_mov_b32 v86, v105 :: v_dual_fmac_f32 v21, v147, v98
	s_wait_loadcnt 0x3
	v_dual_mov_b32 v96, v113 :: v_dual_fma_f32 v13, v146, v98, -v35
	v_dual_add_f32 v7, v7, v19 :: v_dual_fma_f32 v166, v118, v102, -v39
	v_pk_fma_f32 v[100:101], v[122:123], v[106:107], v[88:89] op_sel_hi:[1,0,1]
	v_add_f32_e32 v11, v11, v15
	v_pk_mul_f32 v[90:91], v[158:159], v[90:91] op_sel_hi:[1,0]
	v_pk_fma_f32 v[88:89], v[122:123], v[106:107], v[88:89] neg_lo:[0,0,1] neg_hi:[0,0,1]
	v_pk_mul_f32 v[86:87], v[156:157], v[86:87] op_sel_hi:[1,0]
	s_delay_alu instid0(VALU_DEP_4) | instskip(NEXT) | instid1(VALU_DEP_4)
	v_dual_mov_b32 v89, v101 :: v_dual_add_f32 v94, v11, v13
	v_pk_fma_f32 v[100:101], v[124:125], v[108:109], v[90:91] op_sel_hi:[1,0,1]
	v_add_f32_e32 v95, v7, v21
	v_pk_fma_f32 v[90:91], v[124:125], v[108:109], v[90:91] neg_lo:[0,0,1] neg_hi:[0,0,1]
	v_fmac_f32_e32 v167, v119, v102
	v_pk_fma_f32 v[98:99], v[120:121], v[104:105], v[86:87] op_sel_hi:[1,0,1]
	v_mov_b32_e32 v91, v101
	v_pk_add_f32 v[94:95], v[94:95], v[164:165]
	v_pk_fma_f32 v[86:87], v[120:121], v[104:105], v[86:87] neg_lo:[0,0,1] neg_hi:[0,0,1]
	v_pk_mul_f32 v[92:93], v[126:127], v[110:111] op_sel:[1,1] op_sel_hi:[0,1]
	v_mov_b32_e32 v87, v99
	v_pk_mul_f32 v[96:97], v[160:161], v[96:97] op_sel_hi:[1,0]
	v_pk_add_f32 v[94:95], v[94:95], v[166:167]
	s_wait_loadcnt 0x2
	v_pk_mul_f32 v[98:99], v[130:131], v[114:115] op_sel:[1,1] op_sel_hi:[0,1]
	s_delay_alu instid0(VALU_DEP_2) | instskip(SKIP_2) | instid1(VALU_DEP_3)
	v_pk_add_f32 v[86:87], v[94:95], v[86:87]
	v_pk_fma_f32 v[94:95], v[126:127], v[110:111], v[92:93] op_sel_hi:[1,0,1]
	v_pk_fma_f32 v[92:93], v[126:127], v[110:111], v[92:93] neg_lo:[0,0,1] neg_hi:[0,0,1]
	v_pk_add_f32 v[86:87], v[86:87], v[88:89]
	s_delay_alu instid0(VALU_DEP_3) | instskip(SKIP_2) | instid1(VALU_DEP_4)
	v_dual_mov_b32 v88, v117 :: v_dual_mov_b32 v93, v95
	v_pk_fma_f32 v[94:95], v[128:129], v[112:113], v[96:97] op_sel_hi:[1,0,1]
	v_pk_fma_f32 v[96:97], v[128:129], v[112:113], v[96:97] neg_lo:[0,0,1] neg_hi:[0,0,1]
	v_pk_add_f32 v[86:87], v[86:87], v[90:91]
	v_pk_fma_f32 v[90:91], v[130:131], v[114:115], v[98:99] op_sel_hi:[1,0,1]
	v_pk_mul_f32 v[88:89], v[162:163], v[88:89] op_sel_hi:[1,0]
	v_mov_b32_e32 v97, v95
	s_wait_loadcnt_dscnt 0x100
	v_pk_mul_f32 v[94:95], v[154:155], v[150:151] op_sel:[1,1] op_sel_hi:[0,1]
	v_pk_add_f32 v[86:87], v[86:87], v[92:93]
	v_pk_fma_f32 v[92:93], v[130:131], v[114:115], v[98:99] neg_lo:[0,0,1] neg_hi:[0,0,1]
	v_mov_b32_e32 v93, v91
	v_pk_fma_f32 v[90:91], v[132:133], v[116:117], v[88:89] op_sel_hi:[1,0,1]
	v_pk_fma_f32 v[88:89], v[132:133], v[116:117], v[88:89] neg_lo:[0,0,1] neg_hi:[0,0,1]
	v_pk_add_f32 v[86:87], v[86:87], v[96:97]
	s_delay_alu instid0(VALU_DEP_3) | instskip(SKIP_1) | instid1(VALU_DEP_3)
	v_mov_b32_e32 v89, v91
	v_pk_fma_f32 v[90:91], v[154:155], v[150:151], v[94:95] op_sel_hi:[1,0,1]
	v_pk_add_f32 v[86:87], v[86:87], v[92:93]
	v_pk_fma_f32 v[92:93], v[154:155], v[150:151], v[94:95] neg_lo:[0,0,1] neg_hi:[0,0,1]
	s_delay_alu instid0(VALU_DEP_3) | instskip(NEXT) | instid1(VALU_DEP_3)
	v_mov_b32_e32 v93, v91
	v_pk_add_f32 v[86:87], v[86:87], v[88:89]
	s_delay_alu instid0(VALU_DEP_1) | instskip(SKIP_1) | instid1(VALU_DEP_1)
	v_pk_add_f32 v[86:87], v[86:87], v[92:93]
	s_wait_loadcnt 0x0
	v_pk_add_f32 v[86:87], v[152:153], v[86:87] neg_lo:[0,1] neg_hi:[0,1]
	scratch_store_b64 off, v[86:87], off offset:192
	s_wait_xcnt 0x0
	v_cmpx_lt_u32_e32 23, v0
	s_cbranch_execz .LBB41_219
; %bb.218:
	scratch_load_b64 v[86:87], off, off offset:184
	v_mov_b64_e32 v[88:89], 0
	scratch_store_b64 off, v[88:89], off offset:184
	s_wait_loadcnt 0x0
	ds_store_b64 v1, v[86:87]
.LBB41_219:
	s_wait_xcnt 0x0
	s_or_b32 exec_lo, exec_lo, s0
	s_wait_storecnt_dscnt 0x0
	s_barrier_signal -1
	s_barrier_wait -1
	s_clause 0x9
	scratch_load_b128 v[86:89], off, off offset:192
	scratch_load_b128 v[90:93], off, off offset:208
	;; [unrolled: 1-line block ×9, first 2 shown]
	scratch_load_b64 v[158:159], off, off offset:184
	ds_load_b128 v[122:125], v5 offset:608
	ds_load_b128 v[126:129], v5 offset:624
	;; [unrolled: 1-line block ×9, first 2 shown]
	s_mov_b32 s0, exec_lo
	s_wait_dscnt 0x8
	v_dual_mov_b32 v160, v125 :: v_dual_mov_b32 v161, v124
	s_wait_dscnt 0x7
	v_dual_mov_b32 v162, v129 :: v_dual_mov_b32 v163, v128
	;; [unrolled: 2-line block ×4, first 2 shown]
	s_wait_loadcnt_dscnt 0x904
	v_dual_mul_f32 v5, v138, v87 :: v_dual_mul_f32 v7, v140, v89
	v_dual_mul_f32 v23, v139, v87 :: v_dual_mul_f32 v25, v141, v89
	s_wait_loadcnt_dscnt 0x803
	v_dual_mul_f32 v11, v142, v91 :: v_dual_mul_f32 v13, v144, v93
	s_delay_alu instid0(VALU_DEP_2) | instskip(SKIP_3) | instid1(VALU_DEP_3)
	v_dual_fmac_f32 v5, v139, v86 :: v_dual_fma_f32 v23, v138, v86, -v23
	v_dual_mul_f32 v27, v143, v91 :: v_dual_mul_f32 v29, v145, v93
	s_wait_loadcnt_dscnt 0x601
	v_dual_mul_f32 v35, v151, v99 :: v_dual_fmac_f32 v7, v141, v88
	v_dual_fma_f32 v25, v140, v88, -v25 :: v_dual_add_f32 v5, 0, v5
	v_dual_add_f32 v23, 0, v23 :: v_dual_mul_f32 v37, v153, v101
	v_fmac_f32_e32 v11, v143, v90
	s_delay_alu instid0(VALU_DEP_3) | instskip(NEXT) | instid1(VALU_DEP_3)
	v_dual_fma_f32 v27, v142, v90, -v27 :: v_dual_add_f32 v5, v5, v7
	v_dual_add_f32 v7, v23, v25 :: v_dual_mul_f32 v15, v146, v95
	v_dual_mul_f32 v17, v148, v97 :: v_dual_mul_f32 v31, v147, v95
	s_wait_loadcnt_dscnt 0x500
	v_dual_mul_f32 v33, v149, v97 :: v_dual_mul_f32 v23, v155, v103
	v_fmac_f32_e32 v13, v145, v92
	v_dual_fma_f32 v25, v144, v92, -v29 :: v_dual_add_f32 v5, v5, v11
	v_dual_add_f32 v7, v7, v27 :: v_dual_mul_f32 v11, v157, v105
	v_fmac_f32_e32 v15, v147, v94
	s_delay_alu instid0(VALU_DEP_3) | instskip(NEXT) | instid1(VALU_DEP_3)
	v_dual_fma_f32 v27, v146, v94, -v31 :: v_dual_add_f32 v5, v5, v13
	v_dual_add_f32 v7, v7, v25 :: v_dual_mul_f32 v19, v150, v99
	v_dual_mul_f32 v21, v152, v101 :: v_dual_fmac_f32 v17, v149, v96
	s_delay_alu instid0(VALU_DEP_3) | instskip(SKIP_1) | instid1(VALU_DEP_3)
	v_dual_fma_f32 v13, v148, v96, -v33 :: v_dual_add_f32 v5, v5, v15
	s_wait_loadcnt 0x4
	v_dual_add_f32 v7, v7, v27 :: v_dual_mov_b32 v88, v109
	v_fmac_f32_e32 v19, v151, v98
	s_delay_alu instid0(VALU_DEP_3) | instskip(NEXT) | instid1(VALU_DEP_3)
	v_dual_fma_f32 v15, v150, v98, -v35 :: v_dual_add_f32 v5, v5, v17
	v_dual_add_f32 v7, v7, v13 :: v_dual_fmac_f32 v21, v153, v100
	v_dual_mul_f32 v169, v154, v103 :: v_dual_mul_f32 v171, v156, v105
	s_delay_alu instid0(VALU_DEP_3) | instskip(SKIP_1) | instid1(VALU_DEP_3)
	v_dual_fma_f32 v13, v152, v100, -v37 :: v_dual_add_f32 v5, v5, v19
	s_wait_loadcnt 0x3
	v_dual_add_f32 v7, v7, v15 :: v_dual_mov_b32 v92, v113
	v_pk_mul_f32 v[86:87], v[122:123], v[106:107] op_sel:[1,1] op_sel_hi:[0,1]
	v_dual_fmac_f32 v169, v155, v102 :: v_dual_fma_f32 v168, v154, v102, -v23
	v_dual_add_f32 v95, v5, v21 :: v_dual_fma_f32 v170, v156, v104, -v11
	s_delay_alu instid0(VALU_DEP_4) | instskip(NEXT) | instid1(VALU_DEP_4)
	v_dual_add_f32 v94, v7, v13 :: v_dual_fmac_f32 v171, v157, v104
	v_pk_fma_f32 v[96:97], v[122:123], v[106:107], v[86:87] op_sel_hi:[1,0,1]
	v_pk_mul_f32 v[88:89], v[160:161], v[88:89] op_sel_hi:[1,0]
	v_pk_fma_f32 v[86:87], v[122:123], v[106:107], v[86:87] neg_lo:[0,0,1] neg_hi:[0,0,1]
	s_delay_alu instid0(VALU_DEP_4)
	v_pk_add_f32 v[94:95], v[94:95], v[168:169]
	v_pk_mul_f32 v[90:91], v[126:127], v[110:111] op_sel:[1,1] op_sel_hi:[0,1]
	v_mov_b32_e32 v87, v97
	v_pk_fma_f32 v[96:97], v[124:125], v[108:109], v[88:89] op_sel_hi:[1,0,1]
	v_pk_fma_f32 v[88:89], v[124:125], v[108:109], v[88:89] neg_lo:[0,0,1] neg_hi:[0,0,1]
	v_pk_add_f32 v[94:95], v[94:95], v[170:171]
	v_pk_fma_f32 v[100:101], v[126:127], v[110:111], v[90:91] op_sel_hi:[1,0,1]
	v_pk_mul_f32 v[92:93], v[162:163], v[92:93] op_sel_hi:[1,0]
	v_mov_b32_e32 v89, v97
	s_wait_loadcnt 0x2
	v_pk_mul_f32 v[98:99], v[130:131], v[114:115] op_sel:[1,1] op_sel_hi:[0,1]
	v_pk_add_f32 v[86:87], v[94:95], v[86:87]
	v_mov_b32_e32 v94, v117
	v_pk_fma_f32 v[90:91], v[126:127], v[110:111], v[90:91] neg_lo:[0,0,1] neg_hi:[0,0,1]
	v_mov_b32_e32 v91, v101
	v_pk_fma_f32 v[96:97], v[128:129], v[112:113], v[92:93] op_sel_hi:[1,0,1]
	v_pk_add_f32 v[86:87], v[86:87], v[88:89]
	v_pk_fma_f32 v[88:89], v[130:131], v[114:115], v[98:99] op_sel_hi:[1,0,1]
	v_pk_mul_f32 v[94:95], v[164:165], v[94:95] op_sel_hi:[1,0]
	v_pk_fma_f32 v[92:93], v[128:129], v[112:113], v[92:93] neg_lo:[0,0,1] neg_hi:[0,0,1]
	v_mov_b32_e32 v93, v97
	v_pk_add_f32 v[86:87], v[86:87], v[90:91]
	v_pk_fma_f32 v[96:97], v[130:131], v[114:115], v[98:99] neg_lo:[0,0,1] neg_hi:[0,0,1]
	v_mov_b32_e32 v97, v89
	v_pk_fma_f32 v[88:89], v[132:133], v[116:117], v[94:95] op_sel_hi:[1,0,1]
	s_wait_loadcnt 0x1
	v_pk_mul_f32 v[90:91], v[134:135], v[118:119] op_sel:[1,1] op_sel_hi:[0,1]
	v_pk_add_f32 v[86:87], v[86:87], v[92:93]
	v_mov_b32_e32 v88, v121
	v_pk_fma_f32 v[94:95], v[132:133], v[116:117], v[94:95] neg_lo:[0,0,1] neg_hi:[0,0,1]
	v_mov_b32_e32 v95, v89
	v_pk_fma_f32 v[92:93], v[134:135], v[118:119], v[90:91] op_sel_hi:[1,0,1]
	v_pk_add_f32 v[86:87], v[86:87], v[96:97]
	v_pk_mul_f32 v[88:89], v[166:167], v[88:89] op_sel_hi:[1,0]
	v_pk_fma_f32 v[90:91], v[134:135], v[118:119], v[90:91] neg_lo:[0,0,1] neg_hi:[0,0,1]
	s_delay_alu instid0(VALU_DEP_4) | instskip(NEXT) | instid1(VALU_DEP_4)
	v_mov_b32_e32 v91, v93
	v_pk_add_f32 v[86:87], v[86:87], v[94:95]
	s_delay_alu instid0(VALU_DEP_4) | instskip(SKIP_1) | instid1(VALU_DEP_2)
	v_pk_fma_f32 v[92:93], v[136:137], v[120:121], v[88:89] op_sel_hi:[1,0,1]
	v_pk_fma_f32 v[88:89], v[136:137], v[120:121], v[88:89] neg_lo:[0,0,1] neg_hi:[0,0,1]
	v_mov_b32_e32 v89, v93
	s_delay_alu instid0(VALU_DEP_4) | instskip(NEXT) | instid1(VALU_DEP_1)
	v_pk_add_f32 v[86:87], v[86:87], v[90:91]
	v_pk_add_f32 v[86:87], v[86:87], v[88:89]
	s_wait_loadcnt 0x0
	s_delay_alu instid0(VALU_DEP_1)
	v_pk_add_f32 v[86:87], v[158:159], v[86:87] neg_lo:[0,1] neg_hi:[0,1]
	scratch_store_b64 off, v[86:87], off offset:184
	s_wait_xcnt 0x0
	v_cmpx_lt_u32_e32 22, v0
	s_cbranch_execz .LBB41_221
; %bb.220:
	scratch_load_b64 v[86:87], off, off offset:176
	v_mov_b64_e32 v[88:89], 0
	scratch_store_b64 off, v[88:89], off offset:176
	s_wait_loadcnt 0x0
	ds_store_b64 v1, v[86:87]
.LBB41_221:
	s_wait_xcnt 0x0
	s_or_b32 exec_lo, exec_lo, s0
	s_wait_storecnt_dscnt 0x0
	s_barrier_signal -1
	s_barrier_wait -1
	s_clause 0xa
	scratch_load_b128 v[86:89], off, off offset:184
	scratch_load_b128 v[90:93], off, off offset:200
	;; [unrolled: 1-line block ×9, first 2 shown]
	scratch_load_b64 v[158:159], off, off offset:328
	scratch_load_b64 v[160:161], off, off offset:176
	v_mov_b32_e32 v5, 0
	ds_load_2addr_b64 v[122:125], v5 offset0:75 offset1:76
	ds_load_2addr_b64 v[126:129], v5 offset0:77 offset1:78
	;; [unrolled: 1-line block ×9, first 2 shown]
	ds_load_b64 v[162:163], v5 offset:664
	s_mov_b32 s0, exec_lo
	s_wait_dscnt 0x8
	v_dual_mov_b32 v165, v124 :: v_dual_mov_b32 v166, v129
	s_wait_dscnt 0x7
	v_dual_mov_b32 v167, v128 :: v_dual_mov_b32 v168, v133
	;; [unrolled: 2-line block ×3, first 2 shown]
	v_dual_mov_b32 v169, v132 :: v_dual_mov_b32 v170, v137
	s_wait_loadcnt_dscnt 0xa05
	v_dual_mul_f32 v7, v138, v87 :: v_dual_mul_f32 v27, v139, v87
	v_dual_mul_f32 v29, v141, v89 :: v_dual_mul_f32 v11, v140, v89
	s_wait_loadcnt_dscnt 0x904
	v_mul_f32_e32 v13, v142, v91
	s_wait_loadcnt_dscnt 0x702
	v_dual_mul_f32 v39, v151, v99 :: v_dual_fma_f32 v27, v138, v86, -v27
	v_dual_fmac_f32 v7, v139, v86 :: v_dual_mul_f32 v41, v153, v101
	v_dual_mul_f32 v31, v143, v91 :: v_dual_mul_f32 v33, v145, v93
	v_dual_fmac_f32 v11, v141, v88 :: v_dual_fma_f32 v29, v140, v88, -v29
	s_delay_alu instid0(VALU_DEP_3) | instskip(NEXT) | instid1(VALU_DEP_3)
	v_dual_add_f32 v7, 0, v7 :: v_dual_fmac_f32 v13, v143, v90
	v_dual_add_f32 v27, 0, v27 :: v_dual_fma_f32 v31, v142, v90, -v31
	v_dual_mul_f32 v15, v144, v93 :: v_dual_mul_f32 v17, v146, v95
	s_delay_alu instid0(VALU_DEP_3) | instskip(NEXT) | instid1(VALU_DEP_3)
	v_add_f32_e32 v7, v7, v11
	v_dual_add_f32 v11, v27, v29 :: v_dual_fma_f32 v29, v144, v92, -v33
	v_dual_mul_f32 v35, v147, v95 :: v_dual_mul_f32 v37, v149, v97
	s_delay_alu instid0(VALU_DEP_3) | instskip(SKIP_1) | instid1(VALU_DEP_3)
	v_dual_fmac_f32 v15, v145, v92 :: v_dual_add_f32 v7, v7, v13
	s_wait_loadcnt 0x5
	v_dual_add_f32 v11, v11, v31 :: v_dual_mov_b32 v86, v109
	v_dual_mul_f32 v19, v148, v97 :: v_dual_mul_f32 v21, v150, v99
	s_wait_loadcnt 0x4
	v_dual_fmac_f32 v17, v147, v94 :: v_dual_mov_b32 v90, v113
	v_dual_fma_f32 v31, v146, v94, -v35 :: v_dual_add_f32 v7, v7, v15
	v_dual_fma_f32 v15, v148, v96, -v37 :: v_dual_add_f32 v11, v11, v29
	s_wait_dscnt 0x1
	v_dual_mul_f32 v23, v152, v101 :: v_dual_mul_f32 v25, v154, v103
	v_dual_mul_f32 v13, v123, v107 :: v_dual_fmac_f32 v19, v149, v96
	s_delay_alu instid0(VALU_DEP_2)
	v_dual_add_f32 v7, v7, v17 :: v_dual_fmac_f32 v23, v153, v100
	v_dual_fma_f32 v17, v150, v98, -v39 :: v_dual_add_f32 v11, v11, v31
	v_dual_mul_f32 v173, v156, v105 :: v_dual_mul_f32 v175, v122, v107
	v_dual_mul_f32 v43, v155, v103 :: v_dual_mul_f32 v27, v157, v105
	v_pk_mul_f32 v[88:89], v[126:127], v[110:111] op_sel:[1,1] op_sel_hi:[0,1]
	v_fmac_f32_e32 v21, v151, v98
	v_add_f32_e32 v7, v7, v19
	v_dual_add_f32 v11, v11, v15 :: v_dual_fmac_f32 v173, v157, v104
	v_fma_f32 v15, v152, v100, -v41
	v_fma_f32 v172, v156, v104, -v27
	v_pk_fma_f32 v[100:101], v[126:127], v[110:111], v[88:89] op_sel_hi:[1,0,1]
	s_delay_alu instid0(VALU_DEP_4)
	v_dual_add_f32 v11, v11, v17 :: v_dual_fma_f32 v174, v122, v106, -v13
	v_dual_fma_f32 v17, v154, v102, -v43 :: v_dual_add_f32 v7, v7, v21
	s_wait_loadcnt 0x3
	v_mov_b32_e32 v96, v117
	v_pk_mul_f32 v[90:91], v[166:167], v[90:91] op_sel_hi:[1,0]
	v_pk_fma_f32 v[88:89], v[126:127], v[110:111], v[88:89] neg_lo:[0,0,1] neg_hi:[0,0,1]
	v_dual_fmac_f32 v25, v155, v102 :: v_dual_mov_b32 v89, v101
	v_add_f32_e32 v11, v11, v15
	s_delay_alu instid0(VALU_DEP_4) | instskip(SKIP_3) | instid1(VALU_DEP_4)
	v_pk_fma_f32 v[100:101], v[128:129], v[112:113], v[90:91] op_sel_hi:[1,0,1]
	v_add_f32_e32 v7, v7, v23
	v_pk_fma_f32 v[90:91], v[128:129], v[112:113], v[90:91] neg_lo:[0,0,1] neg_hi:[0,0,1]
	v_pk_mul_f32 v[86:87], v[164:165], v[86:87] op_sel_hi:[1,0]
	v_dual_add_f32 v94, v11, v17 :: v_dual_mov_b32 v91, v101
	s_delay_alu instid0(VALU_DEP_4) | instskip(SKIP_1) | instid1(VALU_DEP_4)
	v_add_f32_e32 v95, v7, v25
	v_fmac_f32_e32 v175, v123, v106
	v_pk_fma_f32 v[98:99], v[124:125], v[108:109], v[86:87] op_sel_hi:[1,0,1]
	v_pk_fma_f32 v[86:87], v[124:125], v[108:109], v[86:87] neg_lo:[0,0,1] neg_hi:[0,0,1]
	v_pk_mul_f32 v[92:93], v[130:131], v[114:115] op_sel:[1,1] op_sel_hi:[0,1]
	v_pk_add_f32 v[94:95], v[94:95], v[172:173]
	v_pk_mul_f32 v[96:97], v[168:169], v[96:97] op_sel_hi:[1,0]
	v_mov_b32_e32 v87, v99
	s_wait_loadcnt 0x2
	v_pk_mul_f32 v[98:99], v[134:135], v[118:119] op_sel:[1,1] op_sel_hi:[0,1]
	v_pk_add_f32 v[94:95], v[94:95], v[174:175]
	s_delay_alu instid0(VALU_DEP_1) | instskip(SKIP_2) | instid1(VALU_DEP_3)
	v_pk_add_f32 v[86:87], v[94:95], v[86:87]
	v_pk_fma_f32 v[94:95], v[130:131], v[114:115], v[92:93] op_sel_hi:[1,0,1]
	v_pk_fma_f32 v[92:93], v[130:131], v[114:115], v[92:93] neg_lo:[0,0,1] neg_hi:[0,0,1]
	v_pk_add_f32 v[86:87], v[86:87], v[88:89]
	s_delay_alu instid0(VALU_DEP_3) | instskip(SKIP_2) | instid1(VALU_DEP_4)
	v_dual_mov_b32 v88, v121 :: v_dual_mov_b32 v93, v95
	v_pk_fma_f32 v[94:95], v[132:133], v[116:117], v[96:97] op_sel_hi:[1,0,1]
	v_pk_fma_f32 v[96:97], v[132:133], v[116:117], v[96:97] neg_lo:[0,0,1] neg_hi:[0,0,1]
	v_pk_add_f32 v[86:87], v[86:87], v[90:91]
	v_pk_fma_f32 v[90:91], v[134:135], v[118:119], v[98:99] op_sel_hi:[1,0,1]
	v_pk_mul_f32 v[88:89], v[170:171], v[88:89] op_sel_hi:[1,0]
	v_mov_b32_e32 v97, v95
	s_wait_loadcnt_dscnt 0x100
	v_pk_mul_f32 v[94:95], v[162:163], v[158:159] op_sel:[1,1] op_sel_hi:[0,1]
	v_pk_add_f32 v[86:87], v[86:87], v[92:93]
	v_pk_fma_f32 v[92:93], v[134:135], v[118:119], v[98:99] neg_lo:[0,0,1] neg_hi:[0,0,1]
	v_mov_b32_e32 v93, v91
	v_pk_fma_f32 v[90:91], v[136:137], v[120:121], v[88:89] op_sel_hi:[1,0,1]
	v_pk_fma_f32 v[88:89], v[136:137], v[120:121], v[88:89] neg_lo:[0,0,1] neg_hi:[0,0,1]
	v_pk_add_f32 v[86:87], v[86:87], v[96:97]
	s_delay_alu instid0(VALU_DEP_3) | instskip(SKIP_1) | instid1(VALU_DEP_3)
	v_mov_b32_e32 v89, v91
	v_pk_fma_f32 v[90:91], v[162:163], v[158:159], v[94:95] op_sel_hi:[1,0,1]
	v_pk_add_f32 v[86:87], v[86:87], v[92:93]
	v_pk_fma_f32 v[92:93], v[162:163], v[158:159], v[94:95] neg_lo:[0,0,1] neg_hi:[0,0,1]
	s_delay_alu instid0(VALU_DEP_3) | instskip(NEXT) | instid1(VALU_DEP_3)
	v_mov_b32_e32 v93, v91
	v_pk_add_f32 v[86:87], v[86:87], v[88:89]
	s_delay_alu instid0(VALU_DEP_1) | instskip(SKIP_1) | instid1(VALU_DEP_1)
	v_pk_add_f32 v[86:87], v[86:87], v[92:93]
	s_wait_loadcnt 0x0
	v_pk_add_f32 v[86:87], v[160:161], v[86:87] neg_lo:[0,1] neg_hi:[0,1]
	scratch_store_b64 off, v[86:87], off offset:176
	s_wait_xcnt 0x0
	v_cmpx_lt_u32_e32 21, v0
	s_cbranch_execz .LBB41_223
; %bb.222:
	scratch_load_b64 v[86:87], off, off offset:168
	v_mov_b64_e32 v[88:89], 0
	scratch_store_b64 off, v[88:89], off offset:168
	s_wait_loadcnt 0x0
	ds_store_b64 v1, v[86:87]
.LBB41_223:
	s_wait_xcnt 0x0
	s_or_b32 exec_lo, exec_lo, s0
	s_wait_storecnt_dscnt 0x0
	s_barrier_signal -1
	s_barrier_wait -1
	s_clause 0xa
	scratch_load_b128 v[86:89], off, off offset:176
	scratch_load_b128 v[90:93], off, off offset:192
	;; [unrolled: 1-line block ×10, first 2 shown]
	scratch_load_b64 v[166:167], off, off offset:168
	ds_load_b128 v[126:129], v5 offset:608
	ds_load_b128 v[130:133], v5 offset:624
	;; [unrolled: 1-line block ×10, first 2 shown]
	s_mov_b32 s0, exec_lo
	s_wait_dscnt 0x9
	v_dual_mov_b32 v168, v129 :: v_dual_mov_b32 v169, v128
	s_wait_dscnt 0x8
	v_dual_mov_b32 v170, v133 :: v_dual_mov_b32 v171, v132
	;; [unrolled: 2-line block ×4, first 2 shown]
	s_wait_loadcnt_dscnt 0xa05
	v_dual_mul_f32 v5, v142, v87 :: v_dual_mul_f32 v7, v144, v89
	v_dual_mul_f32 v27, v143, v87 :: v_dual_mul_f32 v29, v145, v89
	s_wait_loadcnt_dscnt 0x904
	v_dual_mul_f32 v11, v146, v91 :: v_dual_mul_f32 v13, v148, v93
	s_delay_alu instid0(VALU_DEP_2) | instskip(SKIP_3) | instid1(VALU_DEP_3)
	v_dual_fmac_f32 v5, v143, v86 :: v_dual_fma_f32 v27, v142, v86, -v27
	v_dual_mul_f32 v31, v147, v91 :: v_dual_mul_f32 v33, v149, v93
	s_wait_loadcnt_dscnt 0x702
	v_dual_mul_f32 v39, v155, v99 :: v_dual_fmac_f32 v7, v145, v88
	v_dual_fma_f32 v29, v144, v88, -v29 :: v_dual_add_f32 v5, 0, v5
	v_dual_add_f32 v27, 0, v27 :: v_dual_mul_f32 v41, v157, v101
	v_fmac_f32_e32 v11, v147, v90
	s_delay_alu instid0(VALU_DEP_3) | instskip(NEXT) | instid1(VALU_DEP_3)
	v_dual_fma_f32 v31, v146, v90, -v31 :: v_dual_add_f32 v5, v5, v7
	v_dual_add_f32 v7, v27, v29 :: v_dual_mul_f32 v15, v150, v95
	v_dual_mul_f32 v17, v152, v97 :: v_dual_mul_f32 v35, v151, v95
	s_wait_loadcnt_dscnt 0x601
	v_dual_mul_f32 v37, v153, v97 :: v_dual_mul_f32 v27, v159, v103
	v_fmac_f32_e32 v13, v149, v92
	v_dual_fma_f32 v29, v148, v92, -v33 :: v_dual_add_f32 v5, v5, v11
	v_dual_add_f32 v7, v7, v31 :: v_dual_mul_f32 v11, v161, v105
	v_fmac_f32_e32 v15, v151, v94
	s_delay_alu instid0(VALU_DEP_3) | instskip(NEXT) | instid1(VALU_DEP_3)
	v_dual_fma_f32 v31, v150, v94, -v35 :: v_dual_add_f32 v5, v5, v13
	v_dual_add_f32 v7, v7, v29 :: v_dual_mul_f32 v19, v154, v99
	s_wait_loadcnt_dscnt 0x500
	v_dual_mul_f32 v21, v156, v101 :: v_dual_mul_f32 v13, v163, v107
	v_fmac_f32_e32 v17, v153, v96
	v_dual_fma_f32 v29, v152, v96, -v37 :: v_dual_add_f32 v5, v5, v15
	v_dual_add_f32 v7, v7, v31 :: v_dual_mul_f32 v15, v165, v109
	v_fmac_f32_e32 v19, v155, v98
	s_delay_alu instid0(VALU_DEP_3) | instskip(NEXT) | instid1(VALU_DEP_3)
	v_dual_fma_f32 v31, v154, v98, -v39 :: v_dual_add_f32 v5, v5, v17
	v_dual_add_f32 v7, v7, v29 :: v_dual_mul_f32 v23, v158, v103
	v_dual_mul_f32 v25, v160, v105 :: v_dual_fmac_f32 v21, v157, v100
	s_delay_alu instid0(VALU_DEP_3) | instskip(SKIP_1) | instid1(VALU_DEP_3)
	v_dual_fma_f32 v17, v156, v100, -v41 :: v_dual_add_f32 v5, v5, v19
	s_wait_loadcnt 0x4
	v_dual_add_f32 v7, v7, v31 :: v_dual_mov_b32 v88, v113
	v_fmac_f32_e32 v23, v159, v102
	s_delay_alu instid0(VALU_DEP_3) | instskip(NEXT) | instid1(VALU_DEP_3)
	v_dual_fma_f32 v19, v158, v102, -v27 :: v_dual_add_f32 v5, v5, v21
	v_dual_add_f32 v7, v7, v17 :: v_dual_fmac_f32 v25, v161, v104
	v_dual_mul_f32 v177, v162, v107 :: v_dual_mul_f32 v179, v164, v109
	s_delay_alu instid0(VALU_DEP_3) | instskip(SKIP_1) | instid1(VALU_DEP_3)
	v_dual_fma_f32 v11, v160, v104, -v11 :: v_dual_add_f32 v5, v5, v23
	s_wait_loadcnt 0x3
	v_dual_add_f32 v7, v7, v19 :: v_dual_mov_b32 v92, v117
	v_pk_mul_f32 v[86:87], v[126:127], v[110:111] op_sel:[1,1] op_sel_hi:[0,1]
	s_delay_alu instid0(VALU_DEP_3) | instskip(NEXT) | instid1(VALU_DEP_3)
	v_dual_fmac_f32 v177, v163, v106 :: v_dual_add_f32 v95, v5, v25
	v_dual_fma_f32 v176, v162, v106, -v13 :: v_dual_add_f32 v94, v7, v11
	v_fmac_f32_e32 v179, v165, v108
	s_delay_alu instid0(VALU_DEP_4)
	v_pk_fma_f32 v[96:97], v[126:127], v[110:111], v[86:87] op_sel_hi:[1,0,1]
	v_fma_f32 v178, v164, v108, -v15
	v_pk_mul_f32 v[88:89], v[168:169], v[88:89] op_sel_hi:[1,0]
	v_pk_add_f32 v[94:95], v[94:95], v[176:177]
	v_pk_fma_f32 v[86:87], v[126:127], v[110:111], v[86:87] neg_lo:[0,0,1] neg_hi:[0,0,1]
	v_pk_mul_f32 v[90:91], v[130:131], v[114:115] op_sel:[1,1] op_sel_hi:[0,1]
	v_mov_b32_e32 v87, v97
	v_pk_fma_f32 v[96:97], v[128:129], v[112:113], v[88:89] op_sel_hi:[1,0,1]
	v_pk_add_f32 v[94:95], v[94:95], v[178:179]
	v_pk_fma_f32 v[88:89], v[128:129], v[112:113], v[88:89] neg_lo:[0,0,1] neg_hi:[0,0,1]
	v_pk_fma_f32 v[100:101], v[130:131], v[114:115], v[90:91] op_sel_hi:[1,0,1]
	v_pk_mul_f32 v[92:93], v[170:171], v[92:93] op_sel_hi:[1,0]
	v_mov_b32_e32 v89, v97
	v_pk_add_f32 v[86:87], v[94:95], v[86:87]
	s_wait_loadcnt 0x2
	v_pk_mul_f32 v[98:99], v[134:135], v[118:119] op_sel:[1,1] op_sel_hi:[0,1]
	v_mov_b32_e32 v94, v121
	v_pk_fma_f32 v[90:91], v[130:131], v[114:115], v[90:91] neg_lo:[0,0,1] neg_hi:[0,0,1]
	v_pk_fma_f32 v[96:97], v[132:133], v[116:117], v[92:93] op_sel_hi:[1,0,1]
	v_mov_b32_e32 v91, v101
	v_pk_add_f32 v[86:87], v[86:87], v[88:89]
	v_pk_fma_f32 v[88:89], v[134:135], v[118:119], v[98:99] op_sel_hi:[1,0,1]
	v_pk_mul_f32 v[94:95], v[172:173], v[94:95] op_sel_hi:[1,0]
	v_pk_fma_f32 v[92:93], v[132:133], v[116:117], v[92:93] neg_lo:[0,0,1] neg_hi:[0,0,1]
	v_mov_b32_e32 v93, v97
	v_pk_add_f32 v[86:87], v[86:87], v[90:91]
	v_pk_fma_f32 v[96:97], v[134:135], v[118:119], v[98:99] neg_lo:[0,0,1] neg_hi:[0,0,1]
	v_mov_b32_e32 v97, v89
	v_pk_fma_f32 v[88:89], v[136:137], v[120:121], v[94:95] op_sel_hi:[1,0,1]
	s_wait_loadcnt 0x1
	v_pk_mul_f32 v[90:91], v[138:139], v[122:123] op_sel:[1,1] op_sel_hi:[0,1]
	v_pk_add_f32 v[86:87], v[86:87], v[92:93]
	v_mov_b32_e32 v88, v125
	v_pk_fma_f32 v[94:95], v[136:137], v[120:121], v[94:95] neg_lo:[0,0,1] neg_hi:[0,0,1]
	s_delay_alu instid0(VALU_DEP_4)
	v_pk_fma_f32 v[92:93], v[138:139], v[122:123], v[90:91] op_sel_hi:[1,0,1]
	v_mov_b32_e32 v95, v89
	v_pk_add_f32 v[86:87], v[86:87], v[96:97]
	v_pk_mul_f32 v[88:89], v[174:175], v[88:89] op_sel_hi:[1,0]
	v_pk_fma_f32 v[90:91], v[138:139], v[122:123], v[90:91] neg_lo:[0,0,1] neg_hi:[0,0,1]
	v_mov_b32_e32 v91, v93
	s_delay_alu instid0(VALU_DEP_4) | instskip(NEXT) | instid1(VALU_DEP_4)
	v_pk_add_f32 v[86:87], v[86:87], v[94:95]
	v_pk_fma_f32 v[92:93], v[140:141], v[124:125], v[88:89] op_sel_hi:[1,0,1]
	v_pk_fma_f32 v[88:89], v[140:141], v[124:125], v[88:89] neg_lo:[0,0,1] neg_hi:[0,0,1]
	s_delay_alu instid0(VALU_DEP_3) | instskip(NEXT) | instid1(VALU_DEP_3)
	v_pk_add_f32 v[86:87], v[86:87], v[90:91]
	v_mov_b32_e32 v89, v93
	s_delay_alu instid0(VALU_DEP_1) | instskip(SKIP_1) | instid1(VALU_DEP_1)
	v_pk_add_f32 v[86:87], v[86:87], v[88:89]
	s_wait_loadcnt 0x0
	v_pk_add_f32 v[86:87], v[166:167], v[86:87] neg_lo:[0,1] neg_hi:[0,1]
	scratch_store_b64 off, v[86:87], off offset:168
	s_wait_xcnt 0x0
	v_cmpx_lt_u32_e32 20, v0
	s_cbranch_execz .LBB41_225
; %bb.224:
	scratch_load_b64 v[86:87], off, off offset:160
	v_mov_b64_e32 v[88:89], 0
	scratch_store_b64 off, v[88:89], off offset:160
	s_wait_loadcnt 0x0
	ds_store_b64 v1, v[86:87]
.LBB41_225:
	s_wait_xcnt 0x0
	s_or_b32 exec_lo, exec_lo, s0
	s_wait_storecnt_dscnt 0x0
	s_barrier_signal -1
	s_barrier_wait -1
	s_clause 0xb
	scratch_load_b128 v[86:89], off, off offset:168
	scratch_load_b128 v[90:93], off, off offset:184
	;; [unrolled: 1-line block ×10, first 2 shown]
	scratch_load_b64 v[166:167], off, off offset:328
	scratch_load_b64 v[168:169], off, off offset:160
	v_mov_b32_e32 v5, 0
	ds_load_2addr_b64 v[126:129], v5 offset0:75 offset1:76
	ds_load_2addr_b64 v[130:133], v5 offset0:77 offset1:78
	;; [unrolled: 1-line block ×10, first 2 shown]
	ds_load_b64 v[170:171], v5 offset:664
	s_mov_b32 s0, exec_lo
	s_wait_dscnt 0x9
	v_dual_mov_b32 v173, v128 :: v_dual_mov_b32 v174, v133
	s_wait_dscnt 0x8
	v_dual_mov_b32 v175, v132 :: v_dual_mov_b32 v176, v137
	;; [unrolled: 2-line block ×3, first 2 shown]
	v_dual_mov_b32 v177, v136 :: v_dual_mov_b32 v178, v141
	s_wait_loadcnt_dscnt 0xb06
	v_dual_mul_f32 v7, v142, v87 :: v_dual_mul_f32 v31, v143, v87
	v_dual_mul_f32 v33, v145, v89 :: v_dual_mul_f32 v11, v144, v89
	s_wait_loadcnt_dscnt 0xa05
	v_mul_f32_e32 v13, v146, v91
	s_wait_loadcnt_dscnt 0x803
	v_dual_mul_f32 v43, v155, v99 :: v_dual_fma_f32 v31, v142, v86, -v31
	v_dual_fmac_f32 v7, v143, v86 :: v_dual_mul_f32 v45, v157, v101
	v_dual_mul_f32 v35, v147, v91 :: v_dual_mul_f32 v37, v149, v93
	v_dual_fmac_f32 v11, v145, v88 :: v_dual_fma_f32 v33, v144, v88, -v33
	s_delay_alu instid0(VALU_DEP_3) | instskip(NEXT) | instid1(VALU_DEP_3)
	v_dual_add_f32 v7, 0, v7 :: v_dual_fmac_f32 v13, v147, v90
	v_dual_add_f32 v31, 0, v31 :: v_dual_fma_f32 v35, v146, v90, -v35
	v_dual_mul_f32 v15, v148, v93 :: v_dual_mul_f32 v17, v150, v95
	s_delay_alu instid0(VALU_DEP_3) | instskip(NEXT) | instid1(VALU_DEP_3)
	v_add_f32_e32 v7, v7, v11
	v_dual_add_f32 v11, v31, v33 :: v_dual_fma_f32 v33, v148, v92, -v37
	v_dual_mul_f32 v39, v151, v95 :: v_dual_mul_f32 v41, v153, v97
	s_delay_alu instid0(VALU_DEP_3) | instskip(NEXT) | instid1(VALU_DEP_3)
	v_dual_fmac_f32 v15, v149, v92 :: v_dual_add_f32 v7, v7, v13
	v_dual_add_f32 v11, v11, v35 :: v_dual_mul_f32 v19, v152, v97
	v_dual_mul_f32 v21, v154, v99 :: v_dual_fmac_f32 v17, v151, v94
	s_wait_loadcnt 0x5
	v_dual_mov_b32 v86, v113 :: v_dual_fma_f32 v35, v150, v94, -v39
	s_wait_dscnt 0x1
	v_dual_add_f32 v7, v7, v15 :: v_dual_mul_f32 v15, v165, v109
	v_add_f32_e32 v11, v11, v33
	v_dual_mul_f32 v23, v156, v101 :: v_dual_mul_f32 v25, v158, v103
	v_dual_mul_f32 v13, v163, v107 :: v_dual_fmac_f32 v19, v153, v96
	s_delay_alu instid0(VALU_DEP_4) | instskip(NEXT) | instid1(VALU_DEP_3)
	v_dual_fma_f32 v33, v152, v96, -v41 :: v_dual_add_f32 v7, v7, v17
	v_dual_fmac_f32 v23, v157, v100 :: v_dual_add_f32 v11, v11, v35
	v_dual_mul_f32 v27, v160, v105 :: v_dual_mul_f32 v29, v162, v107
	v_dual_mul_f32 v47, v159, v103 :: v_dual_mul_f32 v31, v161, v105
	s_wait_loadcnt 0x4
	v_dual_fmac_f32 v21, v155, v98 :: v_dual_mov_b32 v90, v117
	v_dual_fma_f32 v35, v154, v98, -v43 :: v_dual_add_f32 v7, v7, v19
	v_fmac_f32_e32 v27, v161, v104
	v_dual_fma_f32 v19, v156, v100, -v45 :: v_dual_add_f32 v11, v11, v33
	v_dual_mul_f32 v181, v164, v109 :: v_dual_mul_f32 v183, v126, v111
	s_delay_alu instid0(VALU_DEP_4) | instskip(NEXT) | instid1(VALU_DEP_2)
	v_dual_add_f32 v7, v7, v21 :: v_dual_fma_f32 v13, v162, v106, -v13
	v_dual_add_f32 v11, v11, v35 :: v_dual_fmac_f32 v181, v165, v108
	v_pk_mul_f32 v[88:89], v[130:131], v[114:115] op_sel:[1,1] op_sel_hi:[0,1]
	v_dual_mul_f32 v17, v127, v111 :: v_dual_fma_f32 v21, v158, v102, -v47
	v_dual_fmac_f32 v25, v159, v102 :: v_dual_fma_f32 v180, v164, v108, -v15
	s_wait_loadcnt 0x3
	v_dual_add_f32 v7, v7, v23 :: v_dual_mov_b32 v96, v121
	s_delay_alu instid0(VALU_DEP_3) | instskip(SKIP_4) | instid1(VALU_DEP_4)
	v_dual_add_f32 v11, v11, v19 :: v_dual_fma_f32 v182, v126, v110, -v17
	v_pk_fma_f32 v[100:101], v[130:131], v[114:115], v[88:89] op_sel_hi:[1,0,1]
	v_pk_mul_f32 v[90:91], v[174:175], v[90:91] op_sel_hi:[1,0]
	v_pk_fma_f32 v[88:89], v[130:131], v[114:115], v[88:89] neg_lo:[0,0,1] neg_hi:[0,0,1]
	v_dual_fma_f32 v19, v160, v104, -v31 :: v_dual_add_f32 v7, v7, v25
	v_mov_b32_e32 v89, v101
	s_delay_alu instid0(VALU_DEP_4) | instskip(SKIP_3) | instid1(VALU_DEP_4)
	v_pk_fma_f32 v[100:101], v[132:133], v[116:117], v[90:91] op_sel_hi:[1,0,1]
	v_add_f32_e32 v11, v11, v21
	v_pk_fma_f32 v[90:91], v[132:133], v[116:117], v[90:91] neg_lo:[0,0,1] neg_hi:[0,0,1]
	v_fmac_f32_e32 v29, v163, v106
	v_dual_add_f32 v7, v7, v27 :: v_dual_mov_b32 v91, v101
	s_delay_alu instid0(VALU_DEP_4) | instskip(SKIP_2) | instid1(VALU_DEP_4)
	v_add_f32_e32 v11, v11, v19
	v_pk_mul_f32 v[86:87], v[172:173], v[86:87] op_sel_hi:[1,0]
	v_fmac_f32_e32 v183, v127, v110
	v_add_f32_e32 v95, v7, v29
	v_pk_mul_f32 v[92:93], v[134:135], v[118:119] op_sel:[1,1] op_sel_hi:[0,1]
	v_add_f32_e32 v94, v11, v13
	v_pk_fma_f32 v[98:99], v[128:129], v[112:113], v[86:87] op_sel_hi:[1,0,1]
	v_pk_fma_f32 v[86:87], v[128:129], v[112:113], v[86:87] neg_lo:[0,0,1] neg_hi:[0,0,1]
	v_pk_mul_f32 v[96:97], v[176:177], v[96:97] op_sel_hi:[1,0]
	s_delay_alu instid0(VALU_DEP_4) | instskip(NEXT) | instid1(VALU_DEP_4)
	v_pk_add_f32 v[94:95], v[94:95], v[180:181]
	v_mov_b32_e32 v87, v99
	s_wait_loadcnt 0x2
	v_pk_mul_f32 v[98:99], v[138:139], v[122:123] op_sel:[1,1] op_sel_hi:[0,1]
	s_delay_alu instid0(VALU_DEP_3) | instskip(NEXT) | instid1(VALU_DEP_1)
	v_pk_add_f32 v[94:95], v[94:95], v[182:183]
	v_pk_add_f32 v[86:87], v[94:95], v[86:87]
	v_pk_fma_f32 v[94:95], v[134:135], v[118:119], v[92:93] op_sel_hi:[1,0,1]
	v_pk_fma_f32 v[92:93], v[134:135], v[118:119], v[92:93] neg_lo:[0,0,1] neg_hi:[0,0,1]
	s_delay_alu instid0(VALU_DEP_3) | instskip(NEXT) | instid1(VALU_DEP_3)
	v_pk_add_f32 v[86:87], v[86:87], v[88:89]
	v_dual_mov_b32 v88, v125 :: v_dual_mov_b32 v93, v95
	v_pk_fma_f32 v[94:95], v[136:137], v[120:121], v[96:97] op_sel_hi:[1,0,1]
	v_pk_fma_f32 v[96:97], v[136:137], v[120:121], v[96:97] neg_lo:[0,0,1] neg_hi:[0,0,1]
	s_delay_alu instid0(VALU_DEP_4)
	v_pk_add_f32 v[86:87], v[86:87], v[90:91]
	v_pk_fma_f32 v[90:91], v[138:139], v[122:123], v[98:99] op_sel_hi:[1,0,1]
	v_pk_mul_f32 v[88:89], v[178:179], v[88:89] op_sel_hi:[1,0]
	v_mov_b32_e32 v97, v95
	s_wait_loadcnt_dscnt 0x100
	v_pk_mul_f32 v[94:95], v[170:171], v[166:167] op_sel:[1,1] op_sel_hi:[0,1]
	v_pk_add_f32 v[86:87], v[86:87], v[92:93]
	v_pk_fma_f32 v[92:93], v[138:139], v[122:123], v[98:99] neg_lo:[0,0,1] neg_hi:[0,0,1]
	v_mov_b32_e32 v93, v91
	v_pk_fma_f32 v[90:91], v[140:141], v[124:125], v[88:89] op_sel_hi:[1,0,1]
	v_pk_fma_f32 v[88:89], v[140:141], v[124:125], v[88:89] neg_lo:[0,0,1] neg_hi:[0,0,1]
	v_pk_add_f32 v[86:87], v[86:87], v[96:97]
	s_delay_alu instid0(VALU_DEP_3) | instskip(SKIP_1) | instid1(VALU_DEP_3)
	v_mov_b32_e32 v89, v91
	v_pk_fma_f32 v[90:91], v[170:171], v[166:167], v[94:95] op_sel_hi:[1,0,1]
	v_pk_add_f32 v[86:87], v[86:87], v[92:93]
	v_pk_fma_f32 v[92:93], v[170:171], v[166:167], v[94:95] neg_lo:[0,0,1] neg_hi:[0,0,1]
	s_delay_alu instid0(VALU_DEP_3) | instskip(NEXT) | instid1(VALU_DEP_3)
	v_mov_b32_e32 v93, v91
	v_pk_add_f32 v[86:87], v[86:87], v[88:89]
	s_delay_alu instid0(VALU_DEP_1) | instskip(SKIP_1) | instid1(VALU_DEP_1)
	v_pk_add_f32 v[86:87], v[86:87], v[92:93]
	s_wait_loadcnt 0x0
	v_pk_add_f32 v[86:87], v[168:169], v[86:87] neg_lo:[0,1] neg_hi:[0,1]
	scratch_store_b64 off, v[86:87], off offset:160
	s_wait_xcnt 0x0
	v_cmpx_lt_u32_e32 19, v0
	s_cbranch_execz .LBB41_227
; %bb.226:
	scratch_load_b64 v[86:87], off, off offset:152
	v_mov_b64_e32 v[88:89], 0
	scratch_store_b64 off, v[88:89], off offset:152
	s_wait_loadcnt 0x0
	ds_store_b64 v1, v[86:87]
.LBB41_227:
	s_wait_xcnt 0x0
	s_or_b32 exec_lo, exec_lo, s0
	s_wait_storecnt_dscnt 0x0
	s_barrier_signal -1
	s_barrier_wait -1
	s_clause 0xb
	scratch_load_b128 v[86:89], off, off offset:160
	scratch_load_b128 v[90:93], off, off offset:176
	;; [unrolled: 1-line block ×11, first 2 shown]
	scratch_load_b64 v[174:175], off, off offset:152
	ds_load_b128 v[130:133], v5 offset:608
	ds_load_b128 v[134:137], v5 offset:624
	;; [unrolled: 1-line block ×11, first 2 shown]
	s_mov_b32 s0, exec_lo
	s_wait_dscnt 0xa
	v_dual_mov_b32 v176, v133 :: v_dual_mov_b32 v177, v132
	s_wait_dscnt 0x9
	v_dual_mov_b32 v178, v137 :: v_dual_mov_b32 v179, v136
	;; [unrolled: 2-line block ×4, first 2 shown]
	s_wait_loadcnt_dscnt 0xb06
	v_dual_mul_f32 v5, v146, v87 :: v_dual_mul_f32 v7, v148, v89
	v_dual_mul_f32 v31, v147, v87 :: v_dual_mul_f32 v33, v149, v89
	s_wait_loadcnt_dscnt 0xa05
	v_dual_mul_f32 v11, v150, v91 :: v_dual_mul_f32 v13, v152, v93
	s_delay_alu instid0(VALU_DEP_2) | instskip(SKIP_3) | instid1(VALU_DEP_3)
	v_dual_fmac_f32 v5, v147, v86 :: v_dual_fma_f32 v31, v146, v86, -v31
	v_dual_mul_f32 v35, v151, v91 :: v_dual_mul_f32 v37, v153, v93
	s_wait_loadcnt_dscnt 0x803
	v_dual_mul_f32 v43, v159, v99 :: v_dual_fmac_f32 v7, v149, v88
	v_dual_fma_f32 v33, v148, v88, -v33 :: v_dual_add_f32 v5, 0, v5
	v_dual_add_f32 v31, 0, v31 :: v_dual_mul_f32 v45, v161, v101
	v_fmac_f32_e32 v11, v151, v90
	s_delay_alu instid0(VALU_DEP_3) | instskip(NEXT) | instid1(VALU_DEP_3)
	v_dual_fma_f32 v35, v150, v90, -v35 :: v_dual_add_f32 v5, v5, v7
	v_dual_add_f32 v7, v31, v33 :: v_dual_mul_f32 v15, v154, v95
	v_dual_mul_f32 v17, v156, v97 :: v_dual_mul_f32 v39, v155, v95
	s_wait_loadcnt_dscnt 0x702
	v_dual_mul_f32 v41, v157, v97 :: v_dual_mul_f32 v31, v163, v103
	v_fmac_f32_e32 v13, v153, v92
	v_dual_fma_f32 v33, v152, v92, -v37 :: v_dual_add_f32 v5, v5, v11
	v_dual_add_f32 v7, v7, v35 :: v_dual_mul_f32 v11, v165, v105
	v_fmac_f32_e32 v15, v155, v94
	s_delay_alu instid0(VALU_DEP_3) | instskip(NEXT) | instid1(VALU_DEP_3)
	v_dual_fma_f32 v35, v154, v94, -v39 :: v_dual_add_f32 v5, v5, v13
	v_dual_add_f32 v7, v7, v33 :: v_dual_mul_f32 v19, v158, v99
	s_wait_loadcnt_dscnt 0x601
	v_dual_mul_f32 v21, v160, v101 :: v_dual_mul_f32 v13, v167, v107
	v_fmac_f32_e32 v17, v157, v96
	v_dual_fma_f32 v33, v156, v96, -v41 :: v_dual_add_f32 v5, v5, v15
	v_dual_add_f32 v7, v7, v35 :: v_dual_mul_f32 v15, v169, v109
	v_fmac_f32_e32 v19, v159, v98
	s_delay_alu instid0(VALU_DEP_3) | instskip(NEXT) | instid1(VALU_DEP_3)
	v_dual_fma_f32 v35, v158, v98, -v43 :: v_dual_add_f32 v5, v5, v17
	v_dual_add_f32 v7, v7, v33 :: v_dual_mul_f32 v23, v162, v103
	;; [unrolled: 9-line block ×3, first 2 shown]
	v_dual_mul_f32 v29, v168, v109 :: v_dual_fmac_f32 v25, v165, v104
	s_delay_alu instid0(VALU_DEP_3) | instskip(NEXT) | instid1(VALU_DEP_3)
	v_dual_fma_f32 v11, v164, v104, -v11 :: v_dual_add_f32 v5, v5, v23
	v_fmac_f32_e32 v27, v167, v106
	s_wait_loadcnt 0x4
	v_dual_add_f32 v7, v7, v31 :: v_dual_mov_b32 v88, v117
	s_delay_alu instid0(VALU_DEP_3) | instskip(SKIP_1) | instid1(VALU_DEP_3)
	v_dual_fma_f32 v13, v166, v106, -v13 :: v_dual_add_f32 v5, v5, v25
	v_dual_mul_f32 v185, v170, v111 :: v_dual_mul_f32 v187, v172, v113
	v_dual_add_f32 v7, v7, v11 :: v_dual_fmac_f32 v29, v169, v108
	s_delay_alu instid0(VALU_DEP_3) | instskip(SKIP_2) | instid1(VALU_DEP_3)
	v_dual_fma_f32 v11, v168, v108, -v15 :: v_dual_add_f32 v5, v5, v27
	v_pk_mul_f32 v[86:87], v[130:131], v[114:115] op_sel:[1,1] op_sel_hi:[0,1]
	s_wait_loadcnt 0x3
	v_dual_add_f32 v7, v7, v13 :: v_dual_mov_b32 v92, v121
	s_delay_alu instid0(VALU_DEP_3) | instskip(NEXT) | instid1(VALU_DEP_2)
	v_dual_fmac_f32 v185, v171, v110 :: v_dual_add_f32 v95, v5, v29
	v_dual_fma_f32 v184, v170, v110, -v17 :: v_dual_add_f32 v94, v7, v11
	v_fmac_f32_e32 v187, v173, v112
	v_pk_fma_f32 v[96:97], v[130:131], v[114:115], v[86:87] op_sel_hi:[1,0,1]
	v_fma_f32 v186, v172, v112, -v19
	v_pk_mul_f32 v[88:89], v[176:177], v[88:89] op_sel_hi:[1,0]
	v_pk_add_f32 v[94:95], v[94:95], v[184:185]
	v_pk_fma_f32 v[86:87], v[130:131], v[114:115], v[86:87] neg_lo:[0,0,1] neg_hi:[0,0,1]
	v_pk_mul_f32 v[90:91], v[134:135], v[118:119] op_sel:[1,1] op_sel_hi:[0,1]
	v_mov_b32_e32 v87, v97
	v_pk_fma_f32 v[96:97], v[132:133], v[116:117], v[88:89] op_sel_hi:[1,0,1]
	v_pk_add_f32 v[94:95], v[94:95], v[186:187]
	v_pk_fma_f32 v[88:89], v[132:133], v[116:117], v[88:89] neg_lo:[0,0,1] neg_hi:[0,0,1]
	v_pk_fma_f32 v[100:101], v[134:135], v[118:119], v[90:91] op_sel_hi:[1,0,1]
	v_pk_mul_f32 v[92:93], v[178:179], v[92:93] op_sel_hi:[1,0]
	v_mov_b32_e32 v89, v97
	v_pk_add_f32 v[86:87], v[94:95], v[86:87]
	s_wait_loadcnt 0x2
	v_pk_mul_f32 v[98:99], v[138:139], v[122:123] op_sel:[1,1] op_sel_hi:[0,1]
	v_mov_b32_e32 v94, v125
	v_pk_fma_f32 v[90:91], v[134:135], v[118:119], v[90:91] neg_lo:[0,0,1] neg_hi:[0,0,1]
	v_pk_fma_f32 v[96:97], v[136:137], v[120:121], v[92:93] op_sel_hi:[1,0,1]
	v_mov_b32_e32 v91, v101
	v_pk_add_f32 v[86:87], v[86:87], v[88:89]
	v_pk_fma_f32 v[88:89], v[138:139], v[122:123], v[98:99] op_sel_hi:[1,0,1]
	v_pk_mul_f32 v[94:95], v[180:181], v[94:95] op_sel_hi:[1,0]
	v_pk_fma_f32 v[92:93], v[136:137], v[120:121], v[92:93] neg_lo:[0,0,1] neg_hi:[0,0,1]
	v_mov_b32_e32 v93, v97
	v_pk_add_f32 v[86:87], v[86:87], v[90:91]
	v_pk_fma_f32 v[96:97], v[138:139], v[122:123], v[98:99] neg_lo:[0,0,1] neg_hi:[0,0,1]
	v_mov_b32_e32 v97, v89
	v_pk_fma_f32 v[88:89], v[140:141], v[124:125], v[94:95] op_sel_hi:[1,0,1]
	s_wait_loadcnt 0x1
	v_pk_mul_f32 v[90:91], v[142:143], v[126:127] op_sel:[1,1] op_sel_hi:[0,1]
	v_pk_add_f32 v[86:87], v[86:87], v[92:93]
	v_mov_b32_e32 v88, v129
	v_pk_fma_f32 v[94:95], v[140:141], v[124:125], v[94:95] neg_lo:[0,0,1] neg_hi:[0,0,1]
	s_delay_alu instid0(VALU_DEP_4)
	v_pk_fma_f32 v[92:93], v[142:143], v[126:127], v[90:91] op_sel_hi:[1,0,1]
	v_mov_b32_e32 v95, v89
	v_pk_add_f32 v[86:87], v[86:87], v[96:97]
	v_pk_mul_f32 v[88:89], v[182:183], v[88:89] op_sel_hi:[1,0]
	v_pk_fma_f32 v[90:91], v[142:143], v[126:127], v[90:91] neg_lo:[0,0,1] neg_hi:[0,0,1]
	v_mov_b32_e32 v91, v93
	s_delay_alu instid0(VALU_DEP_4) | instskip(NEXT) | instid1(VALU_DEP_4)
	v_pk_add_f32 v[86:87], v[86:87], v[94:95]
	v_pk_fma_f32 v[92:93], v[144:145], v[128:129], v[88:89] op_sel_hi:[1,0,1]
	v_pk_fma_f32 v[88:89], v[144:145], v[128:129], v[88:89] neg_lo:[0,0,1] neg_hi:[0,0,1]
	s_delay_alu instid0(VALU_DEP_3) | instskip(NEXT) | instid1(VALU_DEP_3)
	v_pk_add_f32 v[86:87], v[86:87], v[90:91]
	v_mov_b32_e32 v89, v93
	s_delay_alu instid0(VALU_DEP_1) | instskip(SKIP_1) | instid1(VALU_DEP_1)
	v_pk_add_f32 v[86:87], v[86:87], v[88:89]
	s_wait_loadcnt 0x0
	v_pk_add_f32 v[86:87], v[174:175], v[86:87] neg_lo:[0,1] neg_hi:[0,1]
	scratch_store_b64 off, v[86:87], off offset:152
	s_wait_xcnt 0x0
	v_cmpx_lt_u32_e32 18, v0
	s_cbranch_execz .LBB41_229
; %bb.228:
	scratch_load_b64 v[86:87], off, off offset:144
	v_mov_b64_e32 v[88:89], 0
	scratch_store_b64 off, v[88:89], off offset:144
	s_wait_loadcnt 0x0
	ds_store_b64 v1, v[86:87]
.LBB41_229:
	s_wait_xcnt 0x0
	s_or_b32 exec_lo, exec_lo, s0
	s_wait_storecnt_dscnt 0x0
	s_barrier_signal -1
	s_barrier_wait -1
	s_clause 0xc
	scratch_load_b128 v[86:89], off, off offset:152
	scratch_load_b128 v[90:93], off, off offset:168
	scratch_load_b128 v[94:97], off, off offset:184
	scratch_load_b128 v[98:101], off, off offset:200
	scratch_load_b128 v[102:105], off, off offset:216
	scratch_load_b128 v[106:109], off, off offset:232
	scratch_load_b128 v[110:113], off, off offset:248
	scratch_load_b128 v[114:117], off, off offset:264
	scratch_load_b128 v[118:121], off, off offset:280
	scratch_load_b128 v[122:125], off, off offset:296
	scratch_load_b128 v[126:129], off, off offset:312
	scratch_load_b64 v[174:175], off, off offset:328
	scratch_load_b64 v[176:177], off, off offset:144
	v_mov_b32_e32 v5, 0
	ds_load_2addr_b64 v[130:133], v5 offset0:75 offset1:76
	ds_load_2addr_b64 v[134:137], v5 offset0:77 offset1:78
	;; [unrolled: 1-line block ×11, first 2 shown]
	ds_load_b64 v[178:179], v5 offset:664
	s_mov_b32 s0, exec_lo
	s_wait_dscnt 0xa
	v_dual_mov_b32 v181, v132 :: v_dual_mov_b32 v182, v137
	s_wait_dscnt 0x9
	v_dual_mov_b32 v183, v136 :: v_dual_mov_b32 v184, v141
	;; [unrolled: 2-line block ×3, first 2 shown]
	v_dual_mov_b32 v185, v140 :: v_dual_mov_b32 v186, v145
	s_wait_loadcnt_dscnt 0xc07
	v_dual_mul_f32 v7, v146, v87 :: v_dual_mul_f32 v11, v148, v89
	s_wait_loadcnt_dscnt 0xb06
	v_mul_f32_e32 v13, v150, v91
	v_dual_mul_f32 v35, v147, v87 :: v_dual_mul_f32 v37, v149, v89
	s_wait_loadcnt_dscnt 0x904
	v_dual_fmac_f32 v7, v147, v86 :: v_dual_mul_f32 v49, v161, v101
	s_delay_alu instid0(VALU_DEP_2) | instskip(NEXT) | instid1(VALU_DEP_3)
	v_dual_mul_f32 v47, v159, v99 :: v_dual_fma_f32 v35, v146, v86, -v35
	v_dual_fmac_f32 v11, v149, v88 :: v_dual_fma_f32 v37, v148, v88, -v37
	s_delay_alu instid0(VALU_DEP_3) | instskip(SKIP_3) | instid1(VALU_DEP_3)
	v_dual_add_f32 v7, 0, v7 :: v_dual_fmac_f32 v13, v151, v90
	v_dual_mul_f32 v15, v152, v93 :: v_dual_mul_f32 v17, v154, v95
	v_dual_mul_f32 v39, v151, v91 :: v_dual_mul_f32 v41, v153, v93
	v_add_f32_e32 v35, 0, v35
	v_dual_add_f32 v7, v7, v11 :: v_dual_fmac_f32 v15, v153, v92
	v_dual_mul_f32 v43, v155, v95 :: v_dual_mul_f32 v45, v157, v97
	s_delay_alu instid0(VALU_DEP_3) | instskip(NEXT) | instid1(VALU_DEP_3)
	v_dual_fma_f32 v39, v150, v90, -v39 :: v_dual_add_f32 v11, v35, v37
	v_dual_fma_f32 v37, v152, v92, -v41 :: v_dual_add_f32 v7, v7, v13
	v_dual_mul_f32 v19, v156, v97 :: v_dual_mul_f32 v21, v158, v99
	s_delay_alu instid0(VALU_DEP_3) | instskip(SKIP_1) | instid1(VALU_DEP_4)
	v_add_f32_e32 v11, v11, v39
	v_dual_fmac_f32 v17, v155, v94 :: v_dual_fma_f32 v39, v154, v94, -v43
	v_dual_add_f32 v7, v7, v15 :: v_dual_mul_f32 v23, v160, v101
	s_wait_loadcnt_dscnt 0x803
	v_mul_f32_e32 v25, v162, v103
	s_wait_loadcnt_dscnt 0x701
	v_dual_mul_f32 v13, v171, v107 :: v_dual_fmac_f32 v19, v157, v96
	v_mul_f32_e32 v15, v173, v109
	v_dual_add_f32 v11, v11, v37 :: v_dual_fma_f32 v37, v156, v96, -v45
	v_dual_add_f32 v7, v7, v17 :: v_dual_fmac_f32 v23, v161, v100
	v_dual_mul_f32 v27, v164, v105 :: v_dual_mul_f32 v29, v170, v107
	s_delay_alu instid0(VALU_DEP_3) | instskip(SKIP_2) | instid1(VALU_DEP_3)
	v_add_f32_e32 v11, v11, v39
	s_wait_loadcnt 0x5
	v_dual_fmac_f32 v21, v159, v98 :: v_dual_mov_b32 v86, v117
	v_dual_add_f32 v7, v7, v19 :: v_dual_fmac_f32 v27, v165, v104
	v_dual_mul_f32 v51, v163, v103 :: v_dual_mul_f32 v35, v165, v105
	v_dual_fma_f32 v39, v158, v98, -v47 :: v_dual_add_f32 v11, v11, v37
	s_delay_alu instid0(VALU_DEP_3) | instskip(SKIP_2) | instid1(VALU_DEP_3)
	v_dual_add_f32 v7, v7, v21 :: v_dual_fma_f32 v13, v170, v106, -v13
	v_dual_mul_f32 v17, v167, v111 :: v_dual_fma_f32 v37, v160, v100, -v49
	v_dual_mul_f32 v189, v168, v113 :: v_dual_mul_f32 v191, v130, v115
	v_dual_add_f32 v7, v7, v23 :: v_dual_fma_f32 v23, v164, v104, -v35
	s_wait_loadcnt 0x4
	v_dual_add_f32 v11, v11, v39 :: v_dual_mov_b32 v90, v121
	v_fma_f32 v39, v162, v102, -v51
	v_pk_mul_f32 v[88:89], v[134:135], v[118:119] op_sel:[1,1] op_sel_hi:[0,1]
	s_delay_alu instid0(VALU_DEP_3) | instskip(NEXT) | instid1(VALU_DEP_4)
	v_dual_fmac_f32 v189, v169, v112 :: v_dual_add_f32 v11, v11, v37
	v_pk_mul_f32 v[90:91], v[182:183], v[90:91] op_sel_hi:[1,0]
	v_dual_fmac_f32 v25, v163, v102 :: v_dual_fma_f32 v15, v172, v108, -v15
	s_delay_alu instid0(VALU_DEP_4) | instskip(SKIP_3) | instid1(VALU_DEP_3)
	v_pk_fma_f32 v[100:101], v[134:135], v[118:119], v[88:89] op_sel_hi:[1,0,1]
	s_wait_loadcnt 0x3
	v_dual_add_f32 v11, v11, v39 :: v_dual_mov_b32 v96, v125
	v_pk_fma_f32 v[88:89], v[134:135], v[118:119], v[88:89] neg_lo:[0,0,1] neg_hi:[0,0,1]
	v_dual_fmac_f32 v29, v171, v106 :: v_dual_mov_b32 v89, v101
	v_pk_fma_f32 v[100:101], v[136:137], v[120:121], v[90:91] op_sel_hi:[1,0,1]
	s_delay_alu instid0(VALU_DEP_4) | instskip(SKIP_3) | instid1(VALU_DEP_4)
	v_add_f32_e32 v11, v11, v23
	v_pk_fma_f32 v[90:91], v[136:137], v[120:121], v[90:91] neg_lo:[0,0,1] neg_hi:[0,0,1]
	v_dual_mul_f32 v31, v172, v109 :: v_dual_mul_f32 v33, v166, v111
	v_mul_f32_e32 v19, v169, v113
	v_dual_mov_b32 v91, v101 :: v_dual_add_f32 v11, v11, v13
	v_dual_fma_f32 v13, v166, v110, -v17 :: v_dual_add_f32 v7, v7, v25
	s_delay_alu instid0(VALU_DEP_3) | instskip(SKIP_1) | instid1(VALU_DEP_3)
	v_dual_fma_f32 v188, v168, v112, -v19 :: v_dual_mul_f32 v21, v131, v115
	v_dual_fmac_f32 v31, v173, v108 :: v_dual_fmac_f32 v33, v167, v110
	v_add_f32_e32 v7, v7, v27
	s_delay_alu instid0(VALU_DEP_3) | instskip(SKIP_2) | instid1(VALU_DEP_4)
	v_dual_add_f32 v11, v11, v15 :: v_dual_fma_f32 v190, v130, v114, -v21
	v_pk_mul_f32 v[86:87], v[180:181], v[86:87] op_sel_hi:[1,0]
	v_fmac_f32_e32 v191, v131, v114
	v_add_f32_e32 v7, v7, v29
	s_delay_alu instid0(VALU_DEP_4)
	v_add_f32_e32 v94, v11, v13
	v_pk_mul_f32 v[92:93], v[138:139], v[122:123] op_sel:[1,1] op_sel_hi:[0,1]
	v_pk_fma_f32 v[98:99], v[132:133], v[116:117], v[86:87] op_sel_hi:[1,0,1]
	v_pk_fma_f32 v[86:87], v[132:133], v[116:117], v[86:87] neg_lo:[0,0,1] neg_hi:[0,0,1]
	v_add_f32_e32 v7, v7, v31
	v_pk_mul_f32 v[96:97], v[184:185], v[96:97] op_sel_hi:[1,0]
	s_delay_alu instid0(VALU_DEP_4) | instskip(SKIP_3) | instid1(VALU_DEP_1)
	v_mov_b32_e32 v87, v99
	s_wait_loadcnt 0x2
	v_pk_mul_f32 v[98:99], v[142:143], v[126:127] op_sel:[1,1] op_sel_hi:[0,1]
	v_add_f32_e32 v95, v7, v33
	v_pk_add_f32 v[94:95], v[94:95], v[188:189]
	s_delay_alu instid0(VALU_DEP_1) | instskip(NEXT) | instid1(VALU_DEP_1)
	v_pk_add_f32 v[94:95], v[94:95], v[190:191]
	v_pk_add_f32 v[86:87], v[94:95], v[86:87]
	v_pk_fma_f32 v[94:95], v[138:139], v[122:123], v[92:93] op_sel_hi:[1,0,1]
	v_pk_fma_f32 v[92:93], v[138:139], v[122:123], v[92:93] neg_lo:[0,0,1] neg_hi:[0,0,1]
	s_delay_alu instid0(VALU_DEP_3) | instskip(NEXT) | instid1(VALU_DEP_3)
	v_pk_add_f32 v[86:87], v[86:87], v[88:89]
	v_dual_mov_b32 v88, v129 :: v_dual_mov_b32 v93, v95
	v_pk_fma_f32 v[94:95], v[140:141], v[124:125], v[96:97] op_sel_hi:[1,0,1]
	v_pk_fma_f32 v[96:97], v[140:141], v[124:125], v[96:97] neg_lo:[0,0,1] neg_hi:[0,0,1]
	s_delay_alu instid0(VALU_DEP_4)
	v_pk_add_f32 v[86:87], v[86:87], v[90:91]
	v_pk_fma_f32 v[90:91], v[142:143], v[126:127], v[98:99] op_sel_hi:[1,0,1]
	v_pk_mul_f32 v[88:89], v[186:187], v[88:89] op_sel_hi:[1,0]
	v_mov_b32_e32 v97, v95
	s_wait_loadcnt_dscnt 0x100
	v_pk_mul_f32 v[94:95], v[178:179], v[174:175] op_sel:[1,1] op_sel_hi:[0,1]
	v_pk_add_f32 v[86:87], v[86:87], v[92:93]
	v_pk_fma_f32 v[92:93], v[142:143], v[126:127], v[98:99] neg_lo:[0,0,1] neg_hi:[0,0,1]
	v_mov_b32_e32 v93, v91
	v_pk_fma_f32 v[90:91], v[144:145], v[128:129], v[88:89] op_sel_hi:[1,0,1]
	v_pk_fma_f32 v[88:89], v[144:145], v[128:129], v[88:89] neg_lo:[0,0,1] neg_hi:[0,0,1]
	v_pk_add_f32 v[86:87], v[86:87], v[96:97]
	s_delay_alu instid0(VALU_DEP_3) | instskip(SKIP_1) | instid1(VALU_DEP_3)
	v_mov_b32_e32 v89, v91
	v_pk_fma_f32 v[90:91], v[178:179], v[174:175], v[94:95] op_sel_hi:[1,0,1]
	v_pk_add_f32 v[86:87], v[86:87], v[92:93]
	v_pk_fma_f32 v[92:93], v[178:179], v[174:175], v[94:95] neg_lo:[0,0,1] neg_hi:[0,0,1]
	s_delay_alu instid0(VALU_DEP_3) | instskip(NEXT) | instid1(VALU_DEP_3)
	v_mov_b32_e32 v93, v91
	v_pk_add_f32 v[86:87], v[86:87], v[88:89]
	s_delay_alu instid0(VALU_DEP_1) | instskip(SKIP_1) | instid1(VALU_DEP_1)
	v_pk_add_f32 v[86:87], v[86:87], v[92:93]
	s_wait_loadcnt 0x0
	v_pk_add_f32 v[86:87], v[176:177], v[86:87] neg_lo:[0,1] neg_hi:[0,1]
	scratch_store_b64 off, v[86:87], off offset:144
	s_wait_xcnt 0x0
	v_cmpx_lt_u32_e32 17, v0
	s_cbranch_execz .LBB41_231
; %bb.230:
	scratch_load_b64 v[86:87], off, off offset:136
	v_mov_b64_e32 v[88:89], 0
	scratch_store_b64 off, v[88:89], off offset:136
	s_wait_loadcnt 0x0
	ds_store_b64 v1, v[86:87]
.LBB41_231:
	s_wait_xcnt 0x0
	s_or_b32 exec_lo, exec_lo, s0
	s_wait_storecnt_dscnt 0x0
	s_barrier_signal -1
	s_barrier_wait -1
	s_clause 0xc
	scratch_load_b128 v[86:89], off, off offset:144
	scratch_load_b128 v[90:93], off, off offset:160
	scratch_load_b128 v[94:97], off, off offset:176
	scratch_load_b128 v[98:101], off, off offset:192
	scratch_load_b128 v[102:105], off, off offset:208
	scratch_load_b128 v[106:109], off, off offset:224
	scratch_load_b128 v[110:113], off, off offset:240
	scratch_load_b128 v[114:117], off, off offset:256
	scratch_load_b128 v[118:121], off, off offset:272
	scratch_load_b128 v[122:125], off, off offset:288
	scratch_load_b128 v[126:129], off, off offset:304
	scratch_load_b128 v[130:133], off, off offset:320
	scratch_load_b64 v[182:183], off, off offset:136
	ds_load_b128 v[134:137], v5 offset:608
	ds_load_b128 v[138:141], v5 offset:624
	;; [unrolled: 1-line block ×12, first 2 shown]
	s_mov_b32 s0, exec_lo
	s_wait_dscnt 0xb
	v_dual_mov_b32 v184, v137 :: v_dual_mov_b32 v185, v136
	s_wait_dscnt 0xa
	v_dual_mov_b32 v186, v141 :: v_dual_mov_b32 v187, v140
	;; [unrolled: 2-line block ×4, first 2 shown]
	s_wait_loadcnt_dscnt 0xc07
	v_dual_mul_f32 v5, v150, v87 :: v_dual_mul_f32 v7, v152, v89
	v_dual_mul_f32 v35, v151, v87 :: v_dual_mul_f32 v37, v153, v89
	s_wait_loadcnt_dscnt 0xb06
	v_dual_mul_f32 v11, v154, v91 :: v_dual_mul_f32 v13, v156, v93
	s_delay_alu instid0(VALU_DEP_2) | instskip(SKIP_3) | instid1(VALU_DEP_3)
	v_dual_fmac_f32 v5, v151, v86 :: v_dual_fma_f32 v35, v150, v86, -v35
	v_dual_mul_f32 v39, v155, v91 :: v_dual_mul_f32 v41, v157, v93
	s_wait_loadcnt_dscnt 0x904
	v_dual_mul_f32 v47, v163, v99 :: v_dual_fmac_f32 v7, v153, v88
	v_dual_fma_f32 v37, v152, v88, -v37 :: v_dual_add_f32 v5, 0, v5
	v_dual_add_f32 v35, 0, v35 :: v_dual_mul_f32 v49, v165, v101
	v_fmac_f32_e32 v11, v155, v90
	s_delay_alu instid0(VALU_DEP_3) | instskip(NEXT) | instid1(VALU_DEP_3)
	v_dual_fma_f32 v39, v154, v90, -v39 :: v_dual_add_f32 v5, v5, v7
	v_dual_add_f32 v7, v35, v37 :: v_dual_mul_f32 v15, v158, v95
	v_dual_mul_f32 v17, v160, v97 :: v_dual_mul_f32 v43, v159, v95
	s_wait_loadcnt_dscnt 0x803
	v_dual_mul_f32 v45, v161, v97 :: v_dual_mul_f32 v35, v167, v103
	v_fmac_f32_e32 v13, v157, v92
	v_dual_fma_f32 v37, v156, v92, -v41 :: v_dual_add_f32 v5, v5, v11
	v_dual_add_f32 v7, v7, v39 :: v_dual_mul_f32 v11, v169, v105
	v_fmac_f32_e32 v15, v159, v94
	s_delay_alu instid0(VALU_DEP_3) | instskip(NEXT) | instid1(VALU_DEP_3)
	v_dual_fma_f32 v39, v158, v94, -v43 :: v_dual_add_f32 v5, v5, v13
	v_dual_add_f32 v7, v7, v37 :: v_dual_mul_f32 v19, v162, v99
	s_wait_loadcnt_dscnt 0x702
	v_dual_mul_f32 v21, v164, v101 :: v_dual_mul_f32 v13, v171, v107
	v_fmac_f32_e32 v17, v161, v96
	v_dual_fma_f32 v37, v160, v96, -v45 :: v_dual_add_f32 v5, v5, v15
	v_dual_add_f32 v7, v7, v39 :: v_dual_mul_f32 v15, v173, v109
	v_fmac_f32_e32 v19, v163, v98
	s_delay_alu instid0(VALU_DEP_3) | instskip(NEXT) | instid1(VALU_DEP_3)
	v_dual_fma_f32 v39, v162, v98, -v47 :: v_dual_add_f32 v5, v5, v17
	v_dual_add_f32 v7, v7, v37 :: v_dual_mul_f32 v23, v166, v103
	;; [unrolled: 9-line block ×3, first 2 shown]
	s_wait_loadcnt_dscnt 0x500
	v_dual_mul_f32 v29, v172, v109 :: v_dual_mul_f32 v21, v179, v115
	v_dual_fmac_f32 v25, v169, v104 :: v_dual_fma_f32 v11, v168, v104, -v11
	v_add_f32_e32 v5, v5, v23
	v_dual_add_f32 v7, v7, v35 :: v_dual_mul_f32 v23, v181, v117
	v_dual_fmac_f32 v27, v171, v106 :: v_dual_fma_f32 v13, v170, v106, -v13
	s_delay_alu instid0(VALU_DEP_2) | instskip(SKIP_2) | instid1(VALU_DEP_3)
	v_dual_add_f32 v5, v5, v25 :: v_dual_add_f32 v7, v7, v11
	v_dual_mul_f32 v31, v174, v111 :: v_dual_mul_f32 v33, v176, v113
	v_dual_fmac_f32 v29, v173, v108 :: v_dual_fma_f32 v11, v172, v108, -v15
	v_dual_add_f32 v5, v5, v27 :: v_dual_add_f32 v7, v7, v13
	s_wait_loadcnt 0x4
	s_delay_alu instid0(VALU_DEP_3) | instskip(NEXT) | instid1(VALU_DEP_2)
	v_dual_mov_b32 v88, v121 :: v_dual_fmac_f32 v31, v175, v110
	v_dual_fma_f32 v13, v174, v110, -v17 :: v_dual_add_f32 v5, v5, v29
	s_delay_alu instid0(VALU_DEP_3) | instskip(SKIP_1) | instid1(VALU_DEP_3)
	v_dual_add_f32 v7, v7, v11 :: v_dual_fmac_f32 v33, v177, v112
	v_dual_mul_f32 v193, v178, v115 :: v_dual_mul_f32 v195, v180, v117
	v_dual_fma_f32 v11, v176, v112, -v19 :: v_dual_add_f32 v5, v5, v31
	s_wait_loadcnt 0x3
	s_delay_alu instid0(VALU_DEP_3) | instskip(SKIP_1) | instid1(VALU_DEP_3)
	v_dual_add_f32 v7, v7, v13 :: v_dual_mov_b32 v92, v125
	v_pk_mul_f32 v[86:87], v[134:135], v[118:119] op_sel:[1,1] op_sel_hi:[0,1]
	v_dual_fmac_f32 v193, v179, v114 :: v_dual_add_f32 v95, v5, v33
	s_delay_alu instid0(VALU_DEP_3) | instskip(SKIP_1) | instid1(VALU_DEP_4)
	v_dual_fma_f32 v192, v178, v114, -v21 :: v_dual_add_f32 v94, v7, v11
	v_fmac_f32_e32 v195, v181, v116
	v_pk_fma_f32 v[96:97], v[134:135], v[118:119], v[86:87] op_sel_hi:[1,0,1]
	v_fma_f32 v194, v180, v116, -v23
	v_pk_mul_f32 v[88:89], v[184:185], v[88:89] op_sel_hi:[1,0]
	v_pk_add_f32 v[94:95], v[94:95], v[192:193]
	v_pk_fma_f32 v[86:87], v[134:135], v[118:119], v[86:87] neg_lo:[0,0,1] neg_hi:[0,0,1]
	v_pk_mul_f32 v[90:91], v[138:139], v[122:123] op_sel:[1,1] op_sel_hi:[0,1]
	v_mov_b32_e32 v87, v97
	v_pk_fma_f32 v[96:97], v[136:137], v[120:121], v[88:89] op_sel_hi:[1,0,1]
	v_pk_add_f32 v[94:95], v[94:95], v[194:195]
	v_pk_fma_f32 v[88:89], v[136:137], v[120:121], v[88:89] neg_lo:[0,0,1] neg_hi:[0,0,1]
	v_pk_fma_f32 v[100:101], v[138:139], v[122:123], v[90:91] op_sel_hi:[1,0,1]
	v_pk_mul_f32 v[92:93], v[186:187], v[92:93] op_sel_hi:[1,0]
	v_mov_b32_e32 v89, v97
	v_pk_add_f32 v[86:87], v[94:95], v[86:87]
	s_wait_loadcnt 0x2
	v_pk_mul_f32 v[98:99], v[142:143], v[126:127] op_sel:[1,1] op_sel_hi:[0,1]
	v_mov_b32_e32 v94, v129
	v_pk_fma_f32 v[90:91], v[138:139], v[122:123], v[90:91] neg_lo:[0,0,1] neg_hi:[0,0,1]
	v_pk_fma_f32 v[96:97], v[140:141], v[124:125], v[92:93] op_sel_hi:[1,0,1]
	v_mov_b32_e32 v91, v101
	v_pk_add_f32 v[86:87], v[86:87], v[88:89]
	v_pk_fma_f32 v[88:89], v[142:143], v[126:127], v[98:99] op_sel_hi:[1,0,1]
	v_pk_mul_f32 v[94:95], v[188:189], v[94:95] op_sel_hi:[1,0]
	v_pk_fma_f32 v[92:93], v[140:141], v[124:125], v[92:93] neg_lo:[0,0,1] neg_hi:[0,0,1]
	v_mov_b32_e32 v93, v97
	v_pk_add_f32 v[86:87], v[86:87], v[90:91]
	v_pk_fma_f32 v[96:97], v[142:143], v[126:127], v[98:99] neg_lo:[0,0,1] neg_hi:[0,0,1]
	v_mov_b32_e32 v97, v89
	v_pk_fma_f32 v[88:89], v[144:145], v[128:129], v[94:95] op_sel_hi:[1,0,1]
	s_wait_loadcnt 0x1
	v_pk_mul_f32 v[90:91], v[146:147], v[130:131] op_sel:[1,1] op_sel_hi:[0,1]
	v_pk_add_f32 v[86:87], v[86:87], v[92:93]
	v_mov_b32_e32 v88, v133
	v_pk_fma_f32 v[94:95], v[144:145], v[128:129], v[94:95] neg_lo:[0,0,1] neg_hi:[0,0,1]
	s_delay_alu instid0(VALU_DEP_4)
	v_pk_fma_f32 v[92:93], v[146:147], v[130:131], v[90:91] op_sel_hi:[1,0,1]
	v_mov_b32_e32 v95, v89
	v_pk_add_f32 v[86:87], v[86:87], v[96:97]
	v_pk_mul_f32 v[88:89], v[190:191], v[88:89] op_sel_hi:[1,0]
	v_pk_fma_f32 v[90:91], v[146:147], v[130:131], v[90:91] neg_lo:[0,0,1] neg_hi:[0,0,1]
	v_mov_b32_e32 v91, v93
	s_delay_alu instid0(VALU_DEP_4) | instskip(NEXT) | instid1(VALU_DEP_4)
	v_pk_add_f32 v[86:87], v[86:87], v[94:95]
	v_pk_fma_f32 v[92:93], v[148:149], v[132:133], v[88:89] op_sel_hi:[1,0,1]
	v_pk_fma_f32 v[88:89], v[148:149], v[132:133], v[88:89] neg_lo:[0,0,1] neg_hi:[0,0,1]
	s_delay_alu instid0(VALU_DEP_3) | instskip(NEXT) | instid1(VALU_DEP_3)
	v_pk_add_f32 v[86:87], v[86:87], v[90:91]
	v_mov_b32_e32 v89, v93
	s_delay_alu instid0(VALU_DEP_1) | instskip(SKIP_1) | instid1(VALU_DEP_1)
	v_pk_add_f32 v[86:87], v[86:87], v[88:89]
	s_wait_loadcnt 0x0
	v_pk_add_f32 v[86:87], v[182:183], v[86:87] neg_lo:[0,1] neg_hi:[0,1]
	scratch_store_b64 off, v[86:87], off offset:136
	s_wait_xcnt 0x0
	v_cmpx_lt_u32_e32 16, v0
	s_cbranch_execz .LBB41_233
; %bb.232:
	scratch_load_b64 v[86:87], off, off offset:128
	v_mov_b64_e32 v[88:89], 0
	scratch_store_b64 off, v[88:89], off offset:128
	s_wait_loadcnt 0x0
	ds_store_b64 v1, v[86:87]
.LBB41_233:
	s_wait_xcnt 0x0
	s_or_b32 exec_lo, exec_lo, s0
	s_wait_storecnt_dscnt 0x0
	s_barrier_signal -1
	s_barrier_wait -1
	s_clause 0xd
	scratch_load_b128 v[86:89], off, off offset:136
	scratch_load_b128 v[90:93], off, off offset:152
	;; [unrolled: 1-line block ×12, first 2 shown]
	scratch_load_b64 v[182:183], off, off offset:328
	scratch_load_b64 v[184:185], off, off offset:128
	v_mov_b32_e32 v5, 0
	ds_load_2addr_b64 v[134:137], v5 offset0:75 offset1:76
	ds_load_2addr_b64 v[138:141], v5 offset0:77 offset1:78
	;; [unrolled: 1-line block ×12, first 2 shown]
	ds_load_b64 v[186:187], v5 offset:664
	s_mov_b32 s0, exec_lo
	s_wait_dscnt 0xb
	v_dual_mov_b32 v189, v136 :: v_dual_mov_b32 v190, v141
	s_wait_dscnt 0xa
	v_dual_mov_b32 v191, v140 :: v_dual_mov_b32 v192, v145
	;; [unrolled: 2-line block ×3, first 2 shown]
	v_dual_mov_b32 v193, v144 :: v_dual_mov_b32 v194, v149
	s_wait_loadcnt_dscnt 0xd08
	v_dual_mul_f32 v7, v150, v87 :: v_dual_mul_f32 v39, v151, v87
	v_dual_mul_f32 v41, v153, v89 :: v_dual_mul_f32 v11, v152, v89
	s_wait_loadcnt_dscnt 0xc07
	v_mul_f32_e32 v13, v154, v91
	s_wait_loadcnt_dscnt 0xa05
	v_dual_mul_f32 v51, v163, v99 :: v_dual_fma_f32 v39, v150, v86, -v39
	v_dual_fmac_f32 v7, v151, v86 :: v_dual_mul_f32 v53, v165, v101
	v_dual_mul_f32 v43, v155, v91 :: v_dual_mul_f32 v45, v157, v93
	v_dual_fmac_f32 v11, v153, v88 :: v_dual_fma_f32 v41, v152, v88, -v41
	s_delay_alu instid0(VALU_DEP_3) | instskip(NEXT) | instid1(VALU_DEP_3)
	v_dual_add_f32 v7, 0, v7 :: v_dual_fmac_f32 v13, v155, v90
	v_dual_add_f32 v39, 0, v39 :: v_dual_fma_f32 v43, v154, v90, -v43
	v_dual_mul_f32 v15, v156, v93 :: v_dual_mul_f32 v17, v158, v95
	s_delay_alu instid0(VALU_DEP_3) | instskip(NEXT) | instid1(VALU_DEP_3)
	v_add_f32_e32 v7, v7, v11
	v_dual_add_f32 v11, v39, v41 :: v_dual_fma_f32 v41, v156, v92, -v45
	v_dual_mul_f32 v47, v159, v95 :: v_dual_mul_f32 v49, v161, v97
	s_delay_alu instid0(VALU_DEP_3) | instskip(NEXT) | instid1(VALU_DEP_2)
	v_dual_fmac_f32 v15, v157, v92 :: v_dual_add_f32 v7, v7, v13
	v_dual_add_f32 v11, v11, v43 :: v_dual_fma_f32 v43, v158, v94, -v47
	v_dual_mul_f32 v19, v160, v97 :: v_dual_mul_f32 v21, v162, v99
	s_wait_loadcnt_dscnt 0x803
	s_delay_alu instid0(VALU_DEP_3) | instskip(NEXT) | instid1(VALU_DEP_3)
	v_dual_add_f32 v7, v7, v15 :: v_dual_mul_f32 v15, v173, v109
	v_dual_add_f32 v11, v11, v41 :: v_dual_fma_f32 v41, v160, v96, -v49
	v_dual_mul_f32 v55, v167, v103 :: v_dual_mul_f32 v39, v169, v105
	v_fmac_f32_e32 v17, v159, v94
	s_delay_alu instid0(VALU_DEP_3) | instskip(SKIP_2) | instid1(VALU_DEP_3)
	v_dual_add_f32 v11, v11, v43 :: v_dual_fma_f32 v43, v162, v98, -v51
	v_dual_mul_f32 v23, v164, v101 :: v_dual_mul_f32 v25, v166, v103
	v_dual_mul_f32 v13, v171, v107 :: v_dual_fmac_f32 v19, v161, v96
	v_dual_add_f32 v11, v11, v41 :: v_dual_fma_f32 v39, v168, v104, -v39
	s_delay_alu instid0(VALU_DEP_3) | instskip(NEXT) | instid1(VALU_DEP_2)
	v_dual_add_f32 v7, v7, v17 :: v_dual_fmac_f32 v23, v165, v100
	v_dual_fma_f32 v41, v164, v100, -v53 :: v_dual_add_f32 v11, v11, v43
	s_wait_loadcnt 0x5
	v_dual_mov_b32 v86, v121 :: v_dual_mul_f32 v27, v168, v105
	v_mul_f32_e32 v29, v170, v107
	s_wait_dscnt 0x2
	v_dual_mul_f32 v17, v175, v111 :: v_dual_fma_f32 v43, v166, v102, -v55
	v_fmac_f32_e32 v21, v163, v98
	v_dual_add_f32 v7, v7, v19 :: v_dual_fmac_f32 v27, v169, v104
	s_wait_loadcnt 0x4
	v_dual_add_f32 v11, v11, v41 :: v_dual_mov_b32 v90, v125
	v_mul_f32_e32 v19, v177, v113
	s_delay_alu instid0(VALU_DEP_3) | instskip(NEXT) | instid1(VALU_DEP_3)
	v_dual_add_f32 v7, v7, v21 :: v_dual_fma_f32 v13, v170, v106, -v13
	v_add_f32_e32 v11, v11, v43
	v_dual_fmac_f32 v25, v167, v102 :: v_dual_fma_f32 v15, v172, v108, -v15
	s_delay_alu instid0(VALU_DEP_3)
	v_add_f32_e32 v7, v7, v23
	v_pk_mul_f32 v[88:89], v[138:139], v[122:123] op_sel:[1,1] op_sel_hi:[0,1]
	s_wait_loadcnt 0x3
	v_dual_add_f32 v11, v11, v39 :: v_dual_mov_b32 v96, v129
	s_wait_dscnt 0x1
	v_dual_mul_f32 v35, v176, v113 :: v_dual_mul_f32 v37, v178, v115
	v_pk_fma_f32 v[100:101], v[138:139], v[122:123], v[88:89] op_sel_hi:[1,0,1]
	s_delay_alu instid0(VALU_DEP_3) | instskip(NEXT) | instid1(VALU_DEP_3)
	v_dual_add_f32 v11, v11, v13 :: v_dual_fma_f32 v13, v174, v110, -v17
	v_dual_add_f32 v7, v7, v25 :: v_dual_fmac_f32 v35, v177, v112
	v_pk_fma_f32 v[88:89], v[138:139], v[122:123], v[88:89] neg_lo:[0,0,1] neg_hi:[0,0,1]
	v_dual_mul_f32 v31, v172, v109 :: v_dual_mul_f32 v33, v174, v111
	v_dual_mul_f32 v197, v180, v117 :: v_dual_mul_f32 v199, v134, v119
	s_delay_alu instid0(VALU_DEP_2) | instskip(SKIP_1) | instid1(VALU_DEP_3)
	v_dual_mul_f32 v21, v179, v115 :: v_dual_fmac_f32 v31, v173, v108
	v_dual_mul_f32 v23, v181, v117 :: v_dual_fmac_f32 v29, v171, v106
	v_dual_add_f32 v7, v7, v27 :: v_dual_fmac_f32 v197, v181, v116
	v_dual_mov_b32 v89, v101 :: v_dual_add_f32 v11, v11, v15
	s_delay_alu instid0(VALU_DEP_3) | instskip(SKIP_1) | instid1(VALU_DEP_3)
	v_dual_mul_f32 v25, v135, v119 :: v_dual_fma_f32 v196, v180, v116, -v23
	v_pk_mul_f32 v[90:91], v[190:191], v[90:91] op_sel_hi:[1,0]
	v_dual_fma_f32 v15, v176, v112, -v19 :: v_dual_add_f32 v11, v11, v13
	v_dual_fma_f32 v13, v178, v114, -v21 :: v_dual_add_f32 v7, v7, v29
	s_delay_alu instid0(VALU_DEP_4) | instskip(NEXT) | instid1(VALU_DEP_4)
	v_fma_f32 v198, v134, v118, -v25
	v_pk_fma_f32 v[100:101], v[140:141], v[124:125], v[90:91] op_sel_hi:[1,0,1]
	v_fmac_f32_e32 v33, v175, v110
	v_pk_fma_f32 v[90:91], v[140:141], v[124:125], v[90:91] neg_lo:[0,0,1] neg_hi:[0,0,1]
	v_add_f32_e32 v7, v7, v31
	s_delay_alu instid0(VALU_DEP_4) | instskip(SKIP_2) | instid1(VALU_DEP_4)
	v_dual_fmac_f32 v37, v179, v114 :: v_dual_mov_b32 v91, v101
	v_add_f32_e32 v11, v11, v15
	v_pk_mul_f32 v[86:87], v[188:189], v[86:87] op_sel_hi:[1,0]
	v_add_f32_e32 v7, v7, v33
	v_fmac_f32_e32 v199, v135, v118
	v_pk_mul_f32 v[92:93], v[142:143], v[126:127] op_sel:[1,1] op_sel_hi:[0,1]
	v_add_f32_e32 v94, v11, v13
	v_pk_fma_f32 v[98:99], v[136:137], v[120:121], v[86:87] op_sel_hi:[1,0,1]
	v_add_f32_e32 v7, v7, v35
	v_pk_fma_f32 v[86:87], v[136:137], v[120:121], v[86:87] neg_lo:[0,0,1] neg_hi:[0,0,1]
	v_pk_mul_f32 v[96:97], v[192:193], v[96:97] op_sel_hi:[1,0]
	s_delay_alu instid0(VALU_DEP_4) | instskip(NEXT) | instid1(VALU_DEP_4)
	v_mov_b32_e32 v87, v99
	v_add_f32_e32 v95, v7, v37
	s_wait_loadcnt 0x2
	v_pk_mul_f32 v[98:99], v[146:147], v[130:131] op_sel:[1,1] op_sel_hi:[0,1]
	s_delay_alu instid0(VALU_DEP_2) | instskip(NEXT) | instid1(VALU_DEP_1)
	v_pk_add_f32 v[94:95], v[94:95], v[196:197]
	v_pk_add_f32 v[94:95], v[94:95], v[198:199]
	s_delay_alu instid0(VALU_DEP_1) | instskip(SKIP_2) | instid1(VALU_DEP_3)
	v_pk_add_f32 v[86:87], v[94:95], v[86:87]
	v_pk_fma_f32 v[94:95], v[142:143], v[126:127], v[92:93] op_sel_hi:[1,0,1]
	v_pk_fma_f32 v[92:93], v[142:143], v[126:127], v[92:93] neg_lo:[0,0,1] neg_hi:[0,0,1]
	v_pk_add_f32 v[86:87], v[86:87], v[88:89]
	s_delay_alu instid0(VALU_DEP_3) | instskip(SKIP_2) | instid1(VALU_DEP_4)
	v_dual_mov_b32 v88, v133 :: v_dual_mov_b32 v93, v95
	v_pk_fma_f32 v[94:95], v[144:145], v[128:129], v[96:97] op_sel_hi:[1,0,1]
	v_pk_fma_f32 v[96:97], v[144:145], v[128:129], v[96:97] neg_lo:[0,0,1] neg_hi:[0,0,1]
	v_pk_add_f32 v[86:87], v[86:87], v[90:91]
	v_pk_fma_f32 v[90:91], v[146:147], v[130:131], v[98:99] op_sel_hi:[1,0,1]
	v_pk_mul_f32 v[88:89], v[194:195], v[88:89] op_sel_hi:[1,0]
	v_mov_b32_e32 v97, v95
	s_wait_loadcnt_dscnt 0x100
	v_pk_mul_f32 v[94:95], v[186:187], v[182:183] op_sel:[1,1] op_sel_hi:[0,1]
	v_pk_add_f32 v[86:87], v[86:87], v[92:93]
	v_pk_fma_f32 v[92:93], v[146:147], v[130:131], v[98:99] neg_lo:[0,0,1] neg_hi:[0,0,1]
	v_mov_b32_e32 v93, v91
	v_pk_fma_f32 v[90:91], v[148:149], v[132:133], v[88:89] op_sel_hi:[1,0,1]
	v_pk_fma_f32 v[88:89], v[148:149], v[132:133], v[88:89] neg_lo:[0,0,1] neg_hi:[0,0,1]
	v_pk_add_f32 v[86:87], v[86:87], v[96:97]
	s_delay_alu instid0(VALU_DEP_3) | instskip(SKIP_1) | instid1(VALU_DEP_3)
	v_mov_b32_e32 v89, v91
	v_pk_fma_f32 v[90:91], v[186:187], v[182:183], v[94:95] op_sel_hi:[1,0,1]
	v_pk_add_f32 v[86:87], v[86:87], v[92:93]
	v_pk_fma_f32 v[92:93], v[186:187], v[182:183], v[94:95] neg_lo:[0,0,1] neg_hi:[0,0,1]
	s_delay_alu instid0(VALU_DEP_3) | instskip(NEXT) | instid1(VALU_DEP_3)
	v_mov_b32_e32 v93, v91
	v_pk_add_f32 v[86:87], v[86:87], v[88:89]
	s_delay_alu instid0(VALU_DEP_1) | instskip(SKIP_1) | instid1(VALU_DEP_1)
	v_pk_add_f32 v[86:87], v[86:87], v[92:93]
	s_wait_loadcnt 0x0
	v_pk_add_f32 v[86:87], v[184:185], v[86:87] neg_lo:[0,1] neg_hi:[0,1]
	scratch_store_b64 off, v[86:87], off offset:128
	s_wait_xcnt 0x0
	v_cmpx_lt_u32_e32 15, v0
	s_cbranch_execz .LBB41_235
; %bb.234:
	scratch_load_b64 v[86:87], off, off offset:120
	v_mov_b64_e32 v[88:89], 0
	scratch_store_b64 off, v[88:89], off offset:120
	s_wait_loadcnt 0x0
	ds_store_b64 v1, v[86:87]
.LBB41_235:
	s_wait_xcnt 0x0
	s_or_b32 exec_lo, exec_lo, s0
	s_wait_storecnt_dscnt 0x0
	s_barrier_signal -1
	s_barrier_wait -1
	s_clause 0xd
	scratch_load_b128 v[86:89], off, off offset:128
	scratch_load_b128 v[90:93], off, off offset:144
	;; [unrolled: 1-line block ×13, first 2 shown]
	scratch_load_b64 v[190:191], off, off offset:120
	ds_load_b128 v[138:141], v5 offset:608
	ds_load_b128 v[142:145], v5 offset:624
	;; [unrolled: 1-line block ×13, first 2 shown]
	s_mov_b32 s0, exec_lo
	s_wait_dscnt 0xc
	v_dual_mov_b32 v192, v141 :: v_dual_mov_b32 v193, v140
	s_wait_dscnt 0xb
	v_dual_mov_b32 v194, v145 :: v_dual_mov_b32 v195, v144
	;; [unrolled: 2-line block ×4, first 2 shown]
	s_wait_loadcnt_dscnt 0xd08
	v_dual_mul_f32 v5, v154, v87 :: v_dual_mul_f32 v7, v156, v89
	v_dual_mul_f32 v39, v155, v87 :: v_dual_mul_f32 v41, v157, v89
	s_wait_loadcnt_dscnt 0xc07
	v_dual_mul_f32 v11, v158, v91 :: v_dual_mul_f32 v13, v160, v93
	s_delay_alu instid0(VALU_DEP_2) | instskip(SKIP_3) | instid1(VALU_DEP_3)
	v_dual_fmac_f32 v5, v155, v86 :: v_dual_fma_f32 v39, v154, v86, -v39
	v_dual_mul_f32 v43, v159, v91 :: v_dual_mul_f32 v45, v161, v93
	s_wait_loadcnt_dscnt 0xa05
	v_dual_mul_f32 v51, v167, v99 :: v_dual_fmac_f32 v7, v157, v88
	v_dual_fma_f32 v41, v156, v88, -v41 :: v_dual_add_f32 v5, 0, v5
	v_dual_add_f32 v39, 0, v39 :: v_dual_mul_f32 v53, v169, v101
	v_fmac_f32_e32 v11, v159, v90
	s_delay_alu instid0(VALU_DEP_3) | instskip(NEXT) | instid1(VALU_DEP_3)
	v_dual_fma_f32 v43, v158, v90, -v43 :: v_dual_add_f32 v5, v5, v7
	v_dual_add_f32 v7, v39, v41 :: v_dual_mul_f32 v15, v162, v95
	v_dual_mul_f32 v17, v164, v97 :: v_dual_mul_f32 v47, v163, v95
	s_wait_loadcnt_dscnt 0x903
	v_dual_mul_f32 v49, v165, v97 :: v_dual_mul_f32 v39, v175, v103
	v_fmac_f32_e32 v13, v161, v92
	v_dual_fma_f32 v41, v160, v92, -v45 :: v_dual_add_f32 v5, v5, v11
	v_dual_add_f32 v7, v7, v43 :: v_dual_mul_f32 v11, v177, v105
	v_fmac_f32_e32 v15, v163, v94
	s_delay_alu instid0(VALU_DEP_3) | instskip(NEXT) | instid1(VALU_DEP_3)
	v_dual_fma_f32 v43, v162, v94, -v47 :: v_dual_add_f32 v5, v5, v13
	v_dual_add_f32 v7, v7, v41 :: v_dual_mul_f32 v19, v166, v99
	s_wait_loadcnt_dscnt 0x802
	v_dual_mul_f32 v21, v168, v101 :: v_dual_mul_f32 v13, v179, v107
	v_fmac_f32_e32 v17, v165, v96
	v_dual_fma_f32 v41, v164, v96, -v49 :: v_dual_add_f32 v5, v5, v15
	v_dual_add_f32 v7, v7, v43 :: v_dual_mul_f32 v15, v181, v109
	v_fmac_f32_e32 v19, v167, v98
	s_delay_alu instid0(VALU_DEP_3) | instskip(NEXT) | instid1(VALU_DEP_3)
	v_dual_fma_f32 v43, v166, v98, -v51 :: v_dual_add_f32 v5, v5, v17
	v_dual_add_f32 v7, v7, v41 :: v_dual_mul_f32 v23, v174, v103
	s_wait_loadcnt_dscnt 0x701
	v_dual_mul_f32 v25, v176, v105 :: v_dual_mul_f32 v17, v183, v111
	v_fmac_f32_e32 v21, v169, v100
	v_dual_fma_f32 v41, v168, v100, -v53 :: v_dual_add_f32 v5, v5, v19
	v_dual_add_f32 v7, v7, v43 :: v_dual_mul_f32 v19, v185, v113
	v_fmac_f32_e32 v23, v175, v102
	s_delay_alu instid0(VALU_DEP_3) | instskip(NEXT) | instid1(VALU_DEP_3)
	v_dual_fma_f32 v39, v174, v102, -v39 :: v_dual_add_f32 v5, v5, v21
	v_dual_add_f32 v7, v7, v41 :: v_dual_mul_f32 v27, v178, v107
	s_wait_loadcnt_dscnt 0x600
	v_dual_mul_f32 v29, v180, v109 :: v_dual_mul_f32 v21, v187, v115
	v_dual_fmac_f32 v25, v177, v104 :: v_dual_fma_f32 v11, v176, v104, -v11
	v_add_f32_e32 v5, v5, v23
	v_dual_add_f32 v7, v7, v39 :: v_dual_mul_f32 v23, v189, v117
	v_dual_fmac_f32 v27, v179, v106 :: v_dual_fma_f32 v13, v178, v106, -v13
	s_delay_alu instid0(VALU_DEP_2) | instskip(SKIP_3) | instid1(VALU_DEP_3)
	v_dual_add_f32 v5, v5, v25 :: v_dual_add_f32 v7, v7, v11
	v_dual_mul_f32 v31, v182, v111 :: v_dual_mul_f32 v33, v184, v113
	s_wait_loadcnt 0x5
	v_dual_mul_f32 v11, v171, v119 :: v_dual_fmac_f32 v29, v181, v108
	v_dual_fma_f32 v15, v180, v108, -v15 :: v_dual_add_f32 v5, v5, v27
	v_dual_add_f32 v7, v7, v13 :: v_dual_fma_f32 v17, v182, v110, -v17
	v_dual_mul_f32 v13, v173, v121 :: v_dual_fmac_f32 v31, v183, v110
	s_delay_alu instid0(VALU_DEP_2) | instskip(SKIP_2) | instid1(VALU_DEP_3)
	v_dual_add_f32 v5, v5, v29 :: v_dual_add_f32 v7, v7, v15
	v_dual_mul_f32 v35, v186, v115 :: v_dual_mul_f32 v37, v188, v117
	v_dual_fmac_f32 v33, v185, v112 :: v_dual_fma_f32 v15, v184, v112, -v19
	v_dual_add_f32 v5, v5, v31 :: v_dual_add_f32 v7, v7, v17
	s_wait_loadcnt 0x4
	s_delay_alu instid0(VALU_DEP_3) | instskip(NEXT) | instid1(VALU_DEP_2)
	v_dual_mov_b32 v88, v125 :: v_dual_fmac_f32 v35, v187, v114
	v_dual_fma_f32 v17, v186, v114, -v21 :: v_dual_add_f32 v5, v5, v33
	s_delay_alu instid0(VALU_DEP_3) | instskip(SKIP_1) | instid1(VALU_DEP_3)
	v_dual_add_f32 v7, v7, v15 :: v_dual_fmac_f32 v37, v189, v116
	v_dual_mul_f32 v201, v170, v119 :: v_dual_mul_f32 v203, v172, v121
	v_dual_fma_f32 v15, v188, v116, -v23 :: v_dual_add_f32 v5, v5, v35
	s_wait_loadcnt 0x3
	s_delay_alu instid0(VALU_DEP_3) | instskip(SKIP_2) | instid1(VALU_DEP_3)
	v_dual_add_f32 v7, v7, v17 :: v_dual_mov_b32 v92, v129
	v_pk_mul_f32 v[86:87], v[138:139], v[122:123] op_sel:[1,1] op_sel_hi:[0,1]
	v_dual_fmac_f32 v201, v171, v118 :: v_dual_fma_f32 v200, v170, v118, -v11
	v_dual_add_f32 v95, v5, v37 :: v_dual_add_f32 v94, v7, v15
	v_dual_fmac_f32 v203, v173, v120 :: v_dual_fma_f32 v202, v172, v120, -v13
	s_delay_alu instid0(VALU_DEP_4) | instskip(SKIP_1) | instid1(VALU_DEP_4)
	v_pk_fma_f32 v[96:97], v[138:139], v[122:123], v[86:87] op_sel_hi:[1,0,1]
	v_pk_mul_f32 v[88:89], v[192:193], v[88:89] op_sel_hi:[1,0]
	v_pk_add_f32 v[94:95], v[94:95], v[200:201]
	v_pk_fma_f32 v[86:87], v[138:139], v[122:123], v[86:87] neg_lo:[0,0,1] neg_hi:[0,0,1]
	v_pk_mul_f32 v[90:91], v[142:143], v[126:127] op_sel:[1,1] op_sel_hi:[0,1]
	v_mov_b32_e32 v87, v97
	v_pk_fma_f32 v[96:97], v[140:141], v[124:125], v[88:89] op_sel_hi:[1,0,1]
	v_pk_add_f32 v[94:95], v[94:95], v[202:203]
	v_pk_fma_f32 v[88:89], v[140:141], v[124:125], v[88:89] neg_lo:[0,0,1] neg_hi:[0,0,1]
	v_pk_fma_f32 v[100:101], v[142:143], v[126:127], v[90:91] op_sel_hi:[1,0,1]
	v_pk_mul_f32 v[92:93], v[194:195], v[92:93] op_sel_hi:[1,0]
	v_mov_b32_e32 v89, v97
	v_pk_add_f32 v[86:87], v[94:95], v[86:87]
	s_wait_loadcnt 0x2
	v_pk_mul_f32 v[98:99], v[146:147], v[130:131] op_sel:[1,1] op_sel_hi:[0,1]
	v_mov_b32_e32 v94, v133
	v_pk_fma_f32 v[90:91], v[142:143], v[126:127], v[90:91] neg_lo:[0,0,1] neg_hi:[0,0,1]
	v_mov_b32_e32 v91, v101
	v_pk_fma_f32 v[96:97], v[144:145], v[128:129], v[92:93] op_sel_hi:[1,0,1]
	v_pk_add_f32 v[86:87], v[86:87], v[88:89]
	v_pk_fma_f32 v[88:89], v[146:147], v[130:131], v[98:99] op_sel_hi:[1,0,1]
	v_pk_mul_f32 v[94:95], v[196:197], v[94:95] op_sel_hi:[1,0]
	v_pk_fma_f32 v[92:93], v[144:145], v[128:129], v[92:93] neg_lo:[0,0,1] neg_hi:[0,0,1]
	v_mov_b32_e32 v93, v97
	v_pk_add_f32 v[86:87], v[86:87], v[90:91]
	v_pk_fma_f32 v[96:97], v[146:147], v[130:131], v[98:99] neg_lo:[0,0,1] neg_hi:[0,0,1]
	v_mov_b32_e32 v97, v89
	v_pk_fma_f32 v[88:89], v[148:149], v[132:133], v[94:95] op_sel_hi:[1,0,1]
	s_wait_loadcnt 0x1
	v_pk_mul_f32 v[90:91], v[150:151], v[134:135] op_sel:[1,1] op_sel_hi:[0,1]
	v_pk_add_f32 v[86:87], v[86:87], v[92:93]
	v_mov_b32_e32 v88, v137
	v_pk_fma_f32 v[94:95], v[148:149], v[132:133], v[94:95] neg_lo:[0,0,1] neg_hi:[0,0,1]
	v_mov_b32_e32 v95, v89
	v_pk_fma_f32 v[92:93], v[150:151], v[134:135], v[90:91] op_sel_hi:[1,0,1]
	v_pk_add_f32 v[86:87], v[86:87], v[96:97]
	v_pk_mul_f32 v[88:89], v[198:199], v[88:89] op_sel_hi:[1,0]
	v_pk_fma_f32 v[90:91], v[150:151], v[134:135], v[90:91] neg_lo:[0,0,1] neg_hi:[0,0,1]
	s_delay_alu instid0(VALU_DEP_4) | instskip(NEXT) | instid1(VALU_DEP_4)
	v_mov_b32_e32 v91, v93
	v_pk_add_f32 v[86:87], v[86:87], v[94:95]
	s_delay_alu instid0(VALU_DEP_4) | instskip(SKIP_1) | instid1(VALU_DEP_2)
	v_pk_fma_f32 v[92:93], v[152:153], v[136:137], v[88:89] op_sel_hi:[1,0,1]
	v_pk_fma_f32 v[88:89], v[152:153], v[136:137], v[88:89] neg_lo:[0,0,1] neg_hi:[0,0,1]
	v_mov_b32_e32 v89, v93
	s_delay_alu instid0(VALU_DEP_4) | instskip(NEXT) | instid1(VALU_DEP_1)
	v_pk_add_f32 v[86:87], v[86:87], v[90:91]
	v_pk_add_f32 v[86:87], v[86:87], v[88:89]
	s_wait_loadcnt 0x0
	s_delay_alu instid0(VALU_DEP_1)
	v_pk_add_f32 v[86:87], v[190:191], v[86:87] neg_lo:[0,1] neg_hi:[0,1]
	scratch_store_b64 off, v[86:87], off offset:120
	s_wait_xcnt 0x0
	v_cmpx_lt_u32_e32 14, v0
	s_cbranch_execz .LBB41_237
; %bb.236:
	scratch_load_b64 v[86:87], off, off offset:112
	v_mov_b64_e32 v[88:89], 0
	scratch_store_b64 off, v[88:89], off offset:112
	s_wait_loadcnt 0x0
	ds_store_b64 v1, v[86:87]
.LBB41_237:
	s_wait_xcnt 0x0
	s_or_b32 exec_lo, exec_lo, s0
	s_wait_storecnt_dscnt 0x0
	s_barrier_signal -1
	s_barrier_wait -1
	s_clause 0xe
	scratch_load_b128 v[86:89], off, off offset:120
	scratch_load_b128 v[90:93], off, off offset:136
	;; [unrolled: 1-line block ×13, first 2 shown]
	scratch_load_b64 v[190:191], off, off offset:328
	scratch_load_b64 v[192:193], off, off offset:112
	v_mov_b32_e32 v5, 0
	ds_load_2addr_b64 v[138:141], v5 offset0:75 offset1:76
	ds_load_2addr_b64 v[142:145], v5 offset0:77 offset1:78
	;; [unrolled: 1-line block ×13, first 2 shown]
	ds_load_b64 v[194:195], v5 offset:664
	s_mov_b32 s0, exec_lo
	s_wait_dscnt 0xc
	v_dual_mov_b32 v197, v140 :: v_dual_mov_b32 v198, v145
	s_wait_dscnt 0xb
	v_dual_mov_b32 v199, v144 :: v_dual_mov_b32 v200, v149
	;; [unrolled: 2-line block ×3, first 2 shown]
	v_dual_mov_b32 v201, v148 :: v_dual_mov_b32 v202, v153
	s_wait_loadcnt_dscnt 0xe09
	v_dual_mul_f32 v7, v154, v87 :: v_dual_mul_f32 v11, v156, v89
	s_wait_loadcnt_dscnt 0xd08
	v_mul_f32_e32 v13, v158, v91
	v_dual_mul_f32 v43, v155, v87 :: v_dual_mul_f32 v45, v157, v89
	s_wait_loadcnt_dscnt 0xb05
	v_dual_fmac_f32 v7, v155, v86 :: v_dual_mul_f32 v57, v173, v101
	s_delay_alu instid0(VALU_DEP_2) | instskip(NEXT) | instid1(VALU_DEP_3)
	v_dual_mul_f32 v55, v171, v99 :: v_dual_fma_f32 v43, v154, v86, -v43
	v_dual_fmac_f32 v11, v157, v88 :: v_dual_fma_f32 v45, v156, v88, -v45
	s_delay_alu instid0(VALU_DEP_3) | instskip(SKIP_3) | instid1(VALU_DEP_3)
	v_dual_add_f32 v7, 0, v7 :: v_dual_fmac_f32 v13, v159, v90
	v_dual_mul_f32 v15, v160, v93 :: v_dual_mul_f32 v17, v162, v95
	v_dual_mul_f32 v47, v159, v91 :: v_dual_mul_f32 v49, v161, v93
	v_add_f32_e32 v43, 0, v43
	v_dual_add_f32 v7, v7, v11 :: v_dual_fmac_f32 v15, v161, v92
	v_dual_mul_f32 v51, v163, v95 :: v_dual_mul_f32 v53, v165, v97
	s_delay_alu instid0(VALU_DEP_3) | instskip(NEXT) | instid1(VALU_DEP_3)
	v_dual_fma_f32 v47, v158, v90, -v47 :: v_dual_add_f32 v11, v43, v45
	v_dual_fma_f32 v45, v160, v92, -v49 :: v_dual_add_f32 v7, v7, v13
	v_dual_mul_f32 v19, v164, v97 :: v_dual_mul_f32 v21, v170, v99
	s_delay_alu instid0(VALU_DEP_3) | instskip(SKIP_1) | instid1(VALU_DEP_4)
	v_add_f32_e32 v11, v11, v47
	v_dual_fmac_f32 v17, v163, v94 :: v_dual_fma_f32 v47, v162, v94, -v51
	v_dual_add_f32 v7, v7, v15 :: v_dual_mul_f32 v23, v172, v101
	s_wait_loadcnt_dscnt 0xa04
	v_mul_f32_e32 v25, v174, v103
	s_wait_loadcnt_dscnt 0x903
	v_dual_mul_f32 v13, v179, v107 :: v_dual_fmac_f32 v19, v165, v96
	v_mul_f32_e32 v15, v181, v109
	v_dual_add_f32 v11, v11, v45 :: v_dual_fma_f32 v45, v164, v96, -v53
	v_dual_add_f32 v7, v7, v17 :: v_dual_fmac_f32 v23, v173, v100
	v_dual_mul_f32 v27, v176, v105 :: v_dual_mul_f32 v29, v178, v107
	s_delay_alu instid0(VALU_DEP_3) | instskip(SKIP_1) | instid1(VALU_DEP_3)
	v_add_f32_e32 v11, v11, v47
	v_fmac_f32_e32 v21, v171, v98
	v_dual_add_f32 v7, v7, v19 :: v_dual_fmac_f32 v27, v177, v104
	v_dual_mul_f32 v59, v175, v103 :: v_dual_mul_f32 v43, v177, v105
	s_delay_alu instid0(VALU_DEP_4) | instskip(NEXT) | instid1(VALU_DEP_3)
	v_dual_fma_f32 v47, v170, v98, -v55 :: v_dual_add_f32 v11, v11, v45
	v_dual_add_f32 v7, v7, v21 :: v_dual_fma_f32 v13, v178, v106, -v13
	s_wait_loadcnt_dscnt 0x802
	v_mul_f32_e32 v17, v183, v111
	v_dual_fmac_f32 v25, v175, v102 :: v_dual_fma_f32 v15, v180, v108, -v15
	v_dual_fma_f32 v43, v176, v104, -v43 :: v_dual_add_f32 v11, v11, v47
	v_dual_fma_f32 v47, v174, v102, -v59 :: v_dual_add_f32 v7, v7, v23
	s_delay_alu instid0(VALU_DEP_4) | instskip(SKIP_2) | instid1(VALU_DEP_3)
	v_dual_fma_f32 v17, v182, v110, -v17 :: v_dual_mul_f32 v35, v184, v113
	s_wait_loadcnt_dscnt 0x701
	v_dual_mul_f32 v37, v186, v115 :: v_dual_fma_f32 v45, v172, v100, -v57
	v_add_f32_e32 v7, v7, v25
	s_wait_loadcnt 0x6
	v_dual_mul_f32 v39, v188, v117 :: v_dual_mul_f32 v41, v166, v119
	v_dual_fmac_f32 v35, v185, v112 :: v_dual_mul_f32 v19, v185, v113
	s_delay_alu instid0(VALU_DEP_2)
	v_dual_add_f32 v7, v7, v27 :: v_dual_fmac_f32 v39, v189, v116
	v_mul_f32_e32 v27, v169, v121
	s_wait_loadcnt 0x5
	v_dual_add_f32 v11, v11, v45 :: v_dual_mov_b32 v86, v125
	v_mul_f32_e32 v23, v189, v117
	v_dual_mul_f32 v205, v168, v121 :: v_dual_mul_f32 v207, v138, v123
	s_delay_alu instid0(VALU_DEP_3) | instskip(SKIP_3) | instid1(VALU_DEP_3)
	v_add_f32_e32 v11, v11, v47
	s_wait_loadcnt 0x4
	v_pk_mul_f32 v[88:89], v[142:143], v[126:127] op_sel:[1,1] op_sel_hi:[0,1]
	v_dual_mul_f32 v31, v180, v109 :: v_dual_mul_f32 v33, v182, v111
	v_dual_fmac_f32 v205, v169, v120 :: v_dual_add_f32 v11, v11, v43
	s_delay_alu instid0(VALU_DEP_3) | instskip(SKIP_1) | instid1(VALU_DEP_4)
	v_pk_fma_f32 v[100:101], v[142:143], v[126:127], v[88:89] op_sel_hi:[1,0,1]
	v_pk_fma_f32 v[88:89], v[142:143], v[126:127], v[88:89] neg_lo:[0,0,1] neg_hi:[0,0,1]
	v_dual_mul_f32 v21, v187, v115 :: v_dual_fmac_f32 v31, v181, v108
	s_delay_alu instid0(VALU_DEP_4) | instskip(SKIP_2) | instid1(VALU_DEP_3)
	v_add_f32_e32 v11, v11, v13
	v_dual_fmac_f32 v29, v179, v106 :: v_dual_mov_b32 v90, v129
	v_dual_mov_b32 v89, v101 :: v_dual_mul_f32 v25, v167, v119
	v_dual_add_f32 v11, v11, v15 :: v_dual_fma_f32 v15, v184, v112, -v19
	s_delay_alu instid0(VALU_DEP_3) | instskip(SKIP_1) | instid1(VALU_DEP_3)
	v_add_f32_e32 v7, v7, v29
	v_dual_mul_f32 v13, v139, v123 :: v_dual_fma_f32 v204, v168, v120, -v27
	v_dual_add_f32 v11, v11, v17 :: v_dual_fma_f32 v17, v186, v114, -v21
	s_wait_loadcnt 0x3
	v_dual_fmac_f32 v33, v183, v110 :: v_dual_mov_b32 v96, v133
	v_pk_mul_f32 v[90:91], v[198:199], v[90:91] op_sel_hi:[1,0]
	s_delay_alu instid0(VALU_DEP_3) | instskip(SKIP_1) | instid1(VALU_DEP_3)
	v_dual_add_f32 v11, v11, v15 :: v_dual_fma_f32 v206, v138, v122, -v13
	v_dual_fmac_f32 v37, v187, v114 :: v_dual_fma_f32 v15, v188, v116, -v23
	v_pk_fma_f32 v[100:101], v[144:145], v[128:129], v[90:91] op_sel_hi:[1,0,1]
	s_delay_alu instid0(VALU_DEP_3) | instskip(SKIP_2) | instid1(VALU_DEP_4)
	v_dual_add_f32 v11, v11, v17 :: v_dual_fma_f32 v17, v166, v118, -v25
	v_add_f32_e32 v7, v7, v31
	v_pk_fma_f32 v[90:91], v[144:145], v[128:129], v[90:91] neg_lo:[0,0,1] neg_hi:[0,0,1]
	v_dual_mov_b32 v91, v101 :: v_dual_fmac_f32 v41, v167, v118
	s_delay_alu instid0(VALU_DEP_4) | instskip(NEXT) | instid1(VALU_DEP_4)
	v_add_f32_e32 v11, v11, v15
	v_add_f32_e32 v7, v7, v33
	v_pk_mul_f32 v[86:87], v[196:197], v[86:87] op_sel_hi:[1,0]
	v_fmac_f32_e32 v207, v139, v122
	v_pk_mul_f32 v[92:93], v[146:147], v[130:131] op_sel:[1,1] op_sel_hi:[0,1]
	v_add_f32_e32 v94, v11, v17
	v_add_f32_e32 v7, v7, v35
	v_pk_fma_f32 v[98:99], v[140:141], v[124:125], v[86:87] op_sel_hi:[1,0,1]
	v_pk_fma_f32 v[86:87], v[140:141], v[124:125], v[86:87] neg_lo:[0,0,1] neg_hi:[0,0,1]
	v_pk_mul_f32 v[96:97], v[200:201], v[96:97] op_sel_hi:[1,0]
	s_delay_alu instid0(VALU_DEP_4) | instskip(NEXT) | instid1(VALU_DEP_4)
	v_add_f32_e32 v7, v7, v37
	v_mov_b32_e32 v87, v99
	s_wait_loadcnt 0x2
	v_pk_mul_f32 v[98:99], v[150:151], v[134:135] op_sel:[1,1] op_sel_hi:[0,1]
	s_delay_alu instid0(VALU_DEP_3) | instskip(NEXT) | instid1(VALU_DEP_1)
	v_add_f32_e32 v7, v7, v39
	v_add_f32_e32 v95, v7, v41
	s_delay_alu instid0(VALU_DEP_1) | instskip(NEXT) | instid1(VALU_DEP_1)
	v_pk_add_f32 v[94:95], v[94:95], v[204:205]
	v_pk_add_f32 v[94:95], v[94:95], v[206:207]
	s_delay_alu instid0(VALU_DEP_1) | instskip(SKIP_2) | instid1(VALU_DEP_3)
	v_pk_add_f32 v[86:87], v[94:95], v[86:87]
	v_pk_fma_f32 v[94:95], v[146:147], v[130:131], v[92:93] op_sel_hi:[1,0,1]
	v_pk_fma_f32 v[92:93], v[146:147], v[130:131], v[92:93] neg_lo:[0,0,1] neg_hi:[0,0,1]
	v_pk_add_f32 v[86:87], v[86:87], v[88:89]
	s_delay_alu instid0(VALU_DEP_3) | instskip(SKIP_2) | instid1(VALU_DEP_4)
	v_dual_mov_b32 v88, v137 :: v_dual_mov_b32 v93, v95
	v_pk_fma_f32 v[94:95], v[148:149], v[132:133], v[96:97] op_sel_hi:[1,0,1]
	v_pk_fma_f32 v[96:97], v[148:149], v[132:133], v[96:97] neg_lo:[0,0,1] neg_hi:[0,0,1]
	v_pk_add_f32 v[86:87], v[86:87], v[90:91]
	v_pk_fma_f32 v[90:91], v[150:151], v[134:135], v[98:99] op_sel_hi:[1,0,1]
	v_pk_mul_f32 v[88:89], v[202:203], v[88:89] op_sel_hi:[1,0]
	v_mov_b32_e32 v97, v95
	s_wait_loadcnt_dscnt 0x100
	v_pk_mul_f32 v[94:95], v[194:195], v[190:191] op_sel:[1,1] op_sel_hi:[0,1]
	v_pk_add_f32 v[86:87], v[86:87], v[92:93]
	v_pk_fma_f32 v[92:93], v[150:151], v[134:135], v[98:99] neg_lo:[0,0,1] neg_hi:[0,0,1]
	v_mov_b32_e32 v93, v91
	v_pk_fma_f32 v[90:91], v[152:153], v[136:137], v[88:89] op_sel_hi:[1,0,1]
	v_pk_fma_f32 v[88:89], v[152:153], v[136:137], v[88:89] neg_lo:[0,0,1] neg_hi:[0,0,1]
	v_pk_add_f32 v[86:87], v[86:87], v[96:97]
	s_delay_alu instid0(VALU_DEP_3) | instskip(SKIP_1) | instid1(VALU_DEP_3)
	v_mov_b32_e32 v89, v91
	v_pk_fma_f32 v[90:91], v[194:195], v[190:191], v[94:95] op_sel_hi:[1,0,1]
	v_pk_add_f32 v[86:87], v[86:87], v[92:93]
	v_pk_fma_f32 v[92:93], v[194:195], v[190:191], v[94:95] neg_lo:[0,0,1] neg_hi:[0,0,1]
	s_delay_alu instid0(VALU_DEP_3) | instskip(NEXT) | instid1(VALU_DEP_3)
	v_mov_b32_e32 v93, v91
	v_pk_add_f32 v[86:87], v[86:87], v[88:89]
	s_delay_alu instid0(VALU_DEP_1) | instskip(SKIP_1) | instid1(VALU_DEP_1)
	v_pk_add_f32 v[86:87], v[86:87], v[92:93]
	s_wait_loadcnt 0x0
	v_pk_add_f32 v[86:87], v[192:193], v[86:87] neg_lo:[0,1] neg_hi:[0,1]
	scratch_store_b64 off, v[86:87], off offset:112
	s_wait_xcnt 0x0
	v_cmpx_lt_u32_e32 13, v0
	s_cbranch_execz .LBB41_239
; %bb.238:
	scratch_load_b64 v[86:87], off, off offset:104
	v_mov_b64_e32 v[88:89], 0
	scratch_store_b64 off, v[88:89], off offset:104
	s_wait_loadcnt 0x0
	ds_store_b64 v1, v[86:87]
.LBB41_239:
	s_wait_xcnt 0x0
	s_or_b32 exec_lo, exec_lo, s0
	s_wait_storecnt_dscnt 0x0
	s_barrier_signal -1
	s_barrier_wait -1
	s_clause 0xe
	scratch_load_b128 v[86:89], off, off offset:112
	scratch_load_b128 v[90:93], off, off offset:128
	;; [unrolled: 1-line block ×14, first 2 shown]
	scratch_load_b64 v[198:199], off, off offset:104
	ds_load_b128 v[142:145], v5 offset:608
	ds_load_b128 v[146:149], v5 offset:624
	;; [unrolled: 1-line block ×14, first 2 shown]
	s_mov_b32 s0, exec_lo
	s_wait_dscnt 0xd
	v_dual_mov_b32 v200, v145 :: v_dual_mov_b32 v201, v144
	s_wait_dscnt 0xc
	v_dual_mov_b32 v202, v149 :: v_dual_mov_b32 v203, v148
	;; [unrolled: 2-line block ×4, first 2 shown]
	s_wait_loadcnt_dscnt 0xe09
	v_dual_mul_f32 v5, v158, v87 :: v_dual_mul_f32 v7, v160, v89
	v_dual_mul_f32 v43, v159, v87 :: v_dual_mul_f32 v45, v161, v89
	s_wait_loadcnt_dscnt 0xd08
	v_dual_mul_f32 v11, v162, v91 :: v_dual_mul_f32 v13, v164, v93
	s_delay_alu instid0(VALU_DEP_2) | instskip(SKIP_3) | instid1(VALU_DEP_3)
	v_dual_fmac_f32 v5, v159, v86 :: v_dual_fma_f32 v43, v158, v86, -v43
	v_dual_mul_f32 v47, v163, v91 :: v_dual_mul_f32 v49, v165, v93
	s_wait_loadcnt_dscnt 0xb06
	v_dual_mul_f32 v55, v171, v99 :: v_dual_fmac_f32 v7, v161, v88
	v_dual_fma_f32 v45, v160, v88, -v45 :: v_dual_add_f32 v5, 0, v5
	v_dual_add_f32 v43, 0, v43 :: v_dual_mul_f32 v57, v173, v101
	v_fmac_f32_e32 v11, v163, v90
	s_delay_alu instid0(VALU_DEP_3) | instskip(NEXT) | instid1(VALU_DEP_3)
	v_dual_fma_f32 v47, v162, v90, -v47 :: v_dual_add_f32 v5, v5, v7
	v_dual_add_f32 v7, v43, v45 :: v_dual_mul_f32 v15, v166, v95
	v_dual_mul_f32 v17, v168, v97 :: v_dual_mul_f32 v51, v167, v95
	s_wait_loadcnt_dscnt 0xa05
	v_dual_mul_f32 v53, v169, v97 :: v_dual_mul_f32 v43, v175, v103
	v_fmac_f32_e32 v13, v165, v92
	v_dual_fma_f32 v45, v164, v92, -v49 :: v_dual_add_f32 v5, v5, v11
	v_dual_add_f32 v7, v7, v47 :: v_dual_mul_f32 v11, v177, v105
	v_fmac_f32_e32 v15, v167, v94
	s_delay_alu instid0(VALU_DEP_3) | instskip(NEXT) | instid1(VALU_DEP_3)
	v_dual_fma_f32 v47, v166, v94, -v51 :: v_dual_add_f32 v5, v5, v13
	v_dual_add_f32 v7, v7, v45 :: v_dual_mul_f32 v19, v170, v99
	s_wait_loadcnt_dscnt 0x904
	v_dual_mul_f32 v21, v172, v101 :: v_dual_mul_f32 v13, v179, v107
	v_fmac_f32_e32 v17, v169, v96
	v_dual_fma_f32 v45, v168, v96, -v53 :: v_dual_add_f32 v5, v5, v15
	v_dual_add_f32 v7, v7, v47 :: v_dual_mul_f32 v15, v181, v109
	v_fmac_f32_e32 v19, v171, v98
	s_delay_alu instid0(VALU_DEP_3) | instskip(NEXT) | instid1(VALU_DEP_3)
	v_dual_fma_f32 v47, v170, v98, -v55 :: v_dual_add_f32 v5, v5, v17
	v_dual_add_f32 v7, v7, v45 :: v_dual_mul_f32 v23, v174, v103
	;; [unrolled: 9-line block ×3, first 2 shown]
	s_wait_loadcnt_dscnt 0x702
	v_dual_mul_f32 v29, v180, v109 :: v_dual_mul_f32 v21, v187, v115
	v_dual_fmac_f32 v25, v177, v104 :: v_dual_fma_f32 v11, v176, v104, -v11
	v_add_f32_e32 v5, v5, v23
	v_dual_add_f32 v7, v7, v43 :: v_dual_mul_f32 v23, v189, v117
	v_dual_fmac_f32 v27, v179, v106 :: v_dual_fma_f32 v13, v178, v106, -v13
	s_delay_alu instid0(VALU_DEP_2) | instskip(SKIP_3) | instid1(VALU_DEP_3)
	v_dual_add_f32 v5, v5, v25 :: v_dual_add_f32 v7, v7, v11
	v_dual_mul_f32 v31, v182, v111 :: v_dual_mul_f32 v33, v184, v113
	s_wait_loadcnt_dscnt 0x601
	v_dual_mul_f32 v11, v191, v119 :: v_dual_fmac_f32 v29, v181, v108
	v_dual_fma_f32 v15, v180, v108, -v15 :: v_dual_add_f32 v5, v5, v27
	v_dual_add_f32 v7, v7, v13 :: v_dual_fma_f32 v17, v182, v110, -v17
	v_dual_mul_f32 v13, v193, v121 :: v_dual_fmac_f32 v31, v183, v110
	s_delay_alu instid0(VALU_DEP_2) | instskip(SKIP_3) | instid1(VALU_DEP_3)
	v_dual_add_f32 v5, v5, v29 :: v_dual_add_f32 v7, v7, v15
	v_dual_mul_f32 v35, v186, v115 :: v_dual_mul_f32 v37, v188, v117
	s_wait_loadcnt_dscnt 0x500
	v_dual_mul_f32 v15, v195, v123 :: v_dual_fmac_f32 v33, v185, v112
	v_dual_fma_f32 v19, v184, v112, -v19 :: v_dual_add_f32 v5, v5, v31
	v_dual_add_f32 v7, v7, v17 :: v_dual_fma_f32 v21, v186, v114, -v21
	v_dual_mul_f32 v17, v197, v125 :: v_dual_fmac_f32 v35, v187, v114
	s_delay_alu instid0(VALU_DEP_2) | instskip(SKIP_2) | instid1(VALU_DEP_3)
	v_dual_add_f32 v5, v5, v33 :: v_dual_add_f32 v7, v7, v19
	v_dual_mul_f32 v39, v190, v119 :: v_dual_mul_f32 v41, v192, v121
	v_dual_fmac_f32 v37, v189, v116 :: v_dual_fma_f32 v19, v188, v116, -v23
	v_dual_add_f32 v5, v5, v35 :: v_dual_add_f32 v7, v7, v21
	s_wait_loadcnt 0x4
	s_delay_alu instid0(VALU_DEP_3) | instskip(NEXT) | instid1(VALU_DEP_2)
	v_dual_mov_b32 v88, v129 :: v_dual_fmac_f32 v39, v191, v118
	v_dual_fma_f32 v11, v190, v118, -v11 :: v_dual_add_f32 v5, v5, v37
	s_delay_alu instid0(VALU_DEP_3) | instskip(SKIP_1) | instid1(VALU_DEP_3)
	v_dual_add_f32 v7, v7, v19 :: v_dual_fmac_f32 v41, v193, v120
	v_dual_mul_f32 v209, v194, v123 :: v_dual_mul_f32 v211, v196, v125
	v_dual_fma_f32 v13, v192, v120, -v13 :: v_dual_add_f32 v5, v5, v39
	s_wait_loadcnt 0x3
	s_delay_alu instid0(VALU_DEP_3) | instskip(SKIP_3) | instid1(VALU_DEP_4)
	v_dual_add_f32 v7, v7, v11 :: v_dual_mov_b32 v92, v133
	v_pk_mul_f32 v[86:87], v[142:143], v[126:127] op_sel:[1,1] op_sel_hi:[0,1]
	v_dual_fmac_f32 v209, v195, v122 :: v_dual_fma_f32 v208, v194, v122, -v15
	v_dual_add_f32 v95, v5, v41 :: v_dual_fma_f32 v210, v196, v124, -v17
	v_dual_add_f32 v94, v7, v13 :: v_dual_fmac_f32 v211, v197, v124
	s_delay_alu instid0(VALU_DEP_4) | instskip(SKIP_2) | instid1(VALU_DEP_4)
	v_pk_fma_f32 v[96:97], v[142:143], v[126:127], v[86:87] op_sel_hi:[1,0,1]
	v_pk_mul_f32 v[88:89], v[200:201], v[88:89] op_sel_hi:[1,0]
	v_pk_fma_f32 v[86:87], v[142:143], v[126:127], v[86:87] neg_lo:[0,0,1] neg_hi:[0,0,1]
	v_pk_add_f32 v[94:95], v[94:95], v[208:209]
	v_pk_mul_f32 v[90:91], v[146:147], v[130:131] op_sel:[1,1] op_sel_hi:[0,1]
	v_mov_b32_e32 v87, v97
	v_pk_fma_f32 v[96:97], v[144:145], v[128:129], v[88:89] op_sel_hi:[1,0,1]
	v_pk_fma_f32 v[88:89], v[144:145], v[128:129], v[88:89] neg_lo:[0,0,1] neg_hi:[0,0,1]
	v_pk_add_f32 v[94:95], v[94:95], v[210:211]
	v_pk_fma_f32 v[100:101], v[146:147], v[130:131], v[90:91] op_sel_hi:[1,0,1]
	v_pk_mul_f32 v[92:93], v[202:203], v[92:93] op_sel_hi:[1,0]
	v_mov_b32_e32 v89, v97
	s_wait_loadcnt 0x2
	v_pk_mul_f32 v[98:99], v[150:151], v[134:135] op_sel:[1,1] op_sel_hi:[0,1]
	v_pk_add_f32 v[86:87], v[94:95], v[86:87]
	v_mov_b32_e32 v94, v137
	v_pk_fma_f32 v[90:91], v[146:147], v[130:131], v[90:91] neg_lo:[0,0,1] neg_hi:[0,0,1]
	v_mov_b32_e32 v91, v101
	v_pk_fma_f32 v[96:97], v[148:149], v[132:133], v[92:93] op_sel_hi:[1,0,1]
	v_pk_add_f32 v[86:87], v[86:87], v[88:89]
	v_pk_fma_f32 v[88:89], v[150:151], v[134:135], v[98:99] op_sel_hi:[1,0,1]
	v_pk_mul_f32 v[94:95], v[204:205], v[94:95] op_sel_hi:[1,0]
	v_pk_fma_f32 v[92:93], v[148:149], v[132:133], v[92:93] neg_lo:[0,0,1] neg_hi:[0,0,1]
	v_mov_b32_e32 v93, v97
	v_pk_add_f32 v[86:87], v[86:87], v[90:91]
	v_pk_fma_f32 v[96:97], v[150:151], v[134:135], v[98:99] neg_lo:[0,0,1] neg_hi:[0,0,1]
	v_mov_b32_e32 v97, v89
	v_pk_fma_f32 v[88:89], v[152:153], v[136:137], v[94:95] op_sel_hi:[1,0,1]
	s_wait_loadcnt 0x1
	v_pk_mul_f32 v[90:91], v[154:155], v[138:139] op_sel:[1,1] op_sel_hi:[0,1]
	v_pk_add_f32 v[86:87], v[86:87], v[92:93]
	v_mov_b32_e32 v88, v141
	v_pk_fma_f32 v[94:95], v[152:153], v[136:137], v[94:95] neg_lo:[0,0,1] neg_hi:[0,0,1]
	v_mov_b32_e32 v95, v89
	v_pk_fma_f32 v[92:93], v[154:155], v[138:139], v[90:91] op_sel_hi:[1,0,1]
	v_pk_add_f32 v[86:87], v[86:87], v[96:97]
	v_pk_mul_f32 v[88:89], v[206:207], v[88:89] op_sel_hi:[1,0]
	v_pk_fma_f32 v[90:91], v[154:155], v[138:139], v[90:91] neg_lo:[0,0,1] neg_hi:[0,0,1]
	s_delay_alu instid0(VALU_DEP_4) | instskip(NEXT) | instid1(VALU_DEP_4)
	v_mov_b32_e32 v91, v93
	v_pk_add_f32 v[86:87], v[86:87], v[94:95]
	s_delay_alu instid0(VALU_DEP_4) | instskip(SKIP_1) | instid1(VALU_DEP_2)
	v_pk_fma_f32 v[92:93], v[156:157], v[140:141], v[88:89] op_sel_hi:[1,0,1]
	v_pk_fma_f32 v[88:89], v[156:157], v[140:141], v[88:89] neg_lo:[0,0,1] neg_hi:[0,0,1]
	v_mov_b32_e32 v89, v93
	s_delay_alu instid0(VALU_DEP_4) | instskip(NEXT) | instid1(VALU_DEP_1)
	v_pk_add_f32 v[86:87], v[86:87], v[90:91]
	v_pk_add_f32 v[86:87], v[86:87], v[88:89]
	s_wait_loadcnt 0x0
	s_delay_alu instid0(VALU_DEP_1)
	v_pk_add_f32 v[86:87], v[198:199], v[86:87] neg_lo:[0,1] neg_hi:[0,1]
	scratch_store_b64 off, v[86:87], off offset:104
	s_wait_xcnt 0x0
	v_cmpx_lt_u32_e32 12, v0
	s_cbranch_execz .LBB41_241
; %bb.240:
	scratch_load_b64 v[86:87], off, off offset:96
	v_mov_b64_e32 v[88:89], 0
	scratch_store_b64 off, v[88:89], off offset:96
	s_wait_loadcnt 0x0
	ds_store_b64 v1, v[86:87]
.LBB41_241:
	s_wait_xcnt 0x0
	s_or_b32 exec_lo, exec_lo, s0
	s_wait_storecnt_dscnt 0x0
	s_barrier_signal -1
	s_barrier_wait -1
	s_clause 0xf
	scratch_load_b128 v[86:89], off, off offset:104
	scratch_load_b128 v[90:93], off, off offset:120
	;; [unrolled: 1-line block ×14, first 2 shown]
	scratch_load_b64 v[198:199], off, off offset:328
	scratch_load_b64 v[200:201], off, off offset:96
	v_mov_b32_e32 v5, 0
	ds_load_2addr_b64 v[142:145], v5 offset0:75 offset1:76
	ds_load_2addr_b64 v[146:149], v5 offset0:77 offset1:78
	;; [unrolled: 1-line block ×14, first 2 shown]
	ds_load_b64 v[202:203], v5 offset:664
	s_mov_b32 s0, exec_lo
	s_wait_dscnt 0xd
	v_dual_mov_b32 v205, v144 :: v_dual_mov_b32 v206, v149
	s_wait_dscnt 0xc
	v_dual_mov_b32 v207, v148 :: v_dual_mov_b32 v208, v153
	;; [unrolled: 2-line block ×3, first 2 shown]
	v_dual_mov_b32 v209, v152 :: v_dual_mov_b32 v210, v157
	s_wait_loadcnt_dscnt 0xf0a
	v_dual_mul_f32 v7, v158, v87 :: v_dual_mul_f32 v11, v160, v89
	s_wait_loadcnt_dscnt 0xe09
	v_mul_f32_e32 v13, v162, v91
	v_dual_mul_f32 v47, v159, v87 :: v_dual_mul_f32 v49, v161, v89
	s_wait_loadcnt_dscnt 0xc07
	v_dual_fmac_f32 v7, v159, v86 :: v_dual_mul_f32 v61, v173, v101
	s_delay_alu instid0(VALU_DEP_2) | instskip(NEXT) | instid1(VALU_DEP_3)
	v_dual_mul_f32 v59, v171, v99 :: v_dual_fma_f32 v47, v158, v86, -v47
	v_dual_fmac_f32 v11, v161, v88 :: v_dual_fma_f32 v49, v160, v88, -v49
	s_delay_alu instid0(VALU_DEP_3) | instskip(SKIP_3) | instid1(VALU_DEP_3)
	v_dual_add_f32 v7, 0, v7 :: v_dual_fmac_f32 v13, v163, v90
	v_dual_mul_f32 v15, v164, v93 :: v_dual_mul_f32 v17, v166, v95
	v_dual_mul_f32 v51, v163, v91 :: v_dual_mul_f32 v53, v165, v93
	v_add_f32_e32 v47, 0, v47
	v_dual_add_f32 v7, v7, v11 :: v_dual_fmac_f32 v15, v165, v92
	v_dual_mul_f32 v55, v167, v95 :: v_dual_mul_f32 v57, v169, v97
	s_delay_alu instid0(VALU_DEP_3) | instskip(NEXT) | instid1(VALU_DEP_3)
	v_dual_fma_f32 v51, v162, v90, -v51 :: v_dual_add_f32 v11, v47, v49
	v_dual_fma_f32 v49, v164, v92, -v53 :: v_dual_add_f32 v7, v7, v13
	v_dual_mul_f32 v19, v168, v97 :: v_dual_mul_f32 v21, v170, v99
	s_delay_alu instid0(VALU_DEP_3) | instskip(SKIP_1) | instid1(VALU_DEP_4)
	v_add_f32_e32 v11, v11, v51
	v_dual_fmac_f32 v17, v167, v94 :: v_dual_fma_f32 v51, v166, v94, -v55
	v_dual_add_f32 v7, v7, v15 :: v_dual_mul_f32 v23, v172, v101
	s_wait_loadcnt_dscnt 0xb06
	v_mul_f32_e32 v25, v174, v103
	s_wait_loadcnt_dscnt 0xa05
	v_dual_mul_f32 v13, v179, v107 :: v_dual_fmac_f32 v19, v169, v96
	v_mul_f32_e32 v15, v181, v109
	v_dual_add_f32 v11, v11, v49 :: v_dual_fma_f32 v49, v168, v96, -v57
	v_dual_add_f32 v7, v7, v17 :: v_dual_fmac_f32 v23, v173, v100
	v_dual_mul_f32 v27, v176, v105 :: v_dual_mul_f32 v29, v178, v107
	s_delay_alu instid0(VALU_DEP_3) | instskip(SKIP_1) | instid1(VALU_DEP_3)
	v_add_f32_e32 v11, v11, v51
	v_fmac_f32_e32 v21, v171, v98
	v_dual_add_f32 v7, v7, v19 :: v_dual_fmac_f32 v27, v177, v104
	v_dual_mul_f32 v63, v175, v103 :: v_dual_mul_f32 v47, v177, v105
	s_delay_alu instid0(VALU_DEP_4) | instskip(NEXT) | instid1(VALU_DEP_3)
	v_dual_fma_f32 v51, v170, v98, -v59 :: v_dual_add_f32 v11, v11, v49
	v_dual_add_f32 v7, v7, v21 :: v_dual_fma_f32 v13, v178, v106, -v13
	s_wait_loadcnt_dscnt 0x904
	v_mul_f32_e32 v17, v183, v111
	v_dual_fmac_f32 v25, v175, v102 :: v_dual_fma_f32 v15, v180, v108, -v15
	v_dual_fma_f32 v47, v176, v104, -v47 :: v_dual_add_f32 v11, v11, v51
	v_dual_fma_f32 v51, v174, v102, -v63 :: v_dual_add_f32 v7, v7, v23
	s_delay_alu instid0(VALU_DEP_4) | instskip(SKIP_3) | instid1(VALU_DEP_3)
	v_dual_fma_f32 v17, v182, v110, -v17 :: v_dual_mul_f32 v19, v185, v113
	v_fma_f32 v49, v172, v100, -v61
	s_wait_loadcnt_dscnt 0x803
	v_dual_mul_f32 v35, v184, v113 :: v_dual_mul_f32 v37, v186, v115
	v_dual_add_f32 v7, v7, v25 :: v_dual_fma_f32 v19, v184, v112, -v19
	s_wait_loadcnt_dscnt 0x702
	v_dual_mul_f32 v39, v188, v117 :: v_dual_mul_f32 v41, v190, v119
	s_delay_alu instid0(VALU_DEP_2)
	v_dual_fmac_f32 v35, v185, v112 :: v_dual_add_f32 v7, v7, v27
	v_mul_f32_e32 v27, v193, v121
	v_add_f32_e32 v11, v11, v49
	v_mul_f32_e32 v23, v189, v117
	s_wait_loadcnt_dscnt 0x501
	v_dual_mul_f32 v213, v196, v125 :: v_dual_mul_f32 v215, v142, v127
	s_wait_loadcnt 0x4
	v_pk_mul_f32 v[88:89], v[146:147], v[130:131] op_sel:[1,1] op_sel_hi:[0,1]
	v_dual_add_f32 v11, v11, v51 :: v_dual_mov_b32 v90, v133
	v_dual_mul_f32 v31, v180, v109 :: v_dual_mul_f32 v33, v182, v111
	v_mul_f32_e32 v21, v187, v115
	s_delay_alu instid0(VALU_DEP_3) | instskip(SKIP_3) | instid1(VALU_DEP_4)
	v_add_f32_e32 v11, v11, v47
	v_dual_fmac_f32 v29, v179, v106 :: v_dual_mov_b32 v86, v129
	v_fmac_f32_e32 v213, v197, v124
	v_pk_fma_f32 v[100:101], v[146:147], v[130:131], v[88:89] op_sel_hi:[1,0,1]
	v_add_f32_e32 v11, v11, v13
	v_pk_mul_f32 v[90:91], v[206:207], v[90:91] op_sel_hi:[1,0]
	v_pk_fma_f32 v[88:89], v[146:147], v[130:131], v[88:89] neg_lo:[0,0,1] neg_hi:[0,0,1]
	v_dual_mul_f32 v43, v192, v121 :: v_dual_mul_f32 v45, v194, v123
	s_delay_alu instid0(VALU_DEP_4) | instskip(SKIP_3) | instid1(VALU_DEP_3)
	v_dual_add_f32 v11, v11, v15 :: v_dual_fmac_f32 v31, v181, v108
	v_dual_mul_f32 v25, v191, v119 :: v_dual_fma_f32 v21, v186, v114, -v21
	v_dual_fmac_f32 v37, v187, v114 :: v_dual_mov_b32 v89, v101
	s_wait_loadcnt 0x3
	v_dual_add_f32 v11, v11, v17 :: v_dual_mov_b32 v96, v137
	v_dual_fmac_f32 v39, v189, v116 :: v_dual_add_f32 v7, v7, v29
	v_pk_fma_f32 v[100:101], v[148:149], v[132:133], v[90:91] op_sel_hi:[1,0,1]
	s_delay_alu instid0(VALU_DEP_3) | instskip(SKIP_3) | instid1(VALU_DEP_4)
	v_add_f32_e32 v11, v11, v19
	v_pk_fma_f32 v[90:91], v[148:149], v[132:133], v[90:91] neg_lo:[0,0,1] neg_hi:[0,0,1]
	v_dual_mul_f32 v13, v195, v123 :: v_dual_fmac_f32 v43, v193, v120
	v_dual_fmac_f32 v33, v183, v110 :: v_dual_fma_f32 v19, v188, v116, -v23
	v_dual_mov_b32 v91, v101 :: v_dual_add_f32 v11, v11, v21
	v_dual_fma_f32 v21, v190, v118, -v25 :: v_dual_add_f32 v7, v7, v31
	s_delay_alu instid0(VALU_DEP_4) | instskip(NEXT) | instid1(VALU_DEP_3)
	v_dual_fma_f32 v13, v194, v122, -v13 :: v_dual_mul_f32 v15, v197, v125
	v_dual_add_f32 v11, v11, v19 :: v_dual_fma_f32 v19, v192, v120, -v27
	s_delay_alu instid0(VALU_DEP_3) | instskip(SKIP_1) | instid1(VALU_DEP_4)
	v_add_f32_e32 v7, v7, v33
	v_dual_mul_f32 v17, v143, v127 :: v_dual_fmac_f32 v215, v143, v126
	v_dual_fma_f32 v212, v196, v124, -v15 :: v_dual_fmac_f32 v41, v191, v118
	s_delay_alu instid0(VALU_DEP_2) | instskip(SKIP_3) | instid1(VALU_DEP_4)
	v_dual_add_f32 v7, v7, v35 :: v_dual_fma_f32 v214, v142, v126, -v17
	v_add_f32_e32 v11, v11, v21
	v_fmac_f32_e32 v45, v195, v122
	v_pk_mul_f32 v[86:87], v[204:205], v[86:87] op_sel_hi:[1,0]
	v_add_f32_e32 v7, v7, v37
	v_pk_mul_f32 v[92:93], v[150:151], v[134:135] op_sel:[1,1] op_sel_hi:[0,1]
	v_add_f32_e32 v11, v11, v19
	v_pk_mul_f32 v[96:97], v[208:209], v[96:97] op_sel_hi:[1,0]
	v_pk_fma_f32 v[98:99], v[144:145], v[128:129], v[86:87] op_sel_hi:[1,0,1]
	v_add_f32_e32 v7, v7, v39
	v_pk_fma_f32 v[86:87], v[144:145], v[128:129], v[86:87] neg_lo:[0,0,1] neg_hi:[0,0,1]
	v_add_f32_e32 v94, v11, v13
	s_delay_alu instid0(VALU_DEP_4) | instskip(NEXT) | instid1(VALU_DEP_4)
	v_mov_b32_e32 v87, v99
	v_add_f32_e32 v7, v7, v41
	s_wait_loadcnt 0x2
	v_pk_mul_f32 v[98:99], v[154:155], v[138:139] op_sel:[1,1] op_sel_hi:[0,1]
	s_delay_alu instid0(VALU_DEP_2) | instskip(NEXT) | instid1(VALU_DEP_1)
	v_add_f32_e32 v7, v7, v43
	v_add_f32_e32 v95, v7, v45
	s_delay_alu instid0(VALU_DEP_1) | instskip(NEXT) | instid1(VALU_DEP_1)
	v_pk_add_f32 v[94:95], v[94:95], v[212:213]
	v_pk_add_f32 v[94:95], v[94:95], v[214:215]
	s_delay_alu instid0(VALU_DEP_1) | instskip(SKIP_2) | instid1(VALU_DEP_3)
	v_pk_add_f32 v[86:87], v[94:95], v[86:87]
	v_pk_fma_f32 v[94:95], v[150:151], v[134:135], v[92:93] op_sel_hi:[1,0,1]
	v_pk_fma_f32 v[92:93], v[150:151], v[134:135], v[92:93] neg_lo:[0,0,1] neg_hi:[0,0,1]
	v_pk_add_f32 v[86:87], v[86:87], v[88:89]
	s_delay_alu instid0(VALU_DEP_3) | instskip(SKIP_2) | instid1(VALU_DEP_4)
	v_dual_mov_b32 v88, v141 :: v_dual_mov_b32 v93, v95
	v_pk_fma_f32 v[94:95], v[152:153], v[136:137], v[96:97] op_sel_hi:[1,0,1]
	v_pk_fma_f32 v[96:97], v[152:153], v[136:137], v[96:97] neg_lo:[0,0,1] neg_hi:[0,0,1]
	v_pk_add_f32 v[86:87], v[86:87], v[90:91]
	v_pk_fma_f32 v[90:91], v[154:155], v[138:139], v[98:99] op_sel_hi:[1,0,1]
	v_pk_mul_f32 v[88:89], v[210:211], v[88:89] op_sel_hi:[1,0]
	v_mov_b32_e32 v97, v95
	s_wait_loadcnt_dscnt 0x100
	v_pk_mul_f32 v[94:95], v[202:203], v[198:199] op_sel:[1,1] op_sel_hi:[0,1]
	v_pk_add_f32 v[86:87], v[86:87], v[92:93]
	v_pk_fma_f32 v[92:93], v[154:155], v[138:139], v[98:99] neg_lo:[0,0,1] neg_hi:[0,0,1]
	v_mov_b32_e32 v93, v91
	v_pk_fma_f32 v[90:91], v[156:157], v[140:141], v[88:89] op_sel_hi:[1,0,1]
	v_pk_fma_f32 v[88:89], v[156:157], v[140:141], v[88:89] neg_lo:[0,0,1] neg_hi:[0,0,1]
	v_pk_add_f32 v[86:87], v[86:87], v[96:97]
	s_delay_alu instid0(VALU_DEP_3) | instskip(SKIP_1) | instid1(VALU_DEP_3)
	v_mov_b32_e32 v89, v91
	v_pk_fma_f32 v[90:91], v[202:203], v[198:199], v[94:95] op_sel_hi:[1,0,1]
	v_pk_add_f32 v[86:87], v[86:87], v[92:93]
	v_pk_fma_f32 v[92:93], v[202:203], v[198:199], v[94:95] neg_lo:[0,0,1] neg_hi:[0,0,1]
	s_delay_alu instid0(VALU_DEP_3) | instskip(NEXT) | instid1(VALU_DEP_3)
	v_mov_b32_e32 v93, v91
	v_pk_add_f32 v[86:87], v[86:87], v[88:89]
	s_delay_alu instid0(VALU_DEP_1) | instskip(SKIP_1) | instid1(VALU_DEP_1)
	v_pk_add_f32 v[86:87], v[86:87], v[92:93]
	s_wait_loadcnt 0x0
	v_pk_add_f32 v[86:87], v[200:201], v[86:87] neg_lo:[0,1] neg_hi:[0,1]
	scratch_store_b64 off, v[86:87], off offset:96
	s_wait_xcnt 0x0
	v_cmpx_lt_u32_e32 11, v0
	s_cbranch_execz .LBB41_243
; %bb.242:
	scratch_load_b64 v[86:87], off, off offset:88
	v_mov_b64_e32 v[88:89], 0
	scratch_store_b64 off, v[88:89], off offset:88
	s_wait_loadcnt 0x0
	ds_store_b64 v1, v[86:87]
.LBB41_243:
	s_wait_xcnt 0x0
	s_or_b32 exec_lo, exec_lo, s0
	s_wait_storecnt_dscnt 0x0
	s_barrier_signal -1
	s_barrier_wait -1
	s_clause 0xf
	scratch_load_b128 v[86:89], off, off offset:96
	scratch_load_b128 v[90:93], off, off offset:112
	;; [unrolled: 1-line block ×15, first 2 shown]
	scratch_load_b64 v[206:207], off, off offset:88
	ds_load_b128 v[146:149], v5 offset:608
	ds_load_b128 v[150:153], v5 offset:624
	;; [unrolled: 1-line block ×15, first 2 shown]
	s_mov_b32 s0, exec_lo
	s_wait_dscnt 0xe
	v_dual_mov_b32 v208, v149 :: v_dual_mov_b32 v209, v148
	s_wait_dscnt 0xd
	v_dual_mov_b32 v210, v153 :: v_dual_mov_b32 v211, v152
	;; [unrolled: 2-line block ×4, first 2 shown]
	s_wait_loadcnt_dscnt 0xf0a
	v_dual_mul_f32 v5, v162, v87 :: v_dual_mul_f32 v7, v164, v89
	v_dual_mul_f32 v47, v163, v87 :: v_dual_mul_f32 v49, v165, v89
	s_wait_loadcnt_dscnt 0xe09
	v_dual_mul_f32 v11, v166, v91 :: v_dual_mul_f32 v13, v168, v93
	s_delay_alu instid0(VALU_DEP_2) | instskip(SKIP_3) | instid1(VALU_DEP_3)
	v_dual_fmac_f32 v5, v163, v86 :: v_dual_fma_f32 v47, v162, v86, -v47
	v_dual_mul_f32 v51, v167, v91 :: v_dual_mul_f32 v53, v169, v93
	s_wait_loadcnt_dscnt 0xc06
	v_dual_mul_f32 v59, v179, v99 :: v_dual_fmac_f32 v7, v165, v88
	v_dual_fma_f32 v49, v164, v88, -v49 :: v_dual_add_f32 v5, 0, v5
	v_dual_add_f32 v47, 0, v47 :: v_dual_mul_f32 v61, v181, v101
	v_fmac_f32_e32 v11, v167, v90
	s_delay_alu instid0(VALU_DEP_3) | instskip(NEXT) | instid1(VALU_DEP_3)
	v_dual_fma_f32 v51, v166, v90, -v51 :: v_dual_add_f32 v5, v5, v7
	v_dual_add_f32 v7, v47, v49 :: v_dual_mul_f32 v15, v174, v95
	v_dual_mul_f32 v17, v176, v97 :: v_dual_mul_f32 v55, v175, v95
	s_wait_loadcnt_dscnt 0xb05
	v_dual_mul_f32 v57, v177, v97 :: v_dual_mul_f32 v47, v183, v103
	v_fmac_f32_e32 v13, v169, v92
	v_dual_fma_f32 v49, v168, v92, -v53 :: v_dual_add_f32 v5, v5, v11
	v_dual_add_f32 v7, v7, v51 :: v_dual_mul_f32 v11, v185, v105
	v_fmac_f32_e32 v15, v175, v94
	s_delay_alu instid0(VALU_DEP_3) | instskip(NEXT) | instid1(VALU_DEP_3)
	v_dual_fma_f32 v51, v174, v94, -v55 :: v_dual_add_f32 v5, v5, v13
	v_dual_add_f32 v7, v7, v49 :: v_dual_mul_f32 v19, v178, v99
	s_wait_loadcnt_dscnt 0xa04
	v_dual_mul_f32 v21, v180, v101 :: v_dual_mul_f32 v13, v187, v107
	v_fmac_f32_e32 v17, v177, v96
	v_dual_fma_f32 v49, v176, v96, -v57 :: v_dual_add_f32 v5, v5, v15
	v_dual_add_f32 v7, v7, v51 :: v_dual_mul_f32 v15, v189, v109
	v_fmac_f32_e32 v19, v179, v98
	s_delay_alu instid0(VALU_DEP_3) | instskip(NEXT) | instid1(VALU_DEP_3)
	v_dual_fma_f32 v51, v178, v98, -v59 :: v_dual_add_f32 v5, v5, v17
	v_dual_add_f32 v7, v7, v49 :: v_dual_mul_f32 v23, v182, v103
	;; [unrolled: 9-line block ×3, first 2 shown]
	s_wait_loadcnt_dscnt 0x802
	v_dual_mul_f32 v29, v188, v109 :: v_dual_mul_f32 v21, v195, v115
	v_dual_fmac_f32 v25, v185, v104 :: v_dual_fma_f32 v11, v184, v104, -v11
	v_add_f32_e32 v5, v5, v23
	v_dual_add_f32 v7, v7, v47 :: v_dual_mul_f32 v23, v197, v117
	v_dual_fmac_f32 v27, v187, v106 :: v_dual_fma_f32 v13, v186, v106, -v13
	s_delay_alu instid0(VALU_DEP_2) | instskip(SKIP_3) | instid1(VALU_DEP_3)
	v_dual_add_f32 v5, v5, v25 :: v_dual_add_f32 v7, v7, v11
	v_dual_mul_f32 v31, v190, v111 :: v_dual_mul_f32 v33, v192, v113
	s_wait_loadcnt_dscnt 0x701
	v_dual_mul_f32 v11, v199, v119 :: v_dual_fmac_f32 v29, v189, v108
	v_dual_fma_f32 v15, v188, v108, -v15 :: v_dual_add_f32 v5, v5, v27
	v_dual_add_f32 v7, v7, v13 :: v_dual_fma_f32 v17, v190, v110, -v17
	v_dual_mul_f32 v13, v201, v121 :: v_dual_fmac_f32 v31, v191, v110
	s_delay_alu instid0(VALU_DEP_2) | instskip(SKIP_3) | instid1(VALU_DEP_3)
	v_dual_add_f32 v5, v5, v29 :: v_dual_add_f32 v7, v7, v15
	v_dual_mul_f32 v35, v194, v115 :: v_dual_mul_f32 v37, v196, v117
	s_wait_loadcnt_dscnt 0x600
	v_dual_mul_f32 v15, v203, v123 :: v_dual_fmac_f32 v33, v193, v112
	v_dual_fma_f32 v19, v192, v112, -v19 :: v_dual_add_f32 v5, v5, v31
	v_dual_add_f32 v7, v7, v17 :: v_dual_fma_f32 v21, v194, v114, -v21
	v_dual_mul_f32 v17, v205, v125 :: v_dual_fmac_f32 v35, v195, v114
	s_delay_alu instid0(VALU_DEP_2) | instskip(SKIP_3) | instid1(VALU_DEP_3)
	v_dual_add_f32 v5, v5, v33 :: v_dual_add_f32 v7, v7, v19
	v_dual_mul_f32 v39, v198, v119 :: v_dual_mul_f32 v41, v200, v121
	s_wait_loadcnt 0x5
	v_dual_mul_f32 v19, v171, v127 :: v_dual_fmac_f32 v37, v197, v116
	v_dual_fma_f32 v23, v196, v116, -v23 :: v_dual_add_f32 v5, v5, v35
	v_dual_add_f32 v7, v7, v21 :: v_dual_fma_f32 v11, v198, v118, -v11
	v_dual_mul_f32 v21, v173, v129 :: v_dual_fmac_f32 v39, v199, v118
	s_delay_alu instid0(VALU_DEP_2) | instskip(SKIP_2) | instid1(VALU_DEP_3)
	v_dual_add_f32 v5, v5, v37 :: v_dual_add_f32 v7, v7, v23
	v_dual_mul_f32 v43, v202, v123 :: v_dual_mul_f32 v45, v204, v125
	v_fmac_f32_e32 v41, v201, v120
	v_dual_fma_f32 v13, v200, v120, -v13 :: v_dual_add_f32 v5, v5, v39
	s_wait_loadcnt 0x4
	v_dual_add_f32 v7, v7, v11 :: v_dual_mov_b32 v88, v133
	v_fmac_f32_e32 v43, v203, v122
	s_delay_alu instid0(VALU_DEP_3) | instskip(NEXT) | instid1(VALU_DEP_3)
	v_dual_fma_f32 v11, v202, v122, -v15 :: v_dual_add_f32 v5, v5, v41
	v_dual_add_f32 v7, v7, v13 :: v_dual_fmac_f32 v45, v205, v124
	v_dual_mul_f32 v217, v170, v127 :: v_dual_mul_f32 v219, v172, v129
	s_delay_alu instid0(VALU_DEP_3) | instskip(SKIP_1) | instid1(VALU_DEP_3)
	v_dual_fma_f32 v13, v204, v124, -v17 :: v_dual_add_f32 v5, v5, v43
	s_wait_loadcnt 0x3
	v_dual_add_f32 v7, v7, v11 :: v_dual_mov_b32 v92, v137
	v_pk_mul_f32 v[86:87], v[146:147], v[130:131] op_sel:[1,1] op_sel_hi:[0,1]
	v_dual_fmac_f32 v217, v171, v126 :: v_dual_fma_f32 v216, v170, v126, -v19
	v_dual_add_f32 v95, v5, v45 :: v_dual_fma_f32 v218, v172, v128, -v21
	s_delay_alu instid0(VALU_DEP_4) | instskip(NEXT) | instid1(VALU_DEP_4)
	v_dual_add_f32 v94, v7, v13 :: v_dual_fmac_f32 v219, v173, v128
	v_pk_fma_f32 v[96:97], v[146:147], v[130:131], v[86:87] op_sel_hi:[1,0,1]
	v_pk_mul_f32 v[88:89], v[208:209], v[88:89] op_sel_hi:[1,0]
	v_pk_fma_f32 v[86:87], v[146:147], v[130:131], v[86:87] neg_lo:[0,0,1] neg_hi:[0,0,1]
	s_delay_alu instid0(VALU_DEP_4)
	v_pk_add_f32 v[94:95], v[94:95], v[216:217]
	v_pk_mul_f32 v[90:91], v[150:151], v[134:135] op_sel:[1,1] op_sel_hi:[0,1]
	v_mov_b32_e32 v87, v97
	v_pk_fma_f32 v[96:97], v[148:149], v[132:133], v[88:89] op_sel_hi:[1,0,1]
	v_pk_fma_f32 v[88:89], v[148:149], v[132:133], v[88:89] neg_lo:[0,0,1] neg_hi:[0,0,1]
	v_pk_add_f32 v[94:95], v[94:95], v[218:219]
	v_pk_fma_f32 v[100:101], v[150:151], v[134:135], v[90:91] op_sel_hi:[1,0,1]
	v_pk_mul_f32 v[92:93], v[210:211], v[92:93] op_sel_hi:[1,0]
	v_mov_b32_e32 v89, v97
	s_wait_loadcnt 0x2
	v_pk_mul_f32 v[98:99], v[154:155], v[138:139] op_sel:[1,1] op_sel_hi:[0,1]
	v_pk_add_f32 v[86:87], v[94:95], v[86:87]
	v_mov_b32_e32 v94, v141
	v_pk_fma_f32 v[90:91], v[150:151], v[134:135], v[90:91] neg_lo:[0,0,1] neg_hi:[0,0,1]
	v_mov_b32_e32 v91, v101
	v_pk_fma_f32 v[96:97], v[152:153], v[136:137], v[92:93] op_sel_hi:[1,0,1]
	v_pk_add_f32 v[86:87], v[86:87], v[88:89]
	v_pk_fma_f32 v[88:89], v[154:155], v[138:139], v[98:99] op_sel_hi:[1,0,1]
	v_pk_mul_f32 v[94:95], v[212:213], v[94:95] op_sel_hi:[1,0]
	v_pk_fma_f32 v[92:93], v[152:153], v[136:137], v[92:93] neg_lo:[0,0,1] neg_hi:[0,0,1]
	v_mov_b32_e32 v93, v97
	v_pk_add_f32 v[86:87], v[86:87], v[90:91]
	v_pk_fma_f32 v[96:97], v[154:155], v[138:139], v[98:99] neg_lo:[0,0,1] neg_hi:[0,0,1]
	v_mov_b32_e32 v97, v89
	v_pk_fma_f32 v[88:89], v[156:157], v[140:141], v[94:95] op_sel_hi:[1,0,1]
	s_wait_loadcnt 0x1
	v_pk_mul_f32 v[90:91], v[158:159], v[142:143] op_sel:[1,1] op_sel_hi:[0,1]
	v_pk_add_f32 v[86:87], v[86:87], v[92:93]
	v_mov_b32_e32 v88, v145
	v_pk_fma_f32 v[94:95], v[156:157], v[140:141], v[94:95] neg_lo:[0,0,1] neg_hi:[0,0,1]
	v_mov_b32_e32 v95, v89
	v_pk_fma_f32 v[92:93], v[158:159], v[142:143], v[90:91] op_sel_hi:[1,0,1]
	v_pk_add_f32 v[86:87], v[86:87], v[96:97]
	v_pk_mul_f32 v[88:89], v[214:215], v[88:89] op_sel_hi:[1,0]
	v_pk_fma_f32 v[90:91], v[158:159], v[142:143], v[90:91] neg_lo:[0,0,1] neg_hi:[0,0,1]
	s_delay_alu instid0(VALU_DEP_4) | instskip(NEXT) | instid1(VALU_DEP_4)
	v_mov_b32_e32 v91, v93
	v_pk_add_f32 v[86:87], v[86:87], v[94:95]
	s_delay_alu instid0(VALU_DEP_4) | instskip(SKIP_1) | instid1(VALU_DEP_2)
	v_pk_fma_f32 v[92:93], v[160:161], v[144:145], v[88:89] op_sel_hi:[1,0,1]
	v_pk_fma_f32 v[88:89], v[160:161], v[144:145], v[88:89] neg_lo:[0,0,1] neg_hi:[0,0,1]
	v_mov_b32_e32 v89, v93
	s_delay_alu instid0(VALU_DEP_4) | instskip(NEXT) | instid1(VALU_DEP_1)
	v_pk_add_f32 v[86:87], v[86:87], v[90:91]
	v_pk_add_f32 v[86:87], v[86:87], v[88:89]
	s_wait_loadcnt 0x0
	s_delay_alu instid0(VALU_DEP_1)
	v_pk_add_f32 v[86:87], v[206:207], v[86:87] neg_lo:[0,1] neg_hi:[0,1]
	scratch_store_b64 off, v[86:87], off offset:88
	s_wait_xcnt 0x0
	v_cmpx_lt_u32_e32 10, v0
	s_cbranch_execz .LBB41_245
; %bb.244:
	scratch_load_b64 v[86:87], off, off offset:80
	v_mov_b64_e32 v[88:89], 0
	scratch_store_b64 off, v[88:89], off offset:80
	s_wait_loadcnt 0x0
	ds_store_b64 v1, v[86:87]
.LBB41_245:
	s_wait_xcnt 0x0
	s_or_b32 exec_lo, exec_lo, s0
	s_wait_storecnt_dscnt 0x0
	s_barrier_signal -1
	s_barrier_wait -1
	s_clause 0x10
	scratch_load_b128 v[86:89], off, off offset:88
	scratch_load_b128 v[90:93], off, off offset:104
	;; [unrolled: 1-line block ×15, first 2 shown]
	scratch_load_b64 v[206:207], off, off offset:328
	scratch_load_b64 v[208:209], off, off offset:80
	v_mov_b32_e32 v5, 0
	ds_load_2addr_b64 v[146:149], v5 offset0:75 offset1:76
	ds_load_2addr_b64 v[150:153], v5 offset0:77 offset1:78
	;; [unrolled: 1-line block ×15, first 2 shown]
	ds_load_b64 v[210:211], v5 offset:664
	s_mov_b32 s0, exec_lo
	s_wait_dscnt 0xe
	v_dual_mov_b32 v213, v148 :: v_dual_mov_b32 v214, v153
	s_wait_dscnt 0xd
	v_dual_mov_b32 v215, v152 :: v_dual_mov_b32 v216, v157
	;; [unrolled: 2-line block ×3, first 2 shown]
	v_dual_mov_b32 v217, v156 :: v_dual_mov_b32 v218, v161
	s_wait_loadcnt_dscnt 0x100b
	v_dual_mul_f32 v7, v162, v87 :: v_dual_mul_f32 v11, v164, v89
	s_wait_loadcnt_dscnt 0xf09
	v_mul_f32_e32 v13, v170, v91
	v_dual_mul_f32 v51, v163, v87 :: v_dual_mul_f32 v53, v165, v89
	s_wait_loadcnt_dscnt 0xd07
	v_dual_fmac_f32 v7, v163, v86 :: v_dual_mul_f32 v65, v181, v101
	s_delay_alu instid0(VALU_DEP_2) | instskip(NEXT) | instid1(VALU_DEP_3)
	v_dual_mul_f32 v63, v179, v99 :: v_dual_fma_f32 v51, v162, v86, -v51
	v_dual_fmac_f32 v11, v165, v88 :: v_dual_fma_f32 v53, v164, v88, -v53
	s_delay_alu instid0(VALU_DEP_3) | instskip(SKIP_3) | instid1(VALU_DEP_3)
	v_dual_add_f32 v7, 0, v7 :: v_dual_fmac_f32 v13, v171, v90
	v_dual_mul_f32 v15, v172, v93 :: v_dual_mul_f32 v17, v174, v95
	v_dual_mul_f32 v55, v171, v91 :: v_dual_mul_f32 v57, v173, v93
	v_add_f32_e32 v51, 0, v51
	v_dual_add_f32 v7, v7, v11 :: v_dual_fmac_f32 v15, v173, v92
	v_dual_mul_f32 v59, v175, v95 :: v_dual_mul_f32 v61, v177, v97
	s_delay_alu instid0(VALU_DEP_3) | instskip(NEXT) | instid1(VALU_DEP_3)
	v_dual_fma_f32 v55, v170, v90, -v55 :: v_dual_add_f32 v11, v51, v53
	v_dual_fma_f32 v53, v172, v92, -v57 :: v_dual_add_f32 v7, v7, v13
	v_dual_mul_f32 v19, v176, v97 :: v_dual_mul_f32 v21, v178, v99
	s_delay_alu instid0(VALU_DEP_3) | instskip(SKIP_1) | instid1(VALU_DEP_4)
	v_add_f32_e32 v11, v11, v55
	v_dual_fmac_f32 v17, v175, v94 :: v_dual_fma_f32 v55, v174, v94, -v59
	v_dual_add_f32 v7, v7, v15 :: v_dual_mul_f32 v23, v180, v101
	s_wait_loadcnt_dscnt 0xc06
	v_mul_f32_e32 v25, v182, v103
	s_wait_loadcnt_dscnt 0xb05
	v_dual_mul_f32 v13, v187, v107 :: v_dual_fmac_f32 v19, v177, v96
	v_mul_f32_e32 v15, v189, v109
	v_dual_add_f32 v11, v11, v53 :: v_dual_fma_f32 v53, v176, v96, -v61
	v_dual_add_f32 v7, v7, v17 :: v_dual_fmac_f32 v23, v181, v100
	v_dual_mul_f32 v27, v184, v105 :: v_dual_mul_f32 v29, v186, v107
	s_delay_alu instid0(VALU_DEP_3) | instskip(SKIP_1) | instid1(VALU_DEP_3)
	v_add_f32_e32 v11, v11, v55
	v_fmac_f32_e32 v21, v179, v98
	v_dual_add_f32 v7, v7, v19 :: v_dual_fmac_f32 v27, v185, v104
	v_dual_mul_f32 v67, v183, v103 :: v_dual_mul_f32 v51, v185, v105
	s_delay_alu instid0(VALU_DEP_4) | instskip(NEXT) | instid1(VALU_DEP_3)
	v_dual_fma_f32 v55, v178, v98, -v63 :: v_dual_add_f32 v11, v11, v53
	v_dual_add_f32 v7, v7, v21 :: v_dual_fma_f32 v13, v186, v106, -v13
	s_wait_loadcnt_dscnt 0xa04
	v_mul_f32_e32 v17, v191, v111
	v_dual_fmac_f32 v25, v183, v102 :: v_dual_fma_f32 v15, v188, v108, -v15
	v_dual_fma_f32 v51, v184, v104, -v51 :: v_dual_add_f32 v11, v11, v55
	v_dual_fma_f32 v55, v182, v102, -v67 :: v_dual_add_f32 v7, v7, v23
	s_delay_alu instid0(VALU_DEP_4) | instskip(SKIP_3) | instid1(VALU_DEP_3)
	v_dual_fma_f32 v17, v190, v110, -v17 :: v_dual_mul_f32 v19, v193, v113
	v_fma_f32 v53, v180, v100, -v65
	s_wait_loadcnt_dscnt 0x903
	v_dual_mul_f32 v35, v192, v113 :: v_dual_mul_f32 v37, v194, v115
	v_dual_add_f32 v7, v7, v25 :: v_dual_fma_f32 v19, v192, v112, -v19
	s_wait_loadcnt_dscnt 0x802
	v_dual_mul_f32 v39, v196, v117 :: v_dual_mul_f32 v41, v198, v119
	s_delay_alu instid0(VALU_DEP_2)
	v_dual_fmac_f32 v35, v193, v112 :: v_dual_add_f32 v7, v7, v27
	v_mul_f32_e32 v27, v201, v121
	v_add_f32_e32 v11, v11, v53
	v_mul_f32_e32 v23, v197, v117
	s_wait_loadcnt 0x5
	v_dual_mov_b32 v86, v133 :: v_dual_mul_f32 v31, v188, v109
	v_mul_f32_e32 v33, v190, v111
	s_delay_alu instid0(VALU_DEP_3) | instskip(NEXT) | instid1(VALU_DEP_3)
	v_dual_add_f32 v11, v11, v55 :: v_dual_fma_f32 v23, v196, v116, -v23
	v_dual_mul_f32 v21, v195, v115 :: v_dual_fmac_f32 v31, v189, v108
	s_wait_loadcnt 0x4
	s_delay_alu instid0(VALU_DEP_2) | instskip(SKIP_1) | instid1(VALU_DEP_3)
	v_dual_mov_b32 v90, v137 :: v_dual_add_f32 v11, v11, v51
	v_dual_mul_f32 v221, v168, v129 :: v_dual_mul_f32 v223, v146, v131
	v_dual_mul_f32 v25, v199, v119 :: v_dual_fma_f32 v21, v194, v114, -v21
	s_delay_alu instid0(VALU_DEP_3) | instskip(SKIP_3) | instid1(VALU_DEP_3)
	v_add_f32_e32 v11, v11, v13
	v_dual_fmac_f32 v29, v187, v106 :: v_dual_mul_f32 v43, v200, v121
	s_wait_dscnt 0x1
	v_dual_mul_f32 v45, v202, v123 :: v_dual_fmac_f32 v39, v197, v116
	v_dual_add_f32 v11, v11, v15 :: v_dual_mul_f32 v15, v205, v125
	v_dual_fmac_f32 v221, v169, v128 :: v_dual_mul_f32 v13, v203, v123
	s_delay_alu instid0(VALU_DEP_2) | instskip(NEXT) | instid1(VALU_DEP_3)
	v_dual_fmac_f32 v43, v201, v120 :: v_dual_add_f32 v11, v11, v17
	v_dual_fma_f32 v15, v204, v124, -v15 :: v_dual_fmac_f32 v33, v191, v110
	v_fma_f32 v25, v198, v118, -v25
	v_fmac_f32_e32 v223, v147, v130
	s_delay_alu instid0(VALU_DEP_4) | instskip(SKIP_2) | instid1(VALU_DEP_3)
	v_dual_add_f32 v11, v11, v19 :: v_dual_mul_f32 v19, v169, v129
	v_add_f32_e32 v7, v7, v29
	v_dual_mul_f32 v47, v204, v125 :: v_dual_mul_f32 v49, v166, v127
	v_add_f32_e32 v11, v11, v21
	v_mul_f32_e32 v21, v147, v131
	s_delay_alu instid0(VALU_DEP_4) | instskip(NEXT) | instid1(VALU_DEP_4)
	v_dual_add_f32 v7, v7, v31 :: v_dual_fma_f32 v13, v202, v122, -v13
	v_dual_mul_f32 v17, v167, v127 :: v_dual_fmac_f32 v49, v167, v126
	s_delay_alu instid0(VALU_DEP_3) | instskip(NEXT) | instid1(VALU_DEP_3)
	v_dual_fma_f32 v222, v146, v130, -v21 :: v_dual_add_f32 v11, v11, v23
	v_dual_fma_f32 v23, v200, v120, -v27 :: v_dual_add_f32 v7, v7, v33
	v_dual_fmac_f32 v47, v205, v124 :: v_dual_fmac_f32 v37, v195, v114
	s_delay_alu instid0(VALU_DEP_3) | instskip(NEXT) | instid1(VALU_DEP_3)
	v_dual_fma_f32 v220, v168, v128, -v19 :: v_dual_add_f32 v11, v11, v25
	v_add_f32_e32 v7, v7, v35
	v_pk_mul_f32 v[88:89], v[150:151], v[134:135] op_sel:[1,1] op_sel_hi:[0,1]
	v_pk_mul_f32 v[90:91], v[214:215], v[90:91] op_sel_hi:[1,0]
	s_wait_loadcnt 0x3
	v_dual_mov_b32 v96, v141 :: v_dual_add_f32 v11, v11, v23
	v_fmac_f32_e32 v45, v203, v122
	v_pk_fma_f32 v[100:101], v[150:151], v[134:135], v[88:89] op_sel_hi:[1,0,1]
	v_pk_fma_f32 v[88:89], v[150:151], v[134:135], v[88:89] neg_lo:[0,0,1] neg_hi:[0,0,1]
	v_fmac_f32_e32 v41, v199, v118
	v_dual_add_f32 v11, v11, v13 :: v_dual_fma_f32 v13, v166, v126, -v17
	s_delay_alu instid0(VALU_DEP_4) | instskip(SKIP_2) | instid1(VALU_DEP_4)
	v_dual_add_f32 v7, v7, v37 :: v_dual_mov_b32 v89, v101
	v_pk_fma_f32 v[100:101], v[152:153], v[136:137], v[90:91] op_sel_hi:[1,0,1]
	v_pk_fma_f32 v[90:91], v[152:153], v[136:137], v[90:91] neg_lo:[0,0,1] neg_hi:[0,0,1]
	v_add_f32_e32 v11, v11, v15
	s_delay_alu instid0(VALU_DEP_4)
	v_add_f32_e32 v7, v7, v39
	v_pk_mul_f32 v[86:87], v[212:213], v[86:87] op_sel_hi:[1,0]
	v_mov_b32_e32 v91, v101
	v_pk_mul_f32 v[92:93], v[154:155], v[138:139] op_sel:[1,1] op_sel_hi:[0,1]
	v_add_f32_e32 v94, v11, v13
	v_add_f32_e32 v7, v7, v41
	v_pk_fma_f32 v[98:99], v[148:149], v[132:133], v[86:87] op_sel_hi:[1,0,1]
	v_pk_fma_f32 v[86:87], v[148:149], v[132:133], v[86:87] neg_lo:[0,0,1] neg_hi:[0,0,1]
	v_pk_mul_f32 v[96:97], v[216:217], v[96:97] op_sel_hi:[1,0]
	s_delay_alu instid0(VALU_DEP_4) | instskip(NEXT) | instid1(VALU_DEP_4)
	v_add_f32_e32 v7, v7, v43
	v_mov_b32_e32 v87, v99
	s_wait_loadcnt 0x2
	v_pk_mul_f32 v[98:99], v[158:159], v[142:143] op_sel:[1,1] op_sel_hi:[0,1]
	s_delay_alu instid0(VALU_DEP_3) | instskip(NEXT) | instid1(VALU_DEP_1)
	v_add_f32_e32 v7, v7, v45
	v_add_f32_e32 v7, v7, v47
	s_delay_alu instid0(VALU_DEP_1) | instskip(NEXT) | instid1(VALU_DEP_1)
	v_add_f32_e32 v95, v7, v49
	v_pk_add_f32 v[94:95], v[94:95], v[220:221]
	s_delay_alu instid0(VALU_DEP_1) | instskip(NEXT) | instid1(VALU_DEP_1)
	v_pk_add_f32 v[94:95], v[94:95], v[222:223]
	v_pk_add_f32 v[86:87], v[94:95], v[86:87]
	v_pk_fma_f32 v[94:95], v[154:155], v[138:139], v[92:93] op_sel_hi:[1,0,1]
	v_pk_fma_f32 v[92:93], v[154:155], v[138:139], v[92:93] neg_lo:[0,0,1] neg_hi:[0,0,1]
	s_delay_alu instid0(VALU_DEP_3) | instskip(NEXT) | instid1(VALU_DEP_3)
	v_pk_add_f32 v[86:87], v[86:87], v[88:89]
	v_dual_mov_b32 v88, v145 :: v_dual_mov_b32 v93, v95
	v_pk_fma_f32 v[94:95], v[156:157], v[140:141], v[96:97] op_sel_hi:[1,0,1]
	v_pk_fma_f32 v[96:97], v[156:157], v[140:141], v[96:97] neg_lo:[0,0,1] neg_hi:[0,0,1]
	s_delay_alu instid0(VALU_DEP_4)
	v_pk_add_f32 v[86:87], v[86:87], v[90:91]
	v_pk_fma_f32 v[90:91], v[158:159], v[142:143], v[98:99] op_sel_hi:[1,0,1]
	v_pk_mul_f32 v[88:89], v[218:219], v[88:89] op_sel_hi:[1,0]
	v_mov_b32_e32 v97, v95
	s_wait_loadcnt_dscnt 0x100
	v_pk_mul_f32 v[94:95], v[210:211], v[206:207] op_sel:[1,1] op_sel_hi:[0,1]
	v_pk_add_f32 v[86:87], v[86:87], v[92:93]
	v_pk_fma_f32 v[92:93], v[158:159], v[142:143], v[98:99] neg_lo:[0,0,1] neg_hi:[0,0,1]
	v_mov_b32_e32 v93, v91
	v_pk_fma_f32 v[90:91], v[160:161], v[144:145], v[88:89] op_sel_hi:[1,0,1]
	v_pk_fma_f32 v[88:89], v[160:161], v[144:145], v[88:89] neg_lo:[0,0,1] neg_hi:[0,0,1]
	v_pk_add_f32 v[86:87], v[86:87], v[96:97]
	s_delay_alu instid0(VALU_DEP_3) | instskip(SKIP_1) | instid1(VALU_DEP_3)
	v_mov_b32_e32 v89, v91
	v_pk_fma_f32 v[90:91], v[210:211], v[206:207], v[94:95] op_sel_hi:[1,0,1]
	v_pk_add_f32 v[86:87], v[86:87], v[92:93]
	v_pk_fma_f32 v[92:93], v[210:211], v[206:207], v[94:95] neg_lo:[0,0,1] neg_hi:[0,0,1]
	s_delay_alu instid0(VALU_DEP_3) | instskip(NEXT) | instid1(VALU_DEP_3)
	v_mov_b32_e32 v93, v91
	v_pk_add_f32 v[86:87], v[86:87], v[88:89]
	s_delay_alu instid0(VALU_DEP_1) | instskip(SKIP_1) | instid1(VALU_DEP_1)
	v_pk_add_f32 v[86:87], v[86:87], v[92:93]
	s_wait_loadcnt 0x0
	v_pk_add_f32 v[86:87], v[208:209], v[86:87] neg_lo:[0,1] neg_hi:[0,1]
	scratch_store_b64 off, v[86:87], off offset:80
	s_wait_xcnt 0x0
	v_cmpx_lt_u32_e32 9, v0
	s_cbranch_execz .LBB41_247
; %bb.246:
	scratch_load_b64 v[86:87], off, off offset:72
	v_mov_b64_e32 v[88:89], 0
	scratch_store_b64 off, v[88:89], off offset:72
	s_wait_loadcnt 0x0
	ds_store_b64 v1, v[86:87]
.LBB41_247:
	s_wait_xcnt 0x0
	s_or_b32 exec_lo, exec_lo, s0
	s_wait_storecnt_dscnt 0x0
	s_barrier_signal -1
	s_barrier_wait -1
	s_clause 0x10
	scratch_load_b128 v[86:89], off, off offset:80
	scratch_load_b128 v[90:93], off, off offset:96
	;; [unrolled: 1-line block ×16, first 2 shown]
	scratch_load_b64 v[214:215], off, off offset:72
	ds_load_b128 v[150:153], v5 offset:608
	ds_load_b128 v[154:157], v5 offset:624
	;; [unrolled: 1-line block ×16, first 2 shown]
	s_mov_b32 s0, exec_lo
	s_wait_dscnt 0xf
	v_dual_mov_b32 v216, v153 :: v_dual_mov_b32 v217, v152
	s_wait_dscnt 0xe
	v_dual_mov_b32 v218, v157 :: v_dual_mov_b32 v219, v156
	;; [unrolled: 2-line block ×4, first 2 shown]
	s_wait_loadcnt_dscnt 0x100b
	v_dual_mul_f32 v5, v166, v87 :: v_dual_mul_f32 v7, v168, v89
	v_dual_mul_f32 v51, v167, v87 :: v_dual_mul_f32 v53, v169, v89
	s_wait_loadcnt_dscnt 0xf0a
	v_dual_mul_f32 v11, v170, v91 :: v_dual_mul_f32 v13, v172, v93
	s_delay_alu instid0(VALU_DEP_2) | instskip(SKIP_3) | instid1(VALU_DEP_3)
	v_dual_fmac_f32 v5, v167, v86 :: v_dual_fma_f32 v51, v166, v86, -v51
	v_dual_mul_f32 v55, v171, v91 :: v_dual_mul_f32 v57, v173, v93
	s_wait_loadcnt_dscnt 0xd08
	v_dual_mul_f32 v63, v179, v99 :: v_dual_fmac_f32 v7, v169, v88
	v_dual_fma_f32 v53, v168, v88, -v53 :: v_dual_add_f32 v5, 0, v5
	v_dual_add_f32 v51, 0, v51 :: v_dual_mul_f32 v65, v181, v101
	v_fmac_f32_e32 v11, v171, v90
	s_delay_alu instid0(VALU_DEP_3) | instskip(NEXT) | instid1(VALU_DEP_3)
	v_dual_fma_f32 v55, v170, v90, -v55 :: v_dual_add_f32 v5, v5, v7
	v_dual_add_f32 v7, v51, v53 :: v_dual_mul_f32 v15, v174, v95
	v_dual_mul_f32 v17, v176, v97 :: v_dual_mul_f32 v59, v175, v95
	s_wait_loadcnt_dscnt 0xc07
	v_dual_mul_f32 v61, v177, v97 :: v_dual_mul_f32 v51, v183, v103
	v_fmac_f32_e32 v13, v173, v92
	v_dual_fma_f32 v53, v172, v92, -v57 :: v_dual_add_f32 v5, v5, v11
	v_dual_add_f32 v7, v7, v55 :: v_dual_mul_f32 v11, v185, v105
	v_fmac_f32_e32 v15, v175, v94
	s_delay_alu instid0(VALU_DEP_3) | instskip(NEXT) | instid1(VALU_DEP_3)
	v_dual_fma_f32 v55, v174, v94, -v59 :: v_dual_add_f32 v5, v5, v13
	v_dual_add_f32 v7, v7, v53 :: v_dual_mul_f32 v19, v178, v99
	s_wait_loadcnt_dscnt 0xb06
	v_dual_mul_f32 v21, v180, v101 :: v_dual_mul_f32 v13, v187, v107
	v_fmac_f32_e32 v17, v177, v96
	v_dual_fma_f32 v53, v176, v96, -v61 :: v_dual_add_f32 v5, v5, v15
	v_dual_add_f32 v7, v7, v55 :: v_dual_mul_f32 v15, v189, v109
	v_fmac_f32_e32 v19, v179, v98
	s_delay_alu instid0(VALU_DEP_3) | instskip(NEXT) | instid1(VALU_DEP_3)
	v_dual_fma_f32 v55, v178, v98, -v63 :: v_dual_add_f32 v5, v5, v17
	v_dual_add_f32 v7, v7, v53 :: v_dual_mul_f32 v23, v182, v103
	;; [unrolled: 9-line block ×3, first 2 shown]
	s_wait_loadcnt_dscnt 0x904
	v_dual_mul_f32 v29, v188, v109 :: v_dual_mul_f32 v21, v195, v115
	v_dual_fmac_f32 v25, v185, v104 :: v_dual_fma_f32 v11, v184, v104, -v11
	v_add_f32_e32 v5, v5, v23
	v_dual_add_f32 v7, v7, v51 :: v_dual_mul_f32 v23, v197, v117
	v_dual_fmac_f32 v27, v187, v106 :: v_dual_fma_f32 v13, v186, v106, -v13
	s_delay_alu instid0(VALU_DEP_2) | instskip(SKIP_3) | instid1(VALU_DEP_3)
	v_dual_add_f32 v5, v5, v25 :: v_dual_add_f32 v7, v7, v11
	v_dual_mul_f32 v31, v190, v111 :: v_dual_mul_f32 v33, v192, v113
	s_wait_loadcnt_dscnt 0x803
	v_dual_mul_f32 v11, v199, v119 :: v_dual_fmac_f32 v29, v189, v108
	v_dual_fma_f32 v15, v188, v108, -v15 :: v_dual_add_f32 v5, v5, v27
	v_dual_add_f32 v7, v7, v13 :: v_dual_fma_f32 v17, v190, v110, -v17
	v_dual_mul_f32 v13, v201, v121 :: v_dual_fmac_f32 v31, v191, v110
	s_delay_alu instid0(VALU_DEP_2) | instskip(SKIP_3) | instid1(VALU_DEP_3)
	v_dual_add_f32 v5, v5, v29 :: v_dual_add_f32 v7, v7, v15
	v_dual_mul_f32 v35, v194, v115 :: v_dual_mul_f32 v37, v196, v117
	s_wait_loadcnt_dscnt 0x702
	v_dual_mul_f32 v15, v203, v123 :: v_dual_fmac_f32 v33, v193, v112
	v_dual_fma_f32 v19, v192, v112, -v19 :: v_dual_add_f32 v5, v5, v31
	v_dual_add_f32 v7, v7, v17 :: v_dual_fma_f32 v21, v194, v114, -v21
	v_dual_mul_f32 v17, v205, v125 :: v_dual_fmac_f32 v35, v195, v114
	;; [unrolled: 8-line block ×3, first 2 shown]
	s_delay_alu instid0(VALU_DEP_2) | instskip(SKIP_3) | instid1(VALU_DEP_3)
	v_dual_add_f32 v5, v5, v37 :: v_dual_add_f32 v7, v7, v23
	v_dual_mul_f32 v43, v202, v123 :: v_dual_mul_f32 v45, v204, v125
	s_wait_loadcnt_dscnt 0x500
	v_dual_mul_f32 v23, v211, v131 :: v_dual_fmac_f32 v41, v201, v120
	v_dual_fma_f32 v13, v200, v120, -v13 :: v_dual_add_f32 v5, v5, v39
	v_dual_add_f32 v7, v7, v11 :: v_dual_mul_f32 v11, v213, v133
	v_fmac_f32_e32 v43, v203, v122
	s_delay_alu instid0(VALU_DEP_3) | instskip(NEXT) | instid1(VALU_DEP_3)
	v_dual_fma_f32 v15, v202, v122, -v15 :: v_dual_add_f32 v5, v5, v41
	v_dual_add_f32 v7, v7, v13 :: v_dual_mul_f32 v47, v206, v127
	v_dual_mul_f32 v49, v208, v129 :: v_dual_fmac_f32 v45, v205, v124
	s_delay_alu instid0(VALU_DEP_3) | instskip(SKIP_1) | instid1(VALU_DEP_3)
	v_dual_fma_f32 v13, v204, v124, -v17 :: v_dual_add_f32 v5, v5, v43
	s_wait_loadcnt 0x4
	v_dual_add_f32 v7, v7, v15 :: v_dual_mov_b32 v88, v137
	v_fmac_f32_e32 v47, v207, v126
	s_delay_alu instid0(VALU_DEP_3) | instskip(NEXT) | instid1(VALU_DEP_3)
	v_dual_fma_f32 v15, v206, v126, -v19 :: v_dual_add_f32 v5, v5, v45
	v_dual_add_f32 v7, v7, v13 :: v_dual_fmac_f32 v49, v209, v128
	v_dual_mul_f32 v225, v210, v131 :: v_dual_mul_f32 v227, v212, v133
	s_delay_alu instid0(VALU_DEP_3) | instskip(SKIP_1) | instid1(VALU_DEP_3)
	v_dual_fma_f32 v13, v208, v128, -v21 :: v_dual_add_f32 v5, v5, v47
	s_wait_loadcnt 0x3
	v_dual_add_f32 v7, v7, v15 :: v_dual_mov_b32 v92, v141
	v_pk_mul_f32 v[86:87], v[150:151], v[134:135] op_sel:[1,1] op_sel_hi:[0,1]
	v_dual_fmac_f32 v225, v211, v130 :: v_dual_fma_f32 v224, v210, v130, -v23
	v_dual_add_f32 v95, v5, v49 :: v_dual_fma_f32 v226, v212, v132, -v11
	s_delay_alu instid0(VALU_DEP_4) | instskip(NEXT) | instid1(VALU_DEP_4)
	v_dual_add_f32 v94, v7, v13 :: v_dual_fmac_f32 v227, v213, v132
	v_pk_fma_f32 v[96:97], v[150:151], v[134:135], v[86:87] op_sel_hi:[1,0,1]
	v_pk_mul_f32 v[88:89], v[216:217], v[88:89] op_sel_hi:[1,0]
	v_pk_fma_f32 v[86:87], v[150:151], v[134:135], v[86:87] neg_lo:[0,0,1] neg_hi:[0,0,1]
	s_delay_alu instid0(VALU_DEP_4)
	v_pk_add_f32 v[94:95], v[94:95], v[224:225]
	v_pk_mul_f32 v[90:91], v[154:155], v[138:139] op_sel:[1,1] op_sel_hi:[0,1]
	v_mov_b32_e32 v87, v97
	v_pk_fma_f32 v[96:97], v[152:153], v[136:137], v[88:89] op_sel_hi:[1,0,1]
	v_pk_fma_f32 v[88:89], v[152:153], v[136:137], v[88:89] neg_lo:[0,0,1] neg_hi:[0,0,1]
	v_pk_add_f32 v[94:95], v[94:95], v[226:227]
	v_pk_fma_f32 v[100:101], v[154:155], v[138:139], v[90:91] op_sel_hi:[1,0,1]
	v_pk_mul_f32 v[92:93], v[218:219], v[92:93] op_sel_hi:[1,0]
	v_mov_b32_e32 v89, v97
	s_wait_loadcnt 0x2
	v_pk_mul_f32 v[98:99], v[158:159], v[142:143] op_sel:[1,1] op_sel_hi:[0,1]
	v_pk_add_f32 v[86:87], v[94:95], v[86:87]
	v_mov_b32_e32 v94, v145
	v_pk_fma_f32 v[90:91], v[154:155], v[138:139], v[90:91] neg_lo:[0,0,1] neg_hi:[0,0,1]
	v_mov_b32_e32 v91, v101
	v_pk_fma_f32 v[96:97], v[156:157], v[140:141], v[92:93] op_sel_hi:[1,0,1]
	v_pk_add_f32 v[86:87], v[86:87], v[88:89]
	v_pk_fma_f32 v[88:89], v[158:159], v[142:143], v[98:99] op_sel_hi:[1,0,1]
	v_pk_mul_f32 v[94:95], v[220:221], v[94:95] op_sel_hi:[1,0]
	v_pk_fma_f32 v[92:93], v[156:157], v[140:141], v[92:93] neg_lo:[0,0,1] neg_hi:[0,0,1]
	v_mov_b32_e32 v93, v97
	v_pk_add_f32 v[86:87], v[86:87], v[90:91]
	v_pk_fma_f32 v[96:97], v[158:159], v[142:143], v[98:99] neg_lo:[0,0,1] neg_hi:[0,0,1]
	v_mov_b32_e32 v97, v89
	v_pk_fma_f32 v[88:89], v[160:161], v[144:145], v[94:95] op_sel_hi:[1,0,1]
	s_wait_loadcnt 0x1
	v_pk_mul_f32 v[90:91], v[162:163], v[146:147] op_sel:[1,1] op_sel_hi:[0,1]
	v_pk_add_f32 v[86:87], v[86:87], v[92:93]
	v_mov_b32_e32 v88, v149
	v_pk_fma_f32 v[94:95], v[160:161], v[144:145], v[94:95] neg_lo:[0,0,1] neg_hi:[0,0,1]
	v_mov_b32_e32 v95, v89
	v_pk_fma_f32 v[92:93], v[162:163], v[146:147], v[90:91] op_sel_hi:[1,0,1]
	v_pk_add_f32 v[86:87], v[86:87], v[96:97]
	v_pk_mul_f32 v[88:89], v[222:223], v[88:89] op_sel_hi:[1,0]
	v_pk_fma_f32 v[90:91], v[162:163], v[146:147], v[90:91] neg_lo:[0,0,1] neg_hi:[0,0,1]
	s_delay_alu instid0(VALU_DEP_4) | instskip(NEXT) | instid1(VALU_DEP_4)
	v_mov_b32_e32 v91, v93
	v_pk_add_f32 v[86:87], v[86:87], v[94:95]
	s_delay_alu instid0(VALU_DEP_4) | instskip(SKIP_1) | instid1(VALU_DEP_2)
	v_pk_fma_f32 v[92:93], v[164:165], v[148:149], v[88:89] op_sel_hi:[1,0,1]
	v_pk_fma_f32 v[88:89], v[164:165], v[148:149], v[88:89] neg_lo:[0,0,1] neg_hi:[0,0,1]
	v_mov_b32_e32 v89, v93
	s_delay_alu instid0(VALU_DEP_4) | instskip(NEXT) | instid1(VALU_DEP_1)
	v_pk_add_f32 v[86:87], v[86:87], v[90:91]
	v_pk_add_f32 v[86:87], v[86:87], v[88:89]
	s_wait_loadcnt 0x0
	s_delay_alu instid0(VALU_DEP_1)
	v_pk_add_f32 v[86:87], v[214:215], v[86:87] neg_lo:[0,1] neg_hi:[0,1]
	scratch_store_b64 off, v[86:87], off offset:72
	s_wait_xcnt 0x0
	v_cmpx_lt_u32_e32 8, v0
	s_cbranch_execz .LBB41_249
; %bb.248:
	scratch_load_b64 v[86:87], off, off offset:64
	v_mov_b64_e32 v[88:89], 0
	scratch_store_b64 off, v[88:89], off offset:64
	s_wait_loadcnt 0x0
	ds_store_b64 v1, v[86:87]
.LBB41_249:
	s_wait_xcnt 0x0
	s_or_b32 exec_lo, exec_lo, s0
	s_wait_storecnt_dscnt 0x0
	s_barrier_signal -1
	s_barrier_wait -1
	s_clause 0x11
	scratch_load_b128 v[86:89], off, off offset:72
	scratch_load_b128 v[90:93], off, off offset:88
	;; [unrolled: 1-line block ×16, first 2 shown]
	scratch_load_b64 v[214:215], off, off offset:328
	scratch_load_b64 v[216:217], off, off offset:64
	v_mov_b32_e32 v5, 0
	ds_load_2addr_b64 v[150:153], v5 offset0:75 offset1:76
	ds_load_2addr_b64 v[154:157], v5 offset0:77 offset1:78
	;; [unrolled: 1-line block ×16, first 2 shown]
	ds_load_b64 v[218:219], v5 offset:664
	s_mov_b32 s0, exec_lo
	s_wait_dscnt 0xf
	v_dual_mov_b32 v221, v152 :: v_dual_mov_b32 v222, v157
	s_wait_dscnt 0xe
	v_dual_mov_b32 v223, v156 :: v_dual_mov_b32 v224, v161
	;; [unrolled: 2-line block ×3, first 2 shown]
	v_dual_mov_b32 v225, v160 :: v_dual_mov_b32 v226, v165
	s_wait_loadcnt_dscnt 0x110c
	v_dual_mul_f32 v7, v166, v87 :: v_dual_mul_f32 v11, v168, v89
	s_wait_loadcnt_dscnt 0x100b
	v_mul_f32_e32 v13, v170, v91
	v_dual_mul_f32 v55, v167, v87 :: v_dual_mul_f32 v57, v169, v89
	s_wait_loadcnt_dscnt 0xe09
	v_dual_fmac_f32 v7, v167, v86 :: v_dual_mul_f32 v69, v181, v101
	s_delay_alu instid0(VALU_DEP_2) | instskip(NEXT) | instid1(VALU_DEP_3)
	v_dual_mul_f32 v67, v179, v99 :: v_dual_fma_f32 v55, v166, v86, -v55
	v_dual_fmac_f32 v11, v169, v88 :: v_dual_fma_f32 v57, v168, v88, -v57
	s_delay_alu instid0(VALU_DEP_3) | instskip(SKIP_3) | instid1(VALU_DEP_3)
	v_dual_add_f32 v7, 0, v7 :: v_dual_fmac_f32 v13, v171, v90
	v_dual_mul_f32 v15, v172, v93 :: v_dual_mul_f32 v17, v174, v95
	v_dual_mul_f32 v59, v171, v91 :: v_dual_mul_f32 v61, v173, v93
	v_add_f32_e32 v55, 0, v55
	v_dual_add_f32 v7, v7, v11 :: v_dual_fmac_f32 v15, v173, v92
	v_dual_mul_f32 v63, v175, v95 :: v_dual_mul_f32 v65, v177, v97
	s_delay_alu instid0(VALU_DEP_3) | instskip(NEXT) | instid1(VALU_DEP_3)
	v_dual_fma_f32 v59, v170, v90, -v59 :: v_dual_add_f32 v11, v55, v57
	v_dual_fma_f32 v57, v172, v92, -v61 :: v_dual_add_f32 v7, v7, v13
	v_dual_mul_f32 v19, v176, v97 :: v_dual_mul_f32 v21, v178, v99
	s_delay_alu instid0(VALU_DEP_3) | instskip(SKIP_1) | instid1(VALU_DEP_4)
	v_add_f32_e32 v11, v11, v59
	v_dual_fmac_f32 v17, v175, v94 :: v_dual_fma_f32 v59, v174, v94, -v63
	v_dual_add_f32 v7, v7, v15 :: v_dual_mul_f32 v23, v180, v101
	s_wait_loadcnt_dscnt 0xd08
	v_mul_f32_e32 v25, v182, v103
	s_wait_loadcnt_dscnt 0xc07
	v_dual_mul_f32 v13, v187, v107 :: v_dual_fmac_f32 v19, v177, v96
	v_mul_f32_e32 v15, v189, v109
	v_dual_add_f32 v11, v11, v57 :: v_dual_fma_f32 v57, v176, v96, -v65
	v_dual_add_f32 v7, v7, v17 :: v_dual_fmac_f32 v23, v181, v100
	v_dual_mul_f32 v27, v184, v105 :: v_dual_mul_f32 v29, v186, v107
	s_delay_alu instid0(VALU_DEP_3) | instskip(SKIP_1) | instid1(VALU_DEP_3)
	v_add_f32_e32 v11, v11, v59
	v_fmac_f32_e32 v21, v179, v98
	v_dual_add_f32 v7, v7, v19 :: v_dual_fmac_f32 v27, v185, v104
	v_dual_mul_f32 v71, v183, v103 :: v_dual_mul_f32 v55, v185, v105
	s_delay_alu instid0(VALU_DEP_4) | instskip(NEXT) | instid1(VALU_DEP_3)
	v_dual_fma_f32 v59, v178, v98, -v67 :: v_dual_add_f32 v11, v11, v57
	v_dual_add_f32 v7, v7, v21 :: v_dual_fma_f32 v13, v186, v106, -v13
	s_wait_loadcnt_dscnt 0xb06
	v_mul_f32_e32 v17, v191, v111
	v_dual_fmac_f32 v25, v183, v102 :: v_dual_fma_f32 v15, v188, v108, -v15
	v_dual_fma_f32 v55, v184, v104, -v55 :: v_dual_add_f32 v11, v11, v59
	v_dual_fma_f32 v59, v182, v102, -v71 :: v_dual_add_f32 v7, v7, v23
	s_delay_alu instid0(VALU_DEP_4) | instskip(SKIP_3) | instid1(VALU_DEP_3)
	v_dual_fma_f32 v17, v190, v110, -v17 :: v_dual_mul_f32 v19, v193, v113
	v_fma_f32 v57, v180, v100, -v69
	s_wait_loadcnt_dscnt 0xa05
	v_dual_mul_f32 v35, v192, v113 :: v_dual_mul_f32 v37, v194, v115
	v_dual_add_f32 v7, v7, v25 :: v_dual_fma_f32 v19, v192, v112, -v19
	s_wait_loadcnt_dscnt 0x904
	v_dual_mul_f32 v39, v196, v117 :: v_dual_mul_f32 v41, v198, v119
	s_delay_alu instid0(VALU_DEP_2)
	v_dual_fmac_f32 v35, v193, v112 :: v_dual_add_f32 v7, v7, v27
	v_mul_f32_e32 v27, v201, v121
	v_add_f32_e32 v11, v11, v57
	v_mul_f32_e32 v23, v197, v117
	s_wait_loadcnt_dscnt 0x803
	v_dual_mul_f32 v43, v200, v121 :: v_dual_mul_f32 v45, v202, v123
	v_dual_mul_f32 v31, v188, v109 :: v_dual_mul_f32 v33, v190, v111
	s_delay_alu instid0(VALU_DEP_3) | instskip(NEXT) | instid1(VALU_DEP_3)
	v_dual_add_f32 v11, v11, v59 :: v_dual_fma_f32 v23, v196, v116, -v23
	v_dual_fmac_f32 v43, v201, v120 :: v_dual_mul_f32 v21, v195, v115
	s_delay_alu instid0(VALU_DEP_2)
	v_dual_fmac_f32 v31, v189, v108 :: v_dual_add_f32 v11, v11, v55
	s_wait_loadcnt_dscnt 0x502
	v_dual_mov_b32 v86, v137 :: v_dual_mul_f32 v51, v208, v129
	s_wait_dscnt 0x1
	v_mul_f32_e32 v53, v210, v131
	v_dual_mul_f32 v25, v199, v119 :: v_dual_fma_f32 v21, v194, v114, -v21
	v_add_f32_e32 v11, v11, v13
	v_dual_fmac_f32 v29, v187, v106 :: v_dual_fmac_f32 v39, v197, v116
	v_dual_fmac_f32 v51, v209, v128 :: v_dual_mul_f32 v13, v203, v123
	s_delay_alu instid0(VALU_DEP_3) | instskip(SKIP_1) | instid1(VALU_DEP_2)
	v_dual_add_f32 v11, v11, v15 :: v_dual_mul_f32 v15, v205, v125
	v_dual_fmac_f32 v33, v191, v110 :: v_dual_fma_f32 v27, v200, v120, -v27
	v_dual_fma_f32 v25, v198, v118, -v25 :: v_dual_add_f32 v11, v11, v17
	s_delay_alu instid0(VALU_DEP_3)
	v_fma_f32 v15, v204, v124, -v15
	s_wait_loadcnt 0x4
	v_pk_mul_f32 v[88:89], v[154:155], v[138:139] op_sel:[1,1] op_sel_hi:[0,1]
	v_dual_mul_f32 v47, v204, v125 :: v_dual_mul_f32 v49, v206, v127
	v_dual_add_f32 v11, v11, v19 :: v_dual_mul_f32 v19, v209, v129
	s_wait_loadcnt 0x3
	v_dual_add_f32 v7, v7, v29 :: v_dual_mov_b32 v96, v145
	v_pk_fma_f32 v[100:101], v[154:155], v[138:139], v[88:89] op_sel_hi:[1,0,1]
	s_delay_alu instid0(VALU_DEP_3) | instskip(SKIP_3) | instid1(VALU_DEP_4)
	v_add_f32_e32 v11, v11, v21
	v_pk_fma_f32 v[88:89], v[154:155], v[138:139], v[88:89] neg_lo:[0,0,1] neg_hi:[0,0,1]
	v_dual_mul_f32 v17, v207, v127 :: v_dual_fmac_f32 v49, v207, v126
	v_dual_fmac_f32 v37, v195, v114 :: v_dual_mov_b32 v90, v141
	v_dual_add_f32 v11, v11, v23 :: v_dual_mul_f32 v23, v213, v133
	v_dual_add_f32 v7, v7, v31 :: v_dual_fma_f32 v13, v202, v122, -v13
	s_delay_alu instid0(VALU_DEP_2) | instskip(NEXT) | instid1(VALU_DEP_2)
	v_dual_fmac_f32 v47, v205, v124 :: v_dual_add_f32 v11, v11, v25
	v_dual_mov_b32 v89, v101 :: v_dual_add_f32 v7, v7, v33
	v_dual_mul_f32 v229, v212, v133 :: v_dual_mul_f32 v231, v150, v135
	s_delay_alu instid0(VALU_DEP_3) | instskip(SKIP_1) | instid1(VALU_DEP_4)
	v_add_f32_e32 v11, v11, v27
	v_dual_fmac_f32 v41, v199, v118 :: v_dual_fma_f32 v228, v212, v132, -v23
	v_add_f32_e32 v7, v7, v35
	s_delay_alu instid0(VALU_DEP_4) | instskip(NEXT) | instid1(VALU_DEP_4)
	v_dual_mul_f32 v25, v151, v135 :: v_dual_fmac_f32 v231, v151, v134
	v_dual_add_f32 v11, v11, v13 :: v_dual_fma_f32 v13, v206, v126, -v17
	s_delay_alu instid0(VALU_DEP_3) | instskip(SKIP_1) | instid1(VALU_DEP_3)
	v_dual_add_f32 v7, v7, v37 :: v_dual_fmac_f32 v229, v213, v132
	v_pk_mul_f32 v[90:91], v[222:223], v[90:91] op_sel_hi:[1,0]
	v_dual_add_f32 v11, v11, v15 :: v_dual_fma_f32 v15, v208, v128, -v19
	s_delay_alu instid0(VALU_DEP_3) | instskip(NEXT) | instid1(VALU_DEP_3)
	v_dual_add_f32 v7, v7, v39 :: v_dual_fma_f32 v230, v150, v134, -v25
	v_pk_fma_f32 v[100:101], v[156:157], v[140:141], v[90:91] op_sel_hi:[1,0,1]
	v_fmac_f32_e32 v45, v203, v122
	v_pk_fma_f32 v[90:91], v[156:157], v[140:141], v[90:91] neg_lo:[0,0,1] neg_hi:[0,0,1]
	s_delay_alu instid0(VALU_DEP_4) | instskip(SKIP_2) | instid1(VALU_DEP_2)
	v_add_f32_e32 v7, v7, v41
	v_dual_mul_f32 v21, v211, v131 :: v_dual_fmac_f32 v53, v211, v130
	v_dual_mov_b32 v91, v101 :: v_dual_add_f32 v11, v11, v13
	v_dual_add_f32 v7, v7, v43 :: v_dual_fma_f32 v13, v210, v130, -v21
	v_pk_mul_f32 v[86:87], v[220:221], v[86:87] op_sel_hi:[1,0]
	v_pk_mul_f32 v[92:93], v[158:159], v[142:143] op_sel:[1,1] op_sel_hi:[0,1]
	s_delay_alu instid0(VALU_DEP_4) | instskip(NEXT) | instid1(VALU_DEP_4)
	v_add_f32_e32 v11, v11, v15
	v_add_f32_e32 v7, v7, v45
	v_pk_mul_f32 v[96:97], v[224:225], v[96:97] op_sel_hi:[1,0]
	v_pk_fma_f32 v[98:99], v[152:153], v[136:137], v[86:87] op_sel_hi:[1,0,1]
	v_pk_fma_f32 v[86:87], v[152:153], v[136:137], v[86:87] neg_lo:[0,0,1] neg_hi:[0,0,1]
	v_add_f32_e32 v94, v11, v13
	v_add_f32_e32 v7, v7, v47
	s_delay_alu instid0(VALU_DEP_4) | instskip(SKIP_2) | instid1(VALU_DEP_3)
	v_mov_b32_e32 v87, v99
	s_wait_loadcnt 0x2
	v_pk_mul_f32 v[98:99], v[162:163], v[146:147] op_sel:[1,1] op_sel_hi:[0,1]
	v_add_f32_e32 v7, v7, v49
	s_delay_alu instid0(VALU_DEP_1) | instskip(NEXT) | instid1(VALU_DEP_1)
	v_add_f32_e32 v7, v7, v51
	v_add_f32_e32 v95, v7, v53
	s_delay_alu instid0(VALU_DEP_1) | instskip(NEXT) | instid1(VALU_DEP_1)
	v_pk_add_f32 v[94:95], v[94:95], v[228:229]
	v_pk_add_f32 v[94:95], v[94:95], v[230:231]
	s_delay_alu instid0(VALU_DEP_1) | instskip(SKIP_2) | instid1(VALU_DEP_3)
	v_pk_add_f32 v[86:87], v[94:95], v[86:87]
	v_pk_fma_f32 v[94:95], v[158:159], v[142:143], v[92:93] op_sel_hi:[1,0,1]
	v_pk_fma_f32 v[92:93], v[158:159], v[142:143], v[92:93] neg_lo:[0,0,1] neg_hi:[0,0,1]
	v_pk_add_f32 v[86:87], v[86:87], v[88:89]
	s_delay_alu instid0(VALU_DEP_3) | instskip(SKIP_2) | instid1(VALU_DEP_4)
	v_dual_mov_b32 v88, v149 :: v_dual_mov_b32 v93, v95
	v_pk_fma_f32 v[94:95], v[160:161], v[144:145], v[96:97] op_sel_hi:[1,0,1]
	v_pk_fma_f32 v[96:97], v[160:161], v[144:145], v[96:97] neg_lo:[0,0,1] neg_hi:[0,0,1]
	v_pk_add_f32 v[86:87], v[86:87], v[90:91]
	v_pk_fma_f32 v[90:91], v[162:163], v[146:147], v[98:99] op_sel_hi:[1,0,1]
	v_pk_mul_f32 v[88:89], v[226:227], v[88:89] op_sel_hi:[1,0]
	v_mov_b32_e32 v97, v95
	s_wait_loadcnt_dscnt 0x100
	v_pk_mul_f32 v[94:95], v[218:219], v[214:215] op_sel:[1,1] op_sel_hi:[0,1]
	v_pk_add_f32 v[86:87], v[86:87], v[92:93]
	v_pk_fma_f32 v[92:93], v[162:163], v[146:147], v[98:99] neg_lo:[0,0,1] neg_hi:[0,0,1]
	v_mov_b32_e32 v93, v91
	v_pk_fma_f32 v[90:91], v[164:165], v[148:149], v[88:89] op_sel_hi:[1,0,1]
	v_pk_fma_f32 v[88:89], v[164:165], v[148:149], v[88:89] neg_lo:[0,0,1] neg_hi:[0,0,1]
	v_pk_add_f32 v[86:87], v[86:87], v[96:97]
	s_delay_alu instid0(VALU_DEP_3) | instskip(SKIP_1) | instid1(VALU_DEP_3)
	v_mov_b32_e32 v89, v91
	v_pk_fma_f32 v[90:91], v[218:219], v[214:215], v[94:95] op_sel_hi:[1,0,1]
	v_pk_add_f32 v[86:87], v[86:87], v[92:93]
	v_pk_fma_f32 v[92:93], v[218:219], v[214:215], v[94:95] neg_lo:[0,0,1] neg_hi:[0,0,1]
	s_delay_alu instid0(VALU_DEP_3) | instskip(NEXT) | instid1(VALU_DEP_3)
	v_mov_b32_e32 v93, v91
	v_pk_add_f32 v[86:87], v[86:87], v[88:89]
	s_delay_alu instid0(VALU_DEP_1) | instskip(SKIP_1) | instid1(VALU_DEP_1)
	v_pk_add_f32 v[86:87], v[86:87], v[92:93]
	s_wait_loadcnt 0x0
	v_pk_add_f32 v[86:87], v[216:217], v[86:87] neg_lo:[0,1] neg_hi:[0,1]
	scratch_store_b64 off, v[86:87], off offset:64
	s_wait_xcnt 0x0
	v_cmpx_lt_u32_e32 7, v0
	s_cbranch_execz .LBB41_251
; %bb.250:
	scratch_load_b64 v[86:87], off, off offset:56
	v_mov_b64_e32 v[88:89], 0
	scratch_store_b64 off, v[88:89], off offset:56
	s_wait_loadcnt 0x0
	ds_store_b64 v1, v[86:87]
.LBB41_251:
	s_wait_xcnt 0x0
	s_or_b32 exec_lo, exec_lo, s0
	s_wait_storecnt_dscnt 0x0
	s_barrier_signal -1
	s_barrier_wait -1
	s_clause 0x11
	scratch_load_b128 v[86:89], off, off offset:64
	scratch_load_b128 v[90:93], off, off offset:80
	;; [unrolled: 1-line block ×17, first 2 shown]
	scratch_load_b64 v[222:223], off, off offset:56
	ds_load_b128 v[154:157], v5 offset:608
	ds_load_b128 v[158:161], v5 offset:624
	;; [unrolled: 1-line block ×17, first 2 shown]
	s_mov_b32 s0, exec_lo
	s_wait_dscnt 0x10
	v_dual_mov_b32 v224, v157 :: v_dual_mov_b32 v225, v156
	s_wait_dscnt 0xf
	v_dual_mov_b32 v226, v161 :: v_dual_mov_b32 v227, v160
	s_wait_dscnt 0xe
	v_dual_mov_b32 v228, v165 :: v_dual_mov_b32 v229, v164
	s_wait_dscnt 0xd
	v_dual_mov_b32 v230, v169 :: v_dual_mov_b32 v231, v168
	s_wait_loadcnt_dscnt 0x110b
	v_dual_mul_f32 v5, v174, v87 :: v_dual_mul_f32 v7, v176, v89
	v_dual_mul_f32 v55, v175, v87 :: v_dual_mul_f32 v57, v177, v89
	s_wait_loadcnt_dscnt 0x100a
	v_dual_mul_f32 v11, v178, v91 :: v_dual_mul_f32 v13, v180, v93
	s_delay_alu instid0(VALU_DEP_2) | instskip(SKIP_3) | instid1(VALU_DEP_3)
	v_dual_fmac_f32 v5, v175, v86 :: v_dual_fma_f32 v55, v174, v86, -v55
	v_dual_mul_f32 v59, v179, v91 :: v_dual_mul_f32 v61, v181, v93
	s_wait_loadcnt_dscnt 0xe08
	v_dual_mul_f32 v67, v187, v99 :: v_dual_fmac_f32 v7, v177, v88
	v_dual_fma_f32 v57, v176, v88, -v57 :: v_dual_add_f32 v5, 0, v5
	v_dual_add_f32 v55, 0, v55 :: v_dual_mul_f32 v69, v189, v101
	v_fmac_f32_e32 v11, v179, v90
	s_delay_alu instid0(VALU_DEP_3) | instskip(NEXT) | instid1(VALU_DEP_3)
	v_dual_fma_f32 v59, v178, v90, -v59 :: v_dual_add_f32 v5, v5, v7
	v_dual_add_f32 v7, v55, v57 :: v_dual_mul_f32 v15, v182, v95
	v_dual_mul_f32 v17, v184, v97 :: v_dual_mul_f32 v63, v183, v95
	s_wait_loadcnt_dscnt 0xd07
	v_dual_mul_f32 v65, v185, v97 :: v_dual_mul_f32 v55, v191, v103
	v_fmac_f32_e32 v13, v181, v92
	v_dual_fma_f32 v57, v180, v92, -v61 :: v_dual_add_f32 v5, v5, v11
	v_dual_add_f32 v7, v7, v59 :: v_dual_mul_f32 v11, v193, v105
	v_fmac_f32_e32 v15, v183, v94
	s_delay_alu instid0(VALU_DEP_3) | instskip(NEXT) | instid1(VALU_DEP_3)
	v_dual_fma_f32 v59, v182, v94, -v63 :: v_dual_add_f32 v5, v5, v13
	v_dual_add_f32 v7, v7, v57 :: v_dual_mul_f32 v19, v186, v99
	s_wait_loadcnt_dscnt 0xc06
	v_dual_mul_f32 v21, v188, v101 :: v_dual_mul_f32 v13, v195, v107
	v_fmac_f32_e32 v17, v185, v96
	v_dual_fma_f32 v57, v184, v96, -v65 :: v_dual_add_f32 v5, v5, v15
	v_dual_add_f32 v7, v7, v59 :: v_dual_mul_f32 v15, v197, v109
	v_fmac_f32_e32 v19, v187, v98
	s_delay_alu instid0(VALU_DEP_3) | instskip(NEXT) | instid1(VALU_DEP_3)
	v_dual_fma_f32 v59, v186, v98, -v67 :: v_dual_add_f32 v5, v5, v17
	v_dual_add_f32 v7, v7, v57 :: v_dual_mul_f32 v23, v190, v103
	;; [unrolled: 9-line block ×3, first 2 shown]
	s_wait_loadcnt_dscnt 0xa04
	v_dual_mul_f32 v29, v196, v109 :: v_dual_mul_f32 v21, v203, v115
	v_dual_fmac_f32 v25, v193, v104 :: v_dual_fma_f32 v11, v192, v104, -v11
	v_add_f32_e32 v5, v5, v23
	v_dual_add_f32 v7, v7, v55 :: v_dual_mul_f32 v23, v205, v117
	v_dual_fmac_f32 v27, v195, v106 :: v_dual_fma_f32 v13, v194, v106, -v13
	s_delay_alu instid0(VALU_DEP_2) | instskip(SKIP_3) | instid1(VALU_DEP_3)
	v_dual_add_f32 v5, v5, v25 :: v_dual_add_f32 v7, v7, v11
	v_dual_mul_f32 v31, v198, v111 :: v_dual_mul_f32 v33, v200, v113
	s_wait_loadcnt_dscnt 0x903
	v_dual_mul_f32 v11, v207, v119 :: v_dual_fmac_f32 v29, v197, v108
	v_dual_fma_f32 v15, v196, v108, -v15 :: v_dual_add_f32 v5, v5, v27
	v_dual_add_f32 v7, v7, v13 :: v_dual_fma_f32 v17, v198, v110, -v17
	v_dual_mul_f32 v13, v209, v121 :: v_dual_fmac_f32 v31, v199, v110
	s_delay_alu instid0(VALU_DEP_2) | instskip(SKIP_3) | instid1(VALU_DEP_3)
	v_dual_add_f32 v5, v5, v29 :: v_dual_add_f32 v7, v7, v15
	v_dual_mul_f32 v35, v202, v115 :: v_dual_mul_f32 v37, v204, v117
	s_wait_loadcnt_dscnt 0x802
	v_dual_mul_f32 v15, v211, v123 :: v_dual_fmac_f32 v33, v201, v112
	v_dual_fma_f32 v19, v200, v112, -v19 :: v_dual_add_f32 v5, v5, v31
	v_dual_add_f32 v7, v7, v17 :: v_dual_fma_f32 v21, v202, v114, -v21
	v_dual_mul_f32 v17, v213, v125 :: v_dual_fmac_f32 v35, v203, v114
	;; [unrolled: 8-line block ×3, first 2 shown]
	s_delay_alu instid0(VALU_DEP_2) | instskip(SKIP_3) | instid1(VALU_DEP_3)
	v_dual_add_f32 v5, v5, v37 :: v_dual_add_f32 v7, v7, v23
	v_dual_mul_f32 v43, v210, v123 :: v_dual_mul_f32 v45, v212, v125
	s_wait_loadcnt_dscnt 0x600
	v_dual_mul_f32 v23, v219, v131 :: v_dual_fmac_f32 v41, v209, v120
	v_dual_fma_f32 v13, v208, v120, -v13 :: v_dual_add_f32 v5, v5, v39
	v_dual_add_f32 v7, v7, v11 :: v_dual_mul_f32 v11, v221, v133
	v_fmac_f32_e32 v43, v211, v122
	s_delay_alu instid0(VALU_DEP_3) | instskip(NEXT) | instid1(VALU_DEP_3)
	v_dual_fma_f32 v15, v210, v122, -v15 :: v_dual_add_f32 v5, v5, v41
	v_dual_add_f32 v7, v7, v13 :: v_dual_mul_f32 v47, v214, v127
	s_wait_loadcnt 0x5
	v_dual_mul_f32 v49, v216, v129 :: v_dual_mul_f32 v13, v171, v135
	v_fmac_f32_e32 v45, v213, v124
	v_dual_fma_f32 v17, v212, v124, -v17 :: v_dual_add_f32 v5, v5, v43
	v_dual_add_f32 v7, v7, v15 :: v_dual_mul_f32 v15, v173, v137
	v_fmac_f32_e32 v47, v215, v126
	s_delay_alu instid0(VALU_DEP_3) | instskip(NEXT) | instid1(VALU_DEP_3)
	v_dual_fma_f32 v19, v214, v126, -v19 :: v_dual_add_f32 v5, v5, v45
	v_dual_add_f32 v7, v7, v17 :: v_dual_mul_f32 v51, v218, v131
	v_dual_mul_f32 v53, v220, v133 :: v_dual_fmac_f32 v49, v217, v128
	s_delay_alu instid0(VALU_DEP_3) | instskip(SKIP_1) | instid1(VALU_DEP_3)
	v_dual_fma_f32 v17, v216, v128, -v21 :: v_dual_add_f32 v5, v5, v47
	s_wait_loadcnt 0x4
	v_dual_add_f32 v7, v7, v19 :: v_dual_mov_b32 v88, v141
	v_fmac_f32_e32 v51, v219, v130
	s_delay_alu instid0(VALU_DEP_3) | instskip(NEXT) | instid1(VALU_DEP_3)
	v_dual_fma_f32 v19, v218, v130, -v23 :: v_dual_add_f32 v5, v5, v49
	v_dual_add_f32 v7, v7, v17 :: v_dual_fmac_f32 v53, v221, v132
	v_dual_mul_f32 v233, v170, v135 :: v_dual_mul_f32 v235, v172, v137
	s_delay_alu instid0(VALU_DEP_3) | instskip(SKIP_1) | instid1(VALU_DEP_3)
	v_dual_fma_f32 v11, v220, v132, -v11 :: v_dual_add_f32 v5, v5, v51
	s_wait_loadcnt 0x3
	v_dual_add_f32 v7, v7, v19 :: v_dual_mov_b32 v92, v145
	v_pk_mul_f32 v[86:87], v[154:155], v[138:139] op_sel:[1,1] op_sel_hi:[0,1]
	s_delay_alu instid0(VALU_DEP_3) | instskip(NEXT) | instid1(VALU_DEP_3)
	v_dual_fmac_f32 v233, v171, v134 :: v_dual_add_f32 v95, v5, v53
	v_dual_fma_f32 v232, v170, v134, -v13 :: v_dual_add_f32 v94, v7, v11
	v_fmac_f32_e32 v235, v173, v136
	s_delay_alu instid0(VALU_DEP_4)
	v_pk_fma_f32 v[96:97], v[154:155], v[138:139], v[86:87] op_sel_hi:[1,0,1]
	v_fma_f32 v234, v172, v136, -v15
	v_pk_mul_f32 v[88:89], v[224:225], v[88:89] op_sel_hi:[1,0]
	v_pk_add_f32 v[94:95], v[94:95], v[232:233]
	v_pk_fma_f32 v[86:87], v[154:155], v[138:139], v[86:87] neg_lo:[0,0,1] neg_hi:[0,0,1]
	v_pk_mul_f32 v[90:91], v[158:159], v[142:143] op_sel:[1,1] op_sel_hi:[0,1]
	v_mov_b32_e32 v87, v97
	v_pk_fma_f32 v[96:97], v[156:157], v[140:141], v[88:89] op_sel_hi:[1,0,1]
	v_pk_add_f32 v[94:95], v[94:95], v[234:235]
	v_pk_fma_f32 v[88:89], v[156:157], v[140:141], v[88:89] neg_lo:[0,0,1] neg_hi:[0,0,1]
	v_pk_fma_f32 v[100:101], v[158:159], v[142:143], v[90:91] op_sel_hi:[1,0,1]
	v_pk_mul_f32 v[92:93], v[226:227], v[92:93] op_sel_hi:[1,0]
	v_mov_b32_e32 v89, v97
	v_pk_add_f32 v[86:87], v[94:95], v[86:87]
	s_wait_loadcnt 0x2
	v_pk_mul_f32 v[98:99], v[162:163], v[146:147] op_sel:[1,1] op_sel_hi:[0,1]
	v_mov_b32_e32 v94, v149
	v_pk_fma_f32 v[90:91], v[158:159], v[142:143], v[90:91] neg_lo:[0,0,1] neg_hi:[0,0,1]
	v_pk_fma_f32 v[96:97], v[160:161], v[144:145], v[92:93] op_sel_hi:[1,0,1]
	v_mov_b32_e32 v91, v101
	v_pk_add_f32 v[86:87], v[86:87], v[88:89]
	v_pk_fma_f32 v[88:89], v[162:163], v[146:147], v[98:99] op_sel_hi:[1,0,1]
	v_pk_mul_f32 v[94:95], v[228:229], v[94:95] op_sel_hi:[1,0]
	v_pk_fma_f32 v[92:93], v[160:161], v[144:145], v[92:93] neg_lo:[0,0,1] neg_hi:[0,0,1]
	v_mov_b32_e32 v93, v97
	v_pk_add_f32 v[86:87], v[86:87], v[90:91]
	v_pk_fma_f32 v[96:97], v[162:163], v[146:147], v[98:99] neg_lo:[0,0,1] neg_hi:[0,0,1]
	v_mov_b32_e32 v97, v89
	v_pk_fma_f32 v[88:89], v[164:165], v[148:149], v[94:95] op_sel_hi:[1,0,1]
	s_wait_loadcnt 0x1
	v_pk_mul_f32 v[90:91], v[166:167], v[150:151] op_sel:[1,1] op_sel_hi:[0,1]
	v_pk_add_f32 v[86:87], v[86:87], v[92:93]
	v_mov_b32_e32 v88, v153
	v_pk_fma_f32 v[94:95], v[164:165], v[148:149], v[94:95] neg_lo:[0,0,1] neg_hi:[0,0,1]
	s_delay_alu instid0(VALU_DEP_4)
	v_pk_fma_f32 v[92:93], v[166:167], v[150:151], v[90:91] op_sel_hi:[1,0,1]
	v_mov_b32_e32 v95, v89
	v_pk_add_f32 v[86:87], v[86:87], v[96:97]
	v_pk_mul_f32 v[88:89], v[230:231], v[88:89] op_sel_hi:[1,0]
	v_pk_fma_f32 v[90:91], v[166:167], v[150:151], v[90:91] neg_lo:[0,0,1] neg_hi:[0,0,1]
	v_mov_b32_e32 v91, v93
	s_delay_alu instid0(VALU_DEP_4) | instskip(NEXT) | instid1(VALU_DEP_4)
	v_pk_add_f32 v[86:87], v[86:87], v[94:95]
	v_pk_fma_f32 v[92:93], v[168:169], v[152:153], v[88:89] op_sel_hi:[1,0,1]
	v_pk_fma_f32 v[88:89], v[168:169], v[152:153], v[88:89] neg_lo:[0,0,1] neg_hi:[0,0,1]
	s_delay_alu instid0(VALU_DEP_3) | instskip(NEXT) | instid1(VALU_DEP_3)
	v_pk_add_f32 v[86:87], v[86:87], v[90:91]
	v_mov_b32_e32 v89, v93
	s_delay_alu instid0(VALU_DEP_1) | instskip(SKIP_1) | instid1(VALU_DEP_1)
	v_pk_add_f32 v[86:87], v[86:87], v[88:89]
	s_wait_loadcnt 0x0
	v_pk_add_f32 v[86:87], v[222:223], v[86:87] neg_lo:[0,1] neg_hi:[0,1]
	scratch_store_b64 off, v[86:87], off offset:56
	s_wait_xcnt 0x0
	v_cmpx_lt_u32_e32 6, v0
	s_cbranch_execz .LBB41_253
; %bb.252:
	scratch_load_b64 v[86:87], off, off offset:48
	v_mov_b64_e32 v[88:89], 0
	scratch_store_b64 off, v[88:89], off offset:48
	s_wait_loadcnt 0x0
	ds_store_b64 v1, v[86:87]
.LBB41_253:
	s_wait_xcnt 0x0
	s_or_b32 exec_lo, exec_lo, s0
	s_wait_storecnt_dscnt 0x0
	s_barrier_signal -1
	s_barrier_wait -1
	s_clause 0x12
	scratch_load_b128 v[86:89], off, off offset:56
	scratch_load_b128 v[90:93], off, off offset:72
	;; [unrolled: 1-line block ×17, first 2 shown]
	scratch_load_b64 v[222:223], off, off offset:328
	scratch_load_b64 v[224:225], off, off offset:48
	v_mov_b32_e32 v5, 0
	ds_load_2addr_b64 v[154:157], v5 offset0:75 offset1:76
	ds_load_2addr_b64 v[158:161], v5 offset0:77 offset1:78
	ds_load_2addr_b64 v[162:165], v5 offset0:79 offset1:80
	ds_load_2addr_b64 v[166:169], v5 offset0:73 offset1:74
	ds_load_2addr_b64 v[170:173], v5 offset0:81 offset1:82
	ds_load_2addr_b64 v[174:177], v5 offset0:49 offset1:50
	ds_load_2addr_b64 v[178:181], v5 offset0:51 offset1:52
	ds_load_2addr_b64 v[182:185], v5 offset0:53 offset1:54
	ds_load_2addr_b64 v[186:189], v5 offset0:55 offset1:56
	ds_load_2addr_b64 v[190:193], v5 offset0:57 offset1:58
	ds_load_2addr_b64 v[194:197], v5 offset0:59 offset1:60
	ds_load_2addr_b64 v[198:201], v5 offset0:61 offset1:62
	ds_load_2addr_b64 v[202:205], v5 offset0:63 offset1:64
	ds_load_2addr_b64 v[206:209], v5 offset0:65 offset1:66
	ds_load_2addr_b64 v[210:213], v5 offset0:67 offset1:68
	ds_load_2addr_b64 v[214:217], v5 offset0:69 offset1:70
	ds_load_2addr_b64 v[218:221], v5 offset0:71 offset1:72
	ds_load_b64 v[226:227], v5 offset:664
	s_mov_b32 s0, exec_lo
	s_wait_dscnt 0x11
	v_dual_mov_b32 v228, v157 :: v_dual_mov_b32 v229, v156
	s_wait_dscnt 0x10
	v_dual_mov_b32 v230, v161 :: v_dual_mov_b32 v231, v160
	;; [unrolled: 2-line block ×3, first 2 shown]
	v_dual_mov_b32 v233, v164 :: v_dual_mov_b32 v234, v173
	s_wait_loadcnt_dscnt 0x120c
	v_dual_mul_f32 v7, v174, v87 :: v_dual_mul_f32 v11, v176, v89
	s_wait_loadcnt_dscnt 0x110b
	v_mul_f32_e32 v13, v178, v91
	v_dual_mul_f32 v59, v175, v87 :: v_dual_mul_f32 v61, v177, v89
	s_wait_loadcnt_dscnt 0xf09
	v_dual_fmac_f32 v7, v175, v86 :: v_dual_mul_f32 v73, v189, v101
	s_delay_alu instid0(VALU_DEP_2) | instskip(NEXT) | instid1(VALU_DEP_3)
	v_dual_mul_f32 v71, v187, v99 :: v_dual_fma_f32 v59, v174, v86, -v59
	v_dual_fmac_f32 v11, v177, v88 :: v_dual_fma_f32 v61, v176, v88, -v61
	s_delay_alu instid0(VALU_DEP_3) | instskip(SKIP_3) | instid1(VALU_DEP_3)
	v_dual_add_f32 v7, 0, v7 :: v_dual_fmac_f32 v13, v179, v90
	v_dual_mul_f32 v15, v180, v93 :: v_dual_mul_f32 v17, v182, v95
	v_dual_mul_f32 v63, v179, v91 :: v_dual_mul_f32 v65, v181, v93
	v_add_f32_e32 v59, 0, v59
	v_dual_add_f32 v7, v7, v11 :: v_dual_fmac_f32 v15, v181, v92
	v_dual_mul_f32 v67, v183, v95 :: v_dual_mul_f32 v69, v185, v97
	s_delay_alu instid0(VALU_DEP_3) | instskip(NEXT) | instid1(VALU_DEP_3)
	v_dual_fma_f32 v63, v178, v90, -v63 :: v_dual_add_f32 v11, v59, v61
	v_dual_fma_f32 v61, v180, v92, -v65 :: v_dual_add_f32 v7, v7, v13
	v_dual_mul_f32 v19, v184, v97 :: v_dual_mul_f32 v21, v186, v99
	s_delay_alu instid0(VALU_DEP_3) | instskip(SKIP_1) | instid1(VALU_DEP_4)
	v_add_f32_e32 v11, v11, v63
	v_dual_fmac_f32 v17, v183, v94 :: v_dual_fma_f32 v63, v182, v94, -v67
	v_dual_add_f32 v7, v7, v15 :: v_dual_mul_f32 v23, v188, v101
	s_wait_loadcnt_dscnt 0xe08
	v_mul_f32_e32 v25, v190, v103
	s_wait_loadcnt_dscnt 0xd07
	v_dual_mul_f32 v13, v195, v107 :: v_dual_fmac_f32 v19, v185, v96
	v_mul_f32_e32 v15, v197, v109
	v_dual_add_f32 v11, v11, v61 :: v_dual_fma_f32 v61, v184, v96, -v69
	v_dual_add_f32 v7, v7, v17 :: v_dual_fmac_f32 v23, v189, v100
	v_dual_mul_f32 v27, v192, v105 :: v_dual_mul_f32 v29, v194, v107
	s_delay_alu instid0(VALU_DEP_3) | instskip(SKIP_1) | instid1(VALU_DEP_3)
	v_add_f32_e32 v11, v11, v63
	v_fmac_f32_e32 v21, v187, v98
	v_dual_add_f32 v7, v7, v19 :: v_dual_fmac_f32 v27, v193, v104
	v_dual_mul_f32 v75, v191, v103 :: v_dual_mul_f32 v59, v193, v105
	s_delay_alu instid0(VALU_DEP_4) | instskip(NEXT) | instid1(VALU_DEP_3)
	v_dual_fma_f32 v63, v186, v98, -v71 :: v_dual_add_f32 v11, v11, v61
	v_dual_add_f32 v7, v7, v21 :: v_dual_fma_f32 v13, v194, v106, -v13
	s_wait_loadcnt_dscnt 0xc06
	v_mul_f32_e32 v17, v199, v111
	v_dual_fmac_f32 v25, v191, v102 :: v_dual_fma_f32 v15, v196, v108, -v15
	v_dual_fma_f32 v59, v192, v104, -v59 :: v_dual_add_f32 v11, v11, v63
	v_dual_fma_f32 v63, v190, v102, -v75 :: v_dual_add_f32 v7, v7, v23
	s_delay_alu instid0(VALU_DEP_4) | instskip(SKIP_3) | instid1(VALU_DEP_3)
	v_dual_fma_f32 v17, v198, v110, -v17 :: v_dual_mul_f32 v19, v201, v113
	v_fma_f32 v61, v188, v100, -v73
	s_wait_loadcnt_dscnt 0xb05
	v_dual_mul_f32 v35, v200, v113 :: v_dual_mul_f32 v37, v202, v115
	v_dual_add_f32 v7, v7, v25 :: v_dual_fma_f32 v19, v200, v112, -v19
	s_wait_loadcnt_dscnt 0xa04
	v_dual_mul_f32 v39, v204, v117 :: v_dual_mul_f32 v41, v206, v119
	s_delay_alu instid0(VALU_DEP_2)
	v_dual_fmac_f32 v35, v201, v112 :: v_dual_add_f32 v7, v7, v27
	v_mul_f32_e32 v27, v209, v121
	v_add_f32_e32 v11, v11, v61
	v_mul_f32_e32 v23, v205, v117
	s_wait_loadcnt_dscnt 0x903
	v_dual_mul_f32 v43, v208, v121 :: v_dual_mul_f32 v45, v210, v123
	v_dual_mul_f32 v31, v196, v109 :: v_dual_mul_f32 v33, v198, v111
	s_delay_alu instid0(VALU_DEP_3) | instskip(NEXT) | instid1(VALU_DEP_3)
	v_dual_add_f32 v11, v11, v63 :: v_dual_fma_f32 v23, v204, v116, -v23
	v_dual_fmac_f32 v43, v209, v120 :: v_dual_mul_f32 v21, v203, v115
	s_delay_alu instid0(VALU_DEP_2) | instskip(SKIP_2) | instid1(VALU_DEP_3)
	v_dual_fmac_f32 v31, v197, v108 :: v_dual_add_f32 v11, v11, v59
	s_wait_loadcnt_dscnt 0x701
	v_dual_mul_f32 v51, v216, v129 :: v_dual_mul_f32 v53, v218, v131
	v_dual_mul_f32 v25, v207, v119 :: v_dual_fma_f32 v21, v202, v114, -v21
	s_delay_alu instid0(VALU_DEP_3) | instskip(NEXT) | instid1(VALU_DEP_3)
	v_add_f32_e32 v11, v11, v13
	v_dual_fmac_f32 v29, v195, v106 :: v_dual_fmac_f32 v51, v217, v128
	s_delay_alu instid0(VALU_DEP_3) | instskip(NEXT) | instid1(VALU_DEP_3)
	v_dual_fmac_f32 v39, v205, v116 :: v_dual_fma_f32 v25, v206, v118, -v25
	v_dual_add_f32 v11, v11, v15 :: v_dual_mul_f32 v15, v213, v125
	s_wait_loadcnt 0x5
	v_dual_mul_f32 v237, v168, v137 :: v_dual_mul_f32 v239, v154, v139
	v_mul_f32_e32 v13, v211, v123
	s_delay_alu instid0(VALU_DEP_3) | instskip(SKIP_2) | instid1(VALU_DEP_3)
	v_dual_add_f32 v11, v11, v17 :: v_dual_fma_f32 v15, v212, v124, -v15
	v_dual_fmac_f32 v33, v199, v110 :: v_dual_fma_f32 v27, v208, v120, -v27
	v_dual_mul_f32 v47, v212, v125 :: v_dual_mul_f32 v49, v214, v127
	v_dual_add_f32 v11, v11, v19 :: v_dual_mul_f32 v19, v217, v129
	v_dual_add_f32 v7, v7, v29 :: v_dual_fmac_f32 v237, v169, v136
	s_delay_alu instid0(VALU_DEP_3) | instskip(NEXT) | instid1(VALU_DEP_3)
	v_dual_mul_f32 v17, v215, v127 :: v_dual_fmac_f32 v49, v215, v126
	v_add_f32_e32 v11, v11, v21
	v_dual_fmac_f32 v37, v203, v114 :: v_dual_mov_b32 v86, v141
	s_delay_alu instid0(VALU_DEP_3) | instskip(NEXT) | instid1(VALU_DEP_3)
	v_dual_fmac_f32 v47, v213, v124 :: v_dual_fma_f32 v17, v214, v126, -v17
	v_dual_add_f32 v11, v11, v23 :: v_dual_mul_f32 v23, v221, v133
	v_dual_add_f32 v7, v7, v31 :: v_dual_fma_f32 v13, v210, v122, -v13
	v_dual_mul_f32 v55, v220, v133 :: v_dual_mul_f32 v57, v166, v135
	s_delay_alu instid0(VALU_DEP_3) | instskip(NEXT) | instid1(VALU_DEP_3)
	v_add_f32_e32 v11, v11, v25
	v_add_f32_e32 v7, v7, v33
	v_dual_mul_f32 v21, v219, v131 :: v_dual_fmac_f32 v53, v219, v130
	s_wait_loadcnt 0x4
	v_dual_fmac_f32 v41, v207, v118 :: v_dual_mov_b32 v90, v145
	v_add_f32_e32 v11, v11, v27
	v_add_f32_e32 v7, v7, v35
	v_dual_mul_f32 v25, v167, v135 :: v_dual_fmac_f32 v57, v167, v134
	s_delay_alu instid0(VALU_DEP_3) | instskip(NEXT) | instid1(VALU_DEP_3)
	v_dual_fmac_f32 v55, v221, v132 :: v_dual_add_f32 v11, v11, v13
	v_add_f32_e32 v7, v7, v37
	v_dual_mul_f32 v27, v169, v137 :: v_dual_fmac_f32 v45, v211, v122
	v_pk_mul_f32 v[88:89], v[158:159], v[142:143] op_sel:[1,1] op_sel_hi:[0,1]
	s_delay_alu instid0(VALU_DEP_4) | instskip(NEXT) | instid1(VALU_DEP_3)
	v_dual_add_f32 v11, v11, v15 :: v_dual_fma_f32 v15, v216, v128, -v19
	v_dual_add_f32 v7, v7, v39 :: v_dual_fma_f32 v236, v168, v136, -v27
	s_wait_loadcnt 0x3
	s_delay_alu instid0(VALU_DEP_2) | instskip(NEXT) | instid1(VALU_DEP_2)
	v_dual_mov_b32 v96, v149 :: v_dual_add_f32 v11, v11, v17
	v_dual_fma_f32 v17, v218, v130, -v21 :: v_dual_add_f32 v7, v7, v41
	v_pk_fma_f32 v[100:101], v[158:159], v[142:143], v[88:89] op_sel_hi:[1,0,1]
	v_pk_fma_f32 v[88:89], v[158:159], v[142:143], v[88:89] neg_lo:[0,0,1] neg_hi:[0,0,1]
	s_delay_alu instid0(VALU_DEP_4) | instskip(SKIP_1) | instid1(VALU_DEP_2)
	v_dual_add_f32 v11, v11, v15 :: v_dual_fma_f32 v15, v220, v132, -v23
	v_dual_mul_f32 v13, v155, v139 :: v_dual_fmac_f32 v239, v155, v138
	v_dual_mov_b32 v89, v101 :: v_dual_add_f32 v11, v11, v17
	v_dual_fma_f32 v17, v166, v134, -v25 :: v_dual_add_f32 v7, v7, v43
	v_pk_mul_f32 v[86:87], v[228:229], v[86:87] op_sel_hi:[1,0]
	s_delay_alu instid0(VALU_DEP_3) | instskip(SKIP_1) | instid1(VALU_DEP_4)
	v_dual_fma_f32 v238, v154, v138, -v13 :: v_dual_add_f32 v11, v11, v15
	v_pk_mul_f32 v[90:91], v[230:231], v[90:91] op_sel_hi:[1,0]
	v_add_f32_e32 v7, v7, v45
	s_delay_alu instid0(VALU_DEP_4)
	v_pk_fma_f32 v[98:99], v[156:157], v[140:141], v[86:87] op_sel_hi:[1,0,1]
	v_pk_fma_f32 v[86:87], v[156:157], v[140:141], v[86:87] neg_lo:[0,0,1] neg_hi:[0,0,1]
	v_add_f32_e32 v94, v11, v17
	v_pk_mul_f32 v[92:93], v[162:163], v[146:147] op_sel:[1,1] op_sel_hi:[0,1]
	v_add_f32_e32 v7, v7, v47
	v_mov_b32_e32 v87, v99
	v_pk_fma_f32 v[100:101], v[160:161], v[144:145], v[90:91] op_sel_hi:[1,0,1]
	v_pk_fma_f32 v[90:91], v[160:161], v[144:145], v[90:91] neg_lo:[0,0,1] neg_hi:[0,0,1]
	v_pk_mul_f32 v[96:97], v[232:233], v[96:97] op_sel_hi:[1,0]
	v_add_f32_e32 v7, v7, v49
	s_wait_loadcnt 0x2
	v_pk_mul_f32 v[98:99], v[170:171], v[150:151] op_sel:[1,1] op_sel_hi:[0,1]
	s_delay_alu instid0(VALU_DEP_2) | instskip(NEXT) | instid1(VALU_DEP_1)
	v_dual_mov_b32 v91, v101 :: v_dual_add_f32 v7, v7, v51
	v_add_f32_e32 v7, v7, v53
	s_delay_alu instid0(VALU_DEP_1) | instskip(NEXT) | instid1(VALU_DEP_1)
	v_add_f32_e32 v7, v7, v55
	v_add_f32_e32 v95, v7, v57
	s_delay_alu instid0(VALU_DEP_1) | instskip(NEXT) | instid1(VALU_DEP_1)
	v_pk_add_f32 v[94:95], v[94:95], v[236:237]
	v_pk_add_f32 v[94:95], v[94:95], v[238:239]
	s_delay_alu instid0(VALU_DEP_1) | instskip(SKIP_2) | instid1(VALU_DEP_3)
	v_pk_add_f32 v[86:87], v[94:95], v[86:87]
	v_pk_fma_f32 v[94:95], v[162:163], v[146:147], v[92:93] op_sel_hi:[1,0,1]
	v_pk_fma_f32 v[92:93], v[162:163], v[146:147], v[92:93] neg_lo:[0,0,1] neg_hi:[0,0,1]
	v_pk_add_f32 v[86:87], v[86:87], v[88:89]
	s_delay_alu instid0(VALU_DEP_3) | instskip(SKIP_2) | instid1(VALU_DEP_4)
	v_dual_mov_b32 v88, v153 :: v_dual_mov_b32 v93, v95
	v_pk_fma_f32 v[94:95], v[164:165], v[148:149], v[96:97] op_sel_hi:[1,0,1]
	v_pk_fma_f32 v[96:97], v[164:165], v[148:149], v[96:97] neg_lo:[0,0,1] neg_hi:[0,0,1]
	v_pk_add_f32 v[86:87], v[86:87], v[90:91]
	v_pk_fma_f32 v[90:91], v[170:171], v[150:151], v[98:99] op_sel_hi:[1,0,1]
	v_pk_mul_f32 v[88:89], v[234:235], v[88:89] op_sel_hi:[1,0]
	v_mov_b32_e32 v97, v95
	s_wait_loadcnt_dscnt 0x100
	v_pk_mul_f32 v[94:95], v[226:227], v[222:223] op_sel:[1,1] op_sel_hi:[0,1]
	v_pk_add_f32 v[86:87], v[86:87], v[92:93]
	v_pk_fma_f32 v[92:93], v[170:171], v[150:151], v[98:99] neg_lo:[0,0,1] neg_hi:[0,0,1]
	v_mov_b32_e32 v93, v91
	v_pk_fma_f32 v[90:91], v[172:173], v[152:153], v[88:89] op_sel_hi:[1,0,1]
	v_pk_fma_f32 v[88:89], v[172:173], v[152:153], v[88:89] neg_lo:[0,0,1] neg_hi:[0,0,1]
	v_pk_add_f32 v[86:87], v[86:87], v[96:97]
	s_delay_alu instid0(VALU_DEP_3) | instskip(SKIP_1) | instid1(VALU_DEP_3)
	v_mov_b32_e32 v89, v91
	v_pk_fma_f32 v[90:91], v[226:227], v[222:223], v[94:95] op_sel_hi:[1,0,1]
	v_pk_add_f32 v[86:87], v[86:87], v[92:93]
	v_pk_fma_f32 v[92:93], v[226:227], v[222:223], v[94:95] neg_lo:[0,0,1] neg_hi:[0,0,1]
	s_delay_alu instid0(VALU_DEP_3) | instskip(NEXT) | instid1(VALU_DEP_3)
	v_mov_b32_e32 v93, v91
	v_pk_add_f32 v[86:87], v[86:87], v[88:89]
	s_delay_alu instid0(VALU_DEP_1) | instskip(SKIP_1) | instid1(VALU_DEP_1)
	v_pk_add_f32 v[86:87], v[86:87], v[92:93]
	s_wait_loadcnt 0x0
	v_pk_add_f32 v[86:87], v[224:225], v[86:87] neg_lo:[0,1] neg_hi:[0,1]
	scratch_store_b64 off, v[86:87], off offset:48
	s_wait_xcnt 0x0
	v_cmpx_lt_u32_e32 5, v0
	s_cbranch_execz .LBB41_255
; %bb.254:
	scratch_load_b64 v[86:87], off, off offset:40
	v_mov_b64_e32 v[88:89], 0
	scratch_store_b64 off, v[88:89], off offset:40
	s_wait_loadcnt 0x0
	ds_store_b64 v1, v[86:87]
.LBB41_255:
	s_wait_xcnt 0x0
	s_or_b32 exec_lo, exec_lo, s0
	s_wait_storecnt_dscnt 0x0
	s_barrier_signal -1
	s_barrier_wait -1
	s_clause 0x12
	scratch_load_b128 v[86:89], off, off offset:48
	scratch_load_b128 v[90:93], off, off offset:64
	;; [unrolled: 1-line block ×18, first 2 shown]
	scratch_load_b64 v[230:231], off, off offset:40
	ds_load_b128 v[158:161], v5 offset:608
	ds_load_b128 v[162:165], v5 offset:624
	;; [unrolled: 1-line block ×18, first 2 shown]
	s_mov_b32 s0, exec_lo
	s_wait_dscnt 0x11
	v_dual_mov_b32 v232, v161 :: v_dual_mov_b32 v233, v160
	s_wait_dscnt 0x10
	v_dual_mov_b32 v234, v165 :: v_dual_mov_b32 v235, v164
	;; [unrolled: 2-line block ×4, first 2 shown]
	s_wait_loadcnt_dscnt 0x120d
	v_dual_mul_f32 v5, v174, v87 :: v_dual_mul_f32 v7, v176, v89
	v_dual_mul_f32 v59, v175, v87 :: v_dual_mul_f32 v61, v177, v89
	s_wait_loadcnt_dscnt 0x110c
	v_dual_mul_f32 v11, v178, v91 :: v_dual_mul_f32 v13, v180, v93
	s_delay_alu instid0(VALU_DEP_2) | instskip(SKIP_3) | instid1(VALU_DEP_3)
	v_dual_fmac_f32 v5, v175, v86 :: v_dual_fma_f32 v59, v174, v86, -v59
	v_dual_mul_f32 v63, v179, v91 :: v_dual_mul_f32 v65, v181, v93
	s_wait_loadcnt_dscnt 0xf0a
	v_dual_mul_f32 v71, v187, v99 :: v_dual_fmac_f32 v7, v177, v88
	v_dual_fma_f32 v61, v176, v88, -v61 :: v_dual_add_f32 v5, 0, v5
	v_dual_add_f32 v59, 0, v59 :: v_dual_mul_f32 v73, v189, v101
	v_fmac_f32_e32 v11, v179, v90
	s_delay_alu instid0(VALU_DEP_3) | instskip(NEXT) | instid1(VALU_DEP_3)
	v_dual_fma_f32 v63, v178, v90, -v63 :: v_dual_add_f32 v5, v5, v7
	v_dual_add_f32 v7, v59, v61 :: v_dual_mul_f32 v15, v182, v95
	v_dual_mul_f32 v17, v184, v97 :: v_dual_mul_f32 v67, v183, v95
	s_wait_loadcnt_dscnt 0xe09
	v_dual_mul_f32 v69, v185, v97 :: v_dual_mul_f32 v59, v191, v103
	v_fmac_f32_e32 v13, v181, v92
	v_dual_fma_f32 v61, v180, v92, -v65 :: v_dual_add_f32 v5, v5, v11
	v_dual_add_f32 v7, v7, v63 :: v_dual_mul_f32 v11, v193, v105
	v_fmac_f32_e32 v15, v183, v94
	s_delay_alu instid0(VALU_DEP_3) | instskip(NEXT) | instid1(VALU_DEP_3)
	v_dual_fma_f32 v63, v182, v94, -v67 :: v_dual_add_f32 v5, v5, v13
	v_dual_add_f32 v7, v7, v61 :: v_dual_mul_f32 v19, v186, v99
	s_wait_loadcnt_dscnt 0xd08
	v_dual_mul_f32 v21, v188, v101 :: v_dual_mul_f32 v13, v195, v107
	v_fmac_f32_e32 v17, v185, v96
	v_dual_fma_f32 v61, v184, v96, -v69 :: v_dual_add_f32 v5, v5, v15
	v_dual_add_f32 v7, v7, v63 :: v_dual_mul_f32 v15, v197, v109
	v_fmac_f32_e32 v19, v187, v98
	s_delay_alu instid0(VALU_DEP_3) | instskip(NEXT) | instid1(VALU_DEP_3)
	v_dual_fma_f32 v63, v186, v98, -v71 :: v_dual_add_f32 v5, v5, v17
	v_dual_add_f32 v7, v7, v61 :: v_dual_mul_f32 v23, v190, v103
	;; [unrolled: 9-line block ×3, first 2 shown]
	s_wait_loadcnt_dscnt 0xb06
	v_dual_mul_f32 v29, v196, v109 :: v_dual_mul_f32 v21, v203, v115
	v_dual_fmac_f32 v25, v193, v104 :: v_dual_fma_f32 v11, v192, v104, -v11
	v_add_f32_e32 v5, v5, v23
	v_dual_add_f32 v7, v7, v59 :: v_dual_mul_f32 v23, v205, v117
	v_dual_fmac_f32 v27, v195, v106 :: v_dual_fma_f32 v13, v194, v106, -v13
	s_delay_alu instid0(VALU_DEP_2) | instskip(SKIP_3) | instid1(VALU_DEP_3)
	v_dual_add_f32 v5, v5, v25 :: v_dual_add_f32 v7, v7, v11
	v_dual_mul_f32 v31, v198, v111 :: v_dual_mul_f32 v33, v200, v113
	s_wait_loadcnt_dscnt 0xa05
	v_dual_mul_f32 v11, v207, v119 :: v_dual_fmac_f32 v29, v197, v108
	v_dual_fma_f32 v15, v196, v108, -v15 :: v_dual_add_f32 v5, v5, v27
	v_dual_add_f32 v7, v7, v13 :: v_dual_fma_f32 v17, v198, v110, -v17
	v_dual_mul_f32 v13, v209, v121 :: v_dual_fmac_f32 v31, v199, v110
	s_delay_alu instid0(VALU_DEP_2) | instskip(SKIP_3) | instid1(VALU_DEP_3)
	v_dual_add_f32 v5, v5, v29 :: v_dual_add_f32 v7, v7, v15
	v_dual_mul_f32 v35, v202, v115 :: v_dual_mul_f32 v37, v204, v117
	s_wait_loadcnt_dscnt 0x904
	v_dual_mul_f32 v15, v211, v123 :: v_dual_fmac_f32 v33, v201, v112
	v_dual_fma_f32 v19, v200, v112, -v19 :: v_dual_add_f32 v5, v5, v31
	v_dual_add_f32 v7, v7, v17 :: v_dual_fma_f32 v21, v202, v114, -v21
	v_dual_mul_f32 v17, v213, v125 :: v_dual_fmac_f32 v35, v203, v114
	;; [unrolled: 8-line block ×3, first 2 shown]
	s_delay_alu instid0(VALU_DEP_2) | instskip(SKIP_3) | instid1(VALU_DEP_3)
	v_dual_add_f32 v5, v5, v37 :: v_dual_add_f32 v7, v7, v23
	v_dual_mul_f32 v43, v210, v123 :: v_dual_mul_f32 v45, v212, v125
	s_wait_loadcnt_dscnt 0x702
	v_dual_mul_f32 v23, v219, v131 :: v_dual_fmac_f32 v41, v209, v120
	v_dual_fma_f32 v13, v208, v120, -v13 :: v_dual_add_f32 v5, v5, v39
	v_dual_add_f32 v7, v7, v11 :: v_dual_mul_f32 v11, v221, v133
	v_fmac_f32_e32 v43, v211, v122
	s_delay_alu instid0(VALU_DEP_3) | instskip(NEXT) | instid1(VALU_DEP_3)
	v_dual_fma_f32 v15, v210, v122, -v15 :: v_dual_add_f32 v5, v5, v41
	v_dual_add_f32 v7, v7, v13 :: v_dual_mul_f32 v47, v214, v127
	s_wait_loadcnt_dscnt 0x601
	v_dual_mul_f32 v49, v216, v129 :: v_dual_mul_f32 v13, v223, v135
	v_fmac_f32_e32 v45, v213, v124
	v_dual_fma_f32 v17, v212, v124, -v17 :: v_dual_add_f32 v5, v5, v43
	v_dual_add_f32 v7, v7, v15 :: v_dual_mul_f32 v15, v225, v137
	v_fmac_f32_e32 v47, v215, v126
	s_delay_alu instid0(VALU_DEP_3) | instskip(NEXT) | instid1(VALU_DEP_3)
	v_dual_fma_f32 v19, v214, v126, -v19 :: v_dual_add_f32 v5, v5, v45
	v_dual_add_f32 v7, v7, v17 :: v_dual_mul_f32 v51, v218, v131
	s_wait_loadcnt_dscnt 0x500
	v_dual_mul_f32 v53, v220, v133 :: v_dual_mul_f32 v17, v227, v139
	v_fmac_f32_e32 v49, v217, v128
	v_dual_fma_f32 v21, v216, v128, -v21 :: v_dual_add_f32 v5, v5, v47
	v_dual_add_f32 v7, v7, v19 :: v_dual_mul_f32 v19, v229, v141
	v_fmac_f32_e32 v51, v219, v130
	s_delay_alu instid0(VALU_DEP_3) | instskip(NEXT) | instid1(VALU_DEP_3)
	v_dual_fma_f32 v23, v218, v130, -v23 :: v_dual_add_f32 v5, v5, v49
	v_dual_add_f32 v7, v7, v21 :: v_dual_mul_f32 v55, v222, v135
	v_dual_mul_f32 v57, v224, v137 :: v_dual_fmac_f32 v53, v221, v132
	s_delay_alu instid0(VALU_DEP_3) | instskip(NEXT) | instid1(VALU_DEP_3)
	v_dual_fma_f32 v11, v220, v132, -v11 :: v_dual_add_f32 v5, v5, v51
	v_fmac_f32_e32 v55, v223, v134
	s_wait_loadcnt 0x4
	v_dual_add_f32 v7, v7, v23 :: v_dual_mov_b32 v88, v145
	s_delay_alu instid0(VALU_DEP_3) | instskip(SKIP_1) | instid1(VALU_DEP_3)
	v_dual_fma_f32 v13, v222, v134, -v13 :: v_dual_add_f32 v5, v5, v53
	v_dual_mul_f32 v241, v226, v139 :: v_dual_mul_f32 v243, v228, v141
	v_dual_add_f32 v7, v7, v11 :: v_dual_fmac_f32 v57, v225, v136
	s_delay_alu instid0(VALU_DEP_3) | instskip(SKIP_2) | instid1(VALU_DEP_3)
	v_dual_fma_f32 v11, v224, v136, -v15 :: v_dual_add_f32 v5, v5, v55
	v_pk_mul_f32 v[86:87], v[158:159], v[142:143] op_sel:[1,1] op_sel_hi:[0,1]
	s_wait_loadcnt 0x3
	v_dual_add_f32 v7, v7, v13 :: v_dual_mov_b32 v92, v149
	s_delay_alu instid0(VALU_DEP_3) | instskip(NEXT) | instid1(VALU_DEP_2)
	v_dual_fmac_f32 v241, v227, v138 :: v_dual_add_f32 v95, v5, v57
	v_dual_fma_f32 v240, v226, v138, -v17 :: v_dual_add_f32 v94, v7, v11
	v_fmac_f32_e32 v243, v229, v140
	v_pk_fma_f32 v[96:97], v[158:159], v[142:143], v[86:87] op_sel_hi:[1,0,1]
	v_fma_f32 v242, v228, v140, -v19
	v_pk_mul_f32 v[88:89], v[232:233], v[88:89] op_sel_hi:[1,0]
	v_pk_add_f32 v[94:95], v[94:95], v[240:241]
	v_pk_fma_f32 v[86:87], v[158:159], v[142:143], v[86:87] neg_lo:[0,0,1] neg_hi:[0,0,1]
	v_pk_mul_f32 v[90:91], v[162:163], v[146:147] op_sel:[1,1] op_sel_hi:[0,1]
	v_mov_b32_e32 v87, v97
	v_pk_fma_f32 v[96:97], v[160:161], v[144:145], v[88:89] op_sel_hi:[1,0,1]
	v_pk_add_f32 v[94:95], v[94:95], v[242:243]
	v_pk_fma_f32 v[88:89], v[160:161], v[144:145], v[88:89] neg_lo:[0,0,1] neg_hi:[0,0,1]
	v_pk_fma_f32 v[100:101], v[162:163], v[146:147], v[90:91] op_sel_hi:[1,0,1]
	v_pk_mul_f32 v[92:93], v[234:235], v[92:93] op_sel_hi:[1,0]
	v_mov_b32_e32 v89, v97
	v_pk_add_f32 v[86:87], v[94:95], v[86:87]
	s_wait_loadcnt 0x2
	v_pk_mul_f32 v[98:99], v[166:167], v[150:151] op_sel:[1,1] op_sel_hi:[0,1]
	v_mov_b32_e32 v94, v153
	v_pk_fma_f32 v[90:91], v[162:163], v[146:147], v[90:91] neg_lo:[0,0,1] neg_hi:[0,0,1]
	v_pk_fma_f32 v[96:97], v[164:165], v[148:149], v[92:93] op_sel_hi:[1,0,1]
	v_mov_b32_e32 v91, v101
	v_pk_add_f32 v[86:87], v[86:87], v[88:89]
	v_pk_fma_f32 v[88:89], v[166:167], v[150:151], v[98:99] op_sel_hi:[1,0,1]
	v_pk_mul_f32 v[94:95], v[236:237], v[94:95] op_sel_hi:[1,0]
	v_pk_fma_f32 v[92:93], v[164:165], v[148:149], v[92:93] neg_lo:[0,0,1] neg_hi:[0,0,1]
	v_mov_b32_e32 v93, v97
	v_pk_add_f32 v[86:87], v[86:87], v[90:91]
	v_pk_fma_f32 v[96:97], v[166:167], v[150:151], v[98:99] neg_lo:[0,0,1] neg_hi:[0,0,1]
	v_mov_b32_e32 v97, v89
	v_pk_fma_f32 v[88:89], v[168:169], v[152:153], v[94:95] op_sel_hi:[1,0,1]
	s_wait_loadcnt 0x1
	v_pk_mul_f32 v[90:91], v[170:171], v[154:155] op_sel:[1,1] op_sel_hi:[0,1]
	v_pk_add_f32 v[86:87], v[86:87], v[92:93]
	v_mov_b32_e32 v88, v157
	v_pk_fma_f32 v[94:95], v[168:169], v[152:153], v[94:95] neg_lo:[0,0,1] neg_hi:[0,0,1]
	s_delay_alu instid0(VALU_DEP_4)
	v_pk_fma_f32 v[92:93], v[170:171], v[154:155], v[90:91] op_sel_hi:[1,0,1]
	v_mov_b32_e32 v95, v89
	v_pk_add_f32 v[86:87], v[86:87], v[96:97]
	v_pk_mul_f32 v[88:89], v[238:239], v[88:89] op_sel_hi:[1,0]
	v_pk_fma_f32 v[90:91], v[170:171], v[154:155], v[90:91] neg_lo:[0,0,1] neg_hi:[0,0,1]
	v_mov_b32_e32 v91, v93
	s_delay_alu instid0(VALU_DEP_4) | instskip(NEXT) | instid1(VALU_DEP_4)
	v_pk_add_f32 v[86:87], v[86:87], v[94:95]
	v_pk_fma_f32 v[92:93], v[172:173], v[156:157], v[88:89] op_sel_hi:[1,0,1]
	v_pk_fma_f32 v[88:89], v[172:173], v[156:157], v[88:89] neg_lo:[0,0,1] neg_hi:[0,0,1]
	s_delay_alu instid0(VALU_DEP_3) | instskip(NEXT) | instid1(VALU_DEP_3)
	v_pk_add_f32 v[86:87], v[86:87], v[90:91]
	v_mov_b32_e32 v89, v93
	s_delay_alu instid0(VALU_DEP_1) | instskip(SKIP_1) | instid1(VALU_DEP_1)
	v_pk_add_f32 v[86:87], v[86:87], v[88:89]
	s_wait_loadcnt 0x0
	v_pk_add_f32 v[86:87], v[230:231], v[86:87] neg_lo:[0,1] neg_hi:[0,1]
	scratch_store_b64 off, v[86:87], off offset:40
	s_wait_xcnt 0x0
	v_cmpx_lt_u32_e32 4, v0
	s_cbranch_execz .LBB41_257
; %bb.256:
	scratch_load_b64 v[86:87], off, off offset:32
	v_mov_b64_e32 v[88:89], 0
	scratch_store_b64 off, v[88:89], off offset:32
	s_wait_loadcnt 0x0
	ds_store_b64 v1, v[86:87]
.LBB41_257:
	s_wait_xcnt 0x0
	s_or_b32 exec_lo, exec_lo, s0
	s_wait_storecnt_dscnt 0x0
	s_barrier_signal -1
	s_barrier_wait -1
	s_clause 0x13
	scratch_load_b128 v[86:89], off, off offset:40
	scratch_load_b128 v[90:93], off, off offset:56
	;; [unrolled: 1-line block ×18, first 2 shown]
	scratch_load_b64 v[230:231], off, off offset:328
	scratch_load_b64 v[232:233], off, off offset:32
	v_mov_b32_e32 v5, 0
	ds_load_2addr_b64 v[158:161], v5 offset0:75 offset1:76
	ds_load_2addr_b64 v[162:165], v5 offset0:77 offset1:78
	;; [unrolled: 1-line block ×18, first 2 shown]
	ds_load_b64 v[234:235], v5 offset:664
	s_mov_b32 s0, exec_lo
	s_wait_dscnt 0x12
	v_dual_mov_b32 v236, v161 :: v_dual_mov_b32 v237, v160
	s_wait_dscnt 0x11
	v_dual_mov_b32 v238, v165 :: v_dual_mov_b32 v239, v164
	;; [unrolled: 2-line block ×3, first 2 shown]
	v_dual_mov_b32 v241, v168 :: v_dual_mov_b32 v242, v181
	s_wait_loadcnt 0x13
	v_dual_mul_f32 v7, v170, v87 :: v_dual_mul_f32 v11, v172, v89
	s_wait_loadcnt 0x12
	v_mul_f32_e32 v13, v174, v91
	v_dual_mul_f32 v63, v171, v87 :: v_dual_mul_f32 v65, v173, v89
	s_wait_loadcnt_dscnt 0x100b
	v_dual_fmac_f32 v7, v171, v86 :: v_dual_mul_f32 v77, v189, v101
	s_delay_alu instid0(VALU_DEP_2) | instskip(NEXT) | instid1(VALU_DEP_3)
	v_dual_mul_f32 v75, v187, v99 :: v_dual_fma_f32 v63, v170, v86, -v63
	v_dual_fmac_f32 v11, v173, v88 :: v_dual_fma_f32 v65, v172, v88, -v65
	s_delay_alu instid0(VALU_DEP_3) | instskip(SKIP_3) | instid1(VALU_DEP_3)
	v_dual_add_f32 v7, 0, v7 :: v_dual_fmac_f32 v13, v175, v90
	v_dual_mul_f32 v15, v176, v93 :: v_dual_mul_f32 v17, v182, v95
	v_dual_mul_f32 v67, v175, v91 :: v_dual_mul_f32 v69, v177, v93
	v_add_f32_e32 v63, 0, v63
	v_dual_add_f32 v7, v7, v11 :: v_dual_fmac_f32 v15, v177, v92
	v_dual_mul_f32 v71, v183, v95 :: v_dual_mul_f32 v73, v185, v97
	s_delay_alu instid0(VALU_DEP_3) | instskip(NEXT) | instid1(VALU_DEP_3)
	v_dual_fma_f32 v67, v174, v90, -v67 :: v_dual_add_f32 v11, v63, v65
	v_dual_fma_f32 v65, v176, v92, -v69 :: v_dual_add_f32 v7, v7, v13
	v_dual_mul_f32 v19, v184, v97 :: v_dual_mul_f32 v21, v186, v99
	s_delay_alu instid0(VALU_DEP_3) | instskip(SKIP_1) | instid1(VALU_DEP_4)
	v_add_f32_e32 v11, v11, v67
	v_dual_fmac_f32 v17, v183, v94 :: v_dual_fma_f32 v67, v182, v94, -v71
	v_dual_add_f32 v7, v7, v15 :: v_dual_mul_f32 v23, v188, v101
	s_wait_loadcnt_dscnt 0xf0a
	v_mul_f32_e32 v25, v190, v103
	s_wait_loadcnt_dscnt 0xe09
	v_dual_mul_f32 v13, v195, v107 :: v_dual_fmac_f32 v19, v185, v96
	v_mul_f32_e32 v15, v197, v109
	v_dual_add_f32 v11, v11, v65 :: v_dual_fma_f32 v65, v184, v96, -v73
	v_dual_add_f32 v7, v7, v17 :: v_dual_fmac_f32 v23, v189, v100
	v_dual_mul_f32 v27, v192, v105 :: v_dual_mul_f32 v29, v194, v107
	s_delay_alu instid0(VALU_DEP_3) | instskip(SKIP_1) | instid1(VALU_DEP_3)
	v_add_f32_e32 v11, v11, v67
	v_fmac_f32_e32 v21, v187, v98
	v_dual_add_f32 v7, v7, v19 :: v_dual_fmac_f32 v27, v193, v104
	v_dual_mul_f32 v79, v191, v103 :: v_dual_mul_f32 v63, v193, v105
	s_delay_alu instid0(VALU_DEP_4) | instskip(NEXT) | instid1(VALU_DEP_3)
	v_dual_fma_f32 v67, v186, v98, -v75 :: v_dual_add_f32 v11, v11, v65
	v_dual_add_f32 v7, v7, v21 :: v_dual_fma_f32 v13, v194, v106, -v13
	s_wait_loadcnt_dscnt 0xd08
	v_mul_f32_e32 v17, v199, v111
	v_dual_fmac_f32 v25, v191, v102 :: v_dual_fma_f32 v15, v196, v108, -v15
	v_dual_fma_f32 v63, v192, v104, -v63 :: v_dual_add_f32 v11, v11, v67
	v_dual_fma_f32 v67, v190, v102, -v79 :: v_dual_add_f32 v7, v7, v23
	s_delay_alu instid0(VALU_DEP_4) | instskip(SKIP_3) | instid1(VALU_DEP_3)
	v_dual_fma_f32 v17, v198, v110, -v17 :: v_dual_mul_f32 v19, v201, v113
	v_fma_f32 v65, v188, v100, -v77
	s_wait_loadcnt_dscnt 0xc07
	v_dual_mul_f32 v35, v200, v113 :: v_dual_mul_f32 v37, v202, v115
	v_dual_add_f32 v7, v7, v25 :: v_dual_fma_f32 v19, v200, v112, -v19
	s_wait_loadcnt_dscnt 0xb06
	v_dual_mul_f32 v39, v204, v117 :: v_dual_mul_f32 v41, v206, v119
	s_delay_alu instid0(VALU_DEP_2)
	v_dual_fmac_f32 v35, v201, v112 :: v_dual_add_f32 v7, v7, v27
	v_mul_f32_e32 v27, v209, v121
	v_add_f32_e32 v11, v11, v65
	v_mul_f32_e32 v23, v205, v117
	s_wait_loadcnt_dscnt 0xa05
	v_dual_mul_f32 v43, v208, v121 :: v_dual_mul_f32 v45, v210, v123
	v_dual_mul_f32 v31, v196, v109 :: v_dual_mul_f32 v33, v198, v111
	s_delay_alu instid0(VALU_DEP_3) | instskip(NEXT) | instid1(VALU_DEP_3)
	v_dual_add_f32 v11, v11, v67 :: v_dual_fma_f32 v23, v204, v116, -v23
	v_dual_fmac_f32 v43, v209, v120 :: v_dual_mul_f32 v21, v203, v115
	s_delay_alu instid0(VALU_DEP_2) | instskip(SKIP_2) | instid1(VALU_DEP_3)
	v_dual_fmac_f32 v31, v197, v108 :: v_dual_add_f32 v11, v11, v63
	s_wait_loadcnt_dscnt 0x803
	v_dual_mul_f32 v51, v216, v129 :: v_dual_mul_f32 v53, v218, v131
	v_dual_mul_f32 v25, v207, v119 :: v_dual_fma_f32 v21, v202, v114, -v21
	s_delay_alu instid0(VALU_DEP_3) | instskip(NEXT) | instid1(VALU_DEP_3)
	v_add_f32_e32 v11, v11, v13
	v_dual_fmac_f32 v29, v195, v106 :: v_dual_fmac_f32 v51, v217, v128
	s_delay_alu instid0(VALU_DEP_3) | instskip(NEXT) | instid1(VALU_DEP_3)
	v_dual_fmac_f32 v39, v205, v116 :: v_dual_fma_f32 v25, v206, v118, -v25
	v_dual_add_f32 v11, v11, v15 :: v_dual_mul_f32 v15, v213, v125
	v_fmac_f32_e32 v53, v219, v130
	v_mul_f32_e32 v13, v211, v123
	v_dual_fmac_f32 v33, v199, v110 :: v_dual_fma_f32 v27, v208, v120, -v27
	s_delay_alu instid0(VALU_DEP_4) | instskip(SKIP_2) | instid1(VALU_DEP_2)
	v_dual_add_f32 v11, v11, v17 :: v_dual_fma_f32 v15, v212, v124, -v15
	v_dual_mul_f32 v47, v212, v125 :: v_dual_mul_f32 v49, v214, v127
	s_wait_loadcnt 0x4
	v_dual_mov_b32 v90, v149 :: v_dual_add_f32 v11, v11, v19
	v_mul_f32_e32 v19, v217, v129
	v_add_f32_e32 v7, v7, v29
	v_dual_mul_f32 v17, v215, v127 :: v_dual_fmac_f32 v49, v215, v126
	s_delay_alu instid0(VALU_DEP_4) | instskip(SKIP_2) | instid1(VALU_DEP_4)
	v_add_f32_e32 v11, v11, v21
	v_mul_f32_e32 v21, v219, v131
	v_dual_fmac_f32 v37, v203, v114 :: v_dual_fmac_f32 v47, v213, v124
	v_dual_fma_f32 v17, v214, v126, -v17 :: v_dual_mul_f32 v55, v220, v133
	s_wait_dscnt 0x2
	v_mul_f32_e32 v57, v222, v135
	v_dual_fma_f32 v21, v218, v130, -v21 :: v_dual_add_f32 v11, v11, v23
	v_dual_mul_f32 v23, v221, v133 :: v_dual_add_f32 v7, v7, v31
	v_fma_f32 v13, v210, v122, -v13
	v_dual_fmac_f32 v41, v207, v118 :: v_dual_mov_b32 v86, v145
	s_delay_alu instid0(VALU_DEP_4) | instskip(NEXT) | instid1(VALU_DEP_4)
	v_add_f32_e32 v11, v11, v25
	v_dual_add_f32 v7, v7, v33 :: v_dual_fma_f32 v19, v216, v128, -v19
	v_dual_mul_f32 v25, v223, v135 :: v_dual_fmac_f32 v57, v223, v134
	s_delay_alu instid0(VALU_DEP_3) | instskip(NEXT) | instid1(VALU_DEP_3)
	v_add_f32_e32 v11, v11, v27
	v_dual_add_f32 v7, v7, v35 :: v_dual_fmac_f32 v55, v221, v132
	s_wait_dscnt 0x1
	v_dual_mul_f32 v59, v224, v137 :: v_dual_mul_f32 v61, v226, v139
	s_delay_alu instid0(VALU_DEP_3) | instskip(SKIP_2) | instid1(VALU_DEP_3)
	v_add_f32_e32 v11, v11, v13
	v_dual_fmac_f32 v45, v211, v122 :: v_dual_mul_f32 v27, v225, v137
	v_dual_mul_f32 v245, v228, v141 :: v_dual_mul_f32 v247, v158, v143
	v_dual_add_f32 v11, v11, v15 :: v_dual_mul_f32 v15, v229, v141
	v_dual_add_f32 v7, v7, v37 :: v_dual_fmac_f32 v59, v225, v136
	v_pk_mul_f32 v[88:89], v[162:163], v[146:147] op_sel:[1,1] op_sel_hi:[0,1]
	s_delay_alu instid0(VALU_DEP_3) | instskip(SKIP_1) | instid1(VALU_DEP_3)
	v_dual_add_f32 v11, v11, v17 :: v_dual_fmac_f32 v245, v229, v140
	s_wait_loadcnt 0x3
	v_dual_add_f32 v7, v7, v39 :: v_dual_mov_b32 v96, v153
	s_delay_alu instid0(VALU_DEP_3) | instskip(NEXT) | instid1(VALU_DEP_3)
	v_pk_fma_f32 v[100:101], v[162:163], v[146:147], v[88:89] op_sel_hi:[1,0,1]
	v_dual_add_f32 v11, v11, v19 :: v_dual_fma_f32 v19, v220, v132, -v23
	s_delay_alu instid0(VALU_DEP_3) | instskip(SKIP_1) | instid1(VALU_DEP_3)
	v_add_f32_e32 v7, v7, v41
	v_pk_fma_f32 v[88:89], v[162:163], v[146:147], v[88:89] neg_lo:[0,0,1] neg_hi:[0,0,1]
	v_dual_mov_b32 v89, v101 :: v_dual_add_f32 v11, v11, v21
	s_delay_alu instid0(VALU_DEP_3) | instskip(SKIP_1) | instid1(VALU_DEP_3)
	v_dual_fma_f32 v21, v222, v134, -v25 :: v_dual_add_f32 v7, v7, v43
	v_dual_mul_f32 v13, v227, v139 :: v_dual_fmac_f32 v61, v227, v138
	v_dual_add_f32 v11, v11, v19 :: v_dual_fma_f32 v19, v224, v136, -v27
	s_delay_alu instid0(VALU_DEP_2) | instskip(SKIP_1) | instid1(VALU_DEP_3)
	v_dual_add_f32 v7, v7, v45 :: v_dual_fma_f32 v13, v226, v138, -v13
	v_dual_mul_f32 v17, v159, v143 :: v_dual_fmac_f32 v247, v159, v142
	v_add_f32_e32 v11, v11, v21
	s_delay_alu instid0(VALU_DEP_3) | instskip(SKIP_1) | instid1(VALU_DEP_3)
	v_dual_add_f32 v7, v7, v47 :: v_dual_fma_f32 v244, v228, v140, -v15
	v_pk_mul_f32 v[86:87], v[236:237], v[86:87] op_sel_hi:[1,0]
	v_dual_fma_f32 v246, v158, v142, -v17 :: v_dual_add_f32 v11, v11, v19
	s_delay_alu instid0(VALU_DEP_3) | instskip(SKIP_1) | instid1(VALU_DEP_4)
	v_add_f32_e32 v7, v7, v49
	v_pk_mul_f32 v[90:91], v[238:239], v[90:91] op_sel_hi:[1,0]
	v_pk_fma_f32 v[98:99], v[160:161], v[144:145], v[86:87] op_sel_hi:[1,0,1]
	v_pk_fma_f32 v[86:87], v[160:161], v[144:145], v[86:87] neg_lo:[0,0,1] neg_hi:[0,0,1]
	v_add_f32_e32 v94, v11, v13
	v_add_f32_e32 v7, v7, v51
	v_pk_mul_f32 v[92:93], v[166:167], v[150:151] op_sel:[1,1] op_sel_hi:[0,1]
	v_mov_b32_e32 v87, v99
	v_pk_fma_f32 v[100:101], v[164:165], v[148:149], v[90:91] op_sel_hi:[1,0,1]
	v_pk_fma_f32 v[90:91], v[164:165], v[148:149], v[90:91] neg_lo:[0,0,1] neg_hi:[0,0,1]
	v_add_f32_e32 v7, v7, v53
	v_pk_mul_f32 v[96:97], v[240:241], v[96:97] op_sel_hi:[1,0]
	s_wait_loadcnt 0x2
	v_pk_mul_f32 v[98:99], v[178:179], v[154:155] op_sel:[1,1] op_sel_hi:[0,1]
	s_delay_alu instid0(VALU_DEP_3) | instskip(NEXT) | instid1(VALU_DEP_1)
	v_dual_mov_b32 v91, v101 :: v_dual_add_f32 v7, v7, v55
	v_add_f32_e32 v7, v7, v57
	s_delay_alu instid0(VALU_DEP_1) | instskip(NEXT) | instid1(VALU_DEP_1)
	v_add_f32_e32 v7, v7, v59
	v_add_f32_e32 v95, v7, v61
	s_delay_alu instid0(VALU_DEP_1) | instskip(NEXT) | instid1(VALU_DEP_1)
	v_pk_add_f32 v[94:95], v[94:95], v[244:245]
	v_pk_add_f32 v[94:95], v[94:95], v[246:247]
	s_delay_alu instid0(VALU_DEP_1) | instskip(SKIP_2) | instid1(VALU_DEP_3)
	v_pk_add_f32 v[86:87], v[94:95], v[86:87]
	v_pk_fma_f32 v[94:95], v[166:167], v[150:151], v[92:93] op_sel_hi:[1,0,1]
	v_pk_fma_f32 v[92:93], v[166:167], v[150:151], v[92:93] neg_lo:[0,0,1] neg_hi:[0,0,1]
	v_pk_add_f32 v[86:87], v[86:87], v[88:89]
	s_delay_alu instid0(VALU_DEP_3) | instskip(SKIP_2) | instid1(VALU_DEP_4)
	v_dual_mov_b32 v88, v157 :: v_dual_mov_b32 v93, v95
	v_pk_fma_f32 v[94:95], v[168:169], v[152:153], v[96:97] op_sel_hi:[1,0,1]
	v_pk_fma_f32 v[96:97], v[168:169], v[152:153], v[96:97] neg_lo:[0,0,1] neg_hi:[0,0,1]
	v_pk_add_f32 v[86:87], v[86:87], v[90:91]
	v_pk_fma_f32 v[90:91], v[178:179], v[154:155], v[98:99] op_sel_hi:[1,0,1]
	v_pk_mul_f32 v[88:89], v[242:243], v[88:89] op_sel_hi:[1,0]
	v_mov_b32_e32 v97, v95
	s_wait_loadcnt_dscnt 0x100
	v_pk_mul_f32 v[94:95], v[234:235], v[230:231] op_sel:[1,1] op_sel_hi:[0,1]
	v_pk_add_f32 v[86:87], v[86:87], v[92:93]
	v_pk_fma_f32 v[92:93], v[178:179], v[154:155], v[98:99] neg_lo:[0,0,1] neg_hi:[0,0,1]
	v_mov_b32_e32 v93, v91
	v_pk_fma_f32 v[90:91], v[180:181], v[156:157], v[88:89] op_sel_hi:[1,0,1]
	v_pk_fma_f32 v[88:89], v[180:181], v[156:157], v[88:89] neg_lo:[0,0,1] neg_hi:[0,0,1]
	v_pk_add_f32 v[86:87], v[86:87], v[96:97]
	s_delay_alu instid0(VALU_DEP_3) | instskip(SKIP_1) | instid1(VALU_DEP_3)
	v_mov_b32_e32 v89, v91
	v_pk_fma_f32 v[90:91], v[234:235], v[230:231], v[94:95] op_sel_hi:[1,0,1]
	v_pk_add_f32 v[86:87], v[86:87], v[92:93]
	v_pk_fma_f32 v[92:93], v[234:235], v[230:231], v[94:95] neg_lo:[0,0,1] neg_hi:[0,0,1]
	s_delay_alu instid0(VALU_DEP_3) | instskip(NEXT) | instid1(VALU_DEP_3)
	v_mov_b32_e32 v93, v91
	v_pk_add_f32 v[86:87], v[86:87], v[88:89]
	s_delay_alu instid0(VALU_DEP_1) | instskip(SKIP_1) | instid1(VALU_DEP_1)
	v_pk_add_f32 v[86:87], v[86:87], v[92:93]
	s_wait_loadcnt 0x0
	v_pk_add_f32 v[86:87], v[232:233], v[86:87] neg_lo:[0,1] neg_hi:[0,1]
	scratch_store_b64 off, v[86:87], off offset:32
	s_wait_xcnt 0x0
	v_cmpx_lt_u32_e32 3, v0
	s_cbranch_execz .LBB41_259
; %bb.258:
	scratch_load_b64 v[86:87], off, off offset:24
	v_mov_b64_e32 v[88:89], 0
	scratch_store_b64 off, v[88:89], off offset:24
	s_wait_loadcnt 0x0
	ds_store_b64 v1, v[86:87]
.LBB41_259:
	s_wait_xcnt 0x0
	s_or_b32 exec_lo, exec_lo, s0
	s_wait_storecnt_dscnt 0x0
	s_barrier_signal -1
	s_barrier_wait -1
	s_clause 0x13
	scratch_load_b128 v[86:89], off, off offset:32
	scratch_load_b128 v[90:93], off, off offset:48
	;; [unrolled: 1-line block ×19, first 2 shown]
	scratch_load_b64 v[238:239], off, off offset:24
	ds_load_b128 v[162:165], v5 offset:608
	ds_load_b128 v[166:169], v5 offset:624
	;; [unrolled: 1-line block ×19, first 2 shown]
	s_mov_b32 s0, exec_lo
	s_wait_dscnt 0x12
	v_dual_mov_b32 v240, v165 :: v_dual_mov_b32 v241, v164
	s_wait_dscnt 0x11
	v_dual_mov_b32 v242, v169 :: v_dual_mov_b32 v243, v168
	;; [unrolled: 2-line block ×4, first 2 shown]
	s_wait_loadcnt_dscnt 0x130d
	v_dual_mul_f32 v5, v182, v87 :: v_dual_mul_f32 v7, v184, v89
	v_dual_mul_f32 v63, v183, v87 :: v_dual_mul_f32 v65, v185, v89
	s_wait_loadcnt_dscnt 0x120c
	v_dual_mul_f32 v11, v186, v91 :: v_dual_mul_f32 v13, v188, v93
	s_delay_alu instid0(VALU_DEP_2) | instskip(SKIP_3) | instid1(VALU_DEP_3)
	v_dual_fmac_f32 v5, v183, v86 :: v_dual_fma_f32 v63, v182, v86, -v63
	v_dual_mul_f32 v67, v187, v91 :: v_dual_mul_f32 v69, v189, v93
	s_wait_loadcnt_dscnt 0x100a
	v_dual_mul_f32 v75, v195, v99 :: v_dual_fmac_f32 v7, v185, v88
	v_dual_fma_f32 v65, v184, v88, -v65 :: v_dual_add_f32 v5, 0, v5
	v_dual_add_f32 v63, 0, v63 :: v_dual_mul_f32 v77, v197, v101
	v_fmac_f32_e32 v11, v187, v90
	s_delay_alu instid0(VALU_DEP_3) | instskip(NEXT) | instid1(VALU_DEP_3)
	v_dual_fma_f32 v67, v186, v90, -v67 :: v_dual_add_f32 v5, v5, v7
	v_dual_add_f32 v7, v63, v65 :: v_dual_mul_f32 v15, v190, v95
	v_dual_mul_f32 v17, v192, v97 :: v_dual_mul_f32 v71, v191, v95
	s_wait_loadcnt_dscnt 0xf09
	v_dual_mul_f32 v73, v193, v97 :: v_dual_mul_f32 v63, v199, v103
	v_fmac_f32_e32 v13, v189, v92
	v_dual_fma_f32 v65, v188, v92, -v69 :: v_dual_add_f32 v5, v5, v11
	v_dual_add_f32 v7, v7, v67 :: v_dual_mul_f32 v11, v201, v105
	v_fmac_f32_e32 v15, v191, v94
	s_delay_alu instid0(VALU_DEP_3) | instskip(NEXT) | instid1(VALU_DEP_3)
	v_dual_fma_f32 v67, v190, v94, -v71 :: v_dual_add_f32 v5, v5, v13
	v_dual_add_f32 v7, v7, v65 :: v_dual_mul_f32 v19, v194, v99
	s_wait_loadcnt_dscnt 0xe08
	v_dual_mul_f32 v21, v196, v101 :: v_dual_mul_f32 v13, v203, v107
	v_fmac_f32_e32 v17, v193, v96
	v_dual_fma_f32 v65, v192, v96, -v73 :: v_dual_add_f32 v5, v5, v15
	v_dual_add_f32 v7, v7, v67 :: v_dual_mul_f32 v15, v205, v109
	v_fmac_f32_e32 v19, v195, v98
	s_delay_alu instid0(VALU_DEP_3) | instskip(NEXT) | instid1(VALU_DEP_3)
	v_dual_fma_f32 v67, v194, v98, -v75 :: v_dual_add_f32 v5, v5, v17
	v_dual_add_f32 v7, v7, v65 :: v_dual_mul_f32 v23, v198, v103
	s_wait_loadcnt_dscnt 0xd07
	v_dual_mul_f32 v25, v200, v105 :: v_dual_mul_f32 v17, v207, v111
	v_fmac_f32_e32 v21, v197, v100
	v_dual_fma_f32 v65, v196, v100, -v77 :: v_dual_add_f32 v5, v5, v19
	v_dual_add_f32 v7, v7, v67 :: v_dual_mul_f32 v19, v209, v113
	v_fmac_f32_e32 v23, v199, v102
	s_delay_alu instid0(VALU_DEP_3) | instskip(NEXT) | instid1(VALU_DEP_3)
	v_dual_fma_f32 v63, v198, v102, -v63 :: v_dual_add_f32 v5, v5, v21
	v_dual_add_f32 v7, v7, v65 :: v_dual_mul_f32 v27, v202, v107
	s_wait_loadcnt_dscnt 0xc06
	v_dual_mul_f32 v29, v204, v109 :: v_dual_mul_f32 v21, v211, v115
	v_dual_fmac_f32 v25, v201, v104 :: v_dual_fma_f32 v11, v200, v104, -v11
	v_add_f32_e32 v5, v5, v23
	v_dual_add_f32 v7, v7, v63 :: v_dual_mul_f32 v23, v213, v117
	v_dual_fmac_f32 v27, v203, v106 :: v_dual_fma_f32 v13, v202, v106, -v13
	s_delay_alu instid0(VALU_DEP_2) | instskip(SKIP_3) | instid1(VALU_DEP_3)
	v_dual_add_f32 v5, v5, v25 :: v_dual_add_f32 v7, v7, v11
	v_dual_mul_f32 v31, v206, v111 :: v_dual_mul_f32 v33, v208, v113
	s_wait_loadcnt_dscnt 0xb05
	v_dual_mul_f32 v11, v215, v119 :: v_dual_fmac_f32 v29, v205, v108
	v_dual_fma_f32 v15, v204, v108, -v15 :: v_dual_add_f32 v5, v5, v27
	v_dual_add_f32 v7, v7, v13 :: v_dual_fma_f32 v17, v206, v110, -v17
	v_dual_mul_f32 v13, v217, v121 :: v_dual_fmac_f32 v31, v207, v110
	s_delay_alu instid0(VALU_DEP_2) | instskip(SKIP_3) | instid1(VALU_DEP_3)
	v_dual_add_f32 v5, v5, v29 :: v_dual_add_f32 v7, v7, v15
	v_dual_mul_f32 v35, v210, v115 :: v_dual_mul_f32 v37, v212, v117
	s_wait_loadcnt_dscnt 0xa04
	v_dual_mul_f32 v15, v219, v123 :: v_dual_fmac_f32 v33, v209, v112
	v_dual_fma_f32 v19, v208, v112, -v19 :: v_dual_add_f32 v5, v5, v31
	v_dual_add_f32 v7, v7, v17 :: v_dual_fma_f32 v21, v210, v114, -v21
	v_dual_mul_f32 v17, v221, v125 :: v_dual_fmac_f32 v35, v211, v114
	;; [unrolled: 8-line block ×3, first 2 shown]
	s_delay_alu instid0(VALU_DEP_2) | instskip(SKIP_3) | instid1(VALU_DEP_3)
	v_dual_add_f32 v5, v5, v37 :: v_dual_add_f32 v7, v7, v23
	v_dual_mul_f32 v43, v218, v123 :: v_dual_mul_f32 v45, v220, v125
	s_wait_loadcnt_dscnt 0x802
	v_dual_mul_f32 v23, v227, v131 :: v_dual_fmac_f32 v41, v217, v120
	v_dual_fma_f32 v13, v216, v120, -v13 :: v_dual_add_f32 v5, v5, v39
	v_dual_add_f32 v7, v7, v11 :: v_dual_mul_f32 v11, v229, v133
	v_fmac_f32_e32 v43, v219, v122
	s_delay_alu instid0(VALU_DEP_3) | instskip(NEXT) | instid1(VALU_DEP_3)
	v_dual_fma_f32 v15, v218, v122, -v15 :: v_dual_add_f32 v5, v5, v41
	v_dual_add_f32 v7, v7, v13 :: v_dual_mul_f32 v47, v222, v127
	s_wait_loadcnt_dscnt 0x701
	v_dual_mul_f32 v49, v224, v129 :: v_dual_mul_f32 v13, v231, v135
	v_fmac_f32_e32 v45, v221, v124
	v_dual_fma_f32 v17, v220, v124, -v17 :: v_dual_add_f32 v5, v5, v43
	v_dual_add_f32 v7, v7, v15 :: v_dual_mul_f32 v15, v233, v137
	v_fmac_f32_e32 v47, v223, v126
	s_delay_alu instid0(VALU_DEP_3) | instskip(NEXT) | instid1(VALU_DEP_3)
	v_dual_fma_f32 v19, v222, v126, -v19 :: v_dual_add_f32 v5, v5, v45
	v_dual_add_f32 v7, v7, v17 :: v_dual_mul_f32 v51, v226, v131
	s_wait_loadcnt_dscnt 0x600
	v_dual_mul_f32 v53, v228, v133 :: v_dual_mul_f32 v17, v235, v139
	v_fmac_f32_e32 v49, v225, v128
	v_dual_fma_f32 v21, v224, v128, -v21 :: v_dual_add_f32 v5, v5, v47
	v_dual_add_f32 v7, v7, v19 :: v_dual_mul_f32 v19, v237, v141
	v_fmac_f32_e32 v51, v227, v130
	s_delay_alu instid0(VALU_DEP_3) | instskip(NEXT) | instid1(VALU_DEP_3)
	v_dual_fma_f32 v23, v226, v130, -v23 :: v_dual_add_f32 v5, v5, v49
	v_dual_add_f32 v7, v7, v21 :: v_dual_mul_f32 v55, v230, v135
	s_wait_loadcnt 0x5
	v_dual_mul_f32 v57, v232, v137 :: v_dual_mul_f32 v21, v171, v143
	v_dual_fmac_f32 v53, v229, v132 :: v_dual_fma_f32 v11, v228, v132, -v11
	v_add_f32_e32 v5, v5, v51
	v_dual_add_f32 v7, v7, v23 :: v_dual_mul_f32 v23, v173, v145
	v_dual_fmac_f32 v55, v231, v134 :: v_dual_fma_f32 v13, v230, v134, -v13
	s_delay_alu instid0(VALU_DEP_2) | instskip(SKIP_2) | instid1(VALU_DEP_3)
	v_dual_add_f32 v5, v5, v53 :: v_dual_add_f32 v7, v7, v11
	v_dual_mul_f32 v59, v234, v139 :: v_dual_mul_f32 v61, v236, v141
	v_dual_fmac_f32 v57, v233, v136 :: v_dual_fma_f32 v11, v232, v136, -v15
	v_dual_add_f32 v5, v5, v55 :: v_dual_add_f32 v7, v7, v13
	s_wait_loadcnt 0x4
	s_delay_alu instid0(VALU_DEP_3) | instskip(NEXT) | instid1(VALU_DEP_2)
	v_dual_mov_b32 v88, v149 :: v_dual_fmac_f32 v59, v235, v138
	v_dual_fma_f32 v13, v234, v138, -v17 :: v_dual_add_f32 v5, v5, v57
	s_delay_alu instid0(VALU_DEP_3) | instskip(SKIP_1) | instid1(VALU_DEP_3)
	v_dual_add_f32 v7, v7, v11 :: v_dual_fmac_f32 v61, v237, v140
	v_dual_mul_f32 v249, v170, v143 :: v_dual_mul_f32 v251, v172, v145
	v_dual_fma_f32 v11, v236, v140, -v19 :: v_dual_add_f32 v5, v5, v59
	s_wait_loadcnt 0x3
	s_delay_alu instid0(VALU_DEP_3) | instskip(SKIP_1) | instid1(VALU_DEP_3)
	v_dual_add_f32 v7, v7, v13 :: v_dual_mov_b32 v92, v153
	v_pk_mul_f32 v[86:87], v[162:163], v[146:147] op_sel:[1,1] op_sel_hi:[0,1]
	v_dual_fmac_f32 v249, v171, v142 :: v_dual_add_f32 v95, v5, v61
	s_delay_alu instid0(VALU_DEP_3) | instskip(SKIP_1) | instid1(VALU_DEP_4)
	v_dual_fma_f32 v248, v170, v142, -v21 :: v_dual_add_f32 v94, v7, v11
	v_fmac_f32_e32 v251, v173, v144
	v_pk_fma_f32 v[96:97], v[162:163], v[146:147], v[86:87] op_sel_hi:[1,0,1]
	v_fma_f32 v250, v172, v144, -v23
	v_pk_mul_f32 v[88:89], v[240:241], v[88:89] op_sel_hi:[1,0]
	v_pk_add_f32 v[94:95], v[94:95], v[248:249]
	v_pk_fma_f32 v[86:87], v[162:163], v[146:147], v[86:87] neg_lo:[0,0,1] neg_hi:[0,0,1]
	v_pk_mul_f32 v[90:91], v[166:167], v[150:151] op_sel:[1,1] op_sel_hi:[0,1]
	v_mov_b32_e32 v87, v97
	v_pk_fma_f32 v[96:97], v[164:165], v[148:149], v[88:89] op_sel_hi:[1,0,1]
	v_pk_add_f32 v[94:95], v[94:95], v[250:251]
	v_pk_fma_f32 v[88:89], v[164:165], v[148:149], v[88:89] neg_lo:[0,0,1] neg_hi:[0,0,1]
	v_pk_fma_f32 v[100:101], v[166:167], v[150:151], v[90:91] op_sel_hi:[1,0,1]
	v_pk_mul_f32 v[92:93], v[242:243], v[92:93] op_sel_hi:[1,0]
	v_mov_b32_e32 v89, v97
	v_pk_add_f32 v[86:87], v[94:95], v[86:87]
	s_wait_loadcnt 0x2
	v_pk_mul_f32 v[98:99], v[174:175], v[154:155] op_sel:[1,1] op_sel_hi:[0,1]
	v_mov_b32_e32 v94, v157
	v_pk_fma_f32 v[90:91], v[166:167], v[150:151], v[90:91] neg_lo:[0,0,1] neg_hi:[0,0,1]
	v_pk_fma_f32 v[96:97], v[168:169], v[152:153], v[92:93] op_sel_hi:[1,0,1]
	v_mov_b32_e32 v91, v101
	v_pk_add_f32 v[86:87], v[86:87], v[88:89]
	v_pk_fma_f32 v[88:89], v[174:175], v[154:155], v[98:99] op_sel_hi:[1,0,1]
	v_pk_mul_f32 v[94:95], v[244:245], v[94:95] op_sel_hi:[1,0]
	v_pk_fma_f32 v[92:93], v[168:169], v[152:153], v[92:93] neg_lo:[0,0,1] neg_hi:[0,0,1]
	v_mov_b32_e32 v93, v97
	v_pk_add_f32 v[86:87], v[86:87], v[90:91]
	v_pk_fma_f32 v[96:97], v[174:175], v[154:155], v[98:99] neg_lo:[0,0,1] neg_hi:[0,0,1]
	v_mov_b32_e32 v97, v89
	v_pk_fma_f32 v[88:89], v[176:177], v[156:157], v[94:95] op_sel_hi:[1,0,1]
	s_wait_loadcnt 0x1
	v_pk_mul_f32 v[90:91], v[178:179], v[158:159] op_sel:[1,1] op_sel_hi:[0,1]
	v_pk_add_f32 v[86:87], v[86:87], v[92:93]
	v_mov_b32_e32 v88, v161
	v_pk_fma_f32 v[94:95], v[176:177], v[156:157], v[94:95] neg_lo:[0,0,1] neg_hi:[0,0,1]
	s_delay_alu instid0(VALU_DEP_4)
	v_pk_fma_f32 v[92:93], v[178:179], v[158:159], v[90:91] op_sel_hi:[1,0,1]
	v_mov_b32_e32 v95, v89
	v_pk_add_f32 v[86:87], v[86:87], v[96:97]
	v_pk_mul_f32 v[88:89], v[246:247], v[88:89] op_sel_hi:[1,0]
	v_pk_fma_f32 v[90:91], v[178:179], v[158:159], v[90:91] neg_lo:[0,0,1] neg_hi:[0,0,1]
	v_mov_b32_e32 v91, v93
	s_delay_alu instid0(VALU_DEP_4) | instskip(NEXT) | instid1(VALU_DEP_4)
	v_pk_add_f32 v[86:87], v[86:87], v[94:95]
	v_pk_fma_f32 v[92:93], v[180:181], v[160:161], v[88:89] op_sel_hi:[1,0,1]
	v_pk_fma_f32 v[88:89], v[180:181], v[160:161], v[88:89] neg_lo:[0,0,1] neg_hi:[0,0,1]
	s_delay_alu instid0(VALU_DEP_3) | instskip(NEXT) | instid1(VALU_DEP_3)
	v_pk_add_f32 v[86:87], v[86:87], v[90:91]
	v_mov_b32_e32 v89, v93
	s_delay_alu instid0(VALU_DEP_1) | instskip(SKIP_1) | instid1(VALU_DEP_1)
	v_pk_add_f32 v[86:87], v[86:87], v[88:89]
	s_wait_loadcnt 0x0
	v_pk_add_f32 v[86:87], v[238:239], v[86:87] neg_lo:[0,1] neg_hi:[0,1]
	scratch_store_b64 off, v[86:87], off offset:24
	s_wait_xcnt 0x0
	v_cmpx_lt_u32_e32 2, v0
	s_cbranch_execz .LBB41_261
; %bb.260:
	scratch_load_b64 v[86:87], off, off offset:16
	v_mov_b64_e32 v[88:89], 0
	scratch_store_b64 off, v[88:89], off offset:16
	s_wait_loadcnt 0x0
	ds_store_b64 v1, v[86:87]
.LBB41_261:
	s_wait_xcnt 0x0
	s_or_b32 exec_lo, exec_lo, s0
	s_wait_storecnt_dscnt 0x0
	s_barrier_signal -1
	s_barrier_wait -1
	s_clause 0x14
	scratch_load_b128 v[86:89], off, off offset:24
	scratch_load_b128 v[90:93], off, off offset:40
	;; [unrolled: 1-line block ×19, first 2 shown]
	scratch_load_b64 v[238:239], off, off offset:328
	scratch_load_b64 v[240:241], off, off offset:16
	v_mov_b32_e32 v65, 0
	ds_load_2addr_b64 v[162:165], v65 offset0:75 offset1:76
	ds_load_2addr_b64 v[166:169], v65 offset0:73 offset1:74
	;; [unrolled: 1-line block ×19, first 2 shown]
	ds_load_b64 v[242:243], v65 offset:664
	s_wait_dscnt 0x13
	v_dual_mov_b32 v244, v165 :: v_dual_mov_b32 v245, v164
	s_wait_dscnt 0x11
	v_dual_mov_b32 v246, v173 :: v_dual_mov_b32 v247, v172
	;; [unrolled: 2-line block ×4, first 2 shown]
	s_mov_b32 s0, exec_lo
	s_wait_loadcnt 0x14
	v_dual_mul_f32 v5, v178, v87 :: v_dual_mul_f32 v67, v179, v87
	v_dual_mul_f32 v69, v181, v89 :: v_dual_mul_f32 v7, v180, v89
	s_wait_loadcnt 0x13
	v_mul_f32_e32 v11, v182, v91
	s_wait_loadcnt_dscnt 0x110b
	v_dual_mul_f32 v79, v195, v99 :: v_dual_fma_f32 v67, v178, v86, -v67
	v_dual_fmac_f32 v5, v179, v86 :: v_dual_mul_f32 v81, v197, v101
	v_dual_mul_f32 v71, v183, v91 :: v_dual_mul_f32 v73, v185, v93
	v_dual_fmac_f32 v7, v181, v88 :: v_dual_fma_f32 v69, v180, v88, -v69
	s_delay_alu instid0(VALU_DEP_3) | instskip(SKIP_3) | instid1(VALU_DEP_3)
	v_dual_add_f32 v5, 0, v5 :: v_dual_add_f32 v67, 0, v67
	v_dual_mul_f32 v13, v184, v93 :: v_dual_mul_f32 v15, v190, v95
	s_wait_loadcnt_dscnt 0x100a
	v_dual_mul_f32 v83, v199, v103 :: v_dual_fma_f32 v71, v182, v90, -v71
	v_dual_fmac_f32 v11, v183, v90 :: v_dual_add_f32 v5, v5, v7
	s_delay_alu instid0(VALU_DEP_3) | instskip(SKIP_2) | instid1(VALU_DEP_4)
	v_dual_add_f32 v7, v67, v69 :: v_dual_fmac_f32 v13, v185, v92
	v_dual_mul_f32 v75, v191, v95 :: v_dual_mul_f32 v77, v193, v97
	v_dual_mul_f32 v67, v201, v105 :: v_dual_fma_f32 v69, v184, v92, -v73
	v_dual_add_f32 v5, v5, v11 :: v_dual_fmac_f32 v15, v191, v94
	s_delay_alu instid0(VALU_DEP_3) | instskip(SKIP_2) | instid1(VALU_DEP_3)
	v_dual_add_f32 v7, v7, v71 :: v_dual_fma_f32 v71, v190, v94, -v75
	v_dual_mul_f32 v17, v192, v97 :: v_dual_mul_f32 v19, v194, v99
	s_wait_loadcnt_dscnt 0xf09
	v_dual_mul_f32 v11, v203, v107 :: v_dual_add_f32 v5, v5, v13
	s_delay_alu instid0(VALU_DEP_2) | instskip(SKIP_1) | instid1(VALU_DEP_3)
	v_dual_add_f32 v7, v7, v69 :: v_dual_fmac_f32 v17, v193, v96
	v_dual_mul_f32 v13, v205, v109 :: v_dual_fma_f32 v69, v192, v96, -v77
	v_dual_add_f32 v5, v5, v15 :: v_dual_fmac_f32 v19, v195, v98
	s_delay_alu instid0(VALU_DEP_3) | instskip(SKIP_2) | instid1(VALU_DEP_3)
	v_dual_add_f32 v7, v7, v71 :: v_dual_fma_f32 v71, v194, v98, -v79
	v_dual_mul_f32 v21, v196, v101 :: v_dual_mul_f32 v23, v198, v103
	s_wait_loadcnt_dscnt 0xe08
	v_dual_mul_f32 v15, v207, v111 :: v_dual_add_f32 v5, v5, v17
	s_delay_alu instid0(VALU_DEP_2) | instskip(SKIP_1) | instid1(VALU_DEP_3)
	v_dual_add_f32 v7, v7, v69 :: v_dual_fmac_f32 v21, v197, v100
	;; [unrolled: 9-line block ×3, first 2 shown]
	v_dual_mul_f32 v21, v213, v117 :: v_dual_fma_f32 v67, v200, v104, -v67
	v_dual_add_f32 v5, v5, v23 :: v_dual_fmac_f32 v27, v203, v106
	s_delay_alu instid0(VALU_DEP_3) | instskip(SKIP_2) | instid1(VALU_DEP_3)
	v_dual_add_f32 v7, v7, v71 :: v_dual_fma_f32 v11, v202, v106, -v11
	v_dual_mul_f32 v29, v204, v109 :: v_dual_mul_f32 v31, v206, v111
	s_wait_loadcnt_dscnt 0xc06
	v_dual_mul_f32 v23, v215, v119 :: v_dual_add_f32 v5, v5, v25
	s_delay_alu instid0(VALU_DEP_3) | instskip(NEXT) | instid1(VALU_DEP_3)
	v_dual_add_f32 v7, v7, v67 :: v_dual_mul_f32 v25, v217, v121
	v_fmac_f32_e32 v29, v205, v108
	s_delay_alu instid0(VALU_DEP_3) | instskip(NEXT) | instid1(VALU_DEP_3)
	v_dual_fma_f32 v13, v204, v108, -v13 :: v_dual_add_f32 v5, v5, v27
	v_dual_add_f32 v7, v7, v11 :: v_dual_mul_f32 v33, v208, v113
	v_mul_f32_e32 v35, v210, v115
	s_wait_loadcnt_dscnt 0xb05
	v_dual_mul_f32 v11, v219, v123 :: v_dual_fma_f32 v15, v206, v110, -v15
	v_dual_fmac_f32 v31, v207, v110 :: v_dual_add_f32 v5, v5, v29
	v_dual_add_f32 v7, v7, v13 :: v_dual_fmac_f32 v33, v209, v112
	v_dual_mul_f32 v13, v221, v125 :: v_dual_fma_f32 v17, v208, v112, -v17
	s_delay_alu instid0(VALU_DEP_3) | instskip(NEXT) | instid1(VALU_DEP_3)
	v_dual_add_f32 v5, v5, v31 :: v_dual_fmac_f32 v35, v211, v114
	v_dual_add_f32 v7, v7, v15 :: v_dual_fma_f32 v19, v210, v114, -v19
	v_dual_mul_f32 v37, v212, v117 :: v_dual_mul_f32 v39, v214, v119
	s_wait_loadcnt_dscnt 0xa04
	s_delay_alu instid0(VALU_DEP_3) | instskip(NEXT) | instid1(VALU_DEP_2)
	v_dual_mul_f32 v15, v223, v127 :: v_dual_add_f32 v5, v5, v33
	v_dual_add_f32 v7, v7, v17 :: v_dual_fmac_f32 v37, v213, v116
	v_dual_mul_f32 v17, v225, v129 :: v_dual_fma_f32 v21, v212, v116, -v21
	s_delay_alu instid0(VALU_DEP_3) | instskip(NEXT) | instid1(VALU_DEP_3)
	v_dual_add_f32 v5, v5, v35 :: v_dual_fmac_f32 v39, v215, v118
	v_dual_add_f32 v7, v7, v19 :: v_dual_fma_f32 v23, v214, v118, -v23
	v_dual_mul_f32 v41, v216, v121 :: v_dual_mul_f32 v43, v218, v123
	s_wait_loadcnt_dscnt 0x903
	s_delay_alu instid0(VALU_DEP_3) | instskip(NEXT) | instid1(VALU_DEP_2)
	v_dual_mul_f32 v19, v227, v131 :: v_dual_add_f32 v5, v5, v37
	;; [unrolled: 9-line block ×4, first 2 shown]
	v_dual_add_f32 v7, v7, v13 :: v_dual_fmac_f32 v49, v225, v128
	v_dual_mul_f32 v13, v237, v141 :: v_dual_fma_f32 v17, v224, v128, -v17
	s_delay_alu instid0(VALU_DEP_3) | instskip(NEXT) | instid1(VALU_DEP_3)
	v_dual_add_f32 v5, v5, v47 :: v_dual_fmac_f32 v51, v227, v130
	v_dual_add_f32 v7, v7, v15 :: v_dual_fma_f32 v19, v226, v130, -v19
	v_dual_mul_f32 v53, v228, v133 :: v_dual_mul_f32 v55, v230, v135
	s_wait_loadcnt 0x6
	s_delay_alu instid0(VALU_DEP_3) | instskip(NEXT) | instid1(VALU_DEP_2)
	v_dual_mul_f32 v15, v167, v143 :: v_dual_add_f32 v5, v5, v49
	v_dual_add_f32 v7, v7, v17 :: v_dual_fmac_f32 v53, v229, v132
	v_dual_mul_f32 v17, v169, v145 :: v_dual_fma_f32 v21, v228, v132, -v21
	s_delay_alu instid0(VALU_DEP_3) | instskip(NEXT) | instid1(VALU_DEP_3)
	v_dual_add_f32 v5, v5, v51 :: v_dual_fmac_f32 v55, v231, v134
	v_dual_add_f32 v7, v7, v19 :: v_dual_fma_f32 v23, v230, v134, -v23
	v_dual_mul_f32 v57, v232, v137 :: v_dual_mul_f32 v59, v234, v139
	s_wait_loadcnt 0x5
	s_delay_alu instid0(VALU_DEP_3) | instskip(NEXT) | instid1(VALU_DEP_3)
	v_dual_mul_f32 v19, v163, v147 :: v_dual_add_f32 v5, v5, v53
	v_dual_add_f32 v7, v7, v21 :: v_dual_mov_b32 v86, v149
	s_delay_alu instid0(VALU_DEP_3) | instskip(NEXT) | instid1(VALU_DEP_3)
	v_fmac_f32_e32 v57, v233, v136
	v_dual_fma_f32 v21, v232, v136, -v25 :: v_dual_add_f32 v5, v5, v55
	s_delay_alu instid0(VALU_DEP_3) | instskip(SKIP_1) | instid1(VALU_DEP_3)
	v_dual_add_f32 v7, v7, v23 :: v_dual_mul_f32 v61, v236, v141
	v_dual_mul_f32 v63, v166, v143 :: v_dual_fmac_f32 v59, v235, v138
	v_dual_add_f32 v5, v5, v57 :: v_dual_fma_f32 v11, v234, v138, -v11
	s_wait_loadcnt 0x4
	s_delay_alu instid0(VALU_DEP_3) | instskip(SKIP_3) | instid1(VALU_DEP_4)
	v_dual_add_f32 v7, v7, v21 :: v_dual_mov_b32 v90, v153
	v_fma_f32 v13, v236, v140, -v13
	v_fmac_f32_e32 v61, v237, v140
	v_dual_add_f32 v5, v5, v59 :: v_dual_fmac_f32 v63, v167, v142
	v_dual_add_f32 v7, v7, v11 :: v_dual_mul_f32 v253, v168, v145
	v_mul_f32_e32 v255, v162, v147
	s_delay_alu instid0(VALU_DEP_3) | instskip(NEXT) | instid1(VALU_DEP_3)
	v_dual_fma_f32 v11, v166, v142, -v15 :: v_dual_add_f32 v5, v5, v61
	v_dual_add_f32 v7, v7, v13 :: v_dual_fmac_f32 v253, v169, v144
	v_pk_mul_f32 v[88:89], v[170:171], v[150:151] op_sel:[1,1] op_sel_hi:[0,1]
	s_delay_alu instid0(VALU_DEP_3)
	v_dual_fma_f32 v252, v168, v144, -v17 :: v_dual_add_f32 v95, v5, v63
	v_pk_mul_f32 v[86:87], v[244:245], v[86:87] op_sel_hi:[1,0]
	s_wait_loadcnt 0x3
	v_dual_add_f32 v94, v7, v11 :: v_dual_mov_b32 v96, v157
	v_pk_fma_f32 v[100:101], v[170:171], v[150:151], v[88:89] op_sel_hi:[1,0,1]
	v_fmac_f32_e32 v255, v163, v146
	v_pk_fma_f32 v[98:99], v[164:165], v[148:149], v[86:87] op_sel_hi:[1,0,1]
	v_fma_f32 v254, v162, v146, -v19
	v_pk_add_f32 v[94:95], v[94:95], v[252:253]
	v_pk_fma_f32 v[86:87], v[164:165], v[148:149], v[86:87] neg_lo:[0,0,1] neg_hi:[0,0,1]
	v_pk_fma_f32 v[88:89], v[170:171], v[150:151], v[88:89] neg_lo:[0,0,1] neg_hi:[0,0,1]
	v_pk_mul_f32 v[90:91], v[246:247], v[90:91] op_sel_hi:[1,0]
	v_dual_mov_b32 v87, v99 :: v_dual_mov_b32 v89, v101
	v_pk_add_f32 v[94:95], v[94:95], v[254:255]
	v_pk_mul_f32 v[92:93], v[174:175], v[154:155] op_sel:[1,1] op_sel_hi:[0,1]
	s_delay_alu instid0(VALU_DEP_4)
	v_pk_fma_f32 v[100:101], v[172:173], v[152:153], v[90:91] op_sel_hi:[1,0,1]
	v_pk_fma_f32 v[90:91], v[172:173], v[152:153], v[90:91] neg_lo:[0,0,1] neg_hi:[0,0,1]
	v_pk_mul_f32 v[96:97], v[248:249], v[96:97] op_sel_hi:[1,0]
	v_pk_add_f32 v[86:87], v[94:95], v[86:87]
	v_pk_fma_f32 v[94:95], v[174:175], v[154:155], v[92:93] op_sel_hi:[1,0,1]
	v_mov_b32_e32 v91, v101
	v_pk_fma_f32 v[92:93], v[174:175], v[154:155], v[92:93] neg_lo:[0,0,1] neg_hi:[0,0,1]
	s_wait_loadcnt 0x2
	v_pk_mul_f32 v[98:99], v[186:187], v[158:159] op_sel:[1,1] op_sel_hi:[0,1]
	v_pk_add_f32 v[86:87], v[86:87], v[88:89]
	v_dual_mov_b32 v88, v161 :: v_dual_mov_b32 v93, v95
	v_pk_fma_f32 v[94:95], v[176:177], v[156:157], v[96:97] op_sel_hi:[1,0,1]
	v_pk_fma_f32 v[96:97], v[176:177], v[156:157], v[96:97] neg_lo:[0,0,1] neg_hi:[0,0,1]
	s_delay_alu instid0(VALU_DEP_4)
	v_pk_add_f32 v[86:87], v[86:87], v[90:91]
	v_pk_fma_f32 v[90:91], v[186:187], v[158:159], v[98:99] op_sel_hi:[1,0,1]
	v_pk_mul_f32 v[88:89], v[250:251], v[88:89] op_sel_hi:[1,0]
	v_mov_b32_e32 v97, v95
	s_wait_loadcnt_dscnt 0x100
	v_pk_mul_f32 v[94:95], v[242:243], v[238:239] op_sel:[1,1] op_sel_hi:[0,1]
	v_pk_add_f32 v[86:87], v[86:87], v[92:93]
	v_pk_fma_f32 v[92:93], v[186:187], v[158:159], v[98:99] neg_lo:[0,0,1] neg_hi:[0,0,1]
	v_mov_b32_e32 v93, v91
	v_pk_fma_f32 v[90:91], v[188:189], v[160:161], v[88:89] op_sel_hi:[1,0,1]
	v_pk_fma_f32 v[88:89], v[188:189], v[160:161], v[88:89] neg_lo:[0,0,1] neg_hi:[0,0,1]
	v_pk_add_f32 v[86:87], v[86:87], v[96:97]
	s_delay_alu instid0(VALU_DEP_3) | instskip(SKIP_1) | instid1(VALU_DEP_3)
	v_mov_b32_e32 v89, v91
	v_pk_fma_f32 v[90:91], v[242:243], v[238:239], v[94:95] op_sel_hi:[1,0,1]
	v_pk_add_f32 v[86:87], v[86:87], v[92:93]
	v_pk_fma_f32 v[92:93], v[242:243], v[238:239], v[94:95] neg_lo:[0,0,1] neg_hi:[0,0,1]
	s_delay_alu instid0(VALU_DEP_3) | instskip(NEXT) | instid1(VALU_DEP_3)
	v_mov_b32_e32 v93, v91
	v_pk_add_f32 v[86:87], v[86:87], v[88:89]
	s_delay_alu instid0(VALU_DEP_1) | instskip(SKIP_1) | instid1(VALU_DEP_1)
	v_pk_add_f32 v[86:87], v[86:87], v[92:93]
	s_wait_loadcnt 0x0
	v_pk_add_f32 v[86:87], v[240:241], v[86:87] neg_lo:[0,1] neg_hi:[0,1]
	scratch_store_b64 off, v[86:87], off offset:16
	s_wait_xcnt 0x0
	v_cmpx_lt_u32_e32 1, v0
	s_cbranch_execz .LBB41_263
; %bb.262:
	scratch_load_b64 v[86:87], off, off offset:8
	v_mov_b64_e32 v[88:89], 0
	scratch_store_b64 off, v[88:89], off offset:8
	s_wait_loadcnt 0x0
	ds_store_b64 v1, v[86:87]
.LBB41_263:
	s_wait_xcnt 0x0
	s_or_b32 exec_lo, exec_lo, s0
	s_wait_storecnt_dscnt 0x0
	s_barrier_signal -1
	s_barrier_wait -1
	s_clause 0x14
	scratch_load_b128 v[86:89], off, off offset:16
	scratch_load_b128 v[90:93], off, off offset:32
	;; [unrolled: 1-line block ×20, first 2 shown]
	scratch_load_b64 v[246:247], off, off offset:8
	ds_load_b128 v[166:169], v65 offset:608
	ds_load_b128 v[170:173], v65 offset:624
	;; [unrolled: 1-line block ×20, first 2 shown]
	s_wait_dscnt 0x13
	v_dual_mov_b32 v248, v169 :: v_dual_ashrrev_i32 v63, 31, v62
	s_wait_dscnt 0x12
	v_dual_mov_b32 v249, v168 :: v_dual_mov_b32 v250, v173
	v_dual_ashrrev_i32 v5, 31, v4 :: v_dual_ashrrev_i32 v7, 31, v6
	v_dual_ashrrev_i32 v11, 31, v10 :: v_dual_ashrrev_i32 v13, 31, v12
	;; [unrolled: 1-line block ×14, first 2 shown]
	s_mov_b32 s0, exec_lo
	s_wait_loadcnt_dscnt 0x1411
	v_dual_mul_f32 v65, v174, v87 :: v_dual_mul_f32 v67, v176, v89
	v_dual_mul_f32 v69, v175, v87 :: v_dual_mul_f32 v71, v177, v89
	s_delay_alu instid0(VALU_DEP_2) | instskip(NEXT) | instid1(VALU_DEP_2)
	v_dual_mov_b32 v251, v172 :: v_dual_fmac_f32 v65, v175, v86
	v_dual_fmac_f32 v67, v177, v88 :: v_dual_fma_f32 v69, v174, v86, -v69
	s_wait_dscnt 0x7
	s_delay_alu instid0(VALU_DEP_3)
	v_dual_fma_f32 v71, v176, v88, -v71 :: v_dual_mov_b32 v86, v217
	s_wait_loadcnt_dscnt 0x1306
	v_dual_mov_b32 v89, v220 :: v_dual_mul_f32 v73, v178, v91
	v_dual_mul_f32 v75, v180, v93 :: v_dual_mul_f32 v77, v179, v91
	s_wait_loadcnt 0x11
	v_dual_mul_f32 v83, v184, v97 :: v_dual_mul_f32 v85, v186, v99
	v_dual_add_f32 v65, 0, v65 :: v_dual_mul_f32 v99, v187, v99
	v_add_f32_e32 v69, 0, v69
	v_dual_mul_f32 v79, v181, v93 :: v_dual_mul_f32 v81, v182, v95
	v_dual_fmac_f32 v73, v179, v90 :: v_dual_fmac_f32 v75, v181, v92
	s_delay_alu instid0(VALU_DEP_2)
	v_dual_fma_f32 v77, v178, v90, -v77 :: v_dual_fma_f32 v79, v180, v92, -v79
	s_wait_loadcnt 0xc
	v_dual_add_f32 v65, v65, v67 :: v_dual_mul_f32 v178, v208, v121
	v_add_f32_e32 v69, v69, v71
	s_wait_loadcnt 0xb
	v_dual_mul_f32 v67, v189, v101 :: v_dual_mul_f32 v71, v210, v123
	v_dual_mul_f32 v174, v192, v105 :: v_dual_mul_f32 v91, v183, v95
	s_delay_alu instid0(VALU_DEP_2) | instskip(SKIP_4) | instid1(VALU_DEP_2)
	v_dual_add_f32 v65, v65, v73 :: v_dual_fma_f32 v67, v188, v100, -v67
	s_wait_loadcnt_dscnt 0xa05
	v_dual_mul_f32 v73, v222, v127 :: v_dual_add_f32 v69, v69, v77
	v_dual_mul_f32 v93, v185, v97 :: v_dual_mul_f32 v95, v194, v107
	v_dual_fmac_f32 v81, v183, v94 :: v_dual_fmac_f32 v83, v185, v96
	v_dual_fma_f32 v91, v182, v94, -v91 :: v_dual_fma_f32 v93, v184, v96, -v93
	s_wait_loadcnt_dscnt 0x904
	v_dual_add_f32 v65, v65, v75 :: v_dual_mul_f32 v75, v228, v133
	v_dual_add_f32 v69, v69, v79 :: v_dual_mul_f32 v90, v188, v101
	v_mul_f32_e32 v92, v190, v103
	s_wait_loadcnt_dscnt 0x803
	s_delay_alu instid0(VALU_DEP_3) | instskip(NEXT) | instid1(VALU_DEP_3)
	v_dual_mul_f32 v79, v230, v135 :: v_dual_add_f32 v65, v65, v81
	v_dual_mul_f32 v101, v232, v137 :: v_dual_add_f32 v69, v69, v91
	v_dual_fmac_f32 v85, v187, v98 :: v_dual_fmac_f32 v90, v189, v100
	v_dual_fma_f32 v98, v186, v98, -v99 :: v_dual_mul_f32 v99, v212, v125
	s_wait_loadcnt_dscnt 0x601
	v_dual_add_f32 v65, v65, v83 :: v_dual_mul_f32 v83, v240, v145
	v_dual_mul_f32 v180, v238, v143 :: v_dual_add_f32 v69, v69, v93
	s_wait_loadcnt_dscnt 0x500
	v_dual_mul_f32 v93, v244, v149 :: v_dual_mul_f32 v91, v242, v147
	s_delay_alu instid0(VALU_DEP_3) | instskip(NEXT) | instid1(VALU_DEP_3)
	v_dual_add_f32 v65, v65, v85 :: v_dual_mul_f32 v85, v191, v103
	v_add_f32_e32 v69, v69, v98
	v_dual_mul_f32 v98, v193, v105 :: v_dual_mul_f32 v103, v195, v107
	s_delay_alu instid0(VALU_DEP_3) | instskip(SKIP_1) | instid1(VALU_DEP_4)
	v_add_f32_e32 v65, v65, v90
	v_dual_mul_f32 v90, v197, v109 :: v_dual_fmac_f32 v92, v191, v102
	v_dual_add_f32 v67, v69, v67 :: v_dual_fma_f32 v85, v190, v102, -v85
	v_dual_mul_f32 v69, v199, v111 :: v_dual_fmac_f32 v174, v193, v104
	v_dual_fma_f32 v98, v192, v104, -v98 :: v_dual_mul_f32 v102, v201, v113
	s_delay_alu instid0(VALU_DEP_3)
	v_dual_add_f32 v65, v65, v92 :: v_dual_add_f32 v67, v67, v85
	v_dual_mul_f32 v94, v196, v109 :: v_dual_mul_f32 v96, v198, v111
	v_dual_mul_f32 v104, v203, v115 :: v_dual_mul_f32 v85, v205, v117
	v_fmac_f32_e32 v95, v195, v106
	v_fma_f32 v92, v194, v106, -v103
	v_dual_add_f32 v65, v65, v174 :: v_dual_fma_f32 v90, v196, v108, -v90
	v_dual_add_f32 v67, v67, v98 :: v_dual_fmac_f32 v94, v197, v108
	v_mul_f32_e32 v98, v207, v119
	s_delay_alu instid0(VALU_DEP_3) | instskip(NEXT) | instid1(VALU_DEP_3)
	v_dual_add_f32 v65, v65, v95 :: v_dual_mul_f32 v97, v200, v113
	v_dual_mul_f32 v175, v202, v115 :: v_dual_add_f32 v67, v67, v92
	v_dual_mul_f32 v92, v209, v121 :: v_dual_fmac_f32 v96, v199, v110
	v_fma_f32 v69, v198, v110, -v69
	s_delay_alu instid0(VALU_DEP_4) | instskip(NEXT) | instid1(VALU_DEP_4)
	v_dual_add_f32 v65, v65, v94 :: v_dual_fma_f32 v94, v200, v112, -v102
	v_dual_add_f32 v67, v67, v90 :: v_dual_fmac_f32 v97, v201, v112
	s_delay_alu instid0(VALU_DEP_2) | instskip(SKIP_1) | instid1(VALU_DEP_3)
	v_dual_mul_f32 v90, v211, v123 :: v_dual_add_f32 v65, v65, v96
	v_dual_mul_f32 v176, v204, v117 :: v_dual_mul_f32 v177, v206, v119
	v_add_f32_e32 v67, v67, v69
	v_dual_mul_f32 v69, v213, v125 :: v_dual_fmac_f32 v175, v203, v114
	s_delay_alu instid0(VALU_DEP_4) | instskip(NEXT) | instid1(VALU_DEP_3)
	v_dual_fma_f32 v95, v202, v114, -v104 :: v_dual_add_f32 v65, v65, v97
	v_dual_add_f32 v67, v67, v94 :: v_dual_fmac_f32 v176, v205, v116
	v_dual_mul_f32 v94, v223, v127 :: v_dual_fma_f32 v85, v204, v116, -v85
	s_delay_alu instid0(VALU_DEP_3) | instskip(NEXT) | instid1(VALU_DEP_3)
	v_dual_add_f32 v65, v65, v175 :: v_dual_fmac_f32 v177, v207, v118
	v_dual_add_f32 v67, v67, v95 :: v_dual_mul_f32 v95, v225, v129
	s_delay_alu instid0(VALU_DEP_2) | instskip(NEXT) | instid1(VALU_DEP_2)
	v_dual_fma_f32 v96, v206, v118, -v98 :: v_dual_add_f32 v65, v65, v176
	v_dual_fmac_f32 v178, v209, v120 :: v_dual_add_f32 v67, v67, v85
	v_dual_mul_f32 v85, v227, v131 :: v_dual_fma_f32 v92, v208, v120, -v92
	s_delay_alu instid0(VALU_DEP_3) | instskip(NEXT) | instid1(VALU_DEP_3)
	v_dual_add_f32 v65, v65, v177 :: v_dual_fmac_f32 v71, v211, v122
	v_dual_add_f32 v67, v67, v96 :: v_dual_mul_f32 v96, v229, v133
	v_fma_f32 v90, v210, v122, -v90
	s_delay_alu instid0(VALU_DEP_3) | instskip(SKIP_1) | instid1(VALU_DEP_4)
	v_add_f32_e32 v65, v65, v178
	v_dual_fmac_f32 v99, v213, v124 :: v_dual_fma_f32 v69, v212, v124, -v69
	v_add_f32_e32 v67, v67, v92
	v_mul_f32_e32 v92, v231, v135
	s_delay_alu instid0(VALU_DEP_4) | instskip(NEXT) | instid1(VALU_DEP_3)
	v_dual_add_f32 v65, v65, v71 :: v_dual_mul_f32 v77, v224, v129
	v_dual_mul_f32 v100, v226, v131 :: v_dual_add_f32 v67, v67, v90
	v_dual_mul_f32 v71, v233, v137 :: v_dual_fmac_f32 v73, v223, v126
	s_delay_alu instid0(VALU_DEP_3) | instskip(NEXT) | instid1(VALU_DEP_3)
	v_dual_fma_f32 v90, v222, v126, -v94 :: v_dual_add_f32 v65, v65, v99
	v_dual_add_f32 v67, v67, v69 :: v_dual_fmac_f32 v77, v225, v128
	v_dual_mul_f32 v69, v235, v139 :: v_dual_fma_f32 v94, v224, v128, -v95
	s_delay_alu instid0(VALU_DEP_2) | instskip(SKIP_1) | instid1(VALU_DEP_2)
	v_dual_add_f32 v65, v65, v73 :: v_dual_add_f32 v67, v67, v90
	v_dual_mul_f32 v73, v237, v141 :: v_dual_fmac_f32 v100, v227, v130
	v_dual_fma_f32 v85, v226, v130, -v85 :: v_dual_add_f32 v65, v65, v77
	s_delay_alu instid0(VALU_DEP_3) | instskip(SKIP_1) | instid1(VALU_DEP_2)
	v_dual_add_f32 v67, v67, v94 :: v_dual_fmac_f32 v75, v229, v132
	v_dual_mul_f32 v77, v239, v143 :: v_dual_fma_f32 v90, v228, v132, -v96
	v_dual_add_f32 v65, v65, v100 :: v_dual_add_f32 v67, v67, v85
	v_dual_mul_f32 v85, v241, v145 :: v_dual_fmac_f32 v79, v231, v134
	s_delay_alu instid0(VALU_DEP_2) | instskip(NEXT) | instid1(VALU_DEP_3)
	v_dual_fma_f32 v92, v230, v134, -v92 :: v_dual_add_f32 v65, v65, v75
	v_dual_add_f32 v67, v67, v90 :: v_dual_fmac_f32 v101, v233, v136
	v_dual_mul_f32 v81, v234, v139 :: v_dual_mul_f32 v179, v236, v141
	v_dual_mul_f32 v75, v243, v147 :: v_dual_fma_f32 v71, v232, v136, -v71
	s_delay_alu instid0(VALU_DEP_3) | instskip(NEXT) | instid1(VALU_DEP_3)
	v_dual_add_f32 v65, v65, v79 :: v_dual_add_f32 v67, v67, v92
	v_dual_mul_f32 v79, v245, v149 :: v_dual_fmac_f32 v81, v235, v138
	s_delay_alu instid0(VALU_DEP_2) | instskip(NEXT) | instid1(VALU_DEP_3)
	v_dual_fma_f32 v69, v234, v138, -v69 :: v_dual_add_f32 v65, v65, v101
	v_dual_add_f32 v67, v67, v71 :: v_dual_fmac_f32 v179, v237, v140
	s_wait_loadcnt 0x4
	v_dual_fma_f32 v71, v236, v140, -v73 :: v_dual_mov_b32 v96, v153
	s_delay_alu instid0(VALU_DEP_3) | instskip(NEXT) | instid1(VALU_DEP_3)
	v_add_f32_e32 v65, v65, v81
	v_add_f32_e32 v67, v67, v69
	v_dual_fmac_f32 v180, v239, v142 :: v_dual_fma_f32 v69, v238, v142, -v77
	v_fmac_f32_e32 v83, v241, v144
	s_delay_alu instid0(VALU_DEP_4) | instskip(NEXT) | instid1(VALU_DEP_4)
	v_add_f32_e32 v65, v65, v179
	v_dual_add_f32 v67, v67, v71 :: v_dual_fma_f32 v71, v240, v144, -v85
	v_pk_mul_f32 v[94:95], v[166:167], v[150:151] op_sel:[1,1] op_sel_hi:[0,1]
	s_wait_loadcnt 0x3
	v_dual_mov_b32 v100, v157 :: v_dual_fmac_f32 v91, v243, v146
	s_delay_alu instid0(VALU_DEP_3) | instskip(SKIP_2) | instid1(VALU_DEP_3)
	v_dual_add_f32 v65, v65, v180 :: v_dual_add_f32 v67, v67, v69
	v_dual_fma_f32 v90, v242, v146, -v75 :: v_dual_fmac_f32 v93, v245, v148
	v_pk_fma_f32 v[104:105], v[166:167], v[150:151], v[94:95] op_sel_hi:[1,0,1]
	v_add_f32_e32 v103, v65, v83
	s_delay_alu instid0(VALU_DEP_4) | instskip(SKIP_3) | instid1(VALU_DEP_4)
	v_dual_add_f32 v102, v67, v71 :: v_dual_fma_f32 v92, v244, v148, -v79
	v_pk_mul_f32 v[96:97], v[248:249], v[96:97] op_sel_hi:[1,0]
	v_pk_fma_f32 v[94:95], v[166:167], v[150:151], v[94:95] neg_lo:[0,0,1] neg_hi:[0,0,1]
	v_pk_mul_f32 v[98:99], v[170:171], v[154:155] op_sel:[1,1] op_sel_hi:[0,1]
	v_pk_add_f32 v[90:91], v[102:103], v[90:91]
	v_mov_b32_e32 v95, v105
	v_pk_fma_f32 v[104:105], v[168:169], v[152:153], v[96:97] op_sel_hi:[1,0,1]
	v_pk_fma_f32 v[96:97], v[168:169], v[152:153], v[96:97] neg_lo:[0,0,1] neg_hi:[0,0,1]
	v_pk_mul_f32 v[100:101], v[250:251], v[100:101] op_sel_hi:[1,0]
	v_pk_add_f32 v[90:91], v[90:91], v[92:93]
	v_pk_fma_f32 v[92:93], v[170:171], v[154:155], v[98:99] op_sel_hi:[1,0,1]
	s_wait_loadcnt 0x2
	v_dual_mov_b32 v97, v105 :: v_dual_mov_b32 v92, v161
	v_dual_mov_b32 v87, v216 :: v_dual_mov_b32 v88, v221
	v_pk_add_f32 v[90:91], v[90:91], v[94:95]
	v_pk_fma_f32 v[94:95], v[170:171], v[154:155], v[98:99] neg_lo:[0,0,1] neg_hi:[0,0,1]
	v_pk_mul_f32 v[102:103], v[214:215], v[158:159] op_sel:[1,1] op_sel_hi:[0,1]
	v_pk_fma_f32 v[98:99], v[172:173], v[156:157], v[100:101] op_sel_hi:[1,0,1]
	v_mov_b32_e32 v95, v93
	v_pk_add_f32 v[90:91], v[90:91], v[96:97]
	v_pk_mul_f32 v[86:87], v[86:87], v[92:93] op_sel_hi:[1,0]
	v_pk_fma_f32 v[92:93], v[172:173], v[156:157], v[100:101] neg_lo:[0,0,1] neg_hi:[0,0,1]
	v_pk_fma_f32 v[96:97], v[214:215], v[158:159], v[102:103] op_sel_hi:[1,0,1]
	v_mov_b32_e32 v93, v99
	v_pk_add_f32 v[90:91], v[90:91], v[94:95]
	v_pk_fma_f32 v[98:99], v[214:215], v[158:159], v[102:103] neg_lo:[0,0,1] neg_hi:[0,0,1]
	s_wait_loadcnt 0x1
	v_pk_mul_f32 v[94:95], v[218:219], v[162:163] op_sel:[1,1] op_sel_hi:[0,1]
	v_mov_b32_e32 v99, v97
	v_pk_fma_f32 v[96:97], v[216:217], v[160:161], v[86:87] op_sel_hi:[1,0,1]
	v_pk_add_f32 v[90:91], v[90:91], v[92:93]
	v_mov_b32_e32 v92, v165
	v_pk_fma_f32 v[86:87], v[216:217], v[160:161], v[86:87] neg_lo:[0,0,1] neg_hi:[0,0,1]
	v_pk_fma_f32 v[100:101], v[218:219], v[162:163], v[94:95] op_sel_hi:[1,0,1]
	v_dual_mov_b32 v87, v97 :: v_dual_ashrrev_i32 v65, 31, v64
	v_pk_add_f32 v[90:91], v[90:91], v[98:99]
	v_pk_mul_f32 v[88:89], v[88:89], v[92:93] op_sel_hi:[1,0]
	v_pk_fma_f32 v[92:93], v[218:219], v[162:163], v[94:95] neg_lo:[0,0,1] neg_hi:[0,0,1]
	v_dual_mov_b32 v93, v101 :: v_dual_ashrrev_i32 v67, 31, v66
	s_delay_alu instid0(VALU_DEP_4) | instskip(NEXT) | instid1(VALU_DEP_4)
	v_pk_add_f32 v[86:87], v[90:91], v[86:87]
	v_pk_fma_f32 v[90:91], v[220:221], v[164:165], v[88:89] op_sel_hi:[1,0,1]
	v_pk_fma_f32 v[88:89], v[220:221], v[164:165], v[88:89] neg_lo:[0,0,1] neg_hi:[0,0,1]
	v_dual_ashrrev_i32 v69, 31, v68 :: v_dual_ashrrev_i32 v71, 31, v70
	v_ashrrev_i32_e32 v73, 31, v72
	v_pk_add_f32 v[86:87], v[86:87], v[92:93]
	v_dual_mov_b32 v89, v91 :: v_dual_ashrrev_i32 v75, 31, v74
	v_dual_ashrrev_i32 v77, 31, v76 :: v_dual_ashrrev_i32 v79, 31, v78
	v_ashrrev_i32_e32 v81, 31, v80
	s_delay_alu instid0(VALU_DEP_3) | instskip(SKIP_2) | instid1(VALU_DEP_2)
	v_pk_add_f32 v[86:87], v[86:87], v[88:89]
	v_dual_ashrrev_i32 v83, 31, v82 :: v_dual_ashrrev_i32 v85, 31, v84
	s_wait_loadcnt 0x0
	v_pk_add_f32 v[86:87], v[246:247], v[86:87] neg_lo:[0,1] neg_hi:[0,1]
	scratch_store_b64 off, v[86:87], off offset:8
	s_wait_xcnt 0x0
	v_cmpx_ne_u32_e32 0, v0
	s_cbranch_execz .LBB41_265
; %bb.264:
	scratch_load_b64 v[86:87], off, off
	v_mov_b64_e32 v[88:89], 0
	scratch_store_b64 off, v[88:89], off
	s_wait_loadcnt 0x0
	ds_store_b64 v1, v[86:87]
.LBB41_265:
	s_wait_xcnt 0x0
	s_or_b32 exec_lo, exec_lo, s0
	s_wait_storecnt_dscnt 0x0
	s_barrier_signal -1
	s_barrier_wait -1
	s_clause 0x10
	scratch_load_b128 v[92:95], off, off offset:8
	scratch_load_b128 v[100:103], off, off offset:24
	;; [unrolled: 1-line block ×17, first 2 shown]
	v_mov_b32_e32 v86, 0
	s_and_b32 vcc_lo, exec_lo, s18
	ds_load_2addr_b64 v[88:91], v86 offset0:43 offset1:44
	ds_load_2addr_b64 v[96:99], v86 offset0:45 offset1:46
	s_wait_loadcnt_dscnt 0x1001
	v_mul_f32_e32 v0, v88, v93
	ds_load_2addr_b64 v[200:203], v86 offset0:71 offset1:72
	ds_load_2addr_b64 v[208:211], v86 offset0:73 offset1:74
	v_mul_f32_e32 v1, v90, v95
	ds_load_2addr_b64 v[104:107], v86 offset0:47 offset1:48
	ds_load_2addr_b64 v[112:115], v86 offset0:49 offset1:50
	v_fmac_f32_e32 v0, v89, v92
	ds_load_2addr_b64 v[216:219], v86 offset0:75 offset1:76
	v_fmac_f32_e32 v1, v91, v94
	ds_load_2addr_b64 v[120:123], v86 offset0:51 offset1:52
	ds_load_2addr_b64 v[128:131], v86 offset0:53 offset1:54
	v_add_f32_e32 v0, 0, v0
	ds_load_2addr_b64 v[136:139], v86 offset0:55 offset1:56
	ds_load_2addr_b64 v[144:147], v86 offset0:57 offset1:58
	;; [unrolled: 1-line block ×4, first 2 shown]
	v_add_f32_e32 v0, v0, v1
	s_wait_loadcnt_dscnt 0xf0b
	v_mul_f32_e32 v1, v96, v101
	ds_load_2addr_b64 v[168:171], v86 offset0:63 offset1:64
	ds_load_2addr_b64 v[176:179], v86 offset0:65 offset1:66
	;; [unrolled: 1-line block ×4, first 2 shown]
	s_wait_loadcnt_dscnt 0xd0d
	v_dual_mul_f32 v237, v210, v215 :: v_dual_fmac_f32 v1, v97, v100
	s_clause 0x3
	scratch_load_b128 v[224:227], off, off offset:280
	scratch_load_b128 v[228:231], off, off offset:296
	;; [unrolled: 1-line block ×3, first 2 shown]
	scratch_load_b64 v[240:241], off, off offset:328
	s_wait_loadcnt_dscnt 0xe0a
	v_dual_mul_f32 v87, v91, v95 :: v_dual_mul_f32 v239, v216, v221
	v_dual_add_f32 v0, v0, v1 :: v_dual_mul_f32 v1, v98, v103
	v_fmac_f32_e32 v237, v211, v214
	s_delay_alu instid0(VALU_DEP_3) | instskip(NEXT) | instid1(VALU_DEP_3)
	v_fma_f32 v87, v90, v94, -v87
	v_dual_fmac_f32 v239, v217, v220 :: v_dual_fmac_f32 v1, v99, v102
	s_delay_alu instid0(VALU_DEP_1) | instskip(SKIP_1) | instid1(VALU_DEP_1)
	v_add_f32_e32 v0, v0, v1
	v_mul_f32_e32 v1, v104, v109
	v_fmac_f32_e32 v1, v105, v108
	s_delay_alu instid0(VALU_DEP_1) | instskip(NEXT) | instid1(VALU_DEP_1)
	v_dual_add_f32 v0, v0, v1 :: v_dual_mul_f32 v1, v106, v111
	v_fmac_f32_e32 v1, v107, v110
	s_delay_alu instid0(VALU_DEP_1) | instskip(SKIP_1) | instid1(VALU_DEP_1)
	v_add_f32_e32 v0, v0, v1
	v_mul_f32_e32 v1, v112, v117
	v_fmac_f32_e32 v1, v113, v116
	s_delay_alu instid0(VALU_DEP_1) | instskip(NEXT) | instid1(VALU_DEP_1)
	v_dual_add_f32 v0, v0, v1 :: v_dual_mul_f32 v1, v114, v119
	v_fmac_f32_e32 v1, v115, v118
	s_delay_alu instid0(VALU_DEP_1) | instskip(SKIP_2) | instid1(VALU_DEP_1)
	v_add_f32_e32 v0, v0, v1
	s_wait_loadcnt_dscnt 0xd09
	v_mul_f32_e32 v1, v120, v125
	v_fmac_f32_e32 v1, v121, v124
	s_delay_alu instid0(VALU_DEP_1) | instskip(NEXT) | instid1(VALU_DEP_1)
	v_dual_add_f32 v0, v0, v1 :: v_dual_mul_f32 v1, v122, v127
	v_fmac_f32_e32 v1, v123, v126
	s_delay_alu instid0(VALU_DEP_1) | instskip(SKIP_2) | instid1(VALU_DEP_1)
	v_add_f32_e32 v0, v0, v1
	s_wait_loadcnt_dscnt 0xc08
	;; [unrolled: 8-line block ×10, first 2 shown]
	v_mul_f32_e32 v1, v192, v197
	v_fmac_f32_e32 v1, v193, v196
	s_delay_alu instid0(VALU_DEP_1) | instskip(NEXT) | instid1(VALU_DEP_1)
	v_dual_add_f32 v0, v0, v1 :: v_dual_mul_f32 v1, v194, v199
	v_fmac_f32_e32 v1, v195, v198
	s_delay_alu instid0(VALU_DEP_1) | instskip(SKIP_1) | instid1(VALU_DEP_1)
	v_add_f32_e32 v0, v0, v1
	v_mul_f32_e32 v1, v200, v205
	v_fmac_f32_e32 v1, v201, v204
	s_delay_alu instid0(VALU_DEP_1) | instskip(NEXT) | instid1(VALU_DEP_1)
	v_dual_add_f32 v0, v0, v1 :: v_dual_mul_f32 v1, v202, v207
	v_fmac_f32_e32 v1, v203, v206
	s_delay_alu instid0(VALU_DEP_1) | instskip(SKIP_1) | instid1(VALU_DEP_1)
	v_add_f32_e32 v0, v0, v1
	v_mul_f32_e32 v1, v208, v213
	v_fmac_f32_e32 v1, v209, v212
	s_delay_alu instid0(VALU_DEP_1) | instskip(SKIP_1) | instid1(VALU_DEP_1)
	v_add_f32_e32 v1, v0, v1
	v_mul_f32_e32 v0, v89, v93
	v_fma_f32 v0, v88, v92, -v0
	s_delay_alu instid0(VALU_DEP_1) | instskip(NEXT) | instid1(VALU_DEP_1)
	v_add_f32_e32 v0, 0, v0
	v_dual_add_f32 v0, v0, v87 :: v_dual_mul_f32 v87, v97, v101
	s_delay_alu instid0(VALU_DEP_1) | instskip(NEXT) | instid1(VALU_DEP_1)
	v_fma_f32 v87, v96, v100, -v87
	v_add_f32_e32 v0, v0, v87
	v_dual_mul_f32 v87, v99, v103 :: v_dual_mov_b32 v103, v218
	s_delay_alu instid0(VALU_DEP_1)
	v_dual_fma_f32 v87, v98, v102, -v87 :: v_dual_mov_b32 v102, v219
	ds_load_2addr_b64 v[88:91], v86 offset0:77 offset1:78
	ds_load_2addr_b64 v[92:95], v86 offset0:79 offset1:80
	;; [unrolled: 1-line block ×3, first 2 shown]
	ds_load_b64 v[100:101], v86 offset:664
	v_dual_add_f32 v0, v0, v87 :: v_dual_mul_f32 v87, v105, v109
	s_delay_alu instid0(VALU_DEP_1) | instskip(NEXT) | instid1(VALU_DEP_1)
	v_dual_fma_f32 v87, v104, v108, -v87 :: v_dual_mov_b32 v104, v223
	v_add_f32_e32 v0, v0, v87
	v_mul_f32_e32 v87, v107, v111
	s_delay_alu instid0(VALU_DEP_3) | instskip(NEXT) | instid1(VALU_DEP_2)
	v_pk_mul_f32 v[102:103], v[102:103], v[104:105] op_sel_hi:[1,0]
	v_fma_f32 v87, v106, v110, -v87
	s_delay_alu instid0(VALU_DEP_2) | instskip(SKIP_1) | instid1(VALU_DEP_3)
	v_pk_fma_f32 v[104:105], v[218:219], v[222:223], v[102:103] neg_lo:[0,0,1] neg_hi:[0,0,1]
	v_pk_fma_f32 v[102:103], v[218:219], v[222:223], v[102:103] op_sel_hi:[1,0,1]
	v_dual_add_f32 v0, v0, v87 :: v_dual_mul_f32 v87, v113, v117
	s_delay_alu instid0(VALU_DEP_2) | instskip(SKIP_2) | instid1(VALU_DEP_3)
	v_mov_b32_e32 v105, v103
	s_wait_loadcnt_dscnt 0x303
	v_pk_mul_f32 v[102:103], v[88:89], v[224:225] op_sel:[1,1] op_sel_hi:[0,1]
	v_fma_f32 v87, v112, v116, -v87
	s_delay_alu instid0(VALU_DEP_1) | instskip(SKIP_1) | instid1(VALU_DEP_1)
	v_add_f32_e32 v0, v0, v87
	v_mul_f32_e32 v87, v115, v119
	v_fma_f32 v87, v114, v118, -v87
	s_delay_alu instid0(VALU_DEP_1) | instskip(NEXT) | instid1(VALU_DEP_1)
	v_dual_add_f32 v0, v0, v87 :: v_dual_mul_f32 v87, v121, v125
	v_fma_f32 v87, v120, v124, -v87
	s_delay_alu instid0(VALU_DEP_1) | instskip(SKIP_1) | instid1(VALU_DEP_1)
	v_add_f32_e32 v0, v0, v87
	v_mul_f32_e32 v87, v123, v127
	v_fma_f32 v87, v122, v126, -v87
	s_delay_alu instid0(VALU_DEP_1) | instskip(NEXT) | instid1(VALU_DEP_1)
	v_dual_add_f32 v0, v0, v87 :: v_dual_mul_f32 v87, v129, v133
	;; [unrolled: 7-line block ×12, first 2 shown]
	v_fma_f32 v87, v208, v212, -v87
	s_delay_alu instid0(VALU_DEP_1) | instskip(SKIP_1) | instid1(VALU_DEP_1)
	v_add_f32_e32 v0, v0, v87
	v_mul_f32_e32 v87, v211, v215
	v_dual_fma_f32 v236, v210, v214, -v87 :: v_dual_mul_f32 v87, v217, v221
	s_delay_alu instid0(VALU_DEP_1) | instskip(NEXT) | instid1(VALU_DEP_2)
	v_pk_add_f32 v[0:1], v[0:1], v[236:237]
	v_fma_f32 v238, v216, v220, -v87
	s_delay_alu instid0(VALU_DEP_1) | instskip(NEXT) | instid1(VALU_DEP_1)
	v_pk_add_f32 v[0:1], v[0:1], v[238:239]
	v_pk_add_f32 v[0:1], v[0:1], v[104:105]
	v_pk_fma_f32 v[104:105], v[88:89], v[224:225], v[102:103] neg_lo:[0,0,1] neg_hi:[0,0,1]
	v_pk_fma_f32 v[88:89], v[88:89], v[224:225], v[102:103] op_sel_hi:[1,0,1]
	v_dual_mov_b32 v88, v91 :: v_dual_mov_b32 v102, v227
	s_delay_alu instid0(VALU_DEP_2) | instskip(NEXT) | instid1(VALU_DEP_1)
	v_dual_mov_b32 v105, v89 :: v_dual_mov_b32 v89, v90
	v_pk_add_f32 v[0:1], v[0:1], v[104:105]
	s_delay_alu instid0(VALU_DEP_2) | instskip(NEXT) | instid1(VALU_DEP_1)
	v_pk_mul_f32 v[88:89], v[88:89], v[102:103] op_sel_hi:[1,0]
	v_pk_fma_f32 v[102:103], v[90:91], v[226:227], v[88:89] neg_lo:[0,0,1] neg_hi:[0,0,1]
	v_pk_fma_f32 v[88:89], v[90:91], v[226:227], v[88:89] op_sel_hi:[1,0,1]
	s_delay_alu instid0(VALU_DEP_1) | instskip(SKIP_2) | instid1(VALU_DEP_2)
	v_mov_b32_e32 v103, v89
	s_wait_loadcnt_dscnt 0x202
	v_pk_mul_f32 v[88:89], v[92:93], v[228:229] op_sel:[1,1] op_sel_hi:[0,1]
	v_pk_add_f32 v[0:1], v[0:1], v[102:103]
	s_delay_alu instid0(VALU_DEP_2) | instskip(SKIP_1) | instid1(VALU_DEP_1)
	v_pk_fma_f32 v[90:91], v[92:93], v[228:229], v[88:89] neg_lo:[0,0,1] neg_hi:[0,0,1]
	v_pk_fma_f32 v[88:89], v[92:93], v[228:229], v[88:89] op_sel_hi:[1,0,1]
	v_dual_mov_b32 v88, v95 :: v_dual_mov_b32 v91, v89
	v_mov_b32_e32 v89, v94
	s_delay_alu instid0(VALU_DEP_2) | instskip(SKIP_1) | instid1(VALU_DEP_1)
	v_pk_add_f32 v[0:1], v[0:1], v[90:91]
	v_mov_b32_e32 v90, v231
	v_pk_mul_f32 v[88:89], v[88:89], v[90:91] op_sel_hi:[1,0]
	s_delay_alu instid0(VALU_DEP_1) | instskip(SKIP_1) | instid1(VALU_DEP_1)
	v_pk_fma_f32 v[90:91], v[94:95], v[230:231], v[88:89] neg_lo:[0,0,1] neg_hi:[0,0,1]
	v_pk_fma_f32 v[88:89], v[94:95], v[230:231], v[88:89] op_sel_hi:[1,0,1]
	v_mov_b32_e32 v91, v89
	s_wait_loadcnt_dscnt 0x101
	v_pk_mul_f32 v[88:89], v[96:97], v[232:233] op_sel:[1,1] op_sel_hi:[0,1]
	s_delay_alu instid0(VALU_DEP_2) | instskip(NEXT) | instid1(VALU_DEP_2)
	v_pk_add_f32 v[0:1], v[0:1], v[90:91]
	v_pk_fma_f32 v[90:91], v[96:97], v[232:233], v[88:89] neg_lo:[0,0,1] neg_hi:[0,0,1]
	v_pk_fma_f32 v[88:89], v[96:97], v[232:233], v[88:89] op_sel_hi:[1,0,1]
	s_delay_alu instid0(VALU_DEP_1) | instskip(SKIP_1) | instid1(VALU_DEP_2)
	v_dual_mov_b32 v88, v99 :: v_dual_mov_b32 v91, v89
	v_mov_b32_e32 v89, v98
	v_pk_add_f32 v[0:1], v[0:1], v[90:91]
	v_mov_b32_e32 v90, v235
	s_delay_alu instid0(VALU_DEP_1) | instskip(NEXT) | instid1(VALU_DEP_1)
	v_pk_mul_f32 v[88:89], v[88:89], v[90:91] op_sel_hi:[1,0]
	v_pk_fma_f32 v[90:91], v[98:99], v[234:235], v[88:89] neg_lo:[0,0,1] neg_hi:[0,0,1]
	v_pk_fma_f32 v[88:89], v[98:99], v[234:235], v[88:89] op_sel_hi:[1,0,1]
	s_delay_alu instid0(VALU_DEP_1) | instskip(SKIP_2) | instid1(VALU_DEP_2)
	v_mov_b32_e32 v91, v89
	s_wait_loadcnt_dscnt 0x0
	v_pk_mul_f32 v[88:89], v[100:101], v[240:241] op_sel:[1,1] op_sel_hi:[0,1]
	v_pk_add_f32 v[0:1], v[0:1], v[90:91]
	s_delay_alu instid0(VALU_DEP_2) | instskip(SKIP_1) | instid1(VALU_DEP_1)
	v_pk_fma_f32 v[90:91], v[100:101], v[240:241], v[88:89] neg_lo:[0,0,1] neg_hi:[0,0,1]
	v_pk_fma_f32 v[88:89], v[100:101], v[240:241], v[88:89] op_sel_hi:[1,0,1]
	v_mov_b32_e32 v91, v89
	scratch_load_b64 v[88:89], off, off
	v_pk_add_f32 v[0:1], v[0:1], v[90:91]
	s_wait_loadcnt 0x0
	s_delay_alu instid0(VALU_DEP_1)
	v_pk_add_f32 v[0:1], v[88:89], v[0:1] neg_lo:[0,1] neg_hi:[0,1]
	scratch_store_b64 off, v[0:1], off
	s_cbranch_vccz .LBB41_348
; %bb.266:
	global_load_b32 v0, v86, s[2:3] offset:160
	s_wait_loadcnt 0x0
	v_cmp_ne_u32_e32 vcc_lo, 41, v0
	s_cbranch_vccz .LBB41_268
; %bb.267:
	v_lshlrev_b32_e32 v0, 3, v0
	s_delay_alu instid0(VALU_DEP_1)
	v_mov_b32_e32 v88, v0
	scratch_load_b64 v[0:1], v88, off offset:-8
	scratch_load_b64 v[86:87], off, off offset:320
	s_wait_loadcnt 0x1
	scratch_store_b64 off, v[0:1], off offset:320
	s_wait_loadcnt 0x0
	scratch_store_b64 v88, v[86:87], off offset:-8
.LBB41_268:
	s_wait_xcnt 0x1
	v_mov_b32_e32 v0, 0
	global_load_b32 v1, v0, s[2:3] offset:156
	s_wait_loadcnt 0x0
	v_cmp_eq_u32_e32 vcc_lo, 40, v1
	s_cbranch_vccnz .LBB41_270
; %bb.269:
	v_lshlrev_b32_e32 v1, 3, v1
	scratch_load_b64 v[86:87], v1, off offset:-8
	scratch_load_b64 v[88:89], off, off offset:312
	s_wait_loadcnt 0x1
	scratch_store_b64 off, v[86:87], off offset:312
	s_wait_loadcnt 0x0
	scratch_store_b64 v1, v[88:89], off offset:-8
.LBB41_270:
	global_load_b32 v0, v0, s[2:3] offset:152
	s_wait_loadcnt 0x0
	v_cmp_eq_u32_e32 vcc_lo, 39, v0
	s_cbranch_vccnz .LBB41_272
; %bb.271:
	s_wait_xcnt 0x0
	v_lshlrev_b32_e32 v0, 3, v0
	s_delay_alu instid0(VALU_DEP_1)
	v_mov_b32_e32 v88, v0
	scratch_load_b64 v[0:1], v88, off offset:-8
	scratch_load_b64 v[86:87], off, off offset:304
	s_wait_loadcnt 0x1
	scratch_store_b64 off, v[0:1], off offset:304
	s_wait_loadcnt 0x0
	scratch_store_b64 v88, v[86:87], off offset:-8
.LBB41_272:
	s_wait_xcnt 0x0
	v_mov_b32_e32 v0, 0
	global_load_b32 v1, v0, s[2:3] offset:148
	s_wait_loadcnt 0x0
	v_cmp_eq_u32_e32 vcc_lo, 38, v1
	s_cbranch_vccnz .LBB41_274
; %bb.273:
	v_lshlrev_b32_e32 v1, 3, v1
	scratch_load_b64 v[86:87], v1, off offset:-8
	scratch_load_b64 v[88:89], off, off offset:296
	s_wait_loadcnt 0x1
	scratch_store_b64 off, v[86:87], off offset:296
	s_wait_loadcnt 0x0
	scratch_store_b64 v1, v[88:89], off offset:-8
.LBB41_274:
	global_load_b32 v0, v0, s[2:3] offset:144
	s_wait_loadcnt 0x0
	v_cmp_eq_u32_e32 vcc_lo, 37, v0
	s_cbranch_vccnz .LBB41_276
; %bb.275:
	s_wait_xcnt 0x0
	v_lshlrev_b32_e32 v0, 3, v0
	s_delay_alu instid0(VALU_DEP_1)
	v_mov_b32_e32 v88, v0
	scratch_load_b64 v[0:1], v88, off offset:-8
	scratch_load_b64 v[86:87], off, off offset:288
	s_wait_loadcnt 0x1
	scratch_store_b64 off, v[0:1], off offset:288
	s_wait_loadcnt 0x0
	scratch_store_b64 v88, v[86:87], off offset:-8
.LBB41_276:
	;; [unrolled: 31-line block ×19, first 2 shown]
	s_wait_xcnt 0x0
	v_mov_b32_e32 v0, 0
	global_load_b32 v1, v0, s[2:3] offset:4
	s_wait_loadcnt 0x0
	v_cmp_eq_u32_e32 vcc_lo, 2, v1
	s_cbranch_vccnz .LBB41_346
; %bb.345:
	v_lshlrev_b32_e32 v1, 3, v1
	scratch_load_b64 v[86:87], v1, off offset:-8
	scratch_load_b64 v[88:89], off, off offset:8
	s_wait_loadcnt 0x1
	scratch_store_b64 off, v[86:87], off offset:8
	s_wait_loadcnt 0x0
	scratch_store_b64 v1, v[88:89], off offset:-8
.LBB41_346:
	global_load_b32 v86, v0, s[2:3]
	scratch_load_b64 v[0:1], off, off
	s_wait_loadcnt 0x1
	v_cmp_eq_u32_e32 vcc_lo, 1, v86
	s_cbranch_vccnz .LBB41_348
; %bb.347:
	v_lshlrev_b32_e32 v86, 3, v86
	s_delay_alu instid0(VALU_DEP_1)
	v_mov_b32_e32 v88, v86
	scratch_load_b64 v[86:87], v88, off offset:-8
	s_wait_loadcnt 0x0
	scratch_store_b64 off, v[86:87], off
	scratch_store_b64 v88, v[0:1], off offset:-8
	scratch_load_b64 v[0:1], off, off
.LBB41_348:
	s_clause 0x14
	scratch_load_b128 v[86:89], off, off offset:8
	scratch_load_b128 v[90:93], off, off offset:24
	;; [unrolled: 1-line block ×20, first 2 shown]
	scratch_load_b64 v[166:167], off, off offset:328
	v_lshl_add_u64 v[4:5], v[4:5], 3, s[4:5]
	v_lshl_add_u64 v[6:7], v[6:7], 3, s[4:5]
	v_lshl_add_u64 v[10:11], v[10:11], 3, s[4:5]
	v_lshl_add_u64 v[12:13], v[12:13], 3, s[4:5]
	v_lshl_add_u64 v[14:15], v[14:15], 3, s[4:5]
	v_lshl_add_u64 v[16:17], v[16:17], 3, s[4:5]
	v_lshl_add_u64 v[18:19], v[18:19], 3, s[4:5]
	v_lshl_add_u64 v[20:21], v[20:21], 3, s[4:5]
	v_lshl_add_u64 v[22:23], v[22:23], 3, s[4:5]
	v_lshl_add_u64 v[24:25], v[24:25], 3, s[4:5]
	v_lshl_add_u64 v[26:27], v[26:27], 3, s[4:5]
	v_lshl_add_u64 v[28:29], v[28:29], 3, s[4:5]
	v_lshl_add_u64 v[30:31], v[30:31], 3, s[4:5]
	v_lshl_add_u64 v[32:33], v[32:33], 3, s[4:5]
	v_lshl_add_u64 v[34:35], v[34:35], 3, s[4:5]
	v_lshl_add_u64 v[36:37], v[36:37], 3, s[4:5]
	v_lshl_add_u64 v[38:39], v[38:39], 3, s[4:5]
	v_lshl_add_u64 v[40:41], v[40:41], 3, s[4:5]
	v_lshl_add_u64 v[42:43], v[42:43], 3, s[4:5]
	v_lshl_add_u64 v[44:45], v[44:45], 3, s[4:5]
	v_lshl_add_u64 v[46:47], v[46:47], 3, s[4:5]
	v_lshl_add_u64 v[48:49], v[48:49], 3, s[4:5]
	v_lshl_add_u64 v[50:51], v[50:51], 3, s[4:5]
	v_lshl_add_u64 v[52:53], v[52:53], 3, s[4:5]
	v_lshl_add_u64 v[54:55], v[54:55], 3, s[4:5]
	v_lshl_add_u64 v[56:57], v[56:57], 3, s[4:5]
	v_lshl_add_u64 v[58:59], v[58:59], 3, s[4:5]
	v_lshl_add_u64 v[60:61], v[60:61], 3, s[4:5]
	v_lshl_add_u64 v[62:63], v[62:63], 3, s[4:5]
	v_lshl_add_u64 v[64:65], v[64:65], 3, s[4:5]
	v_lshl_add_u64 v[66:67], v[66:67], 3, s[4:5]
	v_lshl_add_u64 v[68:69], v[68:69], 3, s[4:5]
	v_lshl_add_u64 v[70:71], v[70:71], 3, s[4:5]
	v_lshl_add_u64 v[72:73], v[72:73], 3, s[4:5]
	v_lshl_add_u64 v[74:75], v[74:75], 3, s[4:5]
	v_lshl_add_u64 v[76:77], v[76:77], 3, s[4:5]
	v_lshl_add_u64 v[78:79], v[78:79], 3, s[4:5]
	v_lshl_add_u64 v[80:81], v[80:81], 3, s[4:5]
	v_lshl_add_u64 v[82:83], v[82:83], 3, s[4:5]
	v_lshl_add_u64 v[84:85], v[84:85], 3, s[4:5]
	s_wait_loadcnt 0x15
	global_store_b64 v[2:3], v[0:1], off
	s_wait_loadcnt 0x14
	s_clause 0x1
	global_store_b64 v[8:9], v[86:87], off
	global_store_b64 v[4:5], v[88:89], off
	s_wait_loadcnt 0x13
	s_clause 0x1
	global_store_b64 v[6:7], v[90:91], off
	;; [unrolled: 4-line block ×20, first 2 shown]
	global_store_b64 v[82:83], v[164:165], off
	s_wait_loadcnt 0x0
	global_store_b64 v[84:85], v[166:167], off
	s_sendmsg sendmsg(MSG_DEALLOC_VGPRS)
	s_endpgm
	.section	.rodata,"a",@progbits
	.p2align	6, 0x0
	.amdhsa_kernel _ZN9rocsolver6v33100L18getri_kernel_smallILi42E19rocblas_complex_numIfEPS3_EEvT1_iilPiilS6_bb
		.amdhsa_group_segment_fixed_size 676
		.amdhsa_private_segment_fixed_size 352
		.amdhsa_kernarg_size 60
		.amdhsa_user_sgpr_count 2
		.amdhsa_user_sgpr_dispatch_ptr 0
		.amdhsa_user_sgpr_queue_ptr 0
		.amdhsa_user_sgpr_kernarg_segment_ptr 1
		.amdhsa_user_sgpr_dispatch_id 0
		.amdhsa_user_sgpr_kernarg_preload_length 0
		.amdhsa_user_sgpr_kernarg_preload_offset 0
		.amdhsa_user_sgpr_private_segment_size 0
		.amdhsa_wavefront_size32 1
		.amdhsa_uses_dynamic_stack 0
		.amdhsa_enable_private_segment 1
		.amdhsa_system_sgpr_workgroup_id_x 1
		.amdhsa_system_sgpr_workgroup_id_y 0
		.amdhsa_system_sgpr_workgroup_id_z 0
		.amdhsa_system_sgpr_workgroup_info 0
		.amdhsa_system_vgpr_workitem_id 0
		.amdhsa_next_free_vgpr 256
		.amdhsa_next_free_sgpr 19
		.amdhsa_named_barrier_count 0
		.amdhsa_reserve_vcc 1
		.amdhsa_float_round_mode_32 0
		.amdhsa_float_round_mode_16_64 0
		.amdhsa_float_denorm_mode_32 3
		.amdhsa_float_denorm_mode_16_64 3
		.amdhsa_fp16_overflow 0
		.amdhsa_memory_ordered 1
		.amdhsa_forward_progress 1
		.amdhsa_inst_pref_size 255
		.amdhsa_round_robin_scheduling 0
		.amdhsa_exception_fp_ieee_invalid_op 0
		.amdhsa_exception_fp_denorm_src 0
		.amdhsa_exception_fp_ieee_div_zero 0
		.amdhsa_exception_fp_ieee_overflow 0
		.amdhsa_exception_fp_ieee_underflow 0
		.amdhsa_exception_fp_ieee_inexact 0
		.amdhsa_exception_int_div_zero 0
	.end_amdhsa_kernel
	.section	.text._ZN9rocsolver6v33100L18getri_kernel_smallILi42E19rocblas_complex_numIfEPS3_EEvT1_iilPiilS6_bb,"axG",@progbits,_ZN9rocsolver6v33100L18getri_kernel_smallILi42E19rocblas_complex_numIfEPS3_EEvT1_iilPiilS6_bb,comdat
.Lfunc_end41:
	.size	_ZN9rocsolver6v33100L18getri_kernel_smallILi42E19rocblas_complex_numIfEPS3_EEvT1_iilPiilS6_bb, .Lfunc_end41-_ZN9rocsolver6v33100L18getri_kernel_smallILi42E19rocblas_complex_numIfEPS3_EEvT1_iilPiilS6_bb
                                        ; -- End function
	.set _ZN9rocsolver6v33100L18getri_kernel_smallILi42E19rocblas_complex_numIfEPS3_EEvT1_iilPiilS6_bb.num_vgpr, 256
	.set _ZN9rocsolver6v33100L18getri_kernel_smallILi42E19rocblas_complex_numIfEPS3_EEvT1_iilPiilS6_bb.num_agpr, 0
	.set _ZN9rocsolver6v33100L18getri_kernel_smallILi42E19rocblas_complex_numIfEPS3_EEvT1_iilPiilS6_bb.numbered_sgpr, 19
	.set _ZN9rocsolver6v33100L18getri_kernel_smallILi42E19rocblas_complex_numIfEPS3_EEvT1_iilPiilS6_bb.num_named_barrier, 0
	.set _ZN9rocsolver6v33100L18getri_kernel_smallILi42E19rocblas_complex_numIfEPS3_EEvT1_iilPiilS6_bb.private_seg_size, 352
	.set _ZN9rocsolver6v33100L18getri_kernel_smallILi42E19rocblas_complex_numIfEPS3_EEvT1_iilPiilS6_bb.uses_vcc, 1
	.set _ZN9rocsolver6v33100L18getri_kernel_smallILi42E19rocblas_complex_numIfEPS3_EEvT1_iilPiilS6_bb.uses_flat_scratch, 1
	.set _ZN9rocsolver6v33100L18getri_kernel_smallILi42E19rocblas_complex_numIfEPS3_EEvT1_iilPiilS6_bb.has_dyn_sized_stack, 0
	.set _ZN9rocsolver6v33100L18getri_kernel_smallILi42E19rocblas_complex_numIfEPS3_EEvT1_iilPiilS6_bb.has_recursion, 0
	.set _ZN9rocsolver6v33100L18getri_kernel_smallILi42E19rocblas_complex_numIfEPS3_EEvT1_iilPiilS6_bb.has_indirect_call, 0
	.section	.AMDGPU.csdata,"",@progbits
; Kernel info:
; codeLenInByte = 68492
; TotalNumSgprs: 21
; NumVgprs: 256
; ScratchSize: 352
; MemoryBound: 0
; FloatMode: 240
; IeeeMode: 1
; LDSByteSize: 676 bytes/workgroup (compile time only)
; SGPRBlocks: 0
; VGPRBlocks: 15
; NumSGPRsForWavesPerEU: 21
; NumVGPRsForWavesPerEU: 256
; NamedBarCnt: 0
; Occupancy: 4
; WaveLimiterHint : 1
; COMPUTE_PGM_RSRC2:SCRATCH_EN: 1
; COMPUTE_PGM_RSRC2:USER_SGPR: 2
; COMPUTE_PGM_RSRC2:TRAP_HANDLER: 0
; COMPUTE_PGM_RSRC2:TGID_X_EN: 1
; COMPUTE_PGM_RSRC2:TGID_Y_EN: 0
; COMPUTE_PGM_RSRC2:TGID_Z_EN: 0
; COMPUTE_PGM_RSRC2:TIDIG_COMP_CNT: 0
	.section	.text._ZN9rocsolver6v33100L18getri_kernel_smallILi43E19rocblas_complex_numIfEPS3_EEvT1_iilPiilS6_bb,"axG",@progbits,_ZN9rocsolver6v33100L18getri_kernel_smallILi43E19rocblas_complex_numIfEPS3_EEvT1_iilPiilS6_bb,comdat
	.globl	_ZN9rocsolver6v33100L18getri_kernel_smallILi43E19rocblas_complex_numIfEPS3_EEvT1_iilPiilS6_bb ; -- Begin function _ZN9rocsolver6v33100L18getri_kernel_smallILi43E19rocblas_complex_numIfEPS3_EEvT1_iilPiilS6_bb
	.p2align	8
	.type	_ZN9rocsolver6v33100L18getri_kernel_smallILi43E19rocblas_complex_numIfEPS3_EEvT1_iilPiilS6_bb,@function
_ZN9rocsolver6v33100L18getri_kernel_smallILi43E19rocblas_complex_numIfEPS3_EEvT1_iilPiilS6_bb: ; @_ZN9rocsolver6v33100L18getri_kernel_smallILi43E19rocblas_complex_numIfEPS3_EEvT1_iilPiilS6_bb
; %bb.0:
	s_mov_b32 s2, exec_lo
	v_cmpx_gt_u32_e32 43, v0
	s_cbranch_execz .LBB42_186
; %bb.1:
	s_clause 0x2
	s_load_b32 s2, s[0:1], 0x38
	s_load_b128 s[12:15], s[0:1], 0x10
	s_load_b128 s[4:7], s[0:1], 0x28
	s_getreg_b32 s9, hwreg(HW_REG_IB_STS2, 6, 4)
	s_wait_kmcnt 0x0
	s_bitcmp1_b32 s2, 8
	s_cselect_b32 s18, -1, 0
	s_bfe_u32 s3, ttmp6, 0x4000c
	s_and_b32 s8, ttmp6, 15
	s_add_co_i32 s3, s3, 1
	s_delay_alu instid0(SALU_CYCLE_1) | instskip(NEXT) | instid1(SALU_CYCLE_1)
	s_mul_i32 s3, ttmp9, s3
	s_add_co_i32 s8, s8, s3
	s_cmp_eq_u32 s9, 0
	s_cselect_b32 s16, ttmp9, s8
	s_bfe_u32 s2, s2, 0x10008
	s_ashr_i32 s17, s16, 31
	s_cmp_eq_u32 s2, 0
                                        ; implicit-def: $sgpr2_sgpr3
	s_cbranch_scc1 .LBB42_3
; %bb.2:
	s_load_b32 s2, s[0:1], 0x20
	s_mul_u64 s[4:5], s[4:5], s[16:17]
	s_delay_alu instid0(SALU_CYCLE_1) | instskip(NEXT) | instid1(SALU_CYCLE_1)
	s_lshl_b64 s[4:5], s[4:5], 2
	s_add_nc_u64 s[4:5], s[14:15], s[4:5]
	s_wait_kmcnt 0x0
	s_ashr_i32 s3, s2, 31
	s_delay_alu instid0(SALU_CYCLE_1) | instskip(NEXT) | instid1(SALU_CYCLE_1)
	s_lshl_b64 s[2:3], s[2:3], 2
	s_add_nc_u64 s[2:3], s[4:5], s[2:3]
.LBB42_3:
	s_clause 0x1
	s_load_b128 s[8:11], s[0:1], 0x0
	s_load_b32 s14, s[0:1], 0x38
	s_wait_xcnt 0x0
	s_mul_u64 s[0:1], s[12:13], s[16:17]
	v_lshlrev_b32_e32 v88, 3, v0
	s_lshl_b64 s[0:1], s[0:1], 3
	v_mov_b32_e32 v89, 0
	s_wait_kmcnt 0x0
	v_add3_u32 v2, s11, s11, v0
	s_ashr_i32 s5, s10, 31
	s_mov_b32 s4, s10
	s_add_nc_u64 s[0:1], s[8:9], s[0:1]
	s_lshl_b64 s[4:5], s[4:5], 3
	v_add_nc_u32_e32 v6, s11, v2
	s_add_nc_u64 s[4:5], s[0:1], s[4:5]
	s_ashr_i32 s1, s11, 31
	s_mov_b32 s0, s11
	s_bitcmp0_b32 s14, 0
	v_add_nc_u32_e32 v10, s11, v6
	v_add_nc_u64_e32 v[4:5], s[4:5], v[88:89]
	s_delay_alu instid0(VALU_DEP_2) | instskip(NEXT) | instid1(VALU_DEP_2)
	v_add_nc_u32_e32 v12, s11, v10
	v_lshl_add_u64 v[8:9], s[0:1], 3, v[4:5]
	s_mov_b32 s1, -1
	s_delay_alu instid0(VALU_DEP_2) | instskip(SKIP_4) | instid1(VALU_DEP_1)
	v_add_nc_u32_e32 v14, s11, v12
	s_clause 0x1
	global_load_b64 v[90:91], v0, s[4:5] scale_offset
	global_load_b64 v[92:93], v[8:9], off
	v_add_nc_u32_e32 v16, s11, v14
	v_add_nc_u32_e32 v18, s11, v16
	s_delay_alu instid0(VALU_DEP_1) | instskip(NEXT) | instid1(VALU_DEP_1)
	v_add_nc_u32_e32 v20, s11, v18
	v_add_nc_u32_e32 v22, s11, v20
	s_clause 0x3
	global_load_b64 v[94:95], v2, s[4:5] scale_offset
	global_load_b64 v[96:97], v6, s[4:5] scale_offset
	global_load_b64 v[98:99], v10, s[4:5] scale_offset
	global_load_b64 v[100:101], v12, s[4:5] scale_offset
	v_add_nc_u32_e32 v24, s11, v22
	s_delay_alu instid0(VALU_DEP_1) | instskip(NEXT) | instid1(VALU_DEP_1)
	v_add_nc_u32_e32 v26, s11, v24
	v_add_nc_u32_e32 v28, s11, v26
	s_delay_alu instid0(VALU_DEP_1)
	v_add_nc_u32_e32 v30, s11, v28
	s_clause 0x3
	global_load_b64 v[102:103], v14, s[4:5] scale_offset
	global_load_b64 v[104:105], v16, s[4:5] scale_offset
	global_load_b64 v[106:107], v18, s[4:5] scale_offset
	global_load_b64 v[108:109], v20, s[4:5] scale_offset
	v_add_nc_u32_e32 v32, s11, v30
	s_delay_alu instid0(VALU_DEP_1) | instskip(NEXT) | instid1(VALU_DEP_1)
	v_add_nc_u32_e32 v34, s11, v32
	v_add_nc_u32_e32 v36, s11, v34
	s_delay_alu instid0(VALU_DEP_1)
	;; [unrolled: 11-line block ×4, first 2 shown]
	v_add_nc_u32_e32 v54, s11, v52
	s_clause 0x3
	global_load_b64 v[126:127], v38, s[4:5] scale_offset
	global_load_b64 v[128:129], v40, s[4:5] scale_offset
	;; [unrolled: 1-line block ×4, first 2 shown]
	v_add_nc_u32_e32 v56, s11, v54
	s_delay_alu instid0(VALU_DEP_1)
	v_add_nc_u32_e32 v58, s11, v56
	s_clause 0x3
	global_load_b64 v[134:135], v46, s[4:5] scale_offset
	global_load_b64 v[136:137], v48, s[4:5] scale_offset
	;; [unrolled: 1-line block ×4, first 2 shown]
	v_add_nc_u32_e32 v60, s11, v58
	s_delay_alu instid0(VALU_DEP_1) | instskip(NEXT) | instid1(VALU_DEP_1)
	v_add_nc_u32_e32 v62, s11, v60
	v_add_nc_u32_e32 v64, s11, v62
	s_delay_alu instid0(VALU_DEP_1)
	v_add_nc_u32_e32 v66, s11, v64
	s_clause 0x3
	global_load_b64 v[142:143], v54, s[4:5] scale_offset
	global_load_b64 v[144:145], v56, s[4:5] scale_offset
	;; [unrolled: 1-line block ×4, first 2 shown]
	v_add_nc_u32_e32 v68, s11, v66
	s_delay_alu instid0(VALU_DEP_1)
	v_add_nc_u32_e32 v70, s11, v68
	s_clause 0x3
	global_load_b64 v[150:151], v62, s[4:5] scale_offset
	global_load_b64 v[152:153], v64, s[4:5] scale_offset
	;; [unrolled: 1-line block ×4, first 2 shown]
	v_add_nc_u32_e32 v72, s11, v70
	s_delay_alu instid0(VALU_DEP_1) | instskip(NEXT) | instid1(VALU_DEP_1)
	v_add_nc_u32_e32 v74, s11, v72
	v_add_nc_u32_e32 v76, s11, v74
	s_delay_alu instid0(VALU_DEP_1) | instskip(NEXT) | instid1(VALU_DEP_1)
	v_add_nc_u32_e32 v78, s11, v76
	v_add_nc_u32_e32 v80, s11, v78
	s_delay_alu instid0(VALU_DEP_1)
	v_add_nc_u32_e32 v82, s11, v80
	s_clause 0x3
	global_load_b64 v[158:159], v70, s[4:5] scale_offset
	global_load_b64 v[160:161], v72, s[4:5] scale_offset
	;; [unrolled: 1-line block ×4, first 2 shown]
	v_add_nc_u32_e32 v84, s11, v82
	s_delay_alu instid0(VALU_DEP_1)
	v_add_nc_u32_e32 v86, s11, v84
	s_clause 0x4
	global_load_b64 v[166:167], v78, s[4:5] scale_offset
	global_load_b64 v[168:169], v80, s[4:5] scale_offset
	;; [unrolled: 1-line block ×5, first 2 shown]
	s_wait_loadcnt 0x29
	scratch_store_b128 off, v[90:93], off
	s_wait_loadcnt 0x27
	scratch_store_b128 off, v[94:97], off offset:16
	s_wait_loadcnt 0x25
	scratch_store_b128 off, v[98:101], off offset:32
	;; [unrolled: 2-line block ×20, first 2 shown]
	s_wait_loadcnt 0x0
	scratch_store_b64 off, v[174:175], off offset:336
	s_cbranch_scc1 .LBB42_184
; %bb.4:
	v_cmp_eq_u32_e64 s0, 0, v0
	s_wait_xcnt 0x0
	s_and_saveexec_b32 s1, s0
; %bb.5:
	v_mov_b32_e32 v1, 0
	ds_store_b32 v1, v1 offset:344
; %bb.6:
	s_or_b32 exec_lo, exec_lo, s1
	s_wait_storecnt_dscnt 0x0
	s_barrier_signal -1
	s_barrier_wait -1
	scratch_load_b64 v[90:91], v0, off scale_offset
	s_wait_loadcnt 0x0
	v_cmp_eq_f32_e32 vcc_lo, 0, v90
	v_cmp_eq_f32_e64 s1, 0, v91
	s_and_b32 s1, vcc_lo, s1
	s_delay_alu instid0(SALU_CYCLE_1)
	s_and_saveexec_b32 s8, s1
	s_cbranch_execz .LBB42_10
; %bb.7:
	v_mov_b32_e32 v1, 0
	s_mov_b32 s9, 0
	ds_load_b32 v3, v1 offset:344
	s_wait_dscnt 0x0
	v_readfirstlane_b32 s1, v3
	v_add_nc_u32_e32 v3, 1, v0
	s_cmp_eq_u32 s1, 0
	s_delay_alu instid0(VALU_DEP_1) | instskip(SKIP_1) | instid1(SALU_CYCLE_1)
	v_cmp_gt_i32_e32 vcc_lo, s1, v3
	s_cselect_b32 s10, -1, 0
	s_or_b32 s10, s10, vcc_lo
	s_delay_alu instid0(SALU_CYCLE_1)
	s_and_b32 exec_lo, exec_lo, s10
	s_cbranch_execz .LBB42_10
; %bb.8:
	v_mov_b32_e32 v7, s1
.LBB42_9:                               ; =>This Inner Loop Header: Depth=1
	ds_cmpstore_rtn_b32 v7, v1, v3, v7 offset:344
	s_wait_dscnt 0x0
	v_cmp_ne_u32_e32 vcc_lo, 0, v7
	v_cmp_le_i32_e64 s1, v7, v3
	s_and_b32 s1, vcc_lo, s1
	s_delay_alu instid0(SALU_CYCLE_1) | instskip(NEXT) | instid1(SALU_CYCLE_1)
	s_and_b32 s1, exec_lo, s1
	s_or_b32 s9, s1, s9
	s_delay_alu instid0(SALU_CYCLE_1)
	s_and_not1_b32 exec_lo, exec_lo, s9
	s_cbranch_execnz .LBB42_9
.LBB42_10:
	s_or_b32 exec_lo, exec_lo, s8
	v_mov_b32_e32 v1, 0
	s_barrier_signal -1
	s_barrier_wait -1
	ds_load_b32 v3, v1 offset:344
	s_and_saveexec_b32 s1, s0
	s_cbranch_execz .LBB42_12
; %bb.11:
	s_lshl_b64 s[8:9], s[16:17], 2
	s_delay_alu instid0(SALU_CYCLE_1)
	s_add_nc_u64 s[8:9], s[6:7], s[8:9]
	s_wait_dscnt 0x0
	global_store_b32 v1, v3, s[8:9]
.LBB42_12:
	s_wait_xcnt 0x0
	s_or_b32 exec_lo, exec_lo, s1
	s_wait_dscnt 0x0
	v_cmp_ne_u32_e32 vcc_lo, 0, v3
	s_mov_b32 s1, 0
	s_cbranch_vccnz .LBB42_184
; %bb.13:
	v_lshl_add_u32 v3, v0, 3, 0
                                        ; implicit-def: $vgpr93
                                        ; implicit-def: $vgpr94
	scratch_load_b64 v[90:91], v3, off
	s_wait_loadcnt 0x0
	v_cmp_ngt_f32_e64 s1, |v90|, |v91|
	s_wait_xcnt 0x0
	s_and_saveexec_b32 s8, s1
	s_delay_alu instid0(SALU_CYCLE_1)
	s_xor_b32 s1, exec_lo, s8
	s_cbranch_execz .LBB42_15
; %bb.14:
	v_div_scale_f32 v1, null, v91, v91, v90
	v_div_scale_f32 v13, vcc_lo, v90, v91, v90
	s_delay_alu instid0(VALU_DEP_2) | instskip(SKIP_1) | instid1(TRANS32_DEP_1)
	v_rcp_f32_e32 v7, v1
	v_nop
	v_fma_f32 v11, -v1, v7, 1.0
	s_delay_alu instid0(VALU_DEP_1) | instskip(NEXT) | instid1(VALU_DEP_1)
	v_fmac_f32_e32 v7, v11, v7
	v_mul_f32_e32 v11, v13, v7
	s_delay_alu instid0(VALU_DEP_1) | instskip(NEXT) | instid1(VALU_DEP_1)
	v_fma_f32 v15, -v1, v11, v13
	v_fmac_f32_e32 v11, v15, v7
	s_delay_alu instid0(VALU_DEP_1) | instskip(NEXT) | instid1(VALU_DEP_1)
	v_fma_f32 v1, -v1, v11, v13
	v_div_fmas_f32 v1, v1, v7, v11
	s_delay_alu instid0(VALU_DEP_1) | instskip(NEXT) | instid1(VALU_DEP_1)
	v_div_fixup_f32 v1, v1, v91, v90
	v_fmac_f32_e32 v91, v90, v1
	s_delay_alu instid0(VALU_DEP_1) | instskip(NEXT) | instid1(VALU_DEP_1)
	v_div_scale_f32 v7, null, v91, v91, -1.0
	v_rcp_f32_e32 v11, v7
	v_nop
	s_delay_alu instid0(TRANS32_DEP_1) | instskip(NEXT) | instid1(VALU_DEP_1)
	v_fma_f32 v13, -v7, v11, 1.0
	v_fmac_f32_e32 v11, v13, v11
	v_div_scale_f32 v13, vcc_lo, -1.0, v91, -1.0
	s_delay_alu instid0(VALU_DEP_1) | instskip(NEXT) | instid1(VALU_DEP_1)
	v_mul_f32_e32 v15, v13, v11
	v_fma_f32 v17, -v7, v15, v13
	s_delay_alu instid0(VALU_DEP_1) | instskip(NEXT) | instid1(VALU_DEP_1)
	v_fmac_f32_e32 v15, v17, v11
	v_fma_f32 v7, -v7, v15, v13
	s_delay_alu instid0(VALU_DEP_1) | instskip(NEXT) | instid1(VALU_DEP_1)
	v_div_fmas_f32 v7, v7, v11, v15
	v_div_fixup_f32 v93, v7, v91, -1.0
                                        ; implicit-def: $vgpr90_vgpr91
	s_delay_alu instid0(VALU_DEP_1) | instskip(NEXT) | instid1(VALU_DEP_1)
	v_mul_f32_e32 v94, v1, v93
	v_xor_b32_e32 v92, 0x80000000, v94
.LBB42_15:
	s_and_not1_saveexec_b32 s1, s1
	s_cbranch_execz .LBB42_17
; %bb.16:
	v_div_scale_f32 v1, null, v90, v90, v91
	v_div_scale_f32 v13, vcc_lo, v91, v90, v91
	s_delay_alu instid0(VALU_DEP_2) | instskip(SKIP_1) | instid1(TRANS32_DEP_1)
	v_rcp_f32_e32 v7, v1
	v_nop
	v_fma_f32 v11, -v1, v7, 1.0
	s_delay_alu instid0(VALU_DEP_1) | instskip(NEXT) | instid1(VALU_DEP_1)
	v_fmac_f32_e32 v7, v11, v7
	v_mul_f32_e32 v11, v13, v7
	s_delay_alu instid0(VALU_DEP_1) | instskip(NEXT) | instid1(VALU_DEP_1)
	v_fma_f32 v15, -v1, v11, v13
	v_fmac_f32_e32 v11, v15, v7
	s_delay_alu instid0(VALU_DEP_1) | instskip(NEXT) | instid1(VALU_DEP_1)
	v_fma_f32 v1, -v1, v11, v13
	v_div_fmas_f32 v1, v1, v7, v11
	s_delay_alu instid0(VALU_DEP_1) | instskip(NEXT) | instid1(VALU_DEP_1)
	v_div_fixup_f32 v1, v1, v90, v91
	v_fmac_f32_e32 v90, v91, v1
	s_delay_alu instid0(VALU_DEP_1) | instskip(SKIP_1) | instid1(VALU_DEP_2)
	v_div_scale_f32 v7, null, v90, v90, 1.0
	v_div_scale_f32 v15, vcc_lo, 1.0, v90, 1.0
	v_rcp_f32_e32 v11, v7
	v_nop
	s_delay_alu instid0(TRANS32_DEP_1) | instskip(NEXT) | instid1(VALU_DEP_1)
	v_fma_f32 v13, -v7, v11, 1.0
	v_fmac_f32_e32 v11, v13, v11
	s_delay_alu instid0(VALU_DEP_1) | instskip(NEXT) | instid1(VALU_DEP_1)
	v_mul_f32_e32 v13, v15, v11
	v_fma_f32 v17, -v7, v13, v15
	s_delay_alu instid0(VALU_DEP_1) | instskip(NEXT) | instid1(VALU_DEP_1)
	v_fmac_f32_e32 v13, v17, v11
	v_fma_f32 v7, -v7, v13, v15
	s_delay_alu instid0(VALU_DEP_1) | instskip(NEXT) | instid1(VALU_DEP_1)
	v_div_fmas_f32 v7, v7, v11, v13
	v_div_fixup_f32 v92, v7, v90, 1.0
	s_delay_alu instid0(VALU_DEP_1)
	v_xor_b32_e32 v94, 0x80000000, v92
	v_mul_f32_e64 v93, v1, -v92
.LBB42_17:
	s_or_b32 exec_lo, exec_lo, s1
	scratch_store_b64 v3, v[92:93], off
	scratch_load_b64 v[90:91], off, off offset:8
	v_xor_b32_e32 v95, 0x80000000, v93
	v_add_nc_u32_e32 v1, 0x160, v88
	s_wait_loadcnt 0x0
	ds_store_2addr_b64 v88, v[94:95], v[90:91] offset1:44
	s_wait_storecnt_dscnt 0x0
	s_barrier_signal -1
	s_barrier_wait -1
	s_wait_xcnt 0x0
	s_and_saveexec_b32 s1, s0
	s_cbranch_execz .LBB42_19
; %bb.18:
	scratch_load_b64 v[90:91], v3, off
	ds_load_b64 v[92:93], v1
	s_wait_loadcnt_dscnt 0x0
	v_pk_mul_f32 v[96:97], v[92:93], v[90:91] op_sel:[1,1] op_sel_hi:[0,1]
	s_delay_alu instid0(VALU_DEP_1) | instskip(SKIP_2) | instid1(VALU_DEP_3)
	v_pk_fma_f32 v[98:99], v[92:93], v[90:91], v[96:97] op_sel_hi:[1,0,1]
	v_mov_b32_e32 v7, 0
	v_pk_fma_f32 v[90:91], v[92:93], v[90:91], v[96:97] neg_lo:[0,0,1] neg_hi:[0,0,1]
	v_mov_b32_e32 v91, v99
	ds_load_b64 v[94:95], v7 offset:8
	v_pk_add_f32 v[90:91], v[90:91], 0 op_sel_hi:[1,0]
	s_wait_dscnt 0x0
	s_delay_alu instid0(VALU_DEP_1) | instskip(NEXT) | instid1(VALU_DEP_1)
	v_pk_mul_f32 v[92:93], v[90:91], v[94:95] op_sel:[1,1] op_sel_hi:[0,1]
	v_pk_fma_f32 v[96:97], v[90:91], v[94:95], v[92:93] op_sel_hi:[1,0,1]
	v_pk_fma_f32 v[90:91], v[90:91], v[94:95], v[92:93] neg_lo:[0,0,1] neg_hi:[0,0,1]
	s_delay_alu instid0(VALU_DEP_2)
	v_mov_b32_e32 v91, v97
	scratch_store_b64 off, v[90:91], off offset:8
.LBB42_19:
	s_wait_xcnt 0x0
	s_or_b32 exec_lo, exec_lo, s1
	s_wait_storecnt 0x0
	s_barrier_signal -1
	s_barrier_wait -1
	scratch_load_b64 v[90:91], off, off offset:16
	s_mov_b32 s1, exec_lo
	s_wait_loadcnt 0x0
	ds_store_b64 v1, v[90:91]
	s_wait_dscnt 0x0
	s_barrier_signal -1
	s_barrier_wait -1
	v_cmpx_gt_u32_e32 2, v0
	s_cbranch_execz .LBB42_23
; %bb.20:
	scratch_load_b64 v[90:91], v3, off
	ds_load_b64 v[92:93], v1
	s_wait_loadcnt_dscnt 0x0
	v_pk_mul_f32 v[94:95], v[92:93], v[90:91] op_sel:[1,1] op_sel_hi:[0,1]
	s_delay_alu instid0(VALU_DEP_1) | instskip(SKIP_1) | instid1(VALU_DEP_2)
	v_pk_fma_f32 v[96:97], v[92:93], v[90:91], v[94:95] op_sel_hi:[1,0,1]
	v_pk_fma_f32 v[90:91], v[92:93], v[90:91], v[94:95] neg_lo:[0,0,1] neg_hi:[0,0,1]
	v_mov_b32_e32 v91, v97
	s_delay_alu instid0(VALU_DEP_1)
	v_pk_add_f32 v[90:91], v[90:91], 0 op_sel_hi:[1,0]
	s_and_saveexec_b32 s8, s0
	s_cbranch_execz .LBB42_22
; %bb.21:
	scratch_load_b64 v[92:93], off, off offset:8
	v_mov_b32_e32 v3, 0
	ds_load_b64 v[94:95], v3 offset:360
	s_wait_loadcnt_dscnt 0x0
	v_pk_mul_f32 v[96:97], v[94:95], v[92:93] op_sel:[1,1] op_sel_hi:[0,1]
	s_delay_alu instid0(VALU_DEP_1) | instskip(SKIP_1) | instid1(VALU_DEP_2)
	v_pk_fma_f32 v[98:99], v[94:95], v[92:93], v[96:97] op_sel_hi:[1,0,1]
	v_pk_fma_f32 v[92:93], v[94:95], v[92:93], v[96:97] neg_lo:[0,0,1] neg_hi:[0,0,1]
	v_mov_b32_e32 v93, v99
	s_delay_alu instid0(VALU_DEP_1)
	v_pk_add_f32 v[90:91], v[90:91], v[92:93]
.LBB42_22:
	s_or_b32 exec_lo, exec_lo, s8
	v_mov_b32_e32 v3, 0
	ds_load_b64 v[92:93], v3 offset:16
	s_wait_dscnt 0x0
	v_pk_mul_f32 v[94:95], v[90:91], v[92:93] op_sel:[1,1] op_sel_hi:[0,1]
	s_delay_alu instid0(VALU_DEP_1) | instskip(SKIP_1) | instid1(VALU_DEP_2)
	v_pk_fma_f32 v[96:97], v[90:91], v[92:93], v[94:95] op_sel_hi:[1,0,1]
	v_pk_fma_f32 v[90:91], v[90:91], v[92:93], v[94:95] neg_lo:[0,0,1] neg_hi:[0,0,1]
	v_mov_b32_e32 v91, v97
	scratch_store_b64 off, v[90:91], off offset:16
.LBB42_23:
	s_wait_xcnt 0x0
	s_or_b32 exec_lo, exec_lo, s1
	s_wait_storecnt 0x0
	s_barrier_signal -1
	s_barrier_wait -1
	scratch_load_b64 v[90:91], off, off offset:24
	v_add_nc_u32_e32 v3, -1, v0
	s_mov_b32 s0, exec_lo
	s_wait_loadcnt 0x0
	ds_store_b64 v1, v[90:91]
	s_wait_dscnt 0x0
	s_barrier_signal -1
	s_barrier_wait -1
	v_cmpx_gt_u32_e32 3, v0
	s_cbranch_execz .LBB42_27
; %bb.24:
	v_dual_mov_b32 v90, 0 :: v_dual_add_nc_u32 v7, -1, v0
	v_add_nc_u32_e32 v11, 0x160, v88
	v_mov_b32_e32 v13, v88
	s_mov_b32 s1, 0
	s_delay_alu instid0(VALU_DEP_3)
	v_mov_b32_e32 v91, v90
.LBB42_25:                              ; =>This Inner Loop Header: Depth=1
	scratch_load_b64 v[92:93], v13, off
	ds_load_b64 v[94:95], v11
	s_wait_xcnt 0x0
	v_dual_add_nc_u32 v11, 8, v11 :: v_dual_add_nc_u32 v13, 8, v13
	s_wait_loadcnt_dscnt 0x0
	v_pk_mul_f32 v[96:97], v[94:95], v[92:93] op_sel:[1,1] op_sel_hi:[0,1]
	s_delay_alu instid0(VALU_DEP_1) | instskip(SKIP_2) | instid1(VALU_DEP_3)
	v_pk_fma_f32 v[98:99], v[94:95], v[92:93], v[96:97] op_sel_hi:[1,0,1]
	v_add_nc_u32_e32 v7, 1, v7
	v_pk_fma_f32 v[92:93], v[94:95], v[92:93], v[96:97] neg_lo:[0,0,1] neg_hi:[0,0,1]
	v_mov_b32_e32 v93, v99
	s_delay_alu instid0(VALU_DEP_3) | instskip(NEXT) | instid1(VALU_DEP_2)
	v_cmp_lt_u32_e32 vcc_lo, 1, v7
	v_pk_add_f32 v[90:91], v[90:91], v[92:93]
	s_or_b32 s1, vcc_lo, s1
	s_delay_alu instid0(SALU_CYCLE_1)
	s_and_not1_b32 exec_lo, exec_lo, s1
	s_cbranch_execnz .LBB42_25
; %bb.26:
	s_or_b32 exec_lo, exec_lo, s1
	v_mov_b32_e32 v7, 0
	ds_load_b64 v[92:93], v7 offset:24
	s_wait_dscnt 0x0
	v_pk_mul_f32 v[94:95], v[90:91], v[92:93] op_sel:[1,1] op_sel_hi:[0,1]
	s_delay_alu instid0(VALU_DEP_1) | instskip(SKIP_1) | instid1(VALU_DEP_2)
	v_pk_fma_f32 v[96:97], v[90:91], v[92:93], v[94:95] op_sel_hi:[1,0,1]
	v_pk_fma_f32 v[90:91], v[90:91], v[92:93], v[94:95] neg_lo:[0,0,1] neg_hi:[0,0,1]
	v_mov_b32_e32 v91, v97
	scratch_store_b64 off, v[90:91], off offset:24
.LBB42_27:
	s_wait_xcnt 0x0
	s_or_b32 exec_lo, exec_lo, s0
	s_wait_storecnt 0x0
	s_barrier_signal -1
	s_barrier_wait -1
	scratch_load_b64 v[90:91], off, off offset:32
	s_mov_b32 s0, exec_lo
	s_wait_loadcnt 0x0
	ds_store_b64 v1, v[90:91]
	s_wait_dscnt 0x0
	s_barrier_signal -1
	s_barrier_wait -1
	v_cmpx_gt_u32_e32 4, v0
	s_cbranch_execz .LBB42_31
; %bb.28:
	v_dual_mov_b32 v90, 0 :: v_dual_add_nc_u32 v7, -1, v0
	v_add_nc_u32_e32 v11, 0x160, v88
	v_mov_b32_e32 v13, v88
	s_mov_b32 s1, 0
	s_delay_alu instid0(VALU_DEP_3)
	v_mov_b32_e32 v91, v90
.LBB42_29:                              ; =>This Inner Loop Header: Depth=1
	scratch_load_b64 v[92:93], v13, off
	ds_load_b64 v[94:95], v11
	s_wait_xcnt 0x0
	v_dual_add_nc_u32 v11, 8, v11 :: v_dual_add_nc_u32 v13, 8, v13
	s_wait_loadcnt_dscnt 0x0
	v_pk_mul_f32 v[96:97], v[94:95], v[92:93] op_sel:[1,1] op_sel_hi:[0,1]
	s_delay_alu instid0(VALU_DEP_1) | instskip(SKIP_2) | instid1(VALU_DEP_3)
	v_pk_fma_f32 v[98:99], v[94:95], v[92:93], v[96:97] op_sel_hi:[1,0,1]
	v_add_nc_u32_e32 v7, 1, v7
	v_pk_fma_f32 v[92:93], v[94:95], v[92:93], v[96:97] neg_lo:[0,0,1] neg_hi:[0,0,1]
	v_mov_b32_e32 v93, v99
	s_delay_alu instid0(VALU_DEP_3) | instskip(NEXT) | instid1(VALU_DEP_2)
	v_cmp_lt_u32_e32 vcc_lo, 2, v7
	v_pk_add_f32 v[90:91], v[90:91], v[92:93]
	s_or_b32 s1, vcc_lo, s1
	s_delay_alu instid0(SALU_CYCLE_1)
	s_and_not1_b32 exec_lo, exec_lo, s1
	s_cbranch_execnz .LBB42_29
; %bb.30:
	s_or_b32 exec_lo, exec_lo, s1
	v_mov_b32_e32 v7, 0
	ds_load_b64 v[92:93], v7 offset:32
	s_wait_dscnt 0x0
	v_pk_mul_f32 v[94:95], v[90:91], v[92:93] op_sel:[1,1] op_sel_hi:[0,1]
	s_delay_alu instid0(VALU_DEP_1) | instskip(SKIP_1) | instid1(VALU_DEP_2)
	v_pk_fma_f32 v[96:97], v[90:91], v[92:93], v[94:95] op_sel_hi:[1,0,1]
	v_pk_fma_f32 v[90:91], v[90:91], v[92:93], v[94:95] neg_lo:[0,0,1] neg_hi:[0,0,1]
	v_mov_b32_e32 v91, v97
	scratch_store_b64 off, v[90:91], off offset:32
.LBB42_31:
	s_wait_xcnt 0x0
	s_or_b32 exec_lo, exec_lo, s0
	s_wait_storecnt 0x0
	s_barrier_signal -1
	s_barrier_wait -1
	scratch_load_b64 v[90:91], off, off offset:40
	;; [unrolled: 52-line block ×19, first 2 shown]
	s_mov_b32 s0, exec_lo
	s_wait_loadcnt 0x0
	ds_store_b64 v1, v[90:91]
	s_wait_dscnt 0x0
	s_barrier_signal -1
	s_barrier_wait -1
	v_cmpx_gt_u32_e32 22, v0
	s_cbranch_execz .LBB42_103
; %bb.100:
	v_dual_mov_b32 v90, 0 :: v_dual_add_nc_u32 v7, -1, v0
	v_add_nc_u32_e32 v11, 0x160, v88
	v_mov_b32_e32 v13, v88
	s_mov_b32 s1, 0
	s_delay_alu instid0(VALU_DEP_3)
	v_mov_b32_e32 v91, v90
.LBB42_101:                             ; =>This Inner Loop Header: Depth=1
	scratch_load_b64 v[92:93], v13, off
	ds_load_b64 v[94:95], v11
	s_wait_xcnt 0x0
	v_dual_add_nc_u32 v11, 8, v11 :: v_dual_add_nc_u32 v13, 8, v13
	s_wait_loadcnt_dscnt 0x0
	v_pk_mul_f32 v[96:97], v[94:95], v[92:93] op_sel:[1,1] op_sel_hi:[0,1]
	s_delay_alu instid0(VALU_DEP_1) | instskip(SKIP_2) | instid1(VALU_DEP_3)
	v_pk_fma_f32 v[98:99], v[94:95], v[92:93], v[96:97] op_sel_hi:[1,0,1]
	v_add_nc_u32_e32 v7, 1, v7
	v_pk_fma_f32 v[92:93], v[94:95], v[92:93], v[96:97] neg_lo:[0,0,1] neg_hi:[0,0,1]
	v_mov_b32_e32 v93, v99
	s_delay_alu instid0(VALU_DEP_3) | instskip(NEXT) | instid1(VALU_DEP_2)
	v_cmp_lt_u32_e32 vcc_lo, 20, v7
	v_pk_add_f32 v[90:91], v[90:91], v[92:93]
	s_or_b32 s1, vcc_lo, s1
	s_delay_alu instid0(SALU_CYCLE_1)
	s_and_not1_b32 exec_lo, exec_lo, s1
	s_cbranch_execnz .LBB42_101
; %bb.102:
	s_or_b32 exec_lo, exec_lo, s1
	v_mov_b32_e32 v7, 0
	ds_load_b64 v[92:93], v7 offset:176
	s_wait_dscnt 0x0
	v_pk_mul_f32 v[94:95], v[90:91], v[92:93] op_sel:[1,1] op_sel_hi:[0,1]
	s_delay_alu instid0(VALU_DEP_1) | instskip(SKIP_1) | instid1(VALU_DEP_2)
	v_pk_fma_f32 v[96:97], v[90:91], v[92:93], v[94:95] op_sel_hi:[1,0,1]
	v_pk_fma_f32 v[90:91], v[90:91], v[92:93], v[94:95] neg_lo:[0,0,1] neg_hi:[0,0,1]
	v_mov_b32_e32 v91, v97
	scratch_store_b64 off, v[90:91], off offset:176
.LBB42_103:
	s_wait_xcnt 0x0
	s_or_b32 exec_lo, exec_lo, s0
	s_wait_storecnt 0x0
	s_barrier_signal -1
	s_barrier_wait -1
	scratch_load_b64 v[90:91], off, off offset:184
	s_mov_b32 s0, exec_lo
	s_wait_loadcnt 0x0
	ds_store_b64 v1, v[90:91]
	s_wait_dscnt 0x0
	s_barrier_signal -1
	s_barrier_wait -1
	v_cmpx_gt_u32_e32 23, v0
	s_cbranch_execz .LBB42_107
; %bb.104:
	v_dual_mov_b32 v90, 0 :: v_dual_add_nc_u32 v7, -1, v0
	v_add_nc_u32_e32 v11, 0x160, v88
	v_mov_b32_e32 v13, v88
	s_mov_b32 s1, 0
	s_delay_alu instid0(VALU_DEP_3)
	v_mov_b32_e32 v91, v90
.LBB42_105:                             ; =>This Inner Loop Header: Depth=1
	scratch_load_b64 v[92:93], v13, off
	ds_load_b64 v[94:95], v11
	s_wait_xcnt 0x0
	v_dual_add_nc_u32 v11, 8, v11 :: v_dual_add_nc_u32 v13, 8, v13
	s_wait_loadcnt_dscnt 0x0
	v_pk_mul_f32 v[96:97], v[94:95], v[92:93] op_sel:[1,1] op_sel_hi:[0,1]
	s_delay_alu instid0(VALU_DEP_1) | instskip(SKIP_2) | instid1(VALU_DEP_3)
	v_pk_fma_f32 v[98:99], v[94:95], v[92:93], v[96:97] op_sel_hi:[1,0,1]
	v_add_nc_u32_e32 v7, 1, v7
	v_pk_fma_f32 v[92:93], v[94:95], v[92:93], v[96:97] neg_lo:[0,0,1] neg_hi:[0,0,1]
	v_mov_b32_e32 v93, v99
	s_delay_alu instid0(VALU_DEP_3) | instskip(NEXT) | instid1(VALU_DEP_2)
	v_cmp_lt_u32_e32 vcc_lo, 21, v7
	v_pk_add_f32 v[90:91], v[90:91], v[92:93]
	s_or_b32 s1, vcc_lo, s1
	s_delay_alu instid0(SALU_CYCLE_1)
	s_and_not1_b32 exec_lo, exec_lo, s1
	s_cbranch_execnz .LBB42_105
; %bb.106:
	s_or_b32 exec_lo, exec_lo, s1
	v_mov_b32_e32 v7, 0
	ds_load_b64 v[92:93], v7 offset:184
	s_wait_dscnt 0x0
	v_pk_mul_f32 v[94:95], v[90:91], v[92:93] op_sel:[1,1] op_sel_hi:[0,1]
	s_delay_alu instid0(VALU_DEP_1) | instskip(SKIP_1) | instid1(VALU_DEP_2)
	v_pk_fma_f32 v[96:97], v[90:91], v[92:93], v[94:95] op_sel_hi:[1,0,1]
	v_pk_fma_f32 v[90:91], v[90:91], v[92:93], v[94:95] neg_lo:[0,0,1] neg_hi:[0,0,1]
	v_mov_b32_e32 v91, v97
	scratch_store_b64 off, v[90:91], off offset:184
.LBB42_107:
	s_wait_xcnt 0x0
	s_or_b32 exec_lo, exec_lo, s0
	s_wait_storecnt 0x0
	s_barrier_signal -1
	s_barrier_wait -1
	scratch_load_b64 v[90:91], off, off offset:192
	;; [unrolled: 52-line block ×20, first 2 shown]
	s_mov_b32 s0, exec_lo
	s_wait_loadcnt 0x0
	ds_store_b64 v1, v[90:91]
	s_wait_dscnt 0x0
	s_barrier_signal -1
	s_barrier_wait -1
	v_cmpx_ne_u32_e32 42, v0
	s_cbranch_execz .LBB42_183
; %bb.180:
	v_dual_mov_b32 v90, 0 :: v_dual_mov_b32 v7, v88
	s_mov_b32 s1, 0
	s_delay_alu instid0(VALU_DEP_1)
	v_mov_b32_e32 v91, v90
.LBB42_181:                             ; =>This Inner Loop Header: Depth=1
	scratch_load_b64 v[88:89], v7, off
	ds_load_b64 v[92:93], v1
	s_wait_xcnt 0x0
	v_dual_add_nc_u32 v1, 8, v1 :: v_dual_add_nc_u32 v7, 8, v7
	s_wait_loadcnt_dscnt 0x0
	v_pk_mul_f32 v[94:95], v[92:93], v[88:89] op_sel:[1,1] op_sel_hi:[0,1]
	s_delay_alu instid0(VALU_DEP_1) | instskip(SKIP_2) | instid1(VALU_DEP_3)
	v_pk_fma_f32 v[96:97], v[92:93], v[88:89], v[94:95] op_sel_hi:[1,0,1]
	v_add_nc_u32_e32 v3, 1, v3
	v_pk_fma_f32 v[88:89], v[92:93], v[88:89], v[94:95] neg_lo:[0,0,1] neg_hi:[0,0,1]
	v_mov_b32_e32 v89, v97
	s_delay_alu instid0(VALU_DEP_3) | instskip(NEXT) | instid1(VALU_DEP_2)
	v_cmp_lt_u32_e32 vcc_lo, 40, v3
	v_pk_add_f32 v[90:91], v[90:91], v[88:89]
	s_or_b32 s1, vcc_lo, s1
	s_delay_alu instid0(SALU_CYCLE_1)
	s_and_not1_b32 exec_lo, exec_lo, s1
	s_cbranch_execnz .LBB42_181
; %bb.182:
	s_or_b32 exec_lo, exec_lo, s1
	v_mov_b32_e32 v1, 0
	ds_load_b64 v[88:89], v1 offset:336
	s_wait_dscnt 0x0
	v_pk_mul_f32 v[92:93], v[90:91], v[88:89] op_sel:[1,1] op_sel_hi:[0,1]
	s_delay_alu instid0(VALU_DEP_1) | instskip(SKIP_1) | instid1(VALU_DEP_2)
	v_pk_fma_f32 v[94:95], v[90:91], v[88:89], v[92:93] op_sel_hi:[1,0,1]
	v_pk_fma_f32 v[88:89], v[90:91], v[88:89], v[92:93] neg_lo:[0,0,1] neg_hi:[0,0,1]
	v_mov_b32_e32 v89, v95
	scratch_store_b64 off, v[88:89], off offset:336
.LBB42_183:
	s_wait_xcnt 0x0
	s_or_b32 exec_lo, exec_lo, s0
	s_mov_b32 s1, -1
	s_wait_storecnt 0x0
	s_barrier_signal -1
	s_barrier_wait -1
.LBB42_184:
	s_and_b32 vcc_lo, exec_lo, s1
	s_cbranch_vccz .LBB42_186
; %bb.185:
	v_mov_b32_e32 v1, 0
	s_lshl_b64 s[0:1], s[16:17], 2
	s_delay_alu instid0(SALU_CYCLE_1)
	s_add_nc_u64 s[0:1], s[6:7], s[0:1]
	global_load_b32 v1, v1, s[0:1]
	s_wait_loadcnt 0x0
	v_cmp_ne_u32_e32 vcc_lo, 0, v1
	s_cbranch_vccz .LBB42_187
.LBB42_186:
	s_sendmsg sendmsg(MSG_DEALLOC_VGPRS)
	s_endpgm
.LBB42_187:
	s_wait_xcnt 0x0
	v_lshl_add_u32 v1, v0, 3, 0x160
	s_mov_b32 s0, exec_lo
	v_cmpx_eq_u32_e32 42, v0
	s_cbranch_execz .LBB42_189
; %bb.188:
	scratch_load_b64 v[88:89], off, off offset:328
	v_mov_b64_e32 v[90:91], 0
	scratch_store_b64 off, v[90:91], off offset:328
	s_wait_loadcnt 0x0
	ds_store_b64 v1, v[88:89]
.LBB42_189:
	s_wait_xcnt 0x0
	s_or_b32 exec_lo, exec_lo, s0
	s_wait_storecnt_dscnt 0x0
	s_barrier_signal -1
	s_barrier_wait -1
	s_clause 0x1
	scratch_load_b64 v[88:89], off, off offset:336
	scratch_load_b64 v[90:91], off, off offset:328
	v_mov_b32_e32 v3, 0
	s_mov_b32 s0, exec_lo
	ds_load_b64 v[92:93], v3 offset:688
	s_wait_loadcnt_dscnt 0x100
	v_pk_mul_f32 v[94:95], v[92:93], v[88:89] op_sel:[1,1] op_sel_hi:[0,1]
	s_delay_alu instid0(VALU_DEP_1) | instskip(SKIP_1) | instid1(VALU_DEP_2)
	v_pk_fma_f32 v[96:97], v[92:93], v[88:89], v[94:95] op_sel_hi:[1,0,1]
	v_pk_fma_f32 v[88:89], v[92:93], v[88:89], v[94:95] neg_lo:[0,0,1] neg_hi:[0,0,1]
	v_mov_b32_e32 v89, v97
	s_delay_alu instid0(VALU_DEP_1) | instskip(SKIP_1) | instid1(VALU_DEP_1)
	v_pk_add_f32 v[88:89], v[88:89], 0 op_sel_hi:[1,0]
	s_wait_loadcnt 0x0
	v_pk_add_f32 v[88:89], v[90:91], v[88:89] neg_lo:[0,1] neg_hi:[0,1]
	scratch_store_b64 off, v[88:89], off offset:328
	s_wait_xcnt 0x0
	v_cmpx_lt_u32_e32 40, v0
	s_cbranch_execz .LBB42_191
; %bb.190:
	scratch_load_b64 v[88:89], off, off offset:320
	v_mov_b64_e32 v[90:91], 0
	scratch_store_b64 off, v[90:91], off offset:320
	s_wait_loadcnt 0x0
	ds_store_b64 v1, v[88:89]
.LBB42_191:
	s_wait_xcnt 0x0
	s_or_b32 exec_lo, exec_lo, s0
	s_wait_storecnt_dscnt 0x0
	s_barrier_signal -1
	s_barrier_wait -1
	s_clause 0x1
	scratch_load_b128 v[88:91], off, off offset:328
	scratch_load_b64 v[96:97], off, off offset:320
	ds_load_2addr_b64 v[92:95], v3 offset0:85 offset1:86
	s_mov_b32 s0, exec_lo
	s_wait_dscnt 0x0
	v_dual_mov_b32 v98, v95 :: v_dual_mov_b32 v99, v94
	s_wait_loadcnt 0x1
	v_pk_mul_f32 v[100:101], v[92:93], v[88:89] op_sel:[1,1] op_sel_hi:[0,1]
	s_delay_alu instid0(VALU_DEP_1) | instskip(SKIP_2) | instid1(VALU_DEP_3)
	v_pk_fma_f32 v[104:105], v[92:93], v[88:89], v[100:101] op_sel_hi:[1,0,1]
	v_mov_b32_e32 v102, v91
	v_pk_fma_f32 v[88:89], v[92:93], v[88:89], v[100:101] neg_lo:[0,0,1] neg_hi:[0,0,1]
	v_mov_b32_e32 v89, v105
	s_delay_alu instid0(VALU_DEP_3) | instskip(NEXT) | instid1(VALU_DEP_2)
	v_pk_mul_f32 v[98:99], v[98:99], v[102:103] op_sel_hi:[1,0]
	v_pk_add_f32 v[88:89], v[88:89], 0 op_sel_hi:[1,0]
	s_delay_alu instid0(VALU_DEP_2) | instskip(SKIP_1) | instid1(VALU_DEP_2)
	v_pk_fma_f32 v[92:93], v[94:95], v[90:91], v[98:99] op_sel_hi:[1,0,1]
	v_pk_fma_f32 v[90:91], v[94:95], v[90:91], v[98:99] neg_lo:[0,0,1] neg_hi:[0,0,1]
	v_mov_b32_e32 v91, v93
	s_delay_alu instid0(VALU_DEP_1) | instskip(SKIP_1) | instid1(VALU_DEP_1)
	v_pk_add_f32 v[88:89], v[88:89], v[90:91]
	s_wait_loadcnt 0x0
	v_pk_add_f32 v[88:89], v[96:97], v[88:89] neg_lo:[0,1] neg_hi:[0,1]
	scratch_store_b64 off, v[88:89], off offset:320
	s_wait_xcnt 0x0
	v_cmpx_lt_u32_e32 39, v0
	s_cbranch_execz .LBB42_193
; %bb.192:
	scratch_load_b64 v[88:89], off, off offset:312
	v_mov_b64_e32 v[90:91], 0
	scratch_store_b64 off, v[90:91], off offset:312
	s_wait_loadcnt 0x0
	ds_store_b64 v1, v[88:89]
.LBB42_193:
	s_wait_xcnt 0x0
	s_or_b32 exec_lo, exec_lo, s0
	s_wait_storecnt_dscnt 0x0
	s_barrier_signal -1
	s_barrier_wait -1
	s_clause 0x2
	scratch_load_b128 v[88:91], off, off offset:320
	scratch_load_b64 v[96:97], off, off offset:336
	scratch_load_b64 v[98:99], off, off offset:312
	v_mov_b32_e32 v3, 0
	ds_load_b128 v[92:95], v3 offset:672
	ds_load_b64 v[100:101], v3 offset:688
	s_mov_b32 s0, exec_lo
	s_wait_dscnt 0x1
	v_dual_mov_b32 v102, v95 :: v_dual_mov_b32 v103, v94
	s_wait_loadcnt 0x2
	v_mov_b32_e32 v106, v91
	v_pk_mul_f32 v[104:105], v[92:93], v[88:89] op_sel:[1,1] op_sel_hi:[0,1]
	s_delay_alu instid0(VALU_DEP_2) | instskip(NEXT) | instid1(VALU_DEP_2)
	v_pk_mul_f32 v[102:103], v[102:103], v[106:107] op_sel_hi:[1,0]
	v_pk_fma_f32 v[108:109], v[92:93], v[88:89], v[104:105] op_sel_hi:[1,0,1]
	v_pk_fma_f32 v[88:89], v[92:93], v[88:89], v[104:105] neg_lo:[0,0,1] neg_hi:[0,0,1]
	s_wait_loadcnt_dscnt 0x100
	v_pk_mul_f32 v[104:105], v[100:101], v[96:97] op_sel:[1,1] op_sel_hi:[0,1]
	v_pk_fma_f32 v[92:93], v[94:95], v[90:91], v[102:103] op_sel_hi:[1,0,1]
	v_mov_b32_e32 v89, v109
	v_pk_fma_f32 v[90:91], v[94:95], v[90:91], v[102:103] neg_lo:[0,0,1] neg_hi:[0,0,1]
	s_delay_alu instid0(VALU_DEP_4) | instskip(NEXT) | instid1(VALU_DEP_4)
	v_pk_fma_f32 v[94:95], v[100:101], v[96:97], v[104:105] neg_lo:[0,0,1] neg_hi:[0,0,1]
	v_mov_b32_e32 v91, v93
	s_delay_alu instid0(VALU_DEP_4) | instskip(SKIP_1) | instid1(VALU_DEP_2)
	v_pk_add_f32 v[88:89], v[88:89], 0 op_sel_hi:[1,0]
	v_pk_fma_f32 v[92:93], v[100:101], v[96:97], v[104:105] op_sel_hi:[1,0,1]
	v_pk_add_f32 v[88:89], v[88:89], v[90:91]
	s_delay_alu instid0(VALU_DEP_2) | instskip(NEXT) | instid1(VALU_DEP_1)
	v_mov_b32_e32 v95, v93
	v_pk_add_f32 v[88:89], v[88:89], v[94:95]
	s_wait_loadcnt 0x0
	s_delay_alu instid0(VALU_DEP_1)
	v_pk_add_f32 v[88:89], v[98:99], v[88:89] neg_lo:[0,1] neg_hi:[0,1]
	scratch_store_b64 off, v[88:89], off offset:312
	s_wait_xcnt 0x0
	v_cmpx_lt_u32_e32 38, v0
	s_cbranch_execz .LBB42_195
; %bb.194:
	scratch_load_b64 v[88:89], off, off offset:304
	v_mov_b64_e32 v[90:91], 0
	scratch_store_b64 off, v[90:91], off offset:304
	s_wait_loadcnt 0x0
	ds_store_b64 v1, v[88:89]
.LBB42_195:
	s_wait_xcnt 0x0
	s_or_b32 exec_lo, exec_lo, s0
	s_wait_storecnt_dscnt 0x0
	s_barrier_signal -1
	s_barrier_wait -1
	s_clause 0x2
	scratch_load_b128 v[88:91], off, off offset:312
	scratch_load_b128 v[92:95], off, off offset:328
	scratch_load_b64 v[104:105], off, off offset:304
	ds_load_2addr_b64 v[96:99], v3 offset0:83 offset1:84
	ds_load_2addr_b64 v[100:103], v3 offset0:85 offset1:86
	s_mov_b32 s0, exec_lo
	s_wait_dscnt 0x1
	v_dual_mov_b32 v106, v99 :: v_dual_mov_b32 v107, v98
	s_wait_loadcnt_dscnt 0x200
	v_dual_mov_b32 v112, v103 :: v_dual_mov_b32 v110, v91
	v_pk_mul_f32 v[108:109], v[96:97], v[88:89] op_sel:[1,1] op_sel_hi:[0,1]
	s_delay_alu instid0(VALU_DEP_2) | instskip(NEXT) | instid1(VALU_DEP_2)
	v_pk_mul_f32 v[106:107], v[106:107], v[110:111] op_sel_hi:[1,0]
	v_pk_fma_f32 v[114:115], v[96:97], v[88:89], v[108:109] op_sel_hi:[1,0,1]
	v_pk_fma_f32 v[88:89], v[96:97], v[88:89], v[108:109] neg_lo:[0,0,1] neg_hi:[0,0,1]
	v_mov_b32_e32 v113, v102
	s_wait_loadcnt 0x1
	v_pk_mul_f32 v[110:111], v[100:101], v[92:93] op_sel:[1,1] op_sel_hi:[0,1]
	v_pk_fma_f32 v[96:97], v[98:99], v[90:91], v[106:107] op_sel_hi:[1,0,1]
	v_dual_mov_b32 v89, v115 :: v_dual_mov_b32 v96, v95
	v_pk_fma_f32 v[90:91], v[98:99], v[90:91], v[106:107] neg_lo:[0,0,1] neg_hi:[0,0,1]
	s_delay_alu instid0(VALU_DEP_4) | instskip(NEXT) | instid1(VALU_DEP_4)
	v_pk_fma_f32 v[108:109], v[100:101], v[92:93], v[110:111] op_sel_hi:[1,0,1]
	v_mov_b32_e32 v91, v97
	s_delay_alu instid0(VALU_DEP_4) | instskip(SKIP_2) | instid1(VALU_DEP_3)
	v_pk_add_f32 v[88:89], v[88:89], 0 op_sel_hi:[1,0]
	v_pk_mul_f32 v[96:97], v[112:113], v[96:97] op_sel_hi:[1,0]
	v_pk_fma_f32 v[92:93], v[100:101], v[92:93], v[110:111] neg_lo:[0,0,1] neg_hi:[0,0,1]
	v_pk_add_f32 v[88:89], v[88:89], v[90:91]
	s_delay_alu instid0(VALU_DEP_3) | instskip(SKIP_2) | instid1(VALU_DEP_3)
	v_pk_fma_f32 v[90:91], v[102:103], v[94:95], v[96:97] op_sel_hi:[1,0,1]
	v_mov_b32_e32 v93, v109
	v_pk_fma_f32 v[94:95], v[102:103], v[94:95], v[96:97] neg_lo:[0,0,1] neg_hi:[0,0,1]
	v_mov_b32_e32 v95, v91
	s_delay_alu instid0(VALU_DEP_3) | instskip(NEXT) | instid1(VALU_DEP_1)
	v_pk_add_f32 v[88:89], v[88:89], v[92:93]
	v_pk_add_f32 v[88:89], v[88:89], v[94:95]
	s_wait_loadcnt 0x0
	s_delay_alu instid0(VALU_DEP_1)
	v_pk_add_f32 v[88:89], v[104:105], v[88:89] neg_lo:[0,1] neg_hi:[0,1]
	scratch_store_b64 off, v[88:89], off offset:304
	s_wait_xcnt 0x0
	v_cmpx_lt_u32_e32 37, v0
	s_cbranch_execz .LBB42_197
; %bb.196:
	scratch_load_b64 v[88:89], off, off offset:296
	v_mov_b64_e32 v[90:91], 0
	scratch_store_b64 off, v[90:91], off offset:296
	s_wait_loadcnt 0x0
	ds_store_b64 v1, v[88:89]
.LBB42_197:
	s_wait_xcnt 0x0
	s_or_b32 exec_lo, exec_lo, s0
	s_wait_storecnt_dscnt 0x0
	s_barrier_signal -1
	s_barrier_wait -1
	s_clause 0x3
	scratch_load_b128 v[88:91], off, off offset:304
	scratch_load_b128 v[92:95], off, off offset:320
	scratch_load_b64 v[104:105], off, off offset:336
	scratch_load_b64 v[106:107], off, off offset:296
	v_mov_b32_e32 v3, 0
	ds_load_b128 v[96:99], v3 offset:656
	ds_load_b128 v[100:103], v3 offset:672
	s_mov_b32 s0, exec_lo
	s_wait_dscnt 0x1
	v_dual_mov_b32 v108, v99 :: v_dual_mov_b32 v109, v98
	ds_load_b64 v[114:115], v3 offset:688
	s_wait_dscnt 0x1
	v_dual_mov_b32 v116, v103 :: v_dual_mov_b32 v117, v102
	s_wait_loadcnt 0x3
	v_pk_mul_f32 v[110:111], v[96:97], v[88:89] op_sel:[1,1] op_sel_hi:[0,1]
	v_mov_b32_e32 v112, v91
	s_delay_alu instid0(VALU_DEP_2) | instskip(NEXT) | instid1(VALU_DEP_2)
	v_pk_fma_f32 v[118:119], v[96:97], v[88:89], v[110:111] op_sel_hi:[1,0,1]
	v_pk_mul_f32 v[108:109], v[108:109], v[112:113] op_sel_hi:[1,0]
	v_pk_fma_f32 v[88:89], v[96:97], v[88:89], v[110:111] neg_lo:[0,0,1] neg_hi:[0,0,1]
	s_wait_loadcnt 0x2
	v_pk_mul_f32 v[112:113], v[100:101], v[92:93] op_sel:[1,1] op_sel_hi:[0,1]
	v_dual_mov_b32 v118, v95 :: v_dual_mov_b32 v89, v119
	v_pk_fma_f32 v[96:97], v[98:99], v[90:91], v[108:109] op_sel_hi:[1,0,1]
	v_pk_fma_f32 v[90:91], v[98:99], v[90:91], v[108:109] neg_lo:[0,0,1] neg_hi:[0,0,1]
	s_delay_alu instid0(VALU_DEP_4) | instskip(NEXT) | instid1(VALU_DEP_4)
	v_pk_fma_f32 v[110:111], v[100:101], v[92:93], v[112:113] op_sel_hi:[1,0,1]
	v_pk_mul_f32 v[116:117], v[116:117], v[118:119] op_sel_hi:[1,0]
	v_pk_add_f32 v[88:89], v[88:89], 0 op_sel_hi:[1,0]
	v_mov_b32_e32 v91, v97
	v_pk_fma_f32 v[92:93], v[100:101], v[92:93], v[112:113] neg_lo:[0,0,1] neg_hi:[0,0,1]
	v_mov_b32_e32 v93, v111
	v_pk_fma_f32 v[96:97], v[102:103], v[94:95], v[116:117] op_sel_hi:[1,0,1]
	v_pk_fma_f32 v[94:95], v[102:103], v[94:95], v[116:117] neg_lo:[0,0,1] neg_hi:[0,0,1]
	v_pk_add_f32 v[88:89], v[88:89], v[90:91]
	s_wait_loadcnt_dscnt 0x100
	v_pk_mul_f32 v[90:91], v[114:115], v[104:105] op_sel:[1,1] op_sel_hi:[0,1]
	s_delay_alu instid0(VALU_DEP_2) | instskip(NEXT) | instid1(VALU_DEP_2)
	v_pk_add_f32 v[88:89], v[88:89], v[92:93]
	v_pk_fma_f32 v[92:93], v[114:115], v[104:105], v[90:91] op_sel_hi:[1,0,1]
	v_mov_b32_e32 v95, v97
	v_pk_fma_f32 v[90:91], v[114:115], v[104:105], v[90:91] neg_lo:[0,0,1] neg_hi:[0,0,1]
	s_delay_alu instid0(VALU_DEP_3) | instskip(NEXT) | instid1(VALU_DEP_3)
	v_mov_b32_e32 v91, v93
	v_pk_add_f32 v[88:89], v[88:89], v[94:95]
	s_delay_alu instid0(VALU_DEP_1) | instskip(SKIP_1) | instid1(VALU_DEP_1)
	v_pk_add_f32 v[88:89], v[88:89], v[90:91]
	s_wait_loadcnt 0x0
	v_pk_add_f32 v[88:89], v[106:107], v[88:89] neg_lo:[0,1] neg_hi:[0,1]
	scratch_store_b64 off, v[88:89], off offset:296
	s_wait_xcnt 0x0
	v_cmpx_lt_u32_e32 36, v0
	s_cbranch_execz .LBB42_199
; %bb.198:
	scratch_load_b64 v[88:89], off, off offset:288
	v_mov_b64_e32 v[90:91], 0
	scratch_store_b64 off, v[90:91], off offset:288
	s_wait_loadcnt 0x0
	ds_store_b64 v1, v[88:89]
.LBB42_199:
	s_wait_xcnt 0x0
	s_or_b32 exec_lo, exec_lo, s0
	s_wait_storecnt_dscnt 0x0
	s_barrier_signal -1
	s_barrier_wait -1
	s_clause 0x3
	scratch_load_b128 v[88:91], off, off offset:296
	scratch_load_b128 v[92:95], off, off offset:312
	;; [unrolled: 1-line block ×3, first 2 shown]
	scratch_load_b64 v[112:113], off, off offset:288
	ds_load_2addr_b64 v[100:103], v3 offset0:81 offset1:82
	ds_load_2addr_b64 v[104:107], v3 offset0:83 offset1:84
	;; [unrolled: 1-line block ×3, first 2 shown]
	s_mov_b32 s0, exec_lo
	s_wait_dscnt 0x2
	v_dual_mov_b32 v114, v103 :: v_dual_mov_b32 v115, v102
	s_wait_dscnt 0x1
	v_dual_mov_b32 v116, v107 :: v_dual_mov_b32 v117, v106
	;; [unrolled: 2-line block ×3, first 2 shown]
	s_wait_loadcnt 0x3
	v_pk_mul_f32 v[118:119], v[100:101], v[88:89] op_sel:[1,1] op_sel_hi:[0,1]
	v_mov_b32_e32 v120, v91
	s_delay_alu instid0(VALU_DEP_2) | instskip(NEXT) | instid1(VALU_DEP_2)
	v_pk_fma_f32 v[124:125], v[100:101], v[88:89], v[118:119] op_sel_hi:[1,0,1]
	v_pk_mul_f32 v[114:115], v[114:115], v[120:121] op_sel_hi:[1,0]
	v_pk_fma_f32 v[88:89], v[100:101], v[88:89], v[118:119] neg_lo:[0,0,1] neg_hi:[0,0,1]
	s_wait_loadcnt 0x2
	v_pk_mul_f32 v[120:121], v[104:105], v[92:93] op_sel:[1,1] op_sel_hi:[0,1]
	v_mov_b32_e32 v124, v95
	v_pk_fma_f32 v[100:101], v[102:103], v[90:91], v[114:115] op_sel_hi:[1,0,1]
	v_mov_b32_e32 v89, v125
	v_pk_fma_f32 v[90:91], v[102:103], v[90:91], v[114:115] neg_lo:[0,0,1] neg_hi:[0,0,1]
	v_pk_fma_f32 v[118:119], v[104:105], v[92:93], v[120:121] op_sel_hi:[1,0,1]
	v_pk_mul_f32 v[116:117], v[116:117], v[124:125] op_sel_hi:[1,0]
	v_mov_b32_e32 v91, v101
	v_pk_add_f32 v[88:89], v[88:89], 0 op_sel_hi:[1,0]
	v_pk_fma_f32 v[92:93], v[104:105], v[92:93], v[120:121] neg_lo:[0,0,1] neg_hi:[0,0,1]
	s_wait_loadcnt 0x1
	v_pk_mul_f32 v[100:101], v[108:109], v[96:97] op_sel:[1,1] op_sel_hi:[0,1]
	v_mov_b32_e32 v93, v119
	v_pk_fma_f32 v[102:103], v[106:107], v[94:95], v[116:117] op_sel_hi:[1,0,1]
	v_pk_add_f32 v[88:89], v[88:89], v[90:91]
	v_mov_b32_e32 v90, v99
	v_pk_fma_f32 v[94:95], v[106:107], v[94:95], v[116:117] neg_lo:[0,0,1] neg_hi:[0,0,1]
	v_pk_fma_f32 v[104:105], v[108:109], v[96:97], v[100:101] op_sel_hi:[1,0,1]
	v_mov_b32_e32 v95, v103
	v_pk_add_f32 v[88:89], v[88:89], v[92:93]
	v_pk_mul_f32 v[90:91], v[122:123], v[90:91] op_sel_hi:[1,0]
	v_pk_fma_f32 v[92:93], v[108:109], v[96:97], v[100:101] neg_lo:[0,0,1] neg_hi:[0,0,1]
	v_mov_b32_e32 v93, v105
	s_delay_alu instid0(VALU_DEP_4) | instskip(NEXT) | instid1(VALU_DEP_4)
	v_pk_add_f32 v[88:89], v[88:89], v[94:95]
	v_pk_fma_f32 v[94:95], v[110:111], v[98:99], v[90:91] op_sel_hi:[1,0,1]
	v_pk_fma_f32 v[90:91], v[110:111], v[98:99], v[90:91] neg_lo:[0,0,1] neg_hi:[0,0,1]
	s_delay_alu instid0(VALU_DEP_3) | instskip(NEXT) | instid1(VALU_DEP_3)
	v_pk_add_f32 v[88:89], v[88:89], v[92:93]
	v_mov_b32_e32 v91, v95
	s_delay_alu instid0(VALU_DEP_1) | instskip(SKIP_1) | instid1(VALU_DEP_1)
	v_pk_add_f32 v[88:89], v[88:89], v[90:91]
	s_wait_loadcnt 0x0
	v_pk_add_f32 v[88:89], v[112:113], v[88:89] neg_lo:[0,1] neg_hi:[0,1]
	scratch_store_b64 off, v[88:89], off offset:288
	s_wait_xcnt 0x0
	v_cmpx_lt_u32_e32 35, v0
	s_cbranch_execz .LBB42_201
; %bb.200:
	scratch_load_b64 v[88:89], off, off offset:280
	v_mov_b64_e32 v[90:91], 0
	scratch_store_b64 off, v[90:91], off offset:280
	s_wait_loadcnt 0x0
	ds_store_b64 v1, v[88:89]
.LBB42_201:
	s_wait_xcnt 0x0
	s_or_b32 exec_lo, exec_lo, s0
	s_wait_storecnt_dscnt 0x0
	s_barrier_signal -1
	s_barrier_wait -1
	s_clause 0x4
	scratch_load_b128 v[88:91], off, off offset:288
	scratch_load_b128 v[92:95], off, off offset:304
	scratch_load_b128 v[96:99], off, off offset:320
	scratch_load_b64 v[112:113], off, off offset:336
	scratch_load_b64 v[114:115], off, off offset:280
	v_mov_b32_e32 v3, 0
	ds_load_b128 v[100:103], v3 offset:640
	ds_load_b128 v[104:107], v3 offset:656
	;; [unrolled: 1-line block ×3, first 2 shown]
	ds_load_b64 v[116:117], v3 offset:688
	s_mov_b32 s0, exec_lo
	s_wait_dscnt 0x3
	v_dual_mov_b32 v118, v103 :: v_dual_mov_b32 v119, v102
	s_wait_dscnt 0x2
	v_dual_mov_b32 v120, v107 :: v_dual_mov_b32 v121, v106
	;; [unrolled: 2-line block ×3, first 2 shown]
	s_wait_loadcnt 0x4
	v_pk_mul_f32 v[122:123], v[100:101], v[88:89] op_sel:[1,1] op_sel_hi:[0,1]
	v_mov_b32_e32 v124, v91
	s_wait_loadcnt 0x3
	v_pk_mul_f32 v[128:129], v[104:105], v[92:93] op_sel:[1,1] op_sel_hi:[0,1]
	s_wait_loadcnt 0x2
	v_pk_mul_f32 v[132:133], v[108:109], v[96:97] op_sel:[1,1] op_sel_hi:[0,1]
	v_pk_fma_f32 v[130:131], v[100:101], v[88:89], v[122:123] op_sel_hi:[1,0,1]
	v_pk_mul_f32 v[118:119], v[118:119], v[124:125] op_sel_hi:[1,0]
	v_pk_fma_f32 v[88:89], v[100:101], v[88:89], v[122:123] neg_lo:[0,0,1] neg_hi:[0,0,1]
	v_mov_b32_e32 v124, v95
	v_pk_fma_f32 v[122:123], v[104:105], v[92:93], v[128:129] op_sel_hi:[1,0,1]
	v_mov_b32_e32 v89, v131
	v_pk_fma_f32 v[100:101], v[102:103], v[90:91], v[118:119] op_sel_hi:[1,0,1]
	v_pk_fma_f32 v[90:91], v[102:103], v[90:91], v[118:119] neg_lo:[0,0,1] neg_hi:[0,0,1]
	v_pk_mul_f32 v[120:121], v[120:121], v[124:125] op_sel_hi:[1,0]
	v_pk_fma_f32 v[92:93], v[104:105], v[92:93], v[128:129] neg_lo:[0,0,1] neg_hi:[0,0,1]
	v_pk_add_f32 v[88:89], v[88:89], 0 op_sel_hi:[1,0]
	v_dual_mov_b32 v91, v101 :: v_dual_mov_b32 v100, v99
	s_delay_alu instid0(VALU_DEP_4) | instskip(SKIP_2) | instid1(VALU_DEP_4)
	v_pk_fma_f32 v[102:103], v[106:107], v[94:95], v[120:121] op_sel_hi:[1,0,1]
	v_mov_b32_e32 v93, v123
	v_pk_fma_f32 v[94:95], v[106:107], v[94:95], v[120:121] neg_lo:[0,0,1] neg_hi:[0,0,1]
	v_pk_add_f32 v[88:89], v[88:89], v[90:91]
	v_pk_fma_f32 v[90:91], v[108:109], v[96:97], v[132:133] op_sel_hi:[1,0,1]
	v_pk_mul_f32 v[100:101], v[126:127], v[100:101] op_sel_hi:[1,0]
	v_mov_b32_e32 v95, v103
	s_delay_alu instid0(VALU_DEP_4)
	v_pk_add_f32 v[88:89], v[88:89], v[92:93]
	v_pk_fma_f32 v[92:93], v[108:109], v[96:97], v[132:133] neg_lo:[0,0,1] neg_hi:[0,0,1]
	v_mov_b32_e32 v93, v91
	v_pk_fma_f32 v[90:91], v[110:111], v[98:99], v[100:101] op_sel_hi:[1,0,1]
	v_pk_fma_f32 v[96:97], v[110:111], v[98:99], v[100:101] neg_lo:[0,0,1] neg_hi:[0,0,1]
	v_pk_add_f32 v[88:89], v[88:89], v[94:95]
	s_wait_loadcnt_dscnt 0x100
	v_pk_mul_f32 v[94:95], v[116:117], v[112:113] op_sel:[1,1] op_sel_hi:[0,1]
	v_mov_b32_e32 v97, v91
	s_delay_alu instid0(VALU_DEP_3) | instskip(NEXT) | instid1(VALU_DEP_3)
	v_pk_add_f32 v[88:89], v[88:89], v[92:93]
	v_pk_fma_f32 v[90:91], v[116:117], v[112:113], v[94:95] op_sel_hi:[1,0,1]
	v_pk_fma_f32 v[92:93], v[116:117], v[112:113], v[94:95] neg_lo:[0,0,1] neg_hi:[0,0,1]
	s_delay_alu instid0(VALU_DEP_3) | instskip(NEXT) | instid1(VALU_DEP_3)
	v_pk_add_f32 v[88:89], v[88:89], v[96:97]
	v_mov_b32_e32 v93, v91
	s_delay_alu instid0(VALU_DEP_1) | instskip(SKIP_1) | instid1(VALU_DEP_1)
	v_pk_add_f32 v[88:89], v[88:89], v[92:93]
	s_wait_loadcnt 0x0
	v_pk_add_f32 v[88:89], v[114:115], v[88:89] neg_lo:[0,1] neg_hi:[0,1]
	scratch_store_b64 off, v[88:89], off offset:280
	s_wait_xcnt 0x0
	v_cmpx_lt_u32_e32 34, v0
	s_cbranch_execz .LBB42_203
; %bb.202:
	scratch_load_b64 v[88:89], off, off offset:272
	v_mov_b64_e32 v[90:91], 0
	scratch_store_b64 off, v[90:91], off offset:272
	s_wait_loadcnt 0x0
	ds_store_b64 v1, v[88:89]
.LBB42_203:
	s_wait_xcnt 0x0
	s_or_b32 exec_lo, exec_lo, s0
	s_wait_storecnt_dscnt 0x0
	s_barrier_signal -1
	s_barrier_wait -1
	s_clause 0x4
	scratch_load_b128 v[88:91], off, off offset:280
	scratch_load_b128 v[92:95], off, off offset:296
	;; [unrolled: 1-line block ×4, first 2 shown]
	scratch_load_b64 v[120:121], off, off offset:272
	ds_load_2addr_b64 v[104:107], v3 offset0:79 offset1:80
	ds_load_2addr_b64 v[108:111], v3 offset0:81 offset1:82
	;; [unrolled: 1-line block ×4, first 2 shown]
	s_mov_b32 s0, exec_lo
	s_wait_dscnt 0x3
	v_dual_mov_b32 v122, v107 :: v_dual_mov_b32 v123, v106
	s_wait_dscnt 0x2
	v_dual_mov_b32 v124, v111 :: v_dual_mov_b32 v125, v110
	;; [unrolled: 2-line block ×3, first 2 shown]
	v_dual_mov_b32 v127, v114 :: v_dual_mov_b32 v132, v119
	s_wait_loadcnt 0x4
	v_mov_b32_e32 v130, v91
	v_pk_mul_f32 v[128:129], v[104:105], v[88:89] op_sel:[1,1] op_sel_hi:[0,1]
	s_wait_loadcnt 0x3
	v_pk_mul_f32 v[134:135], v[108:109], v[92:93] op_sel:[1,1] op_sel_hi:[0,1]
	s_wait_loadcnt 0x2
	v_pk_mul_f32 v[138:139], v[112:113], v[96:97] op_sel:[1,1] op_sel_hi:[0,1]
	v_pk_mul_f32 v[122:123], v[122:123], v[130:131] op_sel_hi:[1,0]
	v_pk_fma_f32 v[136:137], v[104:105], v[88:89], v[128:129] op_sel_hi:[1,0,1]
	v_pk_fma_f32 v[88:89], v[104:105], v[88:89], v[128:129] neg_lo:[0,0,1] neg_hi:[0,0,1]
	v_mov_b32_e32 v130, v95
	v_pk_fma_f32 v[128:129], v[108:109], v[92:93], v[134:135] op_sel_hi:[1,0,1]
	v_pk_fma_f32 v[104:105], v[106:107], v[90:91], v[122:123] op_sel_hi:[1,0,1]
	v_mov_b32_e32 v89, v137
	v_pk_fma_f32 v[90:91], v[106:107], v[90:91], v[122:123] neg_lo:[0,0,1] neg_hi:[0,0,1]
	v_pk_mul_f32 v[124:125], v[124:125], v[130:131] op_sel_hi:[1,0]
	s_delay_alu instid0(VALU_DEP_4) | instskip(NEXT) | instid1(VALU_DEP_4)
	v_dual_mov_b32 v104, v99 :: v_dual_mov_b32 v91, v105
	v_pk_add_f32 v[88:89], v[88:89], 0 op_sel_hi:[1,0]
	v_pk_fma_f32 v[92:93], v[108:109], v[92:93], v[134:135] neg_lo:[0,0,1] neg_hi:[0,0,1]
	v_mov_b32_e32 v93, v129
	v_pk_fma_f32 v[106:107], v[110:111], v[94:95], v[124:125] op_sel_hi:[1,0,1]
	v_pk_mul_f32 v[104:105], v[126:127], v[104:105] op_sel_hi:[1,0]
	v_pk_add_f32 v[88:89], v[88:89], v[90:91]
	v_pk_fma_f32 v[90:91], v[112:113], v[96:97], v[138:139] op_sel_hi:[1,0,1]
	v_pk_fma_f32 v[94:95], v[110:111], v[94:95], v[124:125] neg_lo:[0,0,1] neg_hi:[0,0,1]
	v_mov_b32_e32 v95, v107
	v_pk_fma_f32 v[96:97], v[112:113], v[96:97], v[138:139] neg_lo:[0,0,1] neg_hi:[0,0,1]
	v_pk_add_f32 v[88:89], v[88:89], v[92:93]
	v_mov_b32_e32 v97, v91
	v_pk_fma_f32 v[90:91], v[114:115], v[98:99], v[104:105] op_sel_hi:[1,0,1]
	s_wait_loadcnt 0x1
	v_pk_mul_f32 v[92:93], v[116:117], v[100:101] op_sel:[1,1] op_sel_hi:[0,1]
	v_mov_b32_e32 v90, v103
	v_pk_add_f32 v[88:89], v[88:89], v[94:95]
	v_pk_fma_f32 v[98:99], v[114:115], v[98:99], v[104:105] neg_lo:[0,0,1] neg_hi:[0,0,1]
	v_mov_b32_e32 v99, v91
	v_pk_fma_f32 v[94:95], v[116:117], v[100:101], v[92:93] op_sel_hi:[1,0,1]
	v_pk_mul_f32 v[90:91], v[132:133], v[90:91] op_sel_hi:[1,0]
	v_pk_add_f32 v[88:89], v[88:89], v[96:97]
	v_pk_fma_f32 v[92:93], v[116:117], v[100:101], v[92:93] neg_lo:[0,0,1] neg_hi:[0,0,1]
	s_delay_alu instid0(VALU_DEP_4) | instskip(NEXT) | instid1(VALU_DEP_4)
	v_mov_b32_e32 v93, v95
	v_pk_fma_f32 v[94:95], v[118:119], v[102:103], v[90:91] op_sel_hi:[1,0,1]
	s_delay_alu instid0(VALU_DEP_4) | instskip(SKIP_1) | instid1(VALU_DEP_3)
	v_pk_add_f32 v[88:89], v[88:89], v[98:99]
	v_pk_fma_f32 v[90:91], v[118:119], v[102:103], v[90:91] neg_lo:[0,0,1] neg_hi:[0,0,1]
	v_mov_b32_e32 v91, v95
	s_delay_alu instid0(VALU_DEP_3) | instskip(NEXT) | instid1(VALU_DEP_1)
	v_pk_add_f32 v[88:89], v[88:89], v[92:93]
	v_pk_add_f32 v[88:89], v[88:89], v[90:91]
	s_wait_loadcnt 0x0
	s_delay_alu instid0(VALU_DEP_1)
	v_pk_add_f32 v[88:89], v[120:121], v[88:89] neg_lo:[0,1] neg_hi:[0,1]
	scratch_store_b64 off, v[88:89], off offset:272
	s_wait_xcnt 0x0
	v_cmpx_lt_u32_e32 33, v0
	s_cbranch_execz .LBB42_205
; %bb.204:
	scratch_load_b64 v[88:89], off, off offset:264
	v_mov_b64_e32 v[90:91], 0
	scratch_store_b64 off, v[90:91], off offset:264
	s_wait_loadcnt 0x0
	ds_store_b64 v1, v[88:89]
.LBB42_205:
	s_wait_xcnt 0x0
	s_or_b32 exec_lo, exec_lo, s0
	s_wait_storecnt_dscnt 0x0
	s_barrier_signal -1
	s_barrier_wait -1
	s_clause 0x5
	scratch_load_b128 v[88:91], off, off offset:272
	scratch_load_b128 v[92:95], off, off offset:288
	;; [unrolled: 1-line block ×4, first 2 shown]
	scratch_load_b64 v[120:121], off, off offset:336
	scratch_load_b64 v[122:123], off, off offset:264
	v_mov_b32_e32 v3, 0
	ds_load_b128 v[104:107], v3 offset:624
	ds_load_b128 v[108:111], v3 offset:640
	;; [unrolled: 1-line block ×4, first 2 shown]
	ds_load_b64 v[124:125], v3 offset:688
	s_mov_b32 s0, exec_lo
	s_wait_dscnt 0x4
	v_dual_mov_b32 v126, v107 :: v_dual_mov_b32 v127, v106
	s_wait_dscnt 0x1
	v_dual_mov_b32 v128, v111 :: v_dual_mov_b32 v133, v118
	v_dual_mov_b32 v129, v110 :: v_dual_mov_b32 v130, v115
	;; [unrolled: 1-line block ×3, first 2 shown]
	s_wait_loadcnt 0x5
	v_dual_mov_b32 v134, v91 :: v_dual_mul_f32 v135, v104, v89
	v_mul_f32_e32 v7, v105, v89
	s_wait_loadcnt 0x4
	v_pk_mul_f32 v[136:137], v[108:109], v[92:93] op_sel:[1,1] op_sel_hi:[0,1]
	v_mov_b32_e32 v138, v95
	s_wait_loadcnt 0x3
	v_pk_mul_f32 v[140:141], v[112:113], v[96:97] op_sel:[1,1] op_sel_hi:[0,1]
	v_pk_mul_f32 v[126:127], v[126:127], v[134:135] op_sel_hi:[1,0]
	v_fmac_f32_e32 v135, v105, v88
	v_dual_fma_f32 v134, v104, v88, -v7 :: v_dual_mov_b32 v88, v99
	v_pk_fma_f32 v[142:143], v[108:109], v[92:93], v[136:137] op_sel_hi:[1,0,1]
	s_delay_alu instid0(VALU_DEP_4)
	v_pk_fma_f32 v[104:105], v[106:107], v[90:91], v[126:127] op_sel_hi:[1,0,1]
	v_pk_fma_f32 v[90:91], v[106:107], v[90:91], v[126:127] neg_lo:[0,0,1] neg_hi:[0,0,1]
	v_pk_mul_f32 v[128:129], v[128:129], v[138:139] op_sel_hi:[1,0]
	v_pk_add_f32 v[134:135], v[134:135], 0 op_sel_hi:[1,0]
	v_pk_fma_f32 v[92:93], v[108:109], v[92:93], v[136:137] neg_lo:[0,0,1] neg_hi:[0,0,1]
	v_dual_mov_b32 v91, v105 :: v_dual_mov_b32 v93, v143
	s_delay_alu instid0(VALU_DEP_4) | instskip(SKIP_2) | instid1(VALU_DEP_4)
	v_pk_fma_f32 v[106:107], v[110:111], v[94:95], v[128:129] op_sel_hi:[1,0,1]
	v_pk_fma_f32 v[94:95], v[110:111], v[94:95], v[128:129] neg_lo:[0,0,1] neg_hi:[0,0,1]
	v_pk_fma_f32 v[108:109], v[112:113], v[96:97], v[140:141] op_sel_hi:[1,0,1]
	v_pk_add_f32 v[90:91], v[134:135], v[90:91]
	v_pk_mul_f32 v[88:89], v[130:131], v[88:89] op_sel_hi:[1,0]
	v_mov_b32_e32 v95, v107
	v_pk_fma_f32 v[96:97], v[112:113], v[96:97], v[140:141] neg_lo:[0,0,1] neg_hi:[0,0,1]
	s_wait_loadcnt 0x2
	v_pk_mul_f32 v[104:105], v[116:117], v[100:101] op_sel:[1,1] op_sel_hi:[0,1]
	v_pk_add_f32 v[90:91], v[90:91], v[92:93]
	v_mov_b32_e32 v92, v103
	v_pk_fma_f32 v[106:107], v[114:115], v[98:99], v[88:89] op_sel_hi:[1,0,1]
	v_mov_b32_e32 v97, v109
	v_pk_fma_f32 v[88:89], v[114:115], v[98:99], v[88:89] neg_lo:[0,0,1] neg_hi:[0,0,1]
	v_pk_add_f32 v[90:91], v[90:91], v[94:95]
	v_pk_fma_f32 v[94:95], v[116:117], v[100:101], v[104:105] op_sel_hi:[1,0,1]
	v_pk_mul_f32 v[92:93], v[132:133], v[92:93] op_sel_hi:[1,0]
	v_mov_b32_e32 v89, v107
	s_delay_alu instid0(VALU_DEP_4)
	v_pk_add_f32 v[90:91], v[90:91], v[96:97]
	v_pk_fma_f32 v[96:97], v[116:117], v[100:101], v[104:105] neg_lo:[0,0,1] neg_hi:[0,0,1]
	v_mov_b32_e32 v97, v95
	v_pk_fma_f32 v[94:95], v[118:119], v[102:103], v[92:93] op_sel_hi:[1,0,1]
	v_pk_fma_f32 v[92:93], v[118:119], v[102:103], v[92:93] neg_lo:[0,0,1] neg_hi:[0,0,1]
	v_pk_add_f32 v[88:89], v[90:91], v[88:89]
	s_wait_loadcnt_dscnt 0x100
	v_pk_mul_f32 v[90:91], v[124:125], v[120:121] op_sel:[1,1] op_sel_hi:[0,1]
	v_mov_b32_e32 v93, v95
	s_delay_alu instid0(VALU_DEP_3) | instskip(NEXT) | instid1(VALU_DEP_3)
	v_pk_add_f32 v[88:89], v[88:89], v[96:97]
	v_pk_fma_f32 v[94:95], v[124:125], v[120:121], v[90:91] op_sel_hi:[1,0,1]
	v_pk_fma_f32 v[90:91], v[124:125], v[120:121], v[90:91] neg_lo:[0,0,1] neg_hi:[0,0,1]
	s_delay_alu instid0(VALU_DEP_3) | instskip(NEXT) | instid1(VALU_DEP_3)
	v_pk_add_f32 v[88:89], v[88:89], v[92:93]
	v_mov_b32_e32 v91, v95
	s_delay_alu instid0(VALU_DEP_1) | instskip(SKIP_1) | instid1(VALU_DEP_1)
	v_pk_add_f32 v[88:89], v[88:89], v[90:91]
	s_wait_loadcnt 0x0
	v_pk_add_f32 v[88:89], v[122:123], v[88:89] neg_lo:[0,1] neg_hi:[0,1]
	scratch_store_b64 off, v[88:89], off offset:264
	s_wait_xcnt 0x0
	v_cmpx_lt_u32_e32 32, v0
	s_cbranch_execz .LBB42_207
; %bb.206:
	scratch_load_b64 v[88:89], off, off offset:256
	v_mov_b64_e32 v[90:91], 0
	scratch_store_b64 off, v[90:91], off offset:256
	s_wait_loadcnt 0x0
	ds_store_b64 v1, v[88:89]
.LBB42_207:
	s_wait_xcnt 0x0
	s_or_b32 exec_lo, exec_lo, s0
	s_wait_storecnt_dscnt 0x0
	s_barrier_signal -1
	s_barrier_wait -1
	s_clause 0x5
	scratch_load_b128 v[88:91], off, off offset:264
	scratch_load_b128 v[92:95], off, off offset:280
	;; [unrolled: 1-line block ×5, first 2 shown]
	scratch_load_b64 v[128:129], off, off offset:256
	ds_load_2addr_b64 v[108:111], v3 offset0:79 offset1:80
	ds_load_2addr_b64 v[112:115], v3 offset0:81 offset1:82
	;; [unrolled: 1-line block ×5, first 2 shown]
	s_mov_b32 s0, exec_lo
	s_wait_dscnt 0x4
	v_dual_mov_b32 v130, v111 :: v_dual_mov_b32 v131, v110
	s_wait_dscnt 0x3
	v_dual_mov_b32 v132, v115 :: v_dual_mov_b32 v133, v114
	;; [unrolled: 2-line block ×4, first 2 shown]
	s_wait_loadcnt_dscnt 0x500
	v_dual_mul_f32 v139, v124, v89 :: v_dual_mul_f32 v141, v126, v91
	v_dual_mul_f32 v3, v125, v89 :: v_dual_mul_f32 v7, v127, v91
	s_wait_loadcnt 0x4
	v_pk_mul_f32 v[142:143], v[108:109], v[92:93] op_sel:[1,1] op_sel_hi:[0,1]
	s_wait_loadcnt 0x3
	v_dual_mov_b32 v144, v95 :: v_dual_mov_b32 v148, v99
	v_dual_fmac_f32 v139, v125, v88 :: v_dual_fmac_f32 v141, v127, v90
	v_fma_f32 v138, v124, v88, -v3
	v_fma_f32 v140, v126, v90, -v7
	v_pk_fma_f32 v[88:89], v[108:109], v[92:93], v[142:143] op_sel_hi:[1,0,1]
	v_pk_mul_f32 v[90:91], v[130:131], v[144:145] op_sel_hi:[1,0]
	v_pk_fma_f32 v[92:93], v[108:109], v[92:93], v[142:143] neg_lo:[0,0,1] neg_hi:[0,0,1]
	v_pk_mul_f32 v[146:147], v[112:113], v[96:97] op_sel:[1,1] op_sel_hi:[0,1]
	v_pk_mul_f32 v[130:131], v[132:133], v[148:149] op_sel_hi:[1,0]
	v_mov_b32_e32 v93, v89
	v_pk_add_f32 v[124:125], v[138:139], 0 op_sel_hi:[1,0]
	v_pk_fma_f32 v[88:89], v[110:111], v[94:95], v[90:91] op_sel_hi:[1,0,1]
	v_pk_fma_f32 v[90:91], v[110:111], v[94:95], v[90:91] neg_lo:[0,0,1] neg_hi:[0,0,1]
	s_wait_loadcnt 0x2
	v_pk_mul_f32 v[126:127], v[116:117], v[100:101] op_sel:[1,1] op_sel_hi:[0,1]
	v_pk_fma_f32 v[94:95], v[112:113], v[96:97], v[146:147] neg_lo:[0,0,1] neg_hi:[0,0,1]
	v_mov_b32_e32 v91, v89
	v_pk_add_f32 v[108:109], v[124:125], v[140:141]
	v_pk_fma_f32 v[124:125], v[112:113], v[96:97], v[146:147] op_sel_hi:[1,0,1]
	v_pk_fma_f32 v[96:97], v[114:115], v[98:99], v[130:131] op_sel_hi:[1,0,1]
	v_pk_fma_f32 v[98:99], v[114:115], v[98:99], v[130:131] neg_lo:[0,0,1] neg_hi:[0,0,1]
	s_delay_alu instid0(VALU_DEP_4) | instskip(NEXT) | instid1(VALU_DEP_4)
	v_pk_add_f32 v[88:89], v[108:109], v[92:93]
	v_dual_mov_b32 v92, v103 :: v_dual_mov_b32 v95, v125
	s_delay_alu instid0(VALU_DEP_2) | instskip(SKIP_1) | instid1(VALU_DEP_3)
	v_pk_add_f32 v[88:89], v[88:89], v[90:91]
	v_pk_fma_f32 v[90:91], v[116:117], v[100:101], v[126:127] op_sel_hi:[1,0,1]
	v_pk_mul_f32 v[92:93], v[134:135], v[92:93] op_sel_hi:[1,0]
	v_mov_b32_e32 v99, v97
	v_pk_fma_f32 v[96:97], v[116:117], v[100:101], v[126:127] neg_lo:[0,0,1] neg_hi:[0,0,1]
	v_pk_add_f32 v[88:89], v[88:89], v[94:95]
	v_mov_b32_e32 v97, v91
	v_pk_fma_f32 v[90:91], v[118:119], v[102:103], v[92:93] op_sel_hi:[1,0,1]
	s_wait_loadcnt 0x1
	v_pk_mul_f32 v[94:95], v[120:121], v[104:105] op_sel:[1,1] op_sel_hi:[0,1]
	v_mov_b32_e32 v90, v107
	v_pk_add_f32 v[88:89], v[88:89], v[98:99]
	v_pk_fma_f32 v[92:93], v[118:119], v[102:103], v[92:93] neg_lo:[0,0,1] neg_hi:[0,0,1]
	v_mov_b32_e32 v93, v91
	v_pk_fma_f32 v[98:99], v[120:121], v[104:105], v[94:95] op_sel_hi:[1,0,1]
	v_pk_mul_f32 v[90:91], v[136:137], v[90:91] op_sel_hi:[1,0]
	v_pk_add_f32 v[88:89], v[88:89], v[96:97]
	v_pk_fma_f32 v[94:95], v[120:121], v[104:105], v[94:95] neg_lo:[0,0,1] neg_hi:[0,0,1]
	s_delay_alu instid0(VALU_DEP_2) | instskip(NEXT) | instid1(VALU_DEP_4)
	v_pk_add_f32 v[88:89], v[88:89], v[92:93]
	v_pk_fma_f32 v[92:93], v[122:123], v[106:107], v[90:91] op_sel_hi:[1,0,1]
	v_mov_b32_e32 v95, v99
	v_pk_fma_f32 v[90:91], v[122:123], v[106:107], v[90:91] neg_lo:[0,0,1] neg_hi:[0,0,1]
	s_delay_alu instid0(VALU_DEP_3) | instskip(NEXT) | instid1(VALU_DEP_3)
	v_mov_b32_e32 v91, v93
	v_pk_add_f32 v[88:89], v[88:89], v[94:95]
	s_delay_alu instid0(VALU_DEP_1) | instskip(SKIP_1) | instid1(VALU_DEP_1)
	v_pk_add_f32 v[88:89], v[88:89], v[90:91]
	s_wait_loadcnt 0x0
	v_pk_add_f32 v[88:89], v[128:129], v[88:89] neg_lo:[0,1] neg_hi:[0,1]
	scratch_store_b64 off, v[88:89], off offset:256
	s_wait_xcnt 0x0
	v_cmpx_lt_u32_e32 31, v0
	s_cbranch_execz .LBB42_209
; %bb.208:
	scratch_load_b64 v[88:89], off, off offset:248
	v_mov_b64_e32 v[90:91], 0
	scratch_store_b64 off, v[90:91], off offset:248
	s_wait_loadcnt 0x0
	ds_store_b64 v1, v[88:89]
.LBB42_209:
	s_wait_xcnt 0x0
	s_or_b32 exec_lo, exec_lo, s0
	s_wait_storecnt_dscnt 0x0
	s_barrier_signal -1
	s_barrier_wait -1
	s_clause 0x6
	scratch_load_b128 v[88:91], off, off offset:256
	scratch_load_b128 v[92:95], off, off offset:272
	;; [unrolled: 1-line block ×5, first 2 shown]
	scratch_load_b64 v[128:129], off, off offset:336
	scratch_load_b64 v[130:131], off, off offset:248
	v_mov_b32_e32 v3, 0
	ds_load_b128 v[108:111], v3 offset:624
	ds_load_b128 v[112:115], v3 offset:640
	;; [unrolled: 1-line block ×5, first 2 shown]
	ds_load_b64 v[132:133], v3 offset:688
	s_mov_b32 s0, exec_lo
	s_wait_dscnt 0x5
	v_dual_mov_b32 v134, v111 :: v_dual_mov_b32 v135, v110
	s_wait_dscnt 0x2
	v_dual_mov_b32 v136, v115 :: v_dual_mov_b32 v141, v122
	v_dual_mov_b32 v137, v114 :: v_dual_mov_b32 v138, v119
	;; [unrolled: 1-line block ×3, first 2 shown]
	s_wait_loadcnt_dscnt 0x601
	v_dual_mul_f32 v7, v124, v89 :: v_dual_mul_f32 v11, v125, v89
	v_dual_mul_f32 v13, v127, v91 :: v_dual_mul_f32 v143, v126, v91
	s_wait_loadcnt 0x5
	v_dual_mul_f32 v145, v108, v93 :: v_dual_mul_f32 v15, v109, v93
	s_wait_loadcnt 0x4
	v_dual_mov_b32 v144, v95 :: v_dual_mov_b32 v148, v99
	v_fmac_f32_e32 v7, v125, v88
	v_dual_fma_f32 v11, v124, v88, -v11 :: v_dual_fma_f32 v142, v126, v90, -v13
	v_fmac_f32_e32 v143, v127, v90
	s_delay_alu instid0(VALU_DEP_4) | instskip(NEXT) | instid1(VALU_DEP_4)
	v_pk_mul_f32 v[88:89], v[134:135], v[144:145] op_sel_hi:[1,0]
	v_add_f32_e32 v91, 0, v7
	s_wait_loadcnt 0x3
	v_dual_add_f32 v90, 0, v11 :: v_dual_mov_b32 v124, v103
	v_pk_mul_f32 v[146:147], v[112:113], v[96:97] op_sel:[1,1] op_sel_hi:[0,1]
	v_dual_fmac_f32 v145, v109, v92 :: v_dual_fma_f32 v144, v108, v92, -v15
	v_pk_fma_f32 v[92:93], v[110:111], v[94:95], v[88:89] op_sel_hi:[1,0,1]
	s_delay_alu instid0(VALU_DEP_4)
	v_pk_add_f32 v[90:91], v[90:91], v[142:143]
	v_pk_fma_f32 v[88:89], v[110:111], v[94:95], v[88:89] neg_lo:[0,0,1] neg_hi:[0,0,1]
	v_pk_fma_f32 v[108:109], v[112:113], v[96:97], v[146:147] op_sel_hi:[1,0,1]
	v_pk_mul_f32 v[126:127], v[136:137], v[148:149] op_sel_hi:[1,0]
	v_mov_b32_e32 v89, v93
	v_pk_add_f32 v[90:91], v[90:91], v[144:145]
	v_pk_fma_f32 v[94:95], v[112:113], v[96:97], v[146:147] neg_lo:[0,0,1] neg_hi:[0,0,1]
	v_pk_mul_f32 v[150:151], v[116:117], v[100:101] op_sel:[1,1] op_sel_hi:[0,1]
	v_mov_b32_e32 v95, v109
	v_pk_fma_f32 v[96:97], v[114:115], v[98:99], v[126:127] op_sel_hi:[1,0,1]
	v_pk_add_f32 v[88:89], v[90:91], v[88:89]
	v_pk_fma_f32 v[98:99], v[114:115], v[98:99], v[126:127] neg_lo:[0,0,1] neg_hi:[0,0,1]
	v_pk_fma_f32 v[90:91], v[116:117], v[100:101], v[150:151] op_sel_hi:[1,0,1]
	v_pk_mul_f32 v[108:109], v[138:139], v[124:125] op_sel_hi:[1,0]
	s_wait_loadcnt 0x2
	v_dual_mov_b32 v99, v97 :: v_dual_mov_b32 v90, v107
	v_pk_add_f32 v[88:89], v[88:89], v[94:95]
	v_pk_fma_f32 v[94:95], v[116:117], v[100:101], v[150:151] neg_lo:[0,0,1] neg_hi:[0,0,1]
	v_pk_mul_f32 v[92:93], v[120:121], v[104:105] op_sel:[1,1] op_sel_hi:[0,1]
	v_pk_fma_f32 v[96:97], v[118:119], v[102:103], v[108:109] op_sel_hi:[1,0,1]
	v_mov_b32_e32 v95, v91
	v_pk_add_f32 v[88:89], v[88:89], v[98:99]
	v_pk_fma_f32 v[100:101], v[118:119], v[102:103], v[108:109] neg_lo:[0,0,1] neg_hi:[0,0,1]
	v_pk_fma_f32 v[98:99], v[120:121], v[104:105], v[92:93] op_sel_hi:[1,0,1]
	v_pk_mul_f32 v[90:91], v[140:141], v[90:91] op_sel_hi:[1,0]
	v_mov_b32_e32 v101, v97
	v_pk_add_f32 v[88:89], v[88:89], v[94:95]
	v_pk_fma_f32 v[92:93], v[120:121], v[104:105], v[92:93] neg_lo:[0,0,1] neg_hi:[0,0,1]
	s_wait_loadcnt_dscnt 0x100
	v_pk_mul_f32 v[96:97], v[132:133], v[128:129] op_sel:[1,1] op_sel_hi:[0,1]
	v_pk_fma_f32 v[94:95], v[122:123], v[106:107], v[90:91] op_sel_hi:[1,0,1]
	v_mov_b32_e32 v93, v99
	v_pk_add_f32 v[88:89], v[88:89], v[100:101]
	v_pk_fma_f32 v[90:91], v[122:123], v[106:107], v[90:91] neg_lo:[0,0,1] neg_hi:[0,0,1]
	s_delay_alu instid0(VALU_DEP_4) | instskip(SKIP_1) | instid1(VALU_DEP_4)
	v_mov_b32_e32 v91, v95
	v_pk_fma_f32 v[94:95], v[132:133], v[128:129], v[96:97] neg_lo:[0,0,1] neg_hi:[0,0,1]
	v_pk_add_f32 v[88:89], v[88:89], v[92:93]
	v_pk_fma_f32 v[92:93], v[132:133], v[128:129], v[96:97] op_sel_hi:[1,0,1]
	s_delay_alu instid0(VALU_DEP_2) | instskip(NEXT) | instid1(VALU_DEP_2)
	v_pk_add_f32 v[88:89], v[88:89], v[90:91]
	v_mov_b32_e32 v95, v93
	s_delay_alu instid0(VALU_DEP_1) | instskip(SKIP_1) | instid1(VALU_DEP_1)
	v_pk_add_f32 v[88:89], v[88:89], v[94:95]
	s_wait_loadcnt 0x0
	v_pk_add_f32 v[88:89], v[130:131], v[88:89] neg_lo:[0,1] neg_hi:[0,1]
	scratch_store_b64 off, v[88:89], off offset:248
	s_wait_xcnt 0x0
	v_cmpx_lt_u32_e32 30, v0
	s_cbranch_execz .LBB42_211
; %bb.210:
	scratch_load_b64 v[88:89], off, off offset:240
	v_mov_b64_e32 v[90:91], 0
	scratch_store_b64 off, v[90:91], off offset:240
	s_wait_loadcnt 0x0
	ds_store_b64 v1, v[88:89]
.LBB42_211:
	s_wait_xcnt 0x0
	s_or_b32 exec_lo, exec_lo, s0
	s_wait_storecnt_dscnt 0x0
	s_barrier_signal -1
	s_barrier_wait -1
	s_clause 0x6
	scratch_load_b128 v[88:91], off, off offset:248
	scratch_load_b128 v[92:95], off, off offset:264
	;; [unrolled: 1-line block ×6, first 2 shown]
	scratch_load_b64 v[136:137], off, off offset:240
	ds_load_2addr_b64 v[112:115], v3 offset0:79 offset1:80
	ds_load_2addr_b64 v[116:119], v3 offset0:81 offset1:82
	;; [unrolled: 1-line block ×6, first 2 shown]
	s_mov_b32 s0, exec_lo
	s_wait_dscnt 0x5
	v_dual_mov_b32 v138, v115 :: v_dual_mov_b32 v139, v114
	s_wait_dscnt 0x4
	v_dual_mov_b32 v140, v119 :: v_dual_mov_b32 v141, v118
	;; [unrolled: 2-line block ×4, first 2 shown]
	s_wait_loadcnt_dscnt 0x601
	v_dual_mul_f32 v3, v128, v89 :: v_dual_mul_f32 v7, v130, v91
	v_dual_mul_f32 v11, v129, v89 :: v_dual_mul_f32 v13, v131, v91
	s_wait_loadcnt 0x4
	s_delay_alu instid0(VALU_DEP_2)
	v_dual_mov_b32 v152, v99 :: v_dual_fmac_f32 v3, v129, v88
	s_wait_dscnt 0x0
	v_dual_mul_f32 v147, v132, v93 :: v_dual_mul_f32 v149, v134, v95
	v_dual_fma_f32 v11, v128, v88, -v11 :: v_dual_fma_f32 v13, v130, v90, -v13
	v_dual_mul_f32 v15, v133, v93 :: v_dual_mul_f32 v17, v135, v95
	v_dual_fmac_f32 v7, v131, v90 :: v_dual_add_f32 v3, 0, v3
	s_wait_loadcnt 0x3
	s_delay_alu instid0(VALU_DEP_3) | instskip(SKIP_3) | instid1(VALU_DEP_4)
	v_dual_add_f32 v11, 0, v11 :: v_dual_mov_b32 v90, v103
	v_pk_mul_f32 v[150:151], v[112:113], v[96:97] op_sel:[1,1] op_sel_hi:[0,1]
	v_pk_mul_f32 v[88:89], v[116:117], v[100:101] op_sel:[1,1] op_sel_hi:[0,1]
	v_dual_fmac_f32 v147, v133, v92 :: v_dual_add_f32 v93, v3, v7
	v_dual_fma_f32 v146, v132, v92, -v15 :: v_dual_add_f32 v92, v11, v13
	v_fmac_f32_e32 v149, v135, v94
	v_fma_f32 v148, v134, v94, -v17
	v_pk_fma_f32 v[94:95], v[112:113], v[96:97], v[150:151] op_sel_hi:[1,0,1]
	v_pk_mul_f32 v[128:129], v[138:139], v[152:153] op_sel_hi:[1,0]
	v_pk_add_f32 v[92:93], v[92:93], v[146:147]
	v_pk_fma_f32 v[96:97], v[112:113], v[96:97], v[150:151] neg_lo:[0,0,1] neg_hi:[0,0,1]
	v_pk_fma_f32 v[112:113], v[116:117], v[100:101], v[88:89] op_sel_hi:[1,0,1]
	v_pk_fma_f32 v[88:89], v[116:117], v[100:101], v[88:89] neg_lo:[0,0,1] neg_hi:[0,0,1]
	v_mov_b32_e32 v97, v95
	v_pk_fma_f32 v[94:95], v[114:115], v[98:99], v[128:129] op_sel_hi:[1,0,1]
	v_pk_fma_f32 v[98:99], v[114:115], v[98:99], v[128:129] neg_lo:[0,0,1] neg_hi:[0,0,1]
	v_mov_b32_e32 v89, v113
	v_pk_add_f32 v[92:93], v[92:93], v[148:149]
	v_pk_mul_f32 v[90:91], v[140:141], v[90:91] op_sel_hi:[1,0]
	s_wait_loadcnt 0x2
	v_dual_mov_b32 v99, v95 :: v_dual_mov_b32 v94, v107
	v_pk_mul_f32 v[130:131], v[120:121], v[104:105] op_sel:[1,1] op_sel_hi:[0,1]
	v_pk_add_f32 v[92:93], v[92:93], v[96:97]
	v_pk_fma_f32 v[96:97], v[118:119], v[102:103], v[90:91] op_sel_hi:[1,0,1]
	v_pk_fma_f32 v[90:91], v[118:119], v[102:103], v[90:91] neg_lo:[0,0,1] neg_hi:[0,0,1]
	v_pk_mul_f32 v[94:95], v[142:143], v[94:95] op_sel_hi:[1,0]
	s_delay_alu instid0(VALU_DEP_4) | instskip(SKIP_3) | instid1(VALU_DEP_4)
	v_pk_add_f32 v[92:93], v[92:93], v[98:99]
	v_pk_fma_f32 v[98:99], v[120:121], v[104:105], v[130:131] op_sel_hi:[1,0,1]
	v_mov_b32_e32 v91, v97
	v_pk_fma_f32 v[96:97], v[120:121], v[104:105], v[130:131] neg_lo:[0,0,1] neg_hi:[0,0,1]
	v_pk_add_f32 v[88:89], v[92:93], v[88:89]
	s_wait_loadcnt 0x1
	v_pk_mul_f32 v[92:93], v[124:125], v[108:109] op_sel:[1,1] op_sel_hi:[0,1]
	v_mov_b32_e32 v97, v99
	v_pk_fma_f32 v[98:99], v[122:123], v[106:107], v[94:95] op_sel_hi:[1,0,1]
	v_pk_fma_f32 v[94:95], v[122:123], v[106:107], v[94:95] neg_lo:[0,0,1] neg_hi:[0,0,1]
	v_pk_add_f32 v[88:89], v[88:89], v[90:91]
	v_mov_b32_e32 v90, v111
	v_pk_fma_f32 v[100:101], v[124:125], v[108:109], v[92:93] op_sel_hi:[1,0,1]
	v_mov_b32_e32 v95, v99
	v_pk_fma_f32 v[92:93], v[124:125], v[108:109], v[92:93] neg_lo:[0,0,1] neg_hi:[0,0,1]
	v_pk_add_f32 v[88:89], v[88:89], v[96:97]
	v_pk_mul_f32 v[90:91], v[144:145], v[90:91] op_sel_hi:[1,0]
	s_delay_alu instid0(VALU_DEP_2) | instskip(NEXT) | instid1(VALU_DEP_2)
	v_pk_add_f32 v[88:89], v[88:89], v[94:95]
	v_pk_fma_f32 v[94:95], v[126:127], v[110:111], v[90:91] op_sel_hi:[1,0,1]
	v_mov_b32_e32 v93, v101
	v_pk_fma_f32 v[90:91], v[126:127], v[110:111], v[90:91] neg_lo:[0,0,1] neg_hi:[0,0,1]
	s_delay_alu instid0(VALU_DEP_3) | instskip(NEXT) | instid1(VALU_DEP_3)
	v_mov_b32_e32 v91, v95
	v_pk_add_f32 v[88:89], v[88:89], v[92:93]
	s_delay_alu instid0(VALU_DEP_1) | instskip(SKIP_1) | instid1(VALU_DEP_1)
	v_pk_add_f32 v[88:89], v[88:89], v[90:91]
	s_wait_loadcnt 0x0
	v_pk_add_f32 v[88:89], v[136:137], v[88:89] neg_lo:[0,1] neg_hi:[0,1]
	scratch_store_b64 off, v[88:89], off offset:240
	s_wait_xcnt 0x0
	v_cmpx_lt_u32_e32 29, v0
	s_cbranch_execz .LBB42_213
; %bb.212:
	scratch_load_b64 v[88:89], off, off offset:232
	v_mov_b64_e32 v[90:91], 0
	scratch_store_b64 off, v[90:91], off offset:232
	s_wait_loadcnt 0x0
	ds_store_b64 v1, v[88:89]
.LBB42_213:
	s_wait_xcnt 0x0
	s_or_b32 exec_lo, exec_lo, s0
	s_wait_storecnt_dscnt 0x0
	s_barrier_signal -1
	s_barrier_wait -1
	s_clause 0x7
	scratch_load_b128 v[88:91], off, off offset:240
	scratch_load_b128 v[92:95], off, off offset:256
	;; [unrolled: 1-line block ×6, first 2 shown]
	scratch_load_b64 v[136:137], off, off offset:336
	scratch_load_b64 v[138:139], off, off offset:232
	v_mov_b32_e32 v3, 0
	ds_load_b128 v[112:115], v3 offset:624
	ds_load_b128 v[116:119], v3 offset:640
	;; [unrolled: 1-line block ×6, first 2 shown]
	ds_load_b64 v[140:141], v3 offset:688
	s_mov_b32 s0, exec_lo
	s_wait_dscnt 0x6
	v_dual_mov_b32 v142, v115 :: v_dual_mov_b32 v143, v114
	s_wait_dscnt 0x3
	v_dual_mov_b32 v144, v119 :: v_dual_mov_b32 v149, v126
	v_dual_mov_b32 v145, v118 :: v_dual_mov_b32 v146, v123
	;; [unrolled: 1-line block ×3, first 2 shown]
	s_wait_loadcnt_dscnt 0x702
	v_dual_mul_f32 v7, v128, v89 :: v_dual_mul_f32 v15, v129, v89
	v_dual_mul_f32 v17, v131, v91 :: v_dual_mul_f32 v11, v130, v91
	s_wait_loadcnt_dscnt 0x601
	s_delay_alu instid0(VALU_DEP_2) | instskip(NEXT) | instid1(VALU_DEP_2)
	v_dual_mul_f32 v13, v132, v93 :: v_dual_fmac_f32 v7, v129, v88
	v_dual_fma_f32 v15, v128, v88, -v15 :: v_dual_fma_f32 v17, v130, v90, -v17
	s_wait_loadcnt 0x5
	v_dual_mul_f32 v151, v134, v95 :: v_dual_mul_f32 v153, v112, v97
	v_dual_mul_f32 v19, v133, v93 :: v_dual_mul_f32 v21, v135, v95
	v_dual_mul_f32 v23, v113, v97 :: v_dual_mov_b32 v152, v99
	s_wait_loadcnt 0x4
	v_mov_b32_e32 v88, v103
	v_dual_fmac_f32 v11, v131, v90 :: v_dual_add_f32 v7, 0, v7
	v_dual_add_f32 v15, 0, v15 :: v_dual_fmac_f32 v13, v133, v92
	v_fma_f32 v19, v132, v92, -v19
	v_pk_mul_f32 v[92:93], v[142:143], v[152:153] op_sel_hi:[1,0]
	s_delay_alu instid0(VALU_DEP_4) | instskip(NEXT) | instid1(VALU_DEP_4)
	v_add_f32_e32 v7, v7, v11
	v_dual_add_f32 v11, v15, v17 :: v_dual_fma_f32 v150, v134, v94, -v21
	v_dual_fmac_f32 v151, v135, v94 :: v_dual_fmac_f32 v153, v113, v96
	s_delay_alu instid0(VALU_DEP_3) | instskip(SKIP_1) | instid1(VALU_DEP_4)
	v_dual_add_f32 v95, v7, v13 :: v_dual_fma_f32 v152, v112, v96, -v23
	v_pk_fma_f32 v[96:97], v[114:115], v[98:99], v[92:93] op_sel_hi:[1,0,1]
	v_add_f32_e32 v94, v11, v19
	v_pk_fma_f32 v[92:93], v[114:115], v[98:99], v[92:93] neg_lo:[0,0,1] neg_hi:[0,0,1]
	v_pk_mul_f32 v[154:155], v[116:117], v[100:101] op_sel:[1,1] op_sel_hi:[0,1]
	v_pk_mul_f32 v[88:89], v[144:145], v[88:89] op_sel_hi:[1,0]
	v_mov_b32_e32 v93, v97
	v_pk_add_f32 v[94:95], v[94:95], v[150:151]
	s_wait_loadcnt 0x3
	v_pk_mul_f32 v[90:91], v[120:121], v[104:105] op_sel:[1,1] op_sel_hi:[0,1]
	v_pk_fma_f32 v[112:113], v[116:117], v[100:101], v[154:155] op_sel_hi:[1,0,1]
	v_pk_fma_f32 v[98:99], v[116:117], v[100:101], v[154:155] neg_lo:[0,0,1] neg_hi:[0,0,1]
	v_mov_b32_e32 v128, v107
	v_pk_add_f32 v[94:95], v[94:95], v[152:153]
	v_pk_fma_f32 v[100:101], v[118:119], v[102:103], v[88:89] op_sel_hi:[1,0,1]
	v_mov_b32_e32 v99, v113
	v_pk_fma_f32 v[88:89], v[118:119], v[102:103], v[88:89] neg_lo:[0,0,1] neg_hi:[0,0,1]
	v_pk_mul_f32 v[112:113], v[146:147], v[128:129] op_sel_hi:[1,0]
	v_pk_add_f32 v[92:93], v[94:95], v[92:93]
	v_pk_fma_f32 v[94:95], v[120:121], v[104:105], v[90:91] op_sel_hi:[1,0,1]
	s_wait_loadcnt 0x2
	v_dual_mov_b32 v89, v101 :: v_dual_mov_b32 v94, v111
	v_pk_fma_f32 v[90:91], v[120:121], v[104:105], v[90:91] neg_lo:[0,0,1] neg_hi:[0,0,1]
	v_pk_add_f32 v[92:93], v[92:93], v[98:99]
	v_pk_mul_f32 v[96:97], v[124:125], v[108:109] op_sel:[1,1] op_sel_hi:[0,1]
	v_pk_fma_f32 v[98:99], v[122:123], v[106:107], v[112:113] op_sel_hi:[1,0,1]
	v_mov_b32_e32 v91, v95
	v_pk_fma_f32 v[100:101], v[122:123], v[106:107], v[112:113] neg_lo:[0,0,1] neg_hi:[0,0,1]
	v_pk_add_f32 v[88:89], v[92:93], v[88:89]
	v_pk_fma_f32 v[92:93], v[124:125], v[108:109], v[96:97] op_sel_hi:[1,0,1]
	v_pk_mul_f32 v[94:95], v[148:149], v[94:95] op_sel_hi:[1,0]
	v_mov_b32_e32 v101, v99
	s_delay_alu instid0(VALU_DEP_4)
	v_pk_add_f32 v[88:89], v[88:89], v[90:91]
	v_pk_fma_f32 v[90:91], v[124:125], v[108:109], v[96:97] neg_lo:[0,0,1] neg_hi:[0,0,1]
	v_mov_b32_e32 v91, v93
	v_pk_fma_f32 v[92:93], v[126:127], v[110:111], v[94:95] op_sel_hi:[1,0,1]
	s_wait_loadcnt_dscnt 0x100
	v_pk_mul_f32 v[96:97], v[140:141], v[136:137] op_sel:[1,1] op_sel_hi:[0,1]
	v_pk_add_f32 v[88:89], v[88:89], v[100:101]
	v_pk_fma_f32 v[94:95], v[126:127], v[110:111], v[94:95] neg_lo:[0,0,1] neg_hi:[0,0,1]
	v_mov_b32_e32 v95, v93
	s_delay_alu instid0(VALU_DEP_4) | instskip(NEXT) | instid1(VALU_DEP_4)
	v_pk_fma_f32 v[92:93], v[140:141], v[136:137], v[96:97] neg_lo:[0,0,1] neg_hi:[0,0,1]
	v_pk_add_f32 v[88:89], v[88:89], v[90:91]
	v_pk_fma_f32 v[90:91], v[140:141], v[136:137], v[96:97] op_sel_hi:[1,0,1]
	s_delay_alu instid0(VALU_DEP_2) | instskip(NEXT) | instid1(VALU_DEP_2)
	v_pk_add_f32 v[88:89], v[88:89], v[94:95]
	v_mov_b32_e32 v93, v91
	s_delay_alu instid0(VALU_DEP_1) | instskip(SKIP_1) | instid1(VALU_DEP_1)
	v_pk_add_f32 v[88:89], v[88:89], v[92:93]
	s_wait_loadcnt 0x0
	v_pk_add_f32 v[88:89], v[138:139], v[88:89] neg_lo:[0,1] neg_hi:[0,1]
	scratch_store_b64 off, v[88:89], off offset:232
	s_wait_xcnt 0x0
	v_cmpx_lt_u32_e32 28, v0
	s_cbranch_execz .LBB42_215
; %bb.214:
	scratch_load_b64 v[88:89], off, off offset:224
	v_mov_b64_e32 v[90:91], 0
	scratch_store_b64 off, v[90:91], off offset:224
	s_wait_loadcnt 0x0
	ds_store_b64 v1, v[88:89]
.LBB42_215:
	s_wait_xcnt 0x0
	s_or_b32 exec_lo, exec_lo, s0
	s_wait_storecnt_dscnt 0x0
	s_barrier_signal -1
	s_barrier_wait -1
	s_clause 0x7
	scratch_load_b128 v[88:91], off, off offset:232
	scratch_load_b128 v[92:95], off, off offset:248
	;; [unrolled: 1-line block ×7, first 2 shown]
	scratch_load_b64 v[144:145], off, off offset:224
	ds_load_2addr_b64 v[116:119], v3 offset0:79 offset1:80
	ds_load_2addr_b64 v[120:123], v3 offset0:81 offset1:82
	;; [unrolled: 1-line block ×7, first 2 shown]
	s_mov_b32 s0, exec_lo
	s_wait_dscnt 0x6
	v_dual_mov_b32 v146, v119 :: v_dual_mov_b32 v147, v118
	s_wait_dscnt 0x5
	v_dual_mov_b32 v148, v123 :: v_dual_mov_b32 v149, v122
	;; [unrolled: 2-line block ×4, first 2 shown]
	s_wait_loadcnt_dscnt 0x702
	v_dual_mul_f32 v3, v132, v89 :: v_dual_mul_f32 v7, v134, v91
	v_dual_mul_f32 v15, v133, v89 :: v_dual_mul_f32 v17, v135, v91
	s_wait_loadcnt_dscnt 0x601
	v_dual_mul_f32 v11, v136, v93 :: v_dual_mul_f32 v13, v138, v95
	s_delay_alu instid0(VALU_DEP_3) | instskip(SKIP_2) | instid1(VALU_DEP_3)
	v_fmac_f32_e32 v3, v133, v88
	v_dual_mul_f32 v19, v137, v93 :: v_dual_mul_f32 v21, v139, v95
	v_dual_fma_f32 v17, v134, v90, -v17 :: v_dual_fma_f32 v15, v132, v88, -v15
	v_dual_add_f32 v3, 0, v3 :: v_dual_fmac_f32 v7, v135, v90
	s_wait_loadcnt 0x4
	v_dual_mov_b32 v90, v103 :: v_dual_fmac_f32 v11, v137, v92
	s_delay_alu instid0(VALU_DEP_3) | instskip(SKIP_2) | instid1(VALU_DEP_2)
	v_dual_add_f32 v15, 0, v15 :: v_dual_fma_f32 v19, v136, v92, -v19
	s_wait_dscnt 0x0
	v_dual_add_f32 v3, v3, v7 :: v_dual_mul_f32 v155, v140, v97
	v_dual_mul_f32 v157, v142, v99 :: v_dual_add_f32 v7, v15, v17
	v_dual_fma_f32 v15, v138, v94, -v21 :: v_dual_mul_f32 v23, v141, v97
	v_mul_f32_e32 v25, v143, v99
	v_pk_mul_f32 v[88:89], v[116:117], v[100:101] op_sel:[1,1] op_sel_hi:[0,1]
	s_wait_loadcnt 0x3
	v_pk_mul_f32 v[92:93], v[120:121], v[104:105] op_sel:[1,1] op_sel_hi:[0,1]
	v_dual_fmac_f32 v13, v139, v94 :: v_dual_fmac_f32 v155, v141, v96
	v_dual_add_f32 v3, v3, v11 :: v_dual_fma_f32 v154, v140, v96, -v23
	v_dual_add_f32 v7, v7, v19 :: v_dual_fma_f32 v156, v142, v98, -v25
	v_fmac_f32_e32 v157, v143, v98
	v_pk_fma_f32 v[98:99], v[116:117], v[100:101], v[88:89] op_sel_hi:[1,0,1]
	v_pk_fma_f32 v[88:89], v[116:117], v[100:101], v[88:89] neg_lo:[0,0,1] neg_hi:[0,0,1]
	s_delay_alu instid0(VALU_DEP_4)
	v_add_f32_e32 v96, v7, v15
	v_pk_fma_f32 v[100:101], v[120:121], v[104:105], v[92:93] op_sel_hi:[1,0,1]
	v_add_f32_e32 v97, v3, v13
	v_pk_fma_f32 v[92:93], v[120:121], v[104:105], v[92:93] neg_lo:[0,0,1] neg_hi:[0,0,1]
	v_pk_mul_f32 v[90:91], v[146:147], v[90:91] op_sel_hi:[1,0]
	v_dual_mov_b32 v94, v107 :: v_dual_mov_b32 v89, v99
	v_mov_b32_e32 v93, v101
	v_pk_add_f32 v[96:97], v[96:97], v[154:155]
	s_delay_alu instid0(VALU_DEP_4)
	v_pk_fma_f32 v[98:99], v[118:119], v[102:103], v[90:91] op_sel_hi:[1,0,1]
	v_pk_fma_f32 v[90:91], v[118:119], v[102:103], v[90:91] neg_lo:[0,0,1] neg_hi:[0,0,1]
	v_pk_mul_f32 v[94:95], v[148:149], v[94:95] op_sel_hi:[1,0]
	s_wait_loadcnt 0x2
	v_pk_mul_f32 v[132:133], v[124:125], v[108:109] op_sel:[1,1] op_sel_hi:[0,1]
	v_pk_add_f32 v[96:97], v[96:97], v[156:157]
	v_mov_b32_e32 v91, v99
	v_pk_fma_f32 v[98:99], v[122:123], v[106:107], v[94:95] op_sel_hi:[1,0,1]
	v_pk_fma_f32 v[94:95], v[122:123], v[106:107], v[94:95] neg_lo:[0,0,1] neg_hi:[0,0,1]
	s_delay_alu instid0(VALU_DEP_4) | instskip(SKIP_1) | instid1(VALU_DEP_2)
	v_pk_add_f32 v[88:89], v[96:97], v[88:89]
	v_mov_b32_e32 v96, v111
	v_pk_add_f32 v[88:89], v[88:89], v[90:91]
	v_pk_fma_f32 v[90:91], v[124:125], v[108:109], v[132:133] op_sel_hi:[1,0,1]
	s_delay_alu instid0(VALU_DEP_3)
	v_pk_mul_f32 v[96:97], v[150:151], v[96:97] op_sel_hi:[1,0]
	v_mov_b32_e32 v95, v99
	v_pk_fma_f32 v[98:99], v[124:125], v[108:109], v[132:133] neg_lo:[0,0,1] neg_hi:[0,0,1]
	v_pk_add_f32 v[88:89], v[88:89], v[92:93]
	v_mov_b32_e32 v99, v91
	v_pk_fma_f32 v[90:91], v[126:127], v[110:111], v[96:97] op_sel_hi:[1,0,1]
	s_wait_loadcnt 0x1
	v_pk_mul_f32 v[92:93], v[128:129], v[112:113] op_sel:[1,1] op_sel_hi:[0,1]
	v_mov_b32_e32 v90, v115
	v_pk_add_f32 v[88:89], v[88:89], v[94:95]
	v_pk_fma_f32 v[96:97], v[126:127], v[110:111], v[96:97] neg_lo:[0,0,1] neg_hi:[0,0,1]
	v_mov_b32_e32 v97, v91
	v_pk_fma_f32 v[94:95], v[128:129], v[112:113], v[92:93] op_sel_hi:[1,0,1]
	v_pk_mul_f32 v[90:91], v[152:153], v[90:91] op_sel_hi:[1,0]
	v_pk_add_f32 v[88:89], v[88:89], v[98:99]
	v_pk_fma_f32 v[92:93], v[128:129], v[112:113], v[92:93] neg_lo:[0,0,1] neg_hi:[0,0,1]
	s_delay_alu instid0(VALU_DEP_4) | instskip(NEXT) | instid1(VALU_DEP_4)
	v_mov_b32_e32 v93, v95
	v_pk_fma_f32 v[94:95], v[130:131], v[114:115], v[90:91] op_sel_hi:[1,0,1]
	s_delay_alu instid0(VALU_DEP_4) | instskip(SKIP_1) | instid1(VALU_DEP_3)
	v_pk_add_f32 v[88:89], v[88:89], v[96:97]
	v_pk_fma_f32 v[90:91], v[130:131], v[114:115], v[90:91] neg_lo:[0,0,1] neg_hi:[0,0,1]
	v_mov_b32_e32 v91, v95
	s_delay_alu instid0(VALU_DEP_3) | instskip(NEXT) | instid1(VALU_DEP_1)
	v_pk_add_f32 v[88:89], v[88:89], v[92:93]
	v_pk_add_f32 v[88:89], v[88:89], v[90:91]
	s_wait_loadcnt 0x0
	s_delay_alu instid0(VALU_DEP_1)
	v_pk_add_f32 v[88:89], v[144:145], v[88:89] neg_lo:[0,1] neg_hi:[0,1]
	scratch_store_b64 off, v[88:89], off offset:224
	s_wait_xcnt 0x0
	v_cmpx_lt_u32_e32 27, v0
	s_cbranch_execz .LBB42_217
; %bb.216:
	scratch_load_b64 v[88:89], off, off offset:216
	v_mov_b64_e32 v[90:91], 0
	scratch_store_b64 off, v[90:91], off offset:216
	s_wait_loadcnt 0x0
	ds_store_b64 v1, v[88:89]
.LBB42_217:
	s_wait_xcnt 0x0
	s_or_b32 exec_lo, exec_lo, s0
	s_wait_storecnt_dscnt 0x0
	s_barrier_signal -1
	s_barrier_wait -1
	s_clause 0x8
	scratch_load_b128 v[88:91], off, off offset:224
	scratch_load_b128 v[92:95], off, off offset:240
	;; [unrolled: 1-line block ×7, first 2 shown]
	scratch_load_b64 v[144:145], off, off offset:336
	scratch_load_b64 v[146:147], off, off offset:216
	v_mov_b32_e32 v3, 0
	ds_load_b128 v[116:119], v3 offset:624
	ds_load_b128 v[120:123], v3 offset:640
	ds_load_b128 v[124:127], v3 offset:656
	ds_load_b128 v[128:131], v3 offset:672
	ds_load_b128 v[132:135], v3 offset:576
	ds_load_b128 v[136:139], v3 offset:592
	ds_load_b128 v[140:143], v3 offset:608
	ds_load_b64 v[148:149], v3 offset:688
	s_mov_b32 s0, exec_lo
	s_wait_dscnt 0x7
	v_dual_mov_b32 v150, v119 :: v_dual_mov_b32 v151, v118
	s_wait_dscnt 0x4
	v_dual_mov_b32 v152, v123 :: v_dual_mov_b32 v157, v130
	v_dual_mov_b32 v153, v122 :: v_dual_mov_b32 v154, v127
	;; [unrolled: 1-line block ×3, first 2 shown]
	s_wait_loadcnt_dscnt 0x803
	v_dual_mul_f32 v7, v132, v89 :: v_dual_mul_f32 v19, v133, v89
	v_dual_mul_f32 v21, v135, v91 :: v_dual_mul_f32 v11, v134, v91
	s_wait_loadcnt_dscnt 0x702
	v_mul_f32_e32 v13, v136, v93
	s_wait_loadcnt 0x5
	v_dual_mul_f32 v31, v117, v101 :: v_dual_fma_f32 v19, v132, v88, -v19
	v_dual_fmac_f32 v7, v133, v88 :: v_dual_mov_b32 v88, v103
	v_dual_mul_f32 v23, v137, v93 :: v_dual_mul_f32 v25, v139, v95
	v_dual_fmac_f32 v11, v135, v90 :: v_dual_fma_f32 v21, v134, v90, -v21
	s_delay_alu instid0(VALU_DEP_3) | instskip(NEXT) | instid1(VALU_DEP_3)
	v_dual_add_f32 v7, 0, v7 :: v_dual_fmac_f32 v13, v137, v92
	v_dual_add_f32 v19, 0, v19 :: v_dual_fma_f32 v23, v136, v92, -v23
	s_wait_dscnt 0x1
	v_dual_mul_f32 v15, v138, v95 :: v_dual_mul_f32 v17, v140, v97
	s_delay_alu instid0(VALU_DEP_3) | instskip(NEXT) | instid1(VALU_DEP_3)
	v_add_f32_e32 v7, v7, v11
	v_dual_add_f32 v11, v19, v21 :: v_dual_mul_f32 v159, v142, v99
	v_mul_f32_e32 v161, v116, v101
	v_dual_mul_f32 v27, v141, v97 :: v_dual_mul_f32 v29, v143, v99
	s_wait_loadcnt 0x4
	v_pk_mul_f32 v[90:91], v[120:121], v[104:105] op_sel:[1,1] op_sel_hi:[0,1]
	s_delay_alu instid0(VALU_DEP_3)
	v_dual_fmac_f32 v15, v139, v94 :: v_dual_fmac_f32 v161, v117, v100
	v_dual_fma_f32 v19, v138, v94, -v25 :: v_dual_add_f32 v7, v7, v13
	v_fma_f32 v158, v142, v98, -v29
	v_dual_fmac_f32 v17, v141, v96 :: v_dual_add_f32 v11, v11, v23
	v_fma_f32 v160, v116, v100, -v31
	v_pk_mul_f32 v[88:89], v[150:151], v[88:89] op_sel_hi:[1,0]
	v_dual_mov_b32 v92, v107 :: v_dual_fma_f32 v13, v140, v96, -v27
	v_pk_fma_f32 v[116:117], v[120:121], v[104:105], v[90:91] op_sel_hi:[1,0,1]
	v_add_f32_e32 v11, v11, v19
	s_delay_alu instid0(VALU_DEP_4) | instskip(SKIP_3) | instid1(VALU_DEP_4)
	v_pk_fma_f32 v[100:101], v[118:119], v[102:103], v[88:89] op_sel_hi:[1,0,1]
	v_add_f32_e32 v7, v7, v15
	v_pk_fma_f32 v[88:89], v[118:119], v[102:103], v[88:89] neg_lo:[0,0,1] neg_hi:[0,0,1]
	v_pk_fma_f32 v[90:91], v[120:121], v[104:105], v[90:91] neg_lo:[0,0,1] neg_hi:[0,0,1]
	v_dual_fmac_f32 v159, v143, v98 :: v_dual_mov_b32 v89, v101
	s_delay_alu instid0(VALU_DEP_4)
	v_dual_add_f32 v97, v7, v17 :: v_dual_mov_b32 v91, v117
	v_add_f32_e32 v96, v11, v13
	v_pk_mul_f32 v[92:93], v[152:153], v[92:93] op_sel_hi:[1,0]
	s_wait_loadcnt 0x3
	v_pk_mul_f32 v[94:95], v[124:125], v[108:109] op_sel:[1,1] op_sel_hi:[0,1]
	s_wait_loadcnt 0x2
	v_pk_mul_f32 v[100:101], v[128:129], v[112:113] op_sel:[1,1] op_sel_hi:[0,1]
	v_pk_add_f32 v[96:97], v[96:97], v[158:159]
	v_pk_fma_f32 v[102:103], v[122:123], v[106:107], v[92:93] op_sel_hi:[1,0,1]
	v_mov_b32_e32 v98, v111
	v_pk_fma_f32 v[92:93], v[122:123], v[106:107], v[92:93] neg_lo:[0,0,1] neg_hi:[0,0,1]
	s_delay_alu instid0(VALU_DEP_4) | instskip(NEXT) | instid1(VALU_DEP_4)
	v_pk_add_f32 v[96:97], v[96:97], v[160:161]
	v_mov_b32_e32 v93, v103
	s_delay_alu instid0(VALU_DEP_4) | instskip(NEXT) | instid1(VALU_DEP_3)
	v_pk_mul_f32 v[98:99], v[154:155], v[98:99] op_sel_hi:[1,0]
	v_pk_add_f32 v[88:89], v[96:97], v[88:89]
	v_pk_fma_f32 v[96:97], v[124:125], v[108:109], v[94:95] op_sel_hi:[1,0,1]
	v_pk_fma_f32 v[94:95], v[124:125], v[108:109], v[94:95] neg_lo:[0,0,1] neg_hi:[0,0,1]
	s_delay_alu instid0(VALU_DEP_3) | instskip(NEXT) | instid1(VALU_DEP_3)
	v_pk_add_f32 v[88:89], v[88:89], v[90:91]
	v_dual_mov_b32 v90, v115 :: v_dual_mov_b32 v95, v97
	v_pk_fma_f32 v[96:97], v[126:127], v[110:111], v[98:99] op_sel_hi:[1,0,1]
	v_pk_fma_f32 v[98:99], v[126:127], v[110:111], v[98:99] neg_lo:[0,0,1] neg_hi:[0,0,1]
	s_delay_alu instid0(VALU_DEP_4)
	v_pk_add_f32 v[88:89], v[88:89], v[92:93]
	v_pk_fma_f32 v[92:93], v[128:129], v[112:113], v[100:101] op_sel_hi:[1,0,1]
	v_pk_mul_f32 v[90:91], v[156:157], v[90:91] op_sel_hi:[1,0]
	v_mov_b32_e32 v99, v97
	s_wait_loadcnt_dscnt 0x100
	v_pk_mul_f32 v[96:97], v[148:149], v[144:145] op_sel:[1,1] op_sel_hi:[0,1]
	v_pk_add_f32 v[88:89], v[88:89], v[94:95]
	v_pk_fma_f32 v[94:95], v[128:129], v[112:113], v[100:101] neg_lo:[0,0,1] neg_hi:[0,0,1]
	v_mov_b32_e32 v95, v93
	v_pk_fma_f32 v[92:93], v[130:131], v[114:115], v[90:91] op_sel_hi:[1,0,1]
	v_pk_fma_f32 v[90:91], v[130:131], v[114:115], v[90:91] neg_lo:[0,0,1] neg_hi:[0,0,1]
	v_pk_add_f32 v[88:89], v[88:89], v[98:99]
	s_delay_alu instid0(VALU_DEP_3) | instskip(SKIP_1) | instid1(VALU_DEP_3)
	v_mov_b32_e32 v91, v93
	v_pk_fma_f32 v[92:93], v[148:149], v[144:145], v[96:97] op_sel_hi:[1,0,1]
	v_pk_add_f32 v[88:89], v[88:89], v[94:95]
	v_pk_fma_f32 v[94:95], v[148:149], v[144:145], v[96:97] neg_lo:[0,0,1] neg_hi:[0,0,1]
	s_delay_alu instid0(VALU_DEP_3) | instskip(NEXT) | instid1(VALU_DEP_3)
	v_mov_b32_e32 v95, v93
	v_pk_add_f32 v[88:89], v[88:89], v[90:91]
	s_delay_alu instid0(VALU_DEP_1) | instskip(SKIP_1) | instid1(VALU_DEP_1)
	v_pk_add_f32 v[88:89], v[88:89], v[94:95]
	s_wait_loadcnt 0x0
	v_pk_add_f32 v[88:89], v[146:147], v[88:89] neg_lo:[0,1] neg_hi:[0,1]
	scratch_store_b64 off, v[88:89], off offset:216
	s_wait_xcnt 0x0
	v_cmpx_lt_u32_e32 26, v0
	s_cbranch_execz .LBB42_219
; %bb.218:
	scratch_load_b64 v[88:89], off, off offset:208
	v_mov_b64_e32 v[90:91], 0
	scratch_store_b64 off, v[90:91], off offset:208
	s_wait_loadcnt 0x0
	ds_store_b64 v1, v[88:89]
.LBB42_219:
	s_wait_xcnt 0x0
	s_or_b32 exec_lo, exec_lo, s0
	s_wait_storecnt_dscnt 0x0
	s_barrier_signal -1
	s_barrier_wait -1
	s_clause 0x8
	scratch_load_b128 v[88:91], off, off offset:216
	scratch_load_b128 v[92:95], off, off offset:232
	;; [unrolled: 1-line block ×8, first 2 shown]
	scratch_load_b64 v[152:153], off, off offset:208
	ds_load_2addr_b64 v[120:123], v3 offset0:79 offset1:80
	ds_load_2addr_b64 v[124:127], v3 offset0:81 offset1:82
	ds_load_2addr_b64 v[128:131], v3 offset0:83 offset1:84
	ds_load_2addr_b64 v[132:135], v3 offset0:85 offset1:86
	ds_load_2addr_b64 v[136:139], v3 offset0:71 offset1:72
	ds_load_2addr_b64 v[140:143], v3 offset0:73 offset1:74
	ds_load_2addr_b64 v[144:147], v3 offset0:75 offset1:76
	ds_load_2addr_b64 v[148:151], v3 offset0:77 offset1:78
	s_mov_b32 s0, exec_lo
	s_wait_dscnt 0x7
	v_dual_mov_b32 v154, v123 :: v_dual_mov_b32 v155, v122
	s_wait_dscnt 0x6
	v_dual_mov_b32 v156, v127 :: v_dual_mov_b32 v157, v126
	;; [unrolled: 2-line block ×4, first 2 shown]
	s_wait_loadcnt_dscnt 0x803
	v_dual_mul_f32 v3, v136, v89 :: v_dual_mul_f32 v7, v138, v91
	v_dual_mul_f32 v19, v137, v89 :: v_dual_mul_f32 v21, v139, v91
	s_wait_loadcnt_dscnt 0x702
	v_dual_mul_f32 v11, v140, v93 :: v_dual_mul_f32 v13, v142, v95
	s_delay_alu instid0(VALU_DEP_3)
	v_fmac_f32_e32 v3, v137, v88
	s_wait_loadcnt_dscnt 0x500
	v_dual_fma_f32 v19, v136, v88, -v19 :: v_dual_mul_f32 v31, v149, v101
	v_dual_mul_f32 v23, v141, v93 :: v_dual_mul_f32 v25, v143, v95
	v_dual_fma_f32 v21, v138, v90, -v21 :: v_dual_fmac_f32 v7, v139, v90
	v_add_f32_e32 v3, 0, v3
	s_delay_alu instid0(VALU_DEP_4) | instskip(SKIP_2) | instid1(VALU_DEP_4)
	v_dual_add_f32 v19, 0, v19 :: v_dual_fmac_f32 v11, v141, v92
	v_dual_mul_f32 v15, v144, v97 :: v_dual_mul_f32 v17, v146, v99
	v_dual_mul_f32 v33, v151, v103 :: v_dual_fma_f32 v23, v140, v92, -v23
	v_add_f32_e32 v3, v3, v7
	s_delay_alu instid0(VALU_DEP_3) | instskip(SKIP_4) | instid1(VALU_DEP_4)
	v_dual_add_f32 v7, v19, v21 :: v_dual_fmac_f32 v15, v145, v96
	v_dual_mul_f32 v163, v148, v101 :: v_dual_mul_f32 v165, v150, v103
	v_dual_mul_f32 v27, v145, v97 :: v_dual_mul_f32 v29, v147, v99
	v_fmac_f32_e32 v13, v143, v94
	v_dual_fma_f32 v19, v142, v94, -v25 :: v_dual_add_f32 v3, v3, v11
	v_dual_add_f32 v7, v7, v23 :: v_dual_fmac_f32 v163, v149, v100
	s_delay_alu instid0(VALU_DEP_4) | instskip(NEXT) | instid1(VALU_DEP_3)
	v_dual_fma_f32 v11, v144, v96, -v27 :: v_dual_fmac_f32 v17, v147, v98
	v_dual_add_f32 v3, v3, v13 :: v_dual_fma_f32 v162, v148, v100, -v31
	s_delay_alu instid0(VALU_DEP_3) | instskip(NEXT) | instid1(VALU_DEP_2)
	v_dual_add_f32 v7, v7, v19 :: v_dual_fma_f32 v164, v150, v102, -v33
	v_dual_fma_f32 v13, v146, v98, -v29 :: v_dual_add_f32 v3, v3, v15
	s_wait_loadcnt 0x4
	v_pk_mul_f32 v[88:89], v[120:121], v[104:105] op_sel:[1,1] op_sel_hi:[0,1]
	s_delay_alu instid0(VALU_DEP_3)
	v_add_f32_e32 v7, v7, v11
	s_wait_loadcnt 0x3
	v_dual_mov_b32 v90, v107 :: v_dual_mov_b32 v94, v111
	v_add_f32_e32 v97, v3, v17
	v_fmac_f32_e32 v165, v151, v102
	v_add_f32_e32 v96, v7, v13
	v_pk_fma_f32 v[98:99], v[120:121], v[104:105], v[88:89] op_sel_hi:[1,0,1]
	v_pk_mul_f32 v[90:91], v[154:155], v[90:91] op_sel_hi:[1,0]
	v_pk_fma_f32 v[88:89], v[120:121], v[104:105], v[88:89] neg_lo:[0,0,1] neg_hi:[0,0,1]
	v_pk_mul_f32 v[92:93], v[124:125], v[108:109] op_sel:[1,1] op_sel_hi:[0,1]
	v_pk_add_f32 v[96:97], v[96:97], v[162:163]
	v_mov_b32_e32 v89, v99
	v_pk_fma_f32 v[98:99], v[122:123], v[106:107], v[90:91] op_sel_hi:[1,0,1]
	v_pk_fma_f32 v[90:91], v[122:123], v[106:107], v[90:91] neg_lo:[0,0,1] neg_hi:[0,0,1]
	v_pk_fma_f32 v[102:103], v[124:125], v[108:109], v[92:93] op_sel_hi:[1,0,1]
	v_pk_add_f32 v[96:97], v[96:97], v[164:165]
	v_pk_mul_f32 v[94:95], v[156:157], v[94:95] op_sel_hi:[1,0]
	v_mov_b32_e32 v91, v99
	s_wait_loadcnt 0x2
	v_pk_mul_f32 v[100:101], v[128:129], v[112:113] op_sel:[1,1] op_sel_hi:[0,1]
	v_pk_fma_f32 v[92:93], v[124:125], v[108:109], v[92:93] neg_lo:[0,0,1] neg_hi:[0,0,1]
	v_pk_add_f32 v[88:89], v[96:97], v[88:89]
	v_dual_mov_b32 v96, v115 :: v_dual_mov_b32 v93, v103
	v_pk_fma_f32 v[98:99], v[126:127], v[110:111], v[94:95] op_sel_hi:[1,0,1]
	v_pk_fma_f32 v[94:95], v[126:127], v[110:111], v[94:95] neg_lo:[0,0,1] neg_hi:[0,0,1]
	s_delay_alu instid0(VALU_DEP_4)
	v_pk_add_f32 v[88:89], v[88:89], v[90:91]
	v_pk_fma_f32 v[90:91], v[128:129], v[112:113], v[100:101] op_sel_hi:[1,0,1]
	v_pk_mul_f32 v[96:97], v[158:159], v[96:97] op_sel_hi:[1,0]
	v_mov_b32_e32 v95, v99
	v_pk_fma_f32 v[98:99], v[128:129], v[112:113], v[100:101] neg_lo:[0,0,1] neg_hi:[0,0,1]
	v_pk_add_f32 v[88:89], v[88:89], v[92:93]
	v_mov_b32_e32 v99, v91
	v_pk_fma_f32 v[90:91], v[130:131], v[114:115], v[96:97] op_sel_hi:[1,0,1]
	s_wait_loadcnt 0x1
	v_pk_mul_f32 v[92:93], v[132:133], v[116:117] op_sel:[1,1] op_sel_hi:[0,1]
	v_mov_b32_e32 v90, v119
	v_pk_add_f32 v[88:89], v[88:89], v[94:95]
	v_pk_fma_f32 v[96:97], v[130:131], v[114:115], v[96:97] neg_lo:[0,0,1] neg_hi:[0,0,1]
	v_mov_b32_e32 v97, v91
	v_pk_fma_f32 v[94:95], v[132:133], v[116:117], v[92:93] op_sel_hi:[1,0,1]
	v_pk_mul_f32 v[90:91], v[160:161], v[90:91] op_sel_hi:[1,0]
	v_pk_add_f32 v[88:89], v[88:89], v[98:99]
	v_pk_fma_f32 v[92:93], v[132:133], v[116:117], v[92:93] neg_lo:[0,0,1] neg_hi:[0,0,1]
	s_delay_alu instid0(VALU_DEP_4) | instskip(NEXT) | instid1(VALU_DEP_4)
	v_mov_b32_e32 v93, v95
	v_pk_fma_f32 v[94:95], v[134:135], v[118:119], v[90:91] op_sel_hi:[1,0,1]
	s_delay_alu instid0(VALU_DEP_4) | instskip(SKIP_1) | instid1(VALU_DEP_3)
	v_pk_add_f32 v[88:89], v[88:89], v[96:97]
	v_pk_fma_f32 v[90:91], v[134:135], v[118:119], v[90:91] neg_lo:[0,0,1] neg_hi:[0,0,1]
	v_mov_b32_e32 v91, v95
	s_delay_alu instid0(VALU_DEP_3) | instskip(NEXT) | instid1(VALU_DEP_1)
	v_pk_add_f32 v[88:89], v[88:89], v[92:93]
	v_pk_add_f32 v[88:89], v[88:89], v[90:91]
	s_wait_loadcnt 0x0
	s_delay_alu instid0(VALU_DEP_1)
	v_pk_add_f32 v[88:89], v[152:153], v[88:89] neg_lo:[0,1] neg_hi:[0,1]
	scratch_store_b64 off, v[88:89], off offset:208
	s_wait_xcnt 0x0
	v_cmpx_lt_u32_e32 25, v0
	s_cbranch_execz .LBB42_221
; %bb.220:
	scratch_load_b64 v[88:89], off, off offset:200
	v_mov_b64_e32 v[90:91], 0
	scratch_store_b64 off, v[90:91], off offset:200
	s_wait_loadcnt 0x0
	ds_store_b64 v1, v[88:89]
.LBB42_221:
	s_wait_xcnt 0x0
	s_or_b32 exec_lo, exec_lo, s0
	s_wait_storecnt_dscnt 0x0
	s_barrier_signal -1
	s_barrier_wait -1
	s_clause 0x9
	scratch_load_b128 v[88:91], off, off offset:208
	scratch_load_b128 v[92:95], off, off offset:224
	;; [unrolled: 1-line block ×8, first 2 shown]
	scratch_load_b64 v[152:153], off, off offset:336
	scratch_load_b64 v[154:155], off, off offset:200
	v_mov_b32_e32 v3, 0
	ds_load_b128 v[120:123], v3 offset:624
	ds_load_b128 v[124:127], v3 offset:640
	;; [unrolled: 1-line block ×8, first 2 shown]
	ds_load_b64 v[156:157], v3 offset:688
	s_mov_b32 s0, exec_lo
	s_wait_dscnt 0x8
	v_dual_mov_b32 v158, v123 :: v_dual_mov_b32 v159, v122
	s_wait_dscnt 0x5
	v_dual_mov_b32 v160, v127 :: v_dual_mov_b32 v165, v134
	v_dual_mov_b32 v161, v126 :: v_dual_mov_b32 v162, v131
	;; [unrolled: 1-line block ×3, first 2 shown]
	s_wait_loadcnt_dscnt 0x904
	v_dual_mul_f32 v7, v136, v89 :: v_dual_mul_f32 v23, v137, v89
	v_dual_mul_f32 v25, v139, v91 :: v_dual_mul_f32 v11, v138, v91
	s_wait_loadcnt_dscnt 0x803
	v_mul_f32_e32 v13, v140, v93
	s_wait_loadcnt_dscnt 0x601
	v_dual_mul_f32 v35, v149, v101 :: v_dual_fma_f32 v23, v136, v88, -v23
	v_dual_fmac_f32 v7, v137, v88 :: v_dual_mul_f32 v37, v151, v103
	v_dual_mul_f32 v27, v141, v93 :: v_dual_mul_f32 v29, v143, v95
	v_dual_fmac_f32 v11, v139, v90 :: v_dual_fma_f32 v25, v138, v90, -v25
	s_wait_loadcnt 0x5
	s_delay_alu instid0(VALU_DEP_3) | instskip(SKIP_2) | instid1(VALU_DEP_3)
	v_dual_add_f32 v7, 0, v7 :: v_dual_mul_f32 v39, v121, v105
	v_dual_add_f32 v23, 0, v23 :: v_dual_fmac_f32 v13, v141, v92
	v_dual_mul_f32 v15, v142, v95 :: v_dual_mul_f32 v17, v144, v97
	v_dual_fma_f32 v27, v140, v92, -v27 :: v_dual_add_f32 v7, v7, v11
	s_delay_alu instid0(VALU_DEP_3) | instskip(SKIP_3) | instid1(VALU_DEP_3)
	v_dual_add_f32 v11, v23, v25 :: v_dual_fma_f32 v23, v142, v94, -v29
	v_dual_mul_f32 v19, v146, v99 :: v_dual_mul_f32 v21, v148, v101
	v_dual_mul_f32 v31, v145, v97 :: v_dual_mul_f32 v33, v147, v99
	v_dual_mov_b32 v88, v107 :: v_dual_fmac_f32 v17, v145, v96
	v_dual_fmac_f32 v15, v143, v94 :: v_dual_fmac_f32 v21, v149, v100
	s_delay_alu instid0(VALU_DEP_3) | instskip(SKIP_1) | instid1(VALU_DEP_4)
	v_dual_add_f32 v7, v7, v13 :: v_dual_fma_f32 v13, v144, v96, -v31
	v_add_f32_e32 v11, v11, v27
	v_pk_mul_f32 v[88:89], v[158:159], v[88:89] op_sel_hi:[1,0]
	v_dual_mul_f32 v167, v150, v103 :: v_dual_mul_f32 v169, v120, v105
	s_delay_alu instid0(VALU_DEP_4) | instskip(NEXT) | instid1(VALU_DEP_4)
	v_dual_add_f32 v7, v7, v15 :: v_dual_fma_f32 v15, v146, v98, -v33
	v_dual_add_f32 v11, v11, v23 :: v_dual_fma_f32 v166, v150, v102, -v37
	s_delay_alu instid0(VALU_DEP_3) | instskip(NEXT) | instid1(VALU_DEP_2)
	v_dual_fmac_f32 v19, v147, v98 :: v_dual_fmac_f32 v169, v121, v104
	v_dual_fma_f32 v168, v120, v104, -v39 :: v_dual_add_f32 v11, v11, v13
	s_delay_alu instid0(VALU_DEP_4)
	v_dual_fma_f32 v13, v148, v100, -v35 :: v_dual_add_f32 v7, v7, v17
	v_pk_fma_f32 v[100:101], v[122:123], v[106:107], v[88:89] op_sel_hi:[1,0,1]
	v_pk_fma_f32 v[88:89], v[122:123], v[106:107], v[88:89] neg_lo:[0,0,1] neg_hi:[0,0,1]
	v_fmac_f32_e32 v167, v151, v102
	s_wait_loadcnt 0x4
	v_pk_mul_f32 v[90:91], v[124:125], v[108:109] op_sel:[1,1] op_sel_hi:[0,1]
	v_dual_add_f32 v7, v7, v19 :: v_dual_mov_b32 v89, v101
	v_add_f32_e32 v11, v11, v15
	s_wait_loadcnt 0x3
	v_dual_mov_b32 v92, v111 :: v_dual_mov_b32 v98, v115
	s_delay_alu instid0(VALU_DEP_3) | instskip(SKIP_2) | instid1(VALU_DEP_4)
	v_add_f32_e32 v97, v7, v21
	v_pk_fma_f32 v[102:103], v[124:125], v[108:109], v[90:91] op_sel_hi:[1,0,1]
	v_add_f32_e32 v96, v11, v13
	v_pk_mul_f32 v[92:93], v[160:161], v[92:93] op_sel_hi:[1,0]
	v_pk_fma_f32 v[90:91], v[124:125], v[108:109], v[90:91] neg_lo:[0,0,1] neg_hi:[0,0,1]
	v_pk_mul_f32 v[94:95], v[128:129], v[112:113] op_sel:[1,1] op_sel_hi:[0,1]
	v_mov_b32_e32 v91, v103
	v_pk_add_f32 v[96:97], v[96:97], v[166:167]
	v_pk_fma_f32 v[102:103], v[126:127], v[110:111], v[92:93] op_sel_hi:[1,0,1]
	v_pk_fma_f32 v[92:93], v[126:127], v[110:111], v[92:93] neg_lo:[0,0,1] neg_hi:[0,0,1]
	v_pk_mul_f32 v[98:99], v[162:163], v[98:99] op_sel_hi:[1,0]
	s_wait_loadcnt 0x2
	v_pk_mul_f32 v[100:101], v[132:133], v[116:117] op_sel:[1,1] op_sel_hi:[0,1]
	v_pk_add_f32 v[96:97], v[96:97], v[168:169]
	v_mov_b32_e32 v93, v103
	s_delay_alu instid0(VALU_DEP_2) | instskip(SKIP_2) | instid1(VALU_DEP_3)
	v_pk_add_f32 v[88:89], v[96:97], v[88:89]
	v_pk_fma_f32 v[96:97], v[128:129], v[112:113], v[94:95] op_sel_hi:[1,0,1]
	v_pk_fma_f32 v[94:95], v[128:129], v[112:113], v[94:95] neg_lo:[0,0,1] neg_hi:[0,0,1]
	v_pk_add_f32 v[88:89], v[88:89], v[90:91]
	s_delay_alu instid0(VALU_DEP_3) | instskip(SKIP_2) | instid1(VALU_DEP_4)
	v_dual_mov_b32 v90, v119 :: v_dual_mov_b32 v95, v97
	v_pk_fma_f32 v[96:97], v[130:131], v[114:115], v[98:99] op_sel_hi:[1,0,1]
	v_pk_fma_f32 v[98:99], v[130:131], v[114:115], v[98:99] neg_lo:[0,0,1] neg_hi:[0,0,1]
	v_pk_add_f32 v[88:89], v[88:89], v[92:93]
	v_pk_fma_f32 v[92:93], v[132:133], v[116:117], v[100:101] op_sel_hi:[1,0,1]
	v_pk_mul_f32 v[90:91], v[164:165], v[90:91] op_sel_hi:[1,0]
	v_mov_b32_e32 v99, v97
	s_wait_loadcnt_dscnt 0x100
	v_pk_mul_f32 v[96:97], v[156:157], v[152:153] op_sel:[1,1] op_sel_hi:[0,1]
	v_pk_add_f32 v[88:89], v[88:89], v[94:95]
	v_pk_fma_f32 v[94:95], v[132:133], v[116:117], v[100:101] neg_lo:[0,0,1] neg_hi:[0,0,1]
	v_mov_b32_e32 v95, v93
	v_pk_fma_f32 v[92:93], v[134:135], v[118:119], v[90:91] op_sel_hi:[1,0,1]
	v_pk_fma_f32 v[90:91], v[134:135], v[118:119], v[90:91] neg_lo:[0,0,1] neg_hi:[0,0,1]
	v_pk_add_f32 v[88:89], v[88:89], v[98:99]
	s_delay_alu instid0(VALU_DEP_3) | instskip(SKIP_1) | instid1(VALU_DEP_3)
	v_mov_b32_e32 v91, v93
	v_pk_fma_f32 v[92:93], v[156:157], v[152:153], v[96:97] op_sel_hi:[1,0,1]
	v_pk_add_f32 v[88:89], v[88:89], v[94:95]
	v_pk_fma_f32 v[94:95], v[156:157], v[152:153], v[96:97] neg_lo:[0,0,1] neg_hi:[0,0,1]
	s_delay_alu instid0(VALU_DEP_3) | instskip(NEXT) | instid1(VALU_DEP_3)
	v_mov_b32_e32 v95, v93
	v_pk_add_f32 v[88:89], v[88:89], v[90:91]
	s_delay_alu instid0(VALU_DEP_1) | instskip(SKIP_1) | instid1(VALU_DEP_1)
	v_pk_add_f32 v[88:89], v[88:89], v[94:95]
	s_wait_loadcnt 0x0
	v_pk_add_f32 v[88:89], v[154:155], v[88:89] neg_lo:[0,1] neg_hi:[0,1]
	scratch_store_b64 off, v[88:89], off offset:200
	s_wait_xcnt 0x0
	v_cmpx_lt_u32_e32 24, v0
	s_cbranch_execz .LBB42_223
; %bb.222:
	scratch_load_b64 v[88:89], off, off offset:192
	v_mov_b64_e32 v[90:91], 0
	scratch_store_b64 off, v[90:91], off offset:192
	s_wait_loadcnt 0x0
	ds_store_b64 v1, v[88:89]
.LBB42_223:
	s_wait_xcnt 0x0
	s_or_b32 exec_lo, exec_lo, s0
	s_wait_storecnt_dscnt 0x0
	s_barrier_signal -1
	s_barrier_wait -1
	s_clause 0x9
	scratch_load_b128 v[88:91], off, off offset:200
	scratch_load_b128 v[92:95], off, off offset:216
	;; [unrolled: 1-line block ×9, first 2 shown]
	scratch_load_b64 v[160:161], off, off offset:192
	ds_load_2addr_b64 v[124:127], v3 offset0:79 offset1:80
	ds_load_2addr_b64 v[128:131], v3 offset0:81 offset1:82
	;; [unrolled: 1-line block ×9, first 2 shown]
	s_mov_b32 s0, exec_lo
	s_wait_dscnt 0x8
	v_dual_mov_b32 v162, v127 :: v_dual_mov_b32 v163, v126
	s_wait_dscnt 0x7
	v_dual_mov_b32 v164, v131 :: v_dual_mov_b32 v165, v130
	;; [unrolled: 2-line block ×4, first 2 shown]
	s_wait_loadcnt_dscnt 0x904
	v_dual_mul_f32 v3, v140, v89 :: v_dual_mul_f32 v7, v142, v91
	v_dual_mul_f32 v23, v141, v89 :: v_dual_mul_f32 v25, v143, v91
	s_wait_loadcnt_dscnt 0x803
	v_dual_mul_f32 v11, v144, v93 :: v_dual_mul_f32 v13, v146, v95
	s_delay_alu instid0(VALU_DEP_3)
	v_fmac_f32_e32 v3, v141, v88
	s_wait_loadcnt_dscnt 0x601
	v_dual_fma_f32 v23, v140, v88, -v23 :: v_dual_mul_f32 v35, v153, v101
	v_dual_mul_f32 v27, v145, v93 :: v_dual_mul_f32 v29, v147, v95
	v_dual_fma_f32 v25, v142, v90, -v25 :: v_dual_fmac_f32 v7, v143, v90
	v_add_f32_e32 v3, 0, v3
	s_delay_alu instid0(VALU_DEP_4) | instskip(NEXT) | instid1(VALU_DEP_4)
	v_dual_add_f32 v23, 0, v23 :: v_dual_fmac_f32 v11, v145, v92
	v_dual_mul_f32 v37, v155, v103 :: v_dual_fma_f32 v27, v144, v92, -v27
	s_delay_alu instid0(VALU_DEP_3) | instskip(NEXT) | instid1(VALU_DEP_3)
	v_add_f32_e32 v3, v3, v7
	v_dual_add_f32 v7, v23, v25 :: v_dual_fma_f32 v25, v146, v94, -v29
	v_dual_mul_f32 v15, v148, v97 :: v_dual_mul_f32 v17, v150, v99
	v_dual_mul_f32 v31, v149, v97 :: v_dual_mul_f32 v33, v151, v99
	s_wait_loadcnt_dscnt 0x500
	v_dual_mul_f32 v23, v157, v105 :: v_dual_fmac_f32 v13, v147, v94
	s_delay_alu instid0(VALU_DEP_3) | instskip(SKIP_2) | instid1(VALU_DEP_3)
	v_dual_fmac_f32 v15, v149, v96 :: v_dual_add_f32 v3, v3, v11
	v_dual_add_f32 v7, v7, v27 :: v_dual_mul_f32 v19, v152, v101
	v_dual_mul_f32 v21, v154, v103 :: v_dual_fma_f32 v27, v148, v96, -v31
	v_dual_add_f32 v3, v3, v13 :: v_dual_fma_f32 v13, v150, v98, -v33
	s_delay_alu instid0(VALU_DEP_3) | instskip(SKIP_2) | instid1(VALU_DEP_2)
	v_add_f32_e32 v7, v7, v25
	v_dual_mul_f32 v171, v156, v105 :: v_dual_mul_f32 v173, v158, v107
	v_dual_mul_f32 v11, v159, v107 :: v_dual_fmac_f32 v19, v153, v100
	v_dual_fmac_f32 v17, v151, v98 :: v_dual_fmac_f32 v171, v157, v104
	v_dual_add_f32 v3, v3, v15 :: v_dual_fma_f32 v170, v156, v104, -v23
	s_delay_alu instid0(VALU_DEP_3) | instskip(NEXT) | instid1(VALU_DEP_2)
	v_dual_add_f32 v7, v7, v27 :: v_dual_fma_f32 v172, v158, v106, -v11
	v_dual_fma_f32 v15, v152, v100, -v35 :: v_dual_add_f32 v3, v3, v17
	v_fmac_f32_e32 v21, v155, v102
	s_delay_alu instid0(VALU_DEP_3)
	v_dual_add_f32 v7, v7, v13 :: v_dual_fma_f32 v13, v154, v102, -v37
	s_wait_loadcnt 0x4
	v_pk_mul_f32 v[88:89], v[124:125], v[108:109] op_sel:[1,1] op_sel_hi:[0,1]
	v_add_f32_e32 v3, v3, v19
	s_wait_loadcnt 0x3
	v_dual_mov_b32 v90, v111 :: v_dual_mov_b32 v94, v115
	v_add_f32_e32 v7, v7, v15
	v_fmac_f32_e32 v173, v159, v106
	v_add_f32_e32 v97, v3, v21
	v_pk_fma_f32 v[98:99], v[124:125], v[108:109], v[88:89] op_sel_hi:[1,0,1]
	v_pk_mul_f32 v[90:91], v[162:163], v[90:91] op_sel_hi:[1,0]
	v_add_f32_e32 v96, v7, v13
	v_pk_fma_f32 v[88:89], v[124:125], v[108:109], v[88:89] neg_lo:[0,0,1] neg_hi:[0,0,1]
	v_pk_mul_f32 v[92:93], v[128:129], v[112:113] op_sel:[1,1] op_sel_hi:[0,1]
	v_mov_b32_e32 v89, v99
	v_pk_fma_f32 v[98:99], v[126:127], v[110:111], v[90:91] op_sel_hi:[1,0,1]
	v_pk_add_f32 v[96:97], v[96:97], v[170:171]
	v_pk_fma_f32 v[90:91], v[126:127], v[110:111], v[90:91] neg_lo:[0,0,1] neg_hi:[0,0,1]
	v_pk_fma_f32 v[102:103], v[128:129], v[112:113], v[92:93] op_sel_hi:[1,0,1]
	v_pk_mul_f32 v[94:95], v[164:165], v[94:95] op_sel_hi:[1,0]
	v_mov_b32_e32 v91, v99
	v_pk_add_f32 v[96:97], v[96:97], v[172:173]
	s_wait_loadcnt 0x2
	v_pk_mul_f32 v[100:101], v[132:133], v[116:117] op_sel:[1,1] op_sel_hi:[0,1]
	v_pk_fma_f32 v[92:93], v[128:129], v[112:113], v[92:93] neg_lo:[0,0,1] neg_hi:[0,0,1]
	v_mov_b32_e32 v93, v103
	v_pk_fma_f32 v[98:99], v[130:131], v[114:115], v[94:95] op_sel_hi:[1,0,1]
	v_pk_add_f32 v[88:89], v[96:97], v[88:89]
	v_mov_b32_e32 v96, v119
	v_pk_fma_f32 v[94:95], v[130:131], v[114:115], v[94:95] neg_lo:[0,0,1] neg_hi:[0,0,1]
	s_delay_alu instid0(VALU_DEP_3) | instskip(SKIP_1) | instid1(VALU_DEP_4)
	v_pk_add_f32 v[88:89], v[88:89], v[90:91]
	v_pk_fma_f32 v[90:91], v[132:133], v[116:117], v[100:101] op_sel_hi:[1,0,1]
	v_pk_mul_f32 v[96:97], v[166:167], v[96:97] op_sel_hi:[1,0]
	v_mov_b32_e32 v95, v99
	v_pk_fma_f32 v[98:99], v[132:133], v[116:117], v[100:101] neg_lo:[0,0,1] neg_hi:[0,0,1]
	v_pk_add_f32 v[88:89], v[88:89], v[92:93]
	v_mov_b32_e32 v99, v91
	v_pk_fma_f32 v[90:91], v[134:135], v[118:119], v[96:97] op_sel_hi:[1,0,1]
	s_wait_loadcnt 0x1
	v_pk_mul_f32 v[92:93], v[136:137], v[120:121] op_sel:[1,1] op_sel_hi:[0,1]
	v_mov_b32_e32 v90, v123
	v_pk_add_f32 v[88:89], v[88:89], v[94:95]
	v_pk_fma_f32 v[96:97], v[134:135], v[118:119], v[96:97] neg_lo:[0,0,1] neg_hi:[0,0,1]
	v_mov_b32_e32 v97, v91
	v_pk_fma_f32 v[94:95], v[136:137], v[120:121], v[92:93] op_sel_hi:[1,0,1]
	v_pk_mul_f32 v[90:91], v[168:169], v[90:91] op_sel_hi:[1,0]
	v_pk_add_f32 v[88:89], v[88:89], v[98:99]
	v_pk_fma_f32 v[92:93], v[136:137], v[120:121], v[92:93] neg_lo:[0,0,1] neg_hi:[0,0,1]
	s_delay_alu instid0(VALU_DEP_4) | instskip(NEXT) | instid1(VALU_DEP_4)
	v_mov_b32_e32 v93, v95
	v_pk_fma_f32 v[94:95], v[138:139], v[122:123], v[90:91] op_sel_hi:[1,0,1]
	s_delay_alu instid0(VALU_DEP_4) | instskip(SKIP_1) | instid1(VALU_DEP_3)
	v_pk_add_f32 v[88:89], v[88:89], v[96:97]
	v_pk_fma_f32 v[90:91], v[138:139], v[122:123], v[90:91] neg_lo:[0,0,1] neg_hi:[0,0,1]
	v_mov_b32_e32 v91, v95
	s_delay_alu instid0(VALU_DEP_3) | instskip(NEXT) | instid1(VALU_DEP_1)
	v_pk_add_f32 v[88:89], v[88:89], v[92:93]
	v_pk_add_f32 v[88:89], v[88:89], v[90:91]
	s_wait_loadcnt 0x0
	s_delay_alu instid0(VALU_DEP_1)
	v_pk_add_f32 v[88:89], v[160:161], v[88:89] neg_lo:[0,1] neg_hi:[0,1]
	scratch_store_b64 off, v[88:89], off offset:192
	s_wait_xcnt 0x0
	v_cmpx_lt_u32_e32 23, v0
	s_cbranch_execz .LBB42_225
; %bb.224:
	scratch_load_b64 v[88:89], off, off offset:184
	v_mov_b64_e32 v[90:91], 0
	scratch_store_b64 off, v[90:91], off offset:184
	s_wait_loadcnt 0x0
	ds_store_b64 v1, v[88:89]
.LBB42_225:
	s_wait_xcnt 0x0
	s_or_b32 exec_lo, exec_lo, s0
	s_wait_storecnt_dscnt 0x0
	s_barrier_signal -1
	s_barrier_wait -1
	s_clause 0xa
	scratch_load_b128 v[88:91], off, off offset:192
	scratch_load_b128 v[92:95], off, off offset:208
	;; [unrolled: 1-line block ×9, first 2 shown]
	scratch_load_b64 v[160:161], off, off offset:336
	scratch_load_b64 v[162:163], off, off offset:184
	v_mov_b32_e32 v3, 0
	ds_load_b128 v[124:127], v3 offset:624
	ds_load_b128 v[128:131], v3 offset:640
	;; [unrolled: 1-line block ×9, first 2 shown]
	ds_load_b64 v[164:165], v3 offset:688
	s_mov_b32 s0, exec_lo
	s_wait_dscnt 0x9
	v_dual_mov_b32 v166, v127 :: v_dual_mov_b32 v167, v126
	s_wait_dscnt 0x6
	v_dual_mov_b32 v168, v131 :: v_dual_mov_b32 v173, v138
	v_dual_mov_b32 v169, v130 :: v_dual_mov_b32 v170, v135
	;; [unrolled: 1-line block ×3, first 2 shown]
	s_wait_loadcnt_dscnt 0xa05
	v_dual_mul_f32 v7, v140, v89 :: v_dual_mul_f32 v27, v141, v89
	v_dual_mul_f32 v29, v143, v91 :: v_dual_mul_f32 v11, v142, v91
	s_wait_loadcnt_dscnt 0x904
	v_mul_f32_e32 v13, v144, v93
	s_wait_loadcnt_dscnt 0x702
	v_dual_mul_f32 v39, v153, v101 :: v_dual_fma_f32 v27, v140, v88, -v27
	v_dual_fmac_f32 v7, v141, v88 :: v_dual_mul_f32 v41, v155, v103
	v_dual_mul_f32 v31, v145, v93 :: v_dual_mul_f32 v33, v147, v95
	v_dual_fmac_f32 v11, v143, v90 :: v_dual_fma_f32 v29, v142, v90, -v29
	s_wait_loadcnt_dscnt 0x601
	s_delay_alu instid0(VALU_DEP_3) | instskip(SKIP_2) | instid1(VALU_DEP_3)
	v_dual_add_f32 v7, 0, v7 :: v_dual_mul_f32 v43, v157, v105
	v_dual_add_f32 v27, 0, v27 :: v_dual_fmac_f32 v13, v145, v92
	v_dual_mul_f32 v15, v146, v95 :: v_dual_mul_f32 v17, v148, v97
	v_dual_fma_f32 v31, v144, v92, -v31 :: v_dual_add_f32 v7, v7, v11
	s_delay_alu instid0(VALU_DEP_3) | instskip(SKIP_1) | instid1(VALU_DEP_4)
	v_dual_add_f32 v11, v27, v29 :: v_dual_fma_f32 v29, v146, v94, -v33
	v_dual_mul_f32 v35, v149, v97 :: v_dual_mul_f32 v37, v151, v99
	v_dual_fmac_f32 v15, v147, v94 :: v_dual_fmac_f32 v17, v149, v96
	s_delay_alu instid0(VALU_DEP_4) | instskip(NEXT) | instid1(VALU_DEP_4)
	v_add_f32_e32 v7, v7, v13
	v_add_f32_e32 v11, v11, v31
	v_dual_mul_f32 v19, v150, v99 :: v_dual_mul_f32 v21, v152, v101
	s_delay_alu instid0(VALU_DEP_3) | instskip(NEXT) | instid1(VALU_DEP_3)
	v_dual_fma_f32 v31, v148, v96, -v35 :: v_dual_add_f32 v7, v7, v15
	v_dual_fma_f32 v15, v150, v98, -v37 :: v_dual_add_f32 v11, v11, v29
	v_dual_mul_f32 v23, v154, v103 :: v_dual_mul_f32 v25, v156, v105
	s_wait_loadcnt 0x4
	v_dual_mov_b32 v88, v111 :: v_dual_mov_b32 v92, v115
	v_dual_fmac_f32 v19, v151, v98 :: v_dual_fmac_f32 v21, v153, v100
	v_dual_add_f32 v7, v7, v17 :: v_dual_fma_f32 v17, v152, v100, -v39
	v_add_f32_e32 v11, v11, v31
	v_dual_mul_f32 v175, v158, v107 :: v_dual_mul_f32 v177, v124, v109
	v_dual_mul_f32 v27, v159, v107 :: v_dual_mul_f32 v13, v125, v109
	s_delay_alu instid0(VALU_DEP_3) | instskip(SKIP_1) | instid1(VALU_DEP_3)
	v_dual_add_f32 v11, v11, v15 :: v_dual_fma_f32 v15, v154, v102, -v41
	v_dual_fmac_f32 v25, v157, v104 :: v_dual_add_f32 v7, v7, v19
	v_fma_f32 v174, v158, v106, -v27
	v_pk_mul_f32 v[88:89], v[166:167], v[88:89] op_sel_hi:[1,0]
	v_dual_fmac_f32 v23, v155, v102 :: v_dual_fma_f32 v176, v124, v108, -v13
	v_dual_fmac_f32 v177, v125, v108 :: v_dual_add_f32 v11, v11, v17
	s_delay_alu instid0(VALU_DEP_3) | instskip(SKIP_2) | instid1(VALU_DEP_4)
	v_pk_fma_f32 v[100:101], v[126:127], v[110:111], v[88:89] op_sel_hi:[1,0,1]
	v_add_f32_e32 v7, v7, v21
	v_pk_fma_f32 v[88:89], v[126:127], v[110:111], v[88:89] neg_lo:[0,0,1] neg_hi:[0,0,1]
	v_dual_fma_f32 v17, v156, v104, -v43 :: v_dual_add_f32 v11, v11, v15
	s_delay_alu instid0(VALU_DEP_3) | instskip(SKIP_2) | instid1(VALU_DEP_4)
	v_dual_mov_b32 v89, v101 :: v_dual_add_f32 v7, v7, v23
	v_fmac_f32_e32 v175, v159, v106
	v_pk_mul_f32 v[90:91], v[128:129], v[112:113] op_sel:[1,1] op_sel_hi:[0,1]
	v_add_f32_e32 v96, v11, v17
	v_pk_mul_f32 v[92:93], v[168:169], v[92:93] op_sel_hi:[1,0]
	v_add_f32_e32 v97, v7, v25
	s_wait_loadcnt 0x3
	v_pk_mul_f32 v[94:95], v[132:133], v[116:117] op_sel:[1,1] op_sel_hi:[0,1]
	v_pk_fma_f32 v[102:103], v[128:129], v[112:113], v[90:91] op_sel_hi:[1,0,1]
	v_pk_fma_f32 v[90:91], v[128:129], v[112:113], v[90:91] neg_lo:[0,0,1] neg_hi:[0,0,1]
	v_mov_b32_e32 v98, v119
	v_pk_add_f32 v[96:97], v[96:97], v[174:175]
	s_wait_loadcnt 0x2
	v_pk_mul_f32 v[100:101], v[136:137], v[120:121] op_sel:[1,1] op_sel_hi:[0,1]
	v_mov_b32_e32 v91, v103
	v_pk_fma_f32 v[102:103], v[130:131], v[114:115], v[92:93] op_sel_hi:[1,0,1]
	v_pk_fma_f32 v[92:93], v[130:131], v[114:115], v[92:93] neg_lo:[0,0,1] neg_hi:[0,0,1]
	v_pk_add_f32 v[96:97], v[96:97], v[176:177]
	v_pk_mul_f32 v[98:99], v[170:171], v[98:99] op_sel_hi:[1,0]
	s_delay_alu instid0(VALU_DEP_4) | instskip(NEXT) | instid1(VALU_DEP_3)
	v_mov_b32_e32 v93, v103
	v_pk_add_f32 v[88:89], v[96:97], v[88:89]
	v_pk_fma_f32 v[96:97], v[132:133], v[116:117], v[94:95] op_sel_hi:[1,0,1]
	v_pk_fma_f32 v[94:95], v[132:133], v[116:117], v[94:95] neg_lo:[0,0,1] neg_hi:[0,0,1]
	s_delay_alu instid0(VALU_DEP_3) | instskip(NEXT) | instid1(VALU_DEP_3)
	v_pk_add_f32 v[88:89], v[88:89], v[90:91]
	v_dual_mov_b32 v90, v123 :: v_dual_mov_b32 v95, v97
	v_pk_fma_f32 v[96:97], v[134:135], v[118:119], v[98:99] op_sel_hi:[1,0,1]
	v_pk_fma_f32 v[98:99], v[134:135], v[118:119], v[98:99] neg_lo:[0,0,1] neg_hi:[0,0,1]
	s_delay_alu instid0(VALU_DEP_4)
	v_pk_add_f32 v[88:89], v[88:89], v[92:93]
	v_pk_fma_f32 v[92:93], v[136:137], v[120:121], v[100:101] op_sel_hi:[1,0,1]
	v_pk_mul_f32 v[90:91], v[172:173], v[90:91] op_sel_hi:[1,0]
	v_mov_b32_e32 v99, v97
	s_wait_loadcnt_dscnt 0x100
	v_pk_mul_f32 v[96:97], v[164:165], v[160:161] op_sel:[1,1] op_sel_hi:[0,1]
	v_pk_add_f32 v[88:89], v[88:89], v[94:95]
	v_pk_fma_f32 v[94:95], v[136:137], v[120:121], v[100:101] neg_lo:[0,0,1] neg_hi:[0,0,1]
	v_mov_b32_e32 v95, v93
	v_pk_fma_f32 v[92:93], v[138:139], v[122:123], v[90:91] op_sel_hi:[1,0,1]
	v_pk_fma_f32 v[90:91], v[138:139], v[122:123], v[90:91] neg_lo:[0,0,1] neg_hi:[0,0,1]
	v_pk_add_f32 v[88:89], v[88:89], v[98:99]
	s_delay_alu instid0(VALU_DEP_3) | instskip(SKIP_1) | instid1(VALU_DEP_3)
	v_mov_b32_e32 v91, v93
	v_pk_fma_f32 v[92:93], v[164:165], v[160:161], v[96:97] op_sel_hi:[1,0,1]
	v_pk_add_f32 v[88:89], v[88:89], v[94:95]
	v_pk_fma_f32 v[94:95], v[164:165], v[160:161], v[96:97] neg_lo:[0,0,1] neg_hi:[0,0,1]
	s_delay_alu instid0(VALU_DEP_3) | instskip(NEXT) | instid1(VALU_DEP_3)
	v_mov_b32_e32 v95, v93
	v_pk_add_f32 v[88:89], v[88:89], v[90:91]
	s_delay_alu instid0(VALU_DEP_1) | instskip(SKIP_1) | instid1(VALU_DEP_1)
	v_pk_add_f32 v[88:89], v[88:89], v[94:95]
	s_wait_loadcnt 0x0
	v_pk_add_f32 v[88:89], v[162:163], v[88:89] neg_lo:[0,1] neg_hi:[0,1]
	scratch_store_b64 off, v[88:89], off offset:184
	s_wait_xcnt 0x0
	v_cmpx_lt_u32_e32 22, v0
	s_cbranch_execz .LBB42_227
; %bb.226:
	scratch_load_b64 v[88:89], off, off offset:176
	v_mov_b64_e32 v[90:91], 0
	scratch_store_b64 off, v[90:91], off offset:176
	s_wait_loadcnt 0x0
	ds_store_b64 v1, v[88:89]
.LBB42_227:
	s_wait_xcnt 0x0
	s_or_b32 exec_lo, exec_lo, s0
	s_wait_storecnt_dscnt 0x0
	s_barrier_signal -1
	s_barrier_wait -1
	s_clause 0xa
	scratch_load_b128 v[88:91], off, off offset:184
	scratch_load_b128 v[92:95], off, off offset:200
	;; [unrolled: 1-line block ×10, first 2 shown]
	scratch_load_b64 v[168:169], off, off offset:176
	ds_load_2addr_b64 v[128:131], v3 offset0:79 offset1:80
	ds_load_2addr_b64 v[132:135], v3 offset0:81 offset1:82
	;; [unrolled: 1-line block ×10, first 2 shown]
	s_mov_b32 s0, exec_lo
	s_wait_dscnt 0x9
	v_dual_mov_b32 v170, v131 :: v_dual_mov_b32 v171, v130
	s_wait_dscnt 0x8
	v_dual_mov_b32 v172, v135 :: v_dual_mov_b32 v173, v134
	;; [unrolled: 2-line block ×4, first 2 shown]
	s_wait_loadcnt_dscnt 0xa05
	v_dual_mul_f32 v3, v144, v89 :: v_dual_mul_f32 v7, v146, v91
	v_dual_mul_f32 v27, v145, v89 :: v_dual_mul_f32 v29, v147, v91
	s_wait_loadcnt_dscnt 0x904
	v_dual_mul_f32 v11, v148, v93 :: v_dual_mul_f32 v13, v150, v95
	s_delay_alu instid0(VALU_DEP_3) | instskip(SKIP_3) | instid1(VALU_DEP_3)
	v_fmac_f32_e32 v3, v145, v88
	s_wait_loadcnt_dscnt 0x702
	v_dual_fma_f32 v27, v144, v88, -v27 :: v_dual_mul_f32 v39, v157, v101
	v_dual_fma_f32 v29, v146, v90, -v29 :: v_dual_fmac_f32 v7, v147, v90
	v_dual_add_f32 v3, 0, v3 :: v_dual_mul_f32 v31, v149, v93
	v_mul_f32_e32 v33, v151, v95
	s_delay_alu instid0(VALU_DEP_4) | instskip(NEXT) | instid1(VALU_DEP_3)
	v_dual_add_f32 v27, 0, v27 :: v_dual_fmac_f32 v11, v149, v92
	v_dual_add_f32 v3, v3, v7 :: v_dual_mul_f32 v15, v152, v97
	v_dual_mul_f32 v17, v154, v99 :: v_dual_mul_f32 v35, v153, v97
	v_mul_f32_e32 v37, v155, v99
	v_dual_mul_f32 v41, v159, v103 :: v_dual_fma_f32 v31, v148, v92, -v31
	v_dual_add_f32 v7, v27, v29 :: v_dual_fma_f32 v29, v150, v94, -v33
	s_wait_loadcnt_dscnt 0x601
	v_dual_mul_f32 v27, v161, v105 :: v_dual_fmac_f32 v13, v151, v94
	v_dual_fmac_f32 v15, v153, v96 :: v_dual_add_f32 v3, v3, v11
	v_dual_mul_f32 v19, v156, v101 :: v_dual_mul_f32 v21, v158, v103
	v_dual_add_f32 v7, v7, v31 :: v_dual_fma_f32 v31, v152, v96, -v35
	s_delay_alu instid0(VALU_DEP_2) | instskip(SKIP_4) | instid1(VALU_DEP_3)
	v_dual_add_f32 v3, v3, v13 :: v_dual_fmac_f32 v19, v157, v100
	v_dual_mul_f32 v23, v160, v105 :: v_dual_mul_f32 v25, v162, v107
	s_wait_loadcnt_dscnt 0x500
	v_mul_f32_e32 v13, v165, v109
	v_add_f32_e32 v7, v7, v29
	v_dual_fmac_f32 v17, v155, v98 :: v_dual_fmac_f32 v23, v161, v104
	v_dual_add_f32 v3, v3, v15 :: v_dual_mul_f32 v179, v164, v109
	v_mul_f32_e32 v181, v166, v111
	v_dual_mul_f32 v11, v163, v107 :: v_dual_fma_f32 v29, v154, v98, -v37
	v_add_f32_e32 v7, v7, v31
	s_delay_alu instid0(VALU_DEP_4) | instskip(NEXT) | instid1(VALU_DEP_3)
	v_dual_add_f32 v3, v3, v17 :: v_dual_fmac_f32 v179, v165, v108
	v_dual_mul_f32 v15, v167, v111 :: v_dual_fma_f32 v11, v162, v106, -v11
	s_delay_alu instid0(VALU_DEP_2) | instskip(NEXT) | instid1(VALU_DEP_4)
	v_dual_fma_f32 v31, v156, v100, -v39 :: v_dual_add_f32 v3, v3, v19
	v_dual_fma_f32 v19, v160, v104, -v27 :: v_dual_add_f32 v7, v7, v29
	v_fma_f32 v178, v164, v108, -v13
	v_fmac_f32_e32 v21, v159, v102
	v_fma_f32 v17, v158, v102, -v41
	s_delay_alu instid0(VALU_DEP_4) | instskip(SKIP_1) | instid1(VALU_DEP_4)
	v_dual_fma_f32 v180, v166, v110, -v15 :: v_dual_add_f32 v7, v7, v31
	v_fmac_f32_e32 v25, v163, v106
	v_add_f32_e32 v3, v3, v21
	s_wait_loadcnt 0x4
	v_pk_mul_f32 v[88:89], v[128:129], v[112:113] op_sel:[1,1] op_sel_hi:[0,1]
	s_wait_loadcnt 0x3
	v_dual_mov_b32 v90, v115 :: v_dual_mov_b32 v94, v119
	v_add_f32_e32 v7, v7, v17
	v_add_f32_e32 v3, v3, v23
	v_fmac_f32_e32 v181, v167, v110
	v_pk_fma_f32 v[98:99], v[128:129], v[112:113], v[88:89] op_sel_hi:[1,0,1]
	v_pk_mul_f32 v[90:91], v[170:171], v[90:91] op_sel_hi:[1,0]
	v_add_f32_e32 v7, v7, v19
	v_add_f32_e32 v97, v3, v25
	v_pk_fma_f32 v[88:89], v[128:129], v[112:113], v[88:89] neg_lo:[0,0,1] neg_hi:[0,0,1]
	v_pk_mul_f32 v[92:93], v[132:133], v[116:117] op_sel:[1,1] op_sel_hi:[0,1]
	v_mov_b32_e32 v89, v99
	v_add_f32_e32 v96, v7, v11
	v_pk_fma_f32 v[98:99], v[130:131], v[114:115], v[90:91] op_sel_hi:[1,0,1]
	v_pk_fma_f32 v[90:91], v[130:131], v[114:115], v[90:91] neg_lo:[0,0,1] neg_hi:[0,0,1]
	v_pk_fma_f32 v[102:103], v[132:133], v[116:117], v[92:93] op_sel_hi:[1,0,1]
	v_pk_mul_f32 v[94:95], v[172:173], v[94:95] op_sel_hi:[1,0]
	v_pk_add_f32 v[96:97], v[96:97], v[178:179]
	v_mov_b32_e32 v91, v99
	s_wait_loadcnt 0x2
	v_pk_mul_f32 v[100:101], v[136:137], v[120:121] op_sel:[1,1] op_sel_hi:[0,1]
	v_pk_fma_f32 v[92:93], v[132:133], v[116:117], v[92:93] neg_lo:[0,0,1] neg_hi:[0,0,1]
	v_mov_b32_e32 v93, v103
	v_pk_add_f32 v[96:97], v[96:97], v[180:181]
	v_pk_fma_f32 v[98:99], v[134:135], v[118:119], v[94:95] op_sel_hi:[1,0,1]
	v_pk_fma_f32 v[94:95], v[134:135], v[118:119], v[94:95] neg_lo:[0,0,1] neg_hi:[0,0,1]
	s_delay_alu instid0(VALU_DEP_3) | instskip(SKIP_1) | instid1(VALU_DEP_2)
	v_pk_add_f32 v[88:89], v[96:97], v[88:89]
	v_mov_b32_e32 v96, v123
	v_pk_add_f32 v[88:89], v[88:89], v[90:91]
	v_pk_fma_f32 v[90:91], v[136:137], v[120:121], v[100:101] op_sel_hi:[1,0,1]
	s_delay_alu instid0(VALU_DEP_3)
	v_pk_mul_f32 v[96:97], v[174:175], v[96:97] op_sel_hi:[1,0]
	v_mov_b32_e32 v95, v99
	v_pk_fma_f32 v[98:99], v[136:137], v[120:121], v[100:101] neg_lo:[0,0,1] neg_hi:[0,0,1]
	v_pk_add_f32 v[88:89], v[88:89], v[92:93]
	v_mov_b32_e32 v99, v91
	v_pk_fma_f32 v[90:91], v[138:139], v[122:123], v[96:97] op_sel_hi:[1,0,1]
	s_wait_loadcnt 0x1
	v_pk_mul_f32 v[92:93], v[140:141], v[124:125] op_sel:[1,1] op_sel_hi:[0,1]
	v_mov_b32_e32 v90, v127
	v_pk_add_f32 v[88:89], v[88:89], v[94:95]
	v_pk_fma_f32 v[96:97], v[138:139], v[122:123], v[96:97] neg_lo:[0,0,1] neg_hi:[0,0,1]
	v_mov_b32_e32 v97, v91
	v_pk_fma_f32 v[94:95], v[140:141], v[124:125], v[92:93] op_sel_hi:[1,0,1]
	v_pk_mul_f32 v[90:91], v[176:177], v[90:91] op_sel_hi:[1,0]
	v_pk_add_f32 v[88:89], v[88:89], v[98:99]
	v_pk_fma_f32 v[92:93], v[140:141], v[124:125], v[92:93] neg_lo:[0,0,1] neg_hi:[0,0,1]
	s_delay_alu instid0(VALU_DEP_4) | instskip(NEXT) | instid1(VALU_DEP_4)
	v_mov_b32_e32 v93, v95
	v_pk_fma_f32 v[94:95], v[142:143], v[126:127], v[90:91] op_sel_hi:[1,0,1]
	s_delay_alu instid0(VALU_DEP_4) | instskip(SKIP_1) | instid1(VALU_DEP_3)
	v_pk_add_f32 v[88:89], v[88:89], v[96:97]
	v_pk_fma_f32 v[90:91], v[142:143], v[126:127], v[90:91] neg_lo:[0,0,1] neg_hi:[0,0,1]
	v_mov_b32_e32 v91, v95
	s_delay_alu instid0(VALU_DEP_3) | instskip(NEXT) | instid1(VALU_DEP_1)
	v_pk_add_f32 v[88:89], v[88:89], v[92:93]
	v_pk_add_f32 v[88:89], v[88:89], v[90:91]
	s_wait_loadcnt 0x0
	s_delay_alu instid0(VALU_DEP_1)
	v_pk_add_f32 v[88:89], v[168:169], v[88:89] neg_lo:[0,1] neg_hi:[0,1]
	scratch_store_b64 off, v[88:89], off offset:176
	s_wait_xcnt 0x0
	v_cmpx_lt_u32_e32 21, v0
	s_cbranch_execz .LBB42_229
; %bb.228:
	scratch_load_b64 v[88:89], off, off offset:168
	v_mov_b64_e32 v[90:91], 0
	scratch_store_b64 off, v[90:91], off offset:168
	s_wait_loadcnt 0x0
	ds_store_b64 v1, v[88:89]
.LBB42_229:
	s_wait_xcnt 0x0
	s_or_b32 exec_lo, exec_lo, s0
	s_wait_storecnt_dscnt 0x0
	s_barrier_signal -1
	s_barrier_wait -1
	s_clause 0xb
	scratch_load_b128 v[88:91], off, off offset:176
	scratch_load_b128 v[92:95], off, off offset:192
	;; [unrolled: 1-line block ×10, first 2 shown]
	scratch_load_b64 v[168:169], off, off offset:336
	scratch_load_b64 v[170:171], off, off offset:168
	v_mov_b32_e32 v3, 0
	ds_load_b128 v[128:131], v3 offset:624
	ds_load_b128 v[132:135], v3 offset:640
	;; [unrolled: 1-line block ×10, first 2 shown]
	ds_load_b64 v[172:173], v3 offset:688
	s_mov_b32 s0, exec_lo
	s_wait_dscnt 0xa
	v_dual_mov_b32 v174, v131 :: v_dual_mov_b32 v175, v130
	s_wait_dscnt 0x7
	v_dual_mov_b32 v176, v135 :: v_dual_mov_b32 v181, v142
	v_dual_mov_b32 v177, v134 :: v_dual_mov_b32 v178, v139
	;; [unrolled: 1-line block ×3, first 2 shown]
	s_wait_loadcnt_dscnt 0xb06
	v_dual_mul_f32 v7, v144, v89 :: v_dual_mul_f32 v11, v146, v91
	s_wait_loadcnt_dscnt 0xa05
	v_mul_f32_e32 v13, v148, v93
	v_dual_mul_f32 v31, v145, v89 :: v_dual_mul_f32 v33, v147, v91
	s_wait_loadcnt_dscnt 0x803
	v_dual_fmac_f32 v7, v145, v88 :: v_dual_mul_f32 v45, v159, v103
	v_dual_mul_f32 v35, v149, v93 :: v_dual_mul_f32 v37, v151, v95
	s_delay_alu instid0(VALU_DEP_3)
	v_dual_mul_f32 v43, v157, v101 :: v_dual_fma_f32 v31, v144, v88, -v31
	v_dual_fmac_f32 v11, v147, v90 :: v_dual_fma_f32 v33, v146, v90, -v33
	s_wait_loadcnt_dscnt 0x702
	v_dual_add_f32 v7, 0, v7 :: v_dual_mul_f32 v47, v161, v105
	v_dual_mul_f32 v15, v150, v95 :: v_dual_mul_f32 v17, v152, v97
	v_dual_add_f32 v31, 0, v31 :: v_dual_fmac_f32 v13, v149, v92
	s_delay_alu instid0(VALU_DEP_3) | instskip(SKIP_1) | instid1(VALU_DEP_3)
	v_dual_fma_f32 v35, v148, v92, -v35 :: v_dual_add_f32 v7, v7, v11
	v_dual_mul_f32 v39, v153, v97 :: v_dual_mul_f32 v41, v155, v99
	v_dual_add_f32 v11, v31, v33 :: v_dual_fma_f32 v33, v150, v94, -v37
	v_dual_fmac_f32 v15, v151, v94 :: v_dual_fmac_f32 v17, v153, v96
	s_delay_alu instid0(VALU_DEP_4) | instskip(NEXT) | instid1(VALU_DEP_3)
	v_dual_add_f32 v7, v7, v13 :: v_dual_mul_f32 v19, v154, v99
	v_dual_mul_f32 v21, v156, v101 :: v_dual_add_f32 v11, v11, v35
	s_delay_alu instid0(VALU_DEP_2) | instskip(SKIP_1) | instid1(VALU_DEP_3)
	v_dual_fma_f32 v35, v152, v96, -v39 :: v_dual_add_f32 v7, v7, v15
	v_dual_mul_f32 v23, v158, v103 :: v_dual_mul_f32 v25, v160, v105
	v_dual_add_f32 v11, v11, v33 :: v_dual_fmac_f32 v21, v157, v100
	v_fmac_f32_e32 v19, v155, v98
	s_delay_alu instid0(VALU_DEP_4) | instskip(SKIP_3) | instid1(VALU_DEP_3)
	v_add_f32_e32 v7, v7, v17
	s_wait_loadcnt_dscnt 0x601
	v_dual_mul_f32 v31, v163, v107 :: v_dual_mul_f32 v13, v165, v109
	v_dual_fma_f32 v33, v154, v98, -v41 :: v_dual_add_f32 v11, v11, v35
	v_dual_fmac_f32 v25, v161, v104 :: v_dual_add_f32 v7, v7, v19
	v_dual_mul_f32 v27, v162, v107 :: v_dual_mul_f32 v29, v164, v109
	v_dual_mul_f32 v15, v167, v111 :: v_dual_fma_f32 v35, v156, v100, -v43
	s_wait_loadcnt 0x4
	v_dual_mov_b32 v88, v115 :: v_dual_mov_b32 v92, v119
	s_delay_alu instid0(VALU_DEP_2) | instskip(SKIP_4) | instid1(VALU_DEP_4)
	v_dual_add_f32 v7, v7, v21 :: v_dual_fma_f32 v182, v166, v110, -v15
	v_dual_fma_f32 v21, v160, v104, -v47 :: v_dual_add_f32 v11, v11, v33
	v_dual_fmac_f32 v29, v165, v108 :: v_dual_mul_f32 v183, v166, v111
	v_dual_mul_f32 v185, v128, v113 :: v_dual_fmac_f32 v23, v159, v102
	v_fma_f32 v13, v164, v108, -v13
	v_dual_fma_f32 v19, v158, v102, -v45 :: v_dual_add_f32 v11, v11, v35
	s_delay_alu instid0(VALU_DEP_3) | instskip(SKIP_4) | instid1(VALU_DEP_4)
	v_fmac_f32_e32 v185, v129, v112
	v_pk_mul_f32 v[88:89], v[174:175], v[88:89] op_sel_hi:[1,0]
	v_dual_mul_f32 v17, v129, v113 :: v_dual_add_f32 v7, v7, v23
	v_fmac_f32_e32 v27, v163, v106
	v_fmac_f32_e32 v183, v167, v110
	v_pk_fma_f32 v[100:101], v[130:131], v[114:115], v[88:89] op_sel_hi:[1,0,1]
	v_add_f32_e32 v11, v11, v19
	v_pk_fma_f32 v[88:89], v[130:131], v[114:115], v[88:89] neg_lo:[0,0,1] neg_hi:[0,0,1]
	v_dual_fma_f32 v19, v162, v106, -v31 :: v_dual_fma_f32 v184, v128, v112, -v17
	s_delay_alu instid0(VALU_DEP_4) | instskip(NEXT) | instid1(VALU_DEP_4)
	v_dual_add_f32 v7, v7, v25 :: v_dual_mov_b32 v89, v101
	v_add_f32_e32 v11, v11, v21
	v_pk_mul_f32 v[90:91], v[132:133], v[116:117] op_sel:[1,1] op_sel_hi:[0,1]
	v_pk_mul_f32 v[92:93], v[176:177], v[92:93] op_sel_hi:[1,0]
	s_delay_alu instid0(VALU_DEP_4)
	v_add_f32_e32 v7, v7, v27
	s_wait_loadcnt 0x3
	v_pk_mul_f32 v[94:95], v[136:137], v[120:121] op_sel:[1,1] op_sel_hi:[0,1]
	v_add_f32_e32 v11, v11, v19
	v_pk_fma_f32 v[102:103], v[132:133], v[116:117], v[90:91] op_sel_hi:[1,0,1]
	v_pk_fma_f32 v[90:91], v[132:133], v[116:117], v[90:91] neg_lo:[0,0,1] neg_hi:[0,0,1]
	v_add_f32_e32 v97, v7, v29
	v_mov_b32_e32 v98, v123
	v_add_f32_e32 v96, v11, v13
	v_mov_b32_e32 v91, v103
	v_pk_fma_f32 v[102:103], v[134:135], v[118:119], v[92:93] op_sel_hi:[1,0,1]
	v_pk_fma_f32 v[92:93], v[134:135], v[118:119], v[92:93] neg_lo:[0,0,1] neg_hi:[0,0,1]
	v_pk_mul_f32 v[98:99], v[178:179], v[98:99] op_sel_hi:[1,0]
	v_pk_add_f32 v[96:97], v[96:97], v[182:183]
	s_wait_loadcnt 0x2
	v_pk_mul_f32 v[100:101], v[140:141], v[124:125] op_sel:[1,1] op_sel_hi:[0,1]
	v_mov_b32_e32 v93, v103
	s_delay_alu instid0(VALU_DEP_3) | instskip(NEXT) | instid1(VALU_DEP_1)
	v_pk_add_f32 v[96:97], v[96:97], v[184:185]
	v_pk_add_f32 v[88:89], v[96:97], v[88:89]
	v_pk_fma_f32 v[96:97], v[136:137], v[120:121], v[94:95] op_sel_hi:[1,0,1]
	v_pk_fma_f32 v[94:95], v[136:137], v[120:121], v[94:95] neg_lo:[0,0,1] neg_hi:[0,0,1]
	s_delay_alu instid0(VALU_DEP_3) | instskip(NEXT) | instid1(VALU_DEP_3)
	v_pk_add_f32 v[88:89], v[88:89], v[90:91]
	v_dual_mov_b32 v90, v127 :: v_dual_mov_b32 v95, v97
	v_pk_fma_f32 v[96:97], v[138:139], v[122:123], v[98:99] op_sel_hi:[1,0,1]
	v_pk_fma_f32 v[98:99], v[138:139], v[122:123], v[98:99] neg_lo:[0,0,1] neg_hi:[0,0,1]
	s_delay_alu instid0(VALU_DEP_4)
	v_pk_add_f32 v[88:89], v[88:89], v[92:93]
	v_pk_fma_f32 v[92:93], v[140:141], v[124:125], v[100:101] op_sel_hi:[1,0,1]
	v_pk_mul_f32 v[90:91], v[180:181], v[90:91] op_sel_hi:[1,0]
	v_mov_b32_e32 v99, v97
	s_wait_loadcnt_dscnt 0x100
	v_pk_mul_f32 v[96:97], v[172:173], v[168:169] op_sel:[1,1] op_sel_hi:[0,1]
	v_pk_add_f32 v[88:89], v[88:89], v[94:95]
	v_pk_fma_f32 v[94:95], v[140:141], v[124:125], v[100:101] neg_lo:[0,0,1] neg_hi:[0,0,1]
	v_mov_b32_e32 v95, v93
	v_pk_fma_f32 v[92:93], v[142:143], v[126:127], v[90:91] op_sel_hi:[1,0,1]
	v_pk_fma_f32 v[90:91], v[142:143], v[126:127], v[90:91] neg_lo:[0,0,1] neg_hi:[0,0,1]
	v_pk_add_f32 v[88:89], v[88:89], v[98:99]
	s_delay_alu instid0(VALU_DEP_3) | instskip(SKIP_1) | instid1(VALU_DEP_3)
	v_mov_b32_e32 v91, v93
	v_pk_fma_f32 v[92:93], v[172:173], v[168:169], v[96:97] op_sel_hi:[1,0,1]
	v_pk_add_f32 v[88:89], v[88:89], v[94:95]
	v_pk_fma_f32 v[94:95], v[172:173], v[168:169], v[96:97] neg_lo:[0,0,1] neg_hi:[0,0,1]
	s_delay_alu instid0(VALU_DEP_3) | instskip(NEXT) | instid1(VALU_DEP_3)
	v_mov_b32_e32 v95, v93
	v_pk_add_f32 v[88:89], v[88:89], v[90:91]
	s_delay_alu instid0(VALU_DEP_1) | instskip(SKIP_1) | instid1(VALU_DEP_1)
	v_pk_add_f32 v[88:89], v[88:89], v[94:95]
	s_wait_loadcnt 0x0
	v_pk_add_f32 v[88:89], v[170:171], v[88:89] neg_lo:[0,1] neg_hi:[0,1]
	scratch_store_b64 off, v[88:89], off offset:168
	s_wait_xcnt 0x0
	v_cmpx_lt_u32_e32 20, v0
	s_cbranch_execz .LBB42_231
; %bb.230:
	scratch_load_b64 v[88:89], off, off offset:160
	v_mov_b64_e32 v[90:91], 0
	scratch_store_b64 off, v[90:91], off offset:160
	s_wait_loadcnt 0x0
	ds_store_b64 v1, v[88:89]
.LBB42_231:
	s_wait_xcnt 0x0
	s_or_b32 exec_lo, exec_lo, s0
	s_wait_storecnt_dscnt 0x0
	s_barrier_signal -1
	s_barrier_wait -1
	s_clause 0xb
	scratch_load_b128 v[88:91], off, off offset:168
	scratch_load_b128 v[92:95], off, off offset:184
	;; [unrolled: 1-line block ×11, first 2 shown]
	scratch_load_b64 v[176:177], off, off offset:160
	ds_load_2addr_b64 v[132:135], v3 offset0:79 offset1:80
	ds_load_2addr_b64 v[136:139], v3 offset0:81 offset1:82
	;; [unrolled: 1-line block ×11, first 2 shown]
	s_mov_b32 s0, exec_lo
	s_wait_dscnt 0xa
	v_dual_mov_b32 v178, v135 :: v_dual_mov_b32 v179, v134
	s_wait_dscnt 0x9
	v_dual_mov_b32 v180, v139 :: v_dual_mov_b32 v181, v138
	;; [unrolled: 2-line block ×4, first 2 shown]
	s_wait_loadcnt_dscnt 0xb06
	v_dual_mul_f32 v3, v148, v89 :: v_dual_mul_f32 v7, v150, v91
	v_dual_mul_f32 v31, v149, v89 :: v_dual_mul_f32 v33, v151, v91
	s_wait_loadcnt_dscnt 0xa05
	v_dual_mul_f32 v11, v152, v93 :: v_dual_mul_f32 v13, v154, v95
	s_delay_alu instid0(VALU_DEP_3)
	v_fmac_f32_e32 v3, v149, v88
	s_wait_loadcnt_dscnt 0x803
	v_dual_fma_f32 v31, v148, v88, -v31 :: v_dual_mul_f32 v43, v161, v101
	v_dual_mul_f32 v35, v153, v93 :: v_dual_mul_f32 v37, v155, v95
	v_dual_fma_f32 v33, v150, v90, -v33 :: v_dual_fmac_f32 v7, v151, v90
	v_add_f32_e32 v3, 0, v3
	s_delay_alu instid0(VALU_DEP_4) | instskip(NEXT) | instid1(VALU_DEP_4)
	v_dual_add_f32 v31, 0, v31 :: v_dual_fmac_f32 v11, v153, v92
	v_dual_mul_f32 v45, v163, v103 :: v_dual_fma_f32 v35, v152, v92, -v35
	s_delay_alu instid0(VALU_DEP_3) | instskip(NEXT) | instid1(VALU_DEP_3)
	v_add_f32_e32 v3, v3, v7
	v_dual_add_f32 v7, v31, v33 :: v_dual_fma_f32 v33, v154, v94, -v37
	v_dual_mul_f32 v15, v156, v97 :: v_dual_mul_f32 v17, v158, v99
	v_dual_mul_f32 v39, v157, v97 :: v_dual_mul_f32 v41, v159, v99
	s_wait_loadcnt_dscnt 0x702
	v_dual_mul_f32 v31, v165, v105 :: v_dual_fmac_f32 v13, v155, v94
	s_delay_alu instid0(VALU_DEP_3) | instskip(SKIP_2) | instid1(VALU_DEP_3)
	v_dual_fmac_f32 v15, v157, v96 :: v_dual_add_f32 v3, v3, v11
	v_dual_add_f32 v7, v7, v35 :: v_dual_mul_f32 v19, v160, v101
	v_dual_mul_f32 v21, v162, v103 :: v_dual_fma_f32 v35, v156, v96, -v39
	v_add_f32_e32 v3, v3, v13
	s_wait_loadcnt_dscnt 0x601
	v_mul_f32_e32 v13, v169, v109
	v_add_f32_e32 v7, v7, v33
	v_dual_mul_f32 v23, v164, v105 :: v_dual_mul_f32 v25, v166, v107
	v_dual_mul_f32 v11, v167, v107 :: v_dual_fma_f32 v33, v158, v98, -v41
	s_delay_alu instid0(VALU_DEP_2) | instskip(NEXT) | instid1(VALU_DEP_4)
	v_dual_fmac_f32 v17, v159, v98 :: v_dual_fmac_f32 v23, v165, v104
	v_dual_add_f32 v7, v7, v35 :: v_dual_fmac_f32 v19, v161, v100
	v_dual_add_f32 v3, v3, v15 :: v_dual_mul_f32 v27, v168, v109
	v_dual_mul_f32 v29, v170, v111 :: v_dual_fma_f32 v35, v160, v100, -v43
	s_delay_alu instid0(VALU_DEP_3) | instskip(NEXT) | instid1(VALU_DEP_3)
	v_add_f32_e32 v7, v7, v33
	v_dual_add_f32 v3, v3, v17 :: v_dual_fma_f32 v11, v166, v106, -v11
	s_wait_loadcnt_dscnt 0x500
	v_dual_mul_f32 v187, v172, v113 :: v_dual_mul_f32 v189, v174, v115
	v_dual_mul_f32 v15, v171, v111 :: v_dual_fma_f32 v31, v164, v104, -v31
	v_dual_mul_f32 v17, v173, v113 :: v_dual_fmac_f32 v21, v163, v102
	s_delay_alu instid0(VALU_DEP_3) | instskip(SKIP_2) | instid1(VALU_DEP_4)
	v_dual_fmac_f32 v187, v173, v112 :: v_dual_fma_f32 v33, v162, v102, -v45
	v_dual_add_f32 v3, v3, v19 :: v_dual_fma_f32 v13, v168, v108, -v13
	v_dual_fmac_f32 v27, v169, v108 :: v_dual_add_f32 v7, v7, v35
	v_dual_mul_f32 v19, v175, v115 :: v_dual_fma_f32 v186, v172, v112, -v17
	s_delay_alu instid0(VALU_DEP_3) | instskip(SKIP_1) | instid1(VALU_DEP_3)
	v_add_f32_e32 v3, v3, v21
	v_fmac_f32_e32 v25, v167, v106
	v_dual_add_f32 v7, v7, v33 :: v_dual_fma_f32 v188, v174, v114, -v19
	v_fmac_f32_e32 v29, v171, v110
	s_delay_alu instid0(VALU_DEP_4)
	v_add_f32_e32 v3, v3, v23
	s_wait_loadcnt 0x4
	v_pk_mul_f32 v[88:89], v[132:133], v[116:117] op_sel:[1,1] op_sel_hi:[0,1]
	v_add_f32_e32 v7, v7, v31
	s_wait_loadcnt 0x3
	v_dual_mov_b32 v90, v119 :: v_dual_mov_b32 v94, v123
	v_add_f32_e32 v3, v3, v25
	v_fmac_f32_e32 v189, v175, v114
	v_dual_add_f32 v7, v7, v11 :: v_dual_fma_f32 v11, v170, v110, -v15
	v_pk_fma_f32 v[98:99], v[132:133], v[116:117], v[88:89] op_sel_hi:[1,0,1]
	s_delay_alu instid0(VALU_DEP_4) | instskip(SKIP_1) | instid1(VALU_DEP_4)
	v_add_f32_e32 v3, v3, v27
	v_pk_mul_f32 v[90:91], v[178:179], v[90:91] op_sel_hi:[1,0]
	v_add_f32_e32 v7, v7, v13
	v_pk_fma_f32 v[88:89], v[132:133], v[116:117], v[88:89] neg_lo:[0,0,1] neg_hi:[0,0,1]
	v_pk_mul_f32 v[92:93], v[136:137], v[120:121] op_sel:[1,1] op_sel_hi:[0,1]
	v_add_f32_e32 v97, v3, v29
	v_mov_b32_e32 v89, v99
	v_add_f32_e32 v96, v7, v11
	v_pk_fma_f32 v[98:99], v[134:135], v[118:119], v[90:91] op_sel_hi:[1,0,1]
	v_pk_fma_f32 v[90:91], v[134:135], v[118:119], v[90:91] neg_lo:[0,0,1] neg_hi:[0,0,1]
	v_pk_fma_f32 v[102:103], v[136:137], v[120:121], v[92:93] op_sel_hi:[1,0,1]
	v_pk_mul_f32 v[94:95], v[180:181], v[94:95] op_sel_hi:[1,0]
	v_pk_add_f32 v[96:97], v[96:97], v[186:187]
	v_mov_b32_e32 v91, v99
	s_wait_loadcnt 0x2
	v_pk_mul_f32 v[100:101], v[140:141], v[124:125] op_sel:[1,1] op_sel_hi:[0,1]
	v_pk_fma_f32 v[92:93], v[136:137], v[120:121], v[92:93] neg_lo:[0,0,1] neg_hi:[0,0,1]
	v_mov_b32_e32 v93, v103
	v_pk_add_f32 v[96:97], v[96:97], v[188:189]
	v_pk_fma_f32 v[98:99], v[138:139], v[122:123], v[94:95] op_sel_hi:[1,0,1]
	v_pk_fma_f32 v[94:95], v[138:139], v[122:123], v[94:95] neg_lo:[0,0,1] neg_hi:[0,0,1]
	s_delay_alu instid0(VALU_DEP_3) | instskip(SKIP_1) | instid1(VALU_DEP_2)
	v_pk_add_f32 v[88:89], v[96:97], v[88:89]
	v_mov_b32_e32 v96, v127
	v_pk_add_f32 v[88:89], v[88:89], v[90:91]
	v_pk_fma_f32 v[90:91], v[140:141], v[124:125], v[100:101] op_sel_hi:[1,0,1]
	s_delay_alu instid0(VALU_DEP_3)
	v_pk_mul_f32 v[96:97], v[182:183], v[96:97] op_sel_hi:[1,0]
	v_mov_b32_e32 v95, v99
	v_pk_fma_f32 v[98:99], v[140:141], v[124:125], v[100:101] neg_lo:[0,0,1] neg_hi:[0,0,1]
	v_pk_add_f32 v[88:89], v[88:89], v[92:93]
	v_mov_b32_e32 v99, v91
	v_pk_fma_f32 v[90:91], v[142:143], v[126:127], v[96:97] op_sel_hi:[1,0,1]
	s_wait_loadcnt 0x1
	v_pk_mul_f32 v[92:93], v[144:145], v[128:129] op_sel:[1,1] op_sel_hi:[0,1]
	v_mov_b32_e32 v90, v131
	v_pk_add_f32 v[88:89], v[88:89], v[94:95]
	v_pk_fma_f32 v[96:97], v[142:143], v[126:127], v[96:97] neg_lo:[0,0,1] neg_hi:[0,0,1]
	v_mov_b32_e32 v97, v91
	v_pk_fma_f32 v[94:95], v[144:145], v[128:129], v[92:93] op_sel_hi:[1,0,1]
	v_pk_mul_f32 v[90:91], v[184:185], v[90:91] op_sel_hi:[1,0]
	v_pk_add_f32 v[88:89], v[88:89], v[98:99]
	v_pk_fma_f32 v[92:93], v[144:145], v[128:129], v[92:93] neg_lo:[0,0,1] neg_hi:[0,0,1]
	s_delay_alu instid0(VALU_DEP_4) | instskip(NEXT) | instid1(VALU_DEP_4)
	v_mov_b32_e32 v93, v95
	v_pk_fma_f32 v[94:95], v[146:147], v[130:131], v[90:91] op_sel_hi:[1,0,1]
	s_delay_alu instid0(VALU_DEP_4) | instskip(SKIP_1) | instid1(VALU_DEP_3)
	v_pk_add_f32 v[88:89], v[88:89], v[96:97]
	v_pk_fma_f32 v[90:91], v[146:147], v[130:131], v[90:91] neg_lo:[0,0,1] neg_hi:[0,0,1]
	v_mov_b32_e32 v91, v95
	s_delay_alu instid0(VALU_DEP_3) | instskip(NEXT) | instid1(VALU_DEP_1)
	v_pk_add_f32 v[88:89], v[88:89], v[92:93]
	v_pk_add_f32 v[88:89], v[88:89], v[90:91]
	s_wait_loadcnt 0x0
	s_delay_alu instid0(VALU_DEP_1)
	v_pk_add_f32 v[88:89], v[176:177], v[88:89] neg_lo:[0,1] neg_hi:[0,1]
	scratch_store_b64 off, v[88:89], off offset:160
	s_wait_xcnt 0x0
	v_cmpx_lt_u32_e32 19, v0
	s_cbranch_execz .LBB42_233
; %bb.232:
	scratch_load_b64 v[88:89], off, off offset:152
	v_mov_b64_e32 v[90:91], 0
	scratch_store_b64 off, v[90:91], off offset:152
	s_wait_loadcnt 0x0
	ds_store_b64 v1, v[88:89]
.LBB42_233:
	s_wait_xcnt 0x0
	s_or_b32 exec_lo, exec_lo, s0
	s_wait_storecnt_dscnt 0x0
	s_barrier_signal -1
	s_barrier_wait -1
	s_clause 0xc
	scratch_load_b128 v[88:91], off, off offset:160
	scratch_load_b128 v[92:95], off, off offset:176
	;; [unrolled: 1-line block ×11, first 2 shown]
	scratch_load_b64 v[176:177], off, off offset:336
	scratch_load_b64 v[178:179], off, off offset:152
	v_mov_b32_e32 v3, 0
	ds_load_b128 v[132:135], v3 offset:624
	ds_load_b128 v[136:139], v3 offset:640
	;; [unrolled: 1-line block ×11, first 2 shown]
	ds_load_b64 v[180:181], v3 offset:688
	s_mov_b32 s0, exec_lo
	s_wait_dscnt 0xb
	v_dual_mov_b32 v182, v135 :: v_dual_mov_b32 v183, v134
	s_wait_dscnt 0x8
	v_dual_mov_b32 v184, v139 :: v_dual_mov_b32 v189, v146
	v_dual_mov_b32 v185, v138 :: v_dual_mov_b32 v186, v143
	;; [unrolled: 1-line block ×3, first 2 shown]
	s_wait_loadcnt_dscnt 0xc07
	v_dual_mul_f32 v7, v148, v89 :: v_dual_mul_f32 v35, v149, v89
	v_dual_mul_f32 v37, v151, v91 :: v_dual_mul_f32 v11, v150, v91
	s_wait_loadcnt_dscnt 0xb06
	v_mul_f32_e32 v13, v152, v93
	s_wait_loadcnt_dscnt 0x904
	v_dual_mul_f32 v47, v161, v101 :: v_dual_fma_f32 v35, v148, v88, -v35
	v_dual_fmac_f32 v7, v149, v88 :: v_dual_mul_f32 v49, v163, v103
	v_dual_mul_f32 v39, v153, v93 :: v_dual_mul_f32 v41, v155, v95
	v_dual_fmac_f32 v11, v151, v90 :: v_dual_fma_f32 v37, v150, v90, -v37
	s_wait_loadcnt_dscnt 0x803
	s_delay_alu instid0(VALU_DEP_3) | instskip(SKIP_1) | instid1(VALU_DEP_2)
	v_dual_add_f32 v7, 0, v7 :: v_dual_mul_f32 v51, v165, v105
	v_dual_add_f32 v35, 0, v35 :: v_dual_fmac_f32 v13, v153, v92
	v_dual_fma_f32 v39, v152, v92, -v39 :: v_dual_add_f32 v7, v7, v11
	v_dual_mul_f32 v15, v154, v95 :: v_dual_mul_f32 v17, v156, v97
	s_delay_alu instid0(VALU_DEP_3) | instskip(SKIP_2) | instid1(VALU_DEP_3)
	v_dual_add_f32 v11, v35, v37 :: v_dual_fma_f32 v37, v154, v94, -v41
	v_dual_mul_f32 v43, v157, v97 :: v_dual_mul_f32 v45, v159, v99
	v_dual_mul_f32 v19, v158, v99 :: v_dual_mul_f32 v21, v160, v101
	v_add_f32_e32 v11, v11, v39
	v_dual_fmac_f32 v15, v155, v94 :: v_dual_fmac_f32 v17, v157, v96
	s_delay_alu instid0(VALU_DEP_4) | instskip(NEXT) | instid1(VALU_DEP_3)
	v_dual_add_f32 v7, v7, v13 :: v_dual_fma_f32 v39, v156, v96, -v43
	v_dual_add_f32 v11, v11, v37 :: v_dual_fmac_f32 v21, v161, v100
	v_dual_mul_f32 v23, v162, v103 :: v_dual_mul_f32 v25, v164, v105
	s_delay_alu instid0(VALU_DEP_3) | instskip(NEXT) | instid1(VALU_DEP_3)
	v_dual_add_f32 v7, v7, v15 :: v_dual_fma_f32 v37, v158, v98, -v45
	v_add_f32_e32 v11, v11, v39
	s_wait_loadcnt_dscnt 0x701
	v_dual_mul_f32 v35, v167, v107 :: v_dual_mul_f32 v13, v173, v109
	v_dual_mul_f32 v15, v175, v111 :: v_dual_fma_f32 v39, v160, v100, -v47
	v_fmac_f32_e32 v19, v159, v98
	v_dual_add_f32 v7, v7, v17 :: v_dual_fmac_f32 v25, v165, v104
	v_dual_add_f32 v11, v11, v37 :: v_dual_mul_f32 v27, v166, v107
	v_dual_mul_f32 v29, v172, v109 :: v_dual_mul_f32 v31, v174, v111
	s_wait_loadcnt 0x6
	v_dual_mul_f32 v33, v168, v113 :: v_dual_fma_f32 v37, v162, v102, -v49
	v_add_f32_e32 v7, v7, v19
	v_add_f32_e32 v11, v11, v39
	s_wait_loadcnt 0x4
	v_dual_mov_b32 v88, v119 :: v_dual_mov_b32 v92, v123
	v_dual_mul_f32 v19, v171, v115 :: v_dual_fmac_f32 v29, v173, v108
	v_dual_fmac_f32 v23, v163, v102 :: v_dual_fma_f32 v13, v172, v108, -v13
	v_dual_fma_f32 v39, v164, v104, -v51 :: v_dual_add_f32 v7, v7, v21
	v_dual_fma_f32 v15, v174, v110, -v15 :: v_dual_fmac_f32 v33, v169, v112
	s_delay_alu instid0(VALU_DEP_4) | instskip(SKIP_1) | instid1(VALU_DEP_4)
	v_dual_add_f32 v11, v11, v37 :: v_dual_fma_f32 v190, v170, v114, -v19
	v_pk_mul_f32 v[88:89], v[182:183], v[88:89] op_sel_hi:[1,0]
	v_dual_mul_f32 v17, v169, v113 :: v_dual_add_f32 v7, v7, v23
	v_fma_f32 v23, v166, v106, -v35
	v_dual_mul_f32 v191, v170, v115 :: v_dual_mul_f32 v193, v132, v117
	s_delay_alu instid0(VALU_DEP_4) | instskip(SKIP_4) | instid1(VALU_DEP_4)
	v_pk_fma_f32 v[100:101], v[134:135], v[118:119], v[88:89] op_sel_hi:[1,0,1]
	v_add_f32_e32 v11, v11, v39
	v_pk_fma_f32 v[88:89], v[134:135], v[118:119], v[88:89] neg_lo:[0,0,1] neg_hi:[0,0,1]
	v_dual_mul_f32 v21, v133, v117 :: v_dual_fmac_f32 v27, v167, v106
	v_fmac_f32_e32 v193, v133, v116
	v_dual_mov_b32 v89, v101 :: v_dual_add_f32 v11, v11, v23
	s_delay_alu instid0(VALU_DEP_3) | instskip(SKIP_2) | instid1(VALU_DEP_4)
	v_dual_fma_f32 v192, v132, v116, -v21 :: v_dual_fmac_f32 v31, v175, v110
	v_fmac_f32_e32 v191, v171, v114
	v_pk_mul_f32 v[90:91], v[136:137], v[120:121] op_sel:[1,1] op_sel_hi:[0,1]
	v_dual_add_f32 v11, v11, v13 :: v_dual_fma_f32 v13, v168, v112, -v17
	v_add_f32_e32 v7, v7, v25
	v_pk_mul_f32 v[92:93], v[184:185], v[92:93] op_sel_hi:[1,0]
	s_delay_alu instid0(VALU_DEP_4) | instskip(NEXT) | instid1(VALU_DEP_4)
	v_pk_fma_f32 v[102:103], v[136:137], v[120:121], v[90:91] op_sel_hi:[1,0,1]
	v_add_f32_e32 v11, v11, v15
	v_pk_fma_f32 v[90:91], v[136:137], v[120:121], v[90:91] neg_lo:[0,0,1] neg_hi:[0,0,1]
	v_add_f32_e32 v7, v7, v27
	s_wait_loadcnt 0x3
	v_pk_mul_f32 v[94:95], v[140:141], v[124:125] op_sel:[1,1] op_sel_hi:[0,1]
	v_dual_mov_b32 v98, v127 :: v_dual_mov_b32 v91, v103
	v_add_f32_e32 v96, v11, v13
	v_add_f32_e32 v7, v7, v29
	v_pk_fma_f32 v[102:103], v[138:139], v[122:123], v[92:93] op_sel_hi:[1,0,1]
	v_pk_fma_f32 v[92:93], v[138:139], v[122:123], v[92:93] neg_lo:[0,0,1] neg_hi:[0,0,1]
	v_pk_mul_f32 v[98:99], v[186:187], v[98:99] op_sel_hi:[1,0]
	s_wait_loadcnt 0x2
	v_pk_mul_f32 v[100:101], v[144:145], v[128:129] op_sel:[1,1] op_sel_hi:[0,1]
	v_add_f32_e32 v7, v7, v31
	v_mov_b32_e32 v93, v103
	s_delay_alu instid0(VALU_DEP_2) | instskip(NEXT) | instid1(VALU_DEP_1)
	v_add_f32_e32 v97, v7, v33
	v_pk_add_f32 v[96:97], v[96:97], v[190:191]
	s_delay_alu instid0(VALU_DEP_1) | instskip(NEXT) | instid1(VALU_DEP_1)
	v_pk_add_f32 v[96:97], v[96:97], v[192:193]
	v_pk_add_f32 v[88:89], v[96:97], v[88:89]
	v_pk_fma_f32 v[96:97], v[140:141], v[124:125], v[94:95] op_sel_hi:[1,0,1]
	v_pk_fma_f32 v[94:95], v[140:141], v[124:125], v[94:95] neg_lo:[0,0,1] neg_hi:[0,0,1]
	s_delay_alu instid0(VALU_DEP_3) | instskip(NEXT) | instid1(VALU_DEP_3)
	v_pk_add_f32 v[88:89], v[88:89], v[90:91]
	v_dual_mov_b32 v90, v131 :: v_dual_mov_b32 v95, v97
	v_pk_fma_f32 v[96:97], v[142:143], v[126:127], v[98:99] op_sel_hi:[1,0,1]
	v_pk_fma_f32 v[98:99], v[142:143], v[126:127], v[98:99] neg_lo:[0,0,1] neg_hi:[0,0,1]
	s_delay_alu instid0(VALU_DEP_4)
	v_pk_add_f32 v[88:89], v[88:89], v[92:93]
	v_pk_fma_f32 v[92:93], v[144:145], v[128:129], v[100:101] op_sel_hi:[1,0,1]
	v_pk_mul_f32 v[90:91], v[188:189], v[90:91] op_sel_hi:[1,0]
	v_mov_b32_e32 v99, v97
	s_wait_loadcnt_dscnt 0x100
	v_pk_mul_f32 v[96:97], v[180:181], v[176:177] op_sel:[1,1] op_sel_hi:[0,1]
	v_pk_add_f32 v[88:89], v[88:89], v[94:95]
	v_pk_fma_f32 v[94:95], v[144:145], v[128:129], v[100:101] neg_lo:[0,0,1] neg_hi:[0,0,1]
	v_mov_b32_e32 v95, v93
	v_pk_fma_f32 v[92:93], v[146:147], v[130:131], v[90:91] op_sel_hi:[1,0,1]
	v_pk_fma_f32 v[90:91], v[146:147], v[130:131], v[90:91] neg_lo:[0,0,1] neg_hi:[0,0,1]
	v_pk_add_f32 v[88:89], v[88:89], v[98:99]
	s_delay_alu instid0(VALU_DEP_3) | instskip(SKIP_1) | instid1(VALU_DEP_3)
	v_mov_b32_e32 v91, v93
	v_pk_fma_f32 v[92:93], v[180:181], v[176:177], v[96:97] op_sel_hi:[1,0,1]
	v_pk_add_f32 v[88:89], v[88:89], v[94:95]
	v_pk_fma_f32 v[94:95], v[180:181], v[176:177], v[96:97] neg_lo:[0,0,1] neg_hi:[0,0,1]
	s_delay_alu instid0(VALU_DEP_3) | instskip(NEXT) | instid1(VALU_DEP_3)
	v_mov_b32_e32 v95, v93
	v_pk_add_f32 v[88:89], v[88:89], v[90:91]
	s_delay_alu instid0(VALU_DEP_1) | instskip(SKIP_1) | instid1(VALU_DEP_1)
	v_pk_add_f32 v[88:89], v[88:89], v[94:95]
	s_wait_loadcnt 0x0
	v_pk_add_f32 v[88:89], v[178:179], v[88:89] neg_lo:[0,1] neg_hi:[0,1]
	scratch_store_b64 off, v[88:89], off offset:152
	s_wait_xcnt 0x0
	v_cmpx_lt_u32_e32 18, v0
	s_cbranch_execz .LBB42_235
; %bb.234:
	scratch_load_b64 v[88:89], off, off offset:144
	v_mov_b64_e32 v[90:91], 0
	scratch_store_b64 off, v[90:91], off offset:144
	s_wait_loadcnt 0x0
	ds_store_b64 v1, v[88:89]
.LBB42_235:
	s_wait_xcnt 0x0
	s_or_b32 exec_lo, exec_lo, s0
	s_wait_storecnt_dscnt 0x0
	s_barrier_signal -1
	s_barrier_wait -1
	s_clause 0xc
	scratch_load_b128 v[88:91], off, off offset:152
	scratch_load_b128 v[92:95], off, off offset:168
	;; [unrolled: 1-line block ×12, first 2 shown]
	scratch_load_b64 v[184:185], off, off offset:144
	ds_load_2addr_b64 v[136:139], v3 offset0:79 offset1:80
	ds_load_2addr_b64 v[140:143], v3 offset0:81 offset1:82
	;; [unrolled: 1-line block ×12, first 2 shown]
	s_mov_b32 s0, exec_lo
	s_wait_dscnt 0xb
	v_dual_mov_b32 v186, v139 :: v_dual_mov_b32 v187, v138
	s_wait_dscnt 0xa
	v_dual_mov_b32 v188, v143 :: v_dual_mov_b32 v189, v142
	;; [unrolled: 2-line block ×4, first 2 shown]
	s_wait_loadcnt_dscnt 0xc07
	v_dual_mul_f32 v3, v152, v89 :: v_dual_mul_f32 v7, v154, v91
	v_dual_mul_f32 v35, v153, v89 :: v_dual_mul_f32 v37, v155, v91
	s_wait_loadcnt_dscnt 0xb06
	v_dual_mul_f32 v11, v156, v93 :: v_dual_mul_f32 v13, v158, v95
	s_delay_alu instid0(VALU_DEP_3)
	v_fmac_f32_e32 v3, v153, v88
	s_wait_loadcnt_dscnt 0x904
	v_dual_fma_f32 v35, v152, v88, -v35 :: v_dual_mul_f32 v47, v165, v101
	v_dual_mul_f32 v39, v157, v93 :: v_dual_mul_f32 v41, v159, v95
	v_dual_fma_f32 v37, v154, v90, -v37 :: v_dual_fmac_f32 v7, v155, v90
	v_add_f32_e32 v3, 0, v3
	s_delay_alu instid0(VALU_DEP_4) | instskip(NEXT) | instid1(VALU_DEP_4)
	v_dual_add_f32 v35, 0, v35 :: v_dual_fmac_f32 v11, v157, v92
	v_dual_mul_f32 v49, v167, v103 :: v_dual_fma_f32 v39, v156, v92, -v39
	s_delay_alu instid0(VALU_DEP_3) | instskip(NEXT) | instid1(VALU_DEP_3)
	v_add_f32_e32 v3, v3, v7
	v_dual_add_f32 v7, v35, v37 :: v_dual_fma_f32 v37, v158, v94, -v41
	v_dual_mul_f32 v15, v160, v97 :: v_dual_mul_f32 v17, v162, v99
	v_dual_mul_f32 v43, v161, v97 :: v_dual_mul_f32 v45, v163, v99
	s_wait_loadcnt_dscnt 0x803
	v_dual_mul_f32 v35, v169, v105 :: v_dual_fmac_f32 v13, v159, v94
	s_delay_alu instid0(VALU_DEP_3) | instskip(SKIP_2) | instid1(VALU_DEP_3)
	v_dual_fmac_f32 v15, v161, v96 :: v_dual_add_f32 v3, v3, v11
	v_dual_add_f32 v7, v7, v39 :: v_dual_mul_f32 v19, v164, v101
	v_dual_mul_f32 v21, v166, v103 :: v_dual_fma_f32 v39, v160, v96, -v43
	v_add_f32_e32 v3, v3, v13
	s_wait_loadcnt_dscnt 0x702
	v_mul_f32_e32 v13, v173, v109
	v_add_f32_e32 v7, v7, v37
	v_dual_mul_f32 v11, v171, v107 :: v_dual_fma_f32 v37, v162, v98, -v45
	v_dual_mul_f32 v23, v168, v105 :: v_dual_mul_f32 v25, v170, v107
	s_delay_alu instid0(VALU_DEP_3) | instskip(SKIP_1) | instid1(VALU_DEP_3)
	v_dual_add_f32 v7, v7, v39 :: v_dual_mul_f32 v27, v172, v109
	v_dual_mul_f32 v29, v174, v111 :: v_dual_fmac_f32 v17, v163, v98
	v_fmac_f32_e32 v23, v169, v104
	v_dual_fmac_f32 v19, v165, v100 :: v_dual_add_f32 v3, v3, v15
	s_delay_alu instid0(VALU_DEP_4) | instskip(SKIP_1) | instid1(VALU_DEP_3)
	v_dual_fma_f32 v39, v164, v100, -v47 :: v_dual_add_f32 v7, v7, v37
	v_dual_fmac_f32 v27, v173, v108 :: v_dual_fma_f32 v37, v166, v102, -v49
	v_dual_add_f32 v3, v3, v17 :: v_dual_fma_f32 v11, v170, v106, -v11
	s_delay_alu instid0(VALU_DEP_3) | instskip(SKIP_1) | instid1(VALU_DEP_3)
	v_dual_add_f32 v7, v7, v39 :: v_dual_fma_f32 v13, v172, v108, -v13
	v_dual_mul_f32 v15, v175, v111 :: v_dual_fma_f32 v35, v168, v104, -v35
	v_add_f32_e32 v3, v3, v19
	s_wait_loadcnt_dscnt 0x601
	v_mul_f32_e32 v19, v179, v115
	v_add_f32_e32 v7, v7, v37
	v_dual_mul_f32 v31, v176, v113 :: v_dual_mul_f32 v33, v178, v115
	v_dual_fmac_f32 v21, v167, v102 :: v_dual_mul_f32 v17, v177, v113
	s_delay_alu instid0(VALU_DEP_2) | instskip(SKIP_2) | instid1(VALU_DEP_3)
	v_dual_add_f32 v7, v7, v35 :: v_dual_fmac_f32 v31, v177, v112
	s_wait_loadcnt_dscnt 0x500
	v_dual_mul_f32 v195, v180, v117 :: v_dual_mul_f32 v197, v182, v119
	v_add_f32_e32 v3, v3, v21
	s_delay_alu instid0(VALU_DEP_3) | instskip(NEXT) | instid1(VALU_DEP_3)
	v_dual_add_f32 v7, v7, v11 :: v_dual_mul_f32 v21, v181, v117
	v_dual_fmac_f32 v25, v171, v106 :: v_dual_fmac_f32 v195, v181, v116
	v_fmac_f32_e32 v29, v175, v110
	s_delay_alu instid0(VALU_DEP_3) | instskip(NEXT) | instid1(VALU_DEP_4)
	v_dual_add_f32 v7, v7, v13 :: v_dual_fma_f32 v13, v176, v112, -v17
	v_dual_add_f32 v3, v3, v23 :: v_dual_fma_f32 v194, v180, v116, -v21
	v_fma_f32 v11, v174, v110, -v15
	v_fmac_f32_e32 v33, v179, v114
	v_dual_mul_f32 v23, v183, v119 :: v_dual_fmac_f32 v197, v183, v118
	s_delay_alu instid0(VALU_DEP_4) | instskip(NEXT) | instid1(VALU_DEP_4)
	v_add_f32_e32 v3, v3, v25
	v_dual_add_f32 v7, v7, v11 :: v_dual_fma_f32 v11, v178, v114, -v19
	s_wait_loadcnt 0x4
	v_pk_mul_f32 v[88:89], v[136:137], v[120:121] op_sel:[1,1] op_sel_hi:[0,1]
	s_wait_loadcnt 0x3
	v_dual_mov_b32 v90, v123 :: v_dual_mov_b32 v94, v127
	v_add_f32_e32 v3, v3, v27
	v_dual_add_f32 v7, v7, v13 :: v_dual_fma_f32 v196, v182, v118, -v23
	v_pk_fma_f32 v[98:99], v[136:137], v[120:121], v[88:89] op_sel_hi:[1,0,1]
	s_delay_alu instid0(VALU_DEP_4) | instskip(NEXT) | instid1(VALU_DEP_4)
	v_pk_mul_f32 v[90:91], v[186:187], v[90:91] op_sel_hi:[1,0]
	v_add_f32_e32 v3, v3, v29
	s_delay_alu instid0(VALU_DEP_4)
	v_add_f32_e32 v96, v7, v11
	v_pk_fma_f32 v[88:89], v[136:137], v[120:121], v[88:89] neg_lo:[0,0,1] neg_hi:[0,0,1]
	v_pk_mul_f32 v[92:93], v[140:141], v[124:125] op_sel:[1,1] op_sel_hi:[0,1]
	v_mov_b32_e32 v89, v99
	v_add_f32_e32 v3, v3, v31
	v_pk_fma_f32 v[98:99], v[138:139], v[122:123], v[90:91] op_sel_hi:[1,0,1]
	v_pk_fma_f32 v[90:91], v[138:139], v[122:123], v[90:91] neg_lo:[0,0,1] neg_hi:[0,0,1]
	v_pk_fma_f32 v[102:103], v[140:141], v[124:125], v[92:93] op_sel_hi:[1,0,1]
	v_pk_mul_f32 v[94:95], v[188:189], v[94:95] op_sel_hi:[1,0]
	v_add_f32_e32 v97, v3, v33
	v_mov_b32_e32 v91, v99
	s_wait_loadcnt 0x2
	v_pk_mul_f32 v[100:101], v[144:145], v[128:129] op_sel:[1,1] op_sel_hi:[0,1]
	v_pk_fma_f32 v[92:93], v[140:141], v[124:125], v[92:93] neg_lo:[0,0,1] neg_hi:[0,0,1]
	v_mov_b32_e32 v93, v103
	v_pk_add_f32 v[96:97], v[96:97], v[194:195]
	v_pk_fma_f32 v[98:99], v[142:143], v[126:127], v[94:95] op_sel_hi:[1,0,1]
	v_pk_fma_f32 v[94:95], v[142:143], v[126:127], v[94:95] neg_lo:[0,0,1] neg_hi:[0,0,1]
	s_delay_alu instid0(VALU_DEP_3) | instskip(NEXT) | instid1(VALU_DEP_1)
	v_pk_add_f32 v[96:97], v[96:97], v[196:197]
	v_pk_add_f32 v[88:89], v[96:97], v[88:89]
	v_mov_b32_e32 v96, v131
	s_delay_alu instid0(VALU_DEP_2) | instskip(SKIP_1) | instid1(VALU_DEP_3)
	v_pk_add_f32 v[88:89], v[88:89], v[90:91]
	v_pk_fma_f32 v[90:91], v[144:145], v[128:129], v[100:101] op_sel_hi:[1,0,1]
	v_pk_mul_f32 v[96:97], v[190:191], v[96:97] op_sel_hi:[1,0]
	v_mov_b32_e32 v95, v99
	v_pk_fma_f32 v[98:99], v[144:145], v[128:129], v[100:101] neg_lo:[0,0,1] neg_hi:[0,0,1]
	v_pk_add_f32 v[88:89], v[88:89], v[92:93]
	v_mov_b32_e32 v99, v91
	v_pk_fma_f32 v[90:91], v[146:147], v[130:131], v[96:97] op_sel_hi:[1,0,1]
	s_wait_loadcnt 0x1
	v_pk_mul_f32 v[92:93], v[148:149], v[132:133] op_sel:[1,1] op_sel_hi:[0,1]
	v_mov_b32_e32 v90, v135
	v_pk_add_f32 v[88:89], v[88:89], v[94:95]
	v_pk_fma_f32 v[96:97], v[146:147], v[130:131], v[96:97] neg_lo:[0,0,1] neg_hi:[0,0,1]
	v_mov_b32_e32 v97, v91
	v_pk_fma_f32 v[94:95], v[148:149], v[132:133], v[92:93] op_sel_hi:[1,0,1]
	v_pk_mul_f32 v[90:91], v[192:193], v[90:91] op_sel_hi:[1,0]
	v_pk_add_f32 v[88:89], v[88:89], v[98:99]
	v_pk_fma_f32 v[92:93], v[148:149], v[132:133], v[92:93] neg_lo:[0,0,1] neg_hi:[0,0,1]
	s_delay_alu instid0(VALU_DEP_4) | instskip(NEXT) | instid1(VALU_DEP_4)
	v_mov_b32_e32 v93, v95
	v_pk_fma_f32 v[94:95], v[150:151], v[134:135], v[90:91] op_sel_hi:[1,0,1]
	s_delay_alu instid0(VALU_DEP_4) | instskip(SKIP_1) | instid1(VALU_DEP_3)
	v_pk_add_f32 v[88:89], v[88:89], v[96:97]
	v_pk_fma_f32 v[90:91], v[150:151], v[134:135], v[90:91] neg_lo:[0,0,1] neg_hi:[0,0,1]
	v_mov_b32_e32 v91, v95
	s_delay_alu instid0(VALU_DEP_3) | instskip(NEXT) | instid1(VALU_DEP_1)
	v_pk_add_f32 v[88:89], v[88:89], v[92:93]
	v_pk_add_f32 v[88:89], v[88:89], v[90:91]
	s_wait_loadcnt 0x0
	s_delay_alu instid0(VALU_DEP_1)
	v_pk_add_f32 v[88:89], v[184:185], v[88:89] neg_lo:[0,1] neg_hi:[0,1]
	scratch_store_b64 off, v[88:89], off offset:144
	s_wait_xcnt 0x0
	v_cmpx_lt_u32_e32 17, v0
	s_cbranch_execz .LBB42_237
; %bb.236:
	scratch_load_b64 v[88:89], off, off offset:136
	v_mov_b64_e32 v[90:91], 0
	scratch_store_b64 off, v[90:91], off offset:136
	s_wait_loadcnt 0x0
	ds_store_b64 v1, v[88:89]
.LBB42_237:
	s_wait_xcnt 0x0
	s_or_b32 exec_lo, exec_lo, s0
	s_wait_storecnt_dscnt 0x0
	s_barrier_signal -1
	s_barrier_wait -1
	s_clause 0xd
	scratch_load_b128 v[88:91], off, off offset:144
	scratch_load_b128 v[92:95], off, off offset:160
	;; [unrolled: 1-line block ×12, first 2 shown]
	scratch_load_b64 v[184:185], off, off offset:336
	scratch_load_b64 v[186:187], off, off offset:136
	v_mov_b32_e32 v3, 0
	ds_load_b128 v[136:139], v3 offset:624
	ds_load_b128 v[140:143], v3 offset:640
	;; [unrolled: 1-line block ×12, first 2 shown]
	ds_load_b64 v[188:189], v3 offset:688
	s_mov_b32 s0, exec_lo
	s_wait_dscnt 0xc
	v_dual_mov_b32 v190, v139 :: v_dual_mov_b32 v191, v138
	s_wait_dscnt 0x9
	v_dual_mov_b32 v192, v143 :: v_dual_mov_b32 v197, v150
	v_dual_mov_b32 v193, v142 :: v_dual_mov_b32 v194, v147
	;; [unrolled: 1-line block ×3, first 2 shown]
	s_wait_loadcnt_dscnt 0xd08
	v_dual_mul_f32 v7, v152, v89 :: v_dual_mul_f32 v39, v153, v89
	v_dual_mul_f32 v41, v155, v91 :: v_dual_mul_f32 v11, v154, v91
	s_wait_loadcnt_dscnt 0xc07
	v_mul_f32_e32 v13, v156, v93
	s_wait_loadcnt_dscnt 0xa05
	v_dual_mul_f32 v51, v165, v101 :: v_dual_fma_f32 v39, v152, v88, -v39
	v_dual_fmac_f32 v7, v153, v88 :: v_dual_mul_f32 v53, v167, v103
	v_dual_mul_f32 v43, v157, v93 :: v_dual_mul_f32 v45, v159, v95
	v_dual_fmac_f32 v11, v155, v90 :: v_dual_fma_f32 v41, v154, v90, -v41
	s_wait_loadcnt_dscnt 0x904
	s_delay_alu instid0(VALU_DEP_3) | instskip(SKIP_2) | instid1(VALU_DEP_3)
	v_dual_add_f32 v7, 0, v7 :: v_dual_mul_f32 v55, v169, v105
	v_dual_add_f32 v39, 0, v39 :: v_dual_fmac_f32 v13, v157, v92
	v_dual_mul_f32 v15, v158, v95 :: v_dual_mul_f32 v17, v160, v97
	v_dual_fma_f32 v43, v156, v92, -v43 :: v_dual_add_f32 v7, v7, v11
	s_delay_alu instid0(VALU_DEP_3) | instskip(SKIP_1) | instid1(VALU_DEP_4)
	v_dual_add_f32 v11, v39, v41 :: v_dual_fma_f32 v41, v158, v94, -v45
	v_dual_mul_f32 v47, v161, v97 :: v_dual_mul_f32 v49, v163, v99
	v_dual_fmac_f32 v15, v159, v94 :: v_dual_fmac_f32 v17, v161, v96
	s_delay_alu instid0(VALU_DEP_4) | instskip(NEXT) | instid1(VALU_DEP_4)
	v_add_f32_e32 v7, v7, v13
	v_add_f32_e32 v11, v11, v43
	v_dual_mul_f32 v19, v162, v99 :: v_dual_mul_f32 v21, v164, v101
	s_delay_alu instid0(VALU_DEP_3) | instskip(NEXT) | instid1(VALU_DEP_3)
	v_dual_fma_f32 v43, v160, v96, -v47 :: v_dual_add_f32 v7, v7, v15
	v_dual_add_f32 v11, v11, v41 :: v_dual_mul_f32 v23, v166, v103
	s_delay_alu instid0(VALU_DEP_3) | instskip(NEXT) | instid1(VALU_DEP_3)
	v_dual_mul_f32 v25, v168, v105 :: v_dual_fmac_f32 v19, v163, v98
	v_dual_fma_f32 v41, v162, v98, -v49 :: v_dual_add_f32 v7, v7, v17
	s_delay_alu instid0(VALU_DEP_3) | instskip(NEXT) | instid1(VALU_DEP_3)
	v_dual_fmac_f32 v21, v165, v100 :: v_dual_add_f32 v11, v11, v43
	v_dual_fmac_f32 v25, v169, v104 :: v_dual_mul_f32 v39, v171, v107
	s_wait_loadcnt_dscnt 0x803
	v_dual_mul_f32 v13, v173, v109 :: v_dual_mul_f32 v15, v175, v111
	s_delay_alu instid0(VALU_DEP_3) | instskip(NEXT) | instid1(VALU_DEP_3)
	v_dual_fma_f32 v43, v164, v100, -v51 :: v_dual_add_f32 v11, v11, v41
	v_fma_f32 v39, v170, v106, -v39
	v_dual_fma_f32 v41, v166, v102, -v53 :: v_dual_add_f32 v7, v7, v19
	v_dual_mul_f32 v27, v170, v107 :: v_dual_mul_f32 v29, v172, v109
	v_fmac_f32_e32 v23, v167, v102
	v_dual_add_f32 v11, v11, v43 :: v_dual_fma_f32 v15, v174, v110, -v15
	s_delay_alu instid0(VALU_DEP_4) | instskip(SKIP_4) | instid1(VALU_DEP_2)
	v_dual_fma_f32 v43, v168, v104, -v55 :: v_dual_add_f32 v7, v7, v21
	v_dual_fma_f32 v13, v172, v108, -v13 :: v_dual_mul_f32 v31, v174, v111
	s_wait_loadcnt_dscnt 0x702
	v_dual_mul_f32 v33, v176, v113 :: v_dual_mul_f32 v17, v177, v113
	v_dual_add_f32 v11, v11, v41 :: v_dual_fmac_f32 v29, v173, v108
	v_dual_add_f32 v7, v7, v23 :: v_dual_fmac_f32 v33, v177, v112
	s_wait_loadcnt_dscnt 0x601
	v_dual_mul_f32 v19, v179, v115 :: v_dual_mul_f32 v21, v181, v117
	v_dual_mul_f32 v35, v178, v115 :: v_dual_mul_f32 v37, v180, v117
	s_delay_alu instid0(VALU_DEP_3) | instskip(SKIP_4) | instid1(VALU_DEP_3)
	v_add_f32_e32 v7, v7, v25
	s_wait_loadcnt 0x5
	v_dual_mul_f32 v25, v137, v121 :: v_dual_mul_f32 v23, v183, v119
	v_add_f32_e32 v11, v11, v43
	v_dual_fmac_f32 v27, v171, v106 :: v_dual_fmac_f32 v37, v181, v116
	v_dual_fma_f32 v200, v136, v120, -v25 :: v_dual_mov_b32 v88, v123
	s_wait_loadcnt 0x4
	v_mov_b32_e32 v92, v127
	v_add_f32_e32 v11, v11, v39
	v_dual_mul_f32 v199, v182, v119 :: v_dual_mul_f32 v201, v136, v121
	v_pk_mul_f32 v[88:89], v[190:191], v[88:89] op_sel_hi:[1,0]
	v_fmac_f32_e32 v35, v179, v114
	s_delay_alu instid0(VALU_DEP_4) | instskip(NEXT) | instid1(VALU_DEP_4)
	v_dual_add_f32 v11, v11, v13 :: v_dual_fma_f32 v13, v176, v112, -v17
	v_fmac_f32_e32 v201, v137, v120
	s_delay_alu instid0(VALU_DEP_4) | instskip(SKIP_1) | instid1(VALU_DEP_4)
	v_pk_fma_f32 v[100:101], v[138:139], v[122:123], v[88:89] op_sel_hi:[1,0,1]
	v_fmac_f32_e32 v31, v175, v110
	v_add_f32_e32 v11, v11, v15
	v_pk_fma_f32 v[88:89], v[138:139], v[122:123], v[88:89] neg_lo:[0,0,1] neg_hi:[0,0,1]
	s_delay_alu instid0(VALU_DEP_4) | instskip(SKIP_1) | instid1(VALU_DEP_4)
	v_dual_fma_f32 v15, v178, v114, -v19 :: v_dual_mov_b32 v89, v101
	v_fmac_f32_e32 v199, v183, v118
	v_dual_add_f32 v11, v11, v13 :: v_dual_fma_f32 v13, v180, v116, -v21
	v_dual_add_f32 v7, v7, v27 :: v_dual_fma_f32 v198, v182, v118, -v23
	v_pk_mul_f32 v[90:91], v[140:141], v[124:125] op_sel:[1,1] op_sel_hi:[0,1]
	s_delay_alu instid0(VALU_DEP_3) | instskip(SKIP_1) | instid1(VALU_DEP_4)
	v_add_f32_e32 v11, v11, v15
	v_pk_mul_f32 v[92:93], v[192:193], v[92:93] op_sel_hi:[1,0]
	v_add_f32_e32 v7, v7, v29
	s_wait_loadcnt 0x3
	v_pk_mul_f32 v[94:95], v[144:145], v[128:129] op_sel:[1,1] op_sel_hi:[0,1]
	v_pk_fma_f32 v[102:103], v[140:141], v[124:125], v[90:91] op_sel_hi:[1,0,1]
	v_add_f32_e32 v96, v11, v13
	v_pk_fma_f32 v[90:91], v[140:141], v[124:125], v[90:91] neg_lo:[0,0,1] neg_hi:[0,0,1]
	v_add_f32_e32 v7, v7, v31
	s_delay_alu instid0(VALU_DEP_4) | instskip(SKIP_2) | instid1(VALU_DEP_4)
	v_dual_mov_b32 v98, v131 :: v_dual_mov_b32 v91, v103
	v_pk_fma_f32 v[102:103], v[142:143], v[126:127], v[92:93] op_sel_hi:[1,0,1]
	v_pk_fma_f32 v[92:93], v[142:143], v[126:127], v[92:93] neg_lo:[0,0,1] neg_hi:[0,0,1]
	v_add_f32_e32 v7, v7, v33
	s_delay_alu instid0(VALU_DEP_4) | instskip(SKIP_4) | instid1(VALU_DEP_1)
	v_pk_mul_f32 v[98:99], v[194:195], v[98:99] op_sel_hi:[1,0]
	s_wait_loadcnt 0x2
	v_pk_mul_f32 v[100:101], v[148:149], v[132:133] op_sel:[1,1] op_sel_hi:[0,1]
	v_mov_b32_e32 v93, v103
	v_add_f32_e32 v7, v7, v35
	v_add_f32_e32 v97, v7, v37
	s_delay_alu instid0(VALU_DEP_1) | instskip(NEXT) | instid1(VALU_DEP_1)
	v_pk_add_f32 v[96:97], v[96:97], v[198:199]
	v_pk_add_f32 v[96:97], v[96:97], v[200:201]
	s_delay_alu instid0(VALU_DEP_1) | instskip(SKIP_2) | instid1(VALU_DEP_3)
	v_pk_add_f32 v[88:89], v[96:97], v[88:89]
	v_pk_fma_f32 v[96:97], v[144:145], v[128:129], v[94:95] op_sel_hi:[1,0,1]
	v_pk_fma_f32 v[94:95], v[144:145], v[128:129], v[94:95] neg_lo:[0,0,1] neg_hi:[0,0,1]
	v_pk_add_f32 v[88:89], v[88:89], v[90:91]
	s_delay_alu instid0(VALU_DEP_3) | instskip(SKIP_2) | instid1(VALU_DEP_4)
	v_dual_mov_b32 v90, v135 :: v_dual_mov_b32 v95, v97
	v_pk_fma_f32 v[96:97], v[146:147], v[130:131], v[98:99] op_sel_hi:[1,0,1]
	v_pk_fma_f32 v[98:99], v[146:147], v[130:131], v[98:99] neg_lo:[0,0,1] neg_hi:[0,0,1]
	v_pk_add_f32 v[88:89], v[88:89], v[92:93]
	v_pk_fma_f32 v[92:93], v[148:149], v[132:133], v[100:101] op_sel_hi:[1,0,1]
	v_pk_mul_f32 v[90:91], v[196:197], v[90:91] op_sel_hi:[1,0]
	v_mov_b32_e32 v99, v97
	s_wait_loadcnt_dscnt 0x100
	v_pk_mul_f32 v[96:97], v[188:189], v[184:185] op_sel:[1,1] op_sel_hi:[0,1]
	v_pk_add_f32 v[88:89], v[88:89], v[94:95]
	v_pk_fma_f32 v[94:95], v[148:149], v[132:133], v[100:101] neg_lo:[0,0,1] neg_hi:[0,0,1]
	v_mov_b32_e32 v95, v93
	v_pk_fma_f32 v[92:93], v[150:151], v[134:135], v[90:91] op_sel_hi:[1,0,1]
	v_pk_fma_f32 v[90:91], v[150:151], v[134:135], v[90:91] neg_lo:[0,0,1] neg_hi:[0,0,1]
	v_pk_add_f32 v[88:89], v[88:89], v[98:99]
	s_delay_alu instid0(VALU_DEP_3) | instskip(SKIP_1) | instid1(VALU_DEP_3)
	v_mov_b32_e32 v91, v93
	v_pk_fma_f32 v[92:93], v[188:189], v[184:185], v[96:97] op_sel_hi:[1,0,1]
	v_pk_add_f32 v[88:89], v[88:89], v[94:95]
	v_pk_fma_f32 v[94:95], v[188:189], v[184:185], v[96:97] neg_lo:[0,0,1] neg_hi:[0,0,1]
	s_delay_alu instid0(VALU_DEP_3) | instskip(NEXT) | instid1(VALU_DEP_3)
	v_mov_b32_e32 v95, v93
	v_pk_add_f32 v[88:89], v[88:89], v[90:91]
	s_delay_alu instid0(VALU_DEP_1) | instskip(SKIP_1) | instid1(VALU_DEP_1)
	v_pk_add_f32 v[88:89], v[88:89], v[94:95]
	s_wait_loadcnt 0x0
	v_pk_add_f32 v[88:89], v[186:187], v[88:89] neg_lo:[0,1] neg_hi:[0,1]
	scratch_store_b64 off, v[88:89], off offset:136
	s_wait_xcnt 0x0
	v_cmpx_lt_u32_e32 16, v0
	s_cbranch_execz .LBB42_239
; %bb.238:
	scratch_load_b64 v[88:89], off, off offset:128
	v_mov_b64_e32 v[90:91], 0
	scratch_store_b64 off, v[90:91], off offset:128
	s_wait_loadcnt 0x0
	ds_store_b64 v1, v[88:89]
.LBB42_239:
	s_wait_xcnt 0x0
	s_or_b32 exec_lo, exec_lo, s0
	s_wait_storecnt_dscnt 0x0
	s_barrier_signal -1
	s_barrier_wait -1
	s_clause 0xd
	scratch_load_b128 v[88:91], off, off offset:136
	scratch_load_b128 v[92:95], off, off offset:152
	;; [unrolled: 1-line block ×13, first 2 shown]
	scratch_load_b64 v[192:193], off, off offset:128
	ds_load_2addr_b64 v[140:143], v3 offset0:79 offset1:80
	ds_load_2addr_b64 v[144:147], v3 offset0:81 offset1:82
	;; [unrolled: 1-line block ×13, first 2 shown]
	s_mov_b32 s0, exec_lo
	s_wait_dscnt 0xc
	v_dual_mov_b32 v194, v143 :: v_dual_mov_b32 v195, v142
	s_wait_dscnt 0xb
	v_dual_mov_b32 v196, v147 :: v_dual_mov_b32 v197, v146
	;; [unrolled: 2-line block ×4, first 2 shown]
	s_wait_loadcnt_dscnt 0xd08
	v_dual_mul_f32 v3, v156, v89 :: v_dual_mul_f32 v7, v158, v91
	v_dual_mul_f32 v39, v157, v89 :: v_dual_mul_f32 v41, v159, v91
	s_wait_loadcnt_dscnt 0xc07
	v_dual_mul_f32 v11, v160, v93 :: v_dual_mul_f32 v13, v162, v95
	s_delay_alu instid0(VALU_DEP_3)
	v_fmac_f32_e32 v3, v157, v88
	s_wait_loadcnt_dscnt 0xa05
	v_dual_fma_f32 v39, v156, v88, -v39 :: v_dual_mul_f32 v51, v169, v101
	v_dual_mul_f32 v43, v161, v93 :: v_dual_mul_f32 v45, v163, v95
	v_dual_fma_f32 v41, v158, v90, -v41 :: v_dual_fmac_f32 v7, v159, v90
	v_add_f32_e32 v3, 0, v3
	s_delay_alu instid0(VALU_DEP_4) | instskip(NEXT) | instid1(VALU_DEP_4)
	v_dual_add_f32 v39, 0, v39 :: v_dual_fmac_f32 v11, v161, v92
	v_dual_mul_f32 v53, v171, v103 :: v_dual_fma_f32 v43, v160, v92, -v43
	s_delay_alu instid0(VALU_DEP_3) | instskip(NEXT) | instid1(VALU_DEP_3)
	v_add_f32_e32 v3, v3, v7
	v_dual_add_f32 v7, v39, v41 :: v_dual_fma_f32 v41, v162, v94, -v45
	v_dual_mul_f32 v15, v164, v97 :: v_dual_mul_f32 v17, v166, v99
	v_dual_mul_f32 v47, v165, v97 :: v_dual_mul_f32 v49, v167, v99
	s_wait_loadcnt_dscnt 0x903
	v_dual_mul_f32 v39, v177, v105 :: v_dual_fmac_f32 v13, v163, v94
	s_delay_alu instid0(VALU_DEP_3) | instskip(SKIP_2) | instid1(VALU_DEP_3)
	v_dual_fmac_f32 v15, v165, v96 :: v_dual_add_f32 v3, v3, v11
	v_dual_add_f32 v7, v7, v43 :: v_dual_mul_f32 v19, v168, v101
	v_dual_mul_f32 v21, v170, v103 :: v_dual_fma_f32 v43, v164, v96, -v47
	v_add_f32_e32 v3, v3, v13
	s_wait_loadcnt_dscnt 0x802
	v_mul_f32_e32 v13, v181, v109
	v_add_f32_e32 v7, v7, v41
	v_dual_mul_f32 v11, v179, v107 :: v_dual_fma_f32 v41, v166, v98, -v49
	v_dual_mul_f32 v27, v180, v109 :: v_dual_mul_f32 v29, v182, v111
	s_delay_alu instid0(VALU_DEP_3) | instskip(SKIP_2) | instid1(VALU_DEP_3)
	v_dual_add_f32 v7, v7, v43 :: v_dual_fma_f32 v43, v168, v100, -v51
	v_dual_mul_f32 v23, v176, v105 :: v_dual_mul_f32 v25, v178, v107
	v_fmac_f32_e32 v17, v167, v98
	v_dual_add_f32 v7, v7, v41 :: v_dual_fmac_f32 v27, v181, v108
	v_dual_fmac_f32 v19, v169, v100 :: v_dual_add_f32 v3, v3, v15
	s_delay_alu instid0(VALU_DEP_2) | instskip(SKIP_2) | instid1(VALU_DEP_4)
	v_dual_fma_f32 v41, v170, v102, -v53 :: v_dual_add_f32 v7, v7, v43
	v_dual_fma_f32 v13, v180, v108, -v13 :: v_dual_mul_f32 v15, v183, v111
	v_fma_f32 v39, v176, v104, -v39
	v_dual_fmac_f32 v23, v177, v104 :: v_dual_add_f32 v3, v3, v17
	s_wait_loadcnt_dscnt 0x701
	v_dual_fma_f32 v11, v178, v106, -v11 :: v_dual_mul_f32 v17, v185, v113
	v_add_f32_e32 v7, v7, v41
	s_wait_loadcnt 0x5
	v_dual_mul_f32 v203, v172, v121 :: v_dual_mul_f32 v205, v174, v123
	v_fmac_f32_e32 v21, v171, v102
	s_delay_alu instid0(VALU_DEP_3) | instskip(SKIP_2) | instid1(VALU_DEP_3)
	v_dual_fma_f32 v17, v184, v112, -v17 :: v_dual_add_f32 v7, v7, v39
	v_dual_add_f32 v3, v3, v19 :: v_dual_mul_f32 v31, v184, v113
	v_dual_mul_f32 v33, v186, v115 :: v_dual_mul_f32 v19, v187, v115
	v_dual_fma_f32 v15, v182, v110, -v15 :: v_dual_add_f32 v7, v7, v11
	v_dual_fmac_f32 v203, v173, v120 :: v_dual_mul_f32 v11, v173, v121
	s_delay_alu instid0(VALU_DEP_4) | instskip(NEXT) | instid1(VALU_DEP_3)
	v_dual_add_f32 v3, v3, v21 :: v_dual_fmac_f32 v31, v185, v112
	v_add_f32_e32 v7, v7, v13
	s_wait_dscnt 0x0
	v_dual_mul_f32 v35, v188, v117 :: v_dual_mul_f32 v37, v190, v119
	v_fmac_f32_e32 v25, v179, v106
	v_add_f32_e32 v3, v3, v23
	v_add_f32_e32 v7, v7, v15
	s_delay_alu instid0(VALU_DEP_4) | instskip(SKIP_1) | instid1(VALU_DEP_4)
	v_dual_mul_f32 v23, v191, v119 :: v_dual_fmac_f32 v37, v191, v118
	v_fma_f32 v15, v186, v114, -v19
	v_dual_fmac_f32 v35, v189, v116 :: v_dual_add_f32 v3, v3, v25
	s_delay_alu instid0(VALU_DEP_4) | instskip(SKIP_2) | instid1(VALU_DEP_3)
	v_add_f32_e32 v7, v7, v17
	v_dual_fmac_f32 v29, v183, v110 :: v_dual_fma_f32 v202, v172, v120, -v11
	v_dual_mul_f32 v13, v175, v123 :: v_dual_fmac_f32 v205, v175, v122
	v_dual_add_f32 v7, v7, v15 :: v_dual_fma_f32 v15, v190, v118, -v23
	s_delay_alu instid0(VALU_DEP_2) | instskip(SKIP_3) | instid1(VALU_DEP_3)
	v_dual_add_f32 v3, v3, v27 :: v_dual_fma_f32 v204, v174, v122, -v13
	v_dual_mul_f32 v21, v189, v117 :: v_dual_fmac_f32 v33, v187, v114
	s_wait_loadcnt 0x4
	v_pk_mul_f32 v[88:89], v[140:141], v[124:125] op_sel:[1,1] op_sel_hi:[0,1]
	v_add_f32_e32 v3, v3, v29
	s_wait_loadcnt 0x3
	v_dual_mov_b32 v90, v127 :: v_dual_mov_b32 v94, v131
	v_fma_f32 v17, v188, v116, -v21
	v_pk_fma_f32 v[98:99], v[140:141], v[124:125], v[88:89] op_sel_hi:[1,0,1]
	v_add_f32_e32 v3, v3, v31
	s_delay_alu instid0(VALU_DEP_4)
	v_pk_mul_f32 v[90:91], v[194:195], v[90:91] op_sel_hi:[1,0]
	v_pk_fma_f32 v[88:89], v[140:141], v[124:125], v[88:89] neg_lo:[0,0,1] neg_hi:[0,0,1]
	v_add_f32_e32 v7, v7, v17
	v_pk_mul_f32 v[92:93], v[144:145], v[128:129] op_sel:[1,1] op_sel_hi:[0,1]
	v_add_f32_e32 v3, v3, v33
	v_mov_b32_e32 v89, v99
	v_pk_fma_f32 v[98:99], v[142:143], v[126:127], v[90:91] op_sel_hi:[1,0,1]
	v_add_f32_e32 v96, v7, v15
	v_pk_fma_f32 v[90:91], v[142:143], v[126:127], v[90:91] neg_lo:[0,0,1] neg_hi:[0,0,1]
	v_add_f32_e32 v3, v3, v35
	v_pk_fma_f32 v[102:103], v[144:145], v[128:129], v[92:93] op_sel_hi:[1,0,1]
	v_pk_mul_f32 v[94:95], v[196:197], v[94:95] op_sel_hi:[1,0]
	v_mov_b32_e32 v91, v99
	s_wait_loadcnt 0x2
	v_pk_mul_f32 v[100:101], v[148:149], v[132:133] op_sel:[1,1] op_sel_hi:[0,1]
	v_add_f32_e32 v97, v3, v37
	v_pk_fma_f32 v[92:93], v[144:145], v[128:129], v[92:93] neg_lo:[0,0,1] neg_hi:[0,0,1]
	v_mov_b32_e32 v93, v103
	v_pk_fma_f32 v[98:99], v[146:147], v[130:131], v[94:95] op_sel_hi:[1,0,1]
	v_pk_fma_f32 v[94:95], v[146:147], v[130:131], v[94:95] neg_lo:[0,0,1] neg_hi:[0,0,1]
	v_pk_add_f32 v[96:97], v[96:97], v[202:203]
	s_delay_alu instid0(VALU_DEP_1) | instskip(NEXT) | instid1(VALU_DEP_1)
	v_pk_add_f32 v[96:97], v[96:97], v[204:205]
	v_pk_add_f32 v[88:89], v[96:97], v[88:89]
	v_mov_b32_e32 v96, v135
	s_delay_alu instid0(VALU_DEP_2) | instskip(SKIP_1) | instid1(VALU_DEP_3)
	v_pk_add_f32 v[88:89], v[88:89], v[90:91]
	v_pk_fma_f32 v[90:91], v[148:149], v[132:133], v[100:101] op_sel_hi:[1,0,1]
	v_pk_mul_f32 v[96:97], v[198:199], v[96:97] op_sel_hi:[1,0]
	v_mov_b32_e32 v95, v99
	v_pk_fma_f32 v[98:99], v[148:149], v[132:133], v[100:101] neg_lo:[0,0,1] neg_hi:[0,0,1]
	v_pk_add_f32 v[88:89], v[88:89], v[92:93]
	v_mov_b32_e32 v99, v91
	v_pk_fma_f32 v[90:91], v[150:151], v[134:135], v[96:97] op_sel_hi:[1,0,1]
	s_wait_loadcnt 0x1
	v_pk_mul_f32 v[92:93], v[152:153], v[136:137] op_sel:[1,1] op_sel_hi:[0,1]
	v_mov_b32_e32 v90, v139
	v_pk_add_f32 v[88:89], v[88:89], v[94:95]
	v_pk_fma_f32 v[96:97], v[150:151], v[134:135], v[96:97] neg_lo:[0,0,1] neg_hi:[0,0,1]
	v_mov_b32_e32 v97, v91
	v_pk_fma_f32 v[94:95], v[152:153], v[136:137], v[92:93] op_sel_hi:[1,0,1]
	v_pk_mul_f32 v[90:91], v[200:201], v[90:91] op_sel_hi:[1,0]
	v_pk_add_f32 v[88:89], v[88:89], v[98:99]
	v_pk_fma_f32 v[92:93], v[152:153], v[136:137], v[92:93] neg_lo:[0,0,1] neg_hi:[0,0,1]
	s_delay_alu instid0(VALU_DEP_4) | instskip(NEXT) | instid1(VALU_DEP_4)
	v_mov_b32_e32 v93, v95
	v_pk_fma_f32 v[94:95], v[154:155], v[138:139], v[90:91] op_sel_hi:[1,0,1]
	s_delay_alu instid0(VALU_DEP_4) | instskip(SKIP_1) | instid1(VALU_DEP_3)
	v_pk_add_f32 v[88:89], v[88:89], v[96:97]
	v_pk_fma_f32 v[90:91], v[154:155], v[138:139], v[90:91] neg_lo:[0,0,1] neg_hi:[0,0,1]
	v_mov_b32_e32 v91, v95
	s_delay_alu instid0(VALU_DEP_3) | instskip(NEXT) | instid1(VALU_DEP_1)
	v_pk_add_f32 v[88:89], v[88:89], v[92:93]
	v_pk_add_f32 v[88:89], v[88:89], v[90:91]
	s_wait_loadcnt 0x0
	s_delay_alu instid0(VALU_DEP_1)
	v_pk_add_f32 v[88:89], v[192:193], v[88:89] neg_lo:[0,1] neg_hi:[0,1]
	scratch_store_b64 off, v[88:89], off offset:128
	s_wait_xcnt 0x0
	v_cmpx_lt_u32_e32 15, v0
	s_cbranch_execz .LBB42_241
; %bb.240:
	scratch_load_b64 v[88:89], off, off offset:120
	v_mov_b64_e32 v[90:91], 0
	scratch_store_b64 off, v[90:91], off offset:120
	s_wait_loadcnt 0x0
	ds_store_b64 v1, v[88:89]
.LBB42_241:
	s_wait_xcnt 0x0
	s_or_b32 exec_lo, exec_lo, s0
	s_wait_storecnt_dscnt 0x0
	s_barrier_signal -1
	s_barrier_wait -1
	s_clause 0xe
	scratch_load_b128 v[88:91], off, off offset:128
	scratch_load_b128 v[92:95], off, off offset:144
	;; [unrolled: 1-line block ×13, first 2 shown]
	scratch_load_b64 v[192:193], off, off offset:336
	scratch_load_b64 v[194:195], off, off offset:120
	v_mov_b32_e32 v3, 0
	ds_load_b128 v[140:143], v3 offset:624
	ds_load_b128 v[144:147], v3 offset:640
	;; [unrolled: 1-line block ×13, first 2 shown]
	ds_load_b64 v[196:197], v3 offset:688
	s_mov_b32 s0, exec_lo
	s_wait_dscnt 0xd
	v_dual_mov_b32 v198, v143 :: v_dual_mov_b32 v199, v142
	s_wait_dscnt 0xa
	v_dual_mov_b32 v200, v147 :: v_dual_mov_b32 v205, v154
	v_dual_mov_b32 v201, v146 :: v_dual_mov_b32 v202, v151
	v_dual_mov_b32 v203, v150 :: v_dual_mov_b32 v204, v155
	s_wait_loadcnt_dscnt 0xe09
	v_dual_mul_f32 v7, v156, v89 :: v_dual_mul_f32 v43, v157, v89
	v_dual_mul_f32 v45, v159, v91 :: v_dual_mul_f32 v11, v158, v91
	s_wait_loadcnt_dscnt 0xd08
	v_mul_f32_e32 v13, v160, v93
	s_wait_loadcnt_dscnt 0xb05
	v_dual_mul_f32 v55, v173, v101 :: v_dual_fma_f32 v43, v156, v88, -v43
	v_dual_fmac_f32 v7, v157, v88 :: v_dual_mul_f32 v57, v175, v103
	v_dual_mul_f32 v47, v161, v93 :: v_dual_mul_f32 v49, v163, v95
	v_dual_fmac_f32 v11, v159, v90 :: v_dual_fma_f32 v45, v158, v90, -v45
	s_wait_loadcnt_dscnt 0xa04
	s_delay_alu instid0(VALU_DEP_3) | instskip(SKIP_1) | instid1(VALU_DEP_2)
	v_dual_add_f32 v7, 0, v7 :: v_dual_mul_f32 v59, v177, v105
	v_dual_add_f32 v43, 0, v43 :: v_dual_fmac_f32 v13, v161, v92
	v_dual_fma_f32 v47, v160, v92, -v47 :: v_dual_add_f32 v7, v7, v11
	v_dual_mul_f32 v51, v165, v97 :: v_dual_mul_f32 v53, v167, v99
	s_delay_alu instid0(VALU_DEP_3) | instskip(SKIP_2) | instid1(VALU_DEP_3)
	v_dual_add_f32 v11, v43, v45 :: v_dual_fma_f32 v45, v162, v94, -v49
	v_dual_mul_f32 v15, v162, v95 :: v_dual_mul_f32 v17, v164, v97
	v_dual_mul_f32 v19, v166, v99 :: v_dual_mul_f32 v21, v172, v101
	v_add_f32_e32 v11, v11, v47
	v_dual_add_f32 v7, v7, v13 :: v_dual_fma_f32 v47, v164, v96, -v51
	v_dual_mul_f32 v23, v174, v103 :: v_dual_mul_f32 v25, v176, v105
	s_delay_alu instid0(VALU_DEP_3) | instskip(SKIP_1) | instid1(VALU_DEP_2)
	v_dual_add_f32 v11, v11, v45 :: v_dual_fmac_f32 v21, v173, v100
	v_dual_fmac_f32 v15, v163, v94 :: v_dual_fmac_f32 v17, v165, v96
	v_dual_fma_f32 v45, v166, v98, -v53 :: v_dual_add_f32 v11, v11, v47
	s_delay_alu instid0(VALU_DEP_4) | instskip(SKIP_1) | instid1(VALU_DEP_3)
	v_dual_fmac_f32 v25, v177, v104 :: v_dual_mul_f32 v43, v179, v107
	s_wait_loadcnt_dscnt 0x903
	v_dual_mul_f32 v13, v181, v109 :: v_dual_add_f32 v7, v7, v15
	v_dual_mul_f32 v15, v183, v111 :: v_dual_fma_f32 v47, v172, v100, -v55
	s_delay_alu instid0(VALU_DEP_3) | instskip(SKIP_1) | instid1(VALU_DEP_4)
	v_dual_add_f32 v11, v11, v45 :: v_dual_fma_f32 v43, v178, v106, -v43
	v_fmac_f32_e32 v19, v167, v98
	v_dual_add_f32 v7, v7, v17 :: v_dual_fma_f32 v45, v174, v102, -v57
	s_delay_alu instid0(VALU_DEP_3) | instskip(SKIP_2) | instid1(VALU_DEP_3)
	v_dual_add_f32 v11, v11, v47 :: v_dual_fma_f32 v15, v182, v110, -v15
	s_wait_loadcnt_dscnt 0x802
	v_dual_mul_f32 v31, v182, v111 :: v_dual_mul_f32 v33, v184, v113
	v_dual_add_f32 v7, v7, v19 :: v_dual_fma_f32 v47, v176, v104, -v59
	s_delay_alu instid0(VALU_DEP_3) | instskip(SKIP_1) | instid1(VALU_DEP_3)
	v_dual_add_f32 v11, v11, v45 :: v_dual_mul_f32 v27, v178, v107
	v_mul_f32_e32 v29, v180, v109
	v_dual_add_f32 v7, v7, v21 :: v_dual_fma_f32 v13, v180, v108, -v13
	s_wait_loadcnt_dscnt 0x701
	v_mul_f32_e32 v21, v189, v117
	v_dual_fmac_f32 v33, v185, v112 :: v_dual_add_f32 v11, v11, v47
	s_wait_loadcnt 0x6
	v_dual_mul_f32 v39, v190, v119 :: v_dual_mul_f32 v41, v168, v121
	v_dual_fmac_f32 v23, v175, v102 :: v_dual_fmac_f32 v29, v181, v108
	s_delay_alu instid0(VALU_DEP_3) | instskip(NEXT) | instid1(VALU_DEP_2)
	v_dual_add_f32 v11, v11, v43 :: v_dual_mul_f32 v17, v185, v113
	v_dual_fmac_f32 v41, v169, v120 :: v_dual_add_f32 v7, v7, v23
	v_mul_f32_e32 v19, v187, v115
	s_delay_alu instid0(VALU_DEP_3) | instskip(SKIP_4) | instid1(VALU_DEP_3)
	v_add_f32_e32 v11, v11, v13
	s_wait_loadcnt 0x5
	v_dual_mul_f32 v13, v141, v125 :: v_dual_mul_f32 v23, v191, v119
	v_dual_fma_f32 v17, v184, v112, -v17 :: v_dual_mul_f32 v35, v186, v115
	v_mul_f32_e32 v37, v188, v117
	v_dual_fma_f32 v208, v140, v124, -v13 :: v_dual_add_f32 v11, v11, v15
	v_fmac_f32_e32 v27, v179, v106
	v_add_f32_e32 v7, v7, v25
	v_dual_mul_f32 v25, v169, v121 :: v_dual_fma_f32 v15, v186, v114, -v19
	s_delay_alu instid0(VALU_DEP_4) | instskip(SKIP_3) | instid1(VALU_DEP_3)
	v_add_f32_e32 v11, v11, v17
	s_wait_loadcnt 0x4
	v_dual_mov_b32 v88, v127 :: v_dual_mov_b32 v92, v131
	v_dual_fmac_f32 v37, v189, v116 :: v_dual_add_f32 v7, v7, v27
	v_dual_fma_f32 v17, v188, v116, -v21 :: v_dual_add_f32 v11, v11, v15
	v_dual_mul_f32 v207, v170, v123 :: v_dual_mul_f32 v209, v140, v125
	v_mul_f32_e32 v27, v171, v123
	v_fmac_f32_e32 v31, v183, v110
	s_delay_alu instid0(VALU_DEP_4) | instskip(SKIP_1) | instid1(VALU_DEP_4)
	v_dual_fma_f32 v15, v190, v118, -v23 :: v_dual_add_f32 v11, v11, v17
	v_dual_fma_f32 v17, v168, v120, -v25 :: v_dual_add_f32 v7, v7, v29
	v_fma_f32 v206, v170, v122, -v27
	v_pk_mul_f32 v[88:89], v[198:199], v[88:89] op_sel_hi:[1,0]
	v_dual_fmac_f32 v209, v141, v124 :: v_dual_fmac_f32 v35, v187, v114
	v_fmac_f32_e32 v39, v191, v118
	v_add_f32_e32 v11, v11, v15
	s_delay_alu instid0(VALU_DEP_4) | instskip(SKIP_3) | instid1(VALU_DEP_4)
	v_pk_fma_f32 v[100:101], v[142:143], v[126:127], v[88:89] op_sel_hi:[1,0,1]
	v_add_f32_e32 v7, v7, v31
	v_pk_fma_f32 v[88:89], v[142:143], v[126:127], v[88:89] neg_lo:[0,0,1] neg_hi:[0,0,1]
	v_fmac_f32_e32 v207, v171, v122
	v_dual_add_f32 v96, v11, v17 :: v_dual_mov_b32 v89, v101
	s_delay_alu instid0(VALU_DEP_4)
	v_add_f32_e32 v7, v7, v33
	v_pk_mul_f32 v[90:91], v[144:145], v[128:129] op_sel:[1,1] op_sel_hi:[0,1]
	v_pk_mul_f32 v[92:93], v[200:201], v[92:93] op_sel_hi:[1,0]
	s_wait_loadcnt 0x3
	v_pk_mul_f32 v[94:95], v[148:149], v[132:133] op_sel:[1,1] op_sel_hi:[0,1]
	s_wait_loadcnt 0x2
	v_pk_mul_f32 v[100:101], v[152:153], v[136:137] op_sel:[1,1] op_sel_hi:[0,1]
	v_add_f32_e32 v7, v7, v35
	v_pk_fma_f32 v[102:103], v[144:145], v[128:129], v[90:91] op_sel_hi:[1,0,1]
	v_pk_fma_f32 v[90:91], v[144:145], v[128:129], v[90:91] neg_lo:[0,0,1] neg_hi:[0,0,1]
	v_mov_b32_e32 v98, v135
	s_delay_alu instid0(VALU_DEP_4) | instskip(NEXT) | instid1(VALU_DEP_4)
	v_add_f32_e32 v7, v7, v37
	v_mov_b32_e32 v91, v103
	v_pk_fma_f32 v[102:103], v[146:147], v[130:131], v[92:93] op_sel_hi:[1,0,1]
	v_pk_fma_f32 v[92:93], v[146:147], v[130:131], v[92:93] neg_lo:[0,0,1] neg_hi:[0,0,1]
	v_pk_mul_f32 v[98:99], v[202:203], v[98:99] op_sel_hi:[1,0]
	v_add_f32_e32 v7, v7, v39
	s_delay_alu instid0(VALU_DEP_4) | instskip(NEXT) | instid1(VALU_DEP_2)
	v_mov_b32_e32 v93, v103
	v_add_f32_e32 v97, v7, v41
	s_delay_alu instid0(VALU_DEP_1) | instskip(NEXT) | instid1(VALU_DEP_1)
	v_pk_add_f32 v[96:97], v[96:97], v[206:207]
	v_pk_add_f32 v[96:97], v[96:97], v[208:209]
	s_delay_alu instid0(VALU_DEP_1) | instskip(SKIP_2) | instid1(VALU_DEP_3)
	v_pk_add_f32 v[88:89], v[96:97], v[88:89]
	v_pk_fma_f32 v[96:97], v[148:149], v[132:133], v[94:95] op_sel_hi:[1,0,1]
	v_pk_fma_f32 v[94:95], v[148:149], v[132:133], v[94:95] neg_lo:[0,0,1] neg_hi:[0,0,1]
	v_pk_add_f32 v[88:89], v[88:89], v[90:91]
	s_delay_alu instid0(VALU_DEP_3) | instskip(SKIP_2) | instid1(VALU_DEP_4)
	v_dual_mov_b32 v90, v139 :: v_dual_mov_b32 v95, v97
	v_pk_fma_f32 v[96:97], v[150:151], v[134:135], v[98:99] op_sel_hi:[1,0,1]
	v_pk_fma_f32 v[98:99], v[150:151], v[134:135], v[98:99] neg_lo:[0,0,1] neg_hi:[0,0,1]
	v_pk_add_f32 v[88:89], v[88:89], v[92:93]
	v_pk_fma_f32 v[92:93], v[152:153], v[136:137], v[100:101] op_sel_hi:[1,0,1]
	v_pk_mul_f32 v[90:91], v[204:205], v[90:91] op_sel_hi:[1,0]
	v_mov_b32_e32 v99, v97
	s_wait_loadcnt_dscnt 0x100
	v_pk_mul_f32 v[96:97], v[196:197], v[192:193] op_sel:[1,1] op_sel_hi:[0,1]
	v_pk_add_f32 v[88:89], v[88:89], v[94:95]
	v_pk_fma_f32 v[94:95], v[152:153], v[136:137], v[100:101] neg_lo:[0,0,1] neg_hi:[0,0,1]
	v_mov_b32_e32 v95, v93
	v_pk_fma_f32 v[92:93], v[154:155], v[138:139], v[90:91] op_sel_hi:[1,0,1]
	v_pk_fma_f32 v[90:91], v[154:155], v[138:139], v[90:91] neg_lo:[0,0,1] neg_hi:[0,0,1]
	v_pk_add_f32 v[88:89], v[88:89], v[98:99]
	s_delay_alu instid0(VALU_DEP_3) | instskip(SKIP_1) | instid1(VALU_DEP_3)
	v_mov_b32_e32 v91, v93
	v_pk_fma_f32 v[92:93], v[196:197], v[192:193], v[96:97] op_sel_hi:[1,0,1]
	v_pk_add_f32 v[88:89], v[88:89], v[94:95]
	v_pk_fma_f32 v[94:95], v[196:197], v[192:193], v[96:97] neg_lo:[0,0,1] neg_hi:[0,0,1]
	s_delay_alu instid0(VALU_DEP_3) | instskip(NEXT) | instid1(VALU_DEP_3)
	v_mov_b32_e32 v95, v93
	v_pk_add_f32 v[88:89], v[88:89], v[90:91]
	s_delay_alu instid0(VALU_DEP_1) | instskip(SKIP_1) | instid1(VALU_DEP_1)
	v_pk_add_f32 v[88:89], v[88:89], v[94:95]
	s_wait_loadcnt 0x0
	v_pk_add_f32 v[88:89], v[194:195], v[88:89] neg_lo:[0,1] neg_hi:[0,1]
	scratch_store_b64 off, v[88:89], off offset:120
	s_wait_xcnt 0x0
	v_cmpx_lt_u32_e32 14, v0
	s_cbranch_execz .LBB42_243
; %bb.242:
	scratch_load_b64 v[88:89], off, off offset:112
	v_mov_b64_e32 v[90:91], 0
	scratch_store_b64 off, v[90:91], off offset:112
	s_wait_loadcnt 0x0
	ds_store_b64 v1, v[88:89]
.LBB42_243:
	s_wait_xcnt 0x0
	s_or_b32 exec_lo, exec_lo, s0
	s_wait_storecnt_dscnt 0x0
	s_barrier_signal -1
	s_barrier_wait -1
	s_clause 0xe
	scratch_load_b128 v[88:91], off, off offset:120
	scratch_load_b128 v[92:95], off, off offset:136
	;; [unrolled: 1-line block ×14, first 2 shown]
	scratch_load_b64 v[200:201], off, off offset:112
	ds_load_2addr_b64 v[144:147], v3 offset0:79 offset1:80
	ds_load_2addr_b64 v[148:151], v3 offset0:81 offset1:82
	;; [unrolled: 1-line block ×14, first 2 shown]
	s_mov_b32 s0, exec_lo
	s_wait_dscnt 0xd
	v_dual_mov_b32 v202, v147 :: v_dual_mov_b32 v203, v146
	s_wait_dscnt 0xc
	v_dual_mov_b32 v204, v151 :: v_dual_mov_b32 v205, v150
	;; [unrolled: 2-line block ×4, first 2 shown]
	s_wait_loadcnt_dscnt 0xe09
	v_dual_mul_f32 v3, v160, v89 :: v_dual_mul_f32 v7, v162, v91
	v_dual_mul_f32 v43, v161, v89 :: v_dual_mul_f32 v45, v163, v91
	s_wait_loadcnt_dscnt 0xd08
	v_dual_mul_f32 v11, v164, v93 :: v_dual_mul_f32 v13, v166, v95
	s_delay_alu instid0(VALU_DEP_3)
	v_fmac_f32_e32 v3, v161, v88
	s_wait_loadcnt_dscnt 0xb06
	v_dual_fma_f32 v43, v160, v88, -v43 :: v_dual_mul_f32 v55, v173, v101
	v_dual_mul_f32 v47, v165, v93 :: v_dual_mul_f32 v49, v167, v95
	v_dual_fma_f32 v45, v162, v90, -v45 :: v_dual_fmac_f32 v7, v163, v90
	v_add_f32_e32 v3, 0, v3
	s_delay_alu instid0(VALU_DEP_4) | instskip(NEXT) | instid1(VALU_DEP_4)
	v_dual_add_f32 v43, 0, v43 :: v_dual_fmac_f32 v11, v165, v92
	v_dual_mul_f32 v57, v175, v103 :: v_dual_fma_f32 v47, v164, v92, -v47
	s_delay_alu instid0(VALU_DEP_3) | instskip(NEXT) | instid1(VALU_DEP_3)
	v_add_f32_e32 v3, v3, v7
	v_dual_add_f32 v7, v43, v45 :: v_dual_fma_f32 v45, v166, v94, -v49
	v_dual_mul_f32 v15, v168, v97 :: v_dual_mul_f32 v17, v170, v99
	v_dual_mul_f32 v51, v169, v97 :: v_dual_mul_f32 v53, v171, v99
	s_wait_loadcnt_dscnt 0xa05
	v_dual_mul_f32 v43, v177, v105 :: v_dual_fmac_f32 v13, v167, v94
	s_delay_alu instid0(VALU_DEP_3) | instskip(SKIP_2) | instid1(VALU_DEP_3)
	v_dual_fmac_f32 v15, v169, v96 :: v_dual_add_f32 v3, v3, v11
	v_dual_add_f32 v7, v7, v47 :: v_dual_mul_f32 v19, v172, v101
	v_dual_mul_f32 v21, v174, v103 :: v_dual_fma_f32 v47, v168, v96, -v51
	v_add_f32_e32 v3, v3, v13
	s_wait_loadcnt_dscnt 0x904
	v_mul_f32_e32 v13, v181, v109
	v_add_f32_e32 v7, v7, v45
	v_dual_mul_f32 v11, v179, v107 :: v_dual_fma_f32 v45, v170, v98, -v53
	v_dual_mul_f32 v27, v180, v109 :: v_dual_mul_f32 v29, v182, v111
	s_delay_alu instid0(VALU_DEP_3) | instskip(SKIP_2) | instid1(VALU_DEP_3)
	v_dual_add_f32 v7, v7, v47 :: v_dual_fma_f32 v47, v172, v100, -v55
	v_dual_mul_f32 v23, v176, v105 :: v_dual_mul_f32 v25, v178, v107
	v_fmac_f32_e32 v17, v171, v98
	v_dual_add_f32 v7, v7, v45 :: v_dual_fmac_f32 v27, v181, v108
	v_dual_fmac_f32 v19, v173, v100 :: v_dual_add_f32 v3, v3, v15
	s_delay_alu instid0(VALU_DEP_2) | instskip(SKIP_2) | instid1(VALU_DEP_4)
	v_dual_fma_f32 v45, v174, v102, -v57 :: v_dual_add_f32 v7, v7, v47
	v_dual_fma_f32 v13, v180, v108, -v13 :: v_dual_mul_f32 v15, v183, v111
	v_fma_f32 v43, v176, v104, -v43
	v_dual_fmac_f32 v23, v177, v104 :: v_dual_add_f32 v3, v3, v17
	s_wait_loadcnt_dscnt 0x803
	v_dual_fma_f32 v11, v178, v106, -v11 :: v_dual_mul_f32 v17, v185, v113
	v_add_f32_e32 v7, v7, v45
	s_wait_loadcnt_dscnt 0x702
	v_dual_mul_f32 v35, v188, v117 :: v_dual_mul_f32 v37, v190, v119
	s_wait_loadcnt_dscnt 0x601
	v_dual_mul_f32 v39, v192, v121 :: v_dual_mul_f32 v41, v194, v123
	v_dual_fma_f32 v17, v184, v112, -v17 :: v_dual_add_f32 v7, v7, v43
	s_delay_alu instid0(VALU_DEP_3) | instskip(SKIP_2) | instid1(VALU_DEP_4)
	v_dual_fmac_f32 v35, v189, v116 :: v_dual_fmac_f32 v21, v175, v102
	v_dual_add_f32 v3, v3, v19 :: v_dual_mul_f32 v31, v184, v113
	v_mul_f32_e32 v33, v186, v115
	v_dual_add_f32 v7, v7, v11 :: v_dual_fmac_f32 v39, v193, v120
	s_wait_loadcnt_dscnt 0x500
	v_dual_mul_f32 v211, v196, v125 :: v_dual_mul_f32 v213, v198, v127
	v_dual_mul_f32 v19, v187, v115 :: v_dual_fma_f32 v15, v182, v110, -v15
	v_mul_f32_e32 v11, v193, v121
	v_dual_add_f32 v3, v3, v21 :: v_dual_fmac_f32 v31, v185, v112
	s_delay_alu instid0(VALU_DEP_4) | instskip(SKIP_1) | instid1(VALU_DEP_3)
	v_dual_add_f32 v7, v7, v13 :: v_dual_fmac_f32 v211, v197, v124
	v_dual_mul_f32 v21, v189, v117 :: v_dual_fmac_f32 v25, v179, v106
	v_dual_add_f32 v3, v3, v23 :: v_dual_fma_f32 v19, v186, v114, -v19
	s_delay_alu instid0(VALU_DEP_3) | instskip(NEXT) | instid1(VALU_DEP_3)
	v_add_f32_e32 v7, v7, v15
	v_dual_mul_f32 v23, v191, v119 :: v_dual_fma_f32 v21, v188, v116, -v21
	v_mul_f32_e32 v15, v197, v125
	s_delay_alu instid0(VALU_DEP_4) | instskip(NEXT) | instid1(VALU_DEP_4)
	v_add_f32_e32 v3, v3, v25
	v_add_f32_e32 v7, v7, v17
	v_dual_fmac_f32 v29, v183, v110 :: v_dual_fma_f32 v11, v192, v120, -v11
	v_dual_mul_f32 v13, v195, v123 :: v_dual_fmac_f32 v41, v195, v122
	s_delay_alu instid0(VALU_DEP_3) | instskip(NEXT) | instid1(VALU_DEP_2)
	v_dual_add_f32 v7, v7, v19 :: v_dual_fma_f32 v19, v190, v118, -v23
	v_dual_add_f32 v3, v3, v27 :: v_dual_fma_f32 v13, v194, v122, -v13
	v_dual_fmac_f32 v33, v187, v114 :: v_dual_fma_f32 v210, v196, v124, -v15
	v_fmac_f32_e32 v37, v191, v118
	s_delay_alu instid0(VALU_DEP_3)
	v_add_f32_e32 v3, v3, v29
	v_add_f32_e32 v7, v7, v21
	v_dual_mul_f32 v17, v199, v127 :: v_dual_fmac_f32 v213, v199, v126
	s_wait_loadcnt 0x4
	v_pk_mul_f32 v[88:89], v[144:145], v[128:129] op_sel:[1,1] op_sel_hi:[0,1]
	v_add_f32_e32 v3, v3, v31
	v_add_f32_e32 v7, v7, v19
	s_wait_loadcnt 0x3
	v_dual_mov_b32 v90, v131 :: v_dual_mov_b32 v94, v135
	s_delay_alu instid0(VALU_DEP_3) | instskip(NEXT) | instid1(VALU_DEP_3)
	v_dual_fma_f32 v212, v198, v126, -v17 :: v_dual_add_f32 v3, v3, v33
	v_add_f32_e32 v7, v7, v11
	v_pk_fma_f32 v[98:99], v[144:145], v[128:129], v[88:89] op_sel_hi:[1,0,1]
	s_delay_alu instid0(VALU_DEP_4)
	v_pk_mul_f32 v[90:91], v[202:203], v[90:91] op_sel_hi:[1,0]
	v_pk_fma_f32 v[88:89], v[144:145], v[128:129], v[88:89] neg_lo:[0,0,1] neg_hi:[0,0,1]
	v_add_f32_e32 v3, v3, v35
	v_add_f32_e32 v96, v7, v13
	v_pk_mul_f32 v[92:93], v[148:149], v[132:133] op_sel:[1,1] op_sel_hi:[0,1]
	v_mov_b32_e32 v89, v99
	v_pk_fma_f32 v[98:99], v[146:147], v[130:131], v[90:91] op_sel_hi:[1,0,1]
	v_add_f32_e32 v3, v3, v37
	v_pk_fma_f32 v[90:91], v[146:147], v[130:131], v[90:91] neg_lo:[0,0,1] neg_hi:[0,0,1]
	v_pk_fma_f32 v[102:103], v[148:149], v[132:133], v[92:93] op_sel_hi:[1,0,1]
	v_pk_mul_f32 v[94:95], v[204:205], v[94:95] op_sel_hi:[1,0]
	v_mov_b32_e32 v91, v99
	v_add_f32_e32 v3, v3, v39
	s_wait_loadcnt 0x2
	v_pk_mul_f32 v[100:101], v[152:153], v[136:137] op_sel:[1,1] op_sel_hi:[0,1]
	v_pk_fma_f32 v[92:93], v[148:149], v[132:133], v[92:93] neg_lo:[0,0,1] neg_hi:[0,0,1]
	v_mov_b32_e32 v93, v103
	v_pk_fma_f32 v[98:99], v[150:151], v[134:135], v[94:95] op_sel_hi:[1,0,1]
	v_add_f32_e32 v97, v3, v41
	v_pk_fma_f32 v[94:95], v[150:151], v[134:135], v[94:95] neg_lo:[0,0,1] neg_hi:[0,0,1]
	s_delay_alu instid0(VALU_DEP_2) | instskip(NEXT) | instid1(VALU_DEP_1)
	v_pk_add_f32 v[96:97], v[96:97], v[210:211]
	v_pk_add_f32 v[96:97], v[96:97], v[212:213]
	s_delay_alu instid0(VALU_DEP_1) | instskip(SKIP_1) | instid1(VALU_DEP_2)
	v_pk_add_f32 v[88:89], v[96:97], v[88:89]
	v_mov_b32_e32 v96, v139
	v_pk_add_f32 v[88:89], v[88:89], v[90:91]
	v_pk_fma_f32 v[90:91], v[152:153], v[136:137], v[100:101] op_sel_hi:[1,0,1]
	s_delay_alu instid0(VALU_DEP_3)
	v_pk_mul_f32 v[96:97], v[206:207], v[96:97] op_sel_hi:[1,0]
	v_mov_b32_e32 v95, v99
	v_pk_fma_f32 v[98:99], v[152:153], v[136:137], v[100:101] neg_lo:[0,0,1] neg_hi:[0,0,1]
	v_pk_add_f32 v[88:89], v[88:89], v[92:93]
	v_mov_b32_e32 v99, v91
	v_pk_fma_f32 v[90:91], v[154:155], v[138:139], v[96:97] op_sel_hi:[1,0,1]
	s_wait_loadcnt 0x1
	v_pk_mul_f32 v[92:93], v[156:157], v[140:141] op_sel:[1,1] op_sel_hi:[0,1]
	v_mov_b32_e32 v90, v143
	v_pk_add_f32 v[88:89], v[88:89], v[94:95]
	v_pk_fma_f32 v[96:97], v[154:155], v[138:139], v[96:97] neg_lo:[0,0,1] neg_hi:[0,0,1]
	v_mov_b32_e32 v97, v91
	v_pk_fma_f32 v[94:95], v[156:157], v[140:141], v[92:93] op_sel_hi:[1,0,1]
	v_pk_mul_f32 v[90:91], v[208:209], v[90:91] op_sel_hi:[1,0]
	v_pk_add_f32 v[88:89], v[88:89], v[98:99]
	v_pk_fma_f32 v[92:93], v[156:157], v[140:141], v[92:93] neg_lo:[0,0,1] neg_hi:[0,0,1]
	s_delay_alu instid0(VALU_DEP_4) | instskip(NEXT) | instid1(VALU_DEP_4)
	v_mov_b32_e32 v93, v95
	v_pk_fma_f32 v[94:95], v[158:159], v[142:143], v[90:91] op_sel_hi:[1,0,1]
	s_delay_alu instid0(VALU_DEP_4) | instskip(SKIP_1) | instid1(VALU_DEP_3)
	v_pk_add_f32 v[88:89], v[88:89], v[96:97]
	v_pk_fma_f32 v[90:91], v[158:159], v[142:143], v[90:91] neg_lo:[0,0,1] neg_hi:[0,0,1]
	v_mov_b32_e32 v91, v95
	s_delay_alu instid0(VALU_DEP_3) | instskip(NEXT) | instid1(VALU_DEP_1)
	v_pk_add_f32 v[88:89], v[88:89], v[92:93]
	v_pk_add_f32 v[88:89], v[88:89], v[90:91]
	s_wait_loadcnt 0x0
	s_delay_alu instid0(VALU_DEP_1)
	v_pk_add_f32 v[88:89], v[200:201], v[88:89] neg_lo:[0,1] neg_hi:[0,1]
	scratch_store_b64 off, v[88:89], off offset:112
	s_wait_xcnt 0x0
	v_cmpx_lt_u32_e32 13, v0
	s_cbranch_execz .LBB42_245
; %bb.244:
	scratch_load_b64 v[88:89], off, off offset:104
	v_mov_b64_e32 v[90:91], 0
	scratch_store_b64 off, v[90:91], off offset:104
	s_wait_loadcnt 0x0
	ds_store_b64 v1, v[88:89]
.LBB42_245:
	s_wait_xcnt 0x0
	s_or_b32 exec_lo, exec_lo, s0
	s_wait_storecnt_dscnt 0x0
	s_barrier_signal -1
	s_barrier_wait -1
	s_clause 0xf
	scratch_load_b128 v[88:91], off, off offset:112
	scratch_load_b128 v[92:95], off, off offset:128
	;; [unrolled: 1-line block ×14, first 2 shown]
	scratch_load_b64 v[200:201], off, off offset:336
	scratch_load_b64 v[202:203], off, off offset:104
	v_mov_b32_e32 v3, 0
	ds_load_b128 v[144:147], v3 offset:624
	ds_load_b128 v[148:151], v3 offset:640
	;; [unrolled: 1-line block ×14, first 2 shown]
	ds_load_b64 v[204:205], v3 offset:688
	s_mov_b32 s0, exec_lo
	s_wait_dscnt 0xe
	v_dual_mov_b32 v206, v147 :: v_dual_mov_b32 v207, v146
	s_wait_dscnt 0xb
	v_dual_mov_b32 v208, v151 :: v_dual_mov_b32 v213, v158
	v_dual_mov_b32 v209, v150 :: v_dual_mov_b32 v210, v155
	v_dual_mov_b32 v211, v154 :: v_dual_mov_b32 v212, v159
	s_wait_loadcnt_dscnt 0xf0a
	v_dual_mul_f32 v7, v160, v89 :: v_dual_mul_f32 v47, v161, v89
	v_dual_mul_f32 v49, v163, v91 :: v_dual_mul_f32 v11, v162, v91
	s_wait_loadcnt_dscnt 0xe09
	v_mul_f32_e32 v13, v164, v93
	s_wait_loadcnt_dscnt 0xc07
	v_dual_mul_f32 v59, v173, v101 :: v_dual_fma_f32 v47, v160, v88, -v47
	v_dual_fmac_f32 v7, v161, v88 :: v_dual_mul_f32 v61, v175, v103
	v_dual_mul_f32 v51, v165, v93 :: v_dual_mul_f32 v53, v167, v95
	v_dual_fmac_f32 v11, v163, v90 :: v_dual_fma_f32 v49, v162, v90, -v49
	s_wait_loadcnt_dscnt 0xb06
	s_delay_alu instid0(VALU_DEP_3) | instskip(SKIP_1) | instid1(VALU_DEP_2)
	v_dual_add_f32 v7, 0, v7 :: v_dual_mul_f32 v63, v177, v105
	v_dual_add_f32 v47, 0, v47 :: v_dual_fmac_f32 v13, v165, v92
	v_dual_fma_f32 v51, v164, v92, -v51 :: v_dual_add_f32 v7, v7, v11
	v_dual_mul_f32 v55, v169, v97 :: v_dual_mul_f32 v57, v171, v99
	s_delay_alu instid0(VALU_DEP_3) | instskip(SKIP_2) | instid1(VALU_DEP_3)
	v_dual_add_f32 v11, v47, v49 :: v_dual_fma_f32 v49, v166, v94, -v53
	v_dual_mul_f32 v15, v166, v95 :: v_dual_mul_f32 v17, v168, v97
	v_dual_mul_f32 v19, v170, v99 :: v_dual_mul_f32 v21, v172, v101
	v_add_f32_e32 v11, v11, v51
	v_dual_add_f32 v7, v7, v13 :: v_dual_fma_f32 v51, v168, v96, -v55
	v_dual_mul_f32 v23, v174, v103 :: v_dual_mul_f32 v25, v176, v105
	s_delay_alu instid0(VALU_DEP_3) | instskip(SKIP_1) | instid1(VALU_DEP_2)
	v_dual_add_f32 v11, v11, v49 :: v_dual_fmac_f32 v21, v173, v100
	v_dual_fmac_f32 v15, v167, v94 :: v_dual_fmac_f32 v17, v169, v96
	v_dual_fma_f32 v49, v170, v98, -v57 :: v_dual_add_f32 v11, v11, v51
	s_delay_alu instid0(VALU_DEP_4) | instskip(SKIP_1) | instid1(VALU_DEP_3)
	v_dual_fmac_f32 v25, v177, v104 :: v_dual_mul_f32 v47, v179, v107
	s_wait_loadcnt_dscnt 0xa05
	v_dual_mul_f32 v13, v181, v109 :: v_dual_add_f32 v7, v7, v15
	v_dual_mul_f32 v15, v183, v111 :: v_dual_fma_f32 v51, v172, v100, -v59
	s_delay_alu instid0(VALU_DEP_3) | instskip(SKIP_1) | instid1(VALU_DEP_4)
	v_dual_add_f32 v11, v11, v49 :: v_dual_fma_f32 v47, v178, v106, -v47
	v_fmac_f32_e32 v19, v171, v98
	v_dual_add_f32 v7, v7, v17 :: v_dual_fma_f32 v49, v174, v102, -v61
	s_delay_alu instid0(VALU_DEP_3) | instskip(SKIP_2) | instid1(VALU_DEP_3)
	v_dual_add_f32 v11, v11, v51 :: v_dual_fma_f32 v15, v182, v110, -v15
	s_wait_loadcnt_dscnt 0x904
	v_dual_mul_f32 v31, v182, v111 :: v_dual_mul_f32 v33, v184, v113
	v_dual_add_f32 v7, v7, v19 :: v_dual_fma_f32 v51, v176, v104, -v63
	s_delay_alu instid0(VALU_DEP_3) | instskip(SKIP_4) | instid1(VALU_DEP_3)
	v_dual_add_f32 v11, v11, v49 :: v_dual_mul_f32 v27, v178, v107
	v_dual_mul_f32 v29, v180, v109 :: v_dual_mul_f32 v35, v186, v115
	s_wait_loadcnt_dscnt 0x803
	v_mul_f32_e32 v37, v188, v117
	v_dual_mul_f32 v17, v185, v113 :: v_dual_fmac_f32 v23, v175, v102
	v_dual_fmac_f32 v29, v181, v108 :: v_dual_add_f32 v7, v7, v21
	v_fma_f32 v13, v180, v108, -v13
	v_dual_fmac_f32 v33, v185, v112 :: v_dual_add_f32 v11, v11, v51
	s_delay_alu instid0(VALU_DEP_3) | instskip(SKIP_1) | instid1(VALU_DEP_3)
	v_dual_fmac_f32 v37, v189, v116 :: v_dual_add_f32 v7, v7, v23
	v_dual_mul_f32 v23, v191, v119 :: v_dual_fma_f32 v17, v184, v112, -v17
	v_add_f32_e32 v11, v11, v47
	s_wait_loadcnt_dscnt 0x601
	v_dual_mul_f32 v43, v194, v123 :: v_dual_mul_f32 v45, v196, v125
	s_wait_loadcnt 0x4
	v_dual_mov_b32 v88, v131 :: v_dual_mov_b32 v92, v135
	v_dual_add_f32 v11, v11, v13 :: v_dual_mul_f32 v215, v198, v127
	v_dual_mul_f32 v217, v144, v129 :: v_dual_mul_f32 v19, v187, v115
	s_delay_alu instid0(VALU_DEP_2) | instskip(NEXT) | instid1(VALU_DEP_3)
	v_dual_fmac_f32 v45, v197, v124 :: v_dual_add_f32 v11, v11, v15
	v_dual_mul_f32 v15, v199, v127 :: v_dual_fmac_f32 v215, v199, v126
	v_pk_mul_f32 v[88:89], v[206:207], v[88:89] op_sel_hi:[1,0]
	v_dual_mul_f32 v21, v189, v117 :: v_dual_fmac_f32 v27, v179, v106
	v_mul_f32_e32 v13, v197, v125
	v_add_f32_e32 v7, v7, v25
	v_dual_mul_f32 v25, v193, v121 :: v_dual_fma_f32 v19, v186, v114, -v19
	v_fma_f32 v214, v198, v126, -v15
	v_pk_fma_f32 v[100:101], v[146:147], v[130:131], v[88:89] op_sel_hi:[1,0,1]
	v_add_f32_e32 v11, v11, v17
	v_pk_fma_f32 v[88:89], v[146:147], v[130:131], v[88:89] neg_lo:[0,0,1] neg_hi:[0,0,1]
	v_dual_mul_f32 v39, v190, v119 :: v_dual_mul_f32 v41, v192, v121
	v_dual_mul_f32 v17, v145, v129 :: v_dual_add_f32 v7, v7, v27
	v_dual_fma_f32 v21, v188, v116, -v21 :: v_dual_mov_b32 v89, v101
	v_add_f32_e32 v11, v11, v19
	s_delay_alu instid0(VALU_DEP_4) | instskip(SKIP_2) | instid1(VALU_DEP_4)
	v_dual_mul_f32 v27, v195, v123 :: v_dual_fmac_f32 v41, v193, v120
	v_fmac_f32_e32 v31, v183, v110
	v_dual_add_f32 v7, v7, v29 :: v_dual_fma_f32 v19, v190, v118, -v23
	v_dual_add_f32 v11, v11, v21 :: v_dual_fma_f32 v21, v192, v120, -v25
	v_dual_fmac_f32 v35, v187, v114 :: v_dual_fmac_f32 v217, v145, v128
	s_delay_alu instid0(VALU_DEP_2) | instskip(NEXT) | instid1(VALU_DEP_4)
	v_dual_fma_f32 v13, v196, v124, -v13 :: v_dual_add_f32 v11, v11, v19
	v_dual_fma_f32 v19, v194, v122, -v27 :: v_dual_add_f32 v7, v7, v31
	v_dual_fma_f32 v216, v144, v128, -v17 :: v_dual_fmac_f32 v39, v191, v118
	v_fmac_f32_e32 v43, v195, v122
	s_delay_alu instid0(VALU_DEP_4) | instskip(NEXT) | instid1(VALU_DEP_4)
	v_add_f32_e32 v11, v11, v21
	v_add_f32_e32 v7, v7, v33
	v_pk_mul_f32 v[90:91], v[148:149], v[132:133] op_sel:[1,1] op_sel_hi:[0,1]
	v_pk_mul_f32 v[92:93], v[208:209], v[92:93] op_sel_hi:[1,0]
	s_wait_loadcnt 0x3
	v_pk_mul_f32 v[94:95], v[152:153], v[136:137] op_sel:[1,1] op_sel_hi:[0,1]
	v_add_f32_e32 v11, v11, v19
	v_add_f32_e32 v7, v7, v35
	v_pk_fma_f32 v[102:103], v[148:149], v[132:133], v[90:91] op_sel_hi:[1,0,1]
	v_pk_fma_f32 v[90:91], v[148:149], v[132:133], v[90:91] neg_lo:[0,0,1] neg_hi:[0,0,1]
	v_mov_b32_e32 v98, v139
	v_add_f32_e32 v96, v11, v13
	v_add_f32_e32 v7, v7, v37
	v_mov_b32_e32 v91, v103
	v_pk_fma_f32 v[102:103], v[150:151], v[134:135], v[92:93] op_sel_hi:[1,0,1]
	v_pk_fma_f32 v[92:93], v[150:151], v[134:135], v[92:93] neg_lo:[0,0,1] neg_hi:[0,0,1]
	v_pk_mul_f32 v[98:99], v[210:211], v[98:99] op_sel_hi:[1,0]
	v_add_f32_e32 v7, v7, v39
	s_wait_loadcnt 0x2
	v_pk_mul_f32 v[100:101], v[156:157], v[140:141] op_sel:[1,1] op_sel_hi:[0,1]
	v_mov_b32_e32 v93, v103
	s_delay_alu instid0(VALU_DEP_3) | instskip(NEXT) | instid1(VALU_DEP_1)
	v_add_f32_e32 v7, v7, v41
	v_add_f32_e32 v7, v7, v43
	s_delay_alu instid0(VALU_DEP_1) | instskip(NEXT) | instid1(VALU_DEP_1)
	v_add_f32_e32 v97, v7, v45
	v_pk_add_f32 v[96:97], v[96:97], v[214:215]
	s_delay_alu instid0(VALU_DEP_1) | instskip(NEXT) | instid1(VALU_DEP_1)
	v_pk_add_f32 v[96:97], v[96:97], v[216:217]
	v_pk_add_f32 v[88:89], v[96:97], v[88:89]
	v_pk_fma_f32 v[96:97], v[152:153], v[136:137], v[94:95] op_sel_hi:[1,0,1]
	v_pk_fma_f32 v[94:95], v[152:153], v[136:137], v[94:95] neg_lo:[0,0,1] neg_hi:[0,0,1]
	s_delay_alu instid0(VALU_DEP_3) | instskip(NEXT) | instid1(VALU_DEP_3)
	v_pk_add_f32 v[88:89], v[88:89], v[90:91]
	v_dual_mov_b32 v90, v143 :: v_dual_mov_b32 v95, v97
	v_pk_fma_f32 v[96:97], v[154:155], v[138:139], v[98:99] op_sel_hi:[1,0,1]
	v_pk_fma_f32 v[98:99], v[154:155], v[138:139], v[98:99] neg_lo:[0,0,1] neg_hi:[0,0,1]
	s_delay_alu instid0(VALU_DEP_4)
	v_pk_add_f32 v[88:89], v[88:89], v[92:93]
	v_pk_fma_f32 v[92:93], v[156:157], v[140:141], v[100:101] op_sel_hi:[1,0,1]
	v_pk_mul_f32 v[90:91], v[212:213], v[90:91] op_sel_hi:[1,0]
	v_mov_b32_e32 v99, v97
	s_wait_loadcnt_dscnt 0x100
	v_pk_mul_f32 v[96:97], v[204:205], v[200:201] op_sel:[1,1] op_sel_hi:[0,1]
	v_pk_add_f32 v[88:89], v[88:89], v[94:95]
	v_pk_fma_f32 v[94:95], v[156:157], v[140:141], v[100:101] neg_lo:[0,0,1] neg_hi:[0,0,1]
	v_mov_b32_e32 v95, v93
	v_pk_fma_f32 v[92:93], v[158:159], v[142:143], v[90:91] op_sel_hi:[1,0,1]
	v_pk_fma_f32 v[90:91], v[158:159], v[142:143], v[90:91] neg_lo:[0,0,1] neg_hi:[0,0,1]
	v_pk_add_f32 v[88:89], v[88:89], v[98:99]
	s_delay_alu instid0(VALU_DEP_3) | instskip(SKIP_1) | instid1(VALU_DEP_3)
	v_mov_b32_e32 v91, v93
	v_pk_fma_f32 v[92:93], v[204:205], v[200:201], v[96:97] op_sel_hi:[1,0,1]
	v_pk_add_f32 v[88:89], v[88:89], v[94:95]
	v_pk_fma_f32 v[94:95], v[204:205], v[200:201], v[96:97] neg_lo:[0,0,1] neg_hi:[0,0,1]
	s_delay_alu instid0(VALU_DEP_3) | instskip(NEXT) | instid1(VALU_DEP_3)
	v_mov_b32_e32 v95, v93
	v_pk_add_f32 v[88:89], v[88:89], v[90:91]
	s_delay_alu instid0(VALU_DEP_1) | instskip(SKIP_1) | instid1(VALU_DEP_1)
	v_pk_add_f32 v[88:89], v[88:89], v[94:95]
	s_wait_loadcnt 0x0
	v_pk_add_f32 v[88:89], v[202:203], v[88:89] neg_lo:[0,1] neg_hi:[0,1]
	scratch_store_b64 off, v[88:89], off offset:104
	s_wait_xcnt 0x0
	v_cmpx_lt_u32_e32 12, v0
	s_cbranch_execz .LBB42_247
; %bb.246:
	scratch_load_b64 v[88:89], off, off offset:96
	v_mov_b64_e32 v[90:91], 0
	scratch_store_b64 off, v[90:91], off offset:96
	s_wait_loadcnt 0x0
	ds_store_b64 v1, v[88:89]
.LBB42_247:
	s_wait_xcnt 0x0
	s_or_b32 exec_lo, exec_lo, s0
	s_wait_storecnt_dscnt 0x0
	s_barrier_signal -1
	s_barrier_wait -1
	s_clause 0xf
	scratch_load_b128 v[88:91], off, off offset:104
	scratch_load_b128 v[92:95], off, off offset:120
	;; [unrolled: 1-line block ×15, first 2 shown]
	scratch_load_b64 v[208:209], off, off offset:96
	ds_load_2addr_b64 v[148:151], v3 offset0:79 offset1:80
	ds_load_2addr_b64 v[152:155], v3 offset0:81 offset1:82
	;; [unrolled: 1-line block ×15, first 2 shown]
	s_mov_b32 s0, exec_lo
	s_wait_dscnt 0xe
	v_dual_mov_b32 v210, v151 :: v_dual_mov_b32 v211, v150
	s_wait_dscnt 0xd
	v_dual_mov_b32 v212, v155 :: v_dual_mov_b32 v213, v154
	;; [unrolled: 2-line block ×4, first 2 shown]
	s_wait_loadcnt_dscnt 0xf0a
	v_dual_mul_f32 v3, v164, v89 :: v_dual_mul_f32 v7, v166, v91
	v_dual_mul_f32 v47, v165, v89 :: v_dual_mul_f32 v49, v167, v91
	s_wait_loadcnt_dscnt 0xe09
	v_dual_mul_f32 v11, v168, v93 :: v_dual_mul_f32 v13, v170, v95
	s_delay_alu instid0(VALU_DEP_3)
	v_fmac_f32_e32 v3, v165, v88
	s_wait_loadcnt_dscnt 0xc06
	v_dual_fma_f32 v47, v164, v88, -v47 :: v_dual_mul_f32 v59, v181, v101
	v_dual_mul_f32 v51, v169, v93 :: v_dual_mul_f32 v53, v171, v95
	v_dual_fma_f32 v49, v166, v90, -v49 :: v_dual_fmac_f32 v7, v167, v90
	v_add_f32_e32 v3, 0, v3
	s_delay_alu instid0(VALU_DEP_4) | instskip(NEXT) | instid1(VALU_DEP_4)
	v_dual_add_f32 v47, 0, v47 :: v_dual_fmac_f32 v11, v169, v92
	v_dual_mul_f32 v61, v183, v103 :: v_dual_fma_f32 v51, v168, v92, -v51
	s_delay_alu instid0(VALU_DEP_3) | instskip(NEXT) | instid1(VALU_DEP_3)
	v_add_f32_e32 v3, v3, v7
	v_dual_add_f32 v7, v47, v49 :: v_dual_fma_f32 v49, v170, v94, -v53
	v_dual_mul_f32 v15, v176, v97 :: v_dual_mul_f32 v17, v178, v99
	v_dual_mul_f32 v55, v177, v97 :: v_dual_mul_f32 v57, v179, v99
	s_wait_loadcnt_dscnt 0xb05
	v_dual_mul_f32 v47, v185, v105 :: v_dual_fmac_f32 v13, v171, v94
	s_delay_alu instid0(VALU_DEP_3) | instskip(SKIP_2) | instid1(VALU_DEP_3)
	v_dual_fmac_f32 v15, v177, v96 :: v_dual_add_f32 v3, v3, v11
	v_dual_add_f32 v7, v7, v51 :: v_dual_mul_f32 v19, v180, v101
	v_dual_mul_f32 v21, v182, v103 :: v_dual_fma_f32 v51, v176, v96, -v55
	v_add_f32_e32 v3, v3, v13
	s_wait_loadcnt_dscnt 0xa04
	v_mul_f32_e32 v13, v189, v109
	v_add_f32_e32 v7, v7, v49
	v_dual_mul_f32 v11, v187, v107 :: v_dual_fma_f32 v49, v178, v98, -v57
	v_dual_mul_f32 v27, v188, v109 :: v_dual_mul_f32 v29, v190, v111
	s_delay_alu instid0(VALU_DEP_3) | instskip(SKIP_2) | instid1(VALU_DEP_3)
	v_dual_add_f32 v7, v7, v51 :: v_dual_fma_f32 v51, v180, v100, -v59
	v_dual_mul_f32 v23, v184, v105 :: v_dual_mul_f32 v25, v186, v107
	v_fmac_f32_e32 v17, v179, v98
	v_dual_add_f32 v7, v7, v49 :: v_dual_fmac_f32 v27, v189, v108
	v_dual_fmac_f32 v19, v181, v100 :: v_dual_add_f32 v3, v3, v15
	s_delay_alu instid0(VALU_DEP_2) | instskip(SKIP_2) | instid1(VALU_DEP_4)
	v_dual_fma_f32 v49, v182, v102, -v61 :: v_dual_add_f32 v7, v7, v51
	v_dual_fma_f32 v13, v188, v108, -v13 :: v_dual_mul_f32 v15, v191, v111
	v_fma_f32 v47, v184, v104, -v47
	v_dual_fmac_f32 v23, v185, v104 :: v_dual_add_f32 v3, v3, v17
	s_wait_loadcnt_dscnt 0x903
	v_dual_fma_f32 v11, v186, v106, -v11 :: v_dual_mul_f32 v17, v193, v113
	v_add_f32_e32 v7, v7, v49
	s_wait_loadcnt_dscnt 0x802
	v_dual_mul_f32 v35, v196, v117 :: v_dual_mul_f32 v37, v198, v119
	s_wait_loadcnt_dscnt 0x701
	v_dual_mul_f32 v39, v200, v121 :: v_dual_mul_f32 v41, v202, v123
	v_dual_fma_f32 v17, v192, v112, -v17 :: v_dual_add_f32 v7, v7, v47
	s_delay_alu instid0(VALU_DEP_3) | instskip(SKIP_2) | instid1(VALU_DEP_4)
	v_dual_fmac_f32 v35, v197, v116 :: v_dual_fmac_f32 v21, v183, v102
	v_add_f32_e32 v3, v3, v19
	v_dual_mul_f32 v19, v195, v115 :: v_dual_fma_f32 v15, v190, v110, -v15
	v_dual_add_f32 v7, v7, v11 :: v_dual_mul_f32 v31, v192, v113
	v_dual_mul_f32 v33, v194, v115 :: v_dual_mul_f32 v11, v201, v121
	s_delay_alu instid0(VALU_DEP_4) | instskip(NEXT) | instid1(VALU_DEP_3)
	v_add_f32_e32 v3, v3, v21
	v_add_f32_e32 v7, v7, v13
	v_dual_mul_f32 v13, v203, v123 :: v_dual_fmac_f32 v41, v203, v122
	v_dual_mul_f32 v21, v197, v117 :: v_dual_fmac_f32 v25, v187, v106
	s_delay_alu instid0(VALU_DEP_2) | instskip(NEXT) | instid1(VALU_DEP_4)
	v_dual_fmac_f32 v31, v193, v112 :: v_dual_fma_f32 v13, v202, v122, -v13
	v_add_f32_e32 v7, v7, v15
	v_dual_add_f32 v3, v3, v23 :: v_dual_fma_f32 v19, v194, v114, -v19
	s_delay_alu instid0(VALU_DEP_4) | instskip(NEXT) | instid1(VALU_DEP_3)
	v_dual_mul_f32 v23, v199, v119 :: v_dual_fma_f32 v21, v196, v116, -v21
	v_add_f32_e32 v7, v7, v17
	s_wait_loadcnt_dscnt 0x600
	v_mul_f32_e32 v15, v205, v125
	s_delay_alu instid0(VALU_DEP_3) | instskip(SKIP_2) | instid1(VALU_DEP_3)
	v_dual_add_f32 v3, v3, v25 :: v_dual_fma_f32 v23, v198, v118, -v23
	v_dual_fmac_f32 v29, v191, v110 :: v_dual_fmac_f32 v39, v201, v120
	v_add_f32_e32 v7, v7, v19
	v_dual_add_f32 v3, v3, v27 :: v_dual_fma_f32 v11, v200, v120, -v11
	v_dual_mul_f32 v43, v204, v125 :: v_dual_mul_f32 v45, v206, v127
	s_delay_alu instid0(VALU_DEP_3) | instskip(NEXT) | instid1(VALU_DEP_3)
	v_add_f32_e32 v7, v7, v21
	v_add_f32_e32 v3, v3, v29
	s_wait_loadcnt 0x5
	v_dual_mul_f32 v219, v172, v129 :: v_dual_mul_f32 v221, v174, v131
	v_fmac_f32_e32 v33, v195, v114
	v_add_f32_e32 v7, v7, v23
	v_dual_mul_f32 v17, v207, v127 :: v_dual_fmac_f32 v45, v207, v126
	v_dual_fmac_f32 v43, v205, v124 :: v_dual_add_f32 v3, v3, v31
	s_delay_alu instid0(VALU_DEP_3) | instskip(SKIP_2) | instid1(VALU_DEP_3)
	v_add_f32_e32 v7, v7, v11
	v_dual_mul_f32 v21, v175, v131 :: v_dual_fmac_f32 v221, v175, v130
	v_dual_fmac_f32 v219, v173, v128 :: v_dual_fmac_f32 v37, v199, v118
	v_dual_add_f32 v7, v7, v13 :: v_dual_fma_f32 v13, v206, v126, -v17
	s_delay_alu instid0(VALU_DEP_3) | instskip(SKIP_3) | instid1(VALU_DEP_3)
	v_dual_add_f32 v3, v3, v33 :: v_dual_fma_f32 v220, v174, v130, -v21
	v_dual_fma_f32 v11, v204, v124, -v15 :: v_dual_mul_f32 v19, v173, v129
	s_wait_loadcnt 0x4
	v_pk_mul_f32 v[88:89], v[148:149], v[132:133] op_sel:[1,1] op_sel_hi:[0,1]
	v_add_f32_e32 v3, v3, v35
	s_wait_loadcnt 0x3
	v_dual_mov_b32 v90, v135 :: v_dual_mov_b32 v94, v139
	v_dual_add_f32 v7, v7, v11 :: v_dual_fma_f32 v218, v172, v128, -v19
	s_delay_alu instid0(VALU_DEP_3) | instskip(SKIP_1) | instid1(VALU_DEP_4)
	v_add_f32_e32 v3, v3, v37
	v_pk_fma_f32 v[98:99], v[148:149], v[132:133], v[88:89] op_sel_hi:[1,0,1]
	v_pk_mul_f32 v[90:91], v[210:211], v[90:91] op_sel_hi:[1,0]
	s_delay_alu instid0(VALU_DEP_4)
	v_add_f32_e32 v96, v7, v13
	v_pk_fma_f32 v[88:89], v[148:149], v[132:133], v[88:89] neg_lo:[0,0,1] neg_hi:[0,0,1]
	v_add_f32_e32 v3, v3, v39
	v_pk_mul_f32 v[92:93], v[152:153], v[136:137] op_sel:[1,1] op_sel_hi:[0,1]
	v_mov_b32_e32 v89, v99
	v_pk_fma_f32 v[98:99], v[150:151], v[134:135], v[90:91] op_sel_hi:[1,0,1]
	v_pk_fma_f32 v[90:91], v[150:151], v[134:135], v[90:91] neg_lo:[0,0,1] neg_hi:[0,0,1]
	v_add_f32_e32 v3, v3, v41
	v_pk_fma_f32 v[102:103], v[152:153], v[136:137], v[92:93] op_sel_hi:[1,0,1]
	v_pk_mul_f32 v[94:95], v[212:213], v[94:95] op_sel_hi:[1,0]
	v_mov_b32_e32 v91, v99
	s_wait_loadcnt 0x2
	v_pk_mul_f32 v[100:101], v[156:157], v[140:141] op_sel:[1,1] op_sel_hi:[0,1]
	v_add_f32_e32 v3, v3, v43
	v_pk_fma_f32 v[92:93], v[152:153], v[136:137], v[92:93] neg_lo:[0,0,1] neg_hi:[0,0,1]
	v_mov_b32_e32 v93, v103
	v_pk_fma_f32 v[98:99], v[154:155], v[138:139], v[94:95] op_sel_hi:[1,0,1]
	v_pk_fma_f32 v[94:95], v[154:155], v[138:139], v[94:95] neg_lo:[0,0,1] neg_hi:[0,0,1]
	v_add_f32_e32 v97, v3, v45
	s_delay_alu instid0(VALU_DEP_1) | instskip(NEXT) | instid1(VALU_DEP_1)
	v_pk_add_f32 v[96:97], v[96:97], v[218:219]
	v_pk_add_f32 v[96:97], v[96:97], v[220:221]
	s_delay_alu instid0(VALU_DEP_1) | instskip(SKIP_1) | instid1(VALU_DEP_2)
	v_pk_add_f32 v[88:89], v[96:97], v[88:89]
	v_mov_b32_e32 v96, v143
	v_pk_add_f32 v[88:89], v[88:89], v[90:91]
	v_pk_fma_f32 v[90:91], v[156:157], v[140:141], v[100:101] op_sel_hi:[1,0,1]
	s_delay_alu instid0(VALU_DEP_3)
	v_pk_mul_f32 v[96:97], v[214:215], v[96:97] op_sel_hi:[1,0]
	v_mov_b32_e32 v95, v99
	v_pk_fma_f32 v[98:99], v[156:157], v[140:141], v[100:101] neg_lo:[0,0,1] neg_hi:[0,0,1]
	v_pk_add_f32 v[88:89], v[88:89], v[92:93]
	v_mov_b32_e32 v99, v91
	v_pk_fma_f32 v[90:91], v[158:159], v[142:143], v[96:97] op_sel_hi:[1,0,1]
	s_wait_loadcnt 0x1
	v_pk_mul_f32 v[92:93], v[160:161], v[144:145] op_sel:[1,1] op_sel_hi:[0,1]
	v_mov_b32_e32 v90, v147
	v_pk_add_f32 v[88:89], v[88:89], v[94:95]
	v_pk_fma_f32 v[96:97], v[158:159], v[142:143], v[96:97] neg_lo:[0,0,1] neg_hi:[0,0,1]
	v_mov_b32_e32 v97, v91
	v_pk_fma_f32 v[94:95], v[160:161], v[144:145], v[92:93] op_sel_hi:[1,0,1]
	v_pk_mul_f32 v[90:91], v[216:217], v[90:91] op_sel_hi:[1,0]
	v_pk_add_f32 v[88:89], v[88:89], v[98:99]
	v_pk_fma_f32 v[92:93], v[160:161], v[144:145], v[92:93] neg_lo:[0,0,1] neg_hi:[0,0,1]
	s_delay_alu instid0(VALU_DEP_4) | instskip(NEXT) | instid1(VALU_DEP_4)
	v_mov_b32_e32 v93, v95
	v_pk_fma_f32 v[94:95], v[162:163], v[146:147], v[90:91] op_sel_hi:[1,0,1]
	s_delay_alu instid0(VALU_DEP_4) | instskip(SKIP_1) | instid1(VALU_DEP_3)
	v_pk_add_f32 v[88:89], v[88:89], v[96:97]
	v_pk_fma_f32 v[90:91], v[162:163], v[146:147], v[90:91] neg_lo:[0,0,1] neg_hi:[0,0,1]
	v_mov_b32_e32 v91, v95
	s_delay_alu instid0(VALU_DEP_3) | instskip(NEXT) | instid1(VALU_DEP_1)
	v_pk_add_f32 v[88:89], v[88:89], v[92:93]
	v_pk_add_f32 v[88:89], v[88:89], v[90:91]
	s_wait_loadcnt 0x0
	s_delay_alu instid0(VALU_DEP_1)
	v_pk_add_f32 v[88:89], v[208:209], v[88:89] neg_lo:[0,1] neg_hi:[0,1]
	scratch_store_b64 off, v[88:89], off offset:96
	s_wait_xcnt 0x0
	v_cmpx_lt_u32_e32 11, v0
	s_cbranch_execz .LBB42_249
; %bb.248:
	scratch_load_b64 v[88:89], off, off offset:88
	v_mov_b64_e32 v[90:91], 0
	scratch_store_b64 off, v[90:91], off offset:88
	s_wait_loadcnt 0x0
	ds_store_b64 v1, v[88:89]
.LBB42_249:
	s_wait_xcnt 0x0
	s_or_b32 exec_lo, exec_lo, s0
	s_wait_storecnt_dscnt 0x0
	s_barrier_signal -1
	s_barrier_wait -1
	s_clause 0x10
	scratch_load_b128 v[88:91], off, off offset:96
	scratch_load_b128 v[92:95], off, off offset:112
	;; [unrolled: 1-line block ×15, first 2 shown]
	scratch_load_b64 v[208:209], off, off offset:336
	scratch_load_b64 v[210:211], off, off offset:88
	v_mov_b32_e32 v3, 0
	ds_load_b128 v[148:151], v3 offset:624
	ds_load_b128 v[152:155], v3 offset:640
	;; [unrolled: 1-line block ×15, first 2 shown]
	ds_load_b64 v[212:213], v3 offset:688
	s_mov_b32 s0, exec_lo
	s_wait_dscnt 0xf
	v_dual_mov_b32 v214, v151 :: v_dual_mov_b32 v215, v150
	s_wait_dscnt 0xc
	v_dual_mov_b32 v216, v155 :: v_dual_mov_b32 v221, v162
	v_dual_mov_b32 v217, v154 :: v_dual_mov_b32 v218, v159
	;; [unrolled: 1-line block ×3, first 2 shown]
	s_wait_loadcnt_dscnt 0x100b
	v_dual_mul_f32 v7, v164, v89 :: v_dual_mul_f32 v51, v165, v89
	v_dual_mul_f32 v53, v167, v91 :: v_dual_mul_f32 v11, v166, v91
	s_wait_loadcnt_dscnt 0xf09
	v_mul_f32_e32 v13, v172, v93
	s_wait_loadcnt_dscnt 0xd07
	v_dual_mul_f32 v63, v181, v101 :: v_dual_fma_f32 v51, v164, v88, -v51
	v_dual_fmac_f32 v7, v165, v88 :: v_dual_mul_f32 v65, v183, v103
	v_dual_mul_f32 v55, v173, v93 :: v_dual_mul_f32 v57, v175, v95
	v_dual_fmac_f32 v11, v167, v90 :: v_dual_fma_f32 v53, v166, v90, -v53
	s_wait_loadcnt_dscnt 0xc06
	s_delay_alu instid0(VALU_DEP_3) | instskip(SKIP_1) | instid1(VALU_DEP_2)
	v_dual_add_f32 v7, 0, v7 :: v_dual_mul_f32 v67, v185, v105
	v_dual_add_f32 v51, 0, v51 :: v_dual_fmac_f32 v13, v173, v92
	v_dual_fma_f32 v55, v172, v92, -v55 :: v_dual_add_f32 v7, v7, v11
	v_dual_mul_f32 v59, v177, v97 :: v_dual_mul_f32 v61, v179, v99
	s_delay_alu instid0(VALU_DEP_3) | instskip(SKIP_2) | instid1(VALU_DEP_3)
	v_dual_add_f32 v11, v51, v53 :: v_dual_fma_f32 v53, v174, v94, -v57
	v_dual_mul_f32 v15, v174, v95 :: v_dual_mul_f32 v17, v176, v97
	v_dual_mul_f32 v19, v178, v99 :: v_dual_mul_f32 v21, v180, v101
	v_add_f32_e32 v11, v11, v55
	v_dual_add_f32 v7, v7, v13 :: v_dual_fma_f32 v55, v176, v96, -v59
	v_dual_mul_f32 v23, v182, v103 :: v_dual_mul_f32 v25, v184, v105
	s_delay_alu instid0(VALU_DEP_3) | instskip(SKIP_1) | instid1(VALU_DEP_2)
	v_dual_add_f32 v11, v11, v53 :: v_dual_fmac_f32 v21, v181, v100
	v_dual_fmac_f32 v15, v175, v94 :: v_dual_fmac_f32 v17, v177, v96
	v_dual_fma_f32 v53, v178, v98, -v61 :: v_dual_add_f32 v11, v11, v55
	s_delay_alu instid0(VALU_DEP_4) | instskip(SKIP_1) | instid1(VALU_DEP_3)
	v_dual_fmac_f32 v25, v185, v104 :: v_dual_mul_f32 v51, v187, v107
	s_wait_loadcnt_dscnt 0xb05
	v_dual_mul_f32 v13, v189, v109 :: v_dual_add_f32 v7, v7, v15
	v_dual_mul_f32 v15, v191, v111 :: v_dual_fma_f32 v55, v180, v100, -v63
	s_delay_alu instid0(VALU_DEP_3) | instskip(SKIP_1) | instid1(VALU_DEP_4)
	v_dual_add_f32 v11, v11, v53 :: v_dual_fma_f32 v51, v186, v106, -v51
	v_fmac_f32_e32 v19, v179, v98
	v_dual_add_f32 v7, v7, v17 :: v_dual_fma_f32 v53, v182, v102, -v65
	s_delay_alu instid0(VALU_DEP_3) | instskip(SKIP_2) | instid1(VALU_DEP_3)
	v_dual_add_f32 v11, v11, v55 :: v_dual_fma_f32 v15, v190, v110, -v15
	s_wait_loadcnt_dscnt 0xa04
	v_dual_mul_f32 v31, v190, v111 :: v_dual_mul_f32 v33, v192, v113
	v_dual_add_f32 v7, v7, v19 :: v_dual_fma_f32 v55, v184, v104, -v67
	s_delay_alu instid0(VALU_DEP_3) | instskip(SKIP_4) | instid1(VALU_DEP_3)
	v_dual_add_f32 v11, v11, v53 :: v_dual_mul_f32 v27, v186, v107
	v_dual_mul_f32 v29, v188, v109 :: v_dual_mul_f32 v35, v194, v115
	s_wait_loadcnt_dscnt 0x903
	v_mul_f32_e32 v37, v196, v117
	v_dual_mul_f32 v17, v193, v113 :: v_dual_fmac_f32 v23, v183, v102
	v_dual_fmac_f32 v29, v189, v108 :: v_dual_add_f32 v7, v7, v21
	v_fma_f32 v13, v188, v108, -v13
	v_dual_fmac_f32 v33, v193, v112 :: v_dual_add_f32 v11, v11, v55
	s_delay_alu instid0(VALU_DEP_3) | instskip(SKIP_1) | instid1(VALU_DEP_3)
	v_dual_fmac_f32 v37, v197, v116 :: v_dual_add_f32 v7, v7, v23
	v_dual_mul_f32 v23, v199, v119 :: v_dual_fma_f32 v17, v192, v112, -v17
	v_add_f32_e32 v11, v11, v51
	v_mul_f32_e32 v19, v195, v115
	v_fmac_f32_e32 v27, v187, v106
	s_delay_alu instid0(VALU_DEP_4) | instskip(NEXT) | instid1(VALU_DEP_4)
	v_dual_fma_f32 v23, v198, v118, -v23 :: v_dual_mul_f32 v21, v197, v117
	v_add_f32_e32 v11, v11, v13
	s_wait_loadcnt_dscnt 0x701
	v_mul_f32_e32 v13, v205, v125
	v_add_f32_e32 v7, v7, v25
	v_dual_mul_f32 v25, v201, v121 :: v_dual_fma_f32 v19, v194, v114, -v19
	s_delay_alu instid0(VALU_DEP_3) | instskip(SKIP_2) | instid1(VALU_DEP_3)
	v_dual_add_f32 v11, v11, v15 :: v_dual_fma_f32 v13, v204, v124, -v13
	v_dual_mul_f32 v39, v198, v119 :: v_dual_mul_f32 v41, v200, v121
	v_fmac_f32_e32 v31, v191, v110
	v_add_f32_e32 v11, v11, v17
	s_wait_loadcnt 0x6
	v_dual_mul_f32 v17, v169, v129 :: v_dual_add_f32 v7, v7, v27
	v_dual_fma_f32 v21, v196, v116, -v21 :: v_dual_mul_f32 v43, v202, v123
	v_dual_mul_f32 v45, v204, v125 :: v_dual_mul_f32 v47, v206, v127
	v_mul_f32_e32 v49, v168, v129
	s_delay_alu instid0(VALU_DEP_4) | instskip(SKIP_2) | instid1(VALU_DEP_2)
	v_dual_add_f32 v7, v7, v29 :: v_dual_fma_f32 v25, v200, v120, -v25
	v_dual_fmac_f32 v41, v201, v120 :: v_dual_mul_f32 v223, v170, v131
	s_wait_loadcnt 0x5
	v_dual_mul_f32 v225, v148, v133 :: v_dual_add_f32 v7, v7, v31
	v_dual_fmac_f32 v45, v205, v124 :: v_dual_mul_f32 v15, v207, v127
	v_fmac_f32_e32 v47, v207, v126
	v_dual_fmac_f32 v35, v195, v114 :: v_dual_fmac_f32 v49, v169, v128
	s_delay_alu instid0(VALU_DEP_3)
	v_dual_add_f32 v7, v7, v33 :: v_dual_fma_f32 v15, v206, v126, -v15
	s_wait_loadcnt 0x4
	v_dual_mov_b32 v88, v135 :: v_dual_mov_b32 v92, v139
	v_dual_add_f32 v11, v11, v19 :: v_dual_fmac_f32 v225, v149, v132
	v_dual_mul_f32 v19, v171, v131 :: v_dual_fmac_f32 v223, v171, v130
	v_add_f32_e32 v7, v7, v35
	s_delay_alu instid0(VALU_DEP_4)
	v_pk_mul_f32 v[88:89], v[214:215], v[88:89] op_sel_hi:[1,0]
	v_mul_f32_e32 v27, v203, v123
	v_add_f32_e32 v11, v11, v21
	v_dual_mul_f32 v21, v149, v133 :: v_dual_fmac_f32 v39, v199, v118
	v_fma_f32 v222, v170, v130, -v19
	v_pk_fma_f32 v[100:101], v[150:151], v[134:135], v[88:89] op_sel_hi:[1,0,1]
	v_add_f32_e32 v7, v7, v37
	v_pk_fma_f32 v[88:89], v[150:151], v[134:135], v[88:89] neg_lo:[0,0,1] neg_hi:[0,0,1]
	v_dual_add_f32 v11, v11, v23 :: v_dual_fma_f32 v224, v148, v132, -v21
	s_delay_alu instid0(VALU_DEP_3) | instskip(SKIP_1) | instid1(VALU_DEP_3)
	v_dual_mov_b32 v89, v101 :: v_dual_add_f32 v7, v7, v39
	v_fmac_f32_e32 v43, v203, v122
	v_dual_fma_f32 v23, v202, v122, -v27 :: v_dual_add_f32 v11, v11, v25
	v_pk_mul_f32 v[90:91], v[152:153], v[136:137] op_sel:[1,1] op_sel_hi:[0,1]
	s_delay_alu instid0(VALU_DEP_4)
	v_add_f32_e32 v7, v7, v41
	v_pk_mul_f32 v[92:93], v[216:217], v[92:93] op_sel_hi:[1,0]
	s_wait_loadcnt 0x3
	v_pk_mul_f32 v[94:95], v[156:157], v[140:141] op_sel:[1,1] op_sel_hi:[0,1]
	v_add_f32_e32 v11, v11, v23
	v_pk_fma_f32 v[102:103], v[152:153], v[136:137], v[90:91] op_sel_hi:[1,0,1]
	v_add_f32_e32 v7, v7, v43
	v_pk_fma_f32 v[90:91], v[152:153], v[136:137], v[90:91] neg_lo:[0,0,1] neg_hi:[0,0,1]
	v_mov_b32_e32 v98, v143
	v_dual_add_f32 v11, v11, v13 :: v_dual_fma_f32 v13, v168, v128, -v17
	s_delay_alu instid0(VALU_DEP_4) | instskip(SKIP_2) | instid1(VALU_DEP_4)
	v_add_f32_e32 v7, v7, v45
	v_mov_b32_e32 v91, v103
	v_pk_fma_f32 v[102:103], v[154:155], v[138:139], v[92:93] op_sel_hi:[1,0,1]
	v_add_f32_e32 v11, v11, v15
	v_pk_fma_f32 v[92:93], v[154:155], v[138:139], v[92:93] neg_lo:[0,0,1] neg_hi:[0,0,1]
	v_add_f32_e32 v7, v7, v47
	v_pk_mul_f32 v[98:99], v[218:219], v[98:99] op_sel_hi:[1,0]
	v_mov_b32_e32 v93, v103
	v_add_f32_e32 v96, v11, v13
	s_wait_loadcnt 0x2
	v_pk_mul_f32 v[100:101], v[160:161], v[144:145] op_sel:[1,1] op_sel_hi:[0,1]
	v_add_f32_e32 v97, v7, v49
	s_delay_alu instid0(VALU_DEP_1) | instskip(NEXT) | instid1(VALU_DEP_1)
	v_pk_add_f32 v[96:97], v[96:97], v[222:223]
	v_pk_add_f32 v[96:97], v[96:97], v[224:225]
	s_delay_alu instid0(VALU_DEP_1) | instskip(SKIP_2) | instid1(VALU_DEP_3)
	v_pk_add_f32 v[88:89], v[96:97], v[88:89]
	v_pk_fma_f32 v[96:97], v[156:157], v[140:141], v[94:95] op_sel_hi:[1,0,1]
	v_pk_fma_f32 v[94:95], v[156:157], v[140:141], v[94:95] neg_lo:[0,0,1] neg_hi:[0,0,1]
	v_pk_add_f32 v[88:89], v[88:89], v[90:91]
	s_delay_alu instid0(VALU_DEP_3) | instskip(SKIP_2) | instid1(VALU_DEP_4)
	v_dual_mov_b32 v90, v147 :: v_dual_mov_b32 v95, v97
	v_pk_fma_f32 v[96:97], v[158:159], v[142:143], v[98:99] op_sel_hi:[1,0,1]
	v_pk_fma_f32 v[98:99], v[158:159], v[142:143], v[98:99] neg_lo:[0,0,1] neg_hi:[0,0,1]
	v_pk_add_f32 v[88:89], v[88:89], v[92:93]
	v_pk_fma_f32 v[92:93], v[160:161], v[144:145], v[100:101] op_sel_hi:[1,0,1]
	v_pk_mul_f32 v[90:91], v[220:221], v[90:91] op_sel_hi:[1,0]
	v_mov_b32_e32 v99, v97
	s_wait_loadcnt_dscnt 0x100
	v_pk_mul_f32 v[96:97], v[212:213], v[208:209] op_sel:[1,1] op_sel_hi:[0,1]
	v_pk_add_f32 v[88:89], v[88:89], v[94:95]
	v_pk_fma_f32 v[94:95], v[160:161], v[144:145], v[100:101] neg_lo:[0,0,1] neg_hi:[0,0,1]
	v_mov_b32_e32 v95, v93
	v_pk_fma_f32 v[92:93], v[162:163], v[146:147], v[90:91] op_sel_hi:[1,0,1]
	v_pk_fma_f32 v[90:91], v[162:163], v[146:147], v[90:91] neg_lo:[0,0,1] neg_hi:[0,0,1]
	v_pk_add_f32 v[88:89], v[88:89], v[98:99]
	s_delay_alu instid0(VALU_DEP_3) | instskip(SKIP_1) | instid1(VALU_DEP_3)
	v_mov_b32_e32 v91, v93
	v_pk_fma_f32 v[92:93], v[212:213], v[208:209], v[96:97] op_sel_hi:[1,0,1]
	v_pk_add_f32 v[88:89], v[88:89], v[94:95]
	v_pk_fma_f32 v[94:95], v[212:213], v[208:209], v[96:97] neg_lo:[0,0,1] neg_hi:[0,0,1]
	s_delay_alu instid0(VALU_DEP_3) | instskip(NEXT) | instid1(VALU_DEP_3)
	v_mov_b32_e32 v95, v93
	v_pk_add_f32 v[88:89], v[88:89], v[90:91]
	s_delay_alu instid0(VALU_DEP_1) | instskip(SKIP_1) | instid1(VALU_DEP_1)
	v_pk_add_f32 v[88:89], v[88:89], v[94:95]
	s_wait_loadcnt 0x0
	v_pk_add_f32 v[88:89], v[210:211], v[88:89] neg_lo:[0,1] neg_hi:[0,1]
	scratch_store_b64 off, v[88:89], off offset:88
	s_wait_xcnt 0x0
	v_cmpx_lt_u32_e32 10, v0
	s_cbranch_execz .LBB42_251
; %bb.250:
	scratch_load_b64 v[88:89], off, off offset:80
	v_mov_b64_e32 v[90:91], 0
	scratch_store_b64 off, v[90:91], off offset:80
	s_wait_loadcnt 0x0
	ds_store_b64 v1, v[88:89]
.LBB42_251:
	s_wait_xcnt 0x0
	s_or_b32 exec_lo, exec_lo, s0
	s_wait_storecnt_dscnt 0x0
	s_barrier_signal -1
	s_barrier_wait -1
	s_clause 0x10
	scratch_load_b128 v[88:91], off, off offset:88
	scratch_load_b128 v[92:95], off, off offset:104
	;; [unrolled: 1-line block ×16, first 2 shown]
	scratch_load_b64 v[216:217], off, off offset:80
	ds_load_2addr_b64 v[152:155], v3 offset0:79 offset1:80
	ds_load_2addr_b64 v[156:159], v3 offset0:81 offset1:82
	;; [unrolled: 1-line block ×16, first 2 shown]
	s_mov_b32 s0, exec_lo
	s_wait_dscnt 0xf
	v_dual_mov_b32 v218, v155 :: v_dual_mov_b32 v219, v154
	s_wait_dscnt 0xe
	v_dual_mov_b32 v220, v159 :: v_dual_mov_b32 v221, v158
	;; [unrolled: 2-line block ×4, first 2 shown]
	s_wait_loadcnt_dscnt 0x100b
	v_dual_mul_f32 v3, v168, v89 :: v_dual_mul_f32 v7, v170, v91
	v_dual_mul_f32 v51, v169, v89 :: v_dual_mul_f32 v53, v171, v91
	s_wait_loadcnt_dscnt 0xf0a
	v_dual_mul_f32 v11, v172, v93 :: v_dual_mul_f32 v13, v174, v95
	s_delay_alu instid0(VALU_DEP_3)
	v_fmac_f32_e32 v3, v169, v88
	s_wait_loadcnt_dscnt 0xd08
	v_dual_fma_f32 v51, v168, v88, -v51 :: v_dual_mul_f32 v63, v181, v101
	v_dual_mul_f32 v55, v173, v93 :: v_dual_mul_f32 v57, v175, v95
	v_dual_fma_f32 v53, v170, v90, -v53 :: v_dual_fmac_f32 v7, v171, v90
	v_add_f32_e32 v3, 0, v3
	s_delay_alu instid0(VALU_DEP_4) | instskip(NEXT) | instid1(VALU_DEP_4)
	v_dual_add_f32 v51, 0, v51 :: v_dual_fmac_f32 v11, v173, v92
	v_dual_mul_f32 v65, v183, v103 :: v_dual_fma_f32 v55, v172, v92, -v55
	s_delay_alu instid0(VALU_DEP_3) | instskip(NEXT) | instid1(VALU_DEP_3)
	v_add_f32_e32 v3, v3, v7
	v_dual_add_f32 v7, v51, v53 :: v_dual_fma_f32 v53, v174, v94, -v57
	v_dual_mul_f32 v15, v176, v97 :: v_dual_mul_f32 v17, v178, v99
	v_dual_mul_f32 v59, v177, v97 :: v_dual_mul_f32 v61, v179, v99
	s_wait_loadcnt_dscnt 0xc07
	v_dual_mul_f32 v51, v185, v105 :: v_dual_fmac_f32 v13, v175, v94
	s_delay_alu instid0(VALU_DEP_3) | instskip(SKIP_2) | instid1(VALU_DEP_3)
	v_dual_fmac_f32 v15, v177, v96 :: v_dual_add_f32 v3, v3, v11
	v_dual_add_f32 v7, v7, v55 :: v_dual_mul_f32 v19, v180, v101
	v_dual_mul_f32 v21, v182, v103 :: v_dual_fma_f32 v55, v176, v96, -v59
	v_add_f32_e32 v3, v3, v13
	s_wait_loadcnt_dscnt 0xb06
	v_mul_f32_e32 v13, v189, v109
	v_add_f32_e32 v7, v7, v53
	v_dual_mul_f32 v11, v187, v107 :: v_dual_fma_f32 v53, v178, v98, -v61
	v_dual_mul_f32 v27, v188, v109 :: v_dual_mul_f32 v29, v190, v111
	s_delay_alu instid0(VALU_DEP_3) | instskip(SKIP_2) | instid1(VALU_DEP_3)
	v_dual_add_f32 v7, v7, v55 :: v_dual_fma_f32 v55, v180, v100, -v63
	v_dual_mul_f32 v23, v184, v105 :: v_dual_mul_f32 v25, v186, v107
	v_fmac_f32_e32 v17, v179, v98
	v_dual_add_f32 v7, v7, v53 :: v_dual_fmac_f32 v27, v189, v108
	v_dual_fmac_f32 v19, v181, v100 :: v_dual_add_f32 v3, v3, v15
	s_delay_alu instid0(VALU_DEP_2) | instskip(SKIP_2) | instid1(VALU_DEP_4)
	v_dual_fma_f32 v53, v182, v102, -v65 :: v_dual_add_f32 v7, v7, v55
	v_dual_fma_f32 v13, v188, v108, -v13 :: v_dual_mul_f32 v15, v191, v111
	v_fma_f32 v51, v184, v104, -v51
	v_dual_fmac_f32 v23, v185, v104 :: v_dual_add_f32 v3, v3, v17
	s_wait_loadcnt_dscnt 0xa05
	v_dual_fma_f32 v11, v186, v106, -v11 :: v_dual_mul_f32 v17, v193, v113
	v_add_f32_e32 v7, v7, v53
	s_wait_loadcnt_dscnt 0x904
	v_dual_mul_f32 v35, v196, v117 :: v_dual_mul_f32 v37, v198, v119
	v_fmac_f32_e32 v21, v183, v102
	s_delay_alu instid0(VALU_DEP_3) | instskip(NEXT) | instid1(VALU_DEP_3)
	v_dual_fma_f32 v17, v192, v112, -v17 :: v_dual_add_f32 v7, v7, v51
	v_dual_fmac_f32 v35, v197, v116 :: v_dual_add_f32 v3, v3, v19
	v_dual_mul_f32 v19, v195, v115 :: v_dual_fma_f32 v15, v190, v110, -v15
	s_delay_alu instid0(VALU_DEP_3) | instskip(SKIP_3) | instid1(VALU_DEP_3)
	v_dual_add_f32 v7, v7, v11 :: v_dual_mul_f32 v31, v192, v113
	v_dual_mul_f32 v33, v194, v115 :: v_dual_fmac_f32 v25, v187, v106
	s_wait_loadcnt_dscnt 0x803
	v_mul_f32_e32 v11, v201, v121
	v_add_f32_e32 v7, v7, v13
	v_mul_f32_e32 v13, v203, v123
	v_dual_add_f32 v3, v3, v21 :: v_dual_fmac_f32 v31, v193, v112
	v_dual_mul_f32 v21, v197, v117 :: v_dual_fma_f32 v19, v194, v114, -v19
	s_delay_alu instid0(VALU_DEP_3) | instskip(SKIP_1) | instid1(VALU_DEP_3)
	v_dual_fma_f32 v13, v202, v122, -v13 :: v_dual_add_f32 v7, v7, v15
	s_wait_loadcnt_dscnt 0x702
	v_dual_mul_f32 v15, v205, v125 :: v_dual_add_f32 v3, v3, v23
	s_wait_loadcnt_dscnt 0x500
	v_dual_mul_f32 v227, v212, v133 :: v_dual_mul_f32 v229, v214, v135
	v_dual_mul_f32 v23, v199, v119 :: v_dual_fma_f32 v21, v196, v116, -v21
	s_delay_alu instid0(VALU_DEP_3) | instskip(NEXT) | instid1(VALU_DEP_2)
	v_dual_fma_f32 v15, v204, v124, -v15 :: v_dual_add_f32 v7, v7, v17
	v_dual_add_f32 v3, v3, v25 :: v_dual_fma_f32 v23, v198, v118, -v23
	s_delay_alu instid0(VALU_DEP_4) | instskip(SKIP_1) | instid1(VALU_DEP_4)
	v_dual_fmac_f32 v227, v213, v132 :: v_dual_mul_f32 v39, v200, v121
	v_mul_f32_e32 v41, v202, v123
	v_add_f32_e32 v7, v7, v19
	v_fmac_f32_e32 v29, v191, v110
	v_dual_add_f32 v3, v3, v27 :: v_dual_fma_f32 v11, v200, v120, -v11
	v_dual_mul_f32 v43, v204, v125 :: v_dual_mul_f32 v45, v206, v127
	s_delay_alu instid0(VALU_DEP_4) | instskip(NEXT) | instid1(VALU_DEP_2)
	v_dual_add_f32 v7, v7, v21 :: v_dual_fmac_f32 v39, v201, v120
	v_dual_add_f32 v3, v3, v29 :: v_dual_fmac_f32 v43, v205, v124
	v_dual_mul_f32 v47, v208, v129 :: v_dual_mul_f32 v49, v210, v131
	s_delay_alu instid0(VALU_DEP_3) | instskip(SKIP_3) | instid1(VALU_DEP_4)
	v_add_f32_e32 v7, v7, v23
	v_fmac_f32_e32 v33, v195, v114
	v_dual_mul_f32 v17, v207, v127 :: v_dual_fmac_f32 v45, v207, v126
	v_add_f32_e32 v3, v3, v31
	v_add_f32_e32 v7, v7, v11
	v_dual_mul_f32 v21, v211, v131 :: v_dual_fmac_f32 v49, v211, v130
	v_fmac_f32_e32 v47, v209, v128
	v_mul_f32_e32 v23, v213, v133
	s_delay_alu instid0(VALU_DEP_4) | instskip(SKIP_1) | instid1(VALU_DEP_3)
	v_dual_add_f32 v7, v7, v13 :: v_dual_fma_f32 v13, v206, v126, -v17
	v_add_f32_e32 v3, v3, v33
	v_dual_fmac_f32 v37, v199, v118 :: v_dual_fma_f32 v226, v212, v132, -v23
	s_delay_alu instid0(VALU_DEP_3) | instskip(SKIP_2) | instid1(VALU_DEP_3)
	v_add_f32_e32 v7, v7, v15
	v_dual_mul_f32 v11, v215, v135 :: v_dual_fmac_f32 v229, v215, v134
	v_dual_fmac_f32 v41, v203, v122 :: v_dual_mul_f32 v19, v209, v129
	v_dual_add_f32 v7, v7, v13 :: v_dual_fma_f32 v13, v210, v130, -v21
	s_delay_alu instid0(VALU_DEP_3) | instskip(NEXT) | instid1(VALU_DEP_3)
	v_dual_add_f32 v3, v3, v35 :: v_dual_fma_f32 v228, v214, v134, -v11
	v_fma_f32 v15, v208, v128, -v19
	s_wait_loadcnt 0x4
	v_pk_mul_f32 v[88:89], v[152:153], v[136:137] op_sel:[1,1] op_sel_hi:[0,1]
	s_wait_loadcnt 0x3
	v_dual_mov_b32 v90, v139 :: v_dual_mov_b32 v94, v143
	v_add_f32_e32 v3, v3, v37
	v_add_f32_e32 v7, v7, v15
	v_pk_fma_f32 v[98:99], v[152:153], v[136:137], v[88:89] op_sel_hi:[1,0,1]
	s_delay_alu instid0(VALU_DEP_4)
	v_pk_mul_f32 v[90:91], v[218:219], v[90:91] op_sel_hi:[1,0]
	v_pk_fma_f32 v[88:89], v[152:153], v[136:137], v[88:89] neg_lo:[0,0,1] neg_hi:[0,0,1]
	v_add_f32_e32 v3, v3, v39
	v_add_f32_e32 v96, v7, v13
	v_pk_mul_f32 v[92:93], v[156:157], v[140:141] op_sel:[1,1] op_sel_hi:[0,1]
	v_mov_b32_e32 v89, v99
	v_pk_fma_f32 v[98:99], v[154:155], v[138:139], v[90:91] op_sel_hi:[1,0,1]
	v_add_f32_e32 v3, v3, v41
	v_pk_fma_f32 v[90:91], v[154:155], v[138:139], v[90:91] neg_lo:[0,0,1] neg_hi:[0,0,1]
	v_pk_fma_f32 v[102:103], v[156:157], v[140:141], v[92:93] op_sel_hi:[1,0,1]
	v_pk_mul_f32 v[94:95], v[220:221], v[94:95] op_sel_hi:[1,0]
	v_mov_b32_e32 v91, v99
	v_add_f32_e32 v3, v3, v43
	s_wait_loadcnt 0x2
	v_pk_mul_f32 v[100:101], v[160:161], v[144:145] op_sel:[1,1] op_sel_hi:[0,1]
	v_pk_fma_f32 v[92:93], v[156:157], v[140:141], v[92:93] neg_lo:[0,0,1] neg_hi:[0,0,1]
	v_mov_b32_e32 v93, v103
	v_pk_fma_f32 v[98:99], v[158:159], v[142:143], v[94:95] op_sel_hi:[1,0,1]
	v_add_f32_e32 v3, v3, v45
	v_pk_fma_f32 v[94:95], v[158:159], v[142:143], v[94:95] neg_lo:[0,0,1] neg_hi:[0,0,1]
	s_delay_alu instid0(VALU_DEP_2) | instskip(NEXT) | instid1(VALU_DEP_1)
	v_add_f32_e32 v3, v3, v47
	v_add_f32_e32 v97, v3, v49
	s_delay_alu instid0(VALU_DEP_1) | instskip(NEXT) | instid1(VALU_DEP_1)
	v_pk_add_f32 v[96:97], v[96:97], v[226:227]
	v_pk_add_f32 v[96:97], v[96:97], v[228:229]
	s_delay_alu instid0(VALU_DEP_1) | instskip(SKIP_1) | instid1(VALU_DEP_2)
	v_pk_add_f32 v[88:89], v[96:97], v[88:89]
	v_mov_b32_e32 v96, v147
	v_pk_add_f32 v[88:89], v[88:89], v[90:91]
	v_pk_fma_f32 v[90:91], v[160:161], v[144:145], v[100:101] op_sel_hi:[1,0,1]
	s_delay_alu instid0(VALU_DEP_3)
	v_pk_mul_f32 v[96:97], v[222:223], v[96:97] op_sel_hi:[1,0]
	v_mov_b32_e32 v95, v99
	v_pk_fma_f32 v[98:99], v[160:161], v[144:145], v[100:101] neg_lo:[0,0,1] neg_hi:[0,0,1]
	v_pk_add_f32 v[88:89], v[88:89], v[92:93]
	v_mov_b32_e32 v99, v91
	v_pk_fma_f32 v[90:91], v[162:163], v[146:147], v[96:97] op_sel_hi:[1,0,1]
	s_wait_loadcnt 0x1
	v_pk_mul_f32 v[92:93], v[164:165], v[148:149] op_sel:[1,1] op_sel_hi:[0,1]
	v_mov_b32_e32 v90, v151
	v_pk_add_f32 v[88:89], v[88:89], v[94:95]
	v_pk_fma_f32 v[96:97], v[162:163], v[146:147], v[96:97] neg_lo:[0,0,1] neg_hi:[0,0,1]
	v_mov_b32_e32 v97, v91
	v_pk_fma_f32 v[94:95], v[164:165], v[148:149], v[92:93] op_sel_hi:[1,0,1]
	v_pk_mul_f32 v[90:91], v[224:225], v[90:91] op_sel_hi:[1,0]
	v_pk_add_f32 v[88:89], v[88:89], v[98:99]
	v_pk_fma_f32 v[92:93], v[164:165], v[148:149], v[92:93] neg_lo:[0,0,1] neg_hi:[0,0,1]
	s_delay_alu instid0(VALU_DEP_4) | instskip(NEXT) | instid1(VALU_DEP_4)
	v_mov_b32_e32 v93, v95
	v_pk_fma_f32 v[94:95], v[166:167], v[150:151], v[90:91] op_sel_hi:[1,0,1]
	s_delay_alu instid0(VALU_DEP_4) | instskip(SKIP_1) | instid1(VALU_DEP_3)
	v_pk_add_f32 v[88:89], v[88:89], v[96:97]
	v_pk_fma_f32 v[90:91], v[166:167], v[150:151], v[90:91] neg_lo:[0,0,1] neg_hi:[0,0,1]
	v_mov_b32_e32 v91, v95
	s_delay_alu instid0(VALU_DEP_3) | instskip(NEXT) | instid1(VALU_DEP_1)
	v_pk_add_f32 v[88:89], v[88:89], v[92:93]
	v_pk_add_f32 v[88:89], v[88:89], v[90:91]
	s_wait_loadcnt 0x0
	s_delay_alu instid0(VALU_DEP_1)
	v_pk_add_f32 v[88:89], v[216:217], v[88:89] neg_lo:[0,1] neg_hi:[0,1]
	scratch_store_b64 off, v[88:89], off offset:80
	s_wait_xcnt 0x0
	v_cmpx_lt_u32_e32 9, v0
	s_cbranch_execz .LBB42_253
; %bb.252:
	scratch_load_b64 v[88:89], off, off offset:72
	v_mov_b64_e32 v[90:91], 0
	scratch_store_b64 off, v[90:91], off offset:72
	s_wait_loadcnt 0x0
	ds_store_b64 v1, v[88:89]
.LBB42_253:
	s_wait_xcnt 0x0
	s_or_b32 exec_lo, exec_lo, s0
	s_wait_storecnt_dscnt 0x0
	s_barrier_signal -1
	s_barrier_wait -1
	s_clause 0x11
	scratch_load_b128 v[88:91], off, off offset:80
	scratch_load_b128 v[92:95], off, off offset:96
	scratch_load_b128 v[96:99], off, off offset:112
	scratch_load_b128 v[100:103], off, off offset:128
	scratch_load_b128 v[104:107], off, off offset:144
	scratch_load_b128 v[108:111], off, off offset:160
	scratch_load_b128 v[112:115], off, off offset:176
	scratch_load_b128 v[116:119], off, off offset:192
	scratch_load_b128 v[120:123], off, off offset:208
	scratch_load_b128 v[124:127], off, off offset:224
	scratch_load_b128 v[128:131], off, off offset:240
	scratch_load_b128 v[132:135], off, off offset:256
	scratch_load_b128 v[136:139], off, off offset:272
	scratch_load_b128 v[140:143], off, off offset:288
	scratch_load_b128 v[144:147], off, off offset:304
	scratch_load_b128 v[148:151], off, off offset:320
	scratch_load_b64 v[216:217], off, off offset:336
	scratch_load_b64 v[218:219], off, off offset:72
	v_mov_b32_e32 v3, 0
	ds_load_b128 v[152:155], v3 offset:624
	ds_load_b128 v[156:159], v3 offset:640
	;; [unrolled: 1-line block ×16, first 2 shown]
	ds_load_b64 v[220:221], v3 offset:688
	s_mov_b32 s0, exec_lo
	s_wait_dscnt 0x10
	v_dual_mov_b32 v222, v155 :: v_dual_mov_b32 v223, v154
	s_wait_dscnt 0xd
	v_dual_mov_b32 v224, v159 :: v_dual_mov_b32 v229, v166
	v_dual_mov_b32 v225, v158 :: v_dual_mov_b32 v226, v163
	v_dual_mov_b32 v227, v162 :: v_dual_mov_b32 v228, v167
	s_wait_loadcnt_dscnt 0x110c
	v_dual_mul_f32 v7, v168, v89 :: v_dual_mul_f32 v55, v169, v89
	v_dual_mul_f32 v57, v171, v91 :: v_dual_mul_f32 v11, v170, v91
	s_wait_loadcnt_dscnt 0x100b
	v_mul_f32_e32 v13, v172, v93
	s_wait_loadcnt_dscnt 0xe09
	v_dual_mul_f32 v67, v181, v101 :: v_dual_fma_f32 v55, v168, v88, -v55
	v_dual_fmac_f32 v7, v169, v88 :: v_dual_mul_f32 v69, v183, v103
	v_dual_mul_f32 v59, v173, v93 :: v_dual_mul_f32 v61, v175, v95
	v_dual_fmac_f32 v11, v171, v90 :: v_dual_fma_f32 v57, v170, v90, -v57
	s_wait_loadcnt_dscnt 0xd08
	s_delay_alu instid0(VALU_DEP_3) | instskip(SKIP_1) | instid1(VALU_DEP_2)
	v_dual_add_f32 v7, 0, v7 :: v_dual_mul_f32 v71, v185, v105
	v_dual_add_f32 v55, 0, v55 :: v_dual_fmac_f32 v13, v173, v92
	v_dual_fma_f32 v59, v172, v92, -v59 :: v_dual_add_f32 v7, v7, v11
	v_dual_mul_f32 v63, v177, v97 :: v_dual_mul_f32 v65, v179, v99
	s_delay_alu instid0(VALU_DEP_3) | instskip(SKIP_2) | instid1(VALU_DEP_3)
	v_dual_add_f32 v11, v55, v57 :: v_dual_fma_f32 v57, v174, v94, -v61
	v_dual_mul_f32 v15, v174, v95 :: v_dual_mul_f32 v17, v176, v97
	v_dual_mul_f32 v19, v178, v99 :: v_dual_mul_f32 v21, v180, v101
	v_add_f32_e32 v11, v11, v59
	v_dual_add_f32 v7, v7, v13 :: v_dual_fma_f32 v59, v176, v96, -v63
	v_dual_mul_f32 v23, v182, v103 :: v_dual_mul_f32 v25, v184, v105
	s_delay_alu instid0(VALU_DEP_3) | instskip(SKIP_1) | instid1(VALU_DEP_2)
	v_dual_add_f32 v11, v11, v57 :: v_dual_fmac_f32 v21, v181, v100
	v_dual_fmac_f32 v15, v175, v94 :: v_dual_fmac_f32 v17, v177, v96
	v_dual_fma_f32 v57, v178, v98, -v65 :: v_dual_add_f32 v11, v11, v59
	s_delay_alu instid0(VALU_DEP_4) | instskip(SKIP_1) | instid1(VALU_DEP_3)
	v_dual_fmac_f32 v25, v185, v104 :: v_dual_mul_f32 v55, v187, v107
	s_wait_loadcnt_dscnt 0xc07
	v_dual_mul_f32 v13, v189, v109 :: v_dual_add_f32 v7, v7, v15
	v_dual_mul_f32 v15, v191, v111 :: v_dual_fma_f32 v59, v180, v100, -v67
	s_delay_alu instid0(VALU_DEP_3) | instskip(SKIP_1) | instid1(VALU_DEP_4)
	v_dual_add_f32 v11, v11, v57 :: v_dual_fma_f32 v55, v186, v106, -v55
	v_fmac_f32_e32 v19, v179, v98
	v_dual_add_f32 v7, v7, v17 :: v_dual_fma_f32 v57, v182, v102, -v69
	s_delay_alu instid0(VALU_DEP_3) | instskip(SKIP_2) | instid1(VALU_DEP_3)
	v_dual_add_f32 v11, v11, v59 :: v_dual_fma_f32 v15, v190, v110, -v15
	s_wait_loadcnt_dscnt 0xb06
	v_dual_mul_f32 v31, v190, v111 :: v_dual_mul_f32 v33, v192, v113
	v_dual_add_f32 v7, v7, v19 :: v_dual_fma_f32 v59, v184, v104, -v71
	s_delay_alu instid0(VALU_DEP_3) | instskip(SKIP_4) | instid1(VALU_DEP_3)
	v_dual_add_f32 v11, v11, v57 :: v_dual_mul_f32 v27, v186, v107
	v_dual_mul_f32 v29, v188, v109 :: v_dual_mul_f32 v35, v194, v115
	s_wait_loadcnt_dscnt 0xa05
	v_mul_f32_e32 v37, v196, v117
	v_dual_mul_f32 v17, v193, v113 :: v_dual_fmac_f32 v23, v183, v102
	v_dual_fmac_f32 v29, v189, v108 :: v_dual_add_f32 v7, v7, v21
	v_fma_f32 v13, v188, v108, -v13
	v_dual_fmac_f32 v33, v193, v112 :: v_dual_add_f32 v11, v11, v59
	s_delay_alu instid0(VALU_DEP_3) | instskip(SKIP_1) | instid1(VALU_DEP_3)
	v_dual_fmac_f32 v37, v197, v116 :: v_dual_add_f32 v7, v7, v23
	v_dual_mul_f32 v23, v199, v119 :: v_dual_fma_f32 v17, v192, v112, -v17
	v_add_f32_e32 v11, v11, v55
	s_wait_loadcnt_dscnt 0x803
	v_dual_mul_f32 v43, v202, v123 :: v_dual_mul_f32 v45, v204, v125
	s_delay_alu instid0(VALU_DEP_3) | instskip(NEXT) | instid1(VALU_DEP_3)
	v_dual_fma_f32 v23, v198, v118, -v23 :: v_dual_mul_f32 v19, v195, v115
	v_add_f32_e32 v11, v11, v13
	v_dual_mul_f32 v21, v197, v117 :: v_dual_fmac_f32 v27, v187, v106
	v_mul_f32_e32 v13, v205, v125
	v_add_f32_e32 v7, v7, v25
	s_delay_alu instid0(VALU_DEP_4) | instskip(SKIP_3) | instid1(VALU_DEP_3)
	v_dual_add_f32 v11, v11, v15 :: v_dual_fmac_f32 v45, v205, v124
	v_dual_mul_f32 v25, v201, v121 :: v_dual_fma_f32 v19, v194, v114, -v19
	s_wait_loadcnt_dscnt 0x601
	v_dual_mul_f32 v51, v210, v131 :: v_dual_mul_f32 v53, v212, v133
	v_add_f32_e32 v11, v11, v17
	v_dual_mul_f32 v17, v209, v129 :: v_dual_add_f32 v7, v7, v27
	s_wait_loadcnt 0x5
	v_dual_fma_f32 v21, v196, v116, -v21 :: v_dual_mov_b32 v88, v139
	s_wait_loadcnt 0x4
	v_mov_b32_e32 v92, v143
	v_dual_add_f32 v11, v11, v19 :: v_dual_fmac_f32 v53, v213, v132
	v_dual_mul_f32 v231, v214, v135 :: v_dual_mul_f32 v233, v152, v137
	v_pk_mul_f32 v[88:89], v[222:223], v[88:89] op_sel_hi:[1,0]
	s_delay_alu instid0(VALU_DEP_3)
	v_dual_add_f32 v11, v11, v21 :: v_dual_mul_f32 v39, v198, v119
	v_dual_mul_f32 v41, v200, v121 :: v_dual_mul_f32 v27, v203, v123
	v_dual_mul_f32 v21, v213, v133 :: v_dual_fmac_f32 v31, v191, v110
	v_dual_add_f32 v7, v7, v29 :: v_dual_fma_f32 v25, v200, v120, -v25
	v_fmac_f32_e32 v233, v153, v136
	v_pk_fma_f32 v[100:101], v[154:155], v[138:139], v[88:89] op_sel_hi:[1,0,1]
	v_add_f32_e32 v11, v11, v23
	v_pk_fma_f32 v[88:89], v[154:155], v[138:139], v[88:89] neg_lo:[0,0,1] neg_hi:[0,0,1]
	v_dual_fmac_f32 v41, v201, v120 :: v_dual_add_f32 v7, v7, v31
	s_delay_alu instid0(VALU_DEP_4) | instskip(NEXT) | instid1(VALU_DEP_4)
	v_dual_fma_f32 v27, v202, v122, -v27 :: v_dual_mov_b32 v89, v101
	v_dual_add_f32 v11, v11, v25 :: v_dual_mul_f32 v47, v206, v127
	v_dual_mul_f32 v49, v208, v129 :: v_dual_mul_f32 v15, v207, v127
	v_dual_fma_f32 v13, v204, v124, -v13 :: v_dual_fmac_f32 v35, v195, v114
	v_mul_f32_e32 v25, v153, v137
	s_delay_alu instid0(VALU_DEP_3) | instskip(SKIP_2) | instid1(VALU_DEP_3)
	v_dual_add_f32 v7, v7, v33 :: v_dual_fma_f32 v15, v206, v126, -v15
	v_add_f32_e32 v11, v11, v27
	v_dual_mul_f32 v19, v211, v131 :: v_dual_fmac_f32 v51, v211, v130
	v_dual_fmac_f32 v49, v209, v128 :: v_dual_add_f32 v7, v7, v35
	s_delay_alu instid0(VALU_DEP_3) | instskip(SKIP_2) | instid1(VALU_DEP_3)
	v_add_f32_e32 v11, v11, v13
	v_fmac_f32_e32 v39, v199, v118
	v_dual_mul_f32 v23, v215, v135 :: v_dual_fmac_f32 v231, v215, v134
	v_dual_fma_f32 v13, v208, v128, -v17 :: v_dual_add_f32 v11, v11, v15
	v_dual_fma_f32 v15, v210, v130, -v19 :: v_dual_add_f32 v7, v7, v37
	s_delay_alu instid0(VALU_DEP_3) | instskip(SKIP_1) | instid1(VALU_DEP_4)
	v_fma_f32 v230, v214, v134, -v23
	v_fmac_f32_e32 v43, v203, v122
	v_dual_add_f32 v11, v11, v13 :: v_dual_fma_f32 v13, v212, v132, -v21
	s_delay_alu instid0(VALU_DEP_4) | instskip(SKIP_1) | instid1(VALU_DEP_3)
	v_dual_add_f32 v7, v7, v39 :: v_dual_fma_f32 v232, v152, v136, -v25
	v_fmac_f32_e32 v47, v207, v126
	v_add_f32_e32 v11, v11, v15
	v_pk_mul_f32 v[90:91], v[156:157], v[140:141] op_sel:[1,1] op_sel_hi:[0,1]
	s_delay_alu instid0(VALU_DEP_4)
	v_add_f32_e32 v7, v7, v41
	v_pk_mul_f32 v[92:93], v[224:225], v[92:93] op_sel_hi:[1,0]
	s_wait_loadcnt 0x3
	v_pk_mul_f32 v[94:95], v[160:161], v[144:145] op_sel:[1,1] op_sel_hi:[0,1]
	v_add_f32_e32 v96, v11, v13
	v_pk_fma_f32 v[102:103], v[156:157], v[140:141], v[90:91] op_sel_hi:[1,0,1]
	v_add_f32_e32 v7, v7, v43
	v_pk_fma_f32 v[90:91], v[156:157], v[140:141], v[90:91] neg_lo:[0,0,1] neg_hi:[0,0,1]
	v_mov_b32_e32 v98, v147
	s_wait_loadcnt 0x2
	v_pk_mul_f32 v[100:101], v[164:165], v[148:149] op_sel:[1,1] op_sel_hi:[0,1]
	v_mov_b32_e32 v91, v103
	v_add_f32_e32 v7, v7, v45
	v_pk_fma_f32 v[102:103], v[158:159], v[142:143], v[92:93] op_sel_hi:[1,0,1]
	v_pk_fma_f32 v[92:93], v[158:159], v[142:143], v[92:93] neg_lo:[0,0,1] neg_hi:[0,0,1]
	v_pk_mul_f32 v[98:99], v[226:227], v[98:99] op_sel_hi:[1,0]
	s_delay_alu instid0(VALU_DEP_4) | instskip(NEXT) | instid1(VALU_DEP_4)
	v_add_f32_e32 v7, v7, v47
	v_mov_b32_e32 v93, v103
	s_delay_alu instid0(VALU_DEP_2) | instskip(NEXT) | instid1(VALU_DEP_1)
	v_add_f32_e32 v7, v7, v49
	v_add_f32_e32 v7, v7, v51
	s_delay_alu instid0(VALU_DEP_1) | instskip(NEXT) | instid1(VALU_DEP_1)
	v_add_f32_e32 v97, v7, v53
	v_pk_add_f32 v[96:97], v[96:97], v[230:231]
	s_delay_alu instid0(VALU_DEP_1) | instskip(NEXT) | instid1(VALU_DEP_1)
	v_pk_add_f32 v[96:97], v[96:97], v[232:233]
	v_pk_add_f32 v[88:89], v[96:97], v[88:89]
	v_pk_fma_f32 v[96:97], v[160:161], v[144:145], v[94:95] op_sel_hi:[1,0,1]
	v_pk_fma_f32 v[94:95], v[160:161], v[144:145], v[94:95] neg_lo:[0,0,1] neg_hi:[0,0,1]
	s_delay_alu instid0(VALU_DEP_3) | instskip(NEXT) | instid1(VALU_DEP_3)
	v_pk_add_f32 v[88:89], v[88:89], v[90:91]
	v_dual_mov_b32 v90, v151 :: v_dual_mov_b32 v95, v97
	v_pk_fma_f32 v[96:97], v[162:163], v[146:147], v[98:99] op_sel_hi:[1,0,1]
	v_pk_fma_f32 v[98:99], v[162:163], v[146:147], v[98:99] neg_lo:[0,0,1] neg_hi:[0,0,1]
	s_delay_alu instid0(VALU_DEP_4)
	v_pk_add_f32 v[88:89], v[88:89], v[92:93]
	v_pk_fma_f32 v[92:93], v[164:165], v[148:149], v[100:101] op_sel_hi:[1,0,1]
	v_pk_mul_f32 v[90:91], v[228:229], v[90:91] op_sel_hi:[1,0]
	v_mov_b32_e32 v99, v97
	s_wait_loadcnt_dscnt 0x100
	v_pk_mul_f32 v[96:97], v[220:221], v[216:217] op_sel:[1,1] op_sel_hi:[0,1]
	v_pk_add_f32 v[88:89], v[88:89], v[94:95]
	v_pk_fma_f32 v[94:95], v[164:165], v[148:149], v[100:101] neg_lo:[0,0,1] neg_hi:[0,0,1]
	v_mov_b32_e32 v95, v93
	v_pk_fma_f32 v[92:93], v[166:167], v[150:151], v[90:91] op_sel_hi:[1,0,1]
	v_pk_fma_f32 v[90:91], v[166:167], v[150:151], v[90:91] neg_lo:[0,0,1] neg_hi:[0,0,1]
	v_pk_add_f32 v[88:89], v[88:89], v[98:99]
	s_delay_alu instid0(VALU_DEP_3) | instskip(SKIP_1) | instid1(VALU_DEP_3)
	v_mov_b32_e32 v91, v93
	v_pk_fma_f32 v[92:93], v[220:221], v[216:217], v[96:97] op_sel_hi:[1,0,1]
	v_pk_add_f32 v[88:89], v[88:89], v[94:95]
	v_pk_fma_f32 v[94:95], v[220:221], v[216:217], v[96:97] neg_lo:[0,0,1] neg_hi:[0,0,1]
	s_delay_alu instid0(VALU_DEP_3) | instskip(NEXT) | instid1(VALU_DEP_3)
	v_mov_b32_e32 v95, v93
	v_pk_add_f32 v[88:89], v[88:89], v[90:91]
	s_delay_alu instid0(VALU_DEP_1) | instskip(SKIP_1) | instid1(VALU_DEP_1)
	v_pk_add_f32 v[88:89], v[88:89], v[94:95]
	s_wait_loadcnt 0x0
	v_pk_add_f32 v[88:89], v[218:219], v[88:89] neg_lo:[0,1] neg_hi:[0,1]
	scratch_store_b64 off, v[88:89], off offset:72
	s_wait_xcnt 0x0
	v_cmpx_lt_u32_e32 8, v0
	s_cbranch_execz .LBB42_255
; %bb.254:
	scratch_load_b64 v[88:89], off, off offset:64
	v_mov_b64_e32 v[90:91], 0
	scratch_store_b64 off, v[90:91], off offset:64
	s_wait_loadcnt 0x0
	ds_store_b64 v1, v[88:89]
.LBB42_255:
	s_wait_xcnt 0x0
	s_or_b32 exec_lo, exec_lo, s0
	s_wait_storecnt_dscnt 0x0
	s_barrier_signal -1
	s_barrier_wait -1
	s_clause 0x11
	scratch_load_b128 v[88:91], off, off offset:72
	scratch_load_b128 v[92:95], off, off offset:88
	;; [unrolled: 1-line block ×17, first 2 shown]
	scratch_load_b64 v[224:225], off, off offset:64
	ds_load_2addr_b64 v[156:159], v3 offset0:79 offset1:80
	ds_load_2addr_b64 v[160:163], v3 offset0:81 offset1:82
	;; [unrolled: 1-line block ×17, first 2 shown]
	s_mov_b32 s0, exec_lo
	s_wait_dscnt 0x10
	v_dual_mov_b32 v226, v159 :: v_dual_mov_b32 v227, v158
	s_wait_dscnt 0xf
	v_dual_mov_b32 v228, v163 :: v_dual_mov_b32 v229, v162
	;; [unrolled: 2-line block ×4, first 2 shown]
	s_wait_loadcnt_dscnt 0x110b
	v_dual_mul_f32 v3, v176, v89 :: v_dual_mul_f32 v7, v178, v91
	v_dual_mul_f32 v55, v177, v89 :: v_dual_mul_f32 v57, v179, v91
	s_wait_loadcnt_dscnt 0x100a
	v_dual_mul_f32 v11, v180, v93 :: v_dual_mul_f32 v13, v182, v95
	s_delay_alu instid0(VALU_DEP_3)
	v_fmac_f32_e32 v3, v177, v88
	s_wait_loadcnt_dscnt 0xe08
	v_dual_fma_f32 v55, v176, v88, -v55 :: v_dual_mul_f32 v67, v189, v101
	v_dual_mul_f32 v59, v181, v93 :: v_dual_mul_f32 v61, v183, v95
	v_dual_fma_f32 v57, v178, v90, -v57 :: v_dual_fmac_f32 v7, v179, v90
	v_add_f32_e32 v3, 0, v3
	s_delay_alu instid0(VALU_DEP_4) | instskip(NEXT) | instid1(VALU_DEP_4)
	v_dual_add_f32 v55, 0, v55 :: v_dual_fmac_f32 v11, v181, v92
	v_dual_mul_f32 v69, v191, v103 :: v_dual_fma_f32 v59, v180, v92, -v59
	s_delay_alu instid0(VALU_DEP_3) | instskip(NEXT) | instid1(VALU_DEP_3)
	v_add_f32_e32 v3, v3, v7
	v_dual_add_f32 v7, v55, v57 :: v_dual_fma_f32 v57, v182, v94, -v61
	v_dual_mul_f32 v15, v184, v97 :: v_dual_mul_f32 v17, v186, v99
	v_dual_mul_f32 v63, v185, v97 :: v_dual_mul_f32 v65, v187, v99
	s_wait_loadcnt_dscnt 0xd07
	v_dual_mul_f32 v55, v193, v105 :: v_dual_fmac_f32 v13, v183, v94
	s_delay_alu instid0(VALU_DEP_3) | instskip(SKIP_2) | instid1(VALU_DEP_3)
	v_dual_fmac_f32 v15, v185, v96 :: v_dual_add_f32 v3, v3, v11
	v_dual_add_f32 v7, v7, v59 :: v_dual_mul_f32 v19, v188, v101
	v_dual_mul_f32 v21, v190, v103 :: v_dual_fma_f32 v59, v184, v96, -v63
	v_add_f32_e32 v3, v3, v13
	s_wait_loadcnt_dscnt 0xc06
	v_mul_f32_e32 v13, v197, v109
	v_add_f32_e32 v7, v7, v57
	v_dual_mul_f32 v11, v195, v107 :: v_dual_fma_f32 v57, v186, v98, -v65
	v_dual_mul_f32 v27, v196, v109 :: v_dual_mul_f32 v29, v198, v111
	s_delay_alu instid0(VALU_DEP_3) | instskip(SKIP_2) | instid1(VALU_DEP_3)
	v_dual_add_f32 v7, v7, v59 :: v_dual_fma_f32 v59, v188, v100, -v67
	v_dual_mul_f32 v23, v192, v105 :: v_dual_mul_f32 v25, v194, v107
	v_fmac_f32_e32 v17, v187, v98
	v_dual_add_f32 v7, v7, v57 :: v_dual_fmac_f32 v27, v197, v108
	v_dual_fmac_f32 v19, v189, v100 :: v_dual_add_f32 v3, v3, v15
	s_delay_alu instid0(VALU_DEP_2) | instskip(SKIP_2) | instid1(VALU_DEP_4)
	v_dual_fma_f32 v57, v190, v102, -v69 :: v_dual_add_f32 v7, v7, v59
	v_dual_fma_f32 v13, v196, v108, -v13 :: v_dual_mul_f32 v15, v199, v111
	v_fma_f32 v55, v192, v104, -v55
	v_dual_fmac_f32 v23, v193, v104 :: v_dual_add_f32 v3, v3, v17
	s_wait_loadcnt_dscnt 0xb05
	v_dual_fma_f32 v11, v194, v106, -v11 :: v_dual_mul_f32 v17, v201, v113
	v_add_f32_e32 v7, v7, v57
	s_wait_loadcnt_dscnt 0xa04
	v_dual_mul_f32 v35, v204, v117 :: v_dual_mul_f32 v37, v206, v119
	v_fmac_f32_e32 v21, v191, v102
	s_delay_alu instid0(VALU_DEP_3) | instskip(NEXT) | instid1(VALU_DEP_3)
	v_dual_fma_f32 v17, v200, v112, -v17 :: v_dual_add_f32 v7, v7, v55
	v_dual_fmac_f32 v35, v205, v116 :: v_dual_add_f32 v3, v3, v19
	v_dual_mul_f32 v19, v203, v115 :: v_dual_fma_f32 v15, v198, v110, -v15
	s_delay_alu instid0(VALU_DEP_3) | instskip(SKIP_3) | instid1(VALU_DEP_3)
	v_dual_add_f32 v7, v7, v11 :: v_dual_mul_f32 v31, v200, v113
	v_dual_mul_f32 v33, v202, v115 :: v_dual_fmac_f32 v25, v195, v106
	s_wait_loadcnt_dscnt 0x903
	v_mul_f32_e32 v11, v209, v121
	v_add_f32_e32 v7, v7, v13
	v_mul_f32_e32 v13, v211, v123
	v_dual_add_f32 v3, v3, v21 :: v_dual_fmac_f32 v31, v201, v112
	s_wait_loadcnt_dscnt 0x701
	v_dual_mul_f32 v47, v216, v129 :: v_dual_mul_f32 v49, v218, v131
	s_delay_alu instid0(VALU_DEP_3) | instskip(SKIP_3) | instid1(VALU_DEP_3)
	v_dual_fma_f32 v13, v210, v122, -v13 :: v_dual_add_f32 v7, v7, v15
	v_mul_f32_e32 v15, v213, v125
	v_dual_mul_f32 v21, v205, v117 :: v_dual_add_f32 v3, v3, v23
	v_dual_fma_f32 v19, v202, v114, -v19 :: v_dual_mul_f32 v23, v207, v119
	v_dual_fma_f32 v15, v212, v124, -v15 :: v_dual_add_f32 v7, v7, v17
	v_fmac_f32_e32 v47, v217, v128
	s_delay_alu instid0(VALU_DEP_4) | instskip(NEXT) | instid1(VALU_DEP_3)
	v_dual_fma_f32 v21, v204, v116, -v21 :: v_dual_add_f32 v3, v3, v25
	v_dual_fma_f32 v23, v206, v118, -v23 :: v_dual_add_f32 v7, v7, v19
	v_dual_mul_f32 v39, v208, v121 :: v_dual_mul_f32 v41, v210, v123
	v_fmac_f32_e32 v29, v199, v110
	s_delay_alu instid0(VALU_DEP_4) | instskip(NEXT) | instid1(VALU_DEP_4)
	v_dual_add_f32 v3, v3, v27 :: v_dual_fma_f32 v11, v208, v120, -v11
	v_add_f32_e32 v7, v7, v21
	v_dual_mul_f32 v43, v212, v125 :: v_dual_mul_f32 v45, v214, v127
	s_delay_alu instid0(VALU_DEP_3) | instskip(NEXT) | instid1(VALU_DEP_3)
	v_dual_fmac_f32 v39, v209, v120 :: v_dual_add_f32 v3, v3, v29
	v_add_f32_e32 v7, v7, v23
	v_fmac_f32_e32 v33, v203, v114
	s_delay_alu instid0(VALU_DEP_4) | instskip(NEXT) | instid1(VALU_DEP_3)
	v_dual_mul_f32 v17, v215, v127 :: v_dual_fmac_f32 v45, v215, v126
	v_dual_fmac_f32 v43, v213, v124 :: v_dual_add_f32 v7, v7, v11
	s_delay_alu instid0(VALU_DEP_2)
	v_dual_add_f32 v3, v3, v31 :: v_dual_fma_f32 v17, v214, v126, -v17
	v_mul_f32_e32 v19, v217, v129
	s_wait_loadcnt_dscnt 0x600
	v_dual_mul_f32 v51, v220, v133 :: v_dual_mul_f32 v53, v222, v135
	v_add_f32_e32 v7, v7, v13
	s_wait_loadcnt 0x5
	v_mul_f32_e32 v13, v173, v137
	v_dual_add_f32 v3, v3, v33 :: v_dual_fma_f32 v19, v216, v128, -v19
	v_dual_fmac_f32 v37, v207, v118 :: v_dual_fmac_f32 v51, v221, v132
	v_dual_add_f32 v7, v7, v15 :: v_dual_mul_f32 v23, v221, v133
	s_delay_alu instid0(VALU_DEP_3) | instskip(NEXT) | instid1(VALU_DEP_2)
	v_dual_add_f32 v3, v3, v35 :: v_dual_mul_f32 v235, v172, v137
	v_dual_mul_f32 v237, v174, v139 :: v_dual_add_f32 v7, v7, v17
	v_fmac_f32_e32 v41, v211, v122
	s_delay_alu instid0(VALU_DEP_3) | instskip(NEXT) | instid1(VALU_DEP_3)
	v_dual_mul_f32 v15, v175, v139 :: v_dual_fmac_f32 v235, v173, v136
	v_fmac_f32_e32 v237, v175, v138
	s_delay_alu instid0(VALU_DEP_4) | instskip(NEXT) | instid1(VALU_DEP_3)
	v_dual_add_f32 v7, v7, v19 :: v_dual_fma_f32 v19, v220, v132, -v23
	v_dual_add_f32 v3, v3, v37 :: v_dual_fma_f32 v236, v174, v138, -v15
	v_dual_mul_f32 v21, v219, v131 :: v_dual_fmac_f32 v49, v219, v130
	v_dual_mul_f32 v11, v223, v135 :: v_dual_fmac_f32 v53, v223, v134
	s_delay_alu instid0(VALU_DEP_2) | instskip(SKIP_2) | instid1(VALU_DEP_3)
	v_dual_add_f32 v3, v3, v39 :: v_dual_fma_f32 v17, v218, v130, -v21
	s_wait_loadcnt 0x4
	v_pk_mul_f32 v[88:89], v[156:157], v[140:141] op_sel:[1,1] op_sel_hi:[0,1]
	v_dual_fma_f32 v11, v222, v134, -v11 :: v_dual_mov_b32 v90, v143
	s_wait_loadcnt 0x3
	v_mov_b32_e32 v94, v147
	v_add_f32_e32 v3, v3, v41
	v_dual_add_f32 v7, v7, v17 :: v_dual_fma_f32 v234, v172, v136, -v13
	v_pk_fma_f32 v[98:99], v[156:157], v[140:141], v[88:89] op_sel_hi:[1,0,1]
	v_pk_mul_f32 v[90:91], v[226:227], v[90:91] op_sel_hi:[1,0]
	s_delay_alu instid0(VALU_DEP_4) | instskip(NEXT) | instid1(VALU_DEP_4)
	v_add_f32_e32 v3, v3, v43
	v_add_f32_e32 v7, v7, v19
	v_pk_fma_f32 v[88:89], v[156:157], v[140:141], v[88:89] neg_lo:[0,0,1] neg_hi:[0,0,1]
	v_pk_mul_f32 v[92:93], v[160:161], v[144:145] op_sel:[1,1] op_sel_hi:[0,1]
	v_mov_b32_e32 v89, v99
	v_add_f32_e32 v3, v3, v45
	v_add_f32_e32 v96, v7, v11
	v_pk_fma_f32 v[98:99], v[158:159], v[142:143], v[90:91] op_sel_hi:[1,0,1]
	v_pk_fma_f32 v[90:91], v[158:159], v[142:143], v[90:91] neg_lo:[0,0,1] neg_hi:[0,0,1]
	v_pk_fma_f32 v[102:103], v[160:161], v[144:145], v[92:93] op_sel_hi:[1,0,1]
	v_add_f32_e32 v3, v3, v47
	v_pk_mul_f32 v[94:95], v[228:229], v[94:95] op_sel_hi:[1,0]
	v_mov_b32_e32 v91, v99
	s_wait_loadcnt 0x2
	v_pk_mul_f32 v[100:101], v[164:165], v[148:149] op_sel:[1,1] op_sel_hi:[0,1]
	v_pk_fma_f32 v[92:93], v[160:161], v[144:145], v[92:93] neg_lo:[0,0,1] neg_hi:[0,0,1]
	v_add_f32_e32 v3, v3, v49
	v_mov_b32_e32 v93, v103
	v_pk_fma_f32 v[98:99], v[162:163], v[146:147], v[94:95] op_sel_hi:[1,0,1]
	v_pk_fma_f32 v[94:95], v[162:163], v[146:147], v[94:95] neg_lo:[0,0,1] neg_hi:[0,0,1]
	s_delay_alu instid0(VALU_DEP_4) | instskip(NEXT) | instid1(VALU_DEP_1)
	v_add_f32_e32 v3, v3, v51
	v_add_f32_e32 v97, v3, v53
	s_delay_alu instid0(VALU_DEP_1) | instskip(NEXT) | instid1(VALU_DEP_1)
	v_pk_add_f32 v[96:97], v[96:97], v[234:235]
	v_pk_add_f32 v[96:97], v[96:97], v[236:237]
	s_delay_alu instid0(VALU_DEP_1) | instskip(SKIP_1) | instid1(VALU_DEP_2)
	v_pk_add_f32 v[88:89], v[96:97], v[88:89]
	v_mov_b32_e32 v96, v151
	v_pk_add_f32 v[88:89], v[88:89], v[90:91]
	v_pk_fma_f32 v[90:91], v[164:165], v[148:149], v[100:101] op_sel_hi:[1,0,1]
	s_delay_alu instid0(VALU_DEP_3)
	v_pk_mul_f32 v[96:97], v[230:231], v[96:97] op_sel_hi:[1,0]
	v_mov_b32_e32 v95, v99
	v_pk_fma_f32 v[98:99], v[164:165], v[148:149], v[100:101] neg_lo:[0,0,1] neg_hi:[0,0,1]
	v_pk_add_f32 v[88:89], v[88:89], v[92:93]
	v_mov_b32_e32 v99, v91
	v_pk_fma_f32 v[90:91], v[166:167], v[150:151], v[96:97] op_sel_hi:[1,0,1]
	s_wait_loadcnt 0x1
	v_pk_mul_f32 v[92:93], v[168:169], v[152:153] op_sel:[1,1] op_sel_hi:[0,1]
	v_mov_b32_e32 v90, v155
	v_pk_add_f32 v[88:89], v[88:89], v[94:95]
	v_pk_fma_f32 v[96:97], v[166:167], v[150:151], v[96:97] neg_lo:[0,0,1] neg_hi:[0,0,1]
	v_mov_b32_e32 v97, v91
	v_pk_fma_f32 v[94:95], v[168:169], v[152:153], v[92:93] op_sel_hi:[1,0,1]
	v_pk_mul_f32 v[90:91], v[232:233], v[90:91] op_sel_hi:[1,0]
	v_pk_add_f32 v[88:89], v[88:89], v[98:99]
	v_pk_fma_f32 v[92:93], v[168:169], v[152:153], v[92:93] neg_lo:[0,0,1] neg_hi:[0,0,1]
	s_delay_alu instid0(VALU_DEP_4) | instskip(NEXT) | instid1(VALU_DEP_4)
	v_mov_b32_e32 v93, v95
	v_pk_fma_f32 v[94:95], v[170:171], v[154:155], v[90:91] op_sel_hi:[1,0,1]
	s_delay_alu instid0(VALU_DEP_4) | instskip(SKIP_1) | instid1(VALU_DEP_3)
	v_pk_add_f32 v[88:89], v[88:89], v[96:97]
	v_pk_fma_f32 v[90:91], v[170:171], v[154:155], v[90:91] neg_lo:[0,0,1] neg_hi:[0,0,1]
	v_mov_b32_e32 v91, v95
	s_delay_alu instid0(VALU_DEP_3) | instskip(NEXT) | instid1(VALU_DEP_1)
	v_pk_add_f32 v[88:89], v[88:89], v[92:93]
	v_pk_add_f32 v[88:89], v[88:89], v[90:91]
	s_wait_loadcnt 0x0
	s_delay_alu instid0(VALU_DEP_1)
	v_pk_add_f32 v[88:89], v[224:225], v[88:89] neg_lo:[0,1] neg_hi:[0,1]
	scratch_store_b64 off, v[88:89], off offset:64
	s_wait_xcnt 0x0
	v_cmpx_lt_u32_e32 7, v0
	s_cbranch_execz .LBB42_257
; %bb.256:
	scratch_load_b64 v[88:89], off, off offset:56
	v_mov_b64_e32 v[90:91], 0
	scratch_store_b64 off, v[90:91], off offset:56
	s_wait_loadcnt 0x0
	ds_store_b64 v1, v[88:89]
.LBB42_257:
	s_wait_xcnt 0x0
	s_or_b32 exec_lo, exec_lo, s0
	s_wait_storecnt_dscnt 0x0
	s_barrier_signal -1
	s_barrier_wait -1
	s_clause 0x12
	scratch_load_b128 v[88:91], off, off offset:64
	scratch_load_b128 v[92:95], off, off offset:80
	;; [unrolled: 1-line block ×17, first 2 shown]
	scratch_load_b64 v[224:225], off, off offset:336
	scratch_load_b64 v[226:227], off, off offset:56
	v_mov_b32_e32 v3, 0
	ds_load_b128 v[156:159], v3 offset:624
	ds_load_b128 v[160:163], v3 offset:640
	;; [unrolled: 1-line block ×17, first 2 shown]
	ds_load_b64 v[228:229], v3 offset:688
	s_mov_b32 s0, exec_lo
	s_wait_dscnt 0x11
	v_dual_mov_b32 v230, v159 :: v_dual_mov_b32 v231, v158
	s_wait_dscnt 0x10
	v_dual_mov_b32 v232, v163 :: v_dual_mov_b32 v233, v162
	;; [unrolled: 2-line block ×3, first 2 shown]
	v_dual_mov_b32 v235, v166 :: v_dual_mov_b32 v236, v175
	s_wait_loadcnt_dscnt 0x120c
	v_dual_mul_f32 v7, v176, v89 :: v_dual_mul_f32 v59, v177, v89
	v_dual_mul_f32 v61, v179, v91 :: v_dual_mul_f32 v11, v178, v91
	s_wait_loadcnt_dscnt 0x110b
	v_mul_f32_e32 v13, v180, v93
	s_wait_loadcnt_dscnt 0xf09
	v_dual_mul_f32 v71, v189, v101 :: v_dual_fma_f32 v59, v176, v88, -v59
	v_dual_fmac_f32 v7, v177, v88 :: v_dual_mul_f32 v73, v191, v103
	v_dual_mul_f32 v63, v181, v93 :: v_dual_mul_f32 v65, v183, v95
	v_dual_fmac_f32 v11, v179, v90 :: v_dual_fma_f32 v61, v178, v90, -v61
	s_wait_loadcnt_dscnt 0xe08
	s_delay_alu instid0(VALU_DEP_3) | instskip(SKIP_1) | instid1(VALU_DEP_2)
	v_dual_add_f32 v7, 0, v7 :: v_dual_mul_f32 v75, v193, v105
	v_dual_add_f32 v59, 0, v59 :: v_dual_fmac_f32 v13, v181, v92
	v_dual_fma_f32 v63, v180, v92, -v63 :: v_dual_add_f32 v7, v7, v11
	v_dual_mul_f32 v67, v185, v97 :: v_dual_mul_f32 v69, v187, v99
	s_delay_alu instid0(VALU_DEP_3) | instskip(SKIP_2) | instid1(VALU_DEP_3)
	v_dual_add_f32 v11, v59, v61 :: v_dual_fma_f32 v61, v182, v94, -v65
	v_dual_mul_f32 v15, v182, v95 :: v_dual_mul_f32 v17, v184, v97
	v_dual_mul_f32 v19, v186, v99 :: v_dual_mul_f32 v21, v188, v101
	v_add_f32_e32 v11, v11, v63
	v_dual_add_f32 v7, v7, v13 :: v_dual_fma_f32 v63, v184, v96, -v67
	v_dual_mul_f32 v23, v190, v103 :: v_dual_mul_f32 v25, v192, v105
	s_delay_alu instid0(VALU_DEP_3) | instskip(SKIP_1) | instid1(VALU_DEP_2)
	v_dual_add_f32 v11, v11, v61 :: v_dual_fmac_f32 v21, v189, v100
	v_dual_fmac_f32 v15, v183, v94 :: v_dual_fmac_f32 v17, v185, v96
	v_dual_fma_f32 v61, v186, v98, -v69 :: v_dual_add_f32 v11, v11, v63
	s_delay_alu instid0(VALU_DEP_4) | instskip(SKIP_1) | instid1(VALU_DEP_3)
	v_dual_fmac_f32 v25, v193, v104 :: v_dual_mul_f32 v59, v195, v107
	s_wait_loadcnt_dscnt 0xd07
	v_dual_mul_f32 v13, v197, v109 :: v_dual_add_f32 v7, v7, v15
	v_dual_mul_f32 v15, v199, v111 :: v_dual_fma_f32 v63, v188, v100, -v71
	s_delay_alu instid0(VALU_DEP_3) | instskip(SKIP_1) | instid1(VALU_DEP_4)
	v_dual_add_f32 v11, v11, v61 :: v_dual_fma_f32 v59, v194, v106, -v59
	v_fmac_f32_e32 v19, v187, v98
	v_dual_add_f32 v7, v7, v17 :: v_dual_fma_f32 v61, v190, v102, -v73
	s_delay_alu instid0(VALU_DEP_3) | instskip(SKIP_2) | instid1(VALU_DEP_3)
	v_dual_add_f32 v11, v11, v63 :: v_dual_fma_f32 v15, v198, v110, -v15
	s_wait_loadcnt_dscnt 0xc06
	v_dual_mul_f32 v31, v198, v111 :: v_dual_mul_f32 v33, v200, v113
	v_dual_add_f32 v7, v7, v19 :: v_dual_fma_f32 v63, v192, v104, -v75
	s_delay_alu instid0(VALU_DEP_3) | instskip(SKIP_4) | instid1(VALU_DEP_3)
	v_dual_add_f32 v11, v11, v61 :: v_dual_mul_f32 v27, v194, v107
	v_dual_mul_f32 v29, v196, v109 :: v_dual_mul_f32 v35, v202, v115
	s_wait_loadcnt_dscnt 0xb05
	v_mul_f32_e32 v37, v204, v117
	v_dual_mul_f32 v17, v201, v113 :: v_dual_fmac_f32 v23, v191, v102
	v_dual_fmac_f32 v29, v197, v108 :: v_dual_add_f32 v7, v7, v21
	v_fma_f32 v13, v196, v108, -v13
	v_dual_fmac_f32 v33, v201, v112 :: v_dual_add_f32 v11, v11, v63
	s_delay_alu instid0(VALU_DEP_3) | instskip(SKIP_1) | instid1(VALU_DEP_3)
	v_dual_fmac_f32 v37, v205, v116 :: v_dual_add_f32 v7, v7, v23
	v_dual_mul_f32 v23, v207, v119 :: v_dual_fma_f32 v17, v200, v112, -v17
	v_add_f32_e32 v11, v11, v59
	s_wait_loadcnt_dscnt 0x903
	v_dual_mul_f32 v43, v210, v123 :: v_dual_mul_f32 v45, v212, v125
	s_delay_alu instid0(VALU_DEP_3) | instskip(NEXT) | instid1(VALU_DEP_3)
	v_dual_fma_f32 v23, v206, v118, -v23 :: v_dual_mul_f32 v19, v203, v115
	v_dual_add_f32 v11, v11, v13 :: v_dual_mul_f32 v47, v214, v127
	s_wait_loadcnt_dscnt 0x802
	v_mul_f32_e32 v49, v216, v129
	v_dual_mul_f32 v21, v205, v117 :: v_dual_fmac_f32 v27, v195, v106
	s_delay_alu instid0(VALU_DEP_3) | instskip(SKIP_3) | instid1(VALU_DEP_4)
	v_dual_add_f32 v11, v11, v15 :: v_dual_fmac_f32 v45, v213, v124
	v_mul_f32_e32 v13, v213, v125
	v_add_f32_e32 v7, v7, v25
	v_dual_mul_f32 v25, v209, v121 :: v_dual_fma_f32 v19, v202, v114, -v19
	v_dual_add_f32 v11, v11, v17 :: v_dual_fmac_f32 v49, v217, v128
	s_delay_alu instid0(VALU_DEP_3) | instskip(NEXT) | instid1(VALU_DEP_2)
	v_dual_mul_f32 v17, v217, v129 :: v_dual_add_f32 v7, v7, v27
	v_dual_fma_f32 v21, v204, v116, -v21 :: v_dual_add_f32 v11, v11, v19
	v_dual_mul_f32 v39, v206, v119 :: v_dual_mul_f32 v41, v208, v121
	v_mul_f32_e32 v27, v211, v123
	v_fmac_f32_e32 v31, v199, v110
	s_delay_alu instid0(VALU_DEP_4) | instskip(SKIP_3) | instid1(VALU_DEP_3)
	v_add_f32_e32 v11, v11, v21
	v_dual_add_f32 v7, v7, v29 :: v_dual_fma_f32 v25, v208, v120, -v25
	s_wait_loadcnt_dscnt 0x701
	v_mul_f32_e32 v21, v221, v133
	v_dual_fmac_f32 v41, v209, v120 :: v_dual_add_f32 v11, v11, v23
	s_delay_alu instid0(VALU_DEP_3) | instskip(SKIP_1) | instid1(VALU_DEP_3)
	v_dual_add_f32 v7, v7, v31 :: v_dual_fma_f32 v27, v210, v122, -v27
	v_dual_mul_f32 v15, v215, v127 :: v_dual_fma_f32 v13, v212, v124, -v13
	v_add_f32_e32 v11, v11, v25
	s_wait_loadcnt 0x6
	v_dual_fmac_f32 v35, v203, v114 :: v_dual_mul_f32 v25, v169, v137
	s_delay_alu instid0(VALU_DEP_3) | instskip(NEXT) | instid1(VALU_DEP_3)
	v_dual_add_f32 v7, v7, v33 :: v_dual_fma_f32 v15, v214, v126, -v15
	v_add_f32_e32 v11, v11, v27
	v_dual_mul_f32 v51, v218, v131 :: v_dual_mul_f32 v53, v220, v133
	v_dual_fmac_f32 v39, v207, v118 :: v_dual_fma_f32 v17, v216, v128, -v17
	s_delay_alu instid0(VALU_DEP_3) | instskip(SKIP_3) | instid1(VALU_DEP_3)
	v_add_f32_e32 v11, v11, v13
	s_wait_loadcnt 0x5
	v_dual_mul_f32 v13, v157, v141 :: v_dual_add_f32 v7, v7, v35
	v_dual_mul_f32 v55, v222, v135 :: v_dual_mul_f32 v57, v168, v137
	v_add_f32_e32 v11, v11, v15
	v_dual_mul_f32 v239, v170, v139 :: v_dual_mul_f32 v241, v156, v141
	s_delay_alu instid0(VALU_DEP_4) | instskip(SKIP_3) | instid1(VALU_DEP_3)
	v_add_f32_e32 v7, v7, v37
	s_wait_loadcnt 0x4
	v_dual_mov_b32 v88, v143 :: v_dual_mov_b32 v92, v147
	v_dual_add_f32 v11, v11, v17 :: v_dual_fmac_f32 v53, v221, v132
	v_dual_fma_f32 v17, v220, v132, -v21 :: v_dual_add_f32 v7, v7, v39
	v_dual_fmac_f32 v57, v169, v136 :: v_dual_fmac_f32 v43, v211, v122
	v_dual_fmac_f32 v241, v157, v140 :: v_dual_mul_f32 v27, v171, v139
	v_fmac_f32_e32 v239, v171, v138
	s_delay_alu instid0(VALU_DEP_4) | instskip(SKIP_4) | instid1(VALU_DEP_4)
	v_add_f32_e32 v7, v7, v41
	v_pk_mul_f32 v[88:89], v[230:231], v[88:89] op_sel_hi:[1,0]
	v_fmac_f32_e32 v47, v215, v126
	v_dual_fma_f32 v238, v170, v138, -v27 :: v_dual_mul_f32 v19, v219, v131
	v_fmac_f32_e32 v51, v219, v130
	v_pk_fma_f32 v[100:101], v[158:159], v[142:143], v[88:89] op_sel_hi:[1,0,1]
	v_add_f32_e32 v7, v7, v43
	v_pk_fma_f32 v[88:89], v[158:159], v[142:143], v[88:89] neg_lo:[0,0,1] neg_hi:[0,0,1]
	v_dual_fma_f32 v15, v218, v130, -v19 :: v_dual_mul_f32 v23, v223, v135
	s_delay_alu instid0(VALU_DEP_4) | instskip(NEXT) | instid1(VALU_DEP_4)
	v_dual_fmac_f32 v55, v223, v134 :: v_dual_mov_b32 v89, v101
	v_add_f32_e32 v7, v7, v45
	s_delay_alu instid0(VALU_DEP_3) | instskip(SKIP_1) | instid1(VALU_DEP_3)
	v_dual_add_f32 v11, v11, v15 :: v_dual_fma_f32 v15, v222, v134, -v23
	v_pk_mul_f32 v[90:91], v[160:161], v[144:145] op_sel:[1,1] op_sel_hi:[0,1]
	v_dual_fma_f32 v240, v156, v140, -v13 :: v_dual_add_f32 v7, v7, v47
	s_delay_alu instid0(VALU_DEP_3) | instskip(NEXT) | instid1(VALU_DEP_3)
	v_dual_add_f32 v11, v11, v17 :: v_dual_fma_f32 v17, v168, v136, -v25
	v_pk_fma_f32 v[102:103], v[160:161], v[144:145], v[90:91] op_sel_hi:[1,0,1]
	v_pk_mul_f32 v[92:93], v[232:233], v[92:93] op_sel_hi:[1,0]
	s_delay_alu instid0(VALU_DEP_4) | instskip(NEXT) | instid1(VALU_DEP_4)
	v_add_f32_e32 v7, v7, v49
	v_add_f32_e32 v11, v11, v15
	v_pk_fma_f32 v[90:91], v[160:161], v[144:145], v[90:91] neg_lo:[0,0,1] neg_hi:[0,0,1]
	s_wait_loadcnt 0x3
	v_pk_mul_f32 v[94:95], v[164:165], v[148:149] op_sel:[1,1] op_sel_hi:[0,1]
	v_dual_mov_b32 v98, v151 :: v_dual_mov_b32 v91, v103
	v_add_f32_e32 v7, v7, v51
	v_add_f32_e32 v96, v11, v17
	v_pk_fma_f32 v[102:103], v[162:163], v[146:147], v[92:93] op_sel_hi:[1,0,1]
	v_pk_fma_f32 v[92:93], v[162:163], v[146:147], v[92:93] neg_lo:[0,0,1] neg_hi:[0,0,1]
	v_pk_mul_f32 v[98:99], v[234:235], v[98:99] op_sel_hi:[1,0]
	v_add_f32_e32 v7, v7, v53
	s_wait_loadcnt 0x2
	v_pk_mul_f32 v[100:101], v[172:173], v[152:153] op_sel:[1,1] op_sel_hi:[0,1]
	v_mov_b32_e32 v93, v103
	s_delay_alu instid0(VALU_DEP_3) | instskip(NEXT) | instid1(VALU_DEP_1)
	v_add_f32_e32 v7, v7, v55
	v_add_f32_e32 v97, v7, v57
	s_delay_alu instid0(VALU_DEP_1) | instskip(NEXT) | instid1(VALU_DEP_1)
	v_pk_add_f32 v[96:97], v[96:97], v[238:239]
	v_pk_add_f32 v[96:97], v[96:97], v[240:241]
	s_delay_alu instid0(VALU_DEP_1) | instskip(SKIP_2) | instid1(VALU_DEP_3)
	v_pk_add_f32 v[88:89], v[96:97], v[88:89]
	v_pk_fma_f32 v[96:97], v[164:165], v[148:149], v[94:95] op_sel_hi:[1,0,1]
	v_pk_fma_f32 v[94:95], v[164:165], v[148:149], v[94:95] neg_lo:[0,0,1] neg_hi:[0,0,1]
	v_pk_add_f32 v[88:89], v[88:89], v[90:91]
	s_delay_alu instid0(VALU_DEP_3) | instskip(SKIP_2) | instid1(VALU_DEP_4)
	v_dual_mov_b32 v90, v155 :: v_dual_mov_b32 v95, v97
	v_pk_fma_f32 v[96:97], v[166:167], v[150:151], v[98:99] op_sel_hi:[1,0,1]
	v_pk_fma_f32 v[98:99], v[166:167], v[150:151], v[98:99] neg_lo:[0,0,1] neg_hi:[0,0,1]
	v_pk_add_f32 v[88:89], v[88:89], v[92:93]
	v_pk_fma_f32 v[92:93], v[172:173], v[152:153], v[100:101] op_sel_hi:[1,0,1]
	v_pk_mul_f32 v[90:91], v[236:237], v[90:91] op_sel_hi:[1,0]
	v_mov_b32_e32 v99, v97
	s_wait_loadcnt_dscnt 0x100
	v_pk_mul_f32 v[96:97], v[228:229], v[224:225] op_sel:[1,1] op_sel_hi:[0,1]
	v_pk_add_f32 v[88:89], v[88:89], v[94:95]
	v_pk_fma_f32 v[94:95], v[172:173], v[152:153], v[100:101] neg_lo:[0,0,1] neg_hi:[0,0,1]
	v_mov_b32_e32 v95, v93
	v_pk_fma_f32 v[92:93], v[174:175], v[154:155], v[90:91] op_sel_hi:[1,0,1]
	v_pk_fma_f32 v[90:91], v[174:175], v[154:155], v[90:91] neg_lo:[0,0,1] neg_hi:[0,0,1]
	v_pk_add_f32 v[88:89], v[88:89], v[98:99]
	s_delay_alu instid0(VALU_DEP_3) | instskip(SKIP_1) | instid1(VALU_DEP_3)
	v_mov_b32_e32 v91, v93
	v_pk_fma_f32 v[92:93], v[228:229], v[224:225], v[96:97] op_sel_hi:[1,0,1]
	v_pk_add_f32 v[88:89], v[88:89], v[94:95]
	v_pk_fma_f32 v[94:95], v[228:229], v[224:225], v[96:97] neg_lo:[0,0,1] neg_hi:[0,0,1]
	s_delay_alu instid0(VALU_DEP_3) | instskip(NEXT) | instid1(VALU_DEP_3)
	v_mov_b32_e32 v95, v93
	v_pk_add_f32 v[88:89], v[88:89], v[90:91]
	s_delay_alu instid0(VALU_DEP_1) | instskip(SKIP_1) | instid1(VALU_DEP_1)
	v_pk_add_f32 v[88:89], v[88:89], v[94:95]
	s_wait_loadcnt 0x0
	v_pk_add_f32 v[88:89], v[226:227], v[88:89] neg_lo:[0,1] neg_hi:[0,1]
	scratch_store_b64 off, v[88:89], off offset:56
	s_wait_xcnt 0x0
	v_cmpx_lt_u32_e32 6, v0
	s_cbranch_execz .LBB42_259
; %bb.258:
	scratch_load_b64 v[88:89], off, off offset:48
	v_mov_b64_e32 v[90:91], 0
	scratch_store_b64 off, v[90:91], off offset:48
	s_wait_loadcnt 0x0
	ds_store_b64 v1, v[88:89]
.LBB42_259:
	s_wait_xcnt 0x0
	s_or_b32 exec_lo, exec_lo, s0
	s_wait_storecnt_dscnt 0x0
	s_barrier_signal -1
	s_barrier_wait -1
	s_clause 0x12
	scratch_load_b128 v[88:91], off, off offset:56
	scratch_load_b128 v[92:95], off, off offset:72
	;; [unrolled: 1-line block ×18, first 2 shown]
	scratch_load_b64 v[232:233], off, off offset:48
	ds_load_2addr_b64 v[160:163], v3 offset0:79 offset1:80
	ds_load_2addr_b64 v[164:167], v3 offset0:81 offset1:82
	;; [unrolled: 1-line block ×18, first 2 shown]
	s_mov_b32 s0, exec_lo
	s_wait_dscnt 0x11
	v_dual_mov_b32 v234, v163 :: v_dual_mov_b32 v235, v162
	s_wait_dscnt 0x10
	v_dual_mov_b32 v236, v167 :: v_dual_mov_b32 v237, v166
	;; [unrolled: 2-line block ×4, first 2 shown]
	s_wait_loadcnt_dscnt 0x120d
	v_dual_mul_f32 v3, v176, v89 :: v_dual_mul_f32 v7, v178, v91
	v_dual_mul_f32 v59, v177, v89 :: v_dual_mul_f32 v61, v179, v91
	s_wait_loadcnt_dscnt 0x110c
	v_dual_mul_f32 v11, v180, v93 :: v_dual_mul_f32 v13, v182, v95
	s_delay_alu instid0(VALU_DEP_3)
	v_fmac_f32_e32 v3, v177, v88
	s_wait_loadcnt_dscnt 0xf0a
	v_dual_fma_f32 v59, v176, v88, -v59 :: v_dual_mul_f32 v71, v189, v101
	v_dual_mul_f32 v63, v181, v93 :: v_dual_mul_f32 v65, v183, v95
	v_dual_fma_f32 v61, v178, v90, -v61 :: v_dual_fmac_f32 v7, v179, v90
	v_add_f32_e32 v3, 0, v3
	s_delay_alu instid0(VALU_DEP_4) | instskip(NEXT) | instid1(VALU_DEP_4)
	v_dual_add_f32 v59, 0, v59 :: v_dual_fmac_f32 v11, v181, v92
	v_dual_mul_f32 v73, v191, v103 :: v_dual_fma_f32 v63, v180, v92, -v63
	s_delay_alu instid0(VALU_DEP_3) | instskip(NEXT) | instid1(VALU_DEP_3)
	v_add_f32_e32 v3, v3, v7
	v_dual_add_f32 v7, v59, v61 :: v_dual_fma_f32 v61, v182, v94, -v65
	v_dual_mul_f32 v15, v184, v97 :: v_dual_mul_f32 v17, v186, v99
	v_dual_mul_f32 v67, v185, v97 :: v_dual_mul_f32 v69, v187, v99
	s_wait_loadcnt_dscnt 0xe09
	v_dual_mul_f32 v59, v193, v105 :: v_dual_fmac_f32 v13, v183, v94
	s_delay_alu instid0(VALU_DEP_3) | instskip(SKIP_2) | instid1(VALU_DEP_3)
	v_dual_fmac_f32 v15, v185, v96 :: v_dual_add_f32 v3, v3, v11
	v_dual_add_f32 v7, v7, v63 :: v_dual_mul_f32 v19, v188, v101
	v_dual_mul_f32 v21, v190, v103 :: v_dual_fma_f32 v63, v184, v96, -v67
	v_add_f32_e32 v3, v3, v13
	s_wait_loadcnt_dscnt 0xd08
	v_mul_f32_e32 v13, v197, v109
	v_add_f32_e32 v7, v7, v61
	v_dual_mul_f32 v11, v195, v107 :: v_dual_fma_f32 v61, v186, v98, -v69
	v_dual_mul_f32 v27, v196, v109 :: v_dual_mul_f32 v29, v198, v111
	s_delay_alu instid0(VALU_DEP_3) | instskip(SKIP_2) | instid1(VALU_DEP_3)
	v_dual_add_f32 v7, v7, v63 :: v_dual_fma_f32 v63, v188, v100, -v71
	v_dual_mul_f32 v23, v192, v105 :: v_dual_mul_f32 v25, v194, v107
	v_fmac_f32_e32 v17, v187, v98
	v_dual_add_f32 v7, v7, v61 :: v_dual_fmac_f32 v27, v197, v108
	v_dual_fmac_f32 v19, v189, v100 :: v_dual_add_f32 v3, v3, v15
	s_delay_alu instid0(VALU_DEP_2) | instskip(SKIP_2) | instid1(VALU_DEP_4)
	v_dual_fma_f32 v61, v190, v102, -v73 :: v_dual_add_f32 v7, v7, v63
	v_dual_fma_f32 v13, v196, v108, -v13 :: v_dual_mul_f32 v15, v199, v111
	v_fma_f32 v59, v192, v104, -v59
	v_dual_fmac_f32 v23, v193, v104 :: v_dual_add_f32 v3, v3, v17
	s_wait_loadcnt_dscnt 0xc07
	v_dual_fma_f32 v11, v194, v106, -v11 :: v_dual_mul_f32 v17, v201, v113
	v_add_f32_e32 v7, v7, v61
	s_wait_loadcnt_dscnt 0xb06
	v_dual_mul_f32 v35, v204, v117 :: v_dual_mul_f32 v37, v206, v119
	v_fmac_f32_e32 v21, v191, v102
	s_delay_alu instid0(VALU_DEP_3) | instskip(NEXT) | instid1(VALU_DEP_3)
	v_dual_fma_f32 v17, v200, v112, -v17 :: v_dual_add_f32 v7, v7, v59
	v_dual_fmac_f32 v35, v205, v116 :: v_dual_add_f32 v3, v3, v19
	v_dual_mul_f32 v19, v203, v115 :: v_dual_fma_f32 v15, v198, v110, -v15
	s_delay_alu instid0(VALU_DEP_3) | instskip(SKIP_3) | instid1(VALU_DEP_3)
	v_dual_add_f32 v7, v7, v11 :: v_dual_mul_f32 v31, v200, v113
	v_dual_mul_f32 v33, v202, v115 :: v_dual_fmac_f32 v25, v195, v106
	s_wait_loadcnt_dscnt 0xa05
	v_mul_f32_e32 v11, v209, v121
	v_add_f32_e32 v7, v7, v13
	v_mul_f32_e32 v13, v211, v123
	v_dual_add_f32 v3, v3, v21 :: v_dual_fmac_f32 v31, v201, v112
	s_wait_loadcnt_dscnt 0x803
	v_dual_mul_f32 v47, v216, v129 :: v_dual_mul_f32 v49, v218, v131
	s_delay_alu instid0(VALU_DEP_3) | instskip(SKIP_3) | instid1(VALU_DEP_3)
	v_dual_fma_f32 v13, v210, v122, -v13 :: v_dual_add_f32 v7, v7, v15
	v_mul_f32_e32 v15, v213, v125
	v_dual_mul_f32 v21, v205, v117 :: v_dual_add_f32 v3, v3, v23
	v_dual_fma_f32 v19, v202, v114, -v19 :: v_dual_mul_f32 v23, v207, v119
	v_dual_fma_f32 v15, v212, v124, -v15 :: v_dual_add_f32 v7, v7, v17
	v_fmac_f32_e32 v47, v217, v128
	s_delay_alu instid0(VALU_DEP_4) | instskip(NEXT) | instid1(VALU_DEP_3)
	v_dual_fma_f32 v21, v204, v116, -v21 :: v_dual_add_f32 v3, v3, v25
	v_dual_fma_f32 v23, v206, v118, -v23 :: v_dual_add_f32 v7, v7, v19
	v_dual_mul_f32 v39, v208, v121 :: v_dual_mul_f32 v41, v210, v123
	v_fmac_f32_e32 v29, v199, v110
	s_delay_alu instid0(VALU_DEP_4) | instskip(NEXT) | instid1(VALU_DEP_4)
	v_dual_add_f32 v3, v3, v27 :: v_dual_fma_f32 v11, v208, v120, -v11
	v_add_f32_e32 v7, v7, v21
	v_dual_mul_f32 v43, v212, v125 :: v_dual_mul_f32 v45, v214, v127
	s_wait_loadcnt_dscnt 0x601
	v_dual_mul_f32 v55, v224, v137 :: v_dual_mul_f32 v57, v226, v139
	v_dual_fmac_f32 v39, v209, v120 :: v_dual_add_f32 v3, v3, v29
	s_delay_alu instid0(VALU_DEP_3) | instskip(NEXT) | instid1(VALU_DEP_3)
	v_dual_fmac_f32 v43, v213, v124 :: v_dual_add_f32 v7, v7, v23
	v_dual_fmac_f32 v55, v225, v136 :: v_dual_fmac_f32 v33, v203, v114
	v_dual_mul_f32 v17, v215, v127 :: v_dual_fmac_f32 v45, v215, v126
	s_delay_alu instid0(VALU_DEP_4) | instskip(NEXT) | instid1(VALU_DEP_4)
	v_add_f32_e32 v3, v3, v31
	v_dual_add_f32 v7, v7, v11 :: v_dual_mul_f32 v19, v217, v129
	s_delay_alu instid0(VALU_DEP_3) | instskip(NEXT) | instid1(VALU_DEP_2)
	v_dual_fma_f32 v17, v214, v126, -v17 :: v_dual_mul_f32 v51, v220, v133
	v_dual_mul_f32 v53, v222, v135 :: v_dual_add_f32 v7, v7, v13
	v_mul_f32_e32 v13, v225, v137
	s_delay_alu instid0(VALU_DEP_4) | instskip(NEXT) | instid1(VALU_DEP_4)
	v_dual_add_f32 v3, v3, v33 :: v_dual_fma_f32 v19, v216, v128, -v19
	v_dual_fmac_f32 v37, v207, v118 :: v_dual_fmac_f32 v51, v221, v132
	v_dual_mul_f32 v21, v219, v131 :: v_dual_fmac_f32 v49, v219, v130
	s_delay_alu instid0(VALU_DEP_3) | instskip(SKIP_2) | instid1(VALU_DEP_3)
	v_add_f32_e32 v3, v3, v35
	v_dual_mul_f32 v11, v223, v135 :: v_dual_fmac_f32 v53, v223, v134
	s_wait_loadcnt_dscnt 0x500
	v_dual_fma_f32 v21, v218, v130, -v21 :: v_dual_mul_f32 v243, v228, v141
	s_delay_alu instid0(VALU_DEP_3) | instskip(NEXT) | instid1(VALU_DEP_3)
	v_dual_mul_f32 v245, v230, v143 :: v_dual_add_f32 v3, v3, v37
	v_fma_f32 v11, v222, v134, -v11
	s_delay_alu instid0(VALU_DEP_3) | instskip(SKIP_1) | instid1(VALU_DEP_4)
	v_dual_fmac_f32 v41, v211, v122 :: v_dual_fmac_f32 v243, v229, v140
	v_add_f32_e32 v7, v7, v15
	v_dual_add_f32 v3, v3, v39 :: v_dual_fma_f32 v13, v224, v136, -v13
	v_dual_mul_f32 v23, v221, v133 :: v_dual_mul_f32 v15, v227, v139
	v_fmac_f32_e32 v57, v227, v138
	s_delay_alu instid0(VALU_DEP_4) | instskip(SKIP_1) | instid1(VALU_DEP_4)
	v_add_f32_e32 v7, v7, v17
	v_mul_f32_e32 v17, v229, v141
	v_dual_add_f32 v3, v3, v41 :: v_dual_fma_f32 v23, v220, v132, -v23
	s_wait_loadcnt 0x4
	v_pk_mul_f32 v[88:89], v[160:161], v[144:145] op_sel:[1,1] op_sel_hi:[0,1]
	s_delay_alu instid0(VALU_DEP_3) | instskip(NEXT) | instid1(VALU_DEP_3)
	v_dual_add_f32 v7, v7, v19 :: v_dual_fma_f32 v242, v228, v140, -v17
	v_add_f32_e32 v3, v3, v43
	v_dual_mul_f32 v19, v231, v143 :: v_dual_fmac_f32 v245, v231, v142
	s_delay_alu instid0(VALU_DEP_3) | instskip(SKIP_2) | instid1(VALU_DEP_3)
	v_add_f32_e32 v7, v7, v21
	s_wait_loadcnt 0x3
	v_dual_mov_b32 v90, v147 :: v_dual_mov_b32 v94, v151
	v_dual_add_f32 v3, v3, v45 :: v_dual_fma_f32 v244, v230, v142, -v19
	s_delay_alu instid0(VALU_DEP_3) | instskip(SKIP_1) | instid1(VALU_DEP_4)
	v_add_f32_e32 v7, v7, v23
	v_pk_fma_f32 v[98:99], v[160:161], v[144:145], v[88:89] op_sel_hi:[1,0,1]
	v_pk_mul_f32 v[90:91], v[234:235], v[90:91] op_sel_hi:[1,0]
	s_delay_alu instid0(VALU_DEP_4) | instskip(SKIP_3) | instid1(VALU_DEP_4)
	v_add_f32_e32 v3, v3, v47
	v_pk_fma_f32 v[88:89], v[160:161], v[144:145], v[88:89] neg_lo:[0,0,1] neg_hi:[0,0,1]
	v_dual_add_f32 v7, v7, v11 :: v_dual_fma_f32 v11, v226, v138, -v15
	v_pk_mul_f32 v[92:93], v[164:165], v[148:149] op_sel:[1,1] op_sel_hi:[0,1]
	v_add_f32_e32 v3, v3, v49
	v_mov_b32_e32 v89, v99
	s_delay_alu instid0(VALU_DEP_4)
	v_add_f32_e32 v7, v7, v13
	v_pk_fma_f32 v[98:99], v[162:163], v[146:147], v[90:91] op_sel_hi:[1,0,1]
	v_pk_fma_f32 v[90:91], v[162:163], v[146:147], v[90:91] neg_lo:[0,0,1] neg_hi:[0,0,1]
	v_add_f32_e32 v3, v3, v51
	v_pk_fma_f32 v[102:103], v[164:165], v[148:149], v[92:93] op_sel_hi:[1,0,1]
	v_add_f32_e32 v96, v7, v11
	v_pk_mul_f32 v[94:95], v[236:237], v[94:95] op_sel_hi:[1,0]
	v_mov_b32_e32 v91, v99
	v_add_f32_e32 v3, v3, v53
	s_wait_loadcnt 0x2
	v_pk_mul_f32 v[100:101], v[168:169], v[152:153] op_sel:[1,1] op_sel_hi:[0,1]
	v_pk_fma_f32 v[92:93], v[164:165], v[148:149], v[92:93] neg_lo:[0,0,1] neg_hi:[0,0,1]
	v_mov_b32_e32 v93, v103
	v_pk_fma_f32 v[98:99], v[166:167], v[150:151], v[94:95] op_sel_hi:[1,0,1]
	v_add_f32_e32 v3, v3, v55
	v_pk_fma_f32 v[94:95], v[166:167], v[150:151], v[94:95] neg_lo:[0,0,1] neg_hi:[0,0,1]
	s_delay_alu instid0(VALU_DEP_2) | instskip(NEXT) | instid1(VALU_DEP_1)
	v_add_f32_e32 v97, v3, v57
	v_pk_add_f32 v[96:97], v[96:97], v[242:243]
	s_delay_alu instid0(VALU_DEP_1) | instskip(NEXT) | instid1(VALU_DEP_1)
	v_pk_add_f32 v[96:97], v[96:97], v[244:245]
	v_pk_add_f32 v[88:89], v[96:97], v[88:89]
	v_mov_b32_e32 v96, v155
	s_delay_alu instid0(VALU_DEP_2) | instskip(SKIP_1) | instid1(VALU_DEP_3)
	v_pk_add_f32 v[88:89], v[88:89], v[90:91]
	v_pk_fma_f32 v[90:91], v[168:169], v[152:153], v[100:101] op_sel_hi:[1,0,1]
	v_pk_mul_f32 v[96:97], v[238:239], v[96:97] op_sel_hi:[1,0]
	v_mov_b32_e32 v95, v99
	v_pk_fma_f32 v[98:99], v[168:169], v[152:153], v[100:101] neg_lo:[0,0,1] neg_hi:[0,0,1]
	v_pk_add_f32 v[88:89], v[88:89], v[92:93]
	v_mov_b32_e32 v99, v91
	v_pk_fma_f32 v[90:91], v[170:171], v[154:155], v[96:97] op_sel_hi:[1,0,1]
	s_wait_loadcnt 0x1
	v_pk_mul_f32 v[92:93], v[172:173], v[156:157] op_sel:[1,1] op_sel_hi:[0,1]
	v_mov_b32_e32 v90, v159
	v_pk_add_f32 v[88:89], v[88:89], v[94:95]
	v_pk_fma_f32 v[96:97], v[170:171], v[154:155], v[96:97] neg_lo:[0,0,1] neg_hi:[0,0,1]
	v_mov_b32_e32 v97, v91
	v_pk_fma_f32 v[94:95], v[172:173], v[156:157], v[92:93] op_sel_hi:[1,0,1]
	v_pk_mul_f32 v[90:91], v[240:241], v[90:91] op_sel_hi:[1,0]
	v_pk_add_f32 v[88:89], v[88:89], v[98:99]
	v_pk_fma_f32 v[92:93], v[172:173], v[156:157], v[92:93] neg_lo:[0,0,1] neg_hi:[0,0,1]
	s_delay_alu instid0(VALU_DEP_4) | instskip(NEXT) | instid1(VALU_DEP_4)
	v_mov_b32_e32 v93, v95
	v_pk_fma_f32 v[94:95], v[174:175], v[158:159], v[90:91] op_sel_hi:[1,0,1]
	s_delay_alu instid0(VALU_DEP_4) | instskip(SKIP_1) | instid1(VALU_DEP_3)
	v_pk_add_f32 v[88:89], v[88:89], v[96:97]
	v_pk_fma_f32 v[90:91], v[174:175], v[158:159], v[90:91] neg_lo:[0,0,1] neg_hi:[0,0,1]
	v_mov_b32_e32 v91, v95
	s_delay_alu instid0(VALU_DEP_3) | instskip(NEXT) | instid1(VALU_DEP_1)
	v_pk_add_f32 v[88:89], v[88:89], v[92:93]
	v_pk_add_f32 v[88:89], v[88:89], v[90:91]
	s_wait_loadcnt 0x0
	s_delay_alu instid0(VALU_DEP_1)
	v_pk_add_f32 v[88:89], v[232:233], v[88:89] neg_lo:[0,1] neg_hi:[0,1]
	scratch_store_b64 off, v[88:89], off offset:48
	s_wait_xcnt 0x0
	v_cmpx_lt_u32_e32 5, v0
	s_cbranch_execz .LBB42_261
; %bb.260:
	scratch_load_b64 v[88:89], off, off offset:40
	v_mov_b64_e32 v[90:91], 0
	scratch_store_b64 off, v[90:91], off offset:40
	s_wait_loadcnt 0x0
	ds_store_b64 v1, v[88:89]
.LBB42_261:
	s_wait_xcnt 0x0
	s_or_b32 exec_lo, exec_lo, s0
	s_wait_storecnt_dscnt 0x0
	s_barrier_signal -1
	s_barrier_wait -1
	s_clause 0x13
	scratch_load_b128 v[88:91], off, off offset:48
	scratch_load_b128 v[92:95], off, off offset:64
	;; [unrolled: 1-line block ×18, first 2 shown]
	scratch_load_b64 v[232:233], off, off offset:336
	scratch_load_b64 v[234:235], off, off offset:40
	v_mov_b32_e32 v3, 0
	ds_load_b128 v[160:163], v3 offset:624
	ds_load_b128 v[164:167], v3 offset:640
	;; [unrolled: 1-line block ×18, first 2 shown]
	ds_load_b64 v[236:237], v3 offset:688
	s_mov_b32 s0, exec_lo
	s_wait_dscnt 0x12
	v_dual_mov_b32 v238, v163 :: v_dual_mov_b32 v239, v162
	s_wait_dscnt 0x11
	v_dual_mov_b32 v240, v167 :: v_dual_mov_b32 v241, v166
	;; [unrolled: 2-line block ×3, first 2 shown]
	v_dual_mov_b32 v243, v170 :: v_dual_mov_b32 v244, v183
	s_wait_loadcnt 0x13
	v_dual_mul_f32 v7, v172, v89 :: v_dual_mul_f32 v63, v173, v89
	v_dual_mul_f32 v65, v175, v91 :: v_dual_mul_f32 v11, v174, v91
	s_wait_loadcnt 0x12
	v_mul_f32_e32 v13, v176, v93
	s_wait_loadcnt_dscnt 0x100b
	v_dual_mul_f32 v75, v189, v101 :: v_dual_fma_f32 v63, v172, v88, -v63
	v_dual_fmac_f32 v7, v173, v88 :: v_dual_mul_f32 v77, v191, v103
	v_dual_mul_f32 v67, v177, v93 :: v_dual_mul_f32 v69, v179, v95
	v_dual_fmac_f32 v11, v175, v90 :: v_dual_fma_f32 v65, v174, v90, -v65
	s_wait_loadcnt_dscnt 0xf0a
	s_delay_alu instid0(VALU_DEP_3) | instskip(SKIP_1) | instid1(VALU_DEP_2)
	v_dual_add_f32 v7, 0, v7 :: v_dual_mul_f32 v79, v193, v105
	v_dual_add_f32 v63, 0, v63 :: v_dual_fmac_f32 v13, v177, v92
	v_dual_fma_f32 v67, v176, v92, -v67 :: v_dual_add_f32 v7, v7, v11
	v_dual_mul_f32 v71, v185, v97 :: v_dual_mul_f32 v73, v187, v99
	s_delay_alu instid0(VALU_DEP_3) | instskip(SKIP_2) | instid1(VALU_DEP_3)
	v_dual_add_f32 v11, v63, v65 :: v_dual_fma_f32 v65, v178, v94, -v69
	v_dual_mul_f32 v15, v178, v95 :: v_dual_mul_f32 v17, v184, v97
	v_dual_mul_f32 v19, v186, v99 :: v_dual_mul_f32 v21, v188, v101
	v_add_f32_e32 v11, v11, v67
	v_dual_add_f32 v7, v7, v13 :: v_dual_fma_f32 v67, v184, v96, -v71
	v_dual_mul_f32 v23, v190, v103 :: v_dual_mul_f32 v25, v192, v105
	s_delay_alu instid0(VALU_DEP_3) | instskip(SKIP_1) | instid1(VALU_DEP_2)
	v_dual_add_f32 v11, v11, v65 :: v_dual_fmac_f32 v21, v189, v100
	v_dual_fmac_f32 v15, v179, v94 :: v_dual_fmac_f32 v17, v185, v96
	v_dual_fma_f32 v65, v186, v98, -v73 :: v_dual_add_f32 v11, v11, v67
	s_delay_alu instid0(VALU_DEP_4) | instskip(SKIP_1) | instid1(VALU_DEP_3)
	v_dual_fmac_f32 v25, v193, v104 :: v_dual_mul_f32 v63, v195, v107
	s_wait_loadcnt_dscnt 0xe09
	v_dual_mul_f32 v13, v197, v109 :: v_dual_add_f32 v7, v7, v15
	v_dual_mul_f32 v15, v199, v111 :: v_dual_fma_f32 v67, v188, v100, -v75
	s_delay_alu instid0(VALU_DEP_3) | instskip(SKIP_1) | instid1(VALU_DEP_4)
	v_dual_add_f32 v11, v11, v65 :: v_dual_fma_f32 v63, v194, v106, -v63
	v_fmac_f32_e32 v19, v187, v98
	v_dual_add_f32 v7, v7, v17 :: v_dual_fma_f32 v65, v190, v102, -v77
	s_delay_alu instid0(VALU_DEP_3) | instskip(SKIP_2) | instid1(VALU_DEP_3)
	v_dual_add_f32 v11, v11, v67 :: v_dual_fma_f32 v15, v198, v110, -v15
	s_wait_loadcnt_dscnt 0xd08
	v_dual_mul_f32 v31, v198, v111 :: v_dual_mul_f32 v33, v200, v113
	v_dual_add_f32 v7, v7, v19 :: v_dual_fma_f32 v67, v192, v104, -v79
	s_delay_alu instid0(VALU_DEP_3) | instskip(SKIP_4) | instid1(VALU_DEP_3)
	v_dual_add_f32 v11, v11, v65 :: v_dual_mul_f32 v27, v194, v107
	v_dual_mul_f32 v29, v196, v109 :: v_dual_mul_f32 v35, v202, v115
	s_wait_loadcnt_dscnt 0xc07
	v_mul_f32_e32 v37, v204, v117
	v_dual_mul_f32 v17, v201, v113 :: v_dual_fmac_f32 v23, v191, v102
	v_dual_fmac_f32 v29, v197, v108 :: v_dual_add_f32 v7, v7, v21
	v_fma_f32 v13, v196, v108, -v13
	v_dual_fmac_f32 v33, v201, v112 :: v_dual_add_f32 v11, v11, v67
	s_delay_alu instid0(VALU_DEP_3) | instskip(SKIP_1) | instid1(VALU_DEP_3)
	v_dual_fmac_f32 v37, v205, v116 :: v_dual_add_f32 v7, v7, v23
	v_dual_mul_f32 v23, v207, v119 :: v_dual_fma_f32 v17, v200, v112, -v17
	v_add_f32_e32 v11, v11, v63
	s_wait_loadcnt_dscnt 0xa05
	v_dual_mul_f32 v43, v210, v123 :: v_dual_mul_f32 v45, v212, v125
	s_delay_alu instid0(VALU_DEP_3) | instskip(NEXT) | instid1(VALU_DEP_3)
	v_dual_fma_f32 v23, v206, v118, -v23 :: v_dual_mul_f32 v19, v203, v115
	v_dual_add_f32 v11, v11, v13 :: v_dual_mul_f32 v47, v214, v127
	s_wait_loadcnt_dscnt 0x904
	v_mul_f32_e32 v49, v216, v129
	v_dual_mul_f32 v21, v205, v117 :: v_dual_fmac_f32 v27, v195, v106
	s_delay_alu instid0(VALU_DEP_3) | instskip(SKIP_3) | instid1(VALU_DEP_4)
	v_dual_add_f32 v11, v11, v15 :: v_dual_fmac_f32 v45, v213, v124
	v_mul_f32_e32 v13, v213, v125
	v_add_f32_e32 v7, v7, v25
	v_dual_mul_f32 v25, v209, v121 :: v_dual_fma_f32 v19, v202, v114, -v19
	v_dual_add_f32 v11, v11, v17 :: v_dual_fmac_f32 v49, v217, v128
	s_wait_loadcnt_dscnt 0x803
	v_dual_mul_f32 v51, v218, v131 :: v_dual_mul_f32 v53, v220, v133
	v_dual_mul_f32 v17, v217, v129 :: v_dual_add_f32 v7, v7, v27
	s_delay_alu instid0(VALU_DEP_3) | instskip(NEXT) | instid1(VALU_DEP_3)
	v_dual_fma_f32 v21, v204, v116, -v21 :: v_dual_add_f32 v11, v11, v19
	v_dual_mul_f32 v19, v219, v131 :: v_dual_fmac_f32 v51, v219, v130
	v_mul_f32_e32 v27, v211, v123
	s_wait_loadcnt_dscnt 0x702
	v_dual_mul_f32 v55, v222, v135 :: v_dual_mul_f32 v57, v224, v137
	s_delay_alu instid0(VALU_DEP_3) | instskip(SKIP_3) | instid1(VALU_DEP_3)
	v_dual_fma_f32 v19, v218, v130, -v19 :: v_dual_add_f32 v11, v11, v21
	v_mul_f32_e32 v21, v221, v133
	v_dual_add_f32 v7, v7, v29 :: v_dual_fma_f32 v25, v208, v120, -v25
	v_dual_mul_f32 v39, v206, v119 :: v_dual_mul_f32 v41, v208, v121
	v_dual_fma_f32 v21, v220, v132, -v21 :: v_dual_add_f32 v11, v11, v23
	v_dual_fmac_f32 v57, v225, v136 :: v_dual_mul_f32 v59, v226, v139
	s_wait_loadcnt_dscnt 0x601
	v_dual_mul_f32 v61, v228, v141 :: v_dual_fmac_f32 v31, v199, v110
	v_dual_fmac_f32 v41, v209, v120 :: v_dual_fma_f32 v27, v210, v122, -v27
	s_delay_alu instid0(VALU_DEP_2)
	v_dual_add_f32 v11, v11, v25 :: v_dual_fmac_f32 v61, v229, v140
	s_wait_loadcnt 0x4
	v_dual_mov_b32 v88, v147 :: v_dual_mov_b32 v92, v151
	v_dual_add_f32 v7, v7, v31 :: v_dual_mul_f32 v25, v225, v137
	v_dual_mul_f32 v15, v215, v127 :: v_dual_fma_f32 v13, v212, v124, -v13
	v_add_f32_e32 v11, v11, v27
	s_delay_alu instid0(VALU_DEP_4) | instskip(SKIP_1) | instid1(VALU_DEP_4)
	v_pk_mul_f32 v[88:89], v[238:239], v[88:89] op_sel_hi:[1,0]
	v_fmac_f32_e32 v35, v203, v114
	v_dual_add_f32 v7, v7, v33 :: v_dual_fma_f32 v15, v214, v126, -v15
	v_fma_f32 v17, v216, v128, -v17
	s_delay_alu instid0(VALU_DEP_4) | instskip(SKIP_3) | instid1(VALU_DEP_3)
	v_pk_fma_f32 v[100:101], v[162:163], v[146:147], v[88:89] op_sel_hi:[1,0,1]
	v_add_f32_e32 v11, v11, v13
	v_pk_fma_f32 v[88:89], v[162:163], v[146:147], v[88:89] neg_lo:[0,0,1] neg_hi:[0,0,1]
	v_dual_mul_f32 v13, v229, v141 :: v_dual_add_f32 v7, v7, v35
	v_dual_mov_b32 v89, v101 :: v_dual_add_f32 v11, v11, v15
	v_fmac_f32_e32 v39, v207, v118
	v_dual_mul_f32 v23, v223, v135 :: v_dual_fmac_f32 v55, v223, v134
	s_delay_alu instid0(VALU_DEP_4) | instskip(NEXT) | instid1(VALU_DEP_4)
	v_dual_add_f32 v7, v7, v37 :: v_dual_fmac_f32 v53, v221, v132
	v_add_f32_e32 v11, v11, v17
	v_dual_mul_f32 v17, v161, v145 :: v_dual_fmac_f32 v43, v211, v122
	s_delay_alu instid0(VALU_DEP_3) | instskip(SKIP_1) | instid1(VALU_DEP_4)
	v_add_f32_e32 v7, v7, v39
	v_dual_mul_f32 v27, v227, v139 :: v_dual_fmac_f32 v59, v227, v138
	v_dual_add_f32 v11, v11, v19 :: v_dual_fma_f32 v19, v222, v134, -v23
	s_delay_alu instid0(VALU_DEP_3) | instskip(SKIP_1) | instid1(VALU_DEP_3)
	v_dual_add_f32 v7, v7, v41 :: v_dual_mul_f32 v247, v230, v143
	v_mul_f32_e32 v249, v160, v145
	v_dual_add_f32 v11, v11, v21 :: v_dual_fma_f32 v21, v224, v136, -v25
	v_dual_fmac_f32 v47, v215, v126 :: v_dual_fma_f32 v13, v228, v140, -v13
	s_delay_alu instid0(VALU_DEP_2) | instskip(SKIP_3) | instid1(VALU_DEP_4)
	v_dual_fmac_f32 v249, v161, v144 :: v_dual_add_f32 v11, v11, v19
	v_dual_fma_f32 v19, v226, v138, -v27 :: v_dual_add_f32 v7, v7, v43
	v_dual_fma_f32 v248, v160, v144, -v17 :: v_dual_mul_f32 v15, v231, v143
	v_fmac_f32_e32 v247, v231, v142
	v_add_f32_e32 v11, v11, v21
	s_delay_alu instid0(VALU_DEP_4)
	v_add_f32_e32 v7, v7, v45
	v_pk_mul_f32 v[90:91], v[164:165], v[148:149] op_sel:[1,1] op_sel_hi:[0,1]
	v_fma_f32 v246, v230, v142, -v15
	v_pk_mul_f32 v[92:93], v[240:241], v[92:93] op_sel_hi:[1,0]
	v_add_f32_e32 v11, v11, v19
	v_add_f32_e32 v7, v7, v47
	v_pk_fma_f32 v[102:103], v[164:165], v[148:149], v[90:91] op_sel_hi:[1,0,1]
	v_pk_fma_f32 v[90:91], v[164:165], v[148:149], v[90:91] neg_lo:[0,0,1] neg_hi:[0,0,1]
	s_wait_loadcnt 0x3
	v_pk_mul_f32 v[94:95], v[168:169], v[152:153] op_sel:[1,1] op_sel_hi:[0,1]
	v_add_f32_e32 v96, v11, v13
	v_add_f32_e32 v7, v7, v49
	v_dual_mov_b32 v98, v155 :: v_dual_mov_b32 v91, v103
	v_pk_fma_f32 v[102:103], v[166:167], v[150:151], v[92:93] op_sel_hi:[1,0,1]
	v_pk_fma_f32 v[92:93], v[166:167], v[150:151], v[92:93] neg_lo:[0,0,1] neg_hi:[0,0,1]
	s_delay_alu instid0(VALU_DEP_4) | instskip(NEXT) | instid1(VALU_DEP_4)
	v_add_f32_e32 v7, v7, v51
	v_pk_mul_f32 v[98:99], v[242:243], v[98:99] op_sel_hi:[1,0]
	s_wait_loadcnt 0x2
	v_pk_mul_f32 v[100:101], v[180:181], v[156:157] op_sel:[1,1] op_sel_hi:[0,1]
	v_mov_b32_e32 v93, v103
	v_add_f32_e32 v7, v7, v53
	s_delay_alu instid0(VALU_DEP_1) | instskip(NEXT) | instid1(VALU_DEP_1)
	v_add_f32_e32 v7, v7, v55
	v_add_f32_e32 v7, v7, v57
	s_delay_alu instid0(VALU_DEP_1) | instskip(NEXT) | instid1(VALU_DEP_1)
	v_add_f32_e32 v7, v7, v59
	v_add_f32_e32 v97, v7, v61
	s_delay_alu instid0(VALU_DEP_1) | instskip(NEXT) | instid1(VALU_DEP_1)
	v_pk_add_f32 v[96:97], v[96:97], v[246:247]
	v_pk_add_f32 v[96:97], v[96:97], v[248:249]
	s_delay_alu instid0(VALU_DEP_1) | instskip(SKIP_2) | instid1(VALU_DEP_3)
	v_pk_add_f32 v[88:89], v[96:97], v[88:89]
	v_pk_fma_f32 v[96:97], v[168:169], v[152:153], v[94:95] op_sel_hi:[1,0,1]
	v_pk_fma_f32 v[94:95], v[168:169], v[152:153], v[94:95] neg_lo:[0,0,1] neg_hi:[0,0,1]
	v_pk_add_f32 v[88:89], v[88:89], v[90:91]
	s_delay_alu instid0(VALU_DEP_3) | instskip(SKIP_2) | instid1(VALU_DEP_4)
	v_dual_mov_b32 v90, v159 :: v_dual_mov_b32 v95, v97
	v_pk_fma_f32 v[96:97], v[170:171], v[154:155], v[98:99] op_sel_hi:[1,0,1]
	v_pk_fma_f32 v[98:99], v[170:171], v[154:155], v[98:99] neg_lo:[0,0,1] neg_hi:[0,0,1]
	v_pk_add_f32 v[88:89], v[88:89], v[92:93]
	v_pk_fma_f32 v[92:93], v[180:181], v[156:157], v[100:101] op_sel_hi:[1,0,1]
	v_pk_mul_f32 v[90:91], v[244:245], v[90:91] op_sel_hi:[1,0]
	v_mov_b32_e32 v99, v97
	s_wait_loadcnt_dscnt 0x100
	v_pk_mul_f32 v[96:97], v[236:237], v[232:233] op_sel:[1,1] op_sel_hi:[0,1]
	v_pk_add_f32 v[88:89], v[88:89], v[94:95]
	v_pk_fma_f32 v[94:95], v[180:181], v[156:157], v[100:101] neg_lo:[0,0,1] neg_hi:[0,0,1]
	v_mov_b32_e32 v95, v93
	v_pk_fma_f32 v[92:93], v[182:183], v[158:159], v[90:91] op_sel_hi:[1,0,1]
	v_pk_fma_f32 v[90:91], v[182:183], v[158:159], v[90:91] neg_lo:[0,0,1] neg_hi:[0,0,1]
	v_pk_add_f32 v[88:89], v[88:89], v[98:99]
	s_delay_alu instid0(VALU_DEP_3) | instskip(SKIP_1) | instid1(VALU_DEP_3)
	v_mov_b32_e32 v91, v93
	v_pk_fma_f32 v[92:93], v[236:237], v[232:233], v[96:97] op_sel_hi:[1,0,1]
	v_pk_add_f32 v[88:89], v[88:89], v[94:95]
	v_pk_fma_f32 v[94:95], v[236:237], v[232:233], v[96:97] neg_lo:[0,0,1] neg_hi:[0,0,1]
	s_delay_alu instid0(VALU_DEP_3) | instskip(NEXT) | instid1(VALU_DEP_3)
	v_mov_b32_e32 v95, v93
	v_pk_add_f32 v[88:89], v[88:89], v[90:91]
	s_delay_alu instid0(VALU_DEP_1) | instskip(SKIP_1) | instid1(VALU_DEP_1)
	v_pk_add_f32 v[88:89], v[88:89], v[94:95]
	s_wait_loadcnt 0x0
	v_pk_add_f32 v[88:89], v[234:235], v[88:89] neg_lo:[0,1] neg_hi:[0,1]
	scratch_store_b64 off, v[88:89], off offset:40
	s_wait_xcnt 0x0
	v_cmpx_lt_u32_e32 4, v0
	s_cbranch_execz .LBB42_263
; %bb.262:
	scratch_load_b64 v[88:89], off, off offset:32
	v_mov_b64_e32 v[90:91], 0
	scratch_store_b64 off, v[90:91], off offset:32
	s_wait_loadcnt 0x0
	ds_store_b64 v1, v[88:89]
.LBB42_263:
	s_wait_xcnt 0x0
	s_or_b32 exec_lo, exec_lo, s0
	s_wait_storecnt_dscnt 0x0
	s_barrier_signal -1
	s_barrier_wait -1
	s_clause 0x13
	scratch_load_b128 v[88:91], off, off offset:40
	scratch_load_b128 v[92:95], off, off offset:56
	scratch_load_b128 v[96:99], off, off offset:72
	scratch_load_b128 v[100:103], off, off offset:88
	scratch_load_b128 v[104:107], off, off offset:104
	scratch_load_b128 v[108:111], off, off offset:120
	scratch_load_b128 v[112:115], off, off offset:136
	scratch_load_b128 v[116:119], off, off offset:152
	scratch_load_b128 v[120:123], off, off offset:168
	scratch_load_b128 v[124:127], off, off offset:184
	scratch_load_b128 v[128:131], off, off offset:200
	scratch_load_b128 v[132:135], off, off offset:216
	scratch_load_b128 v[136:139], off, off offset:232
	scratch_load_b128 v[140:143], off, off offset:248
	scratch_load_b128 v[144:147], off, off offset:264
	scratch_load_b128 v[148:151], off, off offset:280
	scratch_load_b128 v[152:155], off, off offset:296
	scratch_load_b128 v[156:159], off, off offset:312
	scratch_load_b128 v[160:163], off, off offset:328
	scratch_load_b64 v[240:241], off, off offset:32
	ds_load_2addr_b64 v[164:167], v3 offset0:79 offset1:80
	ds_load_2addr_b64 v[168:171], v3 offset0:81 offset1:82
	;; [unrolled: 1-line block ×19, first 2 shown]
	s_mov_b32 s0, exec_lo
	s_wait_dscnt 0x12
	v_dual_mov_b32 v242, v167 :: v_dual_mov_b32 v243, v166
	s_wait_dscnt 0x11
	v_dual_mov_b32 v244, v171 :: v_dual_mov_b32 v245, v170
	;; [unrolled: 2-line block ×4, first 2 shown]
	s_wait_loadcnt_dscnt 0x130d
	v_dual_mul_f32 v3, v184, v89 :: v_dual_mul_f32 v7, v186, v91
	v_dual_mul_f32 v63, v185, v89 :: v_dual_mul_f32 v65, v187, v91
	s_wait_loadcnt_dscnt 0x120c
	v_dual_mul_f32 v11, v188, v93 :: v_dual_mul_f32 v13, v190, v95
	s_delay_alu instid0(VALU_DEP_3)
	v_fmac_f32_e32 v3, v185, v88
	s_wait_loadcnt_dscnt 0x100a
	v_dual_fma_f32 v63, v184, v88, -v63 :: v_dual_mul_f32 v75, v197, v101
	v_dual_mul_f32 v67, v189, v93 :: v_dual_mul_f32 v69, v191, v95
	v_dual_fma_f32 v65, v186, v90, -v65 :: v_dual_fmac_f32 v7, v187, v90
	v_add_f32_e32 v3, 0, v3
	s_delay_alu instid0(VALU_DEP_4) | instskip(NEXT) | instid1(VALU_DEP_4)
	v_dual_add_f32 v63, 0, v63 :: v_dual_fmac_f32 v11, v189, v92
	v_dual_mul_f32 v77, v199, v103 :: v_dual_fma_f32 v67, v188, v92, -v67
	s_delay_alu instid0(VALU_DEP_3) | instskip(NEXT) | instid1(VALU_DEP_3)
	v_add_f32_e32 v3, v3, v7
	v_dual_add_f32 v7, v63, v65 :: v_dual_fma_f32 v65, v190, v94, -v69
	v_dual_mul_f32 v15, v192, v97 :: v_dual_mul_f32 v17, v194, v99
	v_dual_mul_f32 v71, v193, v97 :: v_dual_mul_f32 v73, v195, v99
	s_wait_loadcnt_dscnt 0xf09
	v_dual_mul_f32 v63, v201, v105 :: v_dual_fmac_f32 v13, v191, v94
	s_delay_alu instid0(VALU_DEP_3) | instskip(SKIP_2) | instid1(VALU_DEP_3)
	v_dual_fmac_f32 v15, v193, v96 :: v_dual_add_f32 v3, v3, v11
	v_dual_add_f32 v7, v7, v67 :: v_dual_mul_f32 v19, v196, v101
	v_dual_mul_f32 v21, v198, v103 :: v_dual_fma_f32 v67, v192, v96, -v71
	v_add_f32_e32 v3, v3, v13
	s_wait_loadcnt_dscnt 0xe08
	v_mul_f32_e32 v13, v205, v109
	v_add_f32_e32 v7, v7, v65
	v_dual_mul_f32 v11, v203, v107 :: v_dual_fma_f32 v65, v194, v98, -v73
	v_dual_mul_f32 v27, v204, v109 :: v_dual_mul_f32 v29, v206, v111
	s_delay_alu instid0(VALU_DEP_3) | instskip(SKIP_2) | instid1(VALU_DEP_3)
	v_dual_add_f32 v7, v7, v67 :: v_dual_fma_f32 v67, v196, v100, -v75
	v_dual_mul_f32 v23, v200, v105 :: v_dual_mul_f32 v25, v202, v107
	v_fmac_f32_e32 v17, v195, v98
	v_dual_add_f32 v7, v7, v65 :: v_dual_fmac_f32 v27, v205, v108
	v_dual_fmac_f32 v19, v197, v100 :: v_dual_add_f32 v3, v3, v15
	s_delay_alu instid0(VALU_DEP_2) | instskip(SKIP_2) | instid1(VALU_DEP_4)
	v_dual_fma_f32 v65, v198, v102, -v77 :: v_dual_add_f32 v7, v7, v67
	v_dual_fma_f32 v13, v204, v108, -v13 :: v_dual_mul_f32 v15, v207, v111
	v_fma_f32 v63, v200, v104, -v63
	v_dual_fmac_f32 v23, v201, v104 :: v_dual_add_f32 v3, v3, v17
	s_wait_loadcnt_dscnt 0xd07
	v_dual_fma_f32 v11, v202, v106, -v11 :: v_dual_mul_f32 v17, v209, v113
	v_add_f32_e32 v7, v7, v65
	s_wait_loadcnt_dscnt 0xc06
	v_dual_mul_f32 v35, v212, v117 :: v_dual_mul_f32 v37, v214, v119
	v_fmac_f32_e32 v21, v199, v102
	s_delay_alu instid0(VALU_DEP_3) | instskip(NEXT) | instid1(VALU_DEP_3)
	v_dual_fma_f32 v17, v208, v112, -v17 :: v_dual_add_f32 v7, v7, v63
	v_dual_fmac_f32 v35, v213, v116 :: v_dual_add_f32 v3, v3, v19
	v_dual_mul_f32 v19, v211, v115 :: v_dual_fma_f32 v15, v206, v110, -v15
	s_delay_alu instid0(VALU_DEP_3) | instskip(SKIP_3) | instid1(VALU_DEP_3)
	v_dual_add_f32 v7, v7, v11 :: v_dual_mul_f32 v31, v208, v113
	v_dual_mul_f32 v33, v210, v115 :: v_dual_fmac_f32 v25, v203, v106
	s_wait_loadcnt_dscnt 0xb05
	v_mul_f32_e32 v11, v217, v121
	v_add_f32_e32 v7, v7, v13
	v_mul_f32_e32 v13, v219, v123
	v_dual_add_f32 v3, v3, v21 :: v_dual_fmac_f32 v31, v209, v112
	s_wait_loadcnt_dscnt 0x903
	v_dual_mul_f32 v47, v224, v129 :: v_dual_mul_f32 v49, v226, v131
	s_delay_alu instid0(VALU_DEP_3) | instskip(SKIP_3) | instid1(VALU_DEP_3)
	v_dual_fma_f32 v13, v218, v122, -v13 :: v_dual_add_f32 v7, v7, v15
	v_mul_f32_e32 v15, v221, v125
	v_dual_mul_f32 v21, v213, v117 :: v_dual_add_f32 v3, v3, v23
	v_dual_fma_f32 v19, v210, v114, -v19 :: v_dual_mul_f32 v23, v215, v119
	v_dual_fma_f32 v15, v220, v124, -v15 :: v_dual_add_f32 v7, v7, v17
	v_fmac_f32_e32 v47, v225, v128
	s_delay_alu instid0(VALU_DEP_4) | instskip(NEXT) | instid1(VALU_DEP_3)
	v_dual_fma_f32 v21, v212, v116, -v21 :: v_dual_add_f32 v3, v3, v25
	v_dual_fma_f32 v23, v214, v118, -v23 :: v_dual_add_f32 v7, v7, v19
	v_dual_fma_f32 v11, v216, v120, -v11 :: v_dual_mul_f32 v39, v216, v121
	v_mul_f32_e32 v41, v218, v123
	s_delay_alu instid0(VALU_DEP_4) | instskip(NEXT) | instid1(VALU_DEP_4)
	v_add_f32_e32 v3, v3, v27
	v_add_f32_e32 v7, v7, v21
	s_delay_alu instid0(VALU_DEP_4) | instskip(SKIP_1) | instid1(VALU_DEP_3)
	v_dual_fmac_f32 v29, v207, v110 :: v_dual_fmac_f32 v39, v217, v120
	v_dual_mul_f32 v43, v220, v125 :: v_dual_mul_f32 v45, v222, v127
	v_add_f32_e32 v7, v7, v23
	s_delay_alu instid0(VALU_DEP_3)
	v_add_f32_e32 v3, v3, v29
	s_wait_loadcnt 0x5
	v_dual_mul_f32 v17, v223, v127 :: v_dual_mul_f32 v251, v172, v145
	v_mul_f32_e32 v253, v174, v147
	v_add_f32_e32 v7, v7, v11
	v_dual_fmac_f32 v33, v211, v114 :: v_dual_mul_f32 v19, v225, v129
	v_dual_fmac_f32 v43, v221, v124 :: v_dual_fmac_f32 v45, v223, v126
	s_delay_alu instid0(VALU_DEP_3) | instskip(SKIP_2) | instid1(VALU_DEP_3)
	v_add_f32_e32 v7, v7, v13
	v_dual_add_f32 v3, v3, v31 :: v_dual_fma_f32 v17, v222, v126, -v17
	v_dual_mul_f32 v21, v227, v131 :: v_dual_fmac_f32 v49, v227, v130
	v_dual_add_f32 v7, v7, v15 :: v_dual_fmac_f32 v251, v173, v144
	s_wait_dscnt 0x1
	v_mul_f32_e32 v13, v233, v137
	v_dual_add_f32 v3, v3, v33 :: v_dual_fma_f32 v19, v224, v128, -v19
	s_delay_alu instid0(VALU_DEP_3) | instskip(SKIP_2) | instid1(VALU_DEP_4)
	v_add_f32_e32 v7, v7, v17
	v_dual_mul_f32 v51, v228, v133 :: v_dual_mul_f32 v53, v230, v135
	v_fmac_f32_e32 v37, v215, v118
	v_dual_add_f32 v3, v3, v35 :: v_dual_fma_f32 v21, v226, v130, -v21
	s_delay_alu instid0(VALU_DEP_4) | instskip(NEXT) | instid1(VALU_DEP_4)
	v_dual_mul_f32 v23, v229, v133 :: v_dual_add_f32 v7, v7, v19
	v_dual_mul_f32 v11, v231, v135 :: v_dual_fmac_f32 v53, v231, v134
	s_delay_alu instid0(VALU_DEP_3) | instskip(NEXT) | instid1(VALU_DEP_3)
	v_dual_fmac_f32 v51, v229, v132 :: v_dual_add_f32 v3, v3, v37
	v_dual_fma_f32 v23, v228, v132, -v23 :: v_dual_add_f32 v7, v7, v21
	v_dual_mul_f32 v55, v232, v137 :: v_dual_mul_f32 v57, v234, v139
	v_fmac_f32_e32 v41, v219, v122
	s_delay_alu instid0(VALU_DEP_4) | instskip(NEXT) | instid1(VALU_DEP_4)
	v_dual_fma_f32 v11, v230, v134, -v11 :: v_dual_add_f32 v3, v3, v39
	v_dual_fma_f32 v13, v232, v136, -v13 :: v_dual_add_f32 v7, v7, v23
	s_wait_dscnt 0x0
	v_dual_mul_f32 v59, v236, v141 :: v_dual_mul_f32 v61, v238, v143
	v_dual_mul_f32 v15, v235, v139 :: v_dual_fmac_f32 v57, v235, v138
	v_dual_fmac_f32 v55, v233, v136 :: v_dual_add_f32 v3, v3, v41
	s_delay_alu instid0(VALU_DEP_3) | instskip(NEXT) | instid1(VALU_DEP_4)
	v_dual_fmac_f32 v59, v237, v140 :: v_dual_add_f32 v7, v7, v11
	v_dual_mul_f32 v19, v239, v143 :: v_dual_fmac_f32 v61, v239, v142
	s_delay_alu instid0(VALU_DEP_3) | instskip(NEXT) | instid1(VALU_DEP_3)
	v_dual_add_f32 v3, v3, v43 :: v_dual_fma_f32 v11, v234, v138, -v15
	v_add_f32_e32 v7, v7, v13
	v_mul_f32_e32 v21, v173, v145
	v_dual_mul_f32 v17, v237, v141 :: v_dual_mul_f32 v23, v175, v147
	v_fmac_f32_e32 v253, v175, v146
	s_delay_alu instid0(VALU_DEP_4) | instskip(NEXT) | instid1(VALU_DEP_4)
	v_dual_add_f32 v7, v7, v11 :: v_dual_fma_f32 v11, v238, v142, -v19
	v_dual_add_f32 v3, v3, v45 :: v_dual_fma_f32 v250, v172, v144, -v21
	s_delay_alu instid0(VALU_DEP_4)
	v_fma_f32 v13, v236, v140, -v17
	s_wait_loadcnt 0x4
	v_pk_mul_f32 v[88:89], v[164:165], v[148:149] op_sel:[1,1] op_sel_hi:[0,1]
	s_wait_loadcnt 0x3
	v_dual_mov_b32 v90, v151 :: v_dual_mov_b32 v94, v155
	v_add_f32_e32 v3, v3, v47
	v_dual_add_f32 v7, v7, v13 :: v_dual_fma_f32 v252, v174, v146, -v23
	v_pk_fma_f32 v[98:99], v[164:165], v[148:149], v[88:89] op_sel_hi:[1,0,1]
	s_delay_alu instid0(VALU_DEP_4) | instskip(NEXT) | instid1(VALU_DEP_4)
	v_pk_mul_f32 v[90:91], v[242:243], v[90:91] op_sel_hi:[1,0]
	v_add_f32_e32 v3, v3, v49
	s_delay_alu instid0(VALU_DEP_4)
	v_add_f32_e32 v96, v7, v11
	v_pk_fma_f32 v[88:89], v[164:165], v[148:149], v[88:89] neg_lo:[0,0,1] neg_hi:[0,0,1]
	v_pk_mul_f32 v[92:93], v[168:169], v[152:153] op_sel:[1,1] op_sel_hi:[0,1]
	v_mov_b32_e32 v89, v99
	v_add_f32_e32 v3, v3, v51
	v_pk_fma_f32 v[98:99], v[166:167], v[150:151], v[90:91] op_sel_hi:[1,0,1]
	v_pk_fma_f32 v[90:91], v[166:167], v[150:151], v[90:91] neg_lo:[0,0,1] neg_hi:[0,0,1]
	v_pk_fma_f32 v[102:103], v[168:169], v[152:153], v[92:93] op_sel_hi:[1,0,1]
	v_pk_mul_f32 v[94:95], v[244:245], v[94:95] op_sel_hi:[1,0]
	v_add_f32_e32 v3, v3, v53
	v_mov_b32_e32 v91, v99
	s_wait_loadcnt 0x2
	v_pk_mul_f32 v[100:101], v[176:177], v[156:157] op_sel:[1,1] op_sel_hi:[0,1]
	v_pk_fma_f32 v[92:93], v[168:169], v[152:153], v[92:93] neg_lo:[0,0,1] neg_hi:[0,0,1]
	v_mov_b32_e32 v93, v103
	v_add_f32_e32 v3, v3, v55
	v_pk_fma_f32 v[98:99], v[170:171], v[154:155], v[94:95] op_sel_hi:[1,0,1]
	v_pk_fma_f32 v[94:95], v[170:171], v[154:155], v[94:95] neg_lo:[0,0,1] neg_hi:[0,0,1]
	s_delay_alu instid0(VALU_DEP_3) | instskip(NEXT) | instid1(VALU_DEP_1)
	v_add_f32_e32 v3, v3, v57
	v_add_f32_e32 v3, v3, v59
	s_delay_alu instid0(VALU_DEP_1) | instskip(NEXT) | instid1(VALU_DEP_1)
	v_add_f32_e32 v97, v3, v61
	v_pk_add_f32 v[96:97], v[96:97], v[250:251]
	s_delay_alu instid0(VALU_DEP_1) | instskip(NEXT) | instid1(VALU_DEP_1)
	v_pk_add_f32 v[96:97], v[96:97], v[252:253]
	v_pk_add_f32 v[88:89], v[96:97], v[88:89]
	v_mov_b32_e32 v96, v159
	s_delay_alu instid0(VALU_DEP_2) | instskip(SKIP_1) | instid1(VALU_DEP_3)
	v_pk_add_f32 v[88:89], v[88:89], v[90:91]
	v_pk_fma_f32 v[90:91], v[176:177], v[156:157], v[100:101] op_sel_hi:[1,0,1]
	v_pk_mul_f32 v[96:97], v[246:247], v[96:97] op_sel_hi:[1,0]
	v_mov_b32_e32 v95, v99
	v_pk_fma_f32 v[98:99], v[176:177], v[156:157], v[100:101] neg_lo:[0,0,1] neg_hi:[0,0,1]
	v_pk_add_f32 v[88:89], v[88:89], v[92:93]
	v_mov_b32_e32 v99, v91
	v_pk_fma_f32 v[90:91], v[178:179], v[158:159], v[96:97] op_sel_hi:[1,0,1]
	s_wait_loadcnt 0x1
	v_pk_mul_f32 v[92:93], v[180:181], v[160:161] op_sel:[1,1] op_sel_hi:[0,1]
	v_mov_b32_e32 v90, v163
	v_pk_add_f32 v[88:89], v[88:89], v[94:95]
	v_pk_fma_f32 v[96:97], v[178:179], v[158:159], v[96:97] neg_lo:[0,0,1] neg_hi:[0,0,1]
	v_mov_b32_e32 v97, v91
	v_pk_fma_f32 v[94:95], v[180:181], v[160:161], v[92:93] op_sel_hi:[1,0,1]
	v_pk_mul_f32 v[90:91], v[248:249], v[90:91] op_sel_hi:[1,0]
	v_pk_add_f32 v[88:89], v[88:89], v[98:99]
	v_pk_fma_f32 v[92:93], v[180:181], v[160:161], v[92:93] neg_lo:[0,0,1] neg_hi:[0,0,1]
	s_delay_alu instid0(VALU_DEP_4) | instskip(NEXT) | instid1(VALU_DEP_4)
	v_mov_b32_e32 v93, v95
	v_pk_fma_f32 v[94:95], v[182:183], v[162:163], v[90:91] op_sel_hi:[1,0,1]
	s_delay_alu instid0(VALU_DEP_4) | instskip(SKIP_1) | instid1(VALU_DEP_3)
	v_pk_add_f32 v[88:89], v[88:89], v[96:97]
	v_pk_fma_f32 v[90:91], v[182:183], v[162:163], v[90:91] neg_lo:[0,0,1] neg_hi:[0,0,1]
	v_mov_b32_e32 v91, v95
	s_delay_alu instid0(VALU_DEP_3) | instskip(NEXT) | instid1(VALU_DEP_1)
	v_pk_add_f32 v[88:89], v[88:89], v[92:93]
	v_pk_add_f32 v[88:89], v[88:89], v[90:91]
	s_wait_loadcnt 0x0
	s_delay_alu instid0(VALU_DEP_1)
	v_pk_add_f32 v[88:89], v[240:241], v[88:89] neg_lo:[0,1] neg_hi:[0,1]
	scratch_store_b64 off, v[88:89], off offset:32
	s_wait_xcnt 0x0
	v_cmpx_lt_u32_e32 3, v0
	s_cbranch_execz .LBB42_265
; %bb.264:
	scratch_load_b64 v[88:89], off, off offset:24
	v_mov_b64_e32 v[90:91], 0
	scratch_store_b64 off, v[90:91], off offset:24
	s_wait_loadcnt 0x0
	ds_store_b64 v1, v[88:89]
.LBB42_265:
	s_wait_xcnt 0x0
	s_or_b32 exec_lo, exec_lo, s0
	s_wait_storecnt_dscnt 0x0
	s_barrier_signal -1
	s_barrier_wait -1
	s_clause 0x14
	scratch_load_b128 v[88:91], off, off offset:32
	scratch_load_b128 v[92:95], off, off offset:48
	;; [unrolled: 1-line block ×19, first 2 shown]
	scratch_load_b64 v[240:241], off, off offset:336
	scratch_load_b64 v[242:243], off, off offset:24
	v_mov_b32_e32 v3, 0
	ds_load_b128 v[164:167], v3 offset:624
	ds_load_b128 v[168:171], v3 offset:608
	;; [unrolled: 1-line block ×19, first 2 shown]
	ds_load_b64 v[244:245], v3 offset:688
	s_wait_dscnt 0x13
	v_dual_mov_b32 v246, v167 :: v_dual_mov_b32 v247, v166
	s_wait_dscnt 0x11
	v_dual_mov_b32 v248, v175 :: v_dual_mov_b32 v249, v174
	;; [unrolled: 2-line block ×4, first 2 shown]
	s_mov_b32 s0, exec_lo
	s_wait_loadcnt 0x14
	v_dual_mul_f32 v7, v180, v89 :: v_dual_mul_f32 v11, v182, v91
	s_wait_loadcnt 0x13
	v_dual_mul_f32 v13, v184, v93 :: v_dual_mul_f32 v69, v183, v91
	v_mul_f32_e32 v71, v185, v93
	s_wait_loadcnt_dscnt 0x110b
	v_dual_fmac_f32 v7, v181, v88 :: v_dual_mul_f32 v81, v199, v103
	v_dual_fmac_f32 v11, v183, v90 :: v_dual_mul_f32 v15, v186, v95
	v_mul_f32_e32 v17, v192, v97
	s_delay_alu instid0(VALU_DEP_3) | instskip(SKIP_2) | instid1(VALU_DEP_2)
	v_dual_mul_f32 v67, v181, v89 :: v_dual_add_f32 v7, 0, v7
	v_dual_mul_f32 v73, v187, v95 :: v_dual_mul_f32 v75, v193, v97
	s_wait_loadcnt 0x6
	v_dual_mul_f32 v255, v170, v147 :: v_dual_fma_f32 v67, v180, v88, -v67
	v_fma_f32 v69, v182, v90, -v69
	v_dual_fmac_f32 v13, v185, v92 :: v_dual_fma_f32 v71, v184, v92, -v71
	v_add_f32_e32 v7, v7, v11
	s_wait_dscnt 0xa
	v_dual_add_f32 v67, 0, v67 :: v_dual_mul_f32 v83, v201, v105
	v_dual_mul_f32 v77, v195, v99 :: v_dual_mul_f32 v79, v197, v101
	v_fmac_f32_e32 v15, v187, v94
	s_delay_alu instid0(VALU_DEP_3) | instskip(SKIP_2) | instid1(VALU_DEP_3)
	v_dual_add_f32 v11, v67, v69 :: v_dual_fmac_f32 v17, v193, v96
	v_dual_fma_f32 v69, v186, v94, -v73 :: v_dual_add_f32 v7, v7, v13
	v_dual_mul_f32 v19, v194, v99 :: v_dual_mul_f32 v21, v196, v101
	v_dual_add_f32 v11, v11, v71 :: v_dual_fma_f32 v71, v192, v96, -v75
	s_wait_dscnt 0x9
	v_dual_mul_f32 v27, v202, v107 :: v_dual_mul_f32 v29, v204, v109
	s_delay_alu instid0(VALU_DEP_3) | instskip(NEXT) | instid1(VALU_DEP_3)
	v_dual_add_f32 v7, v7, v15 :: v_dual_fmac_f32 v21, v197, v100
	v_dual_add_f32 v11, v11, v69 :: v_dual_fma_f32 v69, v194, v98, -v77
	v_dual_mul_f32 v23, v198, v103 :: v_dual_mul_f32 v25, v200, v105
	v_mul_f32_e32 v15, v207, v111
	s_delay_alu instid0(VALU_DEP_3) | instskip(SKIP_1) | instid1(VALU_DEP_4)
	v_dual_add_f32 v11, v11, v71 :: v_dual_fma_f32 v71, v196, v100, -v79
	v_fmac_f32_e32 v19, v195, v98
	v_dual_add_f32 v7, v7, v17 :: v_dual_fmac_f32 v25, v201, v104
	s_delay_alu instid0(VALU_DEP_3) | instskip(SKIP_1) | instid1(VALU_DEP_2)
	v_dual_add_f32 v11, v11, v69 :: v_dual_fmac_f32 v29, v205, v108
	v_dual_fma_f32 v69, v198, v102, -v81 :: v_dual_mul_f32 v67, v203, v107
	v_dual_mul_f32 v13, v205, v109 :: v_dual_add_f32 v11, v11, v71
	s_wait_dscnt 0x8
	v_dual_mul_f32 v17, v209, v113 :: v_dual_add_f32 v7, v7, v19
	s_delay_alu instid0(VALU_DEP_3) | instskip(NEXT) | instid1(VALU_DEP_3)
	v_fma_f32 v67, v202, v106, -v67
	v_dual_fma_f32 v71, v200, v104, -v83 :: v_dual_add_f32 v11, v11, v69
	s_delay_alu instid0(VALU_DEP_3) | instskip(SKIP_2) | instid1(VALU_DEP_3)
	v_dual_fma_f32 v17, v208, v112, -v17 :: v_dual_add_f32 v7, v7, v21
	s_wait_dscnt 0x7
	v_dual_fma_f32 v15, v206, v110, -v15 :: v_dual_mul_f32 v21, v213, v117
	v_add_f32_e32 v11, v11, v71
	v_dual_fmac_f32 v23, v199, v102 :: v_dual_fma_f32 v13, v204, v108, -v13
	s_wait_dscnt 0x5
	v_dual_mul_f32 v43, v218, v123 :: v_dual_mul_f32 v45, v220, v125
	s_delay_alu instid0(VALU_DEP_3) | instskip(SKIP_3) | instid1(VALU_DEP_4)
	v_dual_fma_f32 v21, v212, v116, -v21 :: v_dual_add_f32 v11, v11, v67
	v_dual_mul_f32 v31, v206, v111 :: v_dual_mul_f32 v33, v208, v113
	v_mul_f32_e32 v19, v211, v115
	v_add_f32_e32 v7, v7, v23
	v_dual_add_f32 v11, v11, v13 :: v_dual_fmac_f32 v45, v221, v124
	v_dual_mul_f32 v13, v221, v125 :: v_dual_mul_f32 v35, v210, v115
	s_delay_alu instid0(VALU_DEP_2) | instskip(SKIP_3) | instid1(VALU_DEP_3)
	v_dual_mul_f32 v37, v212, v117 :: v_dual_add_f32 v11, v11, v15
	s_wait_dscnt 0x4
	v_dual_mul_f32 v47, v222, v127 :: v_dual_mul_f32 v49, v224, v129
	v_dual_fmac_f32 v33, v209, v112 :: v_dual_add_f32 v7, v7, v25
	v_fmac_f32_e32 v37, v213, v116
	v_dual_mul_f32 v25, v217, v121 :: v_dual_mul_f32 v23, v215, v119
	v_dual_fma_f32 v19, v210, v114, -v19 :: v_dual_fma_f32 v13, v220, v124, -v13
	v_dual_add_f32 v11, v11, v17 :: v_dual_fmac_f32 v49, v225, v128
	s_wait_dscnt 0x3
	v_dual_mul_f32 v51, v226, v131 :: v_dual_mul_f32 v53, v228, v133
	v_dual_fmac_f32 v27, v203, v106 :: v_dual_mul_f32 v17, v225, v129
	s_delay_alu instid0(VALU_DEP_3) | instskip(NEXT) | instid1(VALU_DEP_3)
	v_add_f32_e32 v11, v11, v19
	v_dual_mul_f32 v19, v227, v131 :: v_dual_fmac_f32 v51, v227, v130
	s_delay_alu instid0(VALU_DEP_3) | instskip(SKIP_1) | instid1(VALU_DEP_3)
	v_dual_add_f32 v7, v7, v27 :: v_dual_fma_f32 v23, v214, v118, -v23
	v_dual_mul_f32 v39, v214, v119 :: v_dual_mul_f32 v41, v216, v121
	v_dual_fma_f32 v19, v226, v130, -v19 :: v_dual_add_f32 v11, v11, v21
	v_dual_mul_f32 v21, v229, v133 :: v_dual_mul_f32 v27, v219, v123
	s_delay_alu instid0(VALU_DEP_3) | instskip(SKIP_1) | instid1(VALU_DEP_3)
	v_dual_fmac_f32 v41, v217, v120 :: v_dual_fmac_f32 v31, v207, v110
	v_fma_f32 v25, v216, v120, -v25
	v_dual_fma_f32 v21, v228, v132, -v21 :: v_dual_add_f32 v11, v11, v23
	s_delay_alu instid0(VALU_DEP_4) | instskip(SKIP_1) | instid1(VALU_DEP_3)
	v_dual_add_f32 v7, v7, v29 :: v_dual_fma_f32 v27, v218, v122, -v27
	v_dual_mul_f32 v15, v223, v127 :: v_dual_fmac_f32 v47, v223, v126
	v_add_f32_e32 v11, v11, v25
	s_wait_dscnt 0x2
	s_delay_alu instid0(VALU_DEP_3)
	v_dual_add_f32 v7, v7, v31 :: v_dual_mul_f32 v25, v233, v137
	s_wait_dscnt 0x1
	v_dual_mul_f32 v63, v238, v143 :: v_dual_mul_f32 v65, v168, v145
	v_add_f32_e32 v11, v11, v27
	v_fmac_f32_e32 v35, v211, v114
	v_dual_add_f32 v7, v7, v33 :: v_dual_fma_f32 v15, v222, v126, -v15
	s_delay_alu instid0(VALU_DEP_3) | instskip(SKIP_1) | instid1(VALU_DEP_3)
	v_dual_fma_f32 v17, v224, v128, -v17 :: v_dual_add_f32 v11, v11, v13
	v_fmac_f32_e32 v65, v169, v144
	v_dual_mul_f32 v13, v237, v141 :: v_dual_add_f32 v7, v7, v35
	v_dual_mul_f32 v55, v230, v135 :: v_dual_mul_f32 v57, v232, v137
	s_delay_alu instid0(VALU_DEP_4) | instskip(SKIP_1) | instid1(VALU_DEP_4)
	v_add_f32_e32 v11, v11, v15
	v_fmac_f32_e32 v39, v215, v118
	v_dual_add_f32 v7, v7, v37 :: v_dual_fmac_f32 v53, v229, v132
	s_delay_alu instid0(VALU_DEP_4) | instskip(NEXT) | instid1(VALU_DEP_4)
	v_dual_mul_f32 v23, v231, v135 :: v_dual_fmac_f32 v55, v231, v134
	v_add_f32_e32 v11, v11, v17
	s_delay_alu instid0(VALU_DEP_3) | instskip(NEXT) | instid1(VALU_DEP_3)
	v_dual_mul_f32 v17, v169, v145 :: v_dual_add_f32 v7, v7, v39
	v_fma_f32 v23, v230, v134, -v23
	v_dual_fmac_f32 v43, v219, v122 :: v_dual_fmac_f32 v57, v233, v136
	s_delay_alu instid0(VALU_DEP_4) | instskip(NEXT) | instid1(VALU_DEP_4)
	v_add_f32_e32 v11, v11, v19
	v_dual_add_f32 v7, v7, v41 :: v_dual_fma_f32 v25, v232, v136, -v25
	v_dual_mul_f32 v59, v234, v139 :: v_dual_mul_f32 v61, v236, v141
	s_delay_alu instid0(VALU_DEP_3) | instskip(NEXT) | instid1(VALU_DEP_3)
	v_add_f32_e32 v11, v11, v21
	v_add_f32_e32 v7, v7, v43
	s_delay_alu instid0(VALU_DEP_3) | instskip(SKIP_1) | instid1(VALU_DEP_4)
	v_dual_mul_f32 v27, v235, v139 :: v_dual_fmac_f32 v59, v235, v138
	v_dual_mul_f32 v15, v239, v143 :: v_dual_fmac_f32 v63, v239, v142
	v_add_f32_e32 v11, v11, v23
	s_wait_loadcnt 0x4
	v_dual_mov_b32 v88, v151 :: v_dual_mov_b32 v92, v155
	v_dual_fma_f32 v23, v234, v138, -v27 :: v_dual_fmac_f32 v61, v237, v140
	v_dual_add_f32 v7, v7, v45 :: v_dual_fma_f32 v15, v238, v142, -v15
	v_dual_add_f32 v11, v11, v25 :: v_dual_fma_f32 v13, v236, v140, -v13
	s_delay_alu instid0(VALU_DEP_4) | instskip(NEXT) | instid1(VALU_DEP_3)
	v_pk_mul_f32 v[88:89], v[246:247], v[88:89] op_sel_hi:[1,0]
	v_add_f32_e32 v7, v7, v47
	v_dual_mul_f32 v19, v171, v147 :: v_dual_fmac_f32 v255, v171, v146
	s_delay_alu instid0(VALU_DEP_4) | instskip(NEXT) | instid1(VALU_DEP_4)
	v_add_f32_e32 v11, v11, v23
	v_pk_fma_f32 v[100:101], v[166:167], v[150:151], v[88:89] op_sel_hi:[1,0,1]
	v_pk_fma_f32 v[88:89], v[166:167], v[150:151], v[88:89] neg_lo:[0,0,1] neg_hi:[0,0,1]
	v_mul_f32_e32 v21, v165, v149
	s_set_vgpr_msb 64                       ;  msbs: dst=1 src0=0 src1=0 src2=0
	v_mul_f32_e32 v1 /*v257*/, v164, v149
	s_set_vgpr_msb 0                        ;  msbs: dst=0 src0=0 src1=0 src2=0
	v_dual_add_f32 v11, v11, v13 :: v_dual_fma_f32 v13, v168, v144, -v17
	v_dual_add_f32 v7, v7, v49 :: v_dual_mov_b32 v89, v101
	s_delay_alu instid0(VALU_DEP_2) | instskip(SKIP_1) | instid1(VALU_DEP_3)
	v_dual_fma_f32 v254, v170, v146, -v19 :: v_dual_add_f32 v11, v11, v15
	v_pk_mul_f32 v[90:91], v[172:173], v[152:153] op_sel:[1,1] op_sel_hi:[0,1]
	v_add_f32_e32 v7, v7, v51
	s_set_vgpr_msb 64                       ;  msbs: dst=1 src0=0 src1=0 src2=0
	v_fma_f32 v0 /*v256*/, v164, v148, -v21
	v_fmac_f32_e32 v1 /*v257*/, v165, v148
	s_set_vgpr_msb 0                        ;  msbs: dst=0 src0=0 src1=0 src2=0
	v_add_f32_e32 v96, v11, v13
	v_pk_fma_f32 v[102:103], v[172:173], v[152:153], v[90:91] op_sel_hi:[1,0,1]
	v_add_f32_e32 v7, v7, v53
	v_pk_mul_f32 v[92:93], v[248:249], v[92:93] op_sel_hi:[1,0]
	v_pk_fma_f32 v[90:91], v[172:173], v[152:153], v[90:91] neg_lo:[0,0,1] neg_hi:[0,0,1]
	s_wait_loadcnt 0x3
	v_pk_mul_f32 v[94:95], v[176:177], v[156:157] op_sel:[1,1] op_sel_hi:[0,1]
	v_dual_mov_b32 v98, v159 :: v_dual_mov_b32 v91, v103
	v_add_f32_e32 v7, v7, v55
	v_pk_fma_f32 v[102:103], v[174:175], v[154:155], v[92:93] op_sel_hi:[1,0,1]
	v_pk_fma_f32 v[92:93], v[174:175], v[154:155], v[92:93] neg_lo:[0,0,1] neg_hi:[0,0,1]
	s_delay_alu instid0(VALU_DEP_4) | instskip(SKIP_4) | instid1(VALU_DEP_2)
	v_pk_mul_f32 v[98:99], v[250:251], v[98:99] op_sel_hi:[1,0]
	s_wait_loadcnt 0x2
	v_pk_mul_f32 v[100:101], v[188:189], v[160:161] op_sel:[1,1] op_sel_hi:[0,1]
	v_add_f32_e32 v7, v7, v57
	v_mov_b32_e32 v93, v103
	v_add_f32_e32 v7, v7, v59
	s_delay_alu instid0(VALU_DEP_1) | instskip(NEXT) | instid1(VALU_DEP_1)
	v_add_f32_e32 v7, v7, v61
	v_add_f32_e32 v7, v7, v63
	s_delay_alu instid0(VALU_DEP_1) | instskip(NEXT) | instid1(VALU_DEP_1)
	v_add_f32_e32 v97, v7, v65
	v_pk_add_f32 v[96:97], v[96:97], v[254:255]
	s_set_vgpr_msb 4                        ;  msbs: dst=0 src0=0 src1=1 src2=0
	s_delay_alu instid0(VALU_DEP_1) | instskip(SKIP_1) | instid1(VALU_DEP_1)
	v_pk_add_f32 v[96:97], v[96:97], v[0:1] /*v[256:257]*/
	s_set_vgpr_msb 0                        ;  msbs: dst=0 src0=0 src1=0 src2=0
	v_pk_add_f32 v[88:89], v[96:97], v[88:89]
	v_pk_fma_f32 v[96:97], v[176:177], v[156:157], v[94:95] op_sel_hi:[1,0,1]
	v_pk_fma_f32 v[94:95], v[176:177], v[156:157], v[94:95] neg_lo:[0,0,1] neg_hi:[0,0,1]
	s_delay_alu instid0(VALU_DEP_3) | instskip(NEXT) | instid1(VALU_DEP_3)
	v_pk_add_f32 v[88:89], v[88:89], v[90:91]
	v_dual_mov_b32 v90, v163 :: v_dual_mov_b32 v95, v97
	v_pk_fma_f32 v[96:97], v[178:179], v[158:159], v[98:99] op_sel_hi:[1,0,1]
	v_pk_fma_f32 v[98:99], v[178:179], v[158:159], v[98:99] neg_lo:[0,0,1] neg_hi:[0,0,1]
	s_delay_alu instid0(VALU_DEP_4)
	v_pk_add_f32 v[88:89], v[88:89], v[92:93]
	v_pk_fma_f32 v[92:93], v[188:189], v[160:161], v[100:101] op_sel_hi:[1,0,1]
	v_pk_mul_f32 v[90:91], v[252:253], v[90:91] op_sel_hi:[1,0]
	v_mov_b32_e32 v99, v97
	s_wait_loadcnt_dscnt 0x100
	v_pk_mul_f32 v[96:97], v[244:245], v[240:241] op_sel:[1,1] op_sel_hi:[0,1]
	v_pk_add_f32 v[88:89], v[88:89], v[94:95]
	v_pk_fma_f32 v[94:95], v[188:189], v[160:161], v[100:101] neg_lo:[0,0,1] neg_hi:[0,0,1]
	v_mov_b32_e32 v95, v93
	v_pk_fma_f32 v[92:93], v[190:191], v[162:163], v[90:91] op_sel_hi:[1,0,1]
	v_pk_fma_f32 v[90:91], v[190:191], v[162:163], v[90:91] neg_lo:[0,0,1] neg_hi:[0,0,1]
	v_pk_add_f32 v[88:89], v[88:89], v[98:99]
	s_delay_alu instid0(VALU_DEP_3) | instskip(SKIP_1) | instid1(VALU_DEP_3)
	v_mov_b32_e32 v91, v93
	v_pk_fma_f32 v[92:93], v[244:245], v[240:241], v[96:97] op_sel_hi:[1,0,1]
	v_pk_add_f32 v[88:89], v[88:89], v[94:95]
	v_pk_fma_f32 v[94:95], v[244:245], v[240:241], v[96:97] neg_lo:[0,0,1] neg_hi:[0,0,1]
	s_delay_alu instid0(VALU_DEP_3) | instskip(NEXT) | instid1(VALU_DEP_3)
	v_mov_b32_e32 v95, v93
	v_pk_add_f32 v[88:89], v[88:89], v[90:91]
	s_delay_alu instid0(VALU_DEP_1) | instskip(SKIP_1) | instid1(VALU_DEP_1)
	v_pk_add_f32 v[88:89], v[88:89], v[94:95]
	s_wait_loadcnt 0x0
	v_pk_add_f32 v[88:89], v[242:243], v[88:89] neg_lo:[0,1] neg_hi:[0,1]
	scratch_store_b64 off, v[88:89], off offset:24
	s_wait_xcnt 0x0
	v_cmpx_lt_u32_e32 2, v0
	s_cbranch_execz .LBB42_267
; %bb.266:
	scratch_load_b64 v[88:89], off, off offset:16
	v_mov_b64_e32 v[90:91], 0
	scratch_store_b64 off, v[90:91], off offset:16
	s_wait_loadcnt 0x0
	ds_store_b64 v1, v[88:89]
.LBB42_267:
	s_wait_xcnt 0x0
	s_or_b32 exec_lo, exec_lo, s0
	s_wait_storecnt_dscnt 0x0
	s_barrier_signal -1
	s_barrier_wait -1
	s_clause 0x14
	scratch_load_b128 v[88:91], off, off offset:24
	scratch_load_b128 v[92:95], off, off offset:40
	;; [unrolled: 1-line block ×20, first 2 shown]
	scratch_load_b64 v[248:249], off, off offset:16
	ds_load_2addr_b64 v[168:171], v3 offset0:79 offset1:80
	ds_load_2addr_b64 v[172:175], v3 offset0:81 offset1:82
	;; [unrolled: 1-line block ×20, first 2 shown]
	s_wait_dscnt 0x13
	v_dual_mov_b32 v250, v171 :: v_dual_mov_b32 v251, v170
	s_wait_dscnt 0x12
	v_dual_mov_b32 v252, v175 :: v_dual_mov_b32 v253, v174
	;; [unrolled: 2-line block ×3, first 2 shown]
	s_wait_dscnt 0xe
	s_set_vgpr_msb 64                       ;  msbs: dst=1 src0=0 src1=0 src2=0
	v_dual_mov_b32 v0 /*v256*/, v191 :: v_dual_mov_b32 v1 /*v257*/, v190
	s_mov_b32 s0, exec_lo
	s_wait_loadcnt 0x14
	s_set_vgpr_msb 0                        ;  msbs: dst=0 src0=0 src1=0 src2=0
	v_dual_mul_f32 v3, v176, v89 :: v_dual_mul_f32 v7, v178, v91
	v_dual_mul_f32 v67, v177, v89 :: v_dual_mul_f32 v69, v179, v91
	s_wait_loadcnt 0x13
	v_dual_mul_f32 v11, v180, v93 :: v_dual_mul_f32 v13, v182, v95
	s_delay_alu instid0(VALU_DEP_3)
	v_fmac_f32_e32 v3, v177, v88
	s_wait_loadcnt_dscnt 0x110c
	v_dual_fma_f32 v67, v176, v88, -v67 :: v_dual_mul_f32 v79, v197, v101
	v_dual_mul_f32 v71, v181, v93 :: v_dual_mul_f32 v73, v183, v95
	v_dual_fma_f32 v69, v178, v90, -v69 :: v_dual_fmac_f32 v7, v179, v90
	v_add_f32_e32 v3, 0, v3
	s_delay_alu instid0(VALU_DEP_4) | instskip(NEXT) | instid1(VALU_DEP_4)
	v_dual_add_f32 v67, 0, v67 :: v_dual_fmac_f32 v11, v181, v92
	v_dual_mul_f32 v81, v199, v103 :: v_dual_fma_f32 v71, v180, v92, -v71
	s_delay_alu instid0(VALU_DEP_3) | instskip(NEXT) | instid1(VALU_DEP_3)
	v_add_f32_e32 v3, v3, v7
	v_dual_add_f32 v7, v67, v69 :: v_dual_fma_f32 v69, v182, v94, -v73
	v_dual_mul_f32 v15, v192, v97 :: v_dual_mul_f32 v17, v194, v99
	v_dual_mul_f32 v75, v193, v97 :: v_dual_mul_f32 v77, v195, v99
	s_wait_loadcnt_dscnt 0x100b
	v_dual_mul_f32 v67, v201, v105 :: v_dual_fmac_f32 v13, v183, v94
	s_delay_alu instid0(VALU_DEP_3) | instskip(SKIP_2) | instid1(VALU_DEP_3)
	v_dual_fmac_f32 v15, v193, v96 :: v_dual_add_f32 v3, v3, v11
	v_dual_add_f32 v7, v7, v71 :: v_dual_mul_f32 v19, v196, v101
	v_dual_mul_f32 v21, v198, v103 :: v_dual_fma_f32 v71, v192, v96, -v75
	v_add_f32_e32 v3, v3, v13
	s_wait_loadcnt_dscnt 0xf0a
	v_mul_f32_e32 v13, v205, v109
	v_add_f32_e32 v7, v7, v69
	v_dual_mul_f32 v11, v203, v107 :: v_dual_fma_f32 v69, v194, v98, -v77
	v_dual_mul_f32 v27, v204, v109 :: v_dual_mul_f32 v29, v206, v111
	s_delay_alu instid0(VALU_DEP_3) | instskip(SKIP_2) | instid1(VALU_DEP_3)
	v_dual_add_f32 v7, v7, v71 :: v_dual_fma_f32 v71, v196, v100, -v79
	v_dual_mul_f32 v23, v200, v105 :: v_dual_mul_f32 v25, v202, v107
	v_fmac_f32_e32 v17, v195, v98
	v_dual_add_f32 v7, v7, v69 :: v_dual_fmac_f32 v27, v205, v108
	v_dual_fmac_f32 v19, v197, v100 :: v_dual_add_f32 v3, v3, v15
	s_delay_alu instid0(VALU_DEP_2) | instskip(SKIP_2) | instid1(VALU_DEP_4)
	v_dual_fma_f32 v69, v198, v102, -v81 :: v_dual_add_f32 v7, v7, v71
	v_dual_fma_f32 v13, v204, v108, -v13 :: v_dual_mul_f32 v15, v207, v111
	v_fma_f32 v67, v200, v104, -v67
	v_dual_fmac_f32 v23, v201, v104 :: v_dual_add_f32 v3, v3, v17
	s_wait_loadcnt_dscnt 0xe09
	v_dual_fma_f32 v11, v202, v106, -v11 :: v_dual_mul_f32 v17, v209, v113
	v_add_f32_e32 v7, v7, v69
	s_wait_loadcnt_dscnt 0xd08
	v_dual_mul_f32 v35, v212, v117 :: v_dual_mul_f32 v37, v214, v119
	v_fmac_f32_e32 v21, v199, v102
	s_delay_alu instid0(VALU_DEP_3) | instskip(NEXT) | instid1(VALU_DEP_3)
	v_dual_fma_f32 v17, v208, v112, -v17 :: v_dual_add_f32 v7, v7, v67
	v_dual_fmac_f32 v35, v213, v116 :: v_dual_add_f32 v3, v3, v19
	v_dual_mul_f32 v19, v211, v115 :: v_dual_fma_f32 v15, v206, v110, -v15
	s_delay_alu instid0(VALU_DEP_3) | instskip(SKIP_3) | instid1(VALU_DEP_3)
	v_dual_add_f32 v7, v7, v11 :: v_dual_mul_f32 v31, v208, v113
	v_dual_mul_f32 v33, v210, v115 :: v_dual_fmac_f32 v25, v203, v106
	s_wait_loadcnt_dscnt 0xc07
	v_mul_f32_e32 v11, v217, v121
	v_add_f32_e32 v7, v7, v13
	v_mul_f32_e32 v13, v219, v123
	v_dual_add_f32 v3, v3, v21 :: v_dual_fmac_f32 v31, v209, v112
	s_wait_loadcnt_dscnt 0xa05
	v_dual_mul_f32 v47, v224, v129 :: v_dual_mul_f32 v49, v226, v131
	s_delay_alu instid0(VALU_DEP_3) | instskip(SKIP_3) | instid1(VALU_DEP_3)
	v_dual_fma_f32 v13, v218, v122, -v13 :: v_dual_add_f32 v7, v7, v15
	v_mul_f32_e32 v15, v221, v125
	v_dual_mul_f32 v21, v213, v117 :: v_dual_add_f32 v3, v3, v23
	v_dual_fma_f32 v19, v210, v114, -v19 :: v_dual_mul_f32 v23, v215, v119
	v_dual_fma_f32 v15, v220, v124, -v15 :: v_dual_add_f32 v7, v7, v17
	v_fmac_f32_e32 v47, v225, v128
	s_delay_alu instid0(VALU_DEP_4) | instskip(NEXT) | instid1(VALU_DEP_3)
	v_dual_fma_f32 v21, v212, v116, -v21 :: v_dual_add_f32 v3, v3, v25
	v_dual_fma_f32 v23, v214, v118, -v23 :: v_dual_add_f32 v7, v7, v19
	v_dual_fma_f32 v11, v216, v120, -v11 :: v_dual_mul_f32 v39, v216, v121
	v_mul_f32_e32 v41, v218, v123
	s_delay_alu instid0(VALU_DEP_4) | instskip(NEXT) | instid1(VALU_DEP_4)
	v_add_f32_e32 v3, v3, v27
	v_add_f32_e32 v7, v7, v21
	s_delay_alu instid0(VALU_DEP_4) | instskip(SKIP_2) | instid1(VALU_DEP_3)
	v_dual_fmac_f32 v29, v207, v110 :: v_dual_fmac_f32 v39, v217, v120
	v_dual_mul_f32 v43, v220, v125 :: v_dual_mul_f32 v45, v222, v127
	s_wait_loadcnt_dscnt 0x702
	v_dual_add_f32 v7, v7, v23 :: v_dual_mul_f32 v59, v236, v141
	s_delay_alu instid0(VALU_DEP_3) | instskip(NEXT) | instid1(VALU_DEP_2)
	v_dual_mul_f32 v61, v238, v143 :: v_dual_add_f32 v3, v3, v29
	v_dual_fmac_f32 v43, v221, v124 :: v_dual_add_f32 v7, v7, v11
	v_dual_mul_f32 v17, v223, v127 :: v_dual_fmac_f32 v45, v223, v126
	v_fmac_f32_e32 v33, v211, v114
	s_delay_alu instid0(VALU_DEP_4) | instskip(NEXT) | instid1(VALU_DEP_4)
	v_add_f32_e32 v3, v3, v31
	v_dual_add_f32 v7, v7, v13 :: v_dual_fmac_f32 v59, v237, v140
	s_delay_alu instid0(VALU_DEP_4) | instskip(SKIP_1) | instid1(VALU_DEP_3)
	v_dual_mul_f32 v19, v225, v129 :: v_dual_fma_f32 v17, v222, v126, -v17
	v_dual_mul_f32 v21, v227, v131 :: v_dual_fmac_f32 v49, v227, v130
	v_dual_add_f32 v7, v7, v15 :: v_dual_mul_f32 v13, v233, v137
	s_delay_alu instid0(VALU_DEP_3) | instskip(SKIP_1) | instid1(VALU_DEP_3)
	v_dual_add_f32 v3, v3, v33 :: v_dual_fma_f32 v19, v224, v128, -v19
	v_dual_mul_f32 v51, v228, v133 :: v_dual_mul_f32 v53, v230, v135
	v_add_f32_e32 v7, v7, v17
	v_fmac_f32_e32 v37, v215, v118
	s_delay_alu instid0(VALU_DEP_4) | instskip(NEXT) | instid1(VALU_DEP_3)
	v_dual_add_f32 v3, v3, v35 :: v_dual_fma_f32 v21, v226, v130, -v21
	v_dual_mul_f32 v23, v229, v133 :: v_dual_add_f32 v7, v7, v19
	v_dual_mul_f32 v11, v231, v135 :: v_dual_fmac_f32 v53, v231, v134
	s_delay_alu instid0(VALU_DEP_3) | instskip(NEXT) | instid1(VALU_DEP_3)
	v_dual_fmac_f32 v51, v229, v132 :: v_dual_add_f32 v3, v3, v37
	v_dual_fma_f32 v23, v228, v132, -v23 :: v_dual_add_f32 v7, v7, v21
	v_dual_mul_f32 v55, v232, v137 :: v_dual_mul_f32 v57, v234, v139
	v_fmac_f32_e32 v41, v219, v122
	s_delay_alu instid0(VALU_DEP_4) | instskip(NEXT) | instid1(VALU_DEP_4)
	v_dual_fma_f32 v11, v230, v134, -v11 :: v_dual_add_f32 v3, v3, v39
	v_dual_fma_f32 v13, v232, v136, -v13 :: v_dual_add_f32 v7, v7, v23
	s_delay_alu instid0(VALU_DEP_4) | instskip(NEXT) | instid1(VALU_DEP_3)
	v_dual_mul_f32 v15, v235, v139 :: v_dual_fmac_f32 v57, v235, v138
	v_dual_fmac_f32 v55, v233, v136 :: v_dual_add_f32 v3, v3, v41
	s_delay_alu instid0(VALU_DEP_3) | instskip(SKIP_1) | instid1(VALU_DEP_3)
	v_dual_add_f32 v7, v7, v11 :: v_dual_mul_f32 v17, v237, v141
	s_wait_loadcnt_dscnt 0x601
	v_dual_fma_f32 v15, v234, v138, -v15 :: v_dual_mul_f32 v63, v240, v145
	v_mul_f32_e32 v65, v242, v147
	s_delay_alu instid0(VALU_DEP_3) | instskip(SKIP_2) | instid1(VALU_DEP_3)
	v_dual_add_f32 v3, v3, v43 :: v_dual_fma_f32 v17, v236, v140, -v17
	v_add_f32_e32 v7, v7, v13
	v_dual_mul_f32 v19, v239, v143 :: v_dual_fmac_f32 v61, v239, v142
	v_dual_add_f32 v3, v3, v45 :: v_dual_fmac_f32 v63, v241, v144
	s_delay_alu instid0(VALU_DEP_3) | instskip(SKIP_1) | instid1(VALU_DEP_3)
	v_add_f32_e32 v7, v7, v15
	v_dual_mul_f32 v23, v243, v147 :: v_dual_fmac_f32 v65, v243, v146
	v_dual_add_f32 v3, v3, v47 :: v_dual_fma_f32 v15, v238, v142, -v19
	s_delay_alu instid0(VALU_DEP_3)
	v_add_f32_e32 v7, v7, v17
	v_mul_f32_e32 v21, v241, v145
	s_wait_loadcnt_dscnt 0x500
	s_set_vgpr_msb 64                       ;  msbs: dst=1 src0=0 src1=0 src2=0
	v_dual_mul_f32 v3 /*v259*/, v244, v149 :: v_dual_mul_f32 v5 /*v261*/, v246, v151
	s_set_vgpr_msb 0                        ;  msbs: dst=0 src0=0 src1=0 src2=0
	v_dual_mul_f32 v11, v245, v149 :: v_dual_add_f32 v7, v7, v15
	v_dual_fma_f32 v15, v242, v146, -v23 :: v_dual_add_f32 v3, v3, v49
	v_dual_fma_f32 v17, v240, v144, -v21 :: v_dual_mul_f32 v13, v247, v151
	s_wait_loadcnt 0x4
	v_pk_mul_f32 v[88:89], v[168:169], v[152:153] op_sel:[1,1] op_sel_hi:[0,1]
	s_wait_loadcnt 0x3
	v_dual_mov_b32 v90, v155 :: v_dual_mov_b32 v94, v159
	v_add_f32_e32 v3, v3, v51
	v_add_f32_e32 v7, v7, v17
	s_set_vgpr_msb 64                       ;  msbs: dst=1 src0=0 src1=0 src2=0
	v_dual_fmac_f32 v3 /*v259*/, v245, v148 :: v_dual_fmac_f32 v5 /*v261*/, v247, v150
	v_dual_fma_f32 v2 /*v258*/, v244, v148, -v11 :: v_dual_fma_f32 v4 /*v260*/, v246, v150, -v13
	s_set_vgpr_msb 0                        ;  msbs: dst=0 src0=0 src1=0 src2=0
	v_add_f32_e32 v3, v3, v53
	v_add_f32_e32 v96, v7, v15
	v_pk_fma_f32 v[98:99], v[168:169], v[152:153], v[88:89] op_sel_hi:[1,0,1]
	v_pk_mul_f32 v[90:91], v[250:251], v[90:91] op_sel_hi:[1,0]
	v_pk_fma_f32 v[88:89], v[168:169], v[152:153], v[88:89] neg_lo:[0,0,1] neg_hi:[0,0,1]
	v_add_f32_e32 v3, v3, v55
	v_pk_mul_f32 v[92:93], v[172:173], v[156:157] op_sel:[1,1] op_sel_hi:[0,1]
	v_mov_b32_e32 v89, v99
	v_pk_fma_f32 v[98:99], v[170:171], v[154:155], v[90:91] op_sel_hi:[1,0,1]
	v_pk_fma_f32 v[90:91], v[170:171], v[154:155], v[90:91] neg_lo:[0,0,1] neg_hi:[0,0,1]
	v_add_f32_e32 v3, v3, v57
	v_pk_fma_f32 v[102:103], v[172:173], v[156:157], v[92:93] op_sel_hi:[1,0,1]
	v_pk_mul_f32 v[94:95], v[252:253], v[94:95] op_sel_hi:[1,0]
	v_mov_b32_e32 v91, v99
	s_wait_loadcnt 0x2
	v_pk_mul_f32 v[100:101], v[184:185], v[160:161] op_sel:[1,1] op_sel_hi:[0,1]
	v_add_f32_e32 v3, v3, v59
	v_pk_fma_f32 v[92:93], v[172:173], v[156:157], v[92:93] neg_lo:[0,0,1] neg_hi:[0,0,1]
	v_mov_b32_e32 v93, v103
	v_pk_fma_f32 v[98:99], v[174:175], v[158:159], v[94:95] op_sel_hi:[1,0,1]
	v_pk_fma_f32 v[94:95], v[174:175], v[158:159], v[94:95] neg_lo:[0,0,1] neg_hi:[0,0,1]
	v_add_f32_e32 v3, v3, v61
	s_delay_alu instid0(VALU_DEP_1) | instskip(NEXT) | instid1(VALU_DEP_1)
	v_add_f32_e32 v3, v3, v63
	v_add_f32_e32 v97, v3, v65
	s_set_vgpr_msb 4                        ;  msbs: dst=0 src0=0 src1=1 src2=0
	s_delay_alu instid0(VALU_DEP_1) | instskip(NEXT) | instid1(VALU_DEP_1)
	v_pk_add_f32 v[96:97], v[96:97], v[2:3] /*v[258:259]*/
	v_pk_add_f32 v[96:97], v[96:97], v[4:5] /*v[260:261]*/
	s_set_vgpr_msb 0                        ;  msbs: dst=0 src0=0 src1=0 src2=0
	s_delay_alu instid0(VALU_DEP_1) | instskip(SKIP_1) | instid1(VALU_DEP_2)
	v_pk_add_f32 v[88:89], v[96:97], v[88:89]
	v_mov_b32_e32 v96, v163
	v_pk_add_f32 v[88:89], v[88:89], v[90:91]
	v_pk_fma_f32 v[90:91], v[184:185], v[160:161], v[100:101] op_sel_hi:[1,0,1]
	s_delay_alu instid0(VALU_DEP_3)
	v_pk_mul_f32 v[96:97], v[254:255], v[96:97] op_sel_hi:[1,0]
	v_mov_b32_e32 v95, v99
	v_pk_fma_f32 v[98:99], v[184:185], v[160:161], v[100:101] neg_lo:[0,0,1] neg_hi:[0,0,1]
	v_pk_add_f32 v[88:89], v[88:89], v[92:93]
	v_mov_b32_e32 v99, v91
	v_pk_fma_f32 v[90:91], v[186:187], v[162:163], v[96:97] op_sel_hi:[1,0,1]
	s_wait_loadcnt 0x1
	v_pk_mul_f32 v[92:93], v[188:189], v[164:165] op_sel:[1,1] op_sel_hi:[0,1]
	v_mov_b32_e32 v90, v167
	v_pk_add_f32 v[88:89], v[88:89], v[94:95]
	v_pk_fma_f32 v[96:97], v[186:187], v[162:163], v[96:97] neg_lo:[0,0,1] neg_hi:[0,0,1]
	v_mov_b32_e32 v97, v91
	v_pk_fma_f32 v[94:95], v[188:189], v[164:165], v[92:93] op_sel_hi:[1,0,1]
	s_set_vgpr_msb 1                        ;  msbs: dst=0 src0=1 src1=0 src2=0
	v_pk_mul_f32 v[90:91], v[0:1] /*v[256:257]*/, v[90:91] op_sel_hi:[1,0]
	s_set_vgpr_msb 0                        ;  msbs: dst=0 src0=0 src1=0 src2=0
	v_pk_add_f32 v[88:89], v[88:89], v[98:99]
	v_pk_fma_f32 v[92:93], v[188:189], v[164:165], v[92:93] neg_lo:[0,0,1] neg_hi:[0,0,1]
	v_mov_b32_e32 v93, v95
	v_pk_fma_f32 v[94:95], v[190:191], v[166:167], v[90:91] op_sel_hi:[1,0,1]
	s_delay_alu instid0(VALU_DEP_4) | instskip(SKIP_1) | instid1(VALU_DEP_3)
	v_pk_add_f32 v[88:89], v[88:89], v[96:97]
	v_pk_fma_f32 v[90:91], v[190:191], v[166:167], v[90:91] neg_lo:[0,0,1] neg_hi:[0,0,1]
	v_mov_b32_e32 v91, v95
	s_delay_alu instid0(VALU_DEP_3) | instskip(NEXT) | instid1(VALU_DEP_1)
	v_pk_add_f32 v[88:89], v[88:89], v[92:93]
	v_pk_add_f32 v[88:89], v[88:89], v[90:91]
	s_wait_loadcnt 0x0
	s_delay_alu instid0(VALU_DEP_1)
	v_pk_add_f32 v[88:89], v[248:249], v[88:89] neg_lo:[0,1] neg_hi:[0,1]
	scratch_store_b64 off, v[88:89], off offset:16
	s_wait_xcnt 0x0
	v_cmpx_lt_u32_e32 1, v0
	s_cbranch_execz .LBB42_269
; %bb.268:
	scratch_load_b64 v[88:89], off, off offset:8
	v_mov_b64_e32 v[90:91], 0
	scratch_store_b64 off, v[90:91], off offset:8
	s_wait_loadcnt 0x0
	ds_store_b64 v1, v[88:89]
.LBB42_269:
	s_wait_xcnt 0x0
	s_or_b32 exec_lo, exec_lo, s0
	s_wait_storecnt_dscnt 0x0
	s_barrier_signal -1
	s_barrier_wait -1
	s_clause 0x15
	scratch_load_b128 v[90:93], off, off offset:16
	scratch_load_b128 v[94:97], off, off offset:32
	;; [unrolled: 1-line block ×20, first 2 shown]
	scratch_load_b64 v[250:251], off, off offset:336
	scratch_load_b64 v[252:253], off, off offset:8
	v_dual_mov_b32 v88, 0 :: v_dual_ashrrev_i32 v47, 31, v46
	v_dual_ashrrev_i32 v3, 31, v2 :: v_dual_ashrrev_i32 v13, 31, v12
	v_dual_ashrrev_i32 v7, 31, v6 :: v_dual_ashrrev_i32 v17, 31, v16
	ds_load_b128 v[170:173], v88 offset:368
	v_ashrrev_i32_e32 v59, 31, v58
	ds_load_b128 v[174:177], v88 offset:384
	ds_load_b128 v[178:181], v88 offset:400
	ds_load_b128 v[182:185], v88 offset:416
	ds_load_b128 v[186:189], v88 offset:432
	ds_load_b128 v[190:193], v88 offset:448
	ds_load_b128 v[194:197], v88 offset:464
	ds_load_b128 v[198:201], v88 offset:480
	ds_load_b128 v[202:205], v88 offset:624
	ds_load_b128 v[206:209], v88 offset:496
	ds_load_b128 v[210:213], v88 offset:512
	ds_load_b128 v[214:217], v88 offset:528
	ds_load_b128 v[218:221], v88 offset:544
	ds_load_b128 v[222:225], v88 offset:560
	ds_load_b128 v[226:229], v88 offset:576
	ds_load_b128 v[230:233], v88 offset:592
	ds_load_b128 v[234:237], v88 offset:608
	ds_load_b128 v[238:241], v88 offset:640
	ds_load_b128 v[242:245], v88 offset:656
	v_ashrrev_i32_e32 v63, 31, v62
	ds_load_b128 v[246:249], v88 offset:672
	v_dual_ashrrev_i32 v11, 31, v10 :: v_dual_ashrrev_i32 v21, 31, v20
	v_dual_ashrrev_i32 v15, 31, v14 :: v_dual_ashrrev_i32 v25, 31, v24
	;; [unrolled: 1-line block ×11, first 2 shown]
	s_mov_b32 s0, exec_lo
	s_wait_loadcnt_dscnt 0x1513
	v_dual_mul_f32 v65, v170, v91 :: v_dual_mul_f32 v69, v171, v91
	v_dual_mul_f32 v71, v173, v93 :: v_dual_mul_f32 v67, v172, v93
	s_wait_loadcnt_dscnt 0x1412
	s_delay_alu instid0(VALU_DEP_2) | instskip(NEXT) | instid1(VALU_DEP_2)
	v_dual_mul_f32 v73, v174, v95 :: v_dual_fmac_f32 v65, v171, v90
	v_dual_fma_f32 v69, v170, v90, -v69 :: v_dual_fma_f32 v71, v172, v92, -v71
	s_delay_alu instid0(VALU_DEP_3)
	v_fmac_f32_e32 v67, v173, v92
	s_wait_dscnt 0xb
	v_dual_mov_b32 v92, v205 :: v_dual_mul_f32 v75, v176, v97
	v_mul_f32_e32 v77, v175, v95
	s_wait_loadcnt 0xf
	v_dual_mul_f32 v172, v194, v115 :: v_dual_add_f32 v65, 0, v65
	v_add_f32_e32 v69, 0, v69
	v_dual_mul_f32 v79, v177, v97 :: v_dual_mov_b32 v93, v204
	v_dual_fmac_f32 v73, v175, v94 :: v_dual_fmac_f32 v75, v177, v96
	s_delay_alu instid0(VALU_DEP_2)
	v_dual_fma_f32 v77, v174, v94, -v77 :: v_dual_fma_f32 v79, v176, v96, -v79
	v_add_f32_e32 v65, v65, v67
	s_wait_loadcnt_dscnt 0xd0a
	v_dual_add_f32 v69, v69, v71 :: v_dual_mul_f32 v71, v208, v125
	s_wait_dscnt 0x1
	v_dual_mov_b32 v96, v245 :: v_dual_mul_f32 v81, v178, v99
	v_dual_mul_f32 v83, v180, v101 :: v_dual_mul_f32 v85, v179, v99
	v_dual_mul_f32 v87, v181, v101 :: v_dual_mov_b32 v97, v244
	v_mul_f32_e32 v89, v182, v103
	v_mul_f32_e32 v170, v186, v107
	v_dual_mul_f32 v101, v183, v103 :: v_dual_mul_f32 v103, v185, v105
	s_wait_loadcnt 0xc
	v_dual_mul_f32 v176, v210, v127 :: v_dual_add_f32 v65, v65, v73
	v_dual_add_f32 v69, v69, v77 :: v_dual_fmac_f32 v81, v179, v98
	v_dual_fmac_f32 v83, v181, v100 :: v_dual_fma_f32 v85, v178, v98, -v85
	v_fma_f32 v87, v180, v100, -v87
	v_mul_f32_e32 v100, v184, v105
	v_dual_mul_f32 v105, v188, v109 :: v_dual_fmac_f32 v89, v183, v102
	v_dual_fma_f32 v101, v182, v102, -v101 :: v_dual_fma_f32 v102, v184, v104, -v103
	v_mul_f32_e32 v103, v187, v107
	v_add_f32_e32 v65, v65, v75
	v_add_f32_e32 v69, v69, v79
	v_dual_mul_f32 v75, v189, v109 :: v_dual_fmac_f32 v170, v187, v106
	s_wait_loadcnt 0xb
	v_dual_mul_f32 v79, v216, v133 :: v_dual_fma_f32 v106, v186, v106, -v103
	s_wait_loadcnt 0xa
	v_dual_mul_f32 v107, v218, v135 :: v_dual_add_f32 v65, v65, v81
	v_add_f32_e32 v69, v69, v85
	v_dual_fmac_f32 v105, v189, v108 :: v_dual_fma_f32 v75, v188, v108, -v75
	s_wait_loadcnt 0x9
	s_delay_alu instid0(VALU_DEP_3)
	v_dual_mul_f32 v108, v224, v141 :: v_dual_add_f32 v65, v65, v83
	s_wait_loadcnt 0x8
	v_mul_f32_e32 v83, v226, v143
	v_dual_add_f32 v69, v69, v87 :: v_dual_mul_f32 v87, v228, v145
	s_wait_loadcnt 0x7
	v_dual_fmac_f32 v100, v185, v104 :: v_dual_mul_f32 v109, v230, v147
	v_add_f32_e32 v65, v65, v89
	s_wait_loadcnt 0x5
	v_dual_add_f32 v69, v69, v101 :: v_dual_mul_f32 v103, v202, v155
	v_dual_mul_f32 v101, v236, v153 :: v_dual_mul_f32 v104, v190, v111
	s_delay_alu instid0(VALU_DEP_3) | instskip(NEXT) | instid1(VALU_DEP_3)
	v_dual_mul_f32 v171, v192, v113 :: v_dual_add_f32 v65, v65, v100
	v_dual_add_f32 v69, v69, v102 :: v_dual_mul_f32 v100, v191, v111
	v_dual_mul_f32 v102, v193, v113 :: v_dual_mul_f32 v111, v195, v115
	s_delay_alu instid0(VALU_DEP_3) | instskip(NEXT) | instid1(VALU_DEP_3)
	v_dual_add_f32 v65, v65, v170 :: v_dual_mul_f32 v113, v199, v119
	v_add_f32_e32 v69, v69, v106
	s_delay_alu instid0(VALU_DEP_4) | instskip(NEXT) | instid1(VALU_DEP_3)
	v_dual_fma_f32 v100, v190, v110, -v100 :: v_dual_mul_f32 v173, v196, v117
	v_dual_mul_f32 v174, v198, v119 :: v_dual_add_f32 v65, v65, v105
	s_delay_alu instid0(VALU_DEP_3) | instskip(SKIP_2) | instid1(VALU_DEP_3)
	v_dual_add_f32 v69, v69, v75 :: v_dual_fmac_f32 v172, v195, v114
	v_dual_mul_f32 v106, v197, v117 :: v_dual_fmac_f32 v104, v191, v110
	v_dual_mul_f32 v105, v201, v121 :: v_dual_fma_f32 v102, v192, v112, -v102
	v_dual_add_f32 v69, v69, v100 :: v_dual_fmac_f32 v174, v199, v118
	v_dual_fmac_f32 v171, v193, v112 :: v_dual_mul_f32 v100, v211, v127
	v_mul_f32_e32 v110, v209, v125
	v_dual_add_f32 v65, v65, v104 :: v_dual_fma_f32 v104, v194, v114, -v111
	s_delay_alu instid0(VALU_DEP_4) | instskip(SKIP_2) | instid1(VALU_DEP_2)
	v_dual_add_f32 v69, v69, v102 :: v_dual_fma_f32 v105, v200, v120, -v105
	v_dual_mul_f32 v75, v207, v123 :: v_dual_fma_f32 v106, v196, v116, -v106
	v_dual_mul_f32 v175, v200, v121 :: v_dual_mul_f32 v67, v206, v123
	v_dual_add_f32 v69, v69, v104 :: v_dual_fma_f32 v75, v206, v122, -v75
	v_mul_f32_e32 v104, v215, v131
	v_add_f32_e32 v65, v65, v171
	v_dual_mul_f32 v102, v213, v129 :: v_dual_fma_f32 v111, v198, v118, -v113
	v_fmac_f32_e32 v173, v197, v116
	v_add_f32_e32 v69, v69, v106
	s_delay_alu instid0(VALU_DEP_4) | instskip(SKIP_1) | instid1(VALU_DEP_3)
	v_dual_add_f32 v65, v65, v172 :: v_dual_fmac_f32 v67, v207, v122
	v_dual_fmac_f32 v175, v201, v120 :: v_dual_fmac_f32 v176, v211, v126
	v_add_f32_e32 v69, v69, v111
	s_delay_alu instid0(VALU_DEP_3) | instskip(SKIP_1) | instid1(VALU_DEP_3)
	v_dual_mul_f32 v111, v219, v135 :: v_dual_add_f32 v65, v65, v173
	v_dual_fma_f32 v110, v208, v124, -v110 :: v_dual_mul_f32 v106, v217, v133
	v_add_f32_e32 v69, v69, v105
	v_fmac_f32_e32 v71, v209, v124
	s_delay_alu instid0(VALU_DEP_4) | instskip(SKIP_1) | instid1(VALU_DEP_2)
	v_dual_add_f32 v65, v65, v174 :: v_dual_mul_f32 v73, v212, v129
	v_dual_mul_f32 v77, v214, v131 :: v_dual_mul_f32 v105, v221, v137
	v_dual_fmac_f32 v107, v219, v134 :: v_dual_add_f32 v65, v65, v175
	s_delay_alu instid0(VALU_DEP_3) | instskip(NEXT) | instid1(VALU_DEP_3)
	v_fmac_f32_e32 v73, v213, v128
	v_dual_fmac_f32 v77, v215, v130 :: v_dual_mul_f32 v81, v220, v137
	v_mul_f32_e32 v85, v222, v139
	s_delay_alu instid0(VALU_DEP_4) | instskip(SKIP_3) | instid1(VALU_DEP_3)
	v_add_f32_e32 v65, v65, v67
	v_dual_add_f32 v67, v69, v75 :: v_dual_fma_f32 v75, v210, v126, -v100
	v_dual_fma_f32 v100, v212, v128, -v102 :: v_dual_fma_f32 v102, v214, v130, -v104
	v_mul_f32_e32 v69, v223, v139
	v_add_f32_e32 v67, v67, v110
	v_dual_fmac_f32 v85, v223, v138 :: v_dual_fmac_f32 v108, v225, v140
	v_fmac_f32_e32 v83, v227, v142
	s_delay_alu instid0(VALU_DEP_3) | instskip(SKIP_2) | instid1(VALU_DEP_3)
	v_dual_fma_f32 v69, v222, v138, -v69 :: v_dual_add_f32 v67, v67, v75
	v_dual_mul_f32 v75, v227, v143 :: v_dual_mul_f32 v89, v232, v149
	v_dual_mul_f32 v177, v234, v151 :: v_dual_mov_b32 v94, v241
	v_dual_mov_b32 v95, v240 :: v_dual_add_f32 v67, v67, v100
	v_dual_add_f32 v65, v65, v71 :: v_dual_fma_f32 v100, v216, v132, -v106
	s_delay_alu instid0(VALU_DEP_4) | instskip(NEXT) | instid1(VALU_DEP_2)
	v_dual_mul_f32 v71, v225, v141 :: v_dual_fma_f32 v75, v226, v142, -v75
	v_dual_add_f32 v67, v67, v102 :: v_dual_add_f32 v65, v65, v176
	v_fma_f32 v102, v218, v134, -v111
	s_wait_loadcnt 0x4
	v_dual_fmac_f32 v109, v231, v146 :: v_dual_mov_b32 v106, v161
	s_delay_alu instid0(VALU_DEP_3) | instskip(SKIP_2) | instid1(VALU_DEP_3)
	v_dual_add_f32 v67, v67, v100 :: v_dual_add_f32 v65, v65, v73
	v_fmac_f32_e32 v79, v217, v132
	v_dual_mul_f32 v73, v229, v145 :: v_dual_fma_f32 v100, v220, v136, -v105
	v_dual_add_f32 v67, v67, v102 :: v_dual_add_f32 v65, v65, v77
	v_dual_mul_f32 v77, v231, v147 :: v_dual_fma_f32 v71, v224, v140, -v71
	s_delay_alu instid0(VALU_DEP_2) | instskip(NEXT) | instid1(VALU_DEP_3)
	v_dual_mov_b32 v102, v157 :: v_dual_add_f32 v67, v67, v100
	v_add_f32_e32 v65, v65, v79
	v_mul_f32_e32 v79, v233, v149
	v_fmac_f32_e32 v81, v221, v136
	s_delay_alu instid0(VALU_DEP_4) | instskip(NEXT) | instid1(VALU_DEP_4)
	v_dual_fmac_f32 v89, v233, v148 :: v_dual_add_f32 v67, v67, v69
	v_add_f32_e32 v65, v65, v107
	v_dual_mul_f32 v107, v235, v151 :: v_dual_fmac_f32 v177, v235, v150
	v_mul_f32_e32 v69, v203, v155
	s_delay_alu instid0(VALU_DEP_3) | instskip(SKIP_1) | instid1(VALU_DEP_2)
	v_dual_add_f32 v67, v67, v71 :: v_dual_add_f32 v65, v65, v81
	v_dual_fmac_f32 v87, v229, v144 :: v_dual_fma_f32 v71, v228, v144, -v73
	v_dual_mul_f32 v81, v237, v153 :: v_dual_add_f32 v67, v67, v75
	s_delay_alu instid0(VALU_DEP_3)
	v_add_f32_e32 v65, v65, v85
	v_pk_mul_f32 v[92:93], v[92:93], v[102:103] op_sel_hi:[1,0]
	v_pk_mul_f32 v[104:105], v[238:239], v[158:159] op_sel:[1,1] op_sel_hi:[0,1]
	s_wait_loadcnt 0x3
	v_dual_mov_b32 v112, v165 :: v_dual_fmac_f32 v103, v203, v154
	v_dual_add_f32 v65, v65, v108 :: v_dual_add_f32 v67, v67, v71
	v_fma_f32 v71, v232, v148, -v79
	v_pk_fma_f32 v[114:115], v[204:205], v[156:157], v[92:93] op_sel_hi:[1,0,1]
	s_delay_alu instid0(VALU_DEP_3) | instskip(SKIP_3) | instid1(VALU_DEP_4)
	v_dual_fma_f32 v102, v202, v154, -v69 :: v_dual_add_f32 v65, v65, v83
	v_fma_f32 v73, v230, v146, -v77
	v_pk_fma_f32 v[92:93], v[204:205], v[156:157], v[92:93] neg_lo:[0,0,1] neg_hi:[0,0,1]
	v_pk_mul_f32 v[94:95], v[94:95], v[106:107] op_sel_hi:[1,0]
	v_dual_mov_b32 v93, v115 :: v_dual_add_f32 v65, v65, v87
	s_delay_alu instid0(VALU_DEP_4)
	v_dual_add_f32 v67, v67, v73 :: v_dual_fma_f32 v73, v234, v150, -v107
	ds_load_b64 v[90:91], v88 offset:688
	v_pk_fma_f32 v[106:107], v[240:241], v[160:161], v[94:95] op_sel_hi:[1,0,1]
	v_dual_add_f32 v65, v65, v109 :: v_dual_add_f32 v67, v67, v71
	v_fmac_f32_e32 v101, v237, v152
	v_pk_mul_f32 v[108:109], v[242:243], v[162:163] op_sel:[1,1] op_sel_hi:[0,1]
	v_pk_fma_f32 v[94:95], v[240:241], v[160:161], v[94:95] neg_lo:[0,0,1] neg_hi:[0,0,1]
	s_delay_alu instid0(VALU_DEP_4) | instskip(SKIP_2) | instid1(VALU_DEP_3)
	v_dual_add_f32 v65, v65, v89 :: v_dual_fma_f32 v100, v236, v152, -v81
	v_add_f32_e32 v110, v67, v73
	v_pk_mul_f32 v[96:97], v[96:97], v[112:113] op_sel_hi:[1,0]
	v_dual_mov_b32 v95, v107 :: v_dual_add_f32 v111, v65, v177
	s_wait_dscnt 0x1
	v_dual_mov_b32 v98, v249 :: v_dual_mov_b32 v99, v248
	s_delay_alu instid0(VALU_DEP_3)
	v_pk_fma_f32 v[106:107], v[244:245], v[164:165], v[96:97] op_sel_hi:[1,0,1]
	v_pk_fma_f32 v[96:97], v[244:245], v[164:165], v[96:97] neg_lo:[0,0,1] neg_hi:[0,0,1]
	v_pk_add_f32 v[100:101], v[110:111], v[100:101]
	v_pk_fma_f32 v[110:111], v[238:239], v[158:159], v[104:105] op_sel_hi:[1,0,1]
	v_pk_fma_f32 v[104:105], v[238:239], v[158:159], v[104:105] neg_lo:[0,0,1] neg_hi:[0,0,1]
	v_dual_mov_b32 v97, v107 :: v_dual_ashrrev_i32 v65, 31, v64
	s_delay_alu instid0(VALU_DEP_4) | instskip(NEXT) | instid1(VALU_DEP_4)
	v_pk_add_f32 v[100:101], v[100:101], v[102:103]
	v_mov_b32_e32 v105, v111
	s_wait_loadcnt 0x2
	v_pk_mul_f32 v[102:103], v[246:247], v[166:167] op_sel:[1,1] op_sel_hi:[0,1]
	v_dual_ashrrev_i32 v67, 31, v66 :: v_dual_ashrrev_i32 v69, 31, v68
	v_pk_add_f32 v[92:93], v[100:101], v[92:93]
	v_pk_fma_f32 v[100:101], v[242:243], v[162:163], v[108:109] op_sel_hi:[1,0,1]
	v_dual_mov_b32 v100, v169 :: v_dual_ashrrev_i32 v73, 31, v72
	v_ashrrev_i32_e32 v75, 31, v74
	s_delay_alu instid0(VALU_DEP_4)
	v_pk_add_f32 v[92:93], v[92:93], v[104:105]
	v_pk_fma_f32 v[104:105], v[242:243], v[162:163], v[108:109] neg_lo:[0,0,1] neg_hi:[0,0,1]
	v_mov_b32_e32 v105, v101
	v_pk_mul_f32 v[98:99], v[98:99], v[100:101] op_sel_hi:[1,0]
	v_pk_fma_f32 v[100:101], v[246:247], v[166:167], v[102:103] neg_lo:[0,0,1] neg_hi:[0,0,1]
	v_pk_add_f32 v[92:93], v[92:93], v[94:95]
	v_pk_fma_f32 v[94:95], v[246:247], v[166:167], v[102:103] op_sel_hi:[1,0,1]
	v_dual_ashrrev_i32 v77, 31, v76 :: v_dual_ashrrev_i32 v79, 31, v78
	v_dual_ashrrev_i32 v81, 31, v80 :: v_dual_ashrrev_i32 v83, 31, v82
	s_delay_alu instid0(VALU_DEP_4) | instskip(NEXT) | instid1(VALU_DEP_4)
	v_pk_add_f32 v[92:93], v[92:93], v[104:105]
	v_mov_b32_e32 v101, v95
	v_pk_fma_f32 v[94:95], v[248:249], v[168:169], v[98:99] op_sel_hi:[1,0,1]
	v_pk_fma_f32 v[98:99], v[248:249], v[168:169], v[98:99] neg_lo:[0,0,1] neg_hi:[0,0,1]
	v_dual_ashrrev_i32 v85, 31, v84 :: v_dual_ashrrev_i32 v87, 31, v86
	v_pk_add_f32 v[92:93], v[92:93], v[96:97]
	s_wait_loadcnt_dscnt 0x100
	v_pk_mul_f32 v[96:97], v[90:91], v[250:251] op_sel:[1,1] op_sel_hi:[0,1]
	v_mov_b32_e32 v99, v95
	s_delay_alu instid0(VALU_DEP_3) | instskip(NEXT) | instid1(VALU_DEP_3)
	v_pk_add_f32 v[92:93], v[92:93], v[100:101]
	v_pk_fma_f32 v[94:95], v[90:91], v[250:251], v[96:97] op_sel_hi:[1,0,1]
	v_pk_fma_f32 v[90:91], v[90:91], v[250:251], v[96:97] neg_lo:[0,0,1] neg_hi:[0,0,1]
	v_ashrrev_i32_e32 v71, 31, v70
	s_delay_alu instid0(VALU_DEP_4) | instskip(NEXT) | instid1(VALU_DEP_4)
	v_pk_add_f32 v[92:93], v[92:93], v[98:99]
	v_mov_b32_e32 v91, v95
	s_delay_alu instid0(VALU_DEP_1) | instskip(SKIP_1) | instid1(VALU_DEP_1)
	v_pk_add_f32 v[90:91], v[92:93], v[90:91]
	s_wait_loadcnt 0x0
	v_pk_add_f32 v[90:91], v[252:253], v[90:91] neg_lo:[0,1] neg_hi:[0,1]
	scratch_store_b64 off, v[90:91], off offset:8
	s_wait_xcnt 0x0
	v_cmpx_ne_u32_e32 0, v0
	s_cbranch_execz .LBB42_271
; %bb.270:
	scratch_load_b64 v[90:91], off, off
	v_mov_b64_e32 v[92:93], 0
	scratch_store_b64 off, v[92:93], off
	s_wait_loadcnt 0x0
	ds_store_b64 v1, v[90:91]
.LBB42_271:
	s_wait_xcnt 0x0
	s_or_b32 exec_lo, exec_lo, s0
	s_wait_storecnt_dscnt 0x0
	s_barrier_signal -1
	s_barrier_wait -1
	s_clause 0x10
	scratch_load_b128 v[94:97], off, off offset:8
	scratch_load_b128 v[102:105], off, off offset:24
	;; [unrolled: 1-line block ×17, first 2 shown]
	ds_load_2addr_b64 v[90:93], v88 offset0:45 offset1:46
	ds_load_2addr_b64 v[98:101], v88 offset0:47 offset1:48
	ds_load_2addr_b64 v[218:221], v88 offset0:77 offset1:78
	ds_load_2addr_b64 v[106:109], v88 offset0:49 offset1:50
	ds_load_2addr_b64 v[114:117], v88 offset0:51 offset1:52
	ds_load_2addr_b64 v[122:125], v88 offset0:53 offset1:54
	ds_load_2addr_b64 v[130:133], v88 offset0:55 offset1:56
	ds_load_2addr_b64 v[138:141], v88 offset0:57 offset1:58
	ds_load_2addr_b64 v[146:149], v88 offset0:59 offset1:60
	ds_load_2addr_b64 v[154:157], v88 offset0:61 offset1:62
	ds_load_2addr_b64 v[162:165], v88 offset0:63 offset1:64
	ds_load_2addr_b64 v[170:173], v88 offset0:65 offset1:66
	ds_load_2addr_b64 v[178:181], v88 offset0:67 offset1:68
	ds_load_2addr_b64 v[186:189], v88 offset0:69 offset1:70
	ds_load_2addr_b64 v[194:197], v88 offset0:71 offset1:72
	ds_load_2addr_b64 v[202:205], v88 offset0:73 offset1:74
	ds_load_2addr_b64 v[210:213], v88 offset0:75 offset1:76
	s_clause 0x3
	scratch_load_b128 v[226:229], off, off offset:280
	scratch_load_b128 v[230:233], off, off offset:296
	;; [unrolled: 1-line block ×4, first 2 shown]
	s_and_b32 vcc_lo, exec_lo, s18
	s_wait_loadcnt_dscnt 0x1410
	v_dual_mul_f32 v0, v90, v95 :: v_dual_mul_f32 v1, v92, v97
	s_wait_loadcnt_dscnt 0x120e
	v_dual_mul_f32 v243, v218, v223 :: v_dual_mul_f32 v245, v220, v225
	s_delay_alu instid0(VALU_DEP_2) | instskip(NEXT) | instid1(VALU_DEP_2)
	v_dual_mul_f32 v89, v93, v97 :: v_dual_fmac_f32 v0, v91, v94
	v_dual_fmac_f32 v1, v93, v96 :: v_dual_fmac_f32 v243, v219, v222
	s_delay_alu instid0(VALU_DEP_3) | instskip(NEXT) | instid1(VALU_DEP_3)
	v_fmac_f32_e32 v245, v221, v224
	v_fma_f32 v89, v92, v96, -v89
	s_delay_alu instid0(VALU_DEP_4) | instskip(NEXT) | instid1(VALU_DEP_1)
	v_add_f32_e32 v0, 0, v0
	v_dual_add_f32 v0, v0, v1 :: v_dual_mul_f32 v1, v98, v103
	s_delay_alu instid0(VALU_DEP_1) | instskip(NEXT) | instid1(VALU_DEP_1)
	v_fmac_f32_e32 v1, v99, v102
	v_add_f32_e32 v0, v0, v1
	v_mul_f32_e32 v1, v100, v105
	s_delay_alu instid0(VALU_DEP_1) | instskip(SKIP_1) | instid1(VALU_DEP_1)
	v_fmac_f32_e32 v1, v101, v104
	s_wait_loadcnt_dscnt 0x110d
	v_dual_add_f32 v0, v0, v1 :: v_dual_mul_f32 v1, v106, v111
	s_delay_alu instid0(VALU_DEP_1) | instskip(NEXT) | instid1(VALU_DEP_1)
	v_fmac_f32_e32 v1, v107, v110
	v_add_f32_e32 v0, v0, v1
	v_mul_f32_e32 v1, v108, v113
	s_delay_alu instid0(VALU_DEP_1) | instskip(SKIP_1) | instid1(VALU_DEP_1)
	v_fmac_f32_e32 v1, v109, v112
	s_wait_loadcnt_dscnt 0x100c
	;; [unrolled: 8-line block ×14, first 2 shown]
	v_dual_add_f32 v0, v0, v1 :: v_dual_mul_f32 v1, v210, v215
	s_delay_alu instid0(VALU_DEP_1) | instskip(NEXT) | instid1(VALU_DEP_1)
	v_fmac_f32_e32 v1, v211, v214
	v_add_f32_e32 v0, v0, v1
	v_mul_f32_e32 v1, v212, v217
	s_delay_alu instid0(VALU_DEP_1) | instskip(NEXT) | instid1(VALU_DEP_1)
	v_fmac_f32_e32 v1, v213, v216
	v_dual_add_f32 v1, v0, v1 :: v_dual_mul_f32 v0, v91, v95
	s_delay_alu instid0(VALU_DEP_1) | instskip(NEXT) | instid1(VALU_DEP_1)
	v_fma_f32 v0, v90, v94, -v0
	v_add_f32_e32 v0, 0, v0
	s_delay_alu instid0(VALU_DEP_1) | instskip(NEXT) | instid1(VALU_DEP_1)
	v_dual_add_f32 v0, v0, v89 :: v_dual_mul_f32 v89, v99, v103
	v_fma_f32 v89, v98, v102, -v89
	s_delay_alu instid0(VALU_DEP_1) | instskip(SKIP_1) | instid1(VALU_DEP_1)
	v_add_f32_e32 v0, v0, v89
	v_mul_f32_e32 v89, v101, v105
	v_fma_f32 v89, v100, v104, -v89
	ds_load_2addr_b64 v[90:93], v88 offset0:79 offset1:80
	ds_load_2addr_b64 v[94:97], v88 offset0:81 offset1:82
	;; [unrolled: 1-line block ×4, first 2 shown]
	v_dual_add_f32 v0, v0, v89 :: v_dual_mul_f32 v89, v107, v111
	s_delay_alu instid0(VALU_DEP_1) | instskip(NEXT) | instid1(VALU_DEP_1)
	v_fma_f32 v89, v106, v110, -v89
	v_add_f32_e32 v0, v0, v89
	v_mul_f32_e32 v89, v109, v113
	s_delay_alu instid0(VALU_DEP_1) | instskip(NEXT) | instid1(VALU_DEP_1)
	v_fma_f32 v89, v108, v112, -v89
	v_dual_add_f32 v0, v0, v89 :: v_dual_mul_f32 v89, v115, v119
	s_delay_alu instid0(VALU_DEP_1) | instskip(NEXT) | instid1(VALU_DEP_1)
	v_fma_f32 v89, v114, v118, -v89
	v_add_f32_e32 v0, v0, v89
	v_mul_f32_e32 v89, v117, v121
	s_delay_alu instid0(VALU_DEP_1) | instskip(NEXT) | instid1(VALU_DEP_1)
	v_fma_f32 v89, v116, v120, -v89
	;; [unrolled: 7-line block ×14, first 2 shown]
	v_dual_add_f32 v0, v0, v89 :: v_dual_mul_f32 v89, v219, v223
	s_delay_alu instid0(VALU_DEP_1) | instskip(NEXT) | instid1(VALU_DEP_1)
	v_dual_fma_f32 v242, v218, v222, -v89 :: v_dual_mul_f32 v89, v221, v225
	v_fma_f32 v244, v220, v224, -v89
	s_wait_loadcnt_dscnt 0x303
	v_pk_mul_f32 v[88:89], v[90:91], v[226:227] op_sel:[1,1] op_sel_hi:[0,1]
	s_delay_alu instid0(VALU_DEP_1) | instskip(SKIP_2) | instid1(VALU_DEP_2)
	v_pk_fma_f32 v[106:107], v[90:91], v[226:227], v[88:89] neg_lo:[0,0,1] neg_hi:[0,0,1]
	v_pk_fma_f32 v[88:89], v[90:91], v[226:227], v[88:89] op_sel_hi:[1,0,1]
	v_dual_mov_b32 v88, v93 :: v_dual_mov_b32 v90, v229
	v_dual_mov_b32 v107, v89 :: v_dual_mov_b32 v89, v92
	s_delay_alu instid0(VALU_DEP_1) | instskip(NEXT) | instid1(VALU_DEP_1)
	v_pk_mul_f32 v[88:89], v[88:89], v[90:91] op_sel_hi:[1,0]
	v_pk_fma_f32 v[90:91], v[92:93], v[228:229], v[88:89] neg_lo:[0,0,1] neg_hi:[0,0,1]
	v_pk_fma_f32 v[88:89], v[92:93], v[228:229], v[88:89] op_sel_hi:[1,0,1]
	s_delay_alu instid0(VALU_DEP_1) | instskip(SKIP_3) | instid1(VALU_DEP_2)
	v_mov_b32_e32 v91, v89
	v_pk_add_f32 v[0:1], v[0:1], v[242:243]
	s_wait_loadcnt_dscnt 0x202
	v_pk_mul_f32 v[88:89], v[94:95], v[230:231] op_sel:[1,1] op_sel_hi:[0,1]
	v_pk_add_f32 v[0:1], v[0:1], v[244:245]
	s_delay_alu instid0(VALU_DEP_1) | instskip(NEXT) | instid1(VALU_DEP_1)
	v_pk_add_f32 v[0:1], v[0:1], v[106:107]
	v_pk_add_f32 v[0:1], v[0:1], v[90:91]
	s_delay_alu instid0(VALU_DEP_4) | instskip(SKIP_1) | instid1(VALU_DEP_1)
	v_pk_fma_f32 v[90:91], v[94:95], v[230:231], v[88:89] neg_lo:[0,0,1] neg_hi:[0,0,1]
	v_pk_fma_f32 v[88:89], v[94:95], v[230:231], v[88:89] op_sel_hi:[1,0,1]
	v_dual_mov_b32 v88, v97 :: v_dual_mov_b32 v91, v89
	v_mov_b32_e32 v89, v96
	s_delay_alu instid0(VALU_DEP_2) | instskip(SKIP_1) | instid1(VALU_DEP_1)
	v_pk_add_f32 v[0:1], v[0:1], v[90:91]
	v_mov_b32_e32 v90, v233
	v_pk_mul_f32 v[88:89], v[88:89], v[90:91] op_sel_hi:[1,0]
	s_delay_alu instid0(VALU_DEP_1) | instskip(SKIP_1) | instid1(VALU_DEP_1)
	v_pk_fma_f32 v[90:91], v[96:97], v[232:233], v[88:89] neg_lo:[0,0,1] neg_hi:[0,0,1]
	v_pk_fma_f32 v[88:89], v[96:97], v[232:233], v[88:89] op_sel_hi:[1,0,1]
	v_mov_b32_e32 v91, v89
	s_wait_loadcnt_dscnt 0x101
	v_pk_mul_f32 v[88:89], v[98:99], v[234:235] op_sel:[1,1] op_sel_hi:[0,1]
	s_delay_alu instid0(VALU_DEP_2) | instskip(NEXT) | instid1(VALU_DEP_2)
	v_pk_add_f32 v[0:1], v[0:1], v[90:91]
	v_pk_fma_f32 v[90:91], v[98:99], v[234:235], v[88:89] neg_lo:[0,0,1] neg_hi:[0,0,1]
	v_pk_fma_f32 v[88:89], v[98:99], v[234:235], v[88:89] op_sel_hi:[1,0,1]
	s_delay_alu instid0(VALU_DEP_1) | instskip(SKIP_1) | instid1(VALU_DEP_2)
	v_dual_mov_b32 v88, v101 :: v_dual_mov_b32 v91, v89
	v_mov_b32_e32 v89, v100
	v_pk_add_f32 v[0:1], v[0:1], v[90:91]
	v_mov_b32_e32 v90, v237
	s_delay_alu instid0(VALU_DEP_1) | instskip(NEXT) | instid1(VALU_DEP_1)
	v_pk_mul_f32 v[88:89], v[88:89], v[90:91] op_sel_hi:[1,0]
	v_pk_fma_f32 v[90:91], v[100:101], v[236:237], v[88:89] neg_lo:[0,0,1] neg_hi:[0,0,1]
	v_pk_fma_f32 v[88:89], v[100:101], v[236:237], v[88:89] op_sel_hi:[1,0,1]
	s_delay_alu instid0(VALU_DEP_1) | instskip(SKIP_2) | instid1(VALU_DEP_2)
	v_mov_b32_e32 v91, v89
	s_wait_loadcnt_dscnt 0x0
	v_pk_mul_f32 v[88:89], v[102:103], v[238:239] op_sel:[1,1] op_sel_hi:[0,1]
	v_pk_add_f32 v[0:1], v[0:1], v[90:91]
	s_delay_alu instid0(VALU_DEP_2) | instskip(SKIP_1) | instid1(VALU_DEP_1)
	v_pk_fma_f32 v[90:91], v[102:103], v[238:239], v[88:89] neg_lo:[0,0,1] neg_hi:[0,0,1]
	v_pk_fma_f32 v[88:89], v[102:103], v[238:239], v[88:89] op_sel_hi:[1,0,1]
	v_dual_mov_b32 v88, v105 :: v_dual_mov_b32 v91, v89
	v_mov_b32_e32 v89, v104
	s_delay_alu instid0(VALU_DEP_2) | instskip(SKIP_1) | instid1(VALU_DEP_1)
	v_pk_add_f32 v[0:1], v[0:1], v[90:91]
	v_mov_b32_e32 v90, v241
	v_pk_mul_f32 v[88:89], v[88:89], v[90:91] op_sel_hi:[1,0]
	s_delay_alu instid0(VALU_DEP_1) | instskip(SKIP_1) | instid1(VALU_DEP_1)
	v_pk_fma_f32 v[90:91], v[104:105], v[240:241], v[88:89] neg_lo:[0,0,1] neg_hi:[0,0,1]
	v_pk_fma_f32 v[88:89], v[104:105], v[240:241], v[88:89] op_sel_hi:[1,0,1]
	v_mov_b32_e32 v91, v89
	scratch_load_b64 v[88:89], off, off
	v_pk_add_f32 v[0:1], v[0:1], v[90:91]
	s_wait_loadcnt 0x0
	s_delay_alu instid0(VALU_DEP_1)
	v_pk_add_f32 v[0:1], v[88:89], v[0:1] neg_lo:[0,1] neg_hi:[0,1]
	scratch_store_b64 off, v[0:1], off
	s_cbranch_vccz .LBB42_356
; %bb.272:
	s_wait_xcnt 0x0
	v_mov_b32_e32 v0, 0
	global_load_b32 v1, v0, s[2:3] offset:164
	s_wait_loadcnt 0x0
	v_cmp_ne_u32_e32 vcc_lo, 42, v1
	s_cbranch_vccz .LBB42_274
; %bb.273:
	v_lshlrev_b32_e32 v1, 3, v1
	scratch_load_b64 v[88:89], v1, off offset:-8
	scratch_load_b64 v[90:91], off, off offset:328
	s_wait_loadcnt 0x1
	scratch_store_b64 off, v[88:89], off offset:328
	s_wait_loadcnt 0x0
	scratch_store_b64 v1, v[90:91], off offset:-8
.LBB42_274:
	global_load_b32 v0, v0, s[2:3] offset:160
	s_wait_loadcnt 0x0
	v_cmp_eq_u32_e32 vcc_lo, 41, v0
	s_cbranch_vccnz .LBB42_276
; %bb.275:
	s_wait_xcnt 0x0
	v_lshlrev_b32_e32 v0, 3, v0
	s_delay_alu instid0(VALU_DEP_1)
	v_mov_b32_e32 v90, v0
	scratch_load_b64 v[0:1], v90, off offset:-8
	scratch_load_b64 v[88:89], off, off offset:320
	s_wait_loadcnt 0x1
	scratch_store_b64 off, v[0:1], off offset:320
	s_wait_loadcnt 0x0
	scratch_store_b64 v90, v[88:89], off offset:-8
.LBB42_276:
	s_wait_xcnt 0x0
	v_mov_b32_e32 v0, 0
	global_load_b32 v1, v0, s[2:3] offset:156
	s_wait_loadcnt 0x0
	v_cmp_eq_u32_e32 vcc_lo, 40, v1
	s_cbranch_vccnz .LBB42_278
; %bb.277:
	v_lshlrev_b32_e32 v1, 3, v1
	scratch_load_b64 v[88:89], v1, off offset:-8
	scratch_load_b64 v[90:91], off, off offset:312
	s_wait_loadcnt 0x1
	scratch_store_b64 off, v[88:89], off offset:312
	s_wait_loadcnt 0x0
	scratch_store_b64 v1, v[90:91], off offset:-8
.LBB42_278:
	global_load_b32 v0, v0, s[2:3] offset:152
	s_wait_loadcnt 0x0
	v_cmp_eq_u32_e32 vcc_lo, 39, v0
	s_cbranch_vccnz .LBB42_280
; %bb.279:
	s_wait_xcnt 0x0
	v_lshlrev_b32_e32 v0, 3, v0
	s_delay_alu instid0(VALU_DEP_1)
	v_mov_b32_e32 v90, v0
	scratch_load_b64 v[0:1], v90, off offset:-8
	scratch_load_b64 v[88:89], off, off offset:304
	s_wait_loadcnt 0x1
	scratch_store_b64 off, v[0:1], off offset:304
	s_wait_loadcnt 0x0
	scratch_store_b64 v90, v[88:89], off offset:-8
.LBB42_280:
	s_wait_xcnt 0x0
	v_mov_b32_e32 v0, 0
	global_load_b32 v1, v0, s[2:3] offset:148
	s_wait_loadcnt 0x0
	v_cmp_eq_u32_e32 vcc_lo, 38, v1
	s_cbranch_vccnz .LBB42_282
; %bb.281:
	v_lshlrev_b32_e32 v1, 3, v1
	scratch_load_b64 v[88:89], v1, off offset:-8
	scratch_load_b64 v[90:91], off, off offset:296
	s_wait_loadcnt 0x1
	scratch_store_b64 off, v[88:89], off offset:296
	s_wait_loadcnt 0x0
	scratch_store_b64 v1, v[90:91], off offset:-8
.LBB42_282:
	;; [unrolled: 31-line block ×20, first 2 shown]
	global_load_b32 v88, v0, s[2:3]
	scratch_load_b64 v[0:1], off, off
	s_wait_loadcnt 0x1
	v_cmp_eq_u32_e32 vcc_lo, 1, v88
	s_cbranch_vccnz .LBB42_356
; %bb.355:
	v_lshlrev_b32_e32 v88, 3, v88
	s_delay_alu instid0(VALU_DEP_1)
	v_mov_b32_e32 v90, v88
	scratch_load_b64 v[88:89], v90, off offset:-8
	s_wait_loadcnt 0x0
	scratch_store_b64 off, v[88:89], off
	scratch_store_b64 v90, v[0:1], off offset:-8
	scratch_load_b64 v[0:1], off, off
.LBB42_356:
	v_lshl_add_u64 v[88:89], v[2:3], 3, s[4:5]
	v_lshl_add_u64 v[90:91], v[6:7], 3, s[4:5]
	;; [unrolled: 1-line block ×4, first 2 shown]
	s_clause 0x14
	scratch_load_b128 v[84:87], off, off offset:8
	scratch_load_b128 v[92:95], off, off offset:24
	;; [unrolled: 1-line block ×21, first 2 shown]
	v_lshl_add_u64 v[10:11], v[10:11], 3, s[4:5]
	v_lshl_add_u64 v[12:13], v[12:13], 3, s[4:5]
	;; [unrolled: 1-line block ×37, first 2 shown]
	s_wait_loadcnt 0x15
	global_store_b64 v[4:5], v[0:1], off
	s_wait_loadcnt 0x14
	s_clause 0x1
	global_store_b64 v[8:9], v[84:85], off
	global_store_b64 v[88:89], v[86:87], off
	s_wait_loadcnt 0x13
	s_clause 0x1
	global_store_b64 v[90:91], v[92:93], off
	;; [unrolled: 4-line block ×21, first 2 shown]
	global_store_b64 v[6:7], v[170:171], off
	s_sendmsg sendmsg(MSG_DEALLOC_VGPRS)
	s_endpgm
	.section	.rodata,"a",@progbits
	.p2align	6, 0x0
	.amdhsa_kernel _ZN9rocsolver6v33100L18getri_kernel_smallILi43E19rocblas_complex_numIfEPS3_EEvT1_iilPiilS6_bb
		.amdhsa_group_segment_fixed_size 696
		.amdhsa_private_segment_fixed_size 352
		.amdhsa_kernarg_size 60
		.amdhsa_user_sgpr_count 2
		.amdhsa_user_sgpr_dispatch_ptr 0
		.amdhsa_user_sgpr_queue_ptr 0
		.amdhsa_user_sgpr_kernarg_segment_ptr 1
		.amdhsa_user_sgpr_dispatch_id 0
		.amdhsa_user_sgpr_kernarg_preload_length 0
		.amdhsa_user_sgpr_kernarg_preload_offset 0
		.amdhsa_user_sgpr_private_segment_size 0
		.amdhsa_wavefront_size32 1
		.amdhsa_uses_dynamic_stack 0
		.amdhsa_enable_private_segment 1
		.amdhsa_system_sgpr_workgroup_id_x 1
		.amdhsa_system_sgpr_workgroup_id_y 0
		.amdhsa_system_sgpr_workgroup_id_z 0
		.amdhsa_system_sgpr_workgroup_info 0
		.amdhsa_system_vgpr_workitem_id 0
		.amdhsa_next_free_vgpr 262
		.amdhsa_next_free_sgpr 19
		.amdhsa_named_barrier_count 0
		.amdhsa_reserve_vcc 1
		.amdhsa_float_round_mode_32 0
		.amdhsa_float_round_mode_16_64 0
		.amdhsa_float_denorm_mode_32 3
		.amdhsa_float_denorm_mode_16_64 3
		.amdhsa_fp16_overflow 0
		.amdhsa_memory_ordered 1
		.amdhsa_forward_progress 1
		.amdhsa_inst_pref_size 255
		.amdhsa_round_robin_scheduling 0
		.amdhsa_exception_fp_ieee_invalid_op 0
		.amdhsa_exception_fp_denorm_src 0
		.amdhsa_exception_fp_ieee_div_zero 0
		.amdhsa_exception_fp_ieee_overflow 0
		.amdhsa_exception_fp_ieee_underflow 0
		.amdhsa_exception_fp_ieee_inexact 0
		.amdhsa_exception_int_div_zero 0
	.end_amdhsa_kernel
	.section	.text._ZN9rocsolver6v33100L18getri_kernel_smallILi43E19rocblas_complex_numIfEPS3_EEvT1_iilPiilS6_bb,"axG",@progbits,_ZN9rocsolver6v33100L18getri_kernel_smallILi43E19rocblas_complex_numIfEPS3_EEvT1_iilPiilS6_bb,comdat
.Lfunc_end42:
	.size	_ZN9rocsolver6v33100L18getri_kernel_smallILi43E19rocblas_complex_numIfEPS3_EEvT1_iilPiilS6_bb, .Lfunc_end42-_ZN9rocsolver6v33100L18getri_kernel_smallILi43E19rocblas_complex_numIfEPS3_EEvT1_iilPiilS6_bb
                                        ; -- End function
	.set _ZN9rocsolver6v33100L18getri_kernel_smallILi43E19rocblas_complex_numIfEPS3_EEvT1_iilPiilS6_bb.num_vgpr, 262
	.set _ZN9rocsolver6v33100L18getri_kernel_smallILi43E19rocblas_complex_numIfEPS3_EEvT1_iilPiilS6_bb.num_agpr, 0
	.set _ZN9rocsolver6v33100L18getri_kernel_smallILi43E19rocblas_complex_numIfEPS3_EEvT1_iilPiilS6_bb.numbered_sgpr, 19
	.set _ZN9rocsolver6v33100L18getri_kernel_smallILi43E19rocblas_complex_numIfEPS3_EEvT1_iilPiilS6_bb.num_named_barrier, 0
	.set _ZN9rocsolver6v33100L18getri_kernel_smallILi43E19rocblas_complex_numIfEPS3_EEvT1_iilPiilS6_bb.private_seg_size, 352
	.set _ZN9rocsolver6v33100L18getri_kernel_smallILi43E19rocblas_complex_numIfEPS3_EEvT1_iilPiilS6_bb.uses_vcc, 1
	.set _ZN9rocsolver6v33100L18getri_kernel_smallILi43E19rocblas_complex_numIfEPS3_EEvT1_iilPiilS6_bb.uses_flat_scratch, 1
	.set _ZN9rocsolver6v33100L18getri_kernel_smallILi43E19rocblas_complex_numIfEPS3_EEvT1_iilPiilS6_bb.has_dyn_sized_stack, 0
	.set _ZN9rocsolver6v33100L18getri_kernel_smallILi43E19rocblas_complex_numIfEPS3_EEvT1_iilPiilS6_bb.has_recursion, 0
	.set _ZN9rocsolver6v33100L18getri_kernel_smallILi43E19rocblas_complex_numIfEPS3_EEvT1_iilPiilS6_bb.has_indirect_call, 0
	.section	.AMDGPU.csdata,"",@progbits
; Kernel info:
; codeLenInByte = 71124
; TotalNumSgprs: 21
; NumVgprs: 262
; ScratchSize: 352
; MemoryBound: 0
; FloatMode: 240
; IeeeMode: 1
; LDSByteSize: 696 bytes/workgroup (compile time only)
; SGPRBlocks: 0
; VGPRBlocks: 16
; NumSGPRsForWavesPerEU: 21
; NumVGPRsForWavesPerEU: 262
; NamedBarCnt: 0
; Occupancy: 3
; WaveLimiterHint : 1
; COMPUTE_PGM_RSRC2:SCRATCH_EN: 1
; COMPUTE_PGM_RSRC2:USER_SGPR: 2
; COMPUTE_PGM_RSRC2:TRAP_HANDLER: 0
; COMPUTE_PGM_RSRC2:TGID_X_EN: 1
; COMPUTE_PGM_RSRC2:TGID_Y_EN: 0
; COMPUTE_PGM_RSRC2:TGID_Z_EN: 0
; COMPUTE_PGM_RSRC2:TIDIG_COMP_CNT: 0
	.section	.text._ZN9rocsolver6v33100L18getri_kernel_smallILi44E19rocblas_complex_numIfEPS3_EEvT1_iilPiilS6_bb,"axG",@progbits,_ZN9rocsolver6v33100L18getri_kernel_smallILi44E19rocblas_complex_numIfEPS3_EEvT1_iilPiilS6_bb,comdat
	.globl	_ZN9rocsolver6v33100L18getri_kernel_smallILi44E19rocblas_complex_numIfEPS3_EEvT1_iilPiilS6_bb ; -- Begin function _ZN9rocsolver6v33100L18getri_kernel_smallILi44E19rocblas_complex_numIfEPS3_EEvT1_iilPiilS6_bb
	.p2align	8
	.type	_ZN9rocsolver6v33100L18getri_kernel_smallILi44E19rocblas_complex_numIfEPS3_EEvT1_iilPiilS6_bb,@function
_ZN9rocsolver6v33100L18getri_kernel_smallILi44E19rocblas_complex_numIfEPS3_EEvT1_iilPiilS6_bb: ; @_ZN9rocsolver6v33100L18getri_kernel_smallILi44E19rocblas_complex_numIfEPS3_EEvT1_iilPiilS6_bb
; %bb.0:
	s_mov_b32 s2, exec_lo
	v_cmpx_gt_u32_e32 44, v0
	s_cbranch_execz .LBB43_190
; %bb.1:
	s_clause 0x2
	s_load_b32 s2, s[0:1], 0x38
	s_load_b128 s[12:15], s[0:1], 0x10
	s_load_b128 s[4:7], s[0:1], 0x28
	s_getreg_b32 s9, hwreg(HW_REG_IB_STS2, 6, 4)
	s_wait_kmcnt 0x0
	s_bitcmp1_b32 s2, 8
	s_cselect_b32 s18, -1, 0
	s_bfe_u32 s3, ttmp6, 0x4000c
	s_and_b32 s8, ttmp6, 15
	s_add_co_i32 s3, s3, 1
	s_delay_alu instid0(SALU_CYCLE_1) | instskip(NEXT) | instid1(SALU_CYCLE_1)
	s_mul_i32 s3, ttmp9, s3
	s_add_co_i32 s8, s8, s3
	s_cmp_eq_u32 s9, 0
	s_cselect_b32 s16, ttmp9, s8
	s_bfe_u32 s2, s2, 0x10008
	s_ashr_i32 s17, s16, 31
	s_cmp_eq_u32 s2, 0
                                        ; implicit-def: $sgpr2_sgpr3
	s_cbranch_scc1 .LBB43_3
; %bb.2:
	s_load_b32 s2, s[0:1], 0x20
	s_mul_u64 s[4:5], s[4:5], s[16:17]
	s_delay_alu instid0(SALU_CYCLE_1) | instskip(NEXT) | instid1(SALU_CYCLE_1)
	s_lshl_b64 s[4:5], s[4:5], 2
	s_add_nc_u64 s[4:5], s[14:15], s[4:5]
	s_wait_kmcnt 0x0
	s_ashr_i32 s3, s2, 31
	s_delay_alu instid0(SALU_CYCLE_1) | instskip(NEXT) | instid1(SALU_CYCLE_1)
	s_lshl_b64 s[2:3], s[2:3], 2
	s_add_nc_u64 s[2:3], s[4:5], s[2:3]
.LBB43_3:
	s_clause 0x1
	s_load_b128 s[8:11], s[0:1], 0x0
	s_load_b32 s14, s[0:1], 0x38
	s_wait_xcnt 0x0
	s_mul_u64 s[0:1], s[12:13], s[16:17]
	v_lshlrev_b32_e32 v90, 3, v0
	s_lshl_b64 s[0:1], s[0:1], 3
	s_wait_kmcnt 0x0
	v_add3_u32 v4, s11, s11, v0
	s_ashr_i32 s5, s10, 31
	s_mov_b32 s4, s10
	s_add_nc_u64 s[0:1], s[8:9], s[0:1]
	s_lshl_b64 s[4:5], s[4:5], 3
	v_add_nc_u32_e32 v6, s11, v4
	s_add_nc_u64 s[4:5], s[0:1], s[4:5]
	s_ashr_i32 s1, s11, 31
	s_mov_b32 s0, s11
	s_bitcmp0_b32 s14, 0
	v_add_nc_u32_e32 v10, s11, v6
	s_delay_alu instid0(VALU_DEP_1) | instskip(NEXT) | instid1(VALU_DEP_1)
	v_add_nc_u32_e32 v12, s11, v10
	v_add_nc_u32_e32 v14, s11, v12
	s_delay_alu instid0(VALU_DEP_1) | instskip(NEXT) | instid1(VALU_DEP_1)
	v_add_nc_u32_e32 v16, s11, v14
	;; [unrolled: 3-line block ×12, first 2 shown]
	v_add_nc_u32_e32 v58, s11, v56
	s_delay_alu instid0(VALU_DEP_1) | instskip(NEXT) | instid1(VALU_DEP_1)
	v_dual_mov_b32 v91, 0 :: v_dual_add_nc_u32 v60, s11, v58
	v_add_nc_u32_e32 v62, s11, v60
	s_delay_alu instid0(VALU_DEP_2) | instskip(NEXT) | instid1(VALU_DEP_2)
	v_add_nc_u64_e32 v[2:3], s[4:5], v[90:91]
	v_add_nc_u32_e32 v64, s11, v62
	s_delay_alu instid0(VALU_DEP_2) | instskip(SKIP_1) | instid1(VALU_DEP_2)
	v_lshl_add_u64 v[8:9], s[0:1], 3, v[2:3]
	s_mov_b32 s1, -1
	v_add_nc_u32_e32 v66, s11, v64
	s_clause 0x9
	global_load_b64 v[92:93], v0, s[4:5] scale_offset
	global_load_b64 v[94:95], v[8:9], off
	global_load_b64 v[96:97], v4, s[4:5] scale_offset
	global_load_b64 v[98:99], v6, s[4:5] scale_offset
	;; [unrolled: 1-line block ×8, first 2 shown]
	v_add_nc_u32_e32 v68, s11, v66
	s_clause 0xf
	global_load_b64 v[112:113], v22, s[4:5] scale_offset
	global_load_b64 v[114:115], v24, s[4:5] scale_offset
	;; [unrolled: 1-line block ×16, first 2 shown]
	v_add_nc_u32_e32 v70, s11, v68
	s_clause 0x3
	global_load_b64 v[144:145], v54, s[4:5] scale_offset
	global_load_b64 v[146:147], v56, s[4:5] scale_offset
	;; [unrolled: 1-line block ×4, first 2 shown]
	v_add_nc_u32_e32 v72, s11, v70
	s_delay_alu instid0(VALU_DEP_1)
	v_add_nc_u32_e32 v74, s11, v72
	s_clause 0x3
	global_load_b64 v[152:153], v62, s[4:5] scale_offset
	global_load_b64 v[154:155], v64, s[4:5] scale_offset
	;; [unrolled: 1-line block ×4, first 2 shown]
	v_add_nc_u32_e32 v76, s11, v74
	s_delay_alu instid0(VALU_DEP_1) | instskip(NEXT) | instid1(VALU_DEP_1)
	v_add_nc_u32_e32 v78, s11, v76
	v_add_nc_u32_e32 v80, s11, v78
	s_delay_alu instid0(VALU_DEP_1)
	v_add_nc_u32_e32 v82, s11, v80
	s_clause 0x3
	global_load_b64 v[160:161], v70, s[4:5] scale_offset
	global_load_b64 v[162:163], v72, s[4:5] scale_offset
	;; [unrolled: 1-line block ×4, first 2 shown]
	v_add_nc_u32_e32 v84, s11, v82
	s_delay_alu instid0(VALU_DEP_1) | instskip(NEXT) | instid1(VALU_DEP_1)
	v_add_nc_u32_e32 v86, s11, v84
	v_add_nc_u32_e32 v88, s11, v86
	s_clause 0x5
	global_load_b64 v[168:169], v78, s[4:5] scale_offset
	global_load_b64 v[170:171], v80, s[4:5] scale_offset
	;; [unrolled: 1-line block ×6, first 2 shown]
	s_wait_loadcnt 0x2a
	scratch_store_b128 off, v[92:95], off
	s_wait_loadcnt 0x28
	scratch_store_b128 off, v[96:99], off offset:16
	s_wait_loadcnt 0x26
	scratch_store_b128 off, v[100:103], off offset:32
	s_wait_loadcnt 0x24
	scratch_store_b128 off, v[104:107], off offset:48
	s_wait_loadcnt 0x22
	scratch_store_b128 off, v[108:111], off offset:64
	s_wait_loadcnt 0x20
	scratch_store_b128 off, v[112:115], off offset:80
	s_wait_loadcnt 0x1e
	scratch_store_b128 off, v[116:119], off offset:96
	s_wait_loadcnt 0x1c
	scratch_store_b128 off, v[120:123], off offset:112
	s_wait_loadcnt 0x1a
	scratch_store_b128 off, v[124:127], off offset:128
	s_wait_loadcnt 0x18
	scratch_store_b128 off, v[128:131], off offset:144
	s_wait_loadcnt 0x16
	scratch_store_b128 off, v[132:135], off offset:160
	s_wait_loadcnt 0x14
	scratch_store_b128 off, v[136:139], off offset:176
	s_wait_loadcnt 0x12
	scratch_store_b128 off, v[140:143], off offset:192
	s_wait_loadcnt 0x10
	scratch_store_b128 off, v[144:147], off offset:208
	s_wait_loadcnt 0xe
	scratch_store_b128 off, v[148:151], off offset:224
	s_wait_loadcnt 0xc
	scratch_store_b128 off, v[152:155], off offset:240
	s_wait_loadcnt 0xa
	scratch_store_b128 off, v[156:159], off offset:256
	s_wait_loadcnt 0x8
	scratch_store_b128 off, v[160:163], off offset:272
	s_wait_loadcnt 0x6
	scratch_store_b128 off, v[164:167], off offset:288
	s_wait_loadcnt 0x4
	scratch_store_b128 off, v[168:171], off offset:304
	s_wait_loadcnt 0x2
	scratch_store_b128 off, v[172:175], off offset:320
	s_wait_loadcnt 0x0
	scratch_store_b128 off, v[176:179], off offset:336
	s_cbranch_scc1 .LBB43_188
; %bb.4:
	v_cmp_eq_u32_e64 s0, 0, v0
	s_wait_xcnt 0x0
	s_and_saveexec_b32 s1, s0
; %bb.5:
	v_mov_b32_e32 v1, 0
	ds_store_b32 v1, v1 offset:704
; %bb.6:
	s_or_b32 exec_lo, exec_lo, s1
	s_wait_storecnt_dscnt 0x0
	s_barrier_signal -1
	s_barrier_wait -1
	scratch_load_b64 v[92:93], v0, off scale_offset
	s_wait_loadcnt 0x0
	v_cmp_eq_f32_e32 vcc_lo, 0, v92
	v_cmp_eq_f32_e64 s1, 0, v93
	s_and_b32 s1, vcc_lo, s1
	s_delay_alu instid0(SALU_CYCLE_1)
	s_and_saveexec_b32 s8, s1
	s_cbranch_execz .LBB43_10
; %bb.7:
	v_mov_b32_e32 v1, 0
	s_mov_b32 s9, 0
	ds_load_b32 v5, v1 offset:704
	s_wait_dscnt 0x0
	v_readfirstlane_b32 s1, v5
	v_add_nc_u32_e32 v5, 1, v0
	s_cmp_eq_u32 s1, 0
	s_delay_alu instid0(VALU_DEP_1) | instskip(SKIP_1) | instid1(SALU_CYCLE_1)
	v_cmp_gt_i32_e32 vcc_lo, s1, v5
	s_cselect_b32 s10, -1, 0
	s_or_b32 s10, s10, vcc_lo
	s_delay_alu instid0(SALU_CYCLE_1)
	s_and_b32 exec_lo, exec_lo, s10
	s_cbranch_execz .LBB43_10
; %bb.8:
	v_mov_b32_e32 v7, s1
.LBB43_9:                               ; =>This Inner Loop Header: Depth=1
	ds_cmpstore_rtn_b32 v7, v1, v5, v7 offset:704
	s_wait_dscnt 0x0
	v_cmp_ne_u32_e32 vcc_lo, 0, v7
	v_cmp_le_i32_e64 s1, v7, v5
	s_and_b32 s1, vcc_lo, s1
	s_delay_alu instid0(SALU_CYCLE_1) | instskip(NEXT) | instid1(SALU_CYCLE_1)
	s_and_b32 s1, exec_lo, s1
	s_or_b32 s9, s1, s9
	s_delay_alu instid0(SALU_CYCLE_1)
	s_and_not1_b32 exec_lo, exec_lo, s9
	s_cbranch_execnz .LBB43_9
.LBB43_10:
	s_or_b32 exec_lo, exec_lo, s8
	v_mov_b32_e32 v1, 0
	s_barrier_signal -1
	s_barrier_wait -1
	ds_load_b32 v5, v1 offset:704
	s_and_saveexec_b32 s1, s0
	s_cbranch_execz .LBB43_12
; %bb.11:
	s_lshl_b64 s[8:9], s[16:17], 2
	s_delay_alu instid0(SALU_CYCLE_1)
	s_add_nc_u64 s[8:9], s[6:7], s[8:9]
	s_wait_dscnt 0x0
	global_store_b32 v1, v5, s[8:9]
.LBB43_12:
	s_wait_xcnt 0x0
	s_or_b32 exec_lo, exec_lo, s1
	s_wait_dscnt 0x0
	v_cmp_ne_u32_e32 vcc_lo, 0, v5
	s_mov_b32 s1, 0
	s_cbranch_vccnz .LBB43_188
; %bb.13:
	v_lshl_add_u32 v5, v0, 3, 0
                                        ; implicit-def: $vgpr95
                                        ; implicit-def: $vgpr96
	scratch_load_b64 v[92:93], v5, off
	s_wait_loadcnt 0x0
	v_cmp_ngt_f32_e64 s1, |v92|, |v93|
	s_wait_xcnt 0x0
	s_and_saveexec_b32 s8, s1
	s_delay_alu instid0(SALU_CYCLE_1)
	s_xor_b32 s1, exec_lo, s8
	s_cbranch_execz .LBB43_15
; %bb.14:
	v_div_scale_f32 v1, null, v93, v93, v92
	v_div_scale_f32 v13, vcc_lo, v92, v93, v92
	s_delay_alu instid0(VALU_DEP_2) | instskip(SKIP_1) | instid1(TRANS32_DEP_1)
	v_rcp_f32_e32 v7, v1
	v_nop
	v_fma_f32 v11, -v1, v7, 1.0
	s_delay_alu instid0(VALU_DEP_1) | instskip(NEXT) | instid1(VALU_DEP_1)
	v_fmac_f32_e32 v7, v11, v7
	v_mul_f32_e32 v11, v13, v7
	s_delay_alu instid0(VALU_DEP_1) | instskip(NEXT) | instid1(VALU_DEP_1)
	v_fma_f32 v15, -v1, v11, v13
	v_fmac_f32_e32 v11, v15, v7
	s_delay_alu instid0(VALU_DEP_1) | instskip(NEXT) | instid1(VALU_DEP_1)
	v_fma_f32 v1, -v1, v11, v13
	v_div_fmas_f32 v1, v1, v7, v11
	s_delay_alu instid0(VALU_DEP_1) | instskip(NEXT) | instid1(VALU_DEP_1)
	v_div_fixup_f32 v1, v1, v93, v92
	v_fmac_f32_e32 v93, v92, v1
	s_delay_alu instid0(VALU_DEP_1) | instskip(NEXT) | instid1(VALU_DEP_1)
	v_div_scale_f32 v7, null, v93, v93, -1.0
	v_rcp_f32_e32 v11, v7
	v_nop
	s_delay_alu instid0(TRANS32_DEP_1) | instskip(NEXT) | instid1(VALU_DEP_1)
	v_fma_f32 v13, -v7, v11, 1.0
	v_fmac_f32_e32 v11, v13, v11
	v_div_scale_f32 v13, vcc_lo, -1.0, v93, -1.0
	s_delay_alu instid0(VALU_DEP_1) | instskip(NEXT) | instid1(VALU_DEP_1)
	v_mul_f32_e32 v15, v13, v11
	v_fma_f32 v17, -v7, v15, v13
	s_delay_alu instid0(VALU_DEP_1) | instskip(NEXT) | instid1(VALU_DEP_1)
	v_fmac_f32_e32 v15, v17, v11
	v_fma_f32 v7, -v7, v15, v13
	s_delay_alu instid0(VALU_DEP_1) | instskip(NEXT) | instid1(VALU_DEP_1)
	v_div_fmas_f32 v7, v7, v11, v15
	v_div_fixup_f32 v95, v7, v93, -1.0
                                        ; implicit-def: $vgpr92_vgpr93
	s_delay_alu instid0(VALU_DEP_1) | instskip(NEXT) | instid1(VALU_DEP_1)
	v_mul_f32_e32 v96, v1, v95
	v_xor_b32_e32 v94, 0x80000000, v96
.LBB43_15:
	s_and_not1_saveexec_b32 s1, s1
	s_cbranch_execz .LBB43_17
; %bb.16:
	v_div_scale_f32 v1, null, v92, v92, v93
	v_div_scale_f32 v13, vcc_lo, v93, v92, v93
	s_delay_alu instid0(VALU_DEP_2) | instskip(SKIP_1) | instid1(TRANS32_DEP_1)
	v_rcp_f32_e32 v7, v1
	v_nop
	v_fma_f32 v11, -v1, v7, 1.0
	s_delay_alu instid0(VALU_DEP_1) | instskip(NEXT) | instid1(VALU_DEP_1)
	v_fmac_f32_e32 v7, v11, v7
	v_mul_f32_e32 v11, v13, v7
	s_delay_alu instid0(VALU_DEP_1) | instskip(NEXT) | instid1(VALU_DEP_1)
	v_fma_f32 v15, -v1, v11, v13
	v_fmac_f32_e32 v11, v15, v7
	s_delay_alu instid0(VALU_DEP_1) | instskip(NEXT) | instid1(VALU_DEP_1)
	v_fma_f32 v1, -v1, v11, v13
	v_div_fmas_f32 v1, v1, v7, v11
	s_delay_alu instid0(VALU_DEP_1) | instskip(NEXT) | instid1(VALU_DEP_1)
	v_div_fixup_f32 v1, v1, v92, v93
	v_fmac_f32_e32 v92, v93, v1
	s_delay_alu instid0(VALU_DEP_1) | instskip(SKIP_1) | instid1(VALU_DEP_2)
	v_div_scale_f32 v7, null, v92, v92, 1.0
	v_div_scale_f32 v15, vcc_lo, 1.0, v92, 1.0
	v_rcp_f32_e32 v11, v7
	v_nop
	s_delay_alu instid0(TRANS32_DEP_1) | instskip(NEXT) | instid1(VALU_DEP_1)
	v_fma_f32 v13, -v7, v11, 1.0
	v_fmac_f32_e32 v11, v13, v11
	s_delay_alu instid0(VALU_DEP_1) | instskip(NEXT) | instid1(VALU_DEP_1)
	v_mul_f32_e32 v13, v15, v11
	v_fma_f32 v17, -v7, v13, v15
	s_delay_alu instid0(VALU_DEP_1) | instskip(NEXT) | instid1(VALU_DEP_1)
	v_fmac_f32_e32 v13, v17, v11
	v_fma_f32 v7, -v7, v13, v15
	s_delay_alu instid0(VALU_DEP_1) | instskip(NEXT) | instid1(VALU_DEP_1)
	v_div_fmas_f32 v7, v7, v11, v13
	v_div_fixup_f32 v94, v7, v92, 1.0
	s_delay_alu instid0(VALU_DEP_1)
	v_xor_b32_e32 v96, 0x80000000, v94
	v_mul_f32_e64 v95, v1, -v94
.LBB43_17:
	s_or_b32 exec_lo, exec_lo, s1
	scratch_store_b64 v5, v[94:95], off
	scratch_load_b64 v[92:93], off, off offset:8
	v_xor_b32_e32 v97, 0x80000000, v95
	v_add_nc_u32_e32 v1, 0x160, v90
	s_wait_loadcnt 0x0
	ds_store_2addr_b64 v90, v[96:97], v[92:93] offset1:44
	s_wait_storecnt_dscnt 0x0
	s_barrier_signal -1
	s_barrier_wait -1
	s_wait_xcnt 0x0
	s_and_saveexec_b32 s1, s0
	s_cbranch_execz .LBB43_19
; %bb.18:
	scratch_load_b64 v[92:93], v5, off
	ds_load_b64 v[94:95], v1
	s_wait_loadcnt_dscnt 0x0
	v_pk_mul_f32 v[98:99], v[94:95], v[92:93] op_sel:[1,1] op_sel_hi:[0,1]
	s_delay_alu instid0(VALU_DEP_1) | instskip(SKIP_2) | instid1(VALU_DEP_3)
	v_pk_fma_f32 v[100:101], v[94:95], v[92:93], v[98:99] op_sel_hi:[1,0,1]
	v_mov_b32_e32 v7, 0
	v_pk_fma_f32 v[92:93], v[94:95], v[92:93], v[98:99] neg_lo:[0,0,1] neg_hi:[0,0,1]
	v_mov_b32_e32 v93, v101
	ds_load_b64 v[96:97], v7 offset:8
	v_pk_add_f32 v[92:93], v[92:93], 0 op_sel_hi:[1,0]
	s_wait_dscnt 0x0
	s_delay_alu instid0(VALU_DEP_1) | instskip(NEXT) | instid1(VALU_DEP_1)
	v_pk_mul_f32 v[94:95], v[92:93], v[96:97] op_sel:[1,1] op_sel_hi:[0,1]
	v_pk_fma_f32 v[98:99], v[92:93], v[96:97], v[94:95] op_sel_hi:[1,0,1]
	v_pk_fma_f32 v[92:93], v[92:93], v[96:97], v[94:95] neg_lo:[0,0,1] neg_hi:[0,0,1]
	s_delay_alu instid0(VALU_DEP_2)
	v_mov_b32_e32 v93, v99
	scratch_store_b64 off, v[92:93], off offset:8
.LBB43_19:
	s_wait_xcnt 0x0
	s_or_b32 exec_lo, exec_lo, s1
	s_wait_storecnt 0x0
	s_barrier_signal -1
	s_barrier_wait -1
	scratch_load_b64 v[92:93], off, off offset:16
	s_mov_b32 s1, exec_lo
	s_wait_loadcnt 0x0
	ds_store_b64 v1, v[92:93]
	s_wait_dscnt 0x0
	s_barrier_signal -1
	s_barrier_wait -1
	v_cmpx_gt_u32_e32 2, v0
	s_cbranch_execz .LBB43_23
; %bb.20:
	scratch_load_b64 v[92:93], v5, off
	ds_load_b64 v[94:95], v1
	s_wait_loadcnt_dscnt 0x0
	v_pk_mul_f32 v[96:97], v[94:95], v[92:93] op_sel:[1,1] op_sel_hi:[0,1]
	s_delay_alu instid0(VALU_DEP_1) | instskip(SKIP_1) | instid1(VALU_DEP_2)
	v_pk_fma_f32 v[98:99], v[94:95], v[92:93], v[96:97] op_sel_hi:[1,0,1]
	v_pk_fma_f32 v[92:93], v[94:95], v[92:93], v[96:97] neg_lo:[0,0,1] neg_hi:[0,0,1]
	v_mov_b32_e32 v93, v99
	s_delay_alu instid0(VALU_DEP_1)
	v_pk_add_f32 v[92:93], v[92:93], 0 op_sel_hi:[1,0]
	s_and_saveexec_b32 s8, s0
	s_cbranch_execz .LBB43_22
; %bb.21:
	scratch_load_b64 v[94:95], off, off offset:8
	v_mov_b32_e32 v5, 0
	ds_load_b64 v[96:97], v5 offset:360
	s_wait_loadcnt_dscnt 0x0
	v_pk_mul_f32 v[98:99], v[96:97], v[94:95] op_sel:[1,1] op_sel_hi:[0,1]
	s_delay_alu instid0(VALU_DEP_1) | instskip(SKIP_1) | instid1(VALU_DEP_2)
	v_pk_fma_f32 v[100:101], v[96:97], v[94:95], v[98:99] op_sel_hi:[1,0,1]
	v_pk_fma_f32 v[94:95], v[96:97], v[94:95], v[98:99] neg_lo:[0,0,1] neg_hi:[0,0,1]
	v_mov_b32_e32 v95, v101
	s_delay_alu instid0(VALU_DEP_1)
	v_pk_add_f32 v[92:93], v[92:93], v[94:95]
.LBB43_22:
	s_or_b32 exec_lo, exec_lo, s8
	v_mov_b32_e32 v5, 0
	ds_load_b64 v[94:95], v5 offset:16
	s_wait_dscnt 0x0
	v_pk_mul_f32 v[96:97], v[92:93], v[94:95] op_sel:[1,1] op_sel_hi:[0,1]
	s_delay_alu instid0(VALU_DEP_1) | instskip(SKIP_1) | instid1(VALU_DEP_2)
	v_pk_fma_f32 v[98:99], v[92:93], v[94:95], v[96:97] op_sel_hi:[1,0,1]
	v_pk_fma_f32 v[92:93], v[92:93], v[94:95], v[96:97] neg_lo:[0,0,1] neg_hi:[0,0,1]
	v_mov_b32_e32 v93, v99
	scratch_store_b64 off, v[92:93], off offset:16
.LBB43_23:
	s_wait_xcnt 0x0
	s_or_b32 exec_lo, exec_lo, s1
	s_wait_storecnt 0x0
	s_barrier_signal -1
	s_barrier_wait -1
	scratch_load_b64 v[92:93], off, off offset:24
	v_add_nc_u32_e32 v5, -1, v0
	s_mov_b32 s0, exec_lo
	s_wait_loadcnt 0x0
	ds_store_b64 v1, v[92:93]
	s_wait_dscnt 0x0
	s_barrier_signal -1
	s_barrier_wait -1
	v_cmpx_gt_u32_e32 3, v0
	s_cbranch_execz .LBB43_27
; %bb.24:
	v_dual_mov_b32 v92, 0 :: v_dual_add_nc_u32 v7, -1, v0
	v_add_nc_u32_e32 v11, 0x160, v90
	v_mov_b32_e32 v13, v90
	s_mov_b32 s1, 0
	s_delay_alu instid0(VALU_DEP_3)
	v_mov_b32_e32 v93, v92
.LBB43_25:                              ; =>This Inner Loop Header: Depth=1
	scratch_load_b64 v[94:95], v13, off
	ds_load_b64 v[96:97], v11
	s_wait_xcnt 0x0
	v_dual_add_nc_u32 v11, 8, v11 :: v_dual_add_nc_u32 v13, 8, v13
	s_wait_loadcnt_dscnt 0x0
	v_pk_mul_f32 v[98:99], v[96:97], v[94:95] op_sel:[1,1] op_sel_hi:[0,1]
	s_delay_alu instid0(VALU_DEP_1) | instskip(SKIP_2) | instid1(VALU_DEP_3)
	v_pk_fma_f32 v[100:101], v[96:97], v[94:95], v[98:99] op_sel_hi:[1,0,1]
	v_add_nc_u32_e32 v7, 1, v7
	v_pk_fma_f32 v[94:95], v[96:97], v[94:95], v[98:99] neg_lo:[0,0,1] neg_hi:[0,0,1]
	v_mov_b32_e32 v95, v101
	s_delay_alu instid0(VALU_DEP_3) | instskip(NEXT) | instid1(VALU_DEP_2)
	v_cmp_lt_u32_e32 vcc_lo, 1, v7
	v_pk_add_f32 v[92:93], v[92:93], v[94:95]
	s_or_b32 s1, vcc_lo, s1
	s_delay_alu instid0(SALU_CYCLE_1)
	s_and_not1_b32 exec_lo, exec_lo, s1
	s_cbranch_execnz .LBB43_25
; %bb.26:
	s_or_b32 exec_lo, exec_lo, s1
	v_mov_b32_e32 v7, 0
	ds_load_b64 v[94:95], v7 offset:24
	s_wait_dscnt 0x0
	v_pk_mul_f32 v[96:97], v[92:93], v[94:95] op_sel:[1,1] op_sel_hi:[0,1]
	s_delay_alu instid0(VALU_DEP_1) | instskip(SKIP_1) | instid1(VALU_DEP_2)
	v_pk_fma_f32 v[98:99], v[92:93], v[94:95], v[96:97] op_sel_hi:[1,0,1]
	v_pk_fma_f32 v[92:93], v[92:93], v[94:95], v[96:97] neg_lo:[0,0,1] neg_hi:[0,0,1]
	v_mov_b32_e32 v93, v99
	scratch_store_b64 off, v[92:93], off offset:24
.LBB43_27:
	s_wait_xcnt 0x0
	s_or_b32 exec_lo, exec_lo, s0
	s_wait_storecnt 0x0
	s_barrier_signal -1
	s_barrier_wait -1
	scratch_load_b64 v[92:93], off, off offset:32
	s_mov_b32 s0, exec_lo
	s_wait_loadcnt 0x0
	ds_store_b64 v1, v[92:93]
	s_wait_dscnt 0x0
	s_barrier_signal -1
	s_barrier_wait -1
	v_cmpx_gt_u32_e32 4, v0
	s_cbranch_execz .LBB43_31
; %bb.28:
	v_dual_mov_b32 v92, 0 :: v_dual_add_nc_u32 v7, -1, v0
	v_add_nc_u32_e32 v11, 0x160, v90
	v_mov_b32_e32 v13, v90
	s_mov_b32 s1, 0
	s_delay_alu instid0(VALU_DEP_3)
	v_mov_b32_e32 v93, v92
.LBB43_29:                              ; =>This Inner Loop Header: Depth=1
	scratch_load_b64 v[94:95], v13, off
	ds_load_b64 v[96:97], v11
	s_wait_xcnt 0x0
	v_dual_add_nc_u32 v11, 8, v11 :: v_dual_add_nc_u32 v13, 8, v13
	s_wait_loadcnt_dscnt 0x0
	v_pk_mul_f32 v[98:99], v[96:97], v[94:95] op_sel:[1,1] op_sel_hi:[0,1]
	s_delay_alu instid0(VALU_DEP_1) | instskip(SKIP_2) | instid1(VALU_DEP_3)
	v_pk_fma_f32 v[100:101], v[96:97], v[94:95], v[98:99] op_sel_hi:[1,0,1]
	v_add_nc_u32_e32 v7, 1, v7
	v_pk_fma_f32 v[94:95], v[96:97], v[94:95], v[98:99] neg_lo:[0,0,1] neg_hi:[0,0,1]
	v_mov_b32_e32 v95, v101
	s_delay_alu instid0(VALU_DEP_3) | instskip(NEXT) | instid1(VALU_DEP_2)
	v_cmp_lt_u32_e32 vcc_lo, 2, v7
	v_pk_add_f32 v[92:93], v[92:93], v[94:95]
	s_or_b32 s1, vcc_lo, s1
	s_delay_alu instid0(SALU_CYCLE_1)
	s_and_not1_b32 exec_lo, exec_lo, s1
	s_cbranch_execnz .LBB43_29
; %bb.30:
	s_or_b32 exec_lo, exec_lo, s1
	v_mov_b32_e32 v7, 0
	ds_load_b64 v[94:95], v7 offset:32
	s_wait_dscnt 0x0
	v_pk_mul_f32 v[96:97], v[92:93], v[94:95] op_sel:[1,1] op_sel_hi:[0,1]
	s_delay_alu instid0(VALU_DEP_1) | instskip(SKIP_1) | instid1(VALU_DEP_2)
	v_pk_fma_f32 v[98:99], v[92:93], v[94:95], v[96:97] op_sel_hi:[1,0,1]
	v_pk_fma_f32 v[92:93], v[92:93], v[94:95], v[96:97] neg_lo:[0,0,1] neg_hi:[0,0,1]
	v_mov_b32_e32 v93, v99
	scratch_store_b64 off, v[92:93], off offset:32
.LBB43_31:
	s_wait_xcnt 0x0
	s_or_b32 exec_lo, exec_lo, s0
	s_wait_storecnt 0x0
	s_barrier_signal -1
	s_barrier_wait -1
	scratch_load_b64 v[92:93], off, off offset:40
	s_mov_b32 s0, exec_lo
	s_wait_loadcnt 0x0
	ds_store_b64 v1, v[92:93]
	s_wait_dscnt 0x0
	s_barrier_signal -1
	s_barrier_wait -1
	v_cmpx_gt_u32_e32 5, v0
	s_cbranch_execz .LBB43_35
; %bb.32:
	v_dual_mov_b32 v92, 0 :: v_dual_add_nc_u32 v7, -1, v0
	v_add_nc_u32_e32 v11, 0x160, v90
	v_mov_b32_e32 v13, v90
	s_mov_b32 s1, 0
	s_delay_alu instid0(VALU_DEP_3)
	v_mov_b32_e32 v93, v92
.LBB43_33:                              ; =>This Inner Loop Header: Depth=1
	scratch_load_b64 v[94:95], v13, off
	ds_load_b64 v[96:97], v11
	s_wait_xcnt 0x0
	v_dual_add_nc_u32 v11, 8, v11 :: v_dual_add_nc_u32 v13, 8, v13
	s_wait_loadcnt_dscnt 0x0
	v_pk_mul_f32 v[98:99], v[96:97], v[94:95] op_sel:[1,1] op_sel_hi:[0,1]
	s_delay_alu instid0(VALU_DEP_1) | instskip(SKIP_2) | instid1(VALU_DEP_3)
	v_pk_fma_f32 v[100:101], v[96:97], v[94:95], v[98:99] op_sel_hi:[1,0,1]
	v_add_nc_u32_e32 v7, 1, v7
	v_pk_fma_f32 v[94:95], v[96:97], v[94:95], v[98:99] neg_lo:[0,0,1] neg_hi:[0,0,1]
	v_mov_b32_e32 v95, v101
	s_delay_alu instid0(VALU_DEP_3) | instskip(NEXT) | instid1(VALU_DEP_2)
	v_cmp_lt_u32_e32 vcc_lo, 3, v7
	v_pk_add_f32 v[92:93], v[92:93], v[94:95]
	s_or_b32 s1, vcc_lo, s1
	s_delay_alu instid0(SALU_CYCLE_1)
	s_and_not1_b32 exec_lo, exec_lo, s1
	s_cbranch_execnz .LBB43_33
; %bb.34:
	s_or_b32 exec_lo, exec_lo, s1
	v_mov_b32_e32 v7, 0
	ds_load_b64 v[94:95], v7 offset:40
	s_wait_dscnt 0x0
	v_pk_mul_f32 v[96:97], v[92:93], v[94:95] op_sel:[1,1] op_sel_hi:[0,1]
	s_delay_alu instid0(VALU_DEP_1) | instskip(SKIP_1) | instid1(VALU_DEP_2)
	v_pk_fma_f32 v[98:99], v[92:93], v[94:95], v[96:97] op_sel_hi:[1,0,1]
	v_pk_fma_f32 v[92:93], v[92:93], v[94:95], v[96:97] neg_lo:[0,0,1] neg_hi:[0,0,1]
	v_mov_b32_e32 v93, v99
	scratch_store_b64 off, v[92:93], off offset:40
.LBB43_35:
	s_wait_xcnt 0x0
	s_or_b32 exec_lo, exec_lo, s0
	s_wait_storecnt 0x0
	s_barrier_signal -1
	s_barrier_wait -1
	scratch_load_b64 v[92:93], off, off offset:48
	s_mov_b32 s0, exec_lo
	s_wait_loadcnt 0x0
	ds_store_b64 v1, v[92:93]
	s_wait_dscnt 0x0
	s_barrier_signal -1
	s_barrier_wait -1
	v_cmpx_gt_u32_e32 6, v0
	s_cbranch_execz .LBB43_39
; %bb.36:
	v_dual_mov_b32 v92, 0 :: v_dual_add_nc_u32 v7, -1, v0
	v_add_nc_u32_e32 v11, 0x160, v90
	v_mov_b32_e32 v13, v90
	s_mov_b32 s1, 0
	s_delay_alu instid0(VALU_DEP_3)
	v_mov_b32_e32 v93, v92
.LBB43_37:                              ; =>This Inner Loop Header: Depth=1
	scratch_load_b64 v[94:95], v13, off
	ds_load_b64 v[96:97], v11
	s_wait_xcnt 0x0
	v_dual_add_nc_u32 v11, 8, v11 :: v_dual_add_nc_u32 v13, 8, v13
	s_wait_loadcnt_dscnt 0x0
	v_pk_mul_f32 v[98:99], v[96:97], v[94:95] op_sel:[1,1] op_sel_hi:[0,1]
	s_delay_alu instid0(VALU_DEP_1) | instskip(SKIP_2) | instid1(VALU_DEP_3)
	v_pk_fma_f32 v[100:101], v[96:97], v[94:95], v[98:99] op_sel_hi:[1,0,1]
	v_add_nc_u32_e32 v7, 1, v7
	v_pk_fma_f32 v[94:95], v[96:97], v[94:95], v[98:99] neg_lo:[0,0,1] neg_hi:[0,0,1]
	v_mov_b32_e32 v95, v101
	s_delay_alu instid0(VALU_DEP_3) | instskip(NEXT) | instid1(VALU_DEP_2)
	v_cmp_lt_u32_e32 vcc_lo, 4, v7
	v_pk_add_f32 v[92:93], v[92:93], v[94:95]
	s_or_b32 s1, vcc_lo, s1
	s_delay_alu instid0(SALU_CYCLE_1)
	s_and_not1_b32 exec_lo, exec_lo, s1
	s_cbranch_execnz .LBB43_37
; %bb.38:
	s_or_b32 exec_lo, exec_lo, s1
	v_mov_b32_e32 v7, 0
	ds_load_b64 v[94:95], v7 offset:48
	s_wait_dscnt 0x0
	v_pk_mul_f32 v[96:97], v[92:93], v[94:95] op_sel:[1,1] op_sel_hi:[0,1]
	s_delay_alu instid0(VALU_DEP_1) | instskip(SKIP_1) | instid1(VALU_DEP_2)
	v_pk_fma_f32 v[98:99], v[92:93], v[94:95], v[96:97] op_sel_hi:[1,0,1]
	v_pk_fma_f32 v[92:93], v[92:93], v[94:95], v[96:97] neg_lo:[0,0,1] neg_hi:[0,0,1]
	v_mov_b32_e32 v93, v99
	scratch_store_b64 off, v[92:93], off offset:48
.LBB43_39:
	s_wait_xcnt 0x0
	s_or_b32 exec_lo, exec_lo, s0
	s_wait_storecnt 0x0
	s_barrier_signal -1
	s_barrier_wait -1
	scratch_load_b64 v[92:93], off, off offset:56
	s_mov_b32 s0, exec_lo
	s_wait_loadcnt 0x0
	ds_store_b64 v1, v[92:93]
	s_wait_dscnt 0x0
	s_barrier_signal -1
	s_barrier_wait -1
	v_cmpx_gt_u32_e32 7, v0
	s_cbranch_execz .LBB43_43
; %bb.40:
	v_dual_mov_b32 v92, 0 :: v_dual_add_nc_u32 v7, -1, v0
	v_add_nc_u32_e32 v11, 0x160, v90
	v_mov_b32_e32 v13, v90
	s_mov_b32 s1, 0
	s_delay_alu instid0(VALU_DEP_3)
	v_mov_b32_e32 v93, v92
.LBB43_41:                              ; =>This Inner Loop Header: Depth=1
	scratch_load_b64 v[94:95], v13, off
	ds_load_b64 v[96:97], v11
	s_wait_xcnt 0x0
	v_dual_add_nc_u32 v11, 8, v11 :: v_dual_add_nc_u32 v13, 8, v13
	s_wait_loadcnt_dscnt 0x0
	v_pk_mul_f32 v[98:99], v[96:97], v[94:95] op_sel:[1,1] op_sel_hi:[0,1]
	s_delay_alu instid0(VALU_DEP_1) | instskip(SKIP_2) | instid1(VALU_DEP_3)
	v_pk_fma_f32 v[100:101], v[96:97], v[94:95], v[98:99] op_sel_hi:[1,0,1]
	v_add_nc_u32_e32 v7, 1, v7
	v_pk_fma_f32 v[94:95], v[96:97], v[94:95], v[98:99] neg_lo:[0,0,1] neg_hi:[0,0,1]
	v_mov_b32_e32 v95, v101
	s_delay_alu instid0(VALU_DEP_3) | instskip(NEXT) | instid1(VALU_DEP_2)
	v_cmp_lt_u32_e32 vcc_lo, 5, v7
	v_pk_add_f32 v[92:93], v[92:93], v[94:95]
	s_or_b32 s1, vcc_lo, s1
	s_delay_alu instid0(SALU_CYCLE_1)
	s_and_not1_b32 exec_lo, exec_lo, s1
	s_cbranch_execnz .LBB43_41
; %bb.42:
	s_or_b32 exec_lo, exec_lo, s1
	v_mov_b32_e32 v7, 0
	ds_load_b64 v[94:95], v7 offset:56
	s_wait_dscnt 0x0
	v_pk_mul_f32 v[96:97], v[92:93], v[94:95] op_sel:[1,1] op_sel_hi:[0,1]
	s_delay_alu instid0(VALU_DEP_1) | instskip(SKIP_1) | instid1(VALU_DEP_2)
	v_pk_fma_f32 v[98:99], v[92:93], v[94:95], v[96:97] op_sel_hi:[1,0,1]
	v_pk_fma_f32 v[92:93], v[92:93], v[94:95], v[96:97] neg_lo:[0,0,1] neg_hi:[0,0,1]
	v_mov_b32_e32 v93, v99
	scratch_store_b64 off, v[92:93], off offset:56
.LBB43_43:
	s_wait_xcnt 0x0
	s_or_b32 exec_lo, exec_lo, s0
	s_wait_storecnt 0x0
	s_barrier_signal -1
	s_barrier_wait -1
	scratch_load_b64 v[92:93], off, off offset:64
	s_mov_b32 s0, exec_lo
	s_wait_loadcnt 0x0
	ds_store_b64 v1, v[92:93]
	s_wait_dscnt 0x0
	s_barrier_signal -1
	s_barrier_wait -1
	v_cmpx_gt_u32_e32 8, v0
	s_cbranch_execz .LBB43_47
; %bb.44:
	v_dual_mov_b32 v92, 0 :: v_dual_add_nc_u32 v7, -1, v0
	v_add_nc_u32_e32 v11, 0x160, v90
	v_mov_b32_e32 v13, v90
	s_mov_b32 s1, 0
	s_delay_alu instid0(VALU_DEP_3)
	v_mov_b32_e32 v93, v92
.LBB43_45:                              ; =>This Inner Loop Header: Depth=1
	scratch_load_b64 v[94:95], v13, off
	ds_load_b64 v[96:97], v11
	s_wait_xcnt 0x0
	v_dual_add_nc_u32 v11, 8, v11 :: v_dual_add_nc_u32 v13, 8, v13
	s_wait_loadcnt_dscnt 0x0
	v_pk_mul_f32 v[98:99], v[96:97], v[94:95] op_sel:[1,1] op_sel_hi:[0,1]
	s_delay_alu instid0(VALU_DEP_1) | instskip(SKIP_2) | instid1(VALU_DEP_3)
	v_pk_fma_f32 v[100:101], v[96:97], v[94:95], v[98:99] op_sel_hi:[1,0,1]
	v_add_nc_u32_e32 v7, 1, v7
	v_pk_fma_f32 v[94:95], v[96:97], v[94:95], v[98:99] neg_lo:[0,0,1] neg_hi:[0,0,1]
	v_mov_b32_e32 v95, v101
	s_delay_alu instid0(VALU_DEP_3) | instskip(NEXT) | instid1(VALU_DEP_2)
	v_cmp_lt_u32_e32 vcc_lo, 6, v7
	v_pk_add_f32 v[92:93], v[92:93], v[94:95]
	s_or_b32 s1, vcc_lo, s1
	s_delay_alu instid0(SALU_CYCLE_1)
	s_and_not1_b32 exec_lo, exec_lo, s1
	s_cbranch_execnz .LBB43_45
; %bb.46:
	s_or_b32 exec_lo, exec_lo, s1
	v_mov_b32_e32 v7, 0
	ds_load_b64 v[94:95], v7 offset:64
	s_wait_dscnt 0x0
	v_pk_mul_f32 v[96:97], v[92:93], v[94:95] op_sel:[1,1] op_sel_hi:[0,1]
	s_delay_alu instid0(VALU_DEP_1) | instskip(SKIP_1) | instid1(VALU_DEP_2)
	v_pk_fma_f32 v[98:99], v[92:93], v[94:95], v[96:97] op_sel_hi:[1,0,1]
	v_pk_fma_f32 v[92:93], v[92:93], v[94:95], v[96:97] neg_lo:[0,0,1] neg_hi:[0,0,1]
	v_mov_b32_e32 v93, v99
	scratch_store_b64 off, v[92:93], off offset:64
.LBB43_47:
	s_wait_xcnt 0x0
	s_or_b32 exec_lo, exec_lo, s0
	s_wait_storecnt 0x0
	s_barrier_signal -1
	s_barrier_wait -1
	scratch_load_b64 v[92:93], off, off offset:72
	s_mov_b32 s0, exec_lo
	s_wait_loadcnt 0x0
	ds_store_b64 v1, v[92:93]
	s_wait_dscnt 0x0
	s_barrier_signal -1
	s_barrier_wait -1
	v_cmpx_gt_u32_e32 9, v0
	s_cbranch_execz .LBB43_51
; %bb.48:
	v_dual_mov_b32 v92, 0 :: v_dual_add_nc_u32 v7, -1, v0
	v_add_nc_u32_e32 v11, 0x160, v90
	v_mov_b32_e32 v13, v90
	s_mov_b32 s1, 0
	s_delay_alu instid0(VALU_DEP_3)
	v_mov_b32_e32 v93, v92
.LBB43_49:                              ; =>This Inner Loop Header: Depth=1
	scratch_load_b64 v[94:95], v13, off
	ds_load_b64 v[96:97], v11
	s_wait_xcnt 0x0
	v_dual_add_nc_u32 v11, 8, v11 :: v_dual_add_nc_u32 v13, 8, v13
	s_wait_loadcnt_dscnt 0x0
	v_pk_mul_f32 v[98:99], v[96:97], v[94:95] op_sel:[1,1] op_sel_hi:[0,1]
	s_delay_alu instid0(VALU_DEP_1) | instskip(SKIP_2) | instid1(VALU_DEP_3)
	v_pk_fma_f32 v[100:101], v[96:97], v[94:95], v[98:99] op_sel_hi:[1,0,1]
	v_add_nc_u32_e32 v7, 1, v7
	v_pk_fma_f32 v[94:95], v[96:97], v[94:95], v[98:99] neg_lo:[0,0,1] neg_hi:[0,0,1]
	v_mov_b32_e32 v95, v101
	s_delay_alu instid0(VALU_DEP_3) | instskip(NEXT) | instid1(VALU_DEP_2)
	v_cmp_lt_u32_e32 vcc_lo, 7, v7
	v_pk_add_f32 v[92:93], v[92:93], v[94:95]
	s_or_b32 s1, vcc_lo, s1
	s_delay_alu instid0(SALU_CYCLE_1)
	s_and_not1_b32 exec_lo, exec_lo, s1
	s_cbranch_execnz .LBB43_49
; %bb.50:
	s_or_b32 exec_lo, exec_lo, s1
	v_mov_b32_e32 v7, 0
	ds_load_b64 v[94:95], v7 offset:72
	s_wait_dscnt 0x0
	v_pk_mul_f32 v[96:97], v[92:93], v[94:95] op_sel:[1,1] op_sel_hi:[0,1]
	s_delay_alu instid0(VALU_DEP_1) | instskip(SKIP_1) | instid1(VALU_DEP_2)
	v_pk_fma_f32 v[98:99], v[92:93], v[94:95], v[96:97] op_sel_hi:[1,0,1]
	v_pk_fma_f32 v[92:93], v[92:93], v[94:95], v[96:97] neg_lo:[0,0,1] neg_hi:[0,0,1]
	v_mov_b32_e32 v93, v99
	scratch_store_b64 off, v[92:93], off offset:72
.LBB43_51:
	s_wait_xcnt 0x0
	s_or_b32 exec_lo, exec_lo, s0
	s_wait_storecnt 0x0
	s_barrier_signal -1
	s_barrier_wait -1
	scratch_load_b64 v[92:93], off, off offset:80
	s_mov_b32 s0, exec_lo
	s_wait_loadcnt 0x0
	ds_store_b64 v1, v[92:93]
	s_wait_dscnt 0x0
	s_barrier_signal -1
	s_barrier_wait -1
	v_cmpx_gt_u32_e32 10, v0
	s_cbranch_execz .LBB43_55
; %bb.52:
	v_dual_mov_b32 v92, 0 :: v_dual_add_nc_u32 v7, -1, v0
	v_add_nc_u32_e32 v11, 0x160, v90
	v_mov_b32_e32 v13, v90
	s_mov_b32 s1, 0
	s_delay_alu instid0(VALU_DEP_3)
	v_mov_b32_e32 v93, v92
.LBB43_53:                              ; =>This Inner Loop Header: Depth=1
	scratch_load_b64 v[94:95], v13, off
	ds_load_b64 v[96:97], v11
	s_wait_xcnt 0x0
	v_dual_add_nc_u32 v11, 8, v11 :: v_dual_add_nc_u32 v13, 8, v13
	s_wait_loadcnt_dscnt 0x0
	v_pk_mul_f32 v[98:99], v[96:97], v[94:95] op_sel:[1,1] op_sel_hi:[0,1]
	s_delay_alu instid0(VALU_DEP_1) | instskip(SKIP_2) | instid1(VALU_DEP_3)
	v_pk_fma_f32 v[100:101], v[96:97], v[94:95], v[98:99] op_sel_hi:[1,0,1]
	v_add_nc_u32_e32 v7, 1, v7
	v_pk_fma_f32 v[94:95], v[96:97], v[94:95], v[98:99] neg_lo:[0,0,1] neg_hi:[0,0,1]
	v_mov_b32_e32 v95, v101
	s_delay_alu instid0(VALU_DEP_3) | instskip(NEXT) | instid1(VALU_DEP_2)
	v_cmp_lt_u32_e32 vcc_lo, 8, v7
	v_pk_add_f32 v[92:93], v[92:93], v[94:95]
	s_or_b32 s1, vcc_lo, s1
	s_delay_alu instid0(SALU_CYCLE_1)
	s_and_not1_b32 exec_lo, exec_lo, s1
	s_cbranch_execnz .LBB43_53
; %bb.54:
	s_or_b32 exec_lo, exec_lo, s1
	v_mov_b32_e32 v7, 0
	ds_load_b64 v[94:95], v7 offset:80
	s_wait_dscnt 0x0
	v_pk_mul_f32 v[96:97], v[92:93], v[94:95] op_sel:[1,1] op_sel_hi:[0,1]
	s_delay_alu instid0(VALU_DEP_1) | instskip(SKIP_1) | instid1(VALU_DEP_2)
	v_pk_fma_f32 v[98:99], v[92:93], v[94:95], v[96:97] op_sel_hi:[1,0,1]
	v_pk_fma_f32 v[92:93], v[92:93], v[94:95], v[96:97] neg_lo:[0,0,1] neg_hi:[0,0,1]
	v_mov_b32_e32 v93, v99
	scratch_store_b64 off, v[92:93], off offset:80
.LBB43_55:
	s_wait_xcnt 0x0
	s_or_b32 exec_lo, exec_lo, s0
	s_wait_storecnt 0x0
	s_barrier_signal -1
	s_barrier_wait -1
	scratch_load_b64 v[92:93], off, off offset:88
	s_mov_b32 s0, exec_lo
	s_wait_loadcnt 0x0
	ds_store_b64 v1, v[92:93]
	s_wait_dscnt 0x0
	s_barrier_signal -1
	s_barrier_wait -1
	v_cmpx_gt_u32_e32 11, v0
	s_cbranch_execz .LBB43_59
; %bb.56:
	v_dual_mov_b32 v92, 0 :: v_dual_add_nc_u32 v7, -1, v0
	v_add_nc_u32_e32 v11, 0x160, v90
	v_mov_b32_e32 v13, v90
	s_mov_b32 s1, 0
	s_delay_alu instid0(VALU_DEP_3)
	v_mov_b32_e32 v93, v92
.LBB43_57:                              ; =>This Inner Loop Header: Depth=1
	scratch_load_b64 v[94:95], v13, off
	ds_load_b64 v[96:97], v11
	s_wait_xcnt 0x0
	v_dual_add_nc_u32 v11, 8, v11 :: v_dual_add_nc_u32 v13, 8, v13
	s_wait_loadcnt_dscnt 0x0
	v_pk_mul_f32 v[98:99], v[96:97], v[94:95] op_sel:[1,1] op_sel_hi:[0,1]
	s_delay_alu instid0(VALU_DEP_1) | instskip(SKIP_2) | instid1(VALU_DEP_3)
	v_pk_fma_f32 v[100:101], v[96:97], v[94:95], v[98:99] op_sel_hi:[1,0,1]
	v_add_nc_u32_e32 v7, 1, v7
	v_pk_fma_f32 v[94:95], v[96:97], v[94:95], v[98:99] neg_lo:[0,0,1] neg_hi:[0,0,1]
	v_mov_b32_e32 v95, v101
	s_delay_alu instid0(VALU_DEP_3) | instskip(NEXT) | instid1(VALU_DEP_2)
	v_cmp_lt_u32_e32 vcc_lo, 9, v7
	v_pk_add_f32 v[92:93], v[92:93], v[94:95]
	s_or_b32 s1, vcc_lo, s1
	s_delay_alu instid0(SALU_CYCLE_1)
	s_and_not1_b32 exec_lo, exec_lo, s1
	s_cbranch_execnz .LBB43_57
; %bb.58:
	s_or_b32 exec_lo, exec_lo, s1
	v_mov_b32_e32 v7, 0
	ds_load_b64 v[94:95], v7 offset:88
	s_wait_dscnt 0x0
	v_pk_mul_f32 v[96:97], v[92:93], v[94:95] op_sel:[1,1] op_sel_hi:[0,1]
	s_delay_alu instid0(VALU_DEP_1) | instskip(SKIP_1) | instid1(VALU_DEP_2)
	v_pk_fma_f32 v[98:99], v[92:93], v[94:95], v[96:97] op_sel_hi:[1,0,1]
	v_pk_fma_f32 v[92:93], v[92:93], v[94:95], v[96:97] neg_lo:[0,0,1] neg_hi:[0,0,1]
	v_mov_b32_e32 v93, v99
	scratch_store_b64 off, v[92:93], off offset:88
.LBB43_59:
	s_wait_xcnt 0x0
	s_or_b32 exec_lo, exec_lo, s0
	s_wait_storecnt 0x0
	s_barrier_signal -1
	s_barrier_wait -1
	scratch_load_b64 v[92:93], off, off offset:96
	s_mov_b32 s0, exec_lo
	s_wait_loadcnt 0x0
	ds_store_b64 v1, v[92:93]
	s_wait_dscnt 0x0
	s_barrier_signal -1
	s_barrier_wait -1
	v_cmpx_gt_u32_e32 12, v0
	s_cbranch_execz .LBB43_63
; %bb.60:
	v_dual_mov_b32 v92, 0 :: v_dual_add_nc_u32 v7, -1, v0
	v_add_nc_u32_e32 v11, 0x160, v90
	v_mov_b32_e32 v13, v90
	s_mov_b32 s1, 0
	s_delay_alu instid0(VALU_DEP_3)
	v_mov_b32_e32 v93, v92
.LBB43_61:                              ; =>This Inner Loop Header: Depth=1
	scratch_load_b64 v[94:95], v13, off
	ds_load_b64 v[96:97], v11
	s_wait_xcnt 0x0
	v_dual_add_nc_u32 v11, 8, v11 :: v_dual_add_nc_u32 v13, 8, v13
	s_wait_loadcnt_dscnt 0x0
	v_pk_mul_f32 v[98:99], v[96:97], v[94:95] op_sel:[1,1] op_sel_hi:[0,1]
	s_delay_alu instid0(VALU_DEP_1) | instskip(SKIP_2) | instid1(VALU_DEP_3)
	v_pk_fma_f32 v[100:101], v[96:97], v[94:95], v[98:99] op_sel_hi:[1,0,1]
	v_add_nc_u32_e32 v7, 1, v7
	v_pk_fma_f32 v[94:95], v[96:97], v[94:95], v[98:99] neg_lo:[0,0,1] neg_hi:[0,0,1]
	v_mov_b32_e32 v95, v101
	s_delay_alu instid0(VALU_DEP_3) | instskip(NEXT) | instid1(VALU_DEP_2)
	v_cmp_lt_u32_e32 vcc_lo, 10, v7
	v_pk_add_f32 v[92:93], v[92:93], v[94:95]
	s_or_b32 s1, vcc_lo, s1
	s_delay_alu instid0(SALU_CYCLE_1)
	s_and_not1_b32 exec_lo, exec_lo, s1
	s_cbranch_execnz .LBB43_61
; %bb.62:
	s_or_b32 exec_lo, exec_lo, s1
	v_mov_b32_e32 v7, 0
	ds_load_b64 v[94:95], v7 offset:96
	s_wait_dscnt 0x0
	v_pk_mul_f32 v[96:97], v[92:93], v[94:95] op_sel:[1,1] op_sel_hi:[0,1]
	s_delay_alu instid0(VALU_DEP_1) | instskip(SKIP_1) | instid1(VALU_DEP_2)
	v_pk_fma_f32 v[98:99], v[92:93], v[94:95], v[96:97] op_sel_hi:[1,0,1]
	v_pk_fma_f32 v[92:93], v[92:93], v[94:95], v[96:97] neg_lo:[0,0,1] neg_hi:[0,0,1]
	v_mov_b32_e32 v93, v99
	scratch_store_b64 off, v[92:93], off offset:96
.LBB43_63:
	s_wait_xcnt 0x0
	s_or_b32 exec_lo, exec_lo, s0
	s_wait_storecnt 0x0
	s_barrier_signal -1
	s_barrier_wait -1
	scratch_load_b64 v[92:93], off, off offset:104
	s_mov_b32 s0, exec_lo
	s_wait_loadcnt 0x0
	ds_store_b64 v1, v[92:93]
	s_wait_dscnt 0x0
	s_barrier_signal -1
	s_barrier_wait -1
	v_cmpx_gt_u32_e32 13, v0
	s_cbranch_execz .LBB43_67
; %bb.64:
	v_dual_mov_b32 v92, 0 :: v_dual_add_nc_u32 v7, -1, v0
	v_add_nc_u32_e32 v11, 0x160, v90
	v_mov_b32_e32 v13, v90
	s_mov_b32 s1, 0
	s_delay_alu instid0(VALU_DEP_3)
	v_mov_b32_e32 v93, v92
.LBB43_65:                              ; =>This Inner Loop Header: Depth=1
	scratch_load_b64 v[94:95], v13, off
	ds_load_b64 v[96:97], v11
	s_wait_xcnt 0x0
	v_dual_add_nc_u32 v11, 8, v11 :: v_dual_add_nc_u32 v13, 8, v13
	s_wait_loadcnt_dscnt 0x0
	v_pk_mul_f32 v[98:99], v[96:97], v[94:95] op_sel:[1,1] op_sel_hi:[0,1]
	s_delay_alu instid0(VALU_DEP_1) | instskip(SKIP_2) | instid1(VALU_DEP_3)
	v_pk_fma_f32 v[100:101], v[96:97], v[94:95], v[98:99] op_sel_hi:[1,0,1]
	v_add_nc_u32_e32 v7, 1, v7
	v_pk_fma_f32 v[94:95], v[96:97], v[94:95], v[98:99] neg_lo:[0,0,1] neg_hi:[0,0,1]
	v_mov_b32_e32 v95, v101
	s_delay_alu instid0(VALU_DEP_3) | instskip(NEXT) | instid1(VALU_DEP_2)
	v_cmp_lt_u32_e32 vcc_lo, 11, v7
	v_pk_add_f32 v[92:93], v[92:93], v[94:95]
	s_or_b32 s1, vcc_lo, s1
	s_delay_alu instid0(SALU_CYCLE_1)
	s_and_not1_b32 exec_lo, exec_lo, s1
	s_cbranch_execnz .LBB43_65
; %bb.66:
	s_or_b32 exec_lo, exec_lo, s1
	v_mov_b32_e32 v7, 0
	ds_load_b64 v[94:95], v7 offset:104
	s_wait_dscnt 0x0
	v_pk_mul_f32 v[96:97], v[92:93], v[94:95] op_sel:[1,1] op_sel_hi:[0,1]
	s_delay_alu instid0(VALU_DEP_1) | instskip(SKIP_1) | instid1(VALU_DEP_2)
	v_pk_fma_f32 v[98:99], v[92:93], v[94:95], v[96:97] op_sel_hi:[1,0,1]
	v_pk_fma_f32 v[92:93], v[92:93], v[94:95], v[96:97] neg_lo:[0,0,1] neg_hi:[0,0,1]
	v_mov_b32_e32 v93, v99
	scratch_store_b64 off, v[92:93], off offset:104
.LBB43_67:
	s_wait_xcnt 0x0
	s_or_b32 exec_lo, exec_lo, s0
	s_wait_storecnt 0x0
	s_barrier_signal -1
	s_barrier_wait -1
	scratch_load_b64 v[92:93], off, off offset:112
	s_mov_b32 s0, exec_lo
	s_wait_loadcnt 0x0
	ds_store_b64 v1, v[92:93]
	s_wait_dscnt 0x0
	s_barrier_signal -1
	s_barrier_wait -1
	v_cmpx_gt_u32_e32 14, v0
	s_cbranch_execz .LBB43_71
; %bb.68:
	v_dual_mov_b32 v92, 0 :: v_dual_add_nc_u32 v7, -1, v0
	v_add_nc_u32_e32 v11, 0x160, v90
	v_mov_b32_e32 v13, v90
	s_mov_b32 s1, 0
	s_delay_alu instid0(VALU_DEP_3)
	v_mov_b32_e32 v93, v92
.LBB43_69:                              ; =>This Inner Loop Header: Depth=1
	scratch_load_b64 v[94:95], v13, off
	ds_load_b64 v[96:97], v11
	s_wait_xcnt 0x0
	v_dual_add_nc_u32 v11, 8, v11 :: v_dual_add_nc_u32 v13, 8, v13
	s_wait_loadcnt_dscnt 0x0
	v_pk_mul_f32 v[98:99], v[96:97], v[94:95] op_sel:[1,1] op_sel_hi:[0,1]
	s_delay_alu instid0(VALU_DEP_1) | instskip(SKIP_2) | instid1(VALU_DEP_3)
	v_pk_fma_f32 v[100:101], v[96:97], v[94:95], v[98:99] op_sel_hi:[1,0,1]
	v_add_nc_u32_e32 v7, 1, v7
	v_pk_fma_f32 v[94:95], v[96:97], v[94:95], v[98:99] neg_lo:[0,0,1] neg_hi:[0,0,1]
	v_mov_b32_e32 v95, v101
	s_delay_alu instid0(VALU_DEP_3) | instskip(NEXT) | instid1(VALU_DEP_2)
	v_cmp_lt_u32_e32 vcc_lo, 12, v7
	v_pk_add_f32 v[92:93], v[92:93], v[94:95]
	s_or_b32 s1, vcc_lo, s1
	s_delay_alu instid0(SALU_CYCLE_1)
	s_and_not1_b32 exec_lo, exec_lo, s1
	s_cbranch_execnz .LBB43_69
; %bb.70:
	s_or_b32 exec_lo, exec_lo, s1
	v_mov_b32_e32 v7, 0
	ds_load_b64 v[94:95], v7 offset:112
	s_wait_dscnt 0x0
	v_pk_mul_f32 v[96:97], v[92:93], v[94:95] op_sel:[1,1] op_sel_hi:[0,1]
	s_delay_alu instid0(VALU_DEP_1) | instskip(SKIP_1) | instid1(VALU_DEP_2)
	v_pk_fma_f32 v[98:99], v[92:93], v[94:95], v[96:97] op_sel_hi:[1,0,1]
	v_pk_fma_f32 v[92:93], v[92:93], v[94:95], v[96:97] neg_lo:[0,0,1] neg_hi:[0,0,1]
	v_mov_b32_e32 v93, v99
	scratch_store_b64 off, v[92:93], off offset:112
.LBB43_71:
	s_wait_xcnt 0x0
	s_or_b32 exec_lo, exec_lo, s0
	s_wait_storecnt 0x0
	s_barrier_signal -1
	s_barrier_wait -1
	scratch_load_b64 v[92:93], off, off offset:120
	s_mov_b32 s0, exec_lo
	s_wait_loadcnt 0x0
	ds_store_b64 v1, v[92:93]
	s_wait_dscnt 0x0
	s_barrier_signal -1
	s_barrier_wait -1
	v_cmpx_gt_u32_e32 15, v0
	s_cbranch_execz .LBB43_75
; %bb.72:
	v_dual_mov_b32 v92, 0 :: v_dual_add_nc_u32 v7, -1, v0
	v_add_nc_u32_e32 v11, 0x160, v90
	v_mov_b32_e32 v13, v90
	s_mov_b32 s1, 0
	s_delay_alu instid0(VALU_DEP_3)
	v_mov_b32_e32 v93, v92
.LBB43_73:                              ; =>This Inner Loop Header: Depth=1
	scratch_load_b64 v[94:95], v13, off
	ds_load_b64 v[96:97], v11
	s_wait_xcnt 0x0
	v_dual_add_nc_u32 v11, 8, v11 :: v_dual_add_nc_u32 v13, 8, v13
	s_wait_loadcnt_dscnt 0x0
	v_pk_mul_f32 v[98:99], v[96:97], v[94:95] op_sel:[1,1] op_sel_hi:[0,1]
	s_delay_alu instid0(VALU_DEP_1) | instskip(SKIP_2) | instid1(VALU_DEP_3)
	v_pk_fma_f32 v[100:101], v[96:97], v[94:95], v[98:99] op_sel_hi:[1,0,1]
	v_add_nc_u32_e32 v7, 1, v7
	v_pk_fma_f32 v[94:95], v[96:97], v[94:95], v[98:99] neg_lo:[0,0,1] neg_hi:[0,0,1]
	v_mov_b32_e32 v95, v101
	s_delay_alu instid0(VALU_DEP_3) | instskip(NEXT) | instid1(VALU_DEP_2)
	v_cmp_lt_u32_e32 vcc_lo, 13, v7
	v_pk_add_f32 v[92:93], v[92:93], v[94:95]
	s_or_b32 s1, vcc_lo, s1
	s_delay_alu instid0(SALU_CYCLE_1)
	s_and_not1_b32 exec_lo, exec_lo, s1
	s_cbranch_execnz .LBB43_73
; %bb.74:
	s_or_b32 exec_lo, exec_lo, s1
	v_mov_b32_e32 v7, 0
	ds_load_b64 v[94:95], v7 offset:120
	s_wait_dscnt 0x0
	v_pk_mul_f32 v[96:97], v[92:93], v[94:95] op_sel:[1,1] op_sel_hi:[0,1]
	s_delay_alu instid0(VALU_DEP_1) | instskip(SKIP_1) | instid1(VALU_DEP_2)
	v_pk_fma_f32 v[98:99], v[92:93], v[94:95], v[96:97] op_sel_hi:[1,0,1]
	v_pk_fma_f32 v[92:93], v[92:93], v[94:95], v[96:97] neg_lo:[0,0,1] neg_hi:[0,0,1]
	v_mov_b32_e32 v93, v99
	scratch_store_b64 off, v[92:93], off offset:120
.LBB43_75:
	s_wait_xcnt 0x0
	s_or_b32 exec_lo, exec_lo, s0
	s_wait_storecnt 0x0
	s_barrier_signal -1
	s_barrier_wait -1
	scratch_load_b64 v[92:93], off, off offset:128
	s_mov_b32 s0, exec_lo
	s_wait_loadcnt 0x0
	ds_store_b64 v1, v[92:93]
	s_wait_dscnt 0x0
	s_barrier_signal -1
	s_barrier_wait -1
	v_cmpx_gt_u32_e32 16, v0
	s_cbranch_execz .LBB43_79
; %bb.76:
	v_dual_mov_b32 v92, 0 :: v_dual_add_nc_u32 v7, -1, v0
	v_add_nc_u32_e32 v11, 0x160, v90
	v_mov_b32_e32 v13, v90
	s_mov_b32 s1, 0
	s_delay_alu instid0(VALU_DEP_3)
	v_mov_b32_e32 v93, v92
.LBB43_77:                              ; =>This Inner Loop Header: Depth=1
	scratch_load_b64 v[94:95], v13, off
	ds_load_b64 v[96:97], v11
	s_wait_xcnt 0x0
	v_dual_add_nc_u32 v11, 8, v11 :: v_dual_add_nc_u32 v13, 8, v13
	s_wait_loadcnt_dscnt 0x0
	v_pk_mul_f32 v[98:99], v[96:97], v[94:95] op_sel:[1,1] op_sel_hi:[0,1]
	s_delay_alu instid0(VALU_DEP_1) | instskip(SKIP_2) | instid1(VALU_DEP_3)
	v_pk_fma_f32 v[100:101], v[96:97], v[94:95], v[98:99] op_sel_hi:[1,0,1]
	v_add_nc_u32_e32 v7, 1, v7
	v_pk_fma_f32 v[94:95], v[96:97], v[94:95], v[98:99] neg_lo:[0,0,1] neg_hi:[0,0,1]
	v_mov_b32_e32 v95, v101
	s_delay_alu instid0(VALU_DEP_3) | instskip(NEXT) | instid1(VALU_DEP_2)
	v_cmp_lt_u32_e32 vcc_lo, 14, v7
	v_pk_add_f32 v[92:93], v[92:93], v[94:95]
	s_or_b32 s1, vcc_lo, s1
	s_delay_alu instid0(SALU_CYCLE_1)
	s_and_not1_b32 exec_lo, exec_lo, s1
	s_cbranch_execnz .LBB43_77
; %bb.78:
	s_or_b32 exec_lo, exec_lo, s1
	v_mov_b32_e32 v7, 0
	ds_load_b64 v[94:95], v7 offset:128
	s_wait_dscnt 0x0
	v_pk_mul_f32 v[96:97], v[92:93], v[94:95] op_sel:[1,1] op_sel_hi:[0,1]
	s_delay_alu instid0(VALU_DEP_1) | instskip(SKIP_1) | instid1(VALU_DEP_2)
	v_pk_fma_f32 v[98:99], v[92:93], v[94:95], v[96:97] op_sel_hi:[1,0,1]
	v_pk_fma_f32 v[92:93], v[92:93], v[94:95], v[96:97] neg_lo:[0,0,1] neg_hi:[0,0,1]
	v_mov_b32_e32 v93, v99
	scratch_store_b64 off, v[92:93], off offset:128
.LBB43_79:
	s_wait_xcnt 0x0
	s_or_b32 exec_lo, exec_lo, s0
	s_wait_storecnt 0x0
	s_barrier_signal -1
	s_barrier_wait -1
	scratch_load_b64 v[92:93], off, off offset:136
	s_mov_b32 s0, exec_lo
	s_wait_loadcnt 0x0
	ds_store_b64 v1, v[92:93]
	s_wait_dscnt 0x0
	s_barrier_signal -1
	s_barrier_wait -1
	v_cmpx_gt_u32_e32 17, v0
	s_cbranch_execz .LBB43_83
; %bb.80:
	v_dual_mov_b32 v92, 0 :: v_dual_add_nc_u32 v7, -1, v0
	v_add_nc_u32_e32 v11, 0x160, v90
	v_mov_b32_e32 v13, v90
	s_mov_b32 s1, 0
	s_delay_alu instid0(VALU_DEP_3)
	v_mov_b32_e32 v93, v92
.LBB43_81:                              ; =>This Inner Loop Header: Depth=1
	scratch_load_b64 v[94:95], v13, off
	ds_load_b64 v[96:97], v11
	s_wait_xcnt 0x0
	v_dual_add_nc_u32 v11, 8, v11 :: v_dual_add_nc_u32 v13, 8, v13
	s_wait_loadcnt_dscnt 0x0
	v_pk_mul_f32 v[98:99], v[96:97], v[94:95] op_sel:[1,1] op_sel_hi:[0,1]
	s_delay_alu instid0(VALU_DEP_1) | instskip(SKIP_2) | instid1(VALU_DEP_3)
	v_pk_fma_f32 v[100:101], v[96:97], v[94:95], v[98:99] op_sel_hi:[1,0,1]
	v_add_nc_u32_e32 v7, 1, v7
	v_pk_fma_f32 v[94:95], v[96:97], v[94:95], v[98:99] neg_lo:[0,0,1] neg_hi:[0,0,1]
	v_mov_b32_e32 v95, v101
	s_delay_alu instid0(VALU_DEP_3) | instskip(NEXT) | instid1(VALU_DEP_2)
	v_cmp_lt_u32_e32 vcc_lo, 15, v7
	v_pk_add_f32 v[92:93], v[92:93], v[94:95]
	s_or_b32 s1, vcc_lo, s1
	s_delay_alu instid0(SALU_CYCLE_1)
	s_and_not1_b32 exec_lo, exec_lo, s1
	s_cbranch_execnz .LBB43_81
; %bb.82:
	s_or_b32 exec_lo, exec_lo, s1
	v_mov_b32_e32 v7, 0
	ds_load_b64 v[94:95], v7 offset:136
	s_wait_dscnt 0x0
	v_pk_mul_f32 v[96:97], v[92:93], v[94:95] op_sel:[1,1] op_sel_hi:[0,1]
	s_delay_alu instid0(VALU_DEP_1) | instskip(SKIP_1) | instid1(VALU_DEP_2)
	v_pk_fma_f32 v[98:99], v[92:93], v[94:95], v[96:97] op_sel_hi:[1,0,1]
	v_pk_fma_f32 v[92:93], v[92:93], v[94:95], v[96:97] neg_lo:[0,0,1] neg_hi:[0,0,1]
	v_mov_b32_e32 v93, v99
	scratch_store_b64 off, v[92:93], off offset:136
.LBB43_83:
	s_wait_xcnt 0x0
	s_or_b32 exec_lo, exec_lo, s0
	s_wait_storecnt 0x0
	s_barrier_signal -1
	s_barrier_wait -1
	scratch_load_b64 v[92:93], off, off offset:144
	s_mov_b32 s0, exec_lo
	s_wait_loadcnt 0x0
	ds_store_b64 v1, v[92:93]
	s_wait_dscnt 0x0
	s_barrier_signal -1
	s_barrier_wait -1
	v_cmpx_gt_u32_e32 18, v0
	s_cbranch_execz .LBB43_87
; %bb.84:
	v_dual_mov_b32 v92, 0 :: v_dual_add_nc_u32 v7, -1, v0
	v_add_nc_u32_e32 v11, 0x160, v90
	v_mov_b32_e32 v13, v90
	s_mov_b32 s1, 0
	s_delay_alu instid0(VALU_DEP_3)
	v_mov_b32_e32 v93, v92
.LBB43_85:                              ; =>This Inner Loop Header: Depth=1
	scratch_load_b64 v[94:95], v13, off
	ds_load_b64 v[96:97], v11
	s_wait_xcnt 0x0
	v_dual_add_nc_u32 v11, 8, v11 :: v_dual_add_nc_u32 v13, 8, v13
	s_wait_loadcnt_dscnt 0x0
	v_pk_mul_f32 v[98:99], v[96:97], v[94:95] op_sel:[1,1] op_sel_hi:[0,1]
	s_delay_alu instid0(VALU_DEP_1) | instskip(SKIP_2) | instid1(VALU_DEP_3)
	v_pk_fma_f32 v[100:101], v[96:97], v[94:95], v[98:99] op_sel_hi:[1,0,1]
	v_add_nc_u32_e32 v7, 1, v7
	v_pk_fma_f32 v[94:95], v[96:97], v[94:95], v[98:99] neg_lo:[0,0,1] neg_hi:[0,0,1]
	v_mov_b32_e32 v95, v101
	s_delay_alu instid0(VALU_DEP_3) | instskip(NEXT) | instid1(VALU_DEP_2)
	v_cmp_lt_u32_e32 vcc_lo, 16, v7
	v_pk_add_f32 v[92:93], v[92:93], v[94:95]
	s_or_b32 s1, vcc_lo, s1
	s_delay_alu instid0(SALU_CYCLE_1)
	s_and_not1_b32 exec_lo, exec_lo, s1
	s_cbranch_execnz .LBB43_85
; %bb.86:
	s_or_b32 exec_lo, exec_lo, s1
	v_mov_b32_e32 v7, 0
	ds_load_b64 v[94:95], v7 offset:144
	s_wait_dscnt 0x0
	v_pk_mul_f32 v[96:97], v[92:93], v[94:95] op_sel:[1,1] op_sel_hi:[0,1]
	s_delay_alu instid0(VALU_DEP_1) | instskip(SKIP_1) | instid1(VALU_DEP_2)
	v_pk_fma_f32 v[98:99], v[92:93], v[94:95], v[96:97] op_sel_hi:[1,0,1]
	v_pk_fma_f32 v[92:93], v[92:93], v[94:95], v[96:97] neg_lo:[0,0,1] neg_hi:[0,0,1]
	v_mov_b32_e32 v93, v99
	scratch_store_b64 off, v[92:93], off offset:144
.LBB43_87:
	s_wait_xcnt 0x0
	s_or_b32 exec_lo, exec_lo, s0
	s_wait_storecnt 0x0
	s_barrier_signal -1
	s_barrier_wait -1
	scratch_load_b64 v[92:93], off, off offset:152
	s_mov_b32 s0, exec_lo
	s_wait_loadcnt 0x0
	ds_store_b64 v1, v[92:93]
	s_wait_dscnt 0x0
	s_barrier_signal -1
	s_barrier_wait -1
	v_cmpx_gt_u32_e32 19, v0
	s_cbranch_execz .LBB43_91
; %bb.88:
	v_dual_mov_b32 v92, 0 :: v_dual_add_nc_u32 v7, -1, v0
	v_add_nc_u32_e32 v11, 0x160, v90
	v_mov_b32_e32 v13, v90
	s_mov_b32 s1, 0
	s_delay_alu instid0(VALU_DEP_3)
	v_mov_b32_e32 v93, v92
.LBB43_89:                              ; =>This Inner Loop Header: Depth=1
	scratch_load_b64 v[94:95], v13, off
	ds_load_b64 v[96:97], v11
	s_wait_xcnt 0x0
	v_dual_add_nc_u32 v11, 8, v11 :: v_dual_add_nc_u32 v13, 8, v13
	s_wait_loadcnt_dscnt 0x0
	v_pk_mul_f32 v[98:99], v[96:97], v[94:95] op_sel:[1,1] op_sel_hi:[0,1]
	s_delay_alu instid0(VALU_DEP_1) | instskip(SKIP_2) | instid1(VALU_DEP_3)
	v_pk_fma_f32 v[100:101], v[96:97], v[94:95], v[98:99] op_sel_hi:[1,0,1]
	v_add_nc_u32_e32 v7, 1, v7
	v_pk_fma_f32 v[94:95], v[96:97], v[94:95], v[98:99] neg_lo:[0,0,1] neg_hi:[0,0,1]
	v_mov_b32_e32 v95, v101
	s_delay_alu instid0(VALU_DEP_3) | instskip(NEXT) | instid1(VALU_DEP_2)
	v_cmp_lt_u32_e32 vcc_lo, 17, v7
	v_pk_add_f32 v[92:93], v[92:93], v[94:95]
	s_or_b32 s1, vcc_lo, s1
	s_delay_alu instid0(SALU_CYCLE_1)
	s_and_not1_b32 exec_lo, exec_lo, s1
	s_cbranch_execnz .LBB43_89
; %bb.90:
	s_or_b32 exec_lo, exec_lo, s1
	v_mov_b32_e32 v7, 0
	ds_load_b64 v[94:95], v7 offset:152
	s_wait_dscnt 0x0
	v_pk_mul_f32 v[96:97], v[92:93], v[94:95] op_sel:[1,1] op_sel_hi:[0,1]
	s_delay_alu instid0(VALU_DEP_1) | instskip(SKIP_1) | instid1(VALU_DEP_2)
	v_pk_fma_f32 v[98:99], v[92:93], v[94:95], v[96:97] op_sel_hi:[1,0,1]
	v_pk_fma_f32 v[92:93], v[92:93], v[94:95], v[96:97] neg_lo:[0,0,1] neg_hi:[0,0,1]
	v_mov_b32_e32 v93, v99
	scratch_store_b64 off, v[92:93], off offset:152
.LBB43_91:
	s_wait_xcnt 0x0
	s_or_b32 exec_lo, exec_lo, s0
	s_wait_storecnt 0x0
	s_barrier_signal -1
	s_barrier_wait -1
	scratch_load_b64 v[92:93], off, off offset:160
	s_mov_b32 s0, exec_lo
	s_wait_loadcnt 0x0
	ds_store_b64 v1, v[92:93]
	s_wait_dscnt 0x0
	s_barrier_signal -1
	s_barrier_wait -1
	v_cmpx_gt_u32_e32 20, v0
	s_cbranch_execz .LBB43_95
; %bb.92:
	v_dual_mov_b32 v92, 0 :: v_dual_add_nc_u32 v7, -1, v0
	v_add_nc_u32_e32 v11, 0x160, v90
	v_mov_b32_e32 v13, v90
	s_mov_b32 s1, 0
	s_delay_alu instid0(VALU_DEP_3)
	v_mov_b32_e32 v93, v92
.LBB43_93:                              ; =>This Inner Loop Header: Depth=1
	scratch_load_b64 v[94:95], v13, off
	ds_load_b64 v[96:97], v11
	s_wait_xcnt 0x0
	v_dual_add_nc_u32 v11, 8, v11 :: v_dual_add_nc_u32 v13, 8, v13
	s_wait_loadcnt_dscnt 0x0
	v_pk_mul_f32 v[98:99], v[96:97], v[94:95] op_sel:[1,1] op_sel_hi:[0,1]
	s_delay_alu instid0(VALU_DEP_1) | instskip(SKIP_2) | instid1(VALU_DEP_3)
	v_pk_fma_f32 v[100:101], v[96:97], v[94:95], v[98:99] op_sel_hi:[1,0,1]
	v_add_nc_u32_e32 v7, 1, v7
	v_pk_fma_f32 v[94:95], v[96:97], v[94:95], v[98:99] neg_lo:[0,0,1] neg_hi:[0,0,1]
	v_mov_b32_e32 v95, v101
	s_delay_alu instid0(VALU_DEP_3) | instskip(NEXT) | instid1(VALU_DEP_2)
	v_cmp_lt_u32_e32 vcc_lo, 18, v7
	v_pk_add_f32 v[92:93], v[92:93], v[94:95]
	s_or_b32 s1, vcc_lo, s1
	s_delay_alu instid0(SALU_CYCLE_1)
	s_and_not1_b32 exec_lo, exec_lo, s1
	s_cbranch_execnz .LBB43_93
; %bb.94:
	s_or_b32 exec_lo, exec_lo, s1
	v_mov_b32_e32 v7, 0
	ds_load_b64 v[94:95], v7 offset:160
	s_wait_dscnt 0x0
	v_pk_mul_f32 v[96:97], v[92:93], v[94:95] op_sel:[1,1] op_sel_hi:[0,1]
	s_delay_alu instid0(VALU_DEP_1) | instskip(SKIP_1) | instid1(VALU_DEP_2)
	v_pk_fma_f32 v[98:99], v[92:93], v[94:95], v[96:97] op_sel_hi:[1,0,1]
	v_pk_fma_f32 v[92:93], v[92:93], v[94:95], v[96:97] neg_lo:[0,0,1] neg_hi:[0,0,1]
	v_mov_b32_e32 v93, v99
	scratch_store_b64 off, v[92:93], off offset:160
.LBB43_95:
	s_wait_xcnt 0x0
	s_or_b32 exec_lo, exec_lo, s0
	s_wait_storecnt 0x0
	s_barrier_signal -1
	s_barrier_wait -1
	scratch_load_b64 v[92:93], off, off offset:168
	s_mov_b32 s0, exec_lo
	s_wait_loadcnt 0x0
	ds_store_b64 v1, v[92:93]
	s_wait_dscnt 0x0
	s_barrier_signal -1
	s_barrier_wait -1
	v_cmpx_gt_u32_e32 21, v0
	s_cbranch_execz .LBB43_99
; %bb.96:
	v_dual_mov_b32 v92, 0 :: v_dual_add_nc_u32 v7, -1, v0
	v_add_nc_u32_e32 v11, 0x160, v90
	v_mov_b32_e32 v13, v90
	s_mov_b32 s1, 0
	s_delay_alu instid0(VALU_DEP_3)
	v_mov_b32_e32 v93, v92
.LBB43_97:                              ; =>This Inner Loop Header: Depth=1
	scratch_load_b64 v[94:95], v13, off
	ds_load_b64 v[96:97], v11
	s_wait_xcnt 0x0
	v_dual_add_nc_u32 v11, 8, v11 :: v_dual_add_nc_u32 v13, 8, v13
	s_wait_loadcnt_dscnt 0x0
	v_pk_mul_f32 v[98:99], v[96:97], v[94:95] op_sel:[1,1] op_sel_hi:[0,1]
	s_delay_alu instid0(VALU_DEP_1) | instskip(SKIP_2) | instid1(VALU_DEP_3)
	v_pk_fma_f32 v[100:101], v[96:97], v[94:95], v[98:99] op_sel_hi:[1,0,1]
	v_add_nc_u32_e32 v7, 1, v7
	v_pk_fma_f32 v[94:95], v[96:97], v[94:95], v[98:99] neg_lo:[0,0,1] neg_hi:[0,0,1]
	v_mov_b32_e32 v95, v101
	s_delay_alu instid0(VALU_DEP_3) | instskip(NEXT) | instid1(VALU_DEP_2)
	v_cmp_lt_u32_e32 vcc_lo, 19, v7
	v_pk_add_f32 v[92:93], v[92:93], v[94:95]
	s_or_b32 s1, vcc_lo, s1
	s_delay_alu instid0(SALU_CYCLE_1)
	s_and_not1_b32 exec_lo, exec_lo, s1
	s_cbranch_execnz .LBB43_97
; %bb.98:
	s_or_b32 exec_lo, exec_lo, s1
	v_mov_b32_e32 v7, 0
	ds_load_b64 v[94:95], v7 offset:168
	s_wait_dscnt 0x0
	v_pk_mul_f32 v[96:97], v[92:93], v[94:95] op_sel:[1,1] op_sel_hi:[0,1]
	s_delay_alu instid0(VALU_DEP_1) | instskip(SKIP_1) | instid1(VALU_DEP_2)
	v_pk_fma_f32 v[98:99], v[92:93], v[94:95], v[96:97] op_sel_hi:[1,0,1]
	v_pk_fma_f32 v[92:93], v[92:93], v[94:95], v[96:97] neg_lo:[0,0,1] neg_hi:[0,0,1]
	v_mov_b32_e32 v93, v99
	scratch_store_b64 off, v[92:93], off offset:168
.LBB43_99:
	s_wait_xcnt 0x0
	s_or_b32 exec_lo, exec_lo, s0
	s_wait_storecnt 0x0
	s_barrier_signal -1
	s_barrier_wait -1
	scratch_load_b64 v[92:93], off, off offset:176
	s_mov_b32 s0, exec_lo
	s_wait_loadcnt 0x0
	ds_store_b64 v1, v[92:93]
	s_wait_dscnt 0x0
	s_barrier_signal -1
	s_barrier_wait -1
	v_cmpx_gt_u32_e32 22, v0
	s_cbranch_execz .LBB43_103
; %bb.100:
	v_dual_mov_b32 v92, 0 :: v_dual_add_nc_u32 v7, -1, v0
	v_add_nc_u32_e32 v11, 0x160, v90
	v_mov_b32_e32 v13, v90
	s_mov_b32 s1, 0
	s_delay_alu instid0(VALU_DEP_3)
	v_mov_b32_e32 v93, v92
.LBB43_101:                             ; =>This Inner Loop Header: Depth=1
	scratch_load_b64 v[94:95], v13, off
	ds_load_b64 v[96:97], v11
	s_wait_xcnt 0x0
	v_dual_add_nc_u32 v11, 8, v11 :: v_dual_add_nc_u32 v13, 8, v13
	s_wait_loadcnt_dscnt 0x0
	v_pk_mul_f32 v[98:99], v[96:97], v[94:95] op_sel:[1,1] op_sel_hi:[0,1]
	s_delay_alu instid0(VALU_DEP_1) | instskip(SKIP_2) | instid1(VALU_DEP_3)
	v_pk_fma_f32 v[100:101], v[96:97], v[94:95], v[98:99] op_sel_hi:[1,0,1]
	v_add_nc_u32_e32 v7, 1, v7
	v_pk_fma_f32 v[94:95], v[96:97], v[94:95], v[98:99] neg_lo:[0,0,1] neg_hi:[0,0,1]
	v_mov_b32_e32 v95, v101
	s_delay_alu instid0(VALU_DEP_3) | instskip(NEXT) | instid1(VALU_DEP_2)
	v_cmp_lt_u32_e32 vcc_lo, 20, v7
	v_pk_add_f32 v[92:93], v[92:93], v[94:95]
	s_or_b32 s1, vcc_lo, s1
	s_delay_alu instid0(SALU_CYCLE_1)
	s_and_not1_b32 exec_lo, exec_lo, s1
	s_cbranch_execnz .LBB43_101
; %bb.102:
	s_or_b32 exec_lo, exec_lo, s1
	v_mov_b32_e32 v7, 0
	ds_load_b64 v[94:95], v7 offset:176
	s_wait_dscnt 0x0
	v_pk_mul_f32 v[96:97], v[92:93], v[94:95] op_sel:[1,1] op_sel_hi:[0,1]
	s_delay_alu instid0(VALU_DEP_1) | instskip(SKIP_1) | instid1(VALU_DEP_2)
	v_pk_fma_f32 v[98:99], v[92:93], v[94:95], v[96:97] op_sel_hi:[1,0,1]
	v_pk_fma_f32 v[92:93], v[92:93], v[94:95], v[96:97] neg_lo:[0,0,1] neg_hi:[0,0,1]
	v_mov_b32_e32 v93, v99
	scratch_store_b64 off, v[92:93], off offset:176
.LBB43_103:
	s_wait_xcnt 0x0
	s_or_b32 exec_lo, exec_lo, s0
	s_wait_storecnt 0x0
	s_barrier_signal -1
	s_barrier_wait -1
	scratch_load_b64 v[92:93], off, off offset:184
	s_mov_b32 s0, exec_lo
	s_wait_loadcnt 0x0
	ds_store_b64 v1, v[92:93]
	s_wait_dscnt 0x0
	s_barrier_signal -1
	s_barrier_wait -1
	v_cmpx_gt_u32_e32 23, v0
	s_cbranch_execz .LBB43_107
; %bb.104:
	v_dual_mov_b32 v92, 0 :: v_dual_add_nc_u32 v7, -1, v0
	v_add_nc_u32_e32 v11, 0x160, v90
	v_mov_b32_e32 v13, v90
	s_mov_b32 s1, 0
	s_delay_alu instid0(VALU_DEP_3)
	v_mov_b32_e32 v93, v92
.LBB43_105:                             ; =>This Inner Loop Header: Depth=1
	scratch_load_b64 v[94:95], v13, off
	ds_load_b64 v[96:97], v11
	s_wait_xcnt 0x0
	v_dual_add_nc_u32 v11, 8, v11 :: v_dual_add_nc_u32 v13, 8, v13
	s_wait_loadcnt_dscnt 0x0
	v_pk_mul_f32 v[98:99], v[96:97], v[94:95] op_sel:[1,1] op_sel_hi:[0,1]
	s_delay_alu instid0(VALU_DEP_1) | instskip(SKIP_2) | instid1(VALU_DEP_3)
	v_pk_fma_f32 v[100:101], v[96:97], v[94:95], v[98:99] op_sel_hi:[1,0,1]
	v_add_nc_u32_e32 v7, 1, v7
	v_pk_fma_f32 v[94:95], v[96:97], v[94:95], v[98:99] neg_lo:[0,0,1] neg_hi:[0,0,1]
	v_mov_b32_e32 v95, v101
	s_delay_alu instid0(VALU_DEP_3) | instskip(NEXT) | instid1(VALU_DEP_2)
	v_cmp_lt_u32_e32 vcc_lo, 21, v7
	v_pk_add_f32 v[92:93], v[92:93], v[94:95]
	s_or_b32 s1, vcc_lo, s1
	s_delay_alu instid0(SALU_CYCLE_1)
	s_and_not1_b32 exec_lo, exec_lo, s1
	s_cbranch_execnz .LBB43_105
; %bb.106:
	s_or_b32 exec_lo, exec_lo, s1
	v_mov_b32_e32 v7, 0
	ds_load_b64 v[94:95], v7 offset:184
	s_wait_dscnt 0x0
	v_pk_mul_f32 v[96:97], v[92:93], v[94:95] op_sel:[1,1] op_sel_hi:[0,1]
	s_delay_alu instid0(VALU_DEP_1) | instskip(SKIP_1) | instid1(VALU_DEP_2)
	v_pk_fma_f32 v[98:99], v[92:93], v[94:95], v[96:97] op_sel_hi:[1,0,1]
	v_pk_fma_f32 v[92:93], v[92:93], v[94:95], v[96:97] neg_lo:[0,0,1] neg_hi:[0,0,1]
	v_mov_b32_e32 v93, v99
	scratch_store_b64 off, v[92:93], off offset:184
.LBB43_107:
	s_wait_xcnt 0x0
	s_or_b32 exec_lo, exec_lo, s0
	s_wait_storecnt 0x0
	s_barrier_signal -1
	s_barrier_wait -1
	scratch_load_b64 v[92:93], off, off offset:192
	s_mov_b32 s0, exec_lo
	s_wait_loadcnt 0x0
	ds_store_b64 v1, v[92:93]
	s_wait_dscnt 0x0
	s_barrier_signal -1
	s_barrier_wait -1
	v_cmpx_gt_u32_e32 24, v0
	s_cbranch_execz .LBB43_111
; %bb.108:
	v_dual_mov_b32 v92, 0 :: v_dual_add_nc_u32 v7, -1, v0
	v_add_nc_u32_e32 v11, 0x160, v90
	v_mov_b32_e32 v13, v90
	s_mov_b32 s1, 0
	s_delay_alu instid0(VALU_DEP_3)
	v_mov_b32_e32 v93, v92
.LBB43_109:                             ; =>This Inner Loop Header: Depth=1
	scratch_load_b64 v[94:95], v13, off
	ds_load_b64 v[96:97], v11
	s_wait_xcnt 0x0
	v_dual_add_nc_u32 v11, 8, v11 :: v_dual_add_nc_u32 v13, 8, v13
	s_wait_loadcnt_dscnt 0x0
	v_pk_mul_f32 v[98:99], v[96:97], v[94:95] op_sel:[1,1] op_sel_hi:[0,1]
	s_delay_alu instid0(VALU_DEP_1) | instskip(SKIP_2) | instid1(VALU_DEP_3)
	v_pk_fma_f32 v[100:101], v[96:97], v[94:95], v[98:99] op_sel_hi:[1,0,1]
	v_add_nc_u32_e32 v7, 1, v7
	v_pk_fma_f32 v[94:95], v[96:97], v[94:95], v[98:99] neg_lo:[0,0,1] neg_hi:[0,0,1]
	v_mov_b32_e32 v95, v101
	s_delay_alu instid0(VALU_DEP_3) | instskip(NEXT) | instid1(VALU_DEP_2)
	v_cmp_lt_u32_e32 vcc_lo, 22, v7
	v_pk_add_f32 v[92:93], v[92:93], v[94:95]
	s_or_b32 s1, vcc_lo, s1
	s_delay_alu instid0(SALU_CYCLE_1)
	s_and_not1_b32 exec_lo, exec_lo, s1
	s_cbranch_execnz .LBB43_109
; %bb.110:
	s_or_b32 exec_lo, exec_lo, s1
	v_mov_b32_e32 v7, 0
	ds_load_b64 v[94:95], v7 offset:192
	s_wait_dscnt 0x0
	v_pk_mul_f32 v[96:97], v[92:93], v[94:95] op_sel:[1,1] op_sel_hi:[0,1]
	s_delay_alu instid0(VALU_DEP_1) | instskip(SKIP_1) | instid1(VALU_DEP_2)
	v_pk_fma_f32 v[98:99], v[92:93], v[94:95], v[96:97] op_sel_hi:[1,0,1]
	v_pk_fma_f32 v[92:93], v[92:93], v[94:95], v[96:97] neg_lo:[0,0,1] neg_hi:[0,0,1]
	v_mov_b32_e32 v93, v99
	scratch_store_b64 off, v[92:93], off offset:192
.LBB43_111:
	s_wait_xcnt 0x0
	s_or_b32 exec_lo, exec_lo, s0
	s_wait_storecnt 0x0
	s_barrier_signal -1
	s_barrier_wait -1
	scratch_load_b64 v[92:93], off, off offset:200
	s_mov_b32 s0, exec_lo
	s_wait_loadcnt 0x0
	ds_store_b64 v1, v[92:93]
	s_wait_dscnt 0x0
	s_barrier_signal -1
	s_barrier_wait -1
	v_cmpx_gt_u32_e32 25, v0
	s_cbranch_execz .LBB43_115
; %bb.112:
	v_dual_mov_b32 v92, 0 :: v_dual_add_nc_u32 v7, -1, v0
	v_add_nc_u32_e32 v11, 0x160, v90
	v_mov_b32_e32 v13, v90
	s_mov_b32 s1, 0
	s_delay_alu instid0(VALU_DEP_3)
	v_mov_b32_e32 v93, v92
.LBB43_113:                             ; =>This Inner Loop Header: Depth=1
	scratch_load_b64 v[94:95], v13, off
	ds_load_b64 v[96:97], v11
	s_wait_xcnt 0x0
	v_dual_add_nc_u32 v11, 8, v11 :: v_dual_add_nc_u32 v13, 8, v13
	s_wait_loadcnt_dscnt 0x0
	v_pk_mul_f32 v[98:99], v[96:97], v[94:95] op_sel:[1,1] op_sel_hi:[0,1]
	s_delay_alu instid0(VALU_DEP_1) | instskip(SKIP_2) | instid1(VALU_DEP_3)
	v_pk_fma_f32 v[100:101], v[96:97], v[94:95], v[98:99] op_sel_hi:[1,0,1]
	v_add_nc_u32_e32 v7, 1, v7
	v_pk_fma_f32 v[94:95], v[96:97], v[94:95], v[98:99] neg_lo:[0,0,1] neg_hi:[0,0,1]
	v_mov_b32_e32 v95, v101
	s_delay_alu instid0(VALU_DEP_3) | instskip(NEXT) | instid1(VALU_DEP_2)
	v_cmp_lt_u32_e32 vcc_lo, 23, v7
	v_pk_add_f32 v[92:93], v[92:93], v[94:95]
	s_or_b32 s1, vcc_lo, s1
	s_delay_alu instid0(SALU_CYCLE_1)
	s_and_not1_b32 exec_lo, exec_lo, s1
	s_cbranch_execnz .LBB43_113
; %bb.114:
	s_or_b32 exec_lo, exec_lo, s1
	v_mov_b32_e32 v7, 0
	ds_load_b64 v[94:95], v7 offset:200
	s_wait_dscnt 0x0
	v_pk_mul_f32 v[96:97], v[92:93], v[94:95] op_sel:[1,1] op_sel_hi:[0,1]
	s_delay_alu instid0(VALU_DEP_1) | instskip(SKIP_1) | instid1(VALU_DEP_2)
	v_pk_fma_f32 v[98:99], v[92:93], v[94:95], v[96:97] op_sel_hi:[1,0,1]
	v_pk_fma_f32 v[92:93], v[92:93], v[94:95], v[96:97] neg_lo:[0,0,1] neg_hi:[0,0,1]
	v_mov_b32_e32 v93, v99
	scratch_store_b64 off, v[92:93], off offset:200
.LBB43_115:
	s_wait_xcnt 0x0
	s_or_b32 exec_lo, exec_lo, s0
	s_wait_storecnt 0x0
	s_barrier_signal -1
	s_barrier_wait -1
	scratch_load_b64 v[92:93], off, off offset:208
	s_mov_b32 s0, exec_lo
	s_wait_loadcnt 0x0
	ds_store_b64 v1, v[92:93]
	s_wait_dscnt 0x0
	s_barrier_signal -1
	s_barrier_wait -1
	v_cmpx_gt_u32_e32 26, v0
	s_cbranch_execz .LBB43_119
; %bb.116:
	v_dual_mov_b32 v92, 0 :: v_dual_add_nc_u32 v7, -1, v0
	v_add_nc_u32_e32 v11, 0x160, v90
	v_mov_b32_e32 v13, v90
	s_mov_b32 s1, 0
	s_delay_alu instid0(VALU_DEP_3)
	v_mov_b32_e32 v93, v92
.LBB43_117:                             ; =>This Inner Loop Header: Depth=1
	scratch_load_b64 v[94:95], v13, off
	ds_load_b64 v[96:97], v11
	s_wait_xcnt 0x0
	v_dual_add_nc_u32 v11, 8, v11 :: v_dual_add_nc_u32 v13, 8, v13
	s_wait_loadcnt_dscnt 0x0
	v_pk_mul_f32 v[98:99], v[96:97], v[94:95] op_sel:[1,1] op_sel_hi:[0,1]
	s_delay_alu instid0(VALU_DEP_1) | instskip(SKIP_2) | instid1(VALU_DEP_3)
	v_pk_fma_f32 v[100:101], v[96:97], v[94:95], v[98:99] op_sel_hi:[1,0,1]
	v_add_nc_u32_e32 v7, 1, v7
	v_pk_fma_f32 v[94:95], v[96:97], v[94:95], v[98:99] neg_lo:[0,0,1] neg_hi:[0,0,1]
	v_mov_b32_e32 v95, v101
	s_delay_alu instid0(VALU_DEP_3) | instskip(NEXT) | instid1(VALU_DEP_2)
	v_cmp_lt_u32_e32 vcc_lo, 24, v7
	v_pk_add_f32 v[92:93], v[92:93], v[94:95]
	s_or_b32 s1, vcc_lo, s1
	s_delay_alu instid0(SALU_CYCLE_1)
	s_and_not1_b32 exec_lo, exec_lo, s1
	s_cbranch_execnz .LBB43_117
; %bb.118:
	s_or_b32 exec_lo, exec_lo, s1
	v_mov_b32_e32 v7, 0
	ds_load_b64 v[94:95], v7 offset:208
	s_wait_dscnt 0x0
	v_pk_mul_f32 v[96:97], v[92:93], v[94:95] op_sel:[1,1] op_sel_hi:[0,1]
	s_delay_alu instid0(VALU_DEP_1) | instskip(SKIP_1) | instid1(VALU_DEP_2)
	v_pk_fma_f32 v[98:99], v[92:93], v[94:95], v[96:97] op_sel_hi:[1,0,1]
	v_pk_fma_f32 v[92:93], v[92:93], v[94:95], v[96:97] neg_lo:[0,0,1] neg_hi:[0,0,1]
	v_mov_b32_e32 v93, v99
	scratch_store_b64 off, v[92:93], off offset:208
.LBB43_119:
	s_wait_xcnt 0x0
	s_or_b32 exec_lo, exec_lo, s0
	s_wait_storecnt 0x0
	s_barrier_signal -1
	s_barrier_wait -1
	scratch_load_b64 v[92:93], off, off offset:216
	s_mov_b32 s0, exec_lo
	s_wait_loadcnt 0x0
	ds_store_b64 v1, v[92:93]
	s_wait_dscnt 0x0
	s_barrier_signal -1
	s_barrier_wait -1
	v_cmpx_gt_u32_e32 27, v0
	s_cbranch_execz .LBB43_123
; %bb.120:
	v_dual_mov_b32 v92, 0 :: v_dual_add_nc_u32 v7, -1, v0
	v_add_nc_u32_e32 v11, 0x160, v90
	v_mov_b32_e32 v13, v90
	s_mov_b32 s1, 0
	s_delay_alu instid0(VALU_DEP_3)
	v_mov_b32_e32 v93, v92
.LBB43_121:                             ; =>This Inner Loop Header: Depth=1
	scratch_load_b64 v[94:95], v13, off
	ds_load_b64 v[96:97], v11
	s_wait_xcnt 0x0
	v_dual_add_nc_u32 v11, 8, v11 :: v_dual_add_nc_u32 v13, 8, v13
	s_wait_loadcnt_dscnt 0x0
	v_pk_mul_f32 v[98:99], v[96:97], v[94:95] op_sel:[1,1] op_sel_hi:[0,1]
	s_delay_alu instid0(VALU_DEP_1) | instskip(SKIP_2) | instid1(VALU_DEP_3)
	v_pk_fma_f32 v[100:101], v[96:97], v[94:95], v[98:99] op_sel_hi:[1,0,1]
	v_add_nc_u32_e32 v7, 1, v7
	v_pk_fma_f32 v[94:95], v[96:97], v[94:95], v[98:99] neg_lo:[0,0,1] neg_hi:[0,0,1]
	v_mov_b32_e32 v95, v101
	s_delay_alu instid0(VALU_DEP_3) | instskip(NEXT) | instid1(VALU_DEP_2)
	v_cmp_lt_u32_e32 vcc_lo, 25, v7
	v_pk_add_f32 v[92:93], v[92:93], v[94:95]
	s_or_b32 s1, vcc_lo, s1
	s_delay_alu instid0(SALU_CYCLE_1)
	s_and_not1_b32 exec_lo, exec_lo, s1
	s_cbranch_execnz .LBB43_121
; %bb.122:
	s_or_b32 exec_lo, exec_lo, s1
	v_mov_b32_e32 v7, 0
	ds_load_b64 v[94:95], v7 offset:216
	s_wait_dscnt 0x0
	v_pk_mul_f32 v[96:97], v[92:93], v[94:95] op_sel:[1,1] op_sel_hi:[0,1]
	s_delay_alu instid0(VALU_DEP_1) | instskip(SKIP_1) | instid1(VALU_DEP_2)
	v_pk_fma_f32 v[98:99], v[92:93], v[94:95], v[96:97] op_sel_hi:[1,0,1]
	v_pk_fma_f32 v[92:93], v[92:93], v[94:95], v[96:97] neg_lo:[0,0,1] neg_hi:[0,0,1]
	v_mov_b32_e32 v93, v99
	scratch_store_b64 off, v[92:93], off offset:216
.LBB43_123:
	s_wait_xcnt 0x0
	s_or_b32 exec_lo, exec_lo, s0
	s_wait_storecnt 0x0
	s_barrier_signal -1
	s_barrier_wait -1
	scratch_load_b64 v[92:93], off, off offset:224
	s_mov_b32 s0, exec_lo
	s_wait_loadcnt 0x0
	ds_store_b64 v1, v[92:93]
	s_wait_dscnt 0x0
	s_barrier_signal -1
	s_barrier_wait -1
	v_cmpx_gt_u32_e32 28, v0
	s_cbranch_execz .LBB43_127
; %bb.124:
	v_dual_mov_b32 v92, 0 :: v_dual_add_nc_u32 v7, -1, v0
	v_add_nc_u32_e32 v11, 0x160, v90
	v_mov_b32_e32 v13, v90
	s_mov_b32 s1, 0
	s_delay_alu instid0(VALU_DEP_3)
	v_mov_b32_e32 v93, v92
.LBB43_125:                             ; =>This Inner Loop Header: Depth=1
	scratch_load_b64 v[94:95], v13, off
	ds_load_b64 v[96:97], v11
	s_wait_xcnt 0x0
	v_dual_add_nc_u32 v11, 8, v11 :: v_dual_add_nc_u32 v13, 8, v13
	s_wait_loadcnt_dscnt 0x0
	v_pk_mul_f32 v[98:99], v[96:97], v[94:95] op_sel:[1,1] op_sel_hi:[0,1]
	s_delay_alu instid0(VALU_DEP_1) | instskip(SKIP_2) | instid1(VALU_DEP_3)
	v_pk_fma_f32 v[100:101], v[96:97], v[94:95], v[98:99] op_sel_hi:[1,0,1]
	v_add_nc_u32_e32 v7, 1, v7
	v_pk_fma_f32 v[94:95], v[96:97], v[94:95], v[98:99] neg_lo:[0,0,1] neg_hi:[0,0,1]
	v_mov_b32_e32 v95, v101
	s_delay_alu instid0(VALU_DEP_3) | instskip(NEXT) | instid1(VALU_DEP_2)
	v_cmp_lt_u32_e32 vcc_lo, 26, v7
	v_pk_add_f32 v[92:93], v[92:93], v[94:95]
	s_or_b32 s1, vcc_lo, s1
	s_delay_alu instid0(SALU_CYCLE_1)
	s_and_not1_b32 exec_lo, exec_lo, s1
	s_cbranch_execnz .LBB43_125
; %bb.126:
	s_or_b32 exec_lo, exec_lo, s1
	v_mov_b32_e32 v7, 0
	ds_load_b64 v[94:95], v7 offset:224
	s_wait_dscnt 0x0
	v_pk_mul_f32 v[96:97], v[92:93], v[94:95] op_sel:[1,1] op_sel_hi:[0,1]
	s_delay_alu instid0(VALU_DEP_1) | instskip(SKIP_1) | instid1(VALU_DEP_2)
	v_pk_fma_f32 v[98:99], v[92:93], v[94:95], v[96:97] op_sel_hi:[1,0,1]
	v_pk_fma_f32 v[92:93], v[92:93], v[94:95], v[96:97] neg_lo:[0,0,1] neg_hi:[0,0,1]
	v_mov_b32_e32 v93, v99
	scratch_store_b64 off, v[92:93], off offset:224
.LBB43_127:
	s_wait_xcnt 0x0
	s_or_b32 exec_lo, exec_lo, s0
	s_wait_storecnt 0x0
	s_barrier_signal -1
	s_barrier_wait -1
	scratch_load_b64 v[92:93], off, off offset:232
	s_mov_b32 s0, exec_lo
	s_wait_loadcnt 0x0
	ds_store_b64 v1, v[92:93]
	s_wait_dscnt 0x0
	s_barrier_signal -1
	s_barrier_wait -1
	v_cmpx_gt_u32_e32 29, v0
	s_cbranch_execz .LBB43_131
; %bb.128:
	v_dual_mov_b32 v92, 0 :: v_dual_add_nc_u32 v7, -1, v0
	v_add_nc_u32_e32 v11, 0x160, v90
	v_mov_b32_e32 v13, v90
	s_mov_b32 s1, 0
	s_delay_alu instid0(VALU_DEP_3)
	v_mov_b32_e32 v93, v92
.LBB43_129:                             ; =>This Inner Loop Header: Depth=1
	scratch_load_b64 v[94:95], v13, off
	ds_load_b64 v[96:97], v11
	s_wait_xcnt 0x0
	v_dual_add_nc_u32 v11, 8, v11 :: v_dual_add_nc_u32 v13, 8, v13
	s_wait_loadcnt_dscnt 0x0
	v_pk_mul_f32 v[98:99], v[96:97], v[94:95] op_sel:[1,1] op_sel_hi:[0,1]
	s_delay_alu instid0(VALU_DEP_1) | instskip(SKIP_2) | instid1(VALU_DEP_3)
	v_pk_fma_f32 v[100:101], v[96:97], v[94:95], v[98:99] op_sel_hi:[1,0,1]
	v_add_nc_u32_e32 v7, 1, v7
	v_pk_fma_f32 v[94:95], v[96:97], v[94:95], v[98:99] neg_lo:[0,0,1] neg_hi:[0,0,1]
	v_mov_b32_e32 v95, v101
	s_delay_alu instid0(VALU_DEP_3) | instskip(NEXT) | instid1(VALU_DEP_2)
	v_cmp_lt_u32_e32 vcc_lo, 27, v7
	v_pk_add_f32 v[92:93], v[92:93], v[94:95]
	s_or_b32 s1, vcc_lo, s1
	s_delay_alu instid0(SALU_CYCLE_1)
	s_and_not1_b32 exec_lo, exec_lo, s1
	s_cbranch_execnz .LBB43_129
; %bb.130:
	s_or_b32 exec_lo, exec_lo, s1
	v_mov_b32_e32 v7, 0
	ds_load_b64 v[94:95], v7 offset:232
	s_wait_dscnt 0x0
	v_pk_mul_f32 v[96:97], v[92:93], v[94:95] op_sel:[1,1] op_sel_hi:[0,1]
	s_delay_alu instid0(VALU_DEP_1) | instskip(SKIP_1) | instid1(VALU_DEP_2)
	v_pk_fma_f32 v[98:99], v[92:93], v[94:95], v[96:97] op_sel_hi:[1,0,1]
	v_pk_fma_f32 v[92:93], v[92:93], v[94:95], v[96:97] neg_lo:[0,0,1] neg_hi:[0,0,1]
	v_mov_b32_e32 v93, v99
	scratch_store_b64 off, v[92:93], off offset:232
.LBB43_131:
	s_wait_xcnt 0x0
	s_or_b32 exec_lo, exec_lo, s0
	s_wait_storecnt 0x0
	s_barrier_signal -1
	s_barrier_wait -1
	scratch_load_b64 v[92:93], off, off offset:240
	s_mov_b32 s0, exec_lo
	s_wait_loadcnt 0x0
	ds_store_b64 v1, v[92:93]
	s_wait_dscnt 0x0
	s_barrier_signal -1
	s_barrier_wait -1
	v_cmpx_gt_u32_e32 30, v0
	s_cbranch_execz .LBB43_135
; %bb.132:
	v_dual_mov_b32 v92, 0 :: v_dual_add_nc_u32 v7, -1, v0
	v_add_nc_u32_e32 v11, 0x160, v90
	v_mov_b32_e32 v13, v90
	s_mov_b32 s1, 0
	s_delay_alu instid0(VALU_DEP_3)
	v_mov_b32_e32 v93, v92
.LBB43_133:                             ; =>This Inner Loop Header: Depth=1
	scratch_load_b64 v[94:95], v13, off
	ds_load_b64 v[96:97], v11
	s_wait_xcnt 0x0
	v_dual_add_nc_u32 v11, 8, v11 :: v_dual_add_nc_u32 v13, 8, v13
	s_wait_loadcnt_dscnt 0x0
	v_pk_mul_f32 v[98:99], v[96:97], v[94:95] op_sel:[1,1] op_sel_hi:[0,1]
	s_delay_alu instid0(VALU_DEP_1) | instskip(SKIP_2) | instid1(VALU_DEP_3)
	v_pk_fma_f32 v[100:101], v[96:97], v[94:95], v[98:99] op_sel_hi:[1,0,1]
	v_add_nc_u32_e32 v7, 1, v7
	v_pk_fma_f32 v[94:95], v[96:97], v[94:95], v[98:99] neg_lo:[0,0,1] neg_hi:[0,0,1]
	v_mov_b32_e32 v95, v101
	s_delay_alu instid0(VALU_DEP_3) | instskip(NEXT) | instid1(VALU_DEP_2)
	v_cmp_lt_u32_e32 vcc_lo, 28, v7
	v_pk_add_f32 v[92:93], v[92:93], v[94:95]
	s_or_b32 s1, vcc_lo, s1
	s_delay_alu instid0(SALU_CYCLE_1)
	s_and_not1_b32 exec_lo, exec_lo, s1
	s_cbranch_execnz .LBB43_133
; %bb.134:
	s_or_b32 exec_lo, exec_lo, s1
	v_mov_b32_e32 v7, 0
	ds_load_b64 v[94:95], v7 offset:240
	s_wait_dscnt 0x0
	v_pk_mul_f32 v[96:97], v[92:93], v[94:95] op_sel:[1,1] op_sel_hi:[0,1]
	s_delay_alu instid0(VALU_DEP_1) | instskip(SKIP_1) | instid1(VALU_DEP_2)
	v_pk_fma_f32 v[98:99], v[92:93], v[94:95], v[96:97] op_sel_hi:[1,0,1]
	v_pk_fma_f32 v[92:93], v[92:93], v[94:95], v[96:97] neg_lo:[0,0,1] neg_hi:[0,0,1]
	v_mov_b32_e32 v93, v99
	scratch_store_b64 off, v[92:93], off offset:240
.LBB43_135:
	s_wait_xcnt 0x0
	s_or_b32 exec_lo, exec_lo, s0
	s_wait_storecnt 0x0
	s_barrier_signal -1
	s_barrier_wait -1
	scratch_load_b64 v[92:93], off, off offset:248
	s_mov_b32 s0, exec_lo
	s_wait_loadcnt 0x0
	ds_store_b64 v1, v[92:93]
	s_wait_dscnt 0x0
	s_barrier_signal -1
	s_barrier_wait -1
	v_cmpx_gt_u32_e32 31, v0
	s_cbranch_execz .LBB43_139
; %bb.136:
	v_dual_mov_b32 v92, 0 :: v_dual_add_nc_u32 v7, -1, v0
	v_add_nc_u32_e32 v11, 0x160, v90
	v_mov_b32_e32 v13, v90
	s_mov_b32 s1, 0
	s_delay_alu instid0(VALU_DEP_3)
	v_mov_b32_e32 v93, v92
.LBB43_137:                             ; =>This Inner Loop Header: Depth=1
	scratch_load_b64 v[94:95], v13, off
	ds_load_b64 v[96:97], v11
	s_wait_xcnt 0x0
	v_dual_add_nc_u32 v11, 8, v11 :: v_dual_add_nc_u32 v13, 8, v13
	s_wait_loadcnt_dscnt 0x0
	v_pk_mul_f32 v[98:99], v[96:97], v[94:95] op_sel:[1,1] op_sel_hi:[0,1]
	s_delay_alu instid0(VALU_DEP_1) | instskip(SKIP_2) | instid1(VALU_DEP_3)
	v_pk_fma_f32 v[100:101], v[96:97], v[94:95], v[98:99] op_sel_hi:[1,0,1]
	v_add_nc_u32_e32 v7, 1, v7
	v_pk_fma_f32 v[94:95], v[96:97], v[94:95], v[98:99] neg_lo:[0,0,1] neg_hi:[0,0,1]
	v_mov_b32_e32 v95, v101
	s_delay_alu instid0(VALU_DEP_3) | instskip(NEXT) | instid1(VALU_DEP_2)
	v_cmp_lt_u32_e32 vcc_lo, 29, v7
	v_pk_add_f32 v[92:93], v[92:93], v[94:95]
	s_or_b32 s1, vcc_lo, s1
	s_delay_alu instid0(SALU_CYCLE_1)
	s_and_not1_b32 exec_lo, exec_lo, s1
	s_cbranch_execnz .LBB43_137
; %bb.138:
	s_or_b32 exec_lo, exec_lo, s1
	v_mov_b32_e32 v7, 0
	ds_load_b64 v[94:95], v7 offset:248
	s_wait_dscnt 0x0
	v_pk_mul_f32 v[96:97], v[92:93], v[94:95] op_sel:[1,1] op_sel_hi:[0,1]
	s_delay_alu instid0(VALU_DEP_1) | instskip(SKIP_1) | instid1(VALU_DEP_2)
	v_pk_fma_f32 v[98:99], v[92:93], v[94:95], v[96:97] op_sel_hi:[1,0,1]
	v_pk_fma_f32 v[92:93], v[92:93], v[94:95], v[96:97] neg_lo:[0,0,1] neg_hi:[0,0,1]
	v_mov_b32_e32 v93, v99
	scratch_store_b64 off, v[92:93], off offset:248
.LBB43_139:
	s_wait_xcnt 0x0
	s_or_b32 exec_lo, exec_lo, s0
	s_wait_storecnt 0x0
	s_barrier_signal -1
	s_barrier_wait -1
	scratch_load_b64 v[92:93], off, off offset:256
	s_mov_b32 s0, exec_lo
	s_wait_loadcnt 0x0
	ds_store_b64 v1, v[92:93]
	s_wait_dscnt 0x0
	s_barrier_signal -1
	s_barrier_wait -1
	v_cmpx_gt_u32_e32 32, v0
	s_cbranch_execz .LBB43_143
; %bb.140:
	v_dual_mov_b32 v92, 0 :: v_dual_add_nc_u32 v7, -1, v0
	v_add_nc_u32_e32 v11, 0x160, v90
	v_mov_b32_e32 v13, v90
	s_mov_b32 s1, 0
	s_delay_alu instid0(VALU_DEP_3)
	v_mov_b32_e32 v93, v92
.LBB43_141:                             ; =>This Inner Loop Header: Depth=1
	scratch_load_b64 v[94:95], v13, off
	ds_load_b64 v[96:97], v11
	s_wait_xcnt 0x0
	v_dual_add_nc_u32 v11, 8, v11 :: v_dual_add_nc_u32 v13, 8, v13
	s_wait_loadcnt_dscnt 0x0
	v_pk_mul_f32 v[98:99], v[96:97], v[94:95] op_sel:[1,1] op_sel_hi:[0,1]
	s_delay_alu instid0(VALU_DEP_1) | instskip(SKIP_2) | instid1(VALU_DEP_3)
	v_pk_fma_f32 v[100:101], v[96:97], v[94:95], v[98:99] op_sel_hi:[1,0,1]
	v_add_nc_u32_e32 v7, 1, v7
	v_pk_fma_f32 v[94:95], v[96:97], v[94:95], v[98:99] neg_lo:[0,0,1] neg_hi:[0,0,1]
	v_mov_b32_e32 v95, v101
	s_delay_alu instid0(VALU_DEP_3) | instskip(NEXT) | instid1(VALU_DEP_2)
	v_cmp_lt_u32_e32 vcc_lo, 30, v7
	v_pk_add_f32 v[92:93], v[92:93], v[94:95]
	s_or_b32 s1, vcc_lo, s1
	s_delay_alu instid0(SALU_CYCLE_1)
	s_and_not1_b32 exec_lo, exec_lo, s1
	s_cbranch_execnz .LBB43_141
; %bb.142:
	s_or_b32 exec_lo, exec_lo, s1
	v_mov_b32_e32 v7, 0
	ds_load_b64 v[94:95], v7 offset:256
	s_wait_dscnt 0x0
	v_pk_mul_f32 v[96:97], v[92:93], v[94:95] op_sel:[1,1] op_sel_hi:[0,1]
	s_delay_alu instid0(VALU_DEP_1) | instskip(SKIP_1) | instid1(VALU_DEP_2)
	v_pk_fma_f32 v[98:99], v[92:93], v[94:95], v[96:97] op_sel_hi:[1,0,1]
	v_pk_fma_f32 v[92:93], v[92:93], v[94:95], v[96:97] neg_lo:[0,0,1] neg_hi:[0,0,1]
	v_mov_b32_e32 v93, v99
	scratch_store_b64 off, v[92:93], off offset:256
.LBB43_143:
	s_wait_xcnt 0x0
	s_or_b32 exec_lo, exec_lo, s0
	s_wait_storecnt 0x0
	s_barrier_signal -1
	s_barrier_wait -1
	scratch_load_b64 v[92:93], off, off offset:264
	s_mov_b32 s0, exec_lo
	s_wait_loadcnt 0x0
	ds_store_b64 v1, v[92:93]
	s_wait_dscnt 0x0
	s_barrier_signal -1
	s_barrier_wait -1
	v_cmpx_gt_u32_e32 33, v0
	s_cbranch_execz .LBB43_147
; %bb.144:
	v_dual_mov_b32 v92, 0 :: v_dual_add_nc_u32 v7, -1, v0
	v_add_nc_u32_e32 v11, 0x160, v90
	v_mov_b32_e32 v13, v90
	s_mov_b32 s1, 0
	s_delay_alu instid0(VALU_DEP_3)
	v_mov_b32_e32 v93, v92
.LBB43_145:                             ; =>This Inner Loop Header: Depth=1
	scratch_load_b64 v[94:95], v13, off
	ds_load_b64 v[96:97], v11
	s_wait_xcnt 0x0
	v_dual_add_nc_u32 v11, 8, v11 :: v_dual_add_nc_u32 v13, 8, v13
	s_wait_loadcnt_dscnt 0x0
	v_pk_mul_f32 v[98:99], v[96:97], v[94:95] op_sel:[1,1] op_sel_hi:[0,1]
	s_delay_alu instid0(VALU_DEP_1) | instskip(SKIP_2) | instid1(VALU_DEP_3)
	v_pk_fma_f32 v[100:101], v[96:97], v[94:95], v[98:99] op_sel_hi:[1,0,1]
	v_add_nc_u32_e32 v7, 1, v7
	v_pk_fma_f32 v[94:95], v[96:97], v[94:95], v[98:99] neg_lo:[0,0,1] neg_hi:[0,0,1]
	v_mov_b32_e32 v95, v101
	s_delay_alu instid0(VALU_DEP_3) | instskip(NEXT) | instid1(VALU_DEP_2)
	v_cmp_lt_u32_e32 vcc_lo, 31, v7
	v_pk_add_f32 v[92:93], v[92:93], v[94:95]
	s_or_b32 s1, vcc_lo, s1
	s_delay_alu instid0(SALU_CYCLE_1)
	s_and_not1_b32 exec_lo, exec_lo, s1
	s_cbranch_execnz .LBB43_145
; %bb.146:
	s_or_b32 exec_lo, exec_lo, s1
	v_mov_b32_e32 v7, 0
	ds_load_b64 v[94:95], v7 offset:264
	s_wait_dscnt 0x0
	v_pk_mul_f32 v[96:97], v[92:93], v[94:95] op_sel:[1,1] op_sel_hi:[0,1]
	s_delay_alu instid0(VALU_DEP_1) | instskip(SKIP_1) | instid1(VALU_DEP_2)
	v_pk_fma_f32 v[98:99], v[92:93], v[94:95], v[96:97] op_sel_hi:[1,0,1]
	v_pk_fma_f32 v[92:93], v[92:93], v[94:95], v[96:97] neg_lo:[0,0,1] neg_hi:[0,0,1]
	v_mov_b32_e32 v93, v99
	scratch_store_b64 off, v[92:93], off offset:264
.LBB43_147:
	s_wait_xcnt 0x0
	s_or_b32 exec_lo, exec_lo, s0
	s_wait_storecnt 0x0
	s_barrier_signal -1
	s_barrier_wait -1
	scratch_load_b64 v[92:93], off, off offset:272
	s_mov_b32 s0, exec_lo
	s_wait_loadcnt 0x0
	ds_store_b64 v1, v[92:93]
	s_wait_dscnt 0x0
	s_barrier_signal -1
	s_barrier_wait -1
	v_cmpx_gt_u32_e32 34, v0
	s_cbranch_execz .LBB43_151
; %bb.148:
	v_dual_mov_b32 v92, 0 :: v_dual_add_nc_u32 v7, -1, v0
	v_add_nc_u32_e32 v11, 0x160, v90
	v_mov_b32_e32 v13, v90
	s_mov_b32 s1, 0
	s_delay_alu instid0(VALU_DEP_3)
	v_mov_b32_e32 v93, v92
.LBB43_149:                             ; =>This Inner Loop Header: Depth=1
	scratch_load_b64 v[94:95], v13, off
	ds_load_b64 v[96:97], v11
	s_wait_xcnt 0x0
	v_dual_add_nc_u32 v11, 8, v11 :: v_dual_add_nc_u32 v13, 8, v13
	s_wait_loadcnt_dscnt 0x0
	v_pk_mul_f32 v[98:99], v[96:97], v[94:95] op_sel:[1,1] op_sel_hi:[0,1]
	s_delay_alu instid0(VALU_DEP_1) | instskip(SKIP_2) | instid1(VALU_DEP_3)
	v_pk_fma_f32 v[100:101], v[96:97], v[94:95], v[98:99] op_sel_hi:[1,0,1]
	v_add_nc_u32_e32 v7, 1, v7
	v_pk_fma_f32 v[94:95], v[96:97], v[94:95], v[98:99] neg_lo:[0,0,1] neg_hi:[0,0,1]
	v_mov_b32_e32 v95, v101
	s_delay_alu instid0(VALU_DEP_3) | instskip(NEXT) | instid1(VALU_DEP_2)
	v_cmp_lt_u32_e32 vcc_lo, 32, v7
	v_pk_add_f32 v[92:93], v[92:93], v[94:95]
	s_or_b32 s1, vcc_lo, s1
	s_delay_alu instid0(SALU_CYCLE_1)
	s_and_not1_b32 exec_lo, exec_lo, s1
	s_cbranch_execnz .LBB43_149
; %bb.150:
	s_or_b32 exec_lo, exec_lo, s1
	v_mov_b32_e32 v7, 0
	ds_load_b64 v[94:95], v7 offset:272
	s_wait_dscnt 0x0
	v_pk_mul_f32 v[96:97], v[92:93], v[94:95] op_sel:[1,1] op_sel_hi:[0,1]
	s_delay_alu instid0(VALU_DEP_1) | instskip(SKIP_1) | instid1(VALU_DEP_2)
	v_pk_fma_f32 v[98:99], v[92:93], v[94:95], v[96:97] op_sel_hi:[1,0,1]
	v_pk_fma_f32 v[92:93], v[92:93], v[94:95], v[96:97] neg_lo:[0,0,1] neg_hi:[0,0,1]
	v_mov_b32_e32 v93, v99
	scratch_store_b64 off, v[92:93], off offset:272
.LBB43_151:
	s_wait_xcnt 0x0
	s_or_b32 exec_lo, exec_lo, s0
	s_wait_storecnt 0x0
	s_barrier_signal -1
	s_barrier_wait -1
	scratch_load_b64 v[92:93], off, off offset:280
	s_mov_b32 s0, exec_lo
	s_wait_loadcnt 0x0
	ds_store_b64 v1, v[92:93]
	s_wait_dscnt 0x0
	s_barrier_signal -1
	s_barrier_wait -1
	v_cmpx_gt_u32_e32 35, v0
	s_cbranch_execz .LBB43_155
; %bb.152:
	v_dual_mov_b32 v92, 0 :: v_dual_add_nc_u32 v7, -1, v0
	v_add_nc_u32_e32 v11, 0x160, v90
	v_mov_b32_e32 v13, v90
	s_mov_b32 s1, 0
	s_delay_alu instid0(VALU_DEP_3)
	v_mov_b32_e32 v93, v92
.LBB43_153:                             ; =>This Inner Loop Header: Depth=1
	scratch_load_b64 v[94:95], v13, off
	ds_load_b64 v[96:97], v11
	s_wait_xcnt 0x0
	v_dual_add_nc_u32 v11, 8, v11 :: v_dual_add_nc_u32 v13, 8, v13
	s_wait_loadcnt_dscnt 0x0
	v_pk_mul_f32 v[98:99], v[96:97], v[94:95] op_sel:[1,1] op_sel_hi:[0,1]
	s_delay_alu instid0(VALU_DEP_1) | instskip(SKIP_2) | instid1(VALU_DEP_3)
	v_pk_fma_f32 v[100:101], v[96:97], v[94:95], v[98:99] op_sel_hi:[1,0,1]
	v_add_nc_u32_e32 v7, 1, v7
	v_pk_fma_f32 v[94:95], v[96:97], v[94:95], v[98:99] neg_lo:[0,0,1] neg_hi:[0,0,1]
	v_mov_b32_e32 v95, v101
	s_delay_alu instid0(VALU_DEP_3) | instskip(NEXT) | instid1(VALU_DEP_2)
	v_cmp_lt_u32_e32 vcc_lo, 33, v7
	v_pk_add_f32 v[92:93], v[92:93], v[94:95]
	s_or_b32 s1, vcc_lo, s1
	s_delay_alu instid0(SALU_CYCLE_1)
	s_and_not1_b32 exec_lo, exec_lo, s1
	s_cbranch_execnz .LBB43_153
; %bb.154:
	s_or_b32 exec_lo, exec_lo, s1
	v_mov_b32_e32 v7, 0
	ds_load_b64 v[94:95], v7 offset:280
	s_wait_dscnt 0x0
	v_pk_mul_f32 v[96:97], v[92:93], v[94:95] op_sel:[1,1] op_sel_hi:[0,1]
	s_delay_alu instid0(VALU_DEP_1) | instskip(SKIP_1) | instid1(VALU_DEP_2)
	v_pk_fma_f32 v[98:99], v[92:93], v[94:95], v[96:97] op_sel_hi:[1,0,1]
	v_pk_fma_f32 v[92:93], v[92:93], v[94:95], v[96:97] neg_lo:[0,0,1] neg_hi:[0,0,1]
	v_mov_b32_e32 v93, v99
	scratch_store_b64 off, v[92:93], off offset:280
.LBB43_155:
	s_wait_xcnt 0x0
	s_or_b32 exec_lo, exec_lo, s0
	s_wait_storecnt 0x0
	s_barrier_signal -1
	s_barrier_wait -1
	scratch_load_b64 v[92:93], off, off offset:288
	s_mov_b32 s0, exec_lo
	s_wait_loadcnt 0x0
	ds_store_b64 v1, v[92:93]
	s_wait_dscnt 0x0
	s_barrier_signal -1
	s_barrier_wait -1
	v_cmpx_gt_u32_e32 36, v0
	s_cbranch_execz .LBB43_159
; %bb.156:
	v_dual_mov_b32 v92, 0 :: v_dual_add_nc_u32 v7, -1, v0
	v_add_nc_u32_e32 v11, 0x160, v90
	v_mov_b32_e32 v13, v90
	s_mov_b32 s1, 0
	s_delay_alu instid0(VALU_DEP_3)
	v_mov_b32_e32 v93, v92
.LBB43_157:                             ; =>This Inner Loop Header: Depth=1
	scratch_load_b64 v[94:95], v13, off
	ds_load_b64 v[96:97], v11
	s_wait_xcnt 0x0
	v_dual_add_nc_u32 v11, 8, v11 :: v_dual_add_nc_u32 v13, 8, v13
	s_wait_loadcnt_dscnt 0x0
	v_pk_mul_f32 v[98:99], v[96:97], v[94:95] op_sel:[1,1] op_sel_hi:[0,1]
	s_delay_alu instid0(VALU_DEP_1) | instskip(SKIP_2) | instid1(VALU_DEP_3)
	v_pk_fma_f32 v[100:101], v[96:97], v[94:95], v[98:99] op_sel_hi:[1,0,1]
	v_add_nc_u32_e32 v7, 1, v7
	v_pk_fma_f32 v[94:95], v[96:97], v[94:95], v[98:99] neg_lo:[0,0,1] neg_hi:[0,0,1]
	v_mov_b32_e32 v95, v101
	s_delay_alu instid0(VALU_DEP_3) | instskip(NEXT) | instid1(VALU_DEP_2)
	v_cmp_lt_u32_e32 vcc_lo, 34, v7
	v_pk_add_f32 v[92:93], v[92:93], v[94:95]
	s_or_b32 s1, vcc_lo, s1
	s_delay_alu instid0(SALU_CYCLE_1)
	s_and_not1_b32 exec_lo, exec_lo, s1
	s_cbranch_execnz .LBB43_157
; %bb.158:
	s_or_b32 exec_lo, exec_lo, s1
	v_mov_b32_e32 v7, 0
	ds_load_b64 v[94:95], v7 offset:288
	s_wait_dscnt 0x0
	v_pk_mul_f32 v[96:97], v[92:93], v[94:95] op_sel:[1,1] op_sel_hi:[0,1]
	s_delay_alu instid0(VALU_DEP_1) | instskip(SKIP_1) | instid1(VALU_DEP_2)
	v_pk_fma_f32 v[98:99], v[92:93], v[94:95], v[96:97] op_sel_hi:[1,0,1]
	v_pk_fma_f32 v[92:93], v[92:93], v[94:95], v[96:97] neg_lo:[0,0,1] neg_hi:[0,0,1]
	v_mov_b32_e32 v93, v99
	scratch_store_b64 off, v[92:93], off offset:288
.LBB43_159:
	s_wait_xcnt 0x0
	s_or_b32 exec_lo, exec_lo, s0
	s_wait_storecnt 0x0
	s_barrier_signal -1
	s_barrier_wait -1
	scratch_load_b64 v[92:93], off, off offset:296
	s_mov_b32 s0, exec_lo
	s_wait_loadcnt 0x0
	ds_store_b64 v1, v[92:93]
	s_wait_dscnt 0x0
	s_barrier_signal -1
	s_barrier_wait -1
	v_cmpx_gt_u32_e32 37, v0
	s_cbranch_execz .LBB43_163
; %bb.160:
	v_dual_mov_b32 v92, 0 :: v_dual_add_nc_u32 v7, -1, v0
	v_add_nc_u32_e32 v11, 0x160, v90
	v_mov_b32_e32 v13, v90
	s_mov_b32 s1, 0
	s_delay_alu instid0(VALU_DEP_3)
	v_mov_b32_e32 v93, v92
.LBB43_161:                             ; =>This Inner Loop Header: Depth=1
	scratch_load_b64 v[94:95], v13, off
	ds_load_b64 v[96:97], v11
	s_wait_xcnt 0x0
	v_dual_add_nc_u32 v11, 8, v11 :: v_dual_add_nc_u32 v13, 8, v13
	s_wait_loadcnt_dscnt 0x0
	v_pk_mul_f32 v[98:99], v[96:97], v[94:95] op_sel:[1,1] op_sel_hi:[0,1]
	s_delay_alu instid0(VALU_DEP_1) | instskip(SKIP_2) | instid1(VALU_DEP_3)
	v_pk_fma_f32 v[100:101], v[96:97], v[94:95], v[98:99] op_sel_hi:[1,0,1]
	v_add_nc_u32_e32 v7, 1, v7
	v_pk_fma_f32 v[94:95], v[96:97], v[94:95], v[98:99] neg_lo:[0,0,1] neg_hi:[0,0,1]
	v_mov_b32_e32 v95, v101
	s_delay_alu instid0(VALU_DEP_3) | instskip(NEXT) | instid1(VALU_DEP_2)
	v_cmp_lt_u32_e32 vcc_lo, 35, v7
	v_pk_add_f32 v[92:93], v[92:93], v[94:95]
	s_or_b32 s1, vcc_lo, s1
	s_delay_alu instid0(SALU_CYCLE_1)
	s_and_not1_b32 exec_lo, exec_lo, s1
	s_cbranch_execnz .LBB43_161
; %bb.162:
	s_or_b32 exec_lo, exec_lo, s1
	v_mov_b32_e32 v7, 0
	ds_load_b64 v[94:95], v7 offset:296
	s_wait_dscnt 0x0
	v_pk_mul_f32 v[96:97], v[92:93], v[94:95] op_sel:[1,1] op_sel_hi:[0,1]
	s_delay_alu instid0(VALU_DEP_1) | instskip(SKIP_1) | instid1(VALU_DEP_2)
	v_pk_fma_f32 v[98:99], v[92:93], v[94:95], v[96:97] op_sel_hi:[1,0,1]
	v_pk_fma_f32 v[92:93], v[92:93], v[94:95], v[96:97] neg_lo:[0,0,1] neg_hi:[0,0,1]
	v_mov_b32_e32 v93, v99
	scratch_store_b64 off, v[92:93], off offset:296
.LBB43_163:
	s_wait_xcnt 0x0
	s_or_b32 exec_lo, exec_lo, s0
	s_wait_storecnt 0x0
	s_barrier_signal -1
	s_barrier_wait -1
	scratch_load_b64 v[92:93], off, off offset:304
	s_mov_b32 s0, exec_lo
	s_wait_loadcnt 0x0
	ds_store_b64 v1, v[92:93]
	s_wait_dscnt 0x0
	s_barrier_signal -1
	s_barrier_wait -1
	v_cmpx_gt_u32_e32 38, v0
	s_cbranch_execz .LBB43_167
; %bb.164:
	v_dual_mov_b32 v92, 0 :: v_dual_add_nc_u32 v7, -1, v0
	v_add_nc_u32_e32 v11, 0x160, v90
	v_mov_b32_e32 v13, v90
	s_mov_b32 s1, 0
	s_delay_alu instid0(VALU_DEP_3)
	v_mov_b32_e32 v93, v92
.LBB43_165:                             ; =>This Inner Loop Header: Depth=1
	scratch_load_b64 v[94:95], v13, off
	ds_load_b64 v[96:97], v11
	s_wait_xcnt 0x0
	v_dual_add_nc_u32 v11, 8, v11 :: v_dual_add_nc_u32 v13, 8, v13
	s_wait_loadcnt_dscnt 0x0
	v_pk_mul_f32 v[98:99], v[96:97], v[94:95] op_sel:[1,1] op_sel_hi:[0,1]
	s_delay_alu instid0(VALU_DEP_1) | instskip(SKIP_2) | instid1(VALU_DEP_3)
	v_pk_fma_f32 v[100:101], v[96:97], v[94:95], v[98:99] op_sel_hi:[1,0,1]
	v_add_nc_u32_e32 v7, 1, v7
	v_pk_fma_f32 v[94:95], v[96:97], v[94:95], v[98:99] neg_lo:[0,0,1] neg_hi:[0,0,1]
	v_mov_b32_e32 v95, v101
	s_delay_alu instid0(VALU_DEP_3) | instskip(NEXT) | instid1(VALU_DEP_2)
	v_cmp_lt_u32_e32 vcc_lo, 36, v7
	v_pk_add_f32 v[92:93], v[92:93], v[94:95]
	s_or_b32 s1, vcc_lo, s1
	s_delay_alu instid0(SALU_CYCLE_1)
	s_and_not1_b32 exec_lo, exec_lo, s1
	s_cbranch_execnz .LBB43_165
; %bb.166:
	s_or_b32 exec_lo, exec_lo, s1
	v_mov_b32_e32 v7, 0
	ds_load_b64 v[94:95], v7 offset:304
	s_wait_dscnt 0x0
	v_pk_mul_f32 v[96:97], v[92:93], v[94:95] op_sel:[1,1] op_sel_hi:[0,1]
	s_delay_alu instid0(VALU_DEP_1) | instskip(SKIP_1) | instid1(VALU_DEP_2)
	v_pk_fma_f32 v[98:99], v[92:93], v[94:95], v[96:97] op_sel_hi:[1,0,1]
	v_pk_fma_f32 v[92:93], v[92:93], v[94:95], v[96:97] neg_lo:[0,0,1] neg_hi:[0,0,1]
	v_mov_b32_e32 v93, v99
	scratch_store_b64 off, v[92:93], off offset:304
.LBB43_167:
	s_wait_xcnt 0x0
	s_or_b32 exec_lo, exec_lo, s0
	s_wait_storecnt 0x0
	s_barrier_signal -1
	s_barrier_wait -1
	scratch_load_b64 v[92:93], off, off offset:312
	s_mov_b32 s0, exec_lo
	s_wait_loadcnt 0x0
	ds_store_b64 v1, v[92:93]
	s_wait_dscnt 0x0
	s_barrier_signal -1
	s_barrier_wait -1
	v_cmpx_gt_u32_e32 39, v0
	s_cbranch_execz .LBB43_171
; %bb.168:
	v_dual_mov_b32 v92, 0 :: v_dual_add_nc_u32 v7, -1, v0
	v_add_nc_u32_e32 v11, 0x160, v90
	v_mov_b32_e32 v13, v90
	s_mov_b32 s1, 0
	s_delay_alu instid0(VALU_DEP_3)
	v_mov_b32_e32 v93, v92
.LBB43_169:                             ; =>This Inner Loop Header: Depth=1
	scratch_load_b64 v[94:95], v13, off
	ds_load_b64 v[96:97], v11
	s_wait_xcnt 0x0
	v_dual_add_nc_u32 v11, 8, v11 :: v_dual_add_nc_u32 v13, 8, v13
	s_wait_loadcnt_dscnt 0x0
	v_pk_mul_f32 v[98:99], v[96:97], v[94:95] op_sel:[1,1] op_sel_hi:[0,1]
	s_delay_alu instid0(VALU_DEP_1) | instskip(SKIP_2) | instid1(VALU_DEP_3)
	v_pk_fma_f32 v[100:101], v[96:97], v[94:95], v[98:99] op_sel_hi:[1,0,1]
	v_add_nc_u32_e32 v7, 1, v7
	v_pk_fma_f32 v[94:95], v[96:97], v[94:95], v[98:99] neg_lo:[0,0,1] neg_hi:[0,0,1]
	v_mov_b32_e32 v95, v101
	s_delay_alu instid0(VALU_DEP_3) | instskip(NEXT) | instid1(VALU_DEP_2)
	v_cmp_lt_u32_e32 vcc_lo, 37, v7
	v_pk_add_f32 v[92:93], v[92:93], v[94:95]
	s_or_b32 s1, vcc_lo, s1
	s_delay_alu instid0(SALU_CYCLE_1)
	s_and_not1_b32 exec_lo, exec_lo, s1
	s_cbranch_execnz .LBB43_169
; %bb.170:
	s_or_b32 exec_lo, exec_lo, s1
	v_mov_b32_e32 v7, 0
	ds_load_b64 v[94:95], v7 offset:312
	s_wait_dscnt 0x0
	v_pk_mul_f32 v[96:97], v[92:93], v[94:95] op_sel:[1,1] op_sel_hi:[0,1]
	s_delay_alu instid0(VALU_DEP_1) | instskip(SKIP_1) | instid1(VALU_DEP_2)
	v_pk_fma_f32 v[98:99], v[92:93], v[94:95], v[96:97] op_sel_hi:[1,0,1]
	v_pk_fma_f32 v[92:93], v[92:93], v[94:95], v[96:97] neg_lo:[0,0,1] neg_hi:[0,0,1]
	v_mov_b32_e32 v93, v99
	scratch_store_b64 off, v[92:93], off offset:312
.LBB43_171:
	s_wait_xcnt 0x0
	s_or_b32 exec_lo, exec_lo, s0
	s_wait_storecnt 0x0
	s_barrier_signal -1
	s_barrier_wait -1
	scratch_load_b64 v[92:93], off, off offset:320
	s_mov_b32 s0, exec_lo
	s_wait_loadcnt 0x0
	ds_store_b64 v1, v[92:93]
	s_wait_dscnt 0x0
	s_barrier_signal -1
	s_barrier_wait -1
	v_cmpx_gt_u32_e32 40, v0
	s_cbranch_execz .LBB43_175
; %bb.172:
	v_dual_mov_b32 v92, 0 :: v_dual_add_nc_u32 v7, -1, v0
	v_add_nc_u32_e32 v11, 0x160, v90
	v_mov_b32_e32 v13, v90
	s_mov_b32 s1, 0
	s_delay_alu instid0(VALU_DEP_3)
	v_mov_b32_e32 v93, v92
.LBB43_173:                             ; =>This Inner Loop Header: Depth=1
	scratch_load_b64 v[94:95], v13, off
	ds_load_b64 v[96:97], v11
	s_wait_xcnt 0x0
	v_dual_add_nc_u32 v11, 8, v11 :: v_dual_add_nc_u32 v13, 8, v13
	s_wait_loadcnt_dscnt 0x0
	v_pk_mul_f32 v[98:99], v[96:97], v[94:95] op_sel:[1,1] op_sel_hi:[0,1]
	s_delay_alu instid0(VALU_DEP_1) | instskip(SKIP_2) | instid1(VALU_DEP_3)
	v_pk_fma_f32 v[100:101], v[96:97], v[94:95], v[98:99] op_sel_hi:[1,0,1]
	v_add_nc_u32_e32 v7, 1, v7
	v_pk_fma_f32 v[94:95], v[96:97], v[94:95], v[98:99] neg_lo:[0,0,1] neg_hi:[0,0,1]
	v_mov_b32_e32 v95, v101
	s_delay_alu instid0(VALU_DEP_3) | instskip(NEXT) | instid1(VALU_DEP_2)
	v_cmp_lt_u32_e32 vcc_lo, 38, v7
	v_pk_add_f32 v[92:93], v[92:93], v[94:95]
	s_or_b32 s1, vcc_lo, s1
	s_delay_alu instid0(SALU_CYCLE_1)
	s_and_not1_b32 exec_lo, exec_lo, s1
	s_cbranch_execnz .LBB43_173
; %bb.174:
	s_or_b32 exec_lo, exec_lo, s1
	v_mov_b32_e32 v7, 0
	ds_load_b64 v[94:95], v7 offset:320
	s_wait_dscnt 0x0
	v_pk_mul_f32 v[96:97], v[92:93], v[94:95] op_sel:[1,1] op_sel_hi:[0,1]
	s_delay_alu instid0(VALU_DEP_1) | instskip(SKIP_1) | instid1(VALU_DEP_2)
	v_pk_fma_f32 v[98:99], v[92:93], v[94:95], v[96:97] op_sel_hi:[1,0,1]
	v_pk_fma_f32 v[92:93], v[92:93], v[94:95], v[96:97] neg_lo:[0,0,1] neg_hi:[0,0,1]
	v_mov_b32_e32 v93, v99
	scratch_store_b64 off, v[92:93], off offset:320
.LBB43_175:
	s_wait_xcnt 0x0
	s_or_b32 exec_lo, exec_lo, s0
	s_wait_storecnt 0x0
	s_barrier_signal -1
	s_barrier_wait -1
	scratch_load_b64 v[92:93], off, off offset:328
	s_mov_b32 s0, exec_lo
	s_wait_loadcnt 0x0
	ds_store_b64 v1, v[92:93]
	s_wait_dscnt 0x0
	s_barrier_signal -1
	s_barrier_wait -1
	v_cmpx_gt_u32_e32 41, v0
	s_cbranch_execz .LBB43_179
; %bb.176:
	v_dual_mov_b32 v92, 0 :: v_dual_add_nc_u32 v7, -1, v0
	v_add_nc_u32_e32 v11, 0x160, v90
	v_mov_b32_e32 v13, v90
	s_mov_b32 s1, 0
	s_delay_alu instid0(VALU_DEP_3)
	v_mov_b32_e32 v93, v92
.LBB43_177:                             ; =>This Inner Loop Header: Depth=1
	scratch_load_b64 v[94:95], v13, off
	ds_load_b64 v[96:97], v11
	s_wait_xcnt 0x0
	v_dual_add_nc_u32 v11, 8, v11 :: v_dual_add_nc_u32 v13, 8, v13
	s_wait_loadcnt_dscnt 0x0
	v_pk_mul_f32 v[98:99], v[96:97], v[94:95] op_sel:[1,1] op_sel_hi:[0,1]
	s_delay_alu instid0(VALU_DEP_1) | instskip(SKIP_2) | instid1(VALU_DEP_3)
	v_pk_fma_f32 v[100:101], v[96:97], v[94:95], v[98:99] op_sel_hi:[1,0,1]
	v_add_nc_u32_e32 v7, 1, v7
	v_pk_fma_f32 v[94:95], v[96:97], v[94:95], v[98:99] neg_lo:[0,0,1] neg_hi:[0,0,1]
	v_mov_b32_e32 v95, v101
	s_delay_alu instid0(VALU_DEP_3) | instskip(NEXT) | instid1(VALU_DEP_2)
	v_cmp_lt_u32_e32 vcc_lo, 39, v7
	v_pk_add_f32 v[92:93], v[92:93], v[94:95]
	s_or_b32 s1, vcc_lo, s1
	s_delay_alu instid0(SALU_CYCLE_1)
	s_and_not1_b32 exec_lo, exec_lo, s1
	s_cbranch_execnz .LBB43_177
; %bb.178:
	s_or_b32 exec_lo, exec_lo, s1
	v_mov_b32_e32 v7, 0
	ds_load_b64 v[94:95], v7 offset:328
	s_wait_dscnt 0x0
	v_pk_mul_f32 v[96:97], v[92:93], v[94:95] op_sel:[1,1] op_sel_hi:[0,1]
	s_delay_alu instid0(VALU_DEP_1) | instskip(SKIP_1) | instid1(VALU_DEP_2)
	v_pk_fma_f32 v[98:99], v[92:93], v[94:95], v[96:97] op_sel_hi:[1,0,1]
	v_pk_fma_f32 v[92:93], v[92:93], v[94:95], v[96:97] neg_lo:[0,0,1] neg_hi:[0,0,1]
	v_mov_b32_e32 v93, v99
	scratch_store_b64 off, v[92:93], off offset:328
.LBB43_179:
	s_wait_xcnt 0x0
	s_or_b32 exec_lo, exec_lo, s0
	s_wait_storecnt 0x0
	s_barrier_signal -1
	s_barrier_wait -1
	scratch_load_b64 v[92:93], off, off offset:336
	s_mov_b32 s0, exec_lo
	s_wait_loadcnt 0x0
	ds_store_b64 v1, v[92:93]
	s_wait_dscnt 0x0
	s_barrier_signal -1
	s_barrier_wait -1
	v_cmpx_gt_u32_e32 42, v0
	s_cbranch_execz .LBB43_183
; %bb.180:
	v_dual_mov_b32 v92, 0 :: v_dual_add_nc_u32 v7, -1, v0
	v_add_nc_u32_e32 v11, 0x160, v90
	v_mov_b32_e32 v13, v90
	s_mov_b32 s1, 0
	s_delay_alu instid0(VALU_DEP_3)
	v_mov_b32_e32 v93, v92
.LBB43_181:                             ; =>This Inner Loop Header: Depth=1
	scratch_load_b64 v[94:95], v13, off
	ds_load_b64 v[96:97], v11
	s_wait_xcnt 0x0
	v_dual_add_nc_u32 v11, 8, v11 :: v_dual_add_nc_u32 v13, 8, v13
	s_wait_loadcnt_dscnt 0x0
	v_pk_mul_f32 v[98:99], v[96:97], v[94:95] op_sel:[1,1] op_sel_hi:[0,1]
	s_delay_alu instid0(VALU_DEP_1) | instskip(SKIP_2) | instid1(VALU_DEP_3)
	v_pk_fma_f32 v[100:101], v[96:97], v[94:95], v[98:99] op_sel_hi:[1,0,1]
	v_add_nc_u32_e32 v7, 1, v7
	v_pk_fma_f32 v[94:95], v[96:97], v[94:95], v[98:99] neg_lo:[0,0,1] neg_hi:[0,0,1]
	v_mov_b32_e32 v95, v101
	s_delay_alu instid0(VALU_DEP_3) | instskip(NEXT) | instid1(VALU_DEP_2)
	v_cmp_lt_u32_e32 vcc_lo, 40, v7
	v_pk_add_f32 v[92:93], v[92:93], v[94:95]
	s_or_b32 s1, vcc_lo, s1
	s_delay_alu instid0(SALU_CYCLE_1)
	s_and_not1_b32 exec_lo, exec_lo, s1
	s_cbranch_execnz .LBB43_181
; %bb.182:
	s_or_b32 exec_lo, exec_lo, s1
	v_mov_b32_e32 v7, 0
	ds_load_b64 v[94:95], v7 offset:336
	s_wait_dscnt 0x0
	v_pk_mul_f32 v[96:97], v[92:93], v[94:95] op_sel:[1,1] op_sel_hi:[0,1]
	s_delay_alu instid0(VALU_DEP_1) | instskip(SKIP_1) | instid1(VALU_DEP_2)
	v_pk_fma_f32 v[98:99], v[92:93], v[94:95], v[96:97] op_sel_hi:[1,0,1]
	v_pk_fma_f32 v[92:93], v[92:93], v[94:95], v[96:97] neg_lo:[0,0,1] neg_hi:[0,0,1]
	v_mov_b32_e32 v93, v99
	scratch_store_b64 off, v[92:93], off offset:336
.LBB43_183:
	s_wait_xcnt 0x0
	s_or_b32 exec_lo, exec_lo, s0
	s_wait_storecnt 0x0
	s_barrier_signal -1
	s_barrier_wait -1
	scratch_load_b64 v[92:93], off, off offset:344
	s_mov_b32 s0, exec_lo
	s_wait_loadcnt 0x0
	ds_store_b64 v1, v[92:93]
	s_wait_dscnt 0x0
	s_barrier_signal -1
	s_barrier_wait -1
	v_cmpx_ne_u32_e32 43, v0
	s_cbranch_execz .LBB43_187
; %bb.184:
	v_dual_mov_b32 v92, 0 :: v_dual_mov_b32 v7, v90
	s_mov_b32 s1, 0
	s_delay_alu instid0(VALU_DEP_1)
	v_mov_b32_e32 v93, v92
.LBB43_185:                             ; =>This Inner Loop Header: Depth=1
	scratch_load_b64 v[90:91], v7, off
	ds_load_b64 v[94:95], v1
	s_wait_xcnt 0x0
	v_dual_add_nc_u32 v1, 8, v1 :: v_dual_add_nc_u32 v7, 8, v7
	s_wait_loadcnt_dscnt 0x0
	v_pk_mul_f32 v[96:97], v[94:95], v[90:91] op_sel:[1,1] op_sel_hi:[0,1]
	s_delay_alu instid0(VALU_DEP_1) | instskip(SKIP_2) | instid1(VALU_DEP_3)
	v_pk_fma_f32 v[98:99], v[94:95], v[90:91], v[96:97] op_sel_hi:[1,0,1]
	v_add_nc_u32_e32 v5, 1, v5
	v_pk_fma_f32 v[90:91], v[94:95], v[90:91], v[96:97] neg_lo:[0,0,1] neg_hi:[0,0,1]
	v_mov_b32_e32 v91, v99
	s_delay_alu instid0(VALU_DEP_3) | instskip(NEXT) | instid1(VALU_DEP_2)
	v_cmp_lt_u32_e32 vcc_lo, 41, v5
	v_pk_add_f32 v[92:93], v[92:93], v[90:91]
	s_or_b32 s1, vcc_lo, s1
	s_delay_alu instid0(SALU_CYCLE_1)
	s_and_not1_b32 exec_lo, exec_lo, s1
	s_cbranch_execnz .LBB43_185
; %bb.186:
	s_or_b32 exec_lo, exec_lo, s1
	v_mov_b32_e32 v1, 0
	ds_load_b64 v[90:91], v1 offset:344
	s_wait_dscnt 0x0
	v_pk_mul_f32 v[94:95], v[92:93], v[90:91] op_sel:[1,1] op_sel_hi:[0,1]
	s_delay_alu instid0(VALU_DEP_1) | instskip(SKIP_1) | instid1(VALU_DEP_2)
	v_pk_fma_f32 v[96:97], v[92:93], v[90:91], v[94:95] op_sel_hi:[1,0,1]
	v_pk_fma_f32 v[90:91], v[92:93], v[90:91], v[94:95] neg_lo:[0,0,1] neg_hi:[0,0,1]
	v_mov_b32_e32 v91, v97
	scratch_store_b64 off, v[90:91], off offset:344
.LBB43_187:
	s_wait_xcnt 0x0
	s_or_b32 exec_lo, exec_lo, s0
	s_mov_b32 s1, -1
	s_wait_storecnt 0x0
	s_barrier_signal -1
	s_barrier_wait -1
.LBB43_188:
	s_and_b32 vcc_lo, exec_lo, s1
	s_cbranch_vccz .LBB43_190
; %bb.189:
	v_mov_b32_e32 v1, 0
	s_lshl_b64 s[0:1], s[16:17], 2
	s_delay_alu instid0(SALU_CYCLE_1)
	s_add_nc_u64 s[0:1], s[6:7], s[0:1]
	global_load_b32 v1, v1, s[0:1]
	s_wait_loadcnt 0x0
	v_cmp_ne_u32_e32 vcc_lo, 0, v1
	s_cbranch_vccz .LBB43_191
.LBB43_190:
	s_sendmsg sendmsg(MSG_DEALLOC_VGPRS)
	s_endpgm
.LBB43_191:
	s_wait_xcnt 0x0
	v_lshl_add_u32 v1, v0, 3, 0x160
	s_mov_b32 s0, exec_lo
	v_cmpx_eq_u32_e32 43, v0
	s_cbranch_execz .LBB43_193
; %bb.192:
	scratch_load_b64 v[90:91], off, off offset:336
	v_mov_b64_e32 v[92:93], 0
	scratch_store_b64 off, v[92:93], off offset:336
	s_wait_loadcnt 0x0
	ds_store_b64 v1, v[90:91]
.LBB43_193:
	s_wait_xcnt 0x0
	s_or_b32 exec_lo, exec_lo, s0
	s_wait_storecnt_dscnt 0x0
	s_barrier_signal -1
	s_barrier_wait -1
	s_clause 0x1
	scratch_load_b64 v[90:91], off, off offset:344
	scratch_load_b64 v[92:93], off, off offset:336
	v_mov_b32_e32 v5, 0
	s_mov_b32 s0, exec_lo
	ds_load_b64 v[94:95], v5 offset:696
	s_wait_loadcnt_dscnt 0x100
	v_pk_mul_f32 v[96:97], v[94:95], v[90:91] op_sel:[1,1] op_sel_hi:[0,1]
	s_delay_alu instid0(VALU_DEP_1) | instskip(SKIP_1) | instid1(VALU_DEP_2)
	v_pk_fma_f32 v[98:99], v[94:95], v[90:91], v[96:97] op_sel_hi:[1,0,1]
	v_pk_fma_f32 v[90:91], v[94:95], v[90:91], v[96:97] neg_lo:[0,0,1] neg_hi:[0,0,1]
	v_mov_b32_e32 v91, v99
	s_delay_alu instid0(VALU_DEP_1) | instskip(SKIP_1) | instid1(VALU_DEP_1)
	v_pk_add_f32 v[90:91], v[90:91], 0 op_sel_hi:[1,0]
	s_wait_loadcnt 0x0
	v_pk_add_f32 v[90:91], v[92:93], v[90:91] neg_lo:[0,1] neg_hi:[0,1]
	scratch_store_b64 off, v[90:91], off offset:336
	s_wait_xcnt 0x0
	v_cmpx_lt_u32_e32 41, v0
	s_cbranch_execz .LBB43_195
; %bb.194:
	scratch_load_b64 v[90:91], off, off offset:328
	v_mov_b64_e32 v[92:93], 0
	scratch_store_b64 off, v[92:93], off offset:328
	s_wait_loadcnt 0x0
	ds_store_b64 v1, v[90:91]
.LBB43_195:
	s_wait_xcnt 0x0
	s_or_b32 exec_lo, exec_lo, s0
	s_wait_storecnt_dscnt 0x0
	s_barrier_signal -1
	s_barrier_wait -1
	s_clause 0x1
	scratch_load_b128 v[90:93], off, off offset:336
	scratch_load_b64 v[98:99], off, off offset:328
	ds_load_b128 v[94:97], v5 offset:688
	s_mov_b32 s0, exec_lo
	s_wait_dscnt 0x0
	v_dual_mov_b32 v100, v97 :: v_dual_mov_b32 v101, v96
	s_wait_loadcnt 0x1
	v_pk_mul_f32 v[102:103], v[94:95], v[90:91] op_sel:[1,1] op_sel_hi:[0,1]
	s_delay_alu instid0(VALU_DEP_1) | instskip(SKIP_2) | instid1(VALU_DEP_3)
	v_pk_fma_f32 v[106:107], v[94:95], v[90:91], v[102:103] op_sel_hi:[1,0,1]
	v_mov_b32_e32 v104, v93
	v_pk_fma_f32 v[90:91], v[94:95], v[90:91], v[102:103] neg_lo:[0,0,1] neg_hi:[0,0,1]
	v_mov_b32_e32 v91, v107
	s_delay_alu instid0(VALU_DEP_3) | instskip(NEXT) | instid1(VALU_DEP_2)
	v_pk_mul_f32 v[100:101], v[100:101], v[104:105] op_sel_hi:[1,0]
	v_pk_add_f32 v[90:91], v[90:91], 0 op_sel_hi:[1,0]
	s_delay_alu instid0(VALU_DEP_2) | instskip(SKIP_1) | instid1(VALU_DEP_2)
	v_pk_fma_f32 v[94:95], v[96:97], v[92:93], v[100:101] op_sel_hi:[1,0,1]
	v_pk_fma_f32 v[92:93], v[96:97], v[92:93], v[100:101] neg_lo:[0,0,1] neg_hi:[0,0,1]
	v_mov_b32_e32 v93, v95
	s_delay_alu instid0(VALU_DEP_1) | instskip(SKIP_1) | instid1(VALU_DEP_1)
	v_pk_add_f32 v[90:91], v[90:91], v[92:93]
	s_wait_loadcnt 0x0
	v_pk_add_f32 v[90:91], v[98:99], v[90:91] neg_lo:[0,1] neg_hi:[0,1]
	scratch_store_b64 off, v[90:91], off offset:328
	s_wait_xcnt 0x0
	v_cmpx_lt_u32_e32 40, v0
	s_cbranch_execz .LBB43_197
; %bb.196:
	scratch_load_b64 v[90:91], off, off offset:320
	v_mov_b64_e32 v[92:93], 0
	scratch_store_b64 off, v[92:93], off offset:320
	s_wait_loadcnt 0x0
	ds_store_b64 v1, v[90:91]
.LBB43_197:
	s_wait_xcnt 0x0
	s_or_b32 exec_lo, exec_lo, s0
	s_wait_storecnt_dscnt 0x0
	s_barrier_signal -1
	s_barrier_wait -1
	s_clause 0x2
	scratch_load_b128 v[90:93], off, off offset:328
	scratch_load_b64 v[98:99], off, off offset:344
	scratch_load_b64 v[100:101], off, off offset:320
	v_mov_b32_e32 v5, 0
	ds_load_2addr_b64 v[94:97], v5 offset0:85 offset1:86
	ds_load_b64 v[102:103], v5 offset:696
	s_mov_b32 s0, exec_lo
	s_wait_dscnt 0x1
	v_dual_mov_b32 v104, v97 :: v_dual_mov_b32 v105, v96
	s_wait_loadcnt 0x2
	v_mov_b32_e32 v108, v93
	v_pk_mul_f32 v[106:107], v[94:95], v[90:91] op_sel:[1,1] op_sel_hi:[0,1]
	s_delay_alu instid0(VALU_DEP_2) | instskip(NEXT) | instid1(VALU_DEP_2)
	v_pk_mul_f32 v[104:105], v[104:105], v[108:109] op_sel_hi:[1,0]
	v_pk_fma_f32 v[110:111], v[94:95], v[90:91], v[106:107] op_sel_hi:[1,0,1]
	v_pk_fma_f32 v[90:91], v[94:95], v[90:91], v[106:107] neg_lo:[0,0,1] neg_hi:[0,0,1]
	s_wait_loadcnt_dscnt 0x100
	v_pk_mul_f32 v[106:107], v[102:103], v[98:99] op_sel:[1,1] op_sel_hi:[0,1]
	v_pk_fma_f32 v[94:95], v[96:97], v[92:93], v[104:105] op_sel_hi:[1,0,1]
	v_mov_b32_e32 v91, v111
	v_pk_fma_f32 v[92:93], v[96:97], v[92:93], v[104:105] neg_lo:[0,0,1] neg_hi:[0,0,1]
	s_delay_alu instid0(VALU_DEP_4) | instskip(NEXT) | instid1(VALU_DEP_4)
	v_pk_fma_f32 v[96:97], v[102:103], v[98:99], v[106:107] neg_lo:[0,0,1] neg_hi:[0,0,1]
	v_mov_b32_e32 v93, v95
	s_delay_alu instid0(VALU_DEP_4) | instskip(SKIP_1) | instid1(VALU_DEP_2)
	v_pk_add_f32 v[90:91], v[90:91], 0 op_sel_hi:[1,0]
	v_pk_fma_f32 v[94:95], v[102:103], v[98:99], v[106:107] op_sel_hi:[1,0,1]
	v_pk_add_f32 v[90:91], v[90:91], v[92:93]
	s_delay_alu instid0(VALU_DEP_2) | instskip(NEXT) | instid1(VALU_DEP_1)
	v_mov_b32_e32 v97, v95
	v_pk_add_f32 v[90:91], v[90:91], v[96:97]
	s_wait_loadcnt 0x0
	s_delay_alu instid0(VALU_DEP_1)
	v_pk_add_f32 v[90:91], v[100:101], v[90:91] neg_lo:[0,1] neg_hi:[0,1]
	scratch_store_b64 off, v[90:91], off offset:320
	s_wait_xcnt 0x0
	v_cmpx_lt_u32_e32 39, v0
	s_cbranch_execz .LBB43_199
; %bb.198:
	scratch_load_b64 v[90:91], off, off offset:312
	v_mov_b64_e32 v[92:93], 0
	scratch_store_b64 off, v[92:93], off offset:312
	s_wait_loadcnt 0x0
	ds_store_b64 v1, v[90:91]
.LBB43_199:
	s_wait_xcnt 0x0
	s_or_b32 exec_lo, exec_lo, s0
	s_wait_storecnt_dscnt 0x0
	s_barrier_signal -1
	s_barrier_wait -1
	s_clause 0x2
	scratch_load_b128 v[90:93], off, off offset:320
	scratch_load_b128 v[94:97], off, off offset:336
	scratch_load_b64 v[106:107], off, off offset:312
	ds_load_b128 v[98:101], v5 offset:672
	ds_load_b128 v[102:105], v5 offset:688
	s_mov_b32 s0, exec_lo
	s_wait_dscnt 0x1
	v_dual_mov_b32 v108, v101 :: v_dual_mov_b32 v109, v100
	s_wait_loadcnt_dscnt 0x200
	v_dual_mov_b32 v114, v105 :: v_dual_mov_b32 v112, v93
	v_pk_mul_f32 v[110:111], v[98:99], v[90:91] op_sel:[1,1] op_sel_hi:[0,1]
	s_delay_alu instid0(VALU_DEP_2) | instskip(NEXT) | instid1(VALU_DEP_2)
	v_pk_mul_f32 v[108:109], v[108:109], v[112:113] op_sel_hi:[1,0]
	v_pk_fma_f32 v[116:117], v[98:99], v[90:91], v[110:111] op_sel_hi:[1,0,1]
	v_pk_fma_f32 v[90:91], v[98:99], v[90:91], v[110:111] neg_lo:[0,0,1] neg_hi:[0,0,1]
	v_mov_b32_e32 v115, v104
	s_wait_loadcnt 0x1
	v_pk_mul_f32 v[112:113], v[102:103], v[94:95] op_sel:[1,1] op_sel_hi:[0,1]
	v_pk_fma_f32 v[98:99], v[100:101], v[92:93], v[108:109] op_sel_hi:[1,0,1]
	v_dual_mov_b32 v91, v117 :: v_dual_mov_b32 v98, v97
	v_pk_fma_f32 v[92:93], v[100:101], v[92:93], v[108:109] neg_lo:[0,0,1] neg_hi:[0,0,1]
	s_delay_alu instid0(VALU_DEP_4) | instskip(NEXT) | instid1(VALU_DEP_4)
	v_pk_fma_f32 v[110:111], v[102:103], v[94:95], v[112:113] op_sel_hi:[1,0,1]
	v_mov_b32_e32 v93, v99
	s_delay_alu instid0(VALU_DEP_4) | instskip(SKIP_2) | instid1(VALU_DEP_3)
	v_pk_add_f32 v[90:91], v[90:91], 0 op_sel_hi:[1,0]
	v_pk_mul_f32 v[98:99], v[114:115], v[98:99] op_sel_hi:[1,0]
	v_pk_fma_f32 v[94:95], v[102:103], v[94:95], v[112:113] neg_lo:[0,0,1] neg_hi:[0,0,1]
	v_pk_add_f32 v[90:91], v[90:91], v[92:93]
	s_delay_alu instid0(VALU_DEP_3) | instskip(SKIP_2) | instid1(VALU_DEP_3)
	v_pk_fma_f32 v[92:93], v[104:105], v[96:97], v[98:99] op_sel_hi:[1,0,1]
	v_mov_b32_e32 v95, v111
	v_pk_fma_f32 v[96:97], v[104:105], v[96:97], v[98:99] neg_lo:[0,0,1] neg_hi:[0,0,1]
	v_mov_b32_e32 v97, v93
	s_delay_alu instid0(VALU_DEP_3) | instskip(NEXT) | instid1(VALU_DEP_1)
	v_pk_add_f32 v[90:91], v[90:91], v[94:95]
	v_pk_add_f32 v[90:91], v[90:91], v[96:97]
	s_wait_loadcnt 0x0
	s_delay_alu instid0(VALU_DEP_1)
	v_pk_add_f32 v[90:91], v[106:107], v[90:91] neg_lo:[0,1] neg_hi:[0,1]
	scratch_store_b64 off, v[90:91], off offset:312
	s_wait_xcnt 0x0
	v_cmpx_lt_u32_e32 38, v0
	s_cbranch_execz .LBB43_201
; %bb.200:
	scratch_load_b64 v[90:91], off, off offset:304
	v_mov_b64_e32 v[92:93], 0
	scratch_store_b64 off, v[92:93], off offset:304
	s_wait_loadcnt 0x0
	ds_store_b64 v1, v[90:91]
.LBB43_201:
	s_wait_xcnt 0x0
	s_or_b32 exec_lo, exec_lo, s0
	s_wait_storecnt_dscnt 0x0
	s_barrier_signal -1
	s_barrier_wait -1
	s_clause 0x3
	scratch_load_b128 v[90:93], off, off offset:312
	scratch_load_b128 v[94:97], off, off offset:328
	scratch_load_b64 v[106:107], off, off offset:344
	scratch_load_b64 v[108:109], off, off offset:304
	v_mov_b32_e32 v5, 0
	ds_load_2addr_b64 v[98:101], v5 offset0:83 offset1:84
	ds_load_2addr_b64 v[102:105], v5 offset0:85 offset1:86
	s_mov_b32 s0, exec_lo
	s_wait_dscnt 0x1
	v_dual_mov_b32 v110, v101 :: v_dual_mov_b32 v111, v100
	ds_load_b64 v[116:117], v5 offset:696
	s_wait_dscnt 0x1
	v_dual_mov_b32 v118, v105 :: v_dual_mov_b32 v119, v104
	s_wait_loadcnt 0x3
	v_pk_mul_f32 v[112:113], v[98:99], v[90:91] op_sel:[1,1] op_sel_hi:[0,1]
	v_mov_b32_e32 v114, v93
	s_delay_alu instid0(VALU_DEP_2) | instskip(NEXT) | instid1(VALU_DEP_2)
	v_pk_fma_f32 v[120:121], v[98:99], v[90:91], v[112:113] op_sel_hi:[1,0,1]
	v_pk_mul_f32 v[110:111], v[110:111], v[114:115] op_sel_hi:[1,0]
	v_pk_fma_f32 v[90:91], v[98:99], v[90:91], v[112:113] neg_lo:[0,0,1] neg_hi:[0,0,1]
	s_wait_loadcnt 0x2
	v_pk_mul_f32 v[114:115], v[102:103], v[94:95] op_sel:[1,1] op_sel_hi:[0,1]
	v_dual_mov_b32 v120, v97 :: v_dual_mov_b32 v91, v121
	v_pk_fma_f32 v[98:99], v[100:101], v[92:93], v[110:111] op_sel_hi:[1,0,1]
	v_pk_fma_f32 v[92:93], v[100:101], v[92:93], v[110:111] neg_lo:[0,0,1] neg_hi:[0,0,1]
	s_delay_alu instid0(VALU_DEP_4) | instskip(NEXT) | instid1(VALU_DEP_4)
	v_pk_fma_f32 v[112:113], v[102:103], v[94:95], v[114:115] op_sel_hi:[1,0,1]
	v_pk_mul_f32 v[118:119], v[118:119], v[120:121] op_sel_hi:[1,0]
	v_pk_add_f32 v[90:91], v[90:91], 0 op_sel_hi:[1,0]
	v_mov_b32_e32 v93, v99
	v_pk_fma_f32 v[94:95], v[102:103], v[94:95], v[114:115] neg_lo:[0,0,1] neg_hi:[0,0,1]
	v_mov_b32_e32 v95, v113
	v_pk_fma_f32 v[98:99], v[104:105], v[96:97], v[118:119] op_sel_hi:[1,0,1]
	v_pk_fma_f32 v[96:97], v[104:105], v[96:97], v[118:119] neg_lo:[0,0,1] neg_hi:[0,0,1]
	v_pk_add_f32 v[90:91], v[90:91], v[92:93]
	s_wait_loadcnt_dscnt 0x100
	v_pk_mul_f32 v[92:93], v[116:117], v[106:107] op_sel:[1,1] op_sel_hi:[0,1]
	s_delay_alu instid0(VALU_DEP_2) | instskip(NEXT) | instid1(VALU_DEP_2)
	v_pk_add_f32 v[90:91], v[90:91], v[94:95]
	v_pk_fma_f32 v[94:95], v[116:117], v[106:107], v[92:93] op_sel_hi:[1,0,1]
	v_mov_b32_e32 v97, v99
	v_pk_fma_f32 v[92:93], v[116:117], v[106:107], v[92:93] neg_lo:[0,0,1] neg_hi:[0,0,1]
	s_delay_alu instid0(VALU_DEP_3) | instskip(NEXT) | instid1(VALU_DEP_3)
	v_mov_b32_e32 v93, v95
	v_pk_add_f32 v[90:91], v[90:91], v[96:97]
	s_delay_alu instid0(VALU_DEP_1) | instskip(SKIP_1) | instid1(VALU_DEP_1)
	v_pk_add_f32 v[90:91], v[90:91], v[92:93]
	s_wait_loadcnt 0x0
	v_pk_add_f32 v[90:91], v[108:109], v[90:91] neg_lo:[0,1] neg_hi:[0,1]
	scratch_store_b64 off, v[90:91], off offset:304
	s_wait_xcnt 0x0
	v_cmpx_lt_u32_e32 37, v0
	s_cbranch_execz .LBB43_203
; %bb.202:
	scratch_load_b64 v[90:91], off, off offset:296
	v_mov_b64_e32 v[92:93], 0
	scratch_store_b64 off, v[92:93], off offset:296
	s_wait_loadcnt 0x0
	ds_store_b64 v1, v[90:91]
.LBB43_203:
	s_wait_xcnt 0x0
	s_or_b32 exec_lo, exec_lo, s0
	s_wait_storecnt_dscnt 0x0
	s_barrier_signal -1
	s_barrier_wait -1
	s_clause 0x3
	scratch_load_b128 v[90:93], off, off offset:304
	scratch_load_b128 v[94:97], off, off offset:320
	;; [unrolled: 1-line block ×3, first 2 shown]
	scratch_load_b64 v[114:115], off, off offset:296
	ds_load_b128 v[102:105], v5 offset:656
	ds_load_b128 v[106:109], v5 offset:672
	;; [unrolled: 1-line block ×3, first 2 shown]
	s_mov_b32 s0, exec_lo
	s_wait_dscnt 0x2
	v_dual_mov_b32 v116, v105 :: v_dual_mov_b32 v117, v104
	s_wait_dscnt 0x1
	v_dual_mov_b32 v118, v109 :: v_dual_mov_b32 v119, v108
	;; [unrolled: 2-line block ×3, first 2 shown]
	s_wait_loadcnt 0x3
	v_pk_mul_f32 v[120:121], v[102:103], v[90:91] op_sel:[1,1] op_sel_hi:[0,1]
	v_mov_b32_e32 v122, v93
	s_delay_alu instid0(VALU_DEP_2) | instskip(NEXT) | instid1(VALU_DEP_2)
	v_pk_fma_f32 v[126:127], v[102:103], v[90:91], v[120:121] op_sel_hi:[1,0,1]
	v_pk_mul_f32 v[116:117], v[116:117], v[122:123] op_sel_hi:[1,0]
	v_pk_fma_f32 v[90:91], v[102:103], v[90:91], v[120:121] neg_lo:[0,0,1] neg_hi:[0,0,1]
	s_wait_loadcnt 0x2
	v_pk_mul_f32 v[122:123], v[106:107], v[94:95] op_sel:[1,1] op_sel_hi:[0,1]
	v_mov_b32_e32 v126, v97
	v_pk_fma_f32 v[102:103], v[104:105], v[92:93], v[116:117] op_sel_hi:[1,0,1]
	v_mov_b32_e32 v91, v127
	v_pk_fma_f32 v[92:93], v[104:105], v[92:93], v[116:117] neg_lo:[0,0,1] neg_hi:[0,0,1]
	v_pk_fma_f32 v[120:121], v[106:107], v[94:95], v[122:123] op_sel_hi:[1,0,1]
	v_pk_mul_f32 v[118:119], v[118:119], v[126:127] op_sel_hi:[1,0]
	v_mov_b32_e32 v93, v103
	v_pk_add_f32 v[90:91], v[90:91], 0 op_sel_hi:[1,0]
	v_pk_fma_f32 v[94:95], v[106:107], v[94:95], v[122:123] neg_lo:[0,0,1] neg_hi:[0,0,1]
	s_wait_loadcnt 0x1
	v_pk_mul_f32 v[102:103], v[110:111], v[98:99] op_sel:[1,1] op_sel_hi:[0,1]
	v_mov_b32_e32 v95, v121
	v_pk_fma_f32 v[104:105], v[108:109], v[96:97], v[118:119] op_sel_hi:[1,0,1]
	v_pk_add_f32 v[90:91], v[90:91], v[92:93]
	v_mov_b32_e32 v92, v101
	v_pk_fma_f32 v[96:97], v[108:109], v[96:97], v[118:119] neg_lo:[0,0,1] neg_hi:[0,0,1]
	v_pk_fma_f32 v[106:107], v[110:111], v[98:99], v[102:103] op_sel_hi:[1,0,1]
	v_mov_b32_e32 v97, v105
	v_pk_add_f32 v[90:91], v[90:91], v[94:95]
	v_pk_mul_f32 v[92:93], v[124:125], v[92:93] op_sel_hi:[1,0]
	v_pk_fma_f32 v[94:95], v[110:111], v[98:99], v[102:103] neg_lo:[0,0,1] neg_hi:[0,0,1]
	v_mov_b32_e32 v95, v107
	s_delay_alu instid0(VALU_DEP_4) | instskip(NEXT) | instid1(VALU_DEP_4)
	v_pk_add_f32 v[90:91], v[90:91], v[96:97]
	v_pk_fma_f32 v[96:97], v[112:113], v[100:101], v[92:93] op_sel_hi:[1,0,1]
	v_pk_fma_f32 v[92:93], v[112:113], v[100:101], v[92:93] neg_lo:[0,0,1] neg_hi:[0,0,1]
	s_delay_alu instid0(VALU_DEP_3) | instskip(NEXT) | instid1(VALU_DEP_3)
	v_pk_add_f32 v[90:91], v[90:91], v[94:95]
	v_mov_b32_e32 v93, v97
	s_delay_alu instid0(VALU_DEP_1) | instskip(SKIP_1) | instid1(VALU_DEP_1)
	v_pk_add_f32 v[90:91], v[90:91], v[92:93]
	s_wait_loadcnt 0x0
	v_pk_add_f32 v[90:91], v[114:115], v[90:91] neg_lo:[0,1] neg_hi:[0,1]
	scratch_store_b64 off, v[90:91], off offset:296
	s_wait_xcnt 0x0
	v_cmpx_lt_u32_e32 36, v0
	s_cbranch_execz .LBB43_205
; %bb.204:
	scratch_load_b64 v[90:91], off, off offset:288
	v_mov_b64_e32 v[92:93], 0
	scratch_store_b64 off, v[92:93], off offset:288
	s_wait_loadcnt 0x0
	ds_store_b64 v1, v[90:91]
.LBB43_205:
	s_wait_xcnt 0x0
	s_or_b32 exec_lo, exec_lo, s0
	s_wait_storecnt_dscnt 0x0
	s_barrier_signal -1
	s_barrier_wait -1
	s_clause 0x4
	scratch_load_b128 v[90:93], off, off offset:296
	scratch_load_b128 v[94:97], off, off offset:312
	scratch_load_b128 v[98:101], off, off offset:328
	scratch_load_b64 v[114:115], off, off offset:344
	scratch_load_b64 v[116:117], off, off offset:288
	v_mov_b32_e32 v5, 0
	ds_load_2addr_b64 v[102:105], v5 offset0:81 offset1:82
	ds_load_2addr_b64 v[106:109], v5 offset0:83 offset1:84
	;; [unrolled: 1-line block ×3, first 2 shown]
	ds_load_b64 v[118:119], v5 offset:696
	s_mov_b32 s0, exec_lo
	s_wait_dscnt 0x3
	v_dual_mov_b32 v120, v105 :: v_dual_mov_b32 v121, v104
	s_wait_dscnt 0x2
	v_dual_mov_b32 v122, v109 :: v_dual_mov_b32 v123, v108
	;; [unrolled: 2-line block ×3, first 2 shown]
	s_wait_loadcnt 0x4
	v_pk_mul_f32 v[124:125], v[102:103], v[90:91] op_sel:[1,1] op_sel_hi:[0,1]
	v_mov_b32_e32 v126, v93
	s_wait_loadcnt 0x3
	v_pk_mul_f32 v[130:131], v[106:107], v[94:95] op_sel:[1,1] op_sel_hi:[0,1]
	s_wait_loadcnt 0x2
	v_pk_mul_f32 v[134:135], v[110:111], v[98:99] op_sel:[1,1] op_sel_hi:[0,1]
	v_pk_fma_f32 v[132:133], v[102:103], v[90:91], v[124:125] op_sel_hi:[1,0,1]
	v_pk_mul_f32 v[120:121], v[120:121], v[126:127] op_sel_hi:[1,0]
	v_pk_fma_f32 v[90:91], v[102:103], v[90:91], v[124:125] neg_lo:[0,0,1] neg_hi:[0,0,1]
	v_mov_b32_e32 v126, v97
	v_pk_fma_f32 v[124:125], v[106:107], v[94:95], v[130:131] op_sel_hi:[1,0,1]
	v_mov_b32_e32 v91, v133
	v_pk_fma_f32 v[102:103], v[104:105], v[92:93], v[120:121] op_sel_hi:[1,0,1]
	v_pk_fma_f32 v[92:93], v[104:105], v[92:93], v[120:121] neg_lo:[0,0,1] neg_hi:[0,0,1]
	v_pk_mul_f32 v[122:123], v[122:123], v[126:127] op_sel_hi:[1,0]
	v_pk_fma_f32 v[94:95], v[106:107], v[94:95], v[130:131] neg_lo:[0,0,1] neg_hi:[0,0,1]
	v_pk_add_f32 v[90:91], v[90:91], 0 op_sel_hi:[1,0]
	v_dual_mov_b32 v93, v103 :: v_dual_mov_b32 v102, v101
	s_delay_alu instid0(VALU_DEP_4) | instskip(SKIP_2) | instid1(VALU_DEP_4)
	v_pk_fma_f32 v[104:105], v[108:109], v[96:97], v[122:123] op_sel_hi:[1,0,1]
	v_mov_b32_e32 v95, v125
	v_pk_fma_f32 v[96:97], v[108:109], v[96:97], v[122:123] neg_lo:[0,0,1] neg_hi:[0,0,1]
	v_pk_add_f32 v[90:91], v[90:91], v[92:93]
	v_pk_fma_f32 v[92:93], v[110:111], v[98:99], v[134:135] op_sel_hi:[1,0,1]
	v_pk_mul_f32 v[102:103], v[128:129], v[102:103] op_sel_hi:[1,0]
	v_mov_b32_e32 v97, v105
	s_delay_alu instid0(VALU_DEP_4)
	v_pk_add_f32 v[90:91], v[90:91], v[94:95]
	v_pk_fma_f32 v[94:95], v[110:111], v[98:99], v[134:135] neg_lo:[0,0,1] neg_hi:[0,0,1]
	v_mov_b32_e32 v95, v93
	v_pk_fma_f32 v[92:93], v[112:113], v[100:101], v[102:103] op_sel_hi:[1,0,1]
	v_pk_fma_f32 v[98:99], v[112:113], v[100:101], v[102:103] neg_lo:[0,0,1] neg_hi:[0,0,1]
	v_pk_add_f32 v[90:91], v[90:91], v[96:97]
	s_wait_loadcnt_dscnt 0x100
	v_pk_mul_f32 v[96:97], v[118:119], v[114:115] op_sel:[1,1] op_sel_hi:[0,1]
	v_mov_b32_e32 v99, v93
	s_delay_alu instid0(VALU_DEP_3) | instskip(NEXT) | instid1(VALU_DEP_3)
	v_pk_add_f32 v[90:91], v[90:91], v[94:95]
	v_pk_fma_f32 v[92:93], v[118:119], v[114:115], v[96:97] op_sel_hi:[1,0,1]
	v_pk_fma_f32 v[94:95], v[118:119], v[114:115], v[96:97] neg_lo:[0,0,1] neg_hi:[0,0,1]
	s_delay_alu instid0(VALU_DEP_3) | instskip(NEXT) | instid1(VALU_DEP_3)
	v_pk_add_f32 v[90:91], v[90:91], v[98:99]
	v_mov_b32_e32 v95, v93
	s_delay_alu instid0(VALU_DEP_1) | instskip(SKIP_1) | instid1(VALU_DEP_1)
	v_pk_add_f32 v[90:91], v[90:91], v[94:95]
	s_wait_loadcnt 0x0
	v_pk_add_f32 v[90:91], v[116:117], v[90:91] neg_lo:[0,1] neg_hi:[0,1]
	scratch_store_b64 off, v[90:91], off offset:288
	s_wait_xcnt 0x0
	v_cmpx_lt_u32_e32 35, v0
	s_cbranch_execz .LBB43_207
; %bb.206:
	scratch_load_b64 v[90:91], off, off offset:280
	v_mov_b64_e32 v[92:93], 0
	scratch_store_b64 off, v[92:93], off offset:280
	s_wait_loadcnt 0x0
	ds_store_b64 v1, v[90:91]
.LBB43_207:
	s_wait_xcnt 0x0
	s_or_b32 exec_lo, exec_lo, s0
	s_wait_storecnt_dscnt 0x0
	s_barrier_signal -1
	s_barrier_wait -1
	s_clause 0x4
	scratch_load_b128 v[90:93], off, off offset:288
	scratch_load_b128 v[94:97], off, off offset:304
	;; [unrolled: 1-line block ×4, first 2 shown]
	scratch_load_b64 v[122:123], off, off offset:280
	ds_load_b128 v[106:109], v5 offset:640
	ds_load_b128 v[110:113], v5 offset:656
	;; [unrolled: 1-line block ×4, first 2 shown]
	s_mov_b32 s0, exec_lo
	s_wait_dscnt 0x3
	v_dual_mov_b32 v124, v109 :: v_dual_mov_b32 v125, v108
	s_wait_dscnt 0x2
	v_dual_mov_b32 v126, v113 :: v_dual_mov_b32 v127, v112
	;; [unrolled: 2-line block ×3, first 2 shown]
	v_dual_mov_b32 v129, v116 :: v_dual_mov_b32 v134, v121
	s_wait_loadcnt 0x4
	v_mov_b32_e32 v132, v93
	v_pk_mul_f32 v[130:131], v[106:107], v[90:91] op_sel:[1,1] op_sel_hi:[0,1]
	s_wait_loadcnt 0x3
	v_pk_mul_f32 v[136:137], v[110:111], v[94:95] op_sel:[1,1] op_sel_hi:[0,1]
	s_wait_loadcnt 0x2
	v_pk_mul_f32 v[140:141], v[114:115], v[98:99] op_sel:[1,1] op_sel_hi:[0,1]
	v_pk_mul_f32 v[124:125], v[124:125], v[132:133] op_sel_hi:[1,0]
	v_pk_fma_f32 v[138:139], v[106:107], v[90:91], v[130:131] op_sel_hi:[1,0,1]
	v_pk_fma_f32 v[90:91], v[106:107], v[90:91], v[130:131] neg_lo:[0,0,1] neg_hi:[0,0,1]
	v_mov_b32_e32 v132, v97
	v_pk_fma_f32 v[130:131], v[110:111], v[94:95], v[136:137] op_sel_hi:[1,0,1]
	v_pk_fma_f32 v[106:107], v[108:109], v[92:93], v[124:125] op_sel_hi:[1,0,1]
	v_mov_b32_e32 v91, v139
	v_pk_fma_f32 v[92:93], v[108:109], v[92:93], v[124:125] neg_lo:[0,0,1] neg_hi:[0,0,1]
	v_pk_mul_f32 v[126:127], v[126:127], v[132:133] op_sel_hi:[1,0]
	s_delay_alu instid0(VALU_DEP_4) | instskip(NEXT) | instid1(VALU_DEP_4)
	v_dual_mov_b32 v106, v101 :: v_dual_mov_b32 v93, v107
	v_pk_add_f32 v[90:91], v[90:91], 0 op_sel_hi:[1,0]
	v_pk_fma_f32 v[94:95], v[110:111], v[94:95], v[136:137] neg_lo:[0,0,1] neg_hi:[0,0,1]
	v_mov_b32_e32 v95, v131
	v_pk_fma_f32 v[108:109], v[112:113], v[96:97], v[126:127] op_sel_hi:[1,0,1]
	v_pk_mul_f32 v[106:107], v[128:129], v[106:107] op_sel_hi:[1,0]
	v_pk_add_f32 v[90:91], v[90:91], v[92:93]
	v_pk_fma_f32 v[92:93], v[114:115], v[98:99], v[140:141] op_sel_hi:[1,0,1]
	v_pk_fma_f32 v[96:97], v[112:113], v[96:97], v[126:127] neg_lo:[0,0,1] neg_hi:[0,0,1]
	v_mov_b32_e32 v97, v109
	v_pk_fma_f32 v[98:99], v[114:115], v[98:99], v[140:141] neg_lo:[0,0,1] neg_hi:[0,0,1]
	v_pk_add_f32 v[90:91], v[90:91], v[94:95]
	v_mov_b32_e32 v99, v93
	v_pk_fma_f32 v[92:93], v[116:117], v[100:101], v[106:107] op_sel_hi:[1,0,1]
	s_wait_loadcnt 0x1
	v_pk_mul_f32 v[94:95], v[118:119], v[102:103] op_sel:[1,1] op_sel_hi:[0,1]
	v_mov_b32_e32 v92, v105
	v_pk_add_f32 v[90:91], v[90:91], v[96:97]
	v_pk_fma_f32 v[100:101], v[116:117], v[100:101], v[106:107] neg_lo:[0,0,1] neg_hi:[0,0,1]
	v_mov_b32_e32 v101, v93
	v_pk_fma_f32 v[96:97], v[118:119], v[102:103], v[94:95] op_sel_hi:[1,0,1]
	v_pk_mul_f32 v[92:93], v[134:135], v[92:93] op_sel_hi:[1,0]
	v_pk_add_f32 v[90:91], v[90:91], v[98:99]
	v_pk_fma_f32 v[94:95], v[118:119], v[102:103], v[94:95] neg_lo:[0,0,1] neg_hi:[0,0,1]
	s_delay_alu instid0(VALU_DEP_4) | instskip(NEXT) | instid1(VALU_DEP_4)
	v_mov_b32_e32 v95, v97
	v_pk_fma_f32 v[96:97], v[120:121], v[104:105], v[92:93] op_sel_hi:[1,0,1]
	s_delay_alu instid0(VALU_DEP_4) | instskip(SKIP_1) | instid1(VALU_DEP_3)
	v_pk_add_f32 v[90:91], v[90:91], v[100:101]
	v_pk_fma_f32 v[92:93], v[120:121], v[104:105], v[92:93] neg_lo:[0,0,1] neg_hi:[0,0,1]
	v_mov_b32_e32 v93, v97
	s_delay_alu instid0(VALU_DEP_3) | instskip(NEXT) | instid1(VALU_DEP_1)
	v_pk_add_f32 v[90:91], v[90:91], v[94:95]
	v_pk_add_f32 v[90:91], v[90:91], v[92:93]
	s_wait_loadcnt 0x0
	s_delay_alu instid0(VALU_DEP_1)
	v_pk_add_f32 v[90:91], v[122:123], v[90:91] neg_lo:[0,1] neg_hi:[0,1]
	scratch_store_b64 off, v[90:91], off offset:280
	s_wait_xcnt 0x0
	v_cmpx_lt_u32_e32 34, v0
	s_cbranch_execz .LBB43_209
; %bb.208:
	scratch_load_b64 v[90:91], off, off offset:272
	v_mov_b64_e32 v[92:93], 0
	scratch_store_b64 off, v[92:93], off offset:272
	s_wait_loadcnt 0x0
	ds_store_b64 v1, v[90:91]
.LBB43_209:
	s_wait_xcnt 0x0
	s_or_b32 exec_lo, exec_lo, s0
	s_wait_storecnt_dscnt 0x0
	s_barrier_signal -1
	s_barrier_wait -1
	s_clause 0x5
	scratch_load_b128 v[90:93], off, off offset:280
	scratch_load_b128 v[94:97], off, off offset:296
	;; [unrolled: 1-line block ×4, first 2 shown]
	scratch_load_b64 v[122:123], off, off offset:344
	scratch_load_b64 v[124:125], off, off offset:272
	v_mov_b32_e32 v5, 0
	ds_load_2addr_b64 v[106:109], v5 offset0:79 offset1:80
	ds_load_2addr_b64 v[110:113], v5 offset0:81 offset1:82
	;; [unrolled: 1-line block ×4, first 2 shown]
	ds_load_b64 v[126:127], v5 offset:696
	s_mov_b32 s0, exec_lo
	s_wait_dscnt 0x4
	v_dual_mov_b32 v128, v109 :: v_dual_mov_b32 v129, v108
	s_wait_dscnt 0x1
	v_dual_mov_b32 v130, v113 :: v_dual_mov_b32 v135, v120
	v_dual_mov_b32 v131, v112 :: v_dual_mov_b32 v132, v117
	;; [unrolled: 1-line block ×3, first 2 shown]
	s_wait_loadcnt 0x5
	v_dual_mov_b32 v136, v93 :: v_dual_mul_f32 v137, v106, v91
	v_mul_f32_e32 v7, v107, v91
	s_wait_loadcnt 0x4
	v_pk_mul_f32 v[138:139], v[110:111], v[94:95] op_sel:[1,1] op_sel_hi:[0,1]
	v_mov_b32_e32 v140, v97
	s_wait_loadcnt 0x3
	v_pk_mul_f32 v[142:143], v[114:115], v[98:99] op_sel:[1,1] op_sel_hi:[0,1]
	v_pk_mul_f32 v[128:129], v[128:129], v[136:137] op_sel_hi:[1,0]
	v_dual_fmac_f32 v137, v107, v90 :: v_dual_fma_f32 v136, v106, v90, -v7
	v_mov_b32_e32 v90, v101
	v_pk_fma_f32 v[144:145], v[110:111], v[94:95], v[138:139] op_sel_hi:[1,0,1]
	s_delay_alu instid0(VALU_DEP_4)
	v_pk_fma_f32 v[106:107], v[108:109], v[92:93], v[128:129] op_sel_hi:[1,0,1]
	v_pk_fma_f32 v[92:93], v[108:109], v[92:93], v[128:129] neg_lo:[0,0,1] neg_hi:[0,0,1]
	v_pk_mul_f32 v[130:131], v[130:131], v[140:141] op_sel_hi:[1,0]
	v_pk_add_f32 v[136:137], v[136:137], 0 op_sel_hi:[1,0]
	v_pk_fma_f32 v[94:95], v[110:111], v[94:95], v[138:139] neg_lo:[0,0,1] neg_hi:[0,0,1]
	v_dual_mov_b32 v93, v107 :: v_dual_mov_b32 v95, v145
	s_delay_alu instid0(VALU_DEP_4) | instskip(SKIP_2) | instid1(VALU_DEP_4)
	v_pk_fma_f32 v[108:109], v[112:113], v[96:97], v[130:131] op_sel_hi:[1,0,1]
	v_pk_fma_f32 v[96:97], v[112:113], v[96:97], v[130:131] neg_lo:[0,0,1] neg_hi:[0,0,1]
	v_pk_fma_f32 v[110:111], v[114:115], v[98:99], v[142:143] op_sel_hi:[1,0,1]
	v_pk_add_f32 v[92:93], v[136:137], v[92:93]
	v_pk_mul_f32 v[90:91], v[132:133], v[90:91] op_sel_hi:[1,0]
	v_mov_b32_e32 v97, v109
	v_pk_fma_f32 v[98:99], v[114:115], v[98:99], v[142:143] neg_lo:[0,0,1] neg_hi:[0,0,1]
	s_wait_loadcnt 0x2
	v_pk_mul_f32 v[106:107], v[118:119], v[102:103] op_sel:[1,1] op_sel_hi:[0,1]
	v_pk_add_f32 v[92:93], v[92:93], v[94:95]
	v_mov_b32_e32 v94, v105
	v_pk_fma_f32 v[108:109], v[116:117], v[100:101], v[90:91] op_sel_hi:[1,0,1]
	v_mov_b32_e32 v99, v111
	v_pk_fma_f32 v[90:91], v[116:117], v[100:101], v[90:91] neg_lo:[0,0,1] neg_hi:[0,0,1]
	v_pk_add_f32 v[92:93], v[92:93], v[96:97]
	v_pk_fma_f32 v[96:97], v[118:119], v[102:103], v[106:107] op_sel_hi:[1,0,1]
	v_pk_mul_f32 v[94:95], v[134:135], v[94:95] op_sel_hi:[1,0]
	v_mov_b32_e32 v91, v109
	s_delay_alu instid0(VALU_DEP_4)
	v_pk_add_f32 v[92:93], v[92:93], v[98:99]
	v_pk_fma_f32 v[98:99], v[118:119], v[102:103], v[106:107] neg_lo:[0,0,1] neg_hi:[0,0,1]
	v_mov_b32_e32 v99, v97
	v_pk_fma_f32 v[96:97], v[120:121], v[104:105], v[94:95] op_sel_hi:[1,0,1]
	v_pk_fma_f32 v[94:95], v[120:121], v[104:105], v[94:95] neg_lo:[0,0,1] neg_hi:[0,0,1]
	v_pk_add_f32 v[90:91], v[92:93], v[90:91]
	s_wait_loadcnt_dscnt 0x100
	v_pk_mul_f32 v[92:93], v[126:127], v[122:123] op_sel:[1,1] op_sel_hi:[0,1]
	v_mov_b32_e32 v95, v97
	s_delay_alu instid0(VALU_DEP_3) | instskip(NEXT) | instid1(VALU_DEP_3)
	v_pk_add_f32 v[90:91], v[90:91], v[98:99]
	v_pk_fma_f32 v[96:97], v[126:127], v[122:123], v[92:93] op_sel_hi:[1,0,1]
	v_pk_fma_f32 v[92:93], v[126:127], v[122:123], v[92:93] neg_lo:[0,0,1] neg_hi:[0,0,1]
	s_delay_alu instid0(VALU_DEP_3) | instskip(NEXT) | instid1(VALU_DEP_3)
	v_pk_add_f32 v[90:91], v[90:91], v[94:95]
	v_mov_b32_e32 v93, v97
	s_delay_alu instid0(VALU_DEP_1) | instskip(SKIP_1) | instid1(VALU_DEP_1)
	v_pk_add_f32 v[90:91], v[90:91], v[92:93]
	s_wait_loadcnt 0x0
	v_pk_add_f32 v[90:91], v[124:125], v[90:91] neg_lo:[0,1] neg_hi:[0,1]
	scratch_store_b64 off, v[90:91], off offset:272
	s_wait_xcnt 0x0
	v_cmpx_lt_u32_e32 33, v0
	s_cbranch_execz .LBB43_211
; %bb.210:
	scratch_load_b64 v[90:91], off, off offset:264
	v_mov_b64_e32 v[92:93], 0
	scratch_store_b64 off, v[92:93], off offset:264
	s_wait_loadcnt 0x0
	ds_store_b64 v1, v[90:91]
.LBB43_211:
	s_wait_xcnt 0x0
	s_or_b32 exec_lo, exec_lo, s0
	s_wait_storecnt_dscnt 0x0
	s_barrier_signal -1
	s_barrier_wait -1
	s_clause 0x5
	scratch_load_b128 v[90:93], off, off offset:272
	scratch_load_b128 v[94:97], off, off offset:288
	;; [unrolled: 1-line block ×5, first 2 shown]
	scratch_load_b64 v[130:131], off, off offset:264
	ds_load_b128 v[110:113], v5 offset:640
	ds_load_b128 v[114:117], v5 offset:656
	;; [unrolled: 1-line block ×5, first 2 shown]
	s_mov_b32 s0, exec_lo
	s_wait_dscnt 0x4
	v_dual_mov_b32 v132, v113 :: v_dual_mov_b32 v133, v112
	s_wait_dscnt 0x3
	v_dual_mov_b32 v134, v117 :: v_dual_mov_b32 v135, v116
	;; [unrolled: 2-line block ×4, first 2 shown]
	s_wait_loadcnt_dscnt 0x500
	v_dual_mul_f32 v141, v126, v91 :: v_dual_mul_f32 v143, v128, v93
	v_dual_mul_f32 v5, v127, v91 :: v_dual_mul_f32 v7, v129, v93
	s_wait_loadcnt 0x4
	v_pk_mul_f32 v[144:145], v[110:111], v[94:95] op_sel:[1,1] op_sel_hi:[0,1]
	s_wait_loadcnt 0x3
	v_dual_mov_b32 v146, v97 :: v_dual_mov_b32 v150, v101
	v_dual_fmac_f32 v141, v127, v90 :: v_dual_fmac_f32 v143, v129, v92
	v_dual_fma_f32 v140, v126, v90, -v5 :: v_dual_fma_f32 v142, v128, v92, -v7
	v_pk_fma_f32 v[90:91], v[110:111], v[94:95], v[144:145] op_sel_hi:[1,0,1]
	s_delay_alu instid0(VALU_DEP_4) | instskip(SKIP_1) | instid1(VALU_DEP_4)
	v_pk_mul_f32 v[92:93], v[132:133], v[146:147] op_sel_hi:[1,0]
	v_pk_fma_f32 v[94:95], v[110:111], v[94:95], v[144:145] neg_lo:[0,0,1] neg_hi:[0,0,1]
	v_pk_add_f32 v[126:127], v[140:141], 0 op_sel_hi:[1,0]
	v_pk_mul_f32 v[148:149], v[114:115], v[98:99] op_sel:[1,1] op_sel_hi:[0,1]
	v_mov_b32_e32 v95, v91
	v_pk_fma_f32 v[90:91], v[112:113], v[96:97], v[92:93] op_sel_hi:[1,0,1]
	v_pk_fma_f32 v[92:93], v[112:113], v[96:97], v[92:93] neg_lo:[0,0,1] neg_hi:[0,0,1]
	v_pk_add_f32 v[110:111], v[126:127], v[142:143]
	v_pk_fma_f32 v[126:127], v[114:115], v[98:99], v[148:149] op_sel_hi:[1,0,1]
	v_pk_mul_f32 v[132:133], v[134:135], v[150:151] op_sel_hi:[1,0]
	v_mov_b32_e32 v93, v91
	s_wait_loadcnt 0x2
	v_pk_mul_f32 v[128:129], v[118:119], v[102:103] op_sel:[1,1] op_sel_hi:[0,1]
	v_pk_add_f32 v[90:91], v[110:111], v[94:95]
	v_mov_b32_e32 v94, v105
	v_pk_fma_f32 v[96:97], v[114:115], v[98:99], v[148:149] neg_lo:[0,0,1] neg_hi:[0,0,1]
	v_mov_b32_e32 v97, v127
	v_pk_fma_f32 v[98:99], v[116:117], v[100:101], v[132:133] op_sel_hi:[1,0,1]
	v_pk_add_f32 v[90:91], v[90:91], v[92:93]
	v_pk_fma_f32 v[92:93], v[118:119], v[102:103], v[128:129] op_sel_hi:[1,0,1]
	v_pk_mul_f32 v[94:95], v[136:137], v[94:95] op_sel_hi:[1,0]
	v_pk_fma_f32 v[100:101], v[116:117], v[100:101], v[132:133] neg_lo:[0,0,1] neg_hi:[0,0,1]
	v_mov_b32_e32 v101, v99
	v_pk_add_f32 v[90:91], v[90:91], v[96:97]
	v_pk_fma_f32 v[98:99], v[118:119], v[102:103], v[128:129] neg_lo:[0,0,1] neg_hi:[0,0,1]
	v_mov_b32_e32 v99, v93
	v_pk_fma_f32 v[92:93], v[120:121], v[104:105], v[94:95] op_sel_hi:[1,0,1]
	s_wait_loadcnt 0x1
	v_pk_mul_f32 v[96:97], v[122:123], v[106:107] op_sel:[1,1] op_sel_hi:[0,1]
	v_pk_add_f32 v[90:91], v[90:91], v[100:101]
	v_mov_b32_e32 v92, v109
	v_pk_fma_f32 v[94:95], v[120:121], v[104:105], v[94:95] neg_lo:[0,0,1] neg_hi:[0,0,1]
	v_mov_b32_e32 v95, v93
	v_pk_fma_f32 v[100:101], v[122:123], v[106:107], v[96:97] op_sel_hi:[1,0,1]
	v_pk_add_f32 v[90:91], v[90:91], v[98:99]
	v_pk_mul_f32 v[92:93], v[138:139], v[92:93] op_sel_hi:[1,0]
	v_pk_fma_f32 v[96:97], v[122:123], v[106:107], v[96:97] neg_lo:[0,0,1] neg_hi:[0,0,1]
	s_delay_alu instid0(VALU_DEP_3) | instskip(NEXT) | instid1(VALU_DEP_3)
	v_pk_add_f32 v[90:91], v[90:91], v[94:95]
	v_pk_fma_f32 v[94:95], v[124:125], v[108:109], v[92:93] op_sel_hi:[1,0,1]
	v_mov_b32_e32 v97, v101
	v_pk_fma_f32 v[92:93], v[124:125], v[108:109], v[92:93] neg_lo:[0,0,1] neg_hi:[0,0,1]
	s_delay_alu instid0(VALU_DEP_3) | instskip(NEXT) | instid1(VALU_DEP_3)
	v_mov_b32_e32 v93, v95
	v_pk_add_f32 v[90:91], v[90:91], v[96:97]
	s_delay_alu instid0(VALU_DEP_1) | instskip(SKIP_1) | instid1(VALU_DEP_1)
	v_pk_add_f32 v[90:91], v[90:91], v[92:93]
	s_wait_loadcnt 0x0
	v_pk_add_f32 v[90:91], v[130:131], v[90:91] neg_lo:[0,1] neg_hi:[0,1]
	scratch_store_b64 off, v[90:91], off offset:264
	s_wait_xcnt 0x0
	v_cmpx_lt_u32_e32 32, v0
	s_cbranch_execz .LBB43_213
; %bb.212:
	scratch_load_b64 v[90:91], off, off offset:256
	v_mov_b64_e32 v[92:93], 0
	scratch_store_b64 off, v[92:93], off offset:256
	s_wait_loadcnt 0x0
	ds_store_b64 v1, v[90:91]
.LBB43_213:
	s_wait_xcnt 0x0
	s_or_b32 exec_lo, exec_lo, s0
	s_wait_storecnt_dscnt 0x0
	s_barrier_signal -1
	s_barrier_wait -1
	s_clause 0x6
	scratch_load_b128 v[90:93], off, off offset:264
	scratch_load_b128 v[94:97], off, off offset:280
	;; [unrolled: 1-line block ×5, first 2 shown]
	scratch_load_b64 v[130:131], off, off offset:344
	scratch_load_b64 v[132:133], off, off offset:256
	v_mov_b32_e32 v5, 0
	ds_load_2addr_b64 v[110:113], v5 offset0:79 offset1:80
	ds_load_2addr_b64 v[114:117], v5 offset0:81 offset1:82
	;; [unrolled: 1-line block ×5, first 2 shown]
	ds_load_b64 v[134:135], v5 offset:696
	s_mov_b32 s0, exec_lo
	s_wait_dscnt 0x5
	v_dual_mov_b32 v136, v113 :: v_dual_mov_b32 v137, v112
	s_wait_dscnt 0x2
	v_dual_mov_b32 v138, v117 :: v_dual_mov_b32 v143, v124
	v_dual_mov_b32 v139, v116 :: v_dual_mov_b32 v140, v121
	;; [unrolled: 1-line block ×3, first 2 shown]
	s_wait_loadcnt_dscnt 0x601
	v_dual_mul_f32 v7, v126, v91 :: v_dual_mul_f32 v11, v127, v91
	v_dual_mul_f32 v13, v129, v93 :: v_dual_mul_f32 v145, v128, v93
	s_wait_loadcnt 0x5
	v_dual_mul_f32 v147, v110, v95 :: v_dual_mul_f32 v15, v111, v95
	s_wait_loadcnt 0x4
	v_dual_mov_b32 v146, v97 :: v_dual_mov_b32 v150, v101
	v_fmac_f32_e32 v7, v127, v90
	v_dual_fma_f32 v11, v126, v90, -v11 :: v_dual_fmac_f32 v145, v129, v92
	v_pk_mul_f32 v[148:149], v[114:115], v[98:99] op_sel:[1,1] op_sel_hi:[0,1]
	s_delay_alu instid0(VALU_DEP_3)
	v_dual_fma_f32 v144, v128, v92, -v13 :: v_dual_add_f32 v93, 0, v7
	v_pk_mul_f32 v[90:91], v[136:137], v[146:147] op_sel_hi:[1,0]
	s_wait_loadcnt 0x3
	v_dual_add_f32 v92, 0, v11 :: v_dual_mov_b32 v126, v105
	v_fmac_f32_e32 v147, v111, v94
	v_fma_f32 v146, v110, v94, -v15
	v_pk_fma_f32 v[94:95], v[112:113], v[96:97], v[90:91] op_sel_hi:[1,0,1]
	s_delay_alu instid0(VALU_DEP_4) | instskip(SKIP_4) | instid1(VALU_DEP_4)
	v_pk_add_f32 v[92:93], v[92:93], v[144:145]
	v_pk_fma_f32 v[110:111], v[114:115], v[98:99], v[148:149] op_sel_hi:[1,0,1]
	v_pk_fma_f32 v[90:91], v[112:113], v[96:97], v[90:91] neg_lo:[0,0,1] neg_hi:[0,0,1]
	v_pk_fma_f32 v[96:97], v[114:115], v[98:99], v[148:149] neg_lo:[0,0,1] neg_hi:[0,0,1]
	v_pk_mul_f32 v[128:129], v[138:139], v[150:151] op_sel_hi:[1,0]
	v_dual_mov_b32 v91, v95 :: v_dual_mov_b32 v97, v111
	v_pk_add_f32 v[92:93], v[92:93], v[146:147]
	v_pk_mul_f32 v[152:153], v[118:119], v[102:103] op_sel:[1,1] op_sel_hi:[0,1]
	s_delay_alu instid0(VALU_DEP_4)
	v_pk_fma_f32 v[98:99], v[116:117], v[100:101], v[128:129] op_sel_hi:[1,0,1]
	v_pk_fma_f32 v[100:101], v[116:117], v[100:101], v[128:129] neg_lo:[0,0,1] neg_hi:[0,0,1]
	v_pk_mul_f32 v[110:111], v[140:141], v[126:127] op_sel_hi:[1,0]
	v_pk_add_f32 v[90:91], v[92:93], v[90:91]
	v_pk_fma_f32 v[92:93], v[118:119], v[102:103], v[152:153] op_sel_hi:[1,0,1]
	s_wait_loadcnt 0x2
	v_dual_mov_b32 v101, v99 :: v_dual_mov_b32 v92, v109
	v_pk_mul_f32 v[94:95], v[122:123], v[106:107] op_sel:[1,1] op_sel_hi:[0,1]
	v_pk_add_f32 v[90:91], v[90:91], v[96:97]
	v_pk_fma_f32 v[96:97], v[118:119], v[102:103], v[152:153] neg_lo:[0,0,1] neg_hi:[0,0,1]
	v_pk_fma_f32 v[98:99], v[120:121], v[104:105], v[110:111] op_sel_hi:[1,0,1]
	v_mov_b32_e32 v97, v93
	v_pk_fma_f32 v[102:103], v[120:121], v[104:105], v[110:111] neg_lo:[0,0,1] neg_hi:[0,0,1]
	v_pk_add_f32 v[90:91], v[90:91], v[100:101]
	v_pk_fma_f32 v[100:101], v[122:123], v[106:107], v[94:95] op_sel_hi:[1,0,1]
	v_pk_mul_f32 v[92:93], v[142:143], v[92:93] op_sel_hi:[1,0]
	v_mov_b32_e32 v103, v99
	v_pk_fma_f32 v[94:95], v[122:123], v[106:107], v[94:95] neg_lo:[0,0,1] neg_hi:[0,0,1]
	v_pk_add_f32 v[90:91], v[90:91], v[96:97]
	s_wait_loadcnt_dscnt 0x100
	v_pk_mul_f32 v[98:99], v[134:135], v[130:131] op_sel:[1,1] op_sel_hi:[0,1]
	v_pk_fma_f32 v[96:97], v[124:125], v[108:109], v[92:93] op_sel_hi:[1,0,1]
	v_mov_b32_e32 v95, v101
	v_pk_fma_f32 v[92:93], v[124:125], v[108:109], v[92:93] neg_lo:[0,0,1] neg_hi:[0,0,1]
	v_pk_add_f32 v[90:91], v[90:91], v[102:103]
	s_delay_alu instid0(VALU_DEP_4) | instskip(SKIP_1) | instid1(VALU_DEP_3)
	v_mov_b32_e32 v93, v97
	v_pk_fma_f32 v[96:97], v[134:135], v[130:131], v[98:99] neg_lo:[0,0,1] neg_hi:[0,0,1]
	v_pk_add_f32 v[90:91], v[90:91], v[94:95]
	v_pk_fma_f32 v[94:95], v[134:135], v[130:131], v[98:99] op_sel_hi:[1,0,1]
	s_delay_alu instid0(VALU_DEP_2) | instskip(NEXT) | instid1(VALU_DEP_2)
	v_pk_add_f32 v[90:91], v[90:91], v[92:93]
	v_mov_b32_e32 v97, v95
	s_delay_alu instid0(VALU_DEP_1) | instskip(SKIP_1) | instid1(VALU_DEP_1)
	v_pk_add_f32 v[90:91], v[90:91], v[96:97]
	s_wait_loadcnt 0x0
	v_pk_add_f32 v[90:91], v[132:133], v[90:91] neg_lo:[0,1] neg_hi:[0,1]
	scratch_store_b64 off, v[90:91], off offset:256
	s_wait_xcnt 0x0
	v_cmpx_lt_u32_e32 31, v0
	s_cbranch_execz .LBB43_215
; %bb.214:
	scratch_load_b64 v[90:91], off, off offset:248
	v_mov_b64_e32 v[92:93], 0
	scratch_store_b64 off, v[92:93], off offset:248
	s_wait_loadcnt 0x0
	ds_store_b64 v1, v[90:91]
.LBB43_215:
	s_wait_xcnt 0x0
	s_or_b32 exec_lo, exec_lo, s0
	s_wait_storecnt_dscnt 0x0
	s_barrier_signal -1
	s_barrier_wait -1
	s_clause 0x6
	scratch_load_b128 v[90:93], off, off offset:256
	scratch_load_b128 v[94:97], off, off offset:272
	;; [unrolled: 1-line block ×6, first 2 shown]
	scratch_load_b64 v[138:139], off, off offset:248
	ds_load_b128 v[114:117], v5 offset:640
	ds_load_b128 v[118:121], v5 offset:656
	;; [unrolled: 1-line block ×6, first 2 shown]
	s_mov_b32 s0, exec_lo
	s_wait_dscnt 0x5
	v_dual_mov_b32 v140, v117 :: v_dual_mov_b32 v141, v116
	s_wait_dscnt 0x4
	v_dual_mov_b32 v142, v121 :: v_dual_mov_b32 v143, v120
	;; [unrolled: 2-line block ×4, first 2 shown]
	s_wait_loadcnt_dscnt 0x601
	v_dual_mul_f32 v5, v130, v91 :: v_dual_mul_f32 v7, v132, v93
	v_dual_mul_f32 v11, v131, v91 :: v_dual_mul_f32 v13, v133, v93
	s_wait_loadcnt 0x4
	s_delay_alu instid0(VALU_DEP_2)
	v_dual_mov_b32 v154, v101 :: v_dual_fmac_f32 v5, v131, v90
	s_wait_dscnt 0x0
	v_dual_mul_f32 v149, v134, v95 :: v_dual_mul_f32 v151, v136, v97
	v_dual_fma_f32 v11, v130, v90, -v11 :: v_dual_fma_f32 v13, v132, v92, -v13
	v_dual_mul_f32 v15, v135, v95 :: v_dual_mul_f32 v17, v137, v97
	v_dual_fmac_f32 v7, v133, v92 :: v_dual_add_f32 v5, 0, v5
	s_wait_loadcnt 0x3
	s_delay_alu instid0(VALU_DEP_3) | instskip(SKIP_2) | instid1(VALU_DEP_3)
	v_dual_add_f32 v11, 0, v11 :: v_dual_mov_b32 v92, v105
	v_pk_mul_f32 v[152:153], v[114:115], v[98:99] op_sel:[1,1] op_sel_hi:[0,1]
	v_dual_fmac_f32 v149, v135, v94 :: v_dual_fma_f32 v148, v134, v94, -v15
	v_dual_add_f32 v95, v5, v7 :: v_dual_add_f32 v94, v11, v13
	v_dual_fmac_f32 v151, v137, v96 :: v_dual_fma_f32 v150, v136, v96, -v17
	s_delay_alu instid0(VALU_DEP_4) | instskip(SKIP_1) | instid1(VALU_DEP_4)
	v_pk_fma_f32 v[96:97], v[114:115], v[98:99], v[152:153] op_sel_hi:[1,0,1]
	v_pk_mul_f32 v[130:131], v[140:141], v[154:155] op_sel_hi:[1,0]
	v_pk_add_f32 v[94:95], v[94:95], v[148:149]
	v_pk_fma_f32 v[98:99], v[114:115], v[98:99], v[152:153] neg_lo:[0,0,1] neg_hi:[0,0,1]
	v_pk_mul_f32 v[90:91], v[118:119], v[102:103] op_sel:[1,1] op_sel_hi:[0,1]
	v_mov_b32_e32 v99, v97
	v_pk_fma_f32 v[96:97], v[116:117], v[100:101], v[130:131] op_sel_hi:[1,0,1]
	v_pk_add_f32 v[94:95], v[94:95], v[150:151]
	v_pk_fma_f32 v[100:101], v[116:117], v[100:101], v[130:131] neg_lo:[0,0,1] neg_hi:[0,0,1]
	v_pk_fma_f32 v[114:115], v[118:119], v[102:103], v[90:91] op_sel_hi:[1,0,1]
	v_pk_mul_f32 v[92:93], v[142:143], v[92:93] op_sel_hi:[1,0]
	v_mov_b32_e32 v101, v97
	v_pk_add_f32 v[94:95], v[94:95], v[98:99]
	v_pk_fma_f32 v[90:91], v[118:119], v[102:103], v[90:91] neg_lo:[0,0,1] neg_hi:[0,0,1]
	s_wait_loadcnt 0x2
	v_pk_mul_f32 v[132:133], v[122:123], v[106:107] op_sel:[1,1] op_sel_hi:[0,1]
	v_dual_mov_b32 v96, v109 :: v_dual_mov_b32 v91, v115
	v_pk_fma_f32 v[98:99], v[120:121], v[104:105], v[92:93] op_sel_hi:[1,0,1]
	v_pk_add_f32 v[94:95], v[94:95], v[100:101]
	v_pk_fma_f32 v[92:93], v[120:121], v[104:105], v[92:93] neg_lo:[0,0,1] neg_hi:[0,0,1]
	v_pk_fma_f32 v[100:101], v[122:123], v[106:107], v[132:133] op_sel_hi:[1,0,1]
	v_pk_mul_f32 v[96:97], v[144:145], v[96:97] op_sel_hi:[1,0]
	v_mov_b32_e32 v93, v99
	v_pk_add_f32 v[90:91], v[94:95], v[90:91]
	v_pk_fma_f32 v[98:99], v[122:123], v[106:107], v[132:133] neg_lo:[0,0,1] neg_hi:[0,0,1]
	s_wait_loadcnt 0x1
	v_pk_mul_f32 v[94:95], v[126:127], v[110:111] op_sel:[1,1] op_sel_hi:[0,1]
	v_mov_b32_e32 v99, v101
	v_pk_fma_f32 v[100:101], v[124:125], v[108:109], v[96:97] op_sel_hi:[1,0,1]
	v_pk_add_f32 v[90:91], v[90:91], v[92:93]
	v_mov_b32_e32 v92, v113
	v_pk_fma_f32 v[96:97], v[124:125], v[108:109], v[96:97] neg_lo:[0,0,1] neg_hi:[0,0,1]
	v_pk_fma_f32 v[102:103], v[126:127], v[110:111], v[94:95] op_sel_hi:[1,0,1]
	v_mov_b32_e32 v97, v101
	v_pk_add_f32 v[90:91], v[90:91], v[98:99]
	v_pk_mul_f32 v[92:93], v[146:147], v[92:93] op_sel_hi:[1,0]
	v_pk_fma_f32 v[94:95], v[126:127], v[110:111], v[94:95] neg_lo:[0,0,1] neg_hi:[0,0,1]
	s_delay_alu instid0(VALU_DEP_3) | instskip(NEXT) | instid1(VALU_DEP_3)
	v_pk_add_f32 v[90:91], v[90:91], v[96:97]
	v_pk_fma_f32 v[96:97], v[128:129], v[112:113], v[92:93] op_sel_hi:[1,0,1]
	v_mov_b32_e32 v95, v103
	v_pk_fma_f32 v[92:93], v[128:129], v[112:113], v[92:93] neg_lo:[0,0,1] neg_hi:[0,0,1]
	s_delay_alu instid0(VALU_DEP_3) | instskip(NEXT) | instid1(VALU_DEP_3)
	v_mov_b32_e32 v93, v97
	v_pk_add_f32 v[90:91], v[90:91], v[94:95]
	s_delay_alu instid0(VALU_DEP_1) | instskip(SKIP_1) | instid1(VALU_DEP_1)
	v_pk_add_f32 v[90:91], v[90:91], v[92:93]
	s_wait_loadcnt 0x0
	v_pk_add_f32 v[90:91], v[138:139], v[90:91] neg_lo:[0,1] neg_hi:[0,1]
	scratch_store_b64 off, v[90:91], off offset:248
	s_wait_xcnt 0x0
	v_cmpx_lt_u32_e32 30, v0
	s_cbranch_execz .LBB43_217
; %bb.216:
	scratch_load_b64 v[90:91], off, off offset:240
	v_mov_b64_e32 v[92:93], 0
	scratch_store_b64 off, v[92:93], off offset:240
	s_wait_loadcnt 0x0
	ds_store_b64 v1, v[90:91]
.LBB43_217:
	s_wait_xcnt 0x0
	s_or_b32 exec_lo, exec_lo, s0
	s_wait_storecnt_dscnt 0x0
	s_barrier_signal -1
	s_barrier_wait -1
	s_clause 0x7
	scratch_load_b128 v[90:93], off, off offset:248
	scratch_load_b128 v[94:97], off, off offset:264
	;; [unrolled: 1-line block ×6, first 2 shown]
	scratch_load_b64 v[138:139], off, off offset:344
	scratch_load_b64 v[140:141], off, off offset:240
	v_mov_b32_e32 v5, 0
	ds_load_2addr_b64 v[114:117], v5 offset0:79 offset1:80
	ds_load_2addr_b64 v[118:121], v5 offset0:81 offset1:82
	;; [unrolled: 1-line block ×6, first 2 shown]
	ds_load_b64 v[142:143], v5 offset:696
	s_mov_b32 s0, exec_lo
	s_wait_dscnt 0x6
	v_dual_mov_b32 v144, v117 :: v_dual_mov_b32 v145, v116
	s_wait_dscnt 0x3
	v_dual_mov_b32 v146, v121 :: v_dual_mov_b32 v151, v128
	v_dual_mov_b32 v147, v120 :: v_dual_mov_b32 v148, v125
	;; [unrolled: 1-line block ×3, first 2 shown]
	s_wait_loadcnt_dscnt 0x702
	v_dual_mul_f32 v7, v130, v91 :: v_dual_mul_f32 v15, v131, v91
	v_dual_mul_f32 v17, v133, v93 :: v_dual_mul_f32 v11, v132, v93
	s_wait_loadcnt_dscnt 0x601
	s_delay_alu instid0(VALU_DEP_2) | instskip(NEXT) | instid1(VALU_DEP_2)
	v_dual_mul_f32 v13, v134, v95 :: v_dual_fmac_f32 v7, v131, v90
	v_dual_fma_f32 v15, v130, v90, -v15 :: v_dual_fma_f32 v17, v132, v92, -v17
	v_dual_mul_f32 v19, v135, v95 :: v_dual_mul_f32 v21, v137, v97
	s_wait_loadcnt 0x4
	v_mov_b32_e32 v90, v105
	v_dual_fmac_f32 v11, v133, v92 :: v_dual_add_f32 v7, 0, v7
	v_dual_add_f32 v15, 0, v15 :: v_dual_fmac_f32 v13, v135, v94
	v_dual_mul_f32 v153, v136, v97 :: v_dual_mul_f32 v155, v114, v99
	v_dual_mul_f32 v23, v115, v99 :: v_dual_mov_b32 v154, v101
	s_delay_alu instid0(VALU_DEP_4) | instskip(NEXT) | instid1(VALU_DEP_3)
	v_dual_fma_f32 v19, v134, v94, -v19 :: v_dual_add_f32 v7, v7, v11
	v_dual_add_f32 v11, v15, v17 :: v_dual_fmac_f32 v153, v137, v96
	v_pk_mul_f32 v[156:157], v[118:119], v[102:103] op_sel:[1,1] op_sel_hi:[0,1]
	s_delay_alu instid0(VALU_DEP_3)
	v_dual_fma_f32 v152, v136, v96, -v21 :: v_dual_add_f32 v97, v7, v13
	v_pk_mul_f32 v[94:95], v[144:145], v[154:155] op_sel_hi:[1,0]
	s_wait_loadcnt 0x3
	v_dual_add_f32 v96, v11, v19 :: v_dual_mov_b32 v130, v109
	v_fmac_f32_e32 v155, v115, v98
	v_fma_f32 v154, v114, v98, -v23
	v_pk_fma_f32 v[98:99], v[116:117], v[100:101], v[94:95] op_sel_hi:[1,0,1]
	s_delay_alu instid0(VALU_DEP_4) | instskip(SKIP_4) | instid1(VALU_DEP_4)
	v_pk_add_f32 v[96:97], v[96:97], v[152:153]
	v_pk_fma_f32 v[114:115], v[118:119], v[102:103], v[156:157] op_sel_hi:[1,0,1]
	v_pk_fma_f32 v[94:95], v[116:117], v[100:101], v[94:95] neg_lo:[0,0,1] neg_hi:[0,0,1]
	v_pk_fma_f32 v[100:101], v[118:119], v[102:103], v[156:157] neg_lo:[0,0,1] neg_hi:[0,0,1]
	v_pk_mul_f32 v[90:91], v[146:147], v[90:91] op_sel_hi:[1,0]
	v_dual_mov_b32 v95, v99 :: v_dual_mov_b32 v101, v115
	v_pk_add_f32 v[96:97], v[96:97], v[154:155]
	v_pk_mul_f32 v[92:93], v[122:123], v[106:107] op_sel:[1,1] op_sel_hi:[0,1]
	s_delay_alu instid0(VALU_DEP_4)
	v_pk_fma_f32 v[102:103], v[120:121], v[104:105], v[90:91] op_sel_hi:[1,0,1]
	v_pk_fma_f32 v[90:91], v[120:121], v[104:105], v[90:91] neg_lo:[0,0,1] neg_hi:[0,0,1]
	v_pk_mul_f32 v[114:115], v[148:149], v[130:131] op_sel_hi:[1,0]
	v_pk_add_f32 v[94:95], v[96:97], v[94:95]
	v_pk_fma_f32 v[96:97], v[122:123], v[106:107], v[92:93] op_sel_hi:[1,0,1]
	s_wait_loadcnt 0x2
	v_dual_mov_b32 v91, v103 :: v_dual_mov_b32 v96, v113
	v_pk_fma_f32 v[92:93], v[122:123], v[106:107], v[92:93] neg_lo:[0,0,1] neg_hi:[0,0,1]
	v_pk_add_f32 v[94:95], v[94:95], v[100:101]
	v_pk_mul_f32 v[98:99], v[126:127], v[110:111] op_sel:[1,1] op_sel_hi:[0,1]
	v_pk_fma_f32 v[100:101], v[124:125], v[108:109], v[114:115] op_sel_hi:[1,0,1]
	v_mov_b32_e32 v93, v97
	v_pk_fma_f32 v[102:103], v[124:125], v[108:109], v[114:115] neg_lo:[0,0,1] neg_hi:[0,0,1]
	v_pk_add_f32 v[90:91], v[94:95], v[90:91]
	v_pk_fma_f32 v[94:95], v[126:127], v[110:111], v[98:99] op_sel_hi:[1,0,1]
	v_pk_mul_f32 v[96:97], v[150:151], v[96:97] op_sel_hi:[1,0]
	v_mov_b32_e32 v103, v101
	s_delay_alu instid0(VALU_DEP_4)
	v_pk_add_f32 v[90:91], v[90:91], v[92:93]
	v_pk_fma_f32 v[92:93], v[126:127], v[110:111], v[98:99] neg_lo:[0,0,1] neg_hi:[0,0,1]
	v_mov_b32_e32 v93, v95
	v_pk_fma_f32 v[94:95], v[128:129], v[112:113], v[96:97] op_sel_hi:[1,0,1]
	s_wait_loadcnt_dscnt 0x100
	v_pk_mul_f32 v[98:99], v[142:143], v[138:139] op_sel:[1,1] op_sel_hi:[0,1]
	v_pk_add_f32 v[90:91], v[90:91], v[102:103]
	v_pk_fma_f32 v[96:97], v[128:129], v[112:113], v[96:97] neg_lo:[0,0,1] neg_hi:[0,0,1]
	v_mov_b32_e32 v97, v95
	s_delay_alu instid0(VALU_DEP_4) | instskip(NEXT) | instid1(VALU_DEP_4)
	v_pk_fma_f32 v[94:95], v[142:143], v[138:139], v[98:99] neg_lo:[0,0,1] neg_hi:[0,0,1]
	v_pk_add_f32 v[90:91], v[90:91], v[92:93]
	v_pk_fma_f32 v[92:93], v[142:143], v[138:139], v[98:99] op_sel_hi:[1,0,1]
	s_delay_alu instid0(VALU_DEP_2) | instskip(NEXT) | instid1(VALU_DEP_2)
	v_pk_add_f32 v[90:91], v[90:91], v[96:97]
	v_mov_b32_e32 v95, v93
	s_delay_alu instid0(VALU_DEP_1) | instskip(SKIP_1) | instid1(VALU_DEP_1)
	v_pk_add_f32 v[90:91], v[90:91], v[94:95]
	s_wait_loadcnt 0x0
	v_pk_add_f32 v[90:91], v[140:141], v[90:91] neg_lo:[0,1] neg_hi:[0,1]
	scratch_store_b64 off, v[90:91], off offset:240
	s_wait_xcnt 0x0
	v_cmpx_lt_u32_e32 29, v0
	s_cbranch_execz .LBB43_219
; %bb.218:
	scratch_load_b64 v[90:91], off, off offset:232
	v_mov_b64_e32 v[92:93], 0
	scratch_store_b64 off, v[92:93], off offset:232
	s_wait_loadcnt 0x0
	ds_store_b64 v1, v[90:91]
.LBB43_219:
	s_wait_xcnt 0x0
	s_or_b32 exec_lo, exec_lo, s0
	s_wait_storecnt_dscnt 0x0
	s_barrier_signal -1
	s_barrier_wait -1
	s_clause 0x7
	scratch_load_b128 v[90:93], off, off offset:240
	scratch_load_b128 v[94:97], off, off offset:256
	;; [unrolled: 1-line block ×7, first 2 shown]
	scratch_load_b64 v[146:147], off, off offset:232
	ds_load_b128 v[118:121], v5 offset:640
	ds_load_b128 v[122:125], v5 offset:656
	ds_load_b128 v[126:129], v5 offset:672
	ds_load_b128 v[130:133], v5 offset:688
	ds_load_b128 v[134:137], v5 offset:592
	ds_load_b128 v[138:141], v5 offset:608
	ds_load_b128 v[142:145], v5 offset:624
	s_mov_b32 s0, exec_lo
	s_wait_dscnt 0x6
	v_dual_mov_b32 v148, v121 :: v_dual_mov_b32 v149, v120
	s_wait_dscnt 0x5
	v_dual_mov_b32 v150, v125 :: v_dual_mov_b32 v151, v124
	;; [unrolled: 2-line block ×4, first 2 shown]
	s_wait_loadcnt_dscnt 0x702
	v_dual_mul_f32 v5, v134, v91 :: v_dual_mul_f32 v7, v136, v93
	v_dual_mul_f32 v15, v135, v91 :: v_dual_mul_f32 v17, v137, v93
	s_wait_loadcnt_dscnt 0x601
	v_dual_mul_f32 v11, v138, v95 :: v_dual_mul_f32 v13, v140, v97
	s_delay_alu instid0(VALU_DEP_2) | instskip(SKIP_2) | instid1(VALU_DEP_3)
	v_dual_fmac_f32 v5, v135, v90 :: v_dual_fma_f32 v15, v134, v90, -v15
	v_dual_mul_f32 v19, v139, v95 :: v_dual_mul_f32 v21, v141, v97
	v_dual_fmac_f32 v7, v137, v92 :: v_dual_fma_f32 v17, v136, v92, -v17
	v_dual_add_f32 v5, 0, v5 :: v_dual_add_f32 v15, 0, v15
	s_wait_loadcnt 0x4
	v_dual_mov_b32 v92, v105 :: v_dual_fmac_f32 v11, v139, v94
	s_delay_alu instid0(VALU_DEP_2) | instskip(NEXT) | instid1(VALU_DEP_3)
	v_dual_fma_f32 v19, v138, v94, -v19 :: v_dual_add_f32 v5, v5, v7
	v_dual_add_f32 v7, v15, v17 :: v_dual_fmac_f32 v13, v141, v96
	s_wait_dscnt 0x0
	v_dual_mul_f32 v157, v142, v99 :: v_dual_mul_f32 v159, v144, v101
	v_dual_mul_f32 v23, v143, v99 :: v_dual_mul_f32 v25, v145, v101
	v_dual_fma_f32 v15, v140, v96, -v21 :: v_dual_add_f32 v5, v5, v11
	s_wait_loadcnt 0x3
	v_dual_add_f32 v7, v7, v19 :: v_dual_mov_b32 v96, v109
	v_pk_mul_f32 v[90:91], v[118:119], v[102:103] op_sel:[1,1] op_sel_hi:[0,1]
	v_dual_fmac_f32 v157, v143, v98 :: v_dual_fma_f32 v156, v142, v98, -v23
	s_delay_alu instid0(VALU_DEP_3) | instskip(SKIP_1) | instid1(VALU_DEP_4)
	v_dual_add_f32 v99, v5, v13 :: v_dual_add_f32 v98, v7, v15
	v_dual_fmac_f32 v159, v145, v100 :: v_dual_fma_f32 v158, v144, v100, -v25
	v_pk_fma_f32 v[100:101], v[118:119], v[102:103], v[90:91] op_sel_hi:[1,0,1]
	v_pk_mul_f32 v[92:93], v[148:149], v[92:93] op_sel_hi:[1,0]
	s_delay_alu instid0(VALU_DEP_4)
	v_pk_add_f32 v[98:99], v[98:99], v[156:157]
	v_pk_fma_f32 v[90:91], v[118:119], v[102:103], v[90:91] neg_lo:[0,0,1] neg_hi:[0,0,1]
	v_pk_mul_f32 v[94:95], v[122:123], v[106:107] op_sel:[1,1] op_sel_hi:[0,1]
	v_mov_b32_e32 v91, v101
	v_pk_fma_f32 v[100:101], v[120:121], v[104:105], v[92:93] op_sel_hi:[1,0,1]
	v_pk_add_f32 v[98:99], v[98:99], v[158:159]
	v_pk_fma_f32 v[92:93], v[120:121], v[104:105], v[92:93] neg_lo:[0,0,1] neg_hi:[0,0,1]
	v_pk_fma_f32 v[102:103], v[122:123], v[106:107], v[94:95] op_sel_hi:[1,0,1]
	v_pk_mul_f32 v[96:97], v[150:151], v[96:97] op_sel_hi:[1,0]
	v_mov_b32_e32 v93, v101
	v_pk_add_f32 v[90:91], v[98:99], v[90:91]
	s_wait_loadcnt 0x2
	v_pk_mul_f32 v[134:135], v[126:127], v[110:111] op_sel:[1,1] op_sel_hi:[0,1]
	v_mov_b32_e32 v98, v113
	v_pk_fma_f32 v[94:95], v[122:123], v[106:107], v[94:95] neg_lo:[0,0,1] neg_hi:[0,0,1]
	v_mov_b32_e32 v95, v103
	v_pk_fma_f32 v[100:101], v[124:125], v[108:109], v[96:97] op_sel_hi:[1,0,1]
	v_pk_add_f32 v[90:91], v[90:91], v[92:93]
	v_pk_fma_f32 v[92:93], v[126:127], v[110:111], v[134:135] op_sel_hi:[1,0,1]
	v_pk_mul_f32 v[98:99], v[152:153], v[98:99] op_sel_hi:[1,0]
	v_pk_fma_f32 v[96:97], v[124:125], v[108:109], v[96:97] neg_lo:[0,0,1] neg_hi:[0,0,1]
	v_mov_b32_e32 v97, v101
	v_pk_add_f32 v[90:91], v[90:91], v[94:95]
	v_pk_fma_f32 v[100:101], v[126:127], v[110:111], v[134:135] neg_lo:[0,0,1] neg_hi:[0,0,1]
	v_mov_b32_e32 v101, v93
	v_pk_fma_f32 v[92:93], v[128:129], v[112:113], v[98:99] op_sel_hi:[1,0,1]
	s_wait_loadcnt 0x1
	v_pk_mul_f32 v[94:95], v[130:131], v[114:115] op_sel:[1,1] op_sel_hi:[0,1]
	v_pk_add_f32 v[90:91], v[90:91], v[96:97]
	v_mov_b32_e32 v92, v117
	v_pk_fma_f32 v[98:99], v[128:129], v[112:113], v[98:99] neg_lo:[0,0,1] neg_hi:[0,0,1]
	v_mov_b32_e32 v99, v93
	v_pk_fma_f32 v[96:97], v[130:131], v[114:115], v[94:95] op_sel_hi:[1,0,1]
	v_pk_add_f32 v[90:91], v[90:91], v[100:101]
	v_pk_mul_f32 v[92:93], v[154:155], v[92:93] op_sel_hi:[1,0]
	v_pk_fma_f32 v[94:95], v[130:131], v[114:115], v[94:95] neg_lo:[0,0,1] neg_hi:[0,0,1]
	s_delay_alu instid0(VALU_DEP_4) | instskip(NEXT) | instid1(VALU_DEP_4)
	v_mov_b32_e32 v95, v97
	v_pk_add_f32 v[90:91], v[90:91], v[98:99]
	s_delay_alu instid0(VALU_DEP_4) | instskip(SKIP_1) | instid1(VALU_DEP_2)
	v_pk_fma_f32 v[96:97], v[132:133], v[116:117], v[92:93] op_sel_hi:[1,0,1]
	v_pk_fma_f32 v[92:93], v[132:133], v[116:117], v[92:93] neg_lo:[0,0,1] neg_hi:[0,0,1]
	v_mov_b32_e32 v93, v97
	s_delay_alu instid0(VALU_DEP_4) | instskip(NEXT) | instid1(VALU_DEP_1)
	v_pk_add_f32 v[90:91], v[90:91], v[94:95]
	v_pk_add_f32 v[90:91], v[90:91], v[92:93]
	s_wait_loadcnt 0x0
	s_delay_alu instid0(VALU_DEP_1)
	v_pk_add_f32 v[90:91], v[146:147], v[90:91] neg_lo:[0,1] neg_hi:[0,1]
	scratch_store_b64 off, v[90:91], off offset:232
	s_wait_xcnt 0x0
	v_cmpx_lt_u32_e32 28, v0
	s_cbranch_execz .LBB43_221
; %bb.220:
	scratch_load_b64 v[90:91], off, off offset:224
	v_mov_b64_e32 v[92:93], 0
	scratch_store_b64 off, v[92:93], off offset:224
	s_wait_loadcnt 0x0
	ds_store_b64 v1, v[90:91]
.LBB43_221:
	s_wait_xcnt 0x0
	s_or_b32 exec_lo, exec_lo, s0
	s_wait_storecnt_dscnt 0x0
	s_barrier_signal -1
	s_barrier_wait -1
	s_clause 0x8
	scratch_load_b128 v[90:93], off, off offset:232
	scratch_load_b128 v[94:97], off, off offset:248
	scratch_load_b128 v[98:101], off, off offset:264
	scratch_load_b128 v[102:105], off, off offset:280
	scratch_load_b128 v[106:109], off, off offset:296
	scratch_load_b128 v[110:113], off, off offset:312
	scratch_load_b128 v[114:117], off, off offset:328
	scratch_load_b64 v[146:147], off, off offset:344
	scratch_load_b64 v[148:149], off, off offset:224
	v_mov_b32_e32 v5, 0
	ds_load_2addr_b64 v[118:121], v5 offset0:79 offset1:80
	ds_load_2addr_b64 v[122:125], v5 offset0:81 offset1:82
	;; [unrolled: 1-line block ×7, first 2 shown]
	ds_load_b64 v[150:151], v5 offset:696
	s_mov_b32 s0, exec_lo
	s_wait_dscnt 0x7
	v_dual_mov_b32 v152, v121 :: v_dual_mov_b32 v153, v120
	s_wait_dscnt 0x4
	v_dual_mov_b32 v154, v125 :: v_dual_mov_b32 v159, v132
	v_dual_mov_b32 v155, v124 :: v_dual_mov_b32 v156, v129
	;; [unrolled: 1-line block ×3, first 2 shown]
	s_wait_loadcnt_dscnt 0x803
	v_dual_mul_f32 v7, v134, v91 :: v_dual_mul_f32 v19, v135, v91
	v_dual_mul_f32 v21, v137, v93 :: v_dual_mul_f32 v11, v136, v93
	s_wait_loadcnt_dscnt 0x702
	v_mul_f32_e32 v13, v138, v95
	s_wait_loadcnt 0x5
	v_dual_mul_f32 v31, v119, v103 :: v_dual_fma_f32 v19, v134, v90, -v19
	v_dual_fmac_f32 v7, v135, v90 :: v_dual_mov_b32 v90, v105
	v_dual_mul_f32 v23, v139, v95 :: v_dual_mul_f32 v25, v141, v97
	v_dual_fmac_f32 v11, v137, v92 :: v_dual_fma_f32 v21, v136, v92, -v21
	s_delay_alu instid0(VALU_DEP_3) | instskip(NEXT) | instid1(VALU_DEP_3)
	v_dual_add_f32 v7, 0, v7 :: v_dual_fmac_f32 v13, v139, v94
	v_dual_add_f32 v19, 0, v19 :: v_dual_fma_f32 v23, v138, v94, -v23
	s_wait_dscnt 0x1
	v_dual_mul_f32 v15, v140, v97 :: v_dual_mul_f32 v17, v142, v99
	s_wait_loadcnt 0x4
	v_dual_add_f32 v7, v7, v11 :: v_dual_mov_b32 v94, v109
	s_delay_alu instid0(VALU_DEP_2) | instskip(SKIP_1) | instid1(VALU_DEP_3)
	v_dual_add_f32 v11, v19, v21 :: v_dual_fmac_f32 v15, v141, v96
	v_dual_mul_f32 v27, v143, v99 :: v_dual_mul_f32 v29, v145, v101
	v_dual_fma_f32 v19, v140, v96, -v25 :: v_dual_add_f32 v7, v7, v13
	s_delay_alu instid0(VALU_DEP_2) | instskip(SKIP_2) | instid1(VALU_DEP_4)
	v_dual_add_f32 v11, v11, v23 :: v_dual_fma_f32 v13, v142, v98, -v27
	v_dual_mul_f32 v161, v144, v101 :: v_dual_mul_f32 v163, v118, v103
	v_fmac_f32_e32 v17, v143, v98
	v_add_f32_e32 v7, v7, v15
	s_delay_alu instid0(VALU_DEP_4)
	v_dual_add_f32 v11, v11, v19 :: v_dual_fma_f32 v160, v144, v100, -v29
	v_pk_mul_f32 v[90:91], v[152:153], v[90:91] op_sel_hi:[1,0]
	v_pk_mul_f32 v[94:95], v[154:155], v[94:95] op_sel_hi:[1,0]
	v_pk_mul_f32 v[92:93], v[122:123], v[106:107] op_sel:[1,1] op_sel_hi:[0,1]
	v_fmac_f32_e32 v161, v145, v100
	s_wait_loadcnt 0x3
	v_dual_mov_b32 v100, v113 :: v_dual_add_f32 v99, v7, v17
	v_fma_f32 v162, v118, v102, -v31
	v_fmac_f32_e32 v163, v119, v102
	v_pk_fma_f32 v[102:103], v[120:121], v[104:105], v[90:91] op_sel_hi:[1,0,1]
	v_pk_fma_f32 v[90:91], v[120:121], v[104:105], v[90:91] neg_lo:[0,0,1] neg_hi:[0,0,1]
	v_pk_fma_f32 v[104:105], v[124:125], v[108:109], v[94:95] op_sel_hi:[1,0,1]
	v_add_f32_e32 v98, v11, v13
	v_pk_fma_f32 v[94:95], v[124:125], v[108:109], v[94:95] neg_lo:[0,0,1] neg_hi:[0,0,1]
	v_pk_fma_f32 v[118:119], v[122:123], v[106:107], v[92:93] op_sel_hi:[1,0,1]
	v_pk_fma_f32 v[92:93], v[122:123], v[106:107], v[92:93] neg_lo:[0,0,1] neg_hi:[0,0,1]
	v_mov_b32_e32 v95, v105
	v_pk_add_f32 v[98:99], v[98:99], v[160:161]
	s_delay_alu instid0(VALU_DEP_4) | instskip(SKIP_2) | instid1(VALU_DEP_4)
	v_dual_mov_b32 v91, v103 :: v_dual_mov_b32 v93, v119
	v_pk_mul_f32 v[96:97], v[126:127], v[110:111] op_sel:[1,1] op_sel_hi:[0,1]
	v_pk_mul_f32 v[100:101], v[156:157], v[100:101] op_sel_hi:[1,0]
	v_pk_add_f32 v[98:99], v[98:99], v[162:163]
	s_wait_loadcnt 0x2
	v_pk_mul_f32 v[102:103], v[130:131], v[114:115] op_sel:[1,1] op_sel_hi:[0,1]
	s_delay_alu instid0(VALU_DEP_2) | instskip(SKIP_2) | instid1(VALU_DEP_3)
	v_pk_add_f32 v[90:91], v[98:99], v[90:91]
	v_pk_fma_f32 v[98:99], v[126:127], v[110:111], v[96:97] op_sel_hi:[1,0,1]
	v_pk_fma_f32 v[96:97], v[126:127], v[110:111], v[96:97] neg_lo:[0,0,1] neg_hi:[0,0,1]
	v_pk_add_f32 v[90:91], v[90:91], v[92:93]
	s_delay_alu instid0(VALU_DEP_3) | instskip(SKIP_2) | instid1(VALU_DEP_4)
	v_dual_mov_b32 v92, v117 :: v_dual_mov_b32 v97, v99
	v_pk_fma_f32 v[98:99], v[128:129], v[112:113], v[100:101] op_sel_hi:[1,0,1]
	v_pk_fma_f32 v[100:101], v[128:129], v[112:113], v[100:101] neg_lo:[0,0,1] neg_hi:[0,0,1]
	v_pk_add_f32 v[90:91], v[90:91], v[94:95]
	v_pk_fma_f32 v[94:95], v[130:131], v[114:115], v[102:103] op_sel_hi:[1,0,1]
	v_pk_mul_f32 v[92:93], v[158:159], v[92:93] op_sel_hi:[1,0]
	v_mov_b32_e32 v101, v99
	s_wait_loadcnt_dscnt 0x100
	v_pk_mul_f32 v[98:99], v[150:151], v[146:147] op_sel:[1,1] op_sel_hi:[0,1]
	v_pk_add_f32 v[90:91], v[90:91], v[96:97]
	v_pk_fma_f32 v[96:97], v[130:131], v[114:115], v[102:103] neg_lo:[0,0,1] neg_hi:[0,0,1]
	v_mov_b32_e32 v97, v95
	v_pk_fma_f32 v[94:95], v[132:133], v[116:117], v[92:93] op_sel_hi:[1,0,1]
	v_pk_fma_f32 v[92:93], v[132:133], v[116:117], v[92:93] neg_lo:[0,0,1] neg_hi:[0,0,1]
	v_pk_add_f32 v[90:91], v[90:91], v[100:101]
	s_delay_alu instid0(VALU_DEP_3) | instskip(SKIP_1) | instid1(VALU_DEP_3)
	v_mov_b32_e32 v93, v95
	v_pk_fma_f32 v[94:95], v[150:151], v[146:147], v[98:99] op_sel_hi:[1,0,1]
	v_pk_add_f32 v[90:91], v[90:91], v[96:97]
	v_pk_fma_f32 v[96:97], v[150:151], v[146:147], v[98:99] neg_lo:[0,0,1] neg_hi:[0,0,1]
	s_delay_alu instid0(VALU_DEP_3) | instskip(NEXT) | instid1(VALU_DEP_3)
	v_mov_b32_e32 v97, v95
	v_pk_add_f32 v[90:91], v[90:91], v[92:93]
	s_delay_alu instid0(VALU_DEP_1) | instskip(SKIP_1) | instid1(VALU_DEP_1)
	v_pk_add_f32 v[90:91], v[90:91], v[96:97]
	s_wait_loadcnt 0x0
	v_pk_add_f32 v[90:91], v[148:149], v[90:91] neg_lo:[0,1] neg_hi:[0,1]
	scratch_store_b64 off, v[90:91], off offset:224
	s_wait_xcnt 0x0
	v_cmpx_lt_u32_e32 27, v0
	s_cbranch_execz .LBB43_223
; %bb.222:
	scratch_load_b64 v[90:91], off, off offset:216
	v_mov_b64_e32 v[92:93], 0
	scratch_store_b64 off, v[92:93], off offset:216
	s_wait_loadcnt 0x0
	ds_store_b64 v1, v[90:91]
.LBB43_223:
	s_wait_xcnt 0x0
	s_or_b32 exec_lo, exec_lo, s0
	s_wait_storecnt_dscnt 0x0
	s_barrier_signal -1
	s_barrier_wait -1
	s_clause 0x8
	scratch_load_b128 v[90:93], off, off offset:224
	scratch_load_b128 v[94:97], off, off offset:240
	;; [unrolled: 1-line block ×8, first 2 shown]
	scratch_load_b64 v[154:155], off, off offset:216
	ds_load_b128 v[122:125], v5 offset:640
	ds_load_b128 v[126:129], v5 offset:656
	;; [unrolled: 1-line block ×8, first 2 shown]
	s_mov_b32 s0, exec_lo
	s_wait_dscnt 0x7
	v_dual_mov_b32 v156, v125 :: v_dual_mov_b32 v157, v124
	s_wait_dscnt 0x6
	v_dual_mov_b32 v158, v129 :: v_dual_mov_b32 v159, v128
	;; [unrolled: 2-line block ×4, first 2 shown]
	s_wait_loadcnt_dscnt 0x803
	v_dual_mul_f32 v5, v138, v91 :: v_dual_mul_f32 v7, v140, v93
	v_dual_mul_f32 v19, v139, v91 :: v_dual_mul_f32 v21, v141, v93
	s_wait_loadcnt_dscnt 0x702
	v_dual_mul_f32 v11, v142, v95 :: v_dual_mul_f32 v13, v144, v97
	s_delay_alu instid0(VALU_DEP_2) | instskip(SKIP_3) | instid1(VALU_DEP_3)
	v_dual_fmac_f32 v5, v139, v90 :: v_dual_fma_f32 v19, v138, v90, -v19
	v_dual_mul_f32 v23, v143, v95 :: v_dual_mul_f32 v25, v145, v97
	s_wait_loadcnt_dscnt 0x500
	v_dual_mul_f32 v31, v151, v103 :: v_dual_fmac_f32 v7, v141, v92
	v_dual_fma_f32 v21, v140, v92, -v21 :: v_dual_add_f32 v5, 0, v5
	v_dual_add_f32 v19, 0, v19 :: v_dual_mul_f32 v33, v153, v105
	v_fmac_f32_e32 v11, v143, v94
	s_delay_alu instid0(VALU_DEP_3) | instskip(NEXT) | instid1(VALU_DEP_3)
	v_dual_fma_f32 v23, v142, v94, -v23 :: v_dual_add_f32 v5, v5, v7
	v_dual_add_f32 v7, v19, v21 :: v_dual_mul_f32 v15, v146, v99
	v_dual_mul_f32 v17, v148, v101 :: v_dual_mul_f32 v27, v147, v99
	v_mul_f32_e32 v29, v149, v101
	s_delay_alu instid0(VALU_DEP_3) | instskip(SKIP_3) | instid1(VALU_DEP_2)
	v_dual_fmac_f32 v13, v145, v96 :: v_dual_add_f32 v7, v7, v23
	v_dual_fma_f32 v19, v144, v96, -v25 :: v_dual_add_f32 v5, v5, v11
	s_wait_loadcnt 0x4
	v_dual_mov_b32 v92, v109 :: v_dual_fmac_f32 v15, v147, v98
	v_dual_fma_f32 v11, v146, v98, -v27 :: v_dual_add_f32 v7, v7, v19
	v_fmac_f32_e32 v17, v149, v100
	v_dual_add_f32 v5, v5, v13 :: v_dual_mul_f32 v165, v150, v103
	v_mul_f32_e32 v167, v152, v105
	s_delay_alu instid0(VALU_DEP_4)
	v_dual_fma_f32 v13, v148, v100, -v29 :: v_dual_add_f32 v7, v7, v11
	s_wait_loadcnt 0x3
	v_mov_b32_e32 v96, v113
	v_add_f32_e32 v5, v5, v15
	v_pk_mul_f32 v[90:91], v[122:123], v[106:107] op_sel:[1,1] op_sel_hi:[0,1]
	v_dual_fmac_f32 v165, v151, v102 :: v_dual_fma_f32 v164, v150, v102, -v31
	v_dual_add_f32 v98, v7, v13 :: v_dual_fmac_f32 v167, v153, v104
	s_delay_alu instid0(VALU_DEP_4) | instskip(NEXT) | instid1(VALU_DEP_4)
	v_dual_add_f32 v99, v5, v17 :: v_dual_fma_f32 v166, v152, v104, -v33
	v_pk_fma_f32 v[100:101], v[122:123], v[106:107], v[90:91] op_sel_hi:[1,0,1]
	v_pk_mul_f32 v[92:93], v[156:157], v[92:93] op_sel_hi:[1,0]
	v_pk_fma_f32 v[90:91], v[122:123], v[106:107], v[90:91] neg_lo:[0,0,1] neg_hi:[0,0,1]
	s_delay_alu instid0(VALU_DEP_4)
	v_pk_add_f32 v[98:99], v[98:99], v[164:165]
	v_pk_mul_f32 v[94:95], v[126:127], v[110:111] op_sel:[1,1] op_sel_hi:[0,1]
	v_mov_b32_e32 v91, v101
	v_pk_fma_f32 v[100:101], v[124:125], v[108:109], v[92:93] op_sel_hi:[1,0,1]
	v_pk_fma_f32 v[92:93], v[124:125], v[108:109], v[92:93] neg_lo:[0,0,1] neg_hi:[0,0,1]
	v_pk_add_f32 v[98:99], v[98:99], v[166:167]
	v_pk_fma_f32 v[104:105], v[126:127], v[110:111], v[94:95] op_sel_hi:[1,0,1]
	v_pk_mul_f32 v[96:97], v[158:159], v[96:97] op_sel_hi:[1,0]
	v_mov_b32_e32 v93, v101
	s_wait_loadcnt 0x2
	v_pk_mul_f32 v[102:103], v[130:131], v[114:115] op_sel:[1,1] op_sel_hi:[0,1]
	v_pk_add_f32 v[90:91], v[98:99], v[90:91]
	v_mov_b32_e32 v98, v117
	v_pk_fma_f32 v[94:95], v[126:127], v[110:111], v[94:95] neg_lo:[0,0,1] neg_hi:[0,0,1]
	v_mov_b32_e32 v95, v105
	v_pk_fma_f32 v[100:101], v[128:129], v[112:113], v[96:97] op_sel_hi:[1,0,1]
	v_pk_add_f32 v[90:91], v[90:91], v[92:93]
	v_pk_fma_f32 v[92:93], v[130:131], v[114:115], v[102:103] op_sel_hi:[1,0,1]
	v_pk_mul_f32 v[98:99], v[160:161], v[98:99] op_sel_hi:[1,0]
	v_pk_fma_f32 v[96:97], v[128:129], v[112:113], v[96:97] neg_lo:[0,0,1] neg_hi:[0,0,1]
	v_mov_b32_e32 v97, v101
	v_pk_add_f32 v[90:91], v[90:91], v[94:95]
	v_pk_fma_f32 v[100:101], v[130:131], v[114:115], v[102:103] neg_lo:[0,0,1] neg_hi:[0,0,1]
	v_mov_b32_e32 v101, v93
	v_pk_fma_f32 v[92:93], v[132:133], v[116:117], v[98:99] op_sel_hi:[1,0,1]
	s_wait_loadcnt 0x1
	v_pk_mul_f32 v[94:95], v[134:135], v[118:119] op_sel:[1,1] op_sel_hi:[0,1]
	v_pk_add_f32 v[90:91], v[90:91], v[96:97]
	v_mov_b32_e32 v92, v121
	v_pk_fma_f32 v[98:99], v[132:133], v[116:117], v[98:99] neg_lo:[0,0,1] neg_hi:[0,0,1]
	v_mov_b32_e32 v99, v93
	v_pk_fma_f32 v[96:97], v[134:135], v[118:119], v[94:95] op_sel_hi:[1,0,1]
	v_pk_add_f32 v[90:91], v[90:91], v[100:101]
	v_pk_mul_f32 v[92:93], v[162:163], v[92:93] op_sel_hi:[1,0]
	v_pk_fma_f32 v[94:95], v[134:135], v[118:119], v[94:95] neg_lo:[0,0,1] neg_hi:[0,0,1]
	s_delay_alu instid0(VALU_DEP_4) | instskip(NEXT) | instid1(VALU_DEP_4)
	v_mov_b32_e32 v95, v97
	v_pk_add_f32 v[90:91], v[90:91], v[98:99]
	s_delay_alu instid0(VALU_DEP_4) | instskip(SKIP_1) | instid1(VALU_DEP_2)
	v_pk_fma_f32 v[96:97], v[136:137], v[120:121], v[92:93] op_sel_hi:[1,0,1]
	v_pk_fma_f32 v[92:93], v[136:137], v[120:121], v[92:93] neg_lo:[0,0,1] neg_hi:[0,0,1]
	v_mov_b32_e32 v93, v97
	s_delay_alu instid0(VALU_DEP_4) | instskip(NEXT) | instid1(VALU_DEP_1)
	v_pk_add_f32 v[90:91], v[90:91], v[94:95]
	v_pk_add_f32 v[90:91], v[90:91], v[92:93]
	s_wait_loadcnt 0x0
	s_delay_alu instid0(VALU_DEP_1)
	v_pk_add_f32 v[90:91], v[154:155], v[90:91] neg_lo:[0,1] neg_hi:[0,1]
	scratch_store_b64 off, v[90:91], off offset:216
	s_wait_xcnt 0x0
	v_cmpx_lt_u32_e32 26, v0
	s_cbranch_execz .LBB43_225
; %bb.224:
	scratch_load_b64 v[90:91], off, off offset:208
	v_mov_b64_e32 v[92:93], 0
	scratch_store_b64 off, v[92:93], off offset:208
	s_wait_loadcnt 0x0
	ds_store_b64 v1, v[90:91]
.LBB43_225:
	s_wait_xcnt 0x0
	s_or_b32 exec_lo, exec_lo, s0
	s_wait_storecnt_dscnt 0x0
	s_barrier_signal -1
	s_barrier_wait -1
	s_clause 0x9
	scratch_load_b128 v[90:93], off, off offset:216
	scratch_load_b128 v[94:97], off, off offset:232
	;; [unrolled: 1-line block ×8, first 2 shown]
	scratch_load_b64 v[154:155], off, off offset:344
	scratch_load_b64 v[156:157], off, off offset:208
	v_mov_b32_e32 v5, 0
	ds_load_2addr_b64 v[122:125], v5 offset0:79 offset1:80
	ds_load_2addr_b64 v[126:129], v5 offset0:81 offset1:82
	;; [unrolled: 1-line block ×8, first 2 shown]
	ds_load_b64 v[158:159], v5 offset:696
	s_mov_b32 s0, exec_lo
	s_wait_dscnt 0x7
	v_dual_mov_b32 v161, v124 :: v_dual_mov_b32 v162, v129
	s_wait_dscnt 0x6
	v_dual_mov_b32 v163, v128 :: v_dual_mov_b32 v164, v133
	s_wait_dscnt 0x5
	v_dual_mov_b32 v167, v136 :: v_dual_mov_b32 v160, v125
	v_dual_mov_b32 v165, v132 :: v_dual_mov_b32 v166, v137
	s_wait_loadcnt_dscnt 0x904
	v_dual_mul_f32 v7, v138, v91 :: v_dual_mul_f32 v23, v139, v91
	v_dual_mul_f32 v25, v141, v93 :: v_dual_mul_f32 v11, v140, v93
	s_wait_loadcnt_dscnt 0x803
	v_mul_f32_e32 v13, v142, v95
	s_wait_loadcnt_dscnt 0x601
	v_dual_mul_f32 v35, v151, v103 :: v_dual_fma_f32 v23, v138, v90, -v23
	v_dual_fmac_f32 v7, v139, v90 :: v_dual_mul_f32 v37, v153, v105
	v_dual_mul_f32 v27, v143, v95 :: v_dual_mul_f32 v29, v145, v97
	v_dual_fmac_f32 v11, v141, v92 :: v_dual_fma_f32 v25, v140, v92, -v25
	s_delay_alu instid0(VALU_DEP_3) | instskip(NEXT) | instid1(VALU_DEP_3)
	v_dual_add_f32 v7, 0, v7 :: v_dual_fmac_f32 v13, v143, v94
	v_dual_add_f32 v23, 0, v23 :: v_dual_fma_f32 v27, v142, v94, -v27
	v_dual_mul_f32 v15, v144, v97 :: v_dual_mul_f32 v17, v146, v99
	s_delay_alu instid0(VALU_DEP_3) | instskip(NEXT) | instid1(VALU_DEP_3)
	v_add_f32_e32 v7, v7, v11
	v_dual_add_f32 v11, v23, v25 :: v_dual_fma_f32 v23, v144, v96, -v29
	v_dual_mul_f32 v31, v147, v99 :: v_dual_mul_f32 v33, v149, v101
	s_delay_alu instid0(VALU_DEP_3) | instskip(SKIP_1) | instid1(VALU_DEP_3)
	v_dual_fmac_f32 v15, v145, v96 :: v_dual_add_f32 v7, v7, v13
	s_wait_loadcnt 0x4
	v_dual_add_f32 v11, v11, v27 :: v_dual_mov_b32 v94, v113
	v_dual_mul_f32 v19, v148, v101 :: v_dual_mul_f32 v21, v150, v103
	v_dual_fmac_f32 v17, v147, v98 :: v_dual_fma_f32 v13, v146, v98, -v31
	v_dual_add_f32 v7, v7, v15 :: v_dual_fma_f32 v15, v148, v100, -v33
	s_delay_alu instid0(VALU_DEP_4) | instskip(SKIP_2) | instid1(VALU_DEP_4)
	v_dual_add_f32 v11, v11, v23 :: v_dual_mul_f32 v169, v152, v105
	v_mul_f32_e32 v171, v122, v107
	v_pk_mul_f32 v[92:93], v[126:127], v[110:111] op_sel:[1,1] op_sel_hi:[0,1]
	v_dual_fmac_f32 v19, v149, v100 :: v_dual_add_f32 v7, v7, v17
	s_delay_alu instid0(VALU_DEP_4) | instskip(SKIP_4) | instid1(VALU_DEP_3)
	v_dual_fmac_f32 v169, v153, v104 :: v_dual_add_f32 v11, v11, v13
	v_dual_fma_f32 v168, v152, v104, -v37 :: v_dual_mul_f32 v39, v123, v107
	v_dual_mov_b32 v90, v109 :: v_dual_fmac_f32 v21, v151, v102
	s_wait_loadcnt 0x3
	v_dual_mov_b32 v100, v117 :: v_dual_fma_f32 v13, v150, v102, -v35
	v_dual_add_f32 v7, v7, v19 :: v_dual_fma_f32 v170, v122, v106, -v39
	v_pk_fma_f32 v[104:105], v[126:127], v[110:111], v[92:93] op_sel_hi:[1,0,1]
	v_add_f32_e32 v11, v11, v15
	v_pk_mul_f32 v[94:95], v[162:163], v[94:95] op_sel_hi:[1,0]
	v_pk_fma_f32 v[92:93], v[126:127], v[110:111], v[92:93] neg_lo:[0,0,1] neg_hi:[0,0,1]
	v_pk_mul_f32 v[90:91], v[160:161], v[90:91] op_sel_hi:[1,0]
	s_delay_alu instid0(VALU_DEP_4) | instskip(NEXT) | instid1(VALU_DEP_4)
	v_dual_mov_b32 v93, v105 :: v_dual_add_f32 v98, v11, v13
	v_pk_fma_f32 v[104:105], v[128:129], v[112:113], v[94:95] op_sel_hi:[1,0,1]
	v_add_f32_e32 v99, v7, v21
	v_pk_fma_f32 v[94:95], v[128:129], v[112:113], v[94:95] neg_lo:[0,0,1] neg_hi:[0,0,1]
	v_fmac_f32_e32 v171, v123, v106
	v_pk_fma_f32 v[102:103], v[124:125], v[108:109], v[90:91] op_sel_hi:[1,0,1]
	v_mov_b32_e32 v95, v105
	v_pk_add_f32 v[98:99], v[98:99], v[168:169]
	v_pk_fma_f32 v[90:91], v[124:125], v[108:109], v[90:91] neg_lo:[0,0,1] neg_hi:[0,0,1]
	v_pk_mul_f32 v[96:97], v[130:131], v[114:115] op_sel:[1,1] op_sel_hi:[0,1]
	v_mov_b32_e32 v91, v103
	v_pk_mul_f32 v[100:101], v[164:165], v[100:101] op_sel_hi:[1,0]
	v_pk_add_f32 v[98:99], v[98:99], v[170:171]
	s_wait_loadcnt 0x2
	v_pk_mul_f32 v[102:103], v[134:135], v[118:119] op_sel:[1,1] op_sel_hi:[0,1]
	s_delay_alu instid0(VALU_DEP_2) | instskip(SKIP_2) | instid1(VALU_DEP_3)
	v_pk_add_f32 v[90:91], v[98:99], v[90:91]
	v_pk_fma_f32 v[98:99], v[130:131], v[114:115], v[96:97] op_sel_hi:[1,0,1]
	v_pk_fma_f32 v[96:97], v[130:131], v[114:115], v[96:97] neg_lo:[0,0,1] neg_hi:[0,0,1]
	v_pk_add_f32 v[90:91], v[90:91], v[92:93]
	s_delay_alu instid0(VALU_DEP_3) | instskip(SKIP_2) | instid1(VALU_DEP_4)
	v_dual_mov_b32 v92, v121 :: v_dual_mov_b32 v97, v99
	v_pk_fma_f32 v[98:99], v[132:133], v[116:117], v[100:101] op_sel_hi:[1,0,1]
	v_pk_fma_f32 v[100:101], v[132:133], v[116:117], v[100:101] neg_lo:[0,0,1] neg_hi:[0,0,1]
	v_pk_add_f32 v[90:91], v[90:91], v[94:95]
	v_pk_fma_f32 v[94:95], v[134:135], v[118:119], v[102:103] op_sel_hi:[1,0,1]
	v_pk_mul_f32 v[92:93], v[166:167], v[92:93] op_sel_hi:[1,0]
	v_mov_b32_e32 v101, v99
	s_wait_loadcnt_dscnt 0x100
	v_pk_mul_f32 v[98:99], v[158:159], v[154:155] op_sel:[1,1] op_sel_hi:[0,1]
	v_pk_add_f32 v[90:91], v[90:91], v[96:97]
	v_pk_fma_f32 v[96:97], v[134:135], v[118:119], v[102:103] neg_lo:[0,0,1] neg_hi:[0,0,1]
	v_mov_b32_e32 v97, v95
	v_pk_fma_f32 v[94:95], v[136:137], v[120:121], v[92:93] op_sel_hi:[1,0,1]
	v_pk_fma_f32 v[92:93], v[136:137], v[120:121], v[92:93] neg_lo:[0,0,1] neg_hi:[0,0,1]
	v_pk_add_f32 v[90:91], v[90:91], v[100:101]
	s_delay_alu instid0(VALU_DEP_3) | instskip(SKIP_1) | instid1(VALU_DEP_3)
	v_mov_b32_e32 v93, v95
	v_pk_fma_f32 v[94:95], v[158:159], v[154:155], v[98:99] op_sel_hi:[1,0,1]
	v_pk_add_f32 v[90:91], v[90:91], v[96:97]
	v_pk_fma_f32 v[96:97], v[158:159], v[154:155], v[98:99] neg_lo:[0,0,1] neg_hi:[0,0,1]
	s_delay_alu instid0(VALU_DEP_3) | instskip(NEXT) | instid1(VALU_DEP_3)
	v_mov_b32_e32 v97, v95
	v_pk_add_f32 v[90:91], v[90:91], v[92:93]
	s_delay_alu instid0(VALU_DEP_1) | instskip(SKIP_1) | instid1(VALU_DEP_1)
	v_pk_add_f32 v[90:91], v[90:91], v[96:97]
	s_wait_loadcnt 0x0
	v_pk_add_f32 v[90:91], v[156:157], v[90:91] neg_lo:[0,1] neg_hi:[0,1]
	scratch_store_b64 off, v[90:91], off offset:208
	s_wait_xcnt 0x0
	v_cmpx_lt_u32_e32 25, v0
	s_cbranch_execz .LBB43_227
; %bb.226:
	scratch_load_b64 v[90:91], off, off offset:200
	v_mov_b64_e32 v[92:93], 0
	scratch_store_b64 off, v[92:93], off offset:200
	s_wait_loadcnt 0x0
	ds_store_b64 v1, v[90:91]
.LBB43_227:
	s_wait_xcnt 0x0
	s_or_b32 exec_lo, exec_lo, s0
	s_wait_storecnt_dscnt 0x0
	s_barrier_signal -1
	s_barrier_wait -1
	s_clause 0x9
	scratch_load_b128 v[90:93], off, off offset:208
	scratch_load_b128 v[94:97], off, off offset:224
	;; [unrolled: 1-line block ×9, first 2 shown]
	scratch_load_b64 v[162:163], off, off offset:200
	ds_load_b128 v[126:129], v5 offset:640
	ds_load_b128 v[130:133], v5 offset:656
	;; [unrolled: 1-line block ×9, first 2 shown]
	s_mov_b32 s0, exec_lo
	s_wait_dscnt 0x8
	v_dual_mov_b32 v164, v129 :: v_dual_mov_b32 v165, v128
	s_wait_dscnt 0x7
	v_dual_mov_b32 v166, v133 :: v_dual_mov_b32 v167, v132
	;; [unrolled: 2-line block ×4, first 2 shown]
	s_wait_loadcnt_dscnt 0x904
	v_dual_mul_f32 v5, v142, v91 :: v_dual_mul_f32 v7, v144, v93
	v_dual_mul_f32 v23, v143, v91 :: v_dual_mul_f32 v25, v145, v93
	s_wait_loadcnt_dscnt 0x803
	v_dual_mul_f32 v11, v146, v95 :: v_dual_mul_f32 v13, v148, v97
	s_delay_alu instid0(VALU_DEP_2) | instskip(SKIP_3) | instid1(VALU_DEP_3)
	v_dual_fmac_f32 v5, v143, v90 :: v_dual_fma_f32 v23, v142, v90, -v23
	v_dual_mul_f32 v27, v147, v95 :: v_dual_mul_f32 v29, v149, v97
	s_wait_loadcnt_dscnt 0x601
	v_dual_mul_f32 v35, v155, v103 :: v_dual_fmac_f32 v7, v145, v92
	v_dual_fma_f32 v25, v144, v92, -v25 :: v_dual_add_f32 v5, 0, v5
	v_dual_add_f32 v23, 0, v23 :: v_dual_mul_f32 v37, v157, v105
	v_fmac_f32_e32 v11, v147, v94
	s_delay_alu instid0(VALU_DEP_3) | instskip(NEXT) | instid1(VALU_DEP_3)
	v_dual_fma_f32 v27, v146, v94, -v27 :: v_dual_add_f32 v5, v5, v7
	v_dual_add_f32 v7, v23, v25 :: v_dual_mul_f32 v15, v150, v99
	v_dual_mul_f32 v17, v152, v101 :: v_dual_mul_f32 v31, v151, v99
	s_wait_loadcnt_dscnt 0x500
	v_dual_mul_f32 v33, v153, v101 :: v_dual_mul_f32 v23, v159, v107
	v_fmac_f32_e32 v13, v149, v96
	v_dual_fma_f32 v25, v148, v96, -v29 :: v_dual_add_f32 v5, v5, v11
	v_dual_add_f32 v7, v7, v27 :: v_dual_mul_f32 v11, v161, v109
	v_fmac_f32_e32 v15, v151, v98
	s_delay_alu instid0(VALU_DEP_3) | instskip(NEXT) | instid1(VALU_DEP_3)
	v_dual_fma_f32 v27, v150, v98, -v31 :: v_dual_add_f32 v5, v5, v13
	v_dual_add_f32 v7, v7, v25 :: v_dual_mul_f32 v19, v154, v103
	v_dual_mul_f32 v21, v156, v105 :: v_dual_fmac_f32 v17, v153, v100
	s_delay_alu instid0(VALU_DEP_3) | instskip(SKIP_1) | instid1(VALU_DEP_3)
	v_dual_fma_f32 v13, v152, v100, -v33 :: v_dual_add_f32 v5, v5, v15
	s_wait_loadcnt 0x4
	v_dual_add_f32 v7, v7, v27 :: v_dual_mov_b32 v92, v113
	v_fmac_f32_e32 v19, v155, v102
	s_delay_alu instid0(VALU_DEP_3) | instskip(NEXT) | instid1(VALU_DEP_3)
	v_dual_fma_f32 v15, v154, v102, -v35 :: v_dual_add_f32 v5, v5, v17
	v_dual_add_f32 v7, v7, v13 :: v_dual_fmac_f32 v21, v157, v104
	v_dual_mul_f32 v173, v158, v107 :: v_dual_mul_f32 v175, v160, v109
	s_delay_alu instid0(VALU_DEP_3) | instskip(SKIP_1) | instid1(VALU_DEP_3)
	v_dual_fma_f32 v13, v156, v104, -v37 :: v_dual_add_f32 v5, v5, v19
	s_wait_loadcnt 0x3
	v_dual_add_f32 v7, v7, v15 :: v_dual_mov_b32 v96, v117
	v_pk_mul_f32 v[90:91], v[126:127], v[110:111] op_sel:[1,1] op_sel_hi:[0,1]
	v_dual_fmac_f32 v173, v159, v106 :: v_dual_fma_f32 v172, v158, v106, -v23
	v_dual_add_f32 v99, v5, v21 :: v_dual_fma_f32 v174, v160, v108, -v11
	s_delay_alu instid0(VALU_DEP_4) | instskip(NEXT) | instid1(VALU_DEP_4)
	v_dual_add_f32 v98, v7, v13 :: v_dual_fmac_f32 v175, v161, v108
	v_pk_fma_f32 v[100:101], v[126:127], v[110:111], v[90:91] op_sel_hi:[1,0,1]
	v_pk_mul_f32 v[92:93], v[164:165], v[92:93] op_sel_hi:[1,0]
	v_pk_fma_f32 v[90:91], v[126:127], v[110:111], v[90:91] neg_lo:[0,0,1] neg_hi:[0,0,1]
	s_delay_alu instid0(VALU_DEP_4)
	v_pk_add_f32 v[98:99], v[98:99], v[172:173]
	v_pk_mul_f32 v[94:95], v[130:131], v[114:115] op_sel:[1,1] op_sel_hi:[0,1]
	v_mov_b32_e32 v91, v101
	v_pk_fma_f32 v[100:101], v[128:129], v[112:113], v[92:93] op_sel_hi:[1,0,1]
	v_pk_fma_f32 v[92:93], v[128:129], v[112:113], v[92:93] neg_lo:[0,0,1] neg_hi:[0,0,1]
	v_pk_add_f32 v[98:99], v[98:99], v[174:175]
	v_pk_fma_f32 v[104:105], v[130:131], v[114:115], v[94:95] op_sel_hi:[1,0,1]
	v_pk_mul_f32 v[96:97], v[166:167], v[96:97] op_sel_hi:[1,0]
	v_mov_b32_e32 v93, v101
	s_wait_loadcnt 0x2
	v_pk_mul_f32 v[102:103], v[134:135], v[118:119] op_sel:[1,1] op_sel_hi:[0,1]
	v_pk_add_f32 v[90:91], v[98:99], v[90:91]
	v_mov_b32_e32 v98, v121
	v_pk_fma_f32 v[94:95], v[130:131], v[114:115], v[94:95] neg_lo:[0,0,1] neg_hi:[0,0,1]
	v_mov_b32_e32 v95, v105
	v_pk_fma_f32 v[100:101], v[132:133], v[116:117], v[96:97] op_sel_hi:[1,0,1]
	v_pk_add_f32 v[90:91], v[90:91], v[92:93]
	v_pk_fma_f32 v[92:93], v[134:135], v[118:119], v[102:103] op_sel_hi:[1,0,1]
	v_pk_mul_f32 v[98:99], v[168:169], v[98:99] op_sel_hi:[1,0]
	v_pk_fma_f32 v[96:97], v[132:133], v[116:117], v[96:97] neg_lo:[0,0,1] neg_hi:[0,0,1]
	v_mov_b32_e32 v97, v101
	v_pk_add_f32 v[90:91], v[90:91], v[94:95]
	v_pk_fma_f32 v[100:101], v[134:135], v[118:119], v[102:103] neg_lo:[0,0,1] neg_hi:[0,0,1]
	v_mov_b32_e32 v101, v93
	v_pk_fma_f32 v[92:93], v[136:137], v[120:121], v[98:99] op_sel_hi:[1,0,1]
	s_wait_loadcnt 0x1
	v_pk_mul_f32 v[94:95], v[138:139], v[122:123] op_sel:[1,1] op_sel_hi:[0,1]
	v_pk_add_f32 v[90:91], v[90:91], v[96:97]
	v_mov_b32_e32 v92, v125
	v_pk_fma_f32 v[98:99], v[136:137], v[120:121], v[98:99] neg_lo:[0,0,1] neg_hi:[0,0,1]
	v_mov_b32_e32 v99, v93
	v_pk_fma_f32 v[96:97], v[138:139], v[122:123], v[94:95] op_sel_hi:[1,0,1]
	v_pk_add_f32 v[90:91], v[90:91], v[100:101]
	v_pk_mul_f32 v[92:93], v[170:171], v[92:93] op_sel_hi:[1,0]
	v_pk_fma_f32 v[94:95], v[138:139], v[122:123], v[94:95] neg_lo:[0,0,1] neg_hi:[0,0,1]
	s_delay_alu instid0(VALU_DEP_4) | instskip(NEXT) | instid1(VALU_DEP_4)
	v_mov_b32_e32 v95, v97
	v_pk_add_f32 v[90:91], v[90:91], v[98:99]
	s_delay_alu instid0(VALU_DEP_4) | instskip(SKIP_1) | instid1(VALU_DEP_2)
	v_pk_fma_f32 v[96:97], v[140:141], v[124:125], v[92:93] op_sel_hi:[1,0,1]
	v_pk_fma_f32 v[92:93], v[140:141], v[124:125], v[92:93] neg_lo:[0,0,1] neg_hi:[0,0,1]
	v_mov_b32_e32 v93, v97
	s_delay_alu instid0(VALU_DEP_4) | instskip(NEXT) | instid1(VALU_DEP_1)
	v_pk_add_f32 v[90:91], v[90:91], v[94:95]
	v_pk_add_f32 v[90:91], v[90:91], v[92:93]
	s_wait_loadcnt 0x0
	s_delay_alu instid0(VALU_DEP_1)
	v_pk_add_f32 v[90:91], v[162:163], v[90:91] neg_lo:[0,1] neg_hi:[0,1]
	scratch_store_b64 off, v[90:91], off offset:200
	s_wait_xcnt 0x0
	v_cmpx_lt_u32_e32 24, v0
	s_cbranch_execz .LBB43_229
; %bb.228:
	scratch_load_b64 v[90:91], off, off offset:192
	v_mov_b64_e32 v[92:93], 0
	scratch_store_b64 off, v[92:93], off offset:192
	s_wait_loadcnt 0x0
	ds_store_b64 v1, v[90:91]
.LBB43_229:
	s_wait_xcnt 0x0
	s_or_b32 exec_lo, exec_lo, s0
	s_wait_storecnt_dscnt 0x0
	s_barrier_signal -1
	s_barrier_wait -1
	s_clause 0xa
	scratch_load_b128 v[90:93], off, off offset:200
	scratch_load_b128 v[94:97], off, off offset:216
	;; [unrolled: 1-line block ×9, first 2 shown]
	scratch_load_b64 v[162:163], off, off offset:344
	scratch_load_b64 v[164:165], off, off offset:192
	v_mov_b32_e32 v5, 0
	ds_load_2addr_b64 v[126:129], v5 offset0:79 offset1:80
	ds_load_2addr_b64 v[130:133], v5 offset0:81 offset1:82
	;; [unrolled: 1-line block ×9, first 2 shown]
	ds_load_b64 v[166:167], v5 offset:696
	s_mov_b32 s0, exec_lo
	s_wait_dscnt 0x8
	v_dual_mov_b32 v169, v128 :: v_dual_mov_b32 v170, v133
	s_wait_dscnt 0x7
	v_dual_mov_b32 v171, v132 :: v_dual_mov_b32 v172, v137
	;; [unrolled: 2-line block ×3, first 2 shown]
	v_dual_mov_b32 v173, v136 :: v_dual_mov_b32 v174, v141
	s_wait_loadcnt_dscnt 0xa05
	v_dual_mul_f32 v7, v142, v91 :: v_dual_mul_f32 v27, v143, v91
	v_dual_mul_f32 v29, v145, v93 :: v_dual_mul_f32 v11, v144, v93
	s_wait_loadcnt_dscnt 0x904
	v_mul_f32_e32 v13, v146, v95
	s_wait_loadcnt_dscnt 0x702
	v_dual_mul_f32 v39, v155, v103 :: v_dual_fma_f32 v27, v142, v90, -v27
	v_dual_fmac_f32 v7, v143, v90 :: v_dual_mul_f32 v41, v157, v105
	v_dual_mul_f32 v31, v147, v95 :: v_dual_mul_f32 v33, v149, v97
	v_dual_fmac_f32 v11, v145, v92 :: v_dual_fma_f32 v29, v144, v92, -v29
	s_delay_alu instid0(VALU_DEP_3) | instskip(NEXT) | instid1(VALU_DEP_3)
	v_dual_add_f32 v7, 0, v7 :: v_dual_fmac_f32 v13, v147, v94
	v_dual_add_f32 v27, 0, v27 :: v_dual_fma_f32 v31, v146, v94, -v31
	v_dual_mul_f32 v15, v148, v97 :: v_dual_mul_f32 v17, v150, v99
	s_delay_alu instid0(VALU_DEP_3) | instskip(NEXT) | instid1(VALU_DEP_3)
	v_add_f32_e32 v7, v7, v11
	v_dual_add_f32 v11, v27, v29 :: v_dual_fma_f32 v29, v148, v96, -v33
	v_dual_mul_f32 v35, v151, v99 :: v_dual_mul_f32 v37, v153, v101
	s_delay_alu instid0(VALU_DEP_3) | instskip(SKIP_1) | instid1(VALU_DEP_3)
	v_dual_fmac_f32 v15, v149, v96 :: v_dual_add_f32 v7, v7, v13
	s_wait_loadcnt 0x5
	v_dual_add_f32 v11, v11, v31 :: v_dual_mov_b32 v90, v113
	v_dual_mul_f32 v19, v152, v101 :: v_dual_mul_f32 v21, v154, v103
	s_wait_loadcnt 0x4
	v_dual_fmac_f32 v17, v151, v98 :: v_dual_mov_b32 v94, v117
	v_dual_fma_f32 v31, v150, v98, -v35 :: v_dual_add_f32 v7, v7, v15
	v_dual_fma_f32 v15, v152, v100, -v37 :: v_dual_add_f32 v11, v11, v29
	s_wait_dscnt 0x1
	v_dual_mul_f32 v23, v156, v105 :: v_dual_mul_f32 v25, v158, v107
	v_dual_mul_f32 v13, v127, v111 :: v_dual_fmac_f32 v19, v153, v100
	s_delay_alu instid0(VALU_DEP_2)
	v_dual_add_f32 v7, v7, v17 :: v_dual_fmac_f32 v23, v157, v104
	v_dual_fma_f32 v17, v154, v102, -v39 :: v_dual_add_f32 v11, v11, v31
	v_dual_mul_f32 v177, v160, v109 :: v_dual_mul_f32 v179, v126, v111
	v_dual_mul_f32 v43, v159, v107 :: v_dual_mul_f32 v27, v161, v109
	v_pk_mul_f32 v[92:93], v[130:131], v[114:115] op_sel:[1,1] op_sel_hi:[0,1]
	v_fmac_f32_e32 v21, v155, v102
	v_add_f32_e32 v7, v7, v19
	v_dual_add_f32 v11, v11, v15 :: v_dual_fmac_f32 v177, v161, v108
	v_fma_f32 v15, v156, v104, -v41
	v_fma_f32 v176, v160, v108, -v27
	v_pk_fma_f32 v[104:105], v[130:131], v[114:115], v[92:93] op_sel_hi:[1,0,1]
	s_delay_alu instid0(VALU_DEP_4)
	v_dual_add_f32 v11, v11, v17 :: v_dual_fma_f32 v178, v126, v110, -v13
	v_dual_fma_f32 v17, v158, v106, -v43 :: v_dual_add_f32 v7, v7, v21
	s_wait_loadcnt 0x3
	v_mov_b32_e32 v100, v121
	v_pk_mul_f32 v[94:95], v[170:171], v[94:95] op_sel_hi:[1,0]
	v_pk_fma_f32 v[92:93], v[130:131], v[114:115], v[92:93] neg_lo:[0,0,1] neg_hi:[0,0,1]
	v_dual_fmac_f32 v25, v159, v106 :: v_dual_mov_b32 v93, v105
	v_add_f32_e32 v11, v11, v15
	s_delay_alu instid0(VALU_DEP_4) | instskip(SKIP_3) | instid1(VALU_DEP_4)
	v_pk_fma_f32 v[104:105], v[132:133], v[116:117], v[94:95] op_sel_hi:[1,0,1]
	v_add_f32_e32 v7, v7, v23
	v_pk_fma_f32 v[94:95], v[132:133], v[116:117], v[94:95] neg_lo:[0,0,1] neg_hi:[0,0,1]
	v_pk_mul_f32 v[90:91], v[168:169], v[90:91] op_sel_hi:[1,0]
	v_dual_add_f32 v98, v11, v17 :: v_dual_mov_b32 v95, v105
	s_delay_alu instid0(VALU_DEP_4) | instskip(SKIP_1) | instid1(VALU_DEP_4)
	v_add_f32_e32 v99, v7, v25
	v_fmac_f32_e32 v179, v127, v110
	v_pk_fma_f32 v[102:103], v[128:129], v[112:113], v[90:91] op_sel_hi:[1,0,1]
	v_pk_fma_f32 v[90:91], v[128:129], v[112:113], v[90:91] neg_lo:[0,0,1] neg_hi:[0,0,1]
	v_pk_mul_f32 v[96:97], v[134:135], v[118:119] op_sel:[1,1] op_sel_hi:[0,1]
	v_pk_add_f32 v[98:99], v[98:99], v[176:177]
	v_pk_mul_f32 v[100:101], v[172:173], v[100:101] op_sel_hi:[1,0]
	v_mov_b32_e32 v91, v103
	s_wait_loadcnt 0x2
	v_pk_mul_f32 v[102:103], v[138:139], v[122:123] op_sel:[1,1] op_sel_hi:[0,1]
	v_pk_add_f32 v[98:99], v[98:99], v[178:179]
	s_delay_alu instid0(VALU_DEP_1) | instskip(SKIP_2) | instid1(VALU_DEP_3)
	v_pk_add_f32 v[90:91], v[98:99], v[90:91]
	v_pk_fma_f32 v[98:99], v[134:135], v[118:119], v[96:97] op_sel_hi:[1,0,1]
	v_pk_fma_f32 v[96:97], v[134:135], v[118:119], v[96:97] neg_lo:[0,0,1] neg_hi:[0,0,1]
	v_pk_add_f32 v[90:91], v[90:91], v[92:93]
	s_delay_alu instid0(VALU_DEP_3) | instskip(SKIP_2) | instid1(VALU_DEP_4)
	v_dual_mov_b32 v92, v125 :: v_dual_mov_b32 v97, v99
	v_pk_fma_f32 v[98:99], v[136:137], v[120:121], v[100:101] op_sel_hi:[1,0,1]
	v_pk_fma_f32 v[100:101], v[136:137], v[120:121], v[100:101] neg_lo:[0,0,1] neg_hi:[0,0,1]
	v_pk_add_f32 v[90:91], v[90:91], v[94:95]
	v_pk_fma_f32 v[94:95], v[138:139], v[122:123], v[102:103] op_sel_hi:[1,0,1]
	v_pk_mul_f32 v[92:93], v[174:175], v[92:93] op_sel_hi:[1,0]
	v_mov_b32_e32 v101, v99
	s_wait_loadcnt_dscnt 0x100
	v_pk_mul_f32 v[98:99], v[166:167], v[162:163] op_sel:[1,1] op_sel_hi:[0,1]
	v_pk_add_f32 v[90:91], v[90:91], v[96:97]
	v_pk_fma_f32 v[96:97], v[138:139], v[122:123], v[102:103] neg_lo:[0,0,1] neg_hi:[0,0,1]
	v_mov_b32_e32 v97, v95
	v_pk_fma_f32 v[94:95], v[140:141], v[124:125], v[92:93] op_sel_hi:[1,0,1]
	v_pk_fma_f32 v[92:93], v[140:141], v[124:125], v[92:93] neg_lo:[0,0,1] neg_hi:[0,0,1]
	v_pk_add_f32 v[90:91], v[90:91], v[100:101]
	s_delay_alu instid0(VALU_DEP_3) | instskip(SKIP_1) | instid1(VALU_DEP_3)
	v_mov_b32_e32 v93, v95
	v_pk_fma_f32 v[94:95], v[166:167], v[162:163], v[98:99] op_sel_hi:[1,0,1]
	v_pk_add_f32 v[90:91], v[90:91], v[96:97]
	v_pk_fma_f32 v[96:97], v[166:167], v[162:163], v[98:99] neg_lo:[0,0,1] neg_hi:[0,0,1]
	s_delay_alu instid0(VALU_DEP_3) | instskip(NEXT) | instid1(VALU_DEP_3)
	v_mov_b32_e32 v97, v95
	v_pk_add_f32 v[90:91], v[90:91], v[92:93]
	s_delay_alu instid0(VALU_DEP_1) | instskip(SKIP_1) | instid1(VALU_DEP_1)
	v_pk_add_f32 v[90:91], v[90:91], v[96:97]
	s_wait_loadcnt 0x0
	v_pk_add_f32 v[90:91], v[164:165], v[90:91] neg_lo:[0,1] neg_hi:[0,1]
	scratch_store_b64 off, v[90:91], off offset:192
	s_wait_xcnt 0x0
	v_cmpx_lt_u32_e32 23, v0
	s_cbranch_execz .LBB43_231
; %bb.230:
	scratch_load_b64 v[90:91], off, off offset:184
	v_mov_b64_e32 v[92:93], 0
	scratch_store_b64 off, v[92:93], off offset:184
	s_wait_loadcnt 0x0
	ds_store_b64 v1, v[90:91]
.LBB43_231:
	s_wait_xcnt 0x0
	s_or_b32 exec_lo, exec_lo, s0
	s_wait_storecnt_dscnt 0x0
	s_barrier_signal -1
	s_barrier_wait -1
	s_clause 0xa
	scratch_load_b128 v[90:93], off, off offset:192
	scratch_load_b128 v[94:97], off, off offset:208
	;; [unrolled: 1-line block ×10, first 2 shown]
	scratch_load_b64 v[170:171], off, off offset:184
	ds_load_b128 v[130:133], v5 offset:640
	ds_load_b128 v[134:137], v5 offset:656
	;; [unrolled: 1-line block ×10, first 2 shown]
	s_mov_b32 s0, exec_lo
	s_wait_dscnt 0x9
	v_dual_mov_b32 v172, v133 :: v_dual_mov_b32 v173, v132
	s_wait_dscnt 0x8
	v_dual_mov_b32 v174, v137 :: v_dual_mov_b32 v175, v136
	;; [unrolled: 2-line block ×4, first 2 shown]
	s_wait_loadcnt_dscnt 0xa05
	v_dual_mul_f32 v5, v146, v91 :: v_dual_mul_f32 v7, v148, v93
	v_dual_mul_f32 v27, v147, v91 :: v_dual_mul_f32 v29, v149, v93
	s_wait_loadcnt_dscnt 0x904
	v_dual_mul_f32 v11, v150, v95 :: v_dual_mul_f32 v13, v152, v97
	s_delay_alu instid0(VALU_DEP_2) | instskip(SKIP_3) | instid1(VALU_DEP_3)
	v_dual_fmac_f32 v5, v147, v90 :: v_dual_fma_f32 v27, v146, v90, -v27
	v_dual_mul_f32 v31, v151, v95 :: v_dual_mul_f32 v33, v153, v97
	s_wait_loadcnt_dscnt 0x702
	v_dual_mul_f32 v39, v159, v103 :: v_dual_fmac_f32 v7, v149, v92
	v_dual_fma_f32 v29, v148, v92, -v29 :: v_dual_add_f32 v5, 0, v5
	v_dual_add_f32 v27, 0, v27 :: v_dual_mul_f32 v41, v161, v105
	v_fmac_f32_e32 v11, v151, v94
	s_delay_alu instid0(VALU_DEP_3) | instskip(NEXT) | instid1(VALU_DEP_3)
	v_dual_fma_f32 v31, v150, v94, -v31 :: v_dual_add_f32 v5, v5, v7
	v_dual_add_f32 v7, v27, v29 :: v_dual_mul_f32 v15, v154, v99
	v_dual_mul_f32 v17, v156, v101 :: v_dual_mul_f32 v35, v155, v99
	s_wait_loadcnt_dscnt 0x601
	v_dual_mul_f32 v37, v157, v101 :: v_dual_mul_f32 v27, v163, v107
	v_fmac_f32_e32 v13, v153, v96
	v_dual_fma_f32 v29, v152, v96, -v33 :: v_dual_add_f32 v5, v5, v11
	v_dual_add_f32 v7, v7, v31 :: v_dual_mul_f32 v11, v165, v109
	v_fmac_f32_e32 v15, v155, v98
	s_delay_alu instid0(VALU_DEP_3) | instskip(NEXT) | instid1(VALU_DEP_3)
	v_dual_fma_f32 v31, v154, v98, -v35 :: v_dual_add_f32 v5, v5, v13
	v_dual_add_f32 v7, v7, v29 :: v_dual_mul_f32 v19, v158, v103
	s_wait_loadcnt_dscnt 0x500
	v_dual_mul_f32 v21, v160, v105 :: v_dual_mul_f32 v13, v167, v111
	v_fmac_f32_e32 v17, v157, v100
	v_dual_fma_f32 v29, v156, v100, -v37 :: v_dual_add_f32 v5, v5, v15
	v_dual_add_f32 v7, v7, v31 :: v_dual_mul_f32 v15, v169, v113
	v_fmac_f32_e32 v19, v159, v102
	s_delay_alu instid0(VALU_DEP_3) | instskip(NEXT) | instid1(VALU_DEP_3)
	v_dual_fma_f32 v31, v158, v102, -v39 :: v_dual_add_f32 v5, v5, v17
	v_dual_add_f32 v7, v7, v29 :: v_dual_mul_f32 v23, v162, v107
	v_dual_mul_f32 v25, v164, v109 :: v_dual_fmac_f32 v21, v161, v104
	s_delay_alu instid0(VALU_DEP_3) | instskip(SKIP_1) | instid1(VALU_DEP_3)
	v_dual_fma_f32 v17, v160, v104, -v41 :: v_dual_add_f32 v5, v5, v19
	s_wait_loadcnt 0x4
	v_dual_add_f32 v7, v7, v31 :: v_dual_mov_b32 v92, v117
	v_fmac_f32_e32 v23, v163, v106
	s_delay_alu instid0(VALU_DEP_3) | instskip(NEXT) | instid1(VALU_DEP_3)
	v_dual_fma_f32 v19, v162, v106, -v27 :: v_dual_add_f32 v5, v5, v21
	v_dual_add_f32 v7, v7, v17 :: v_dual_fmac_f32 v25, v165, v108
	v_dual_mul_f32 v181, v166, v111 :: v_dual_mul_f32 v183, v168, v113
	s_delay_alu instid0(VALU_DEP_3) | instskip(SKIP_1) | instid1(VALU_DEP_3)
	v_dual_fma_f32 v11, v164, v108, -v11 :: v_dual_add_f32 v5, v5, v23
	s_wait_loadcnt 0x3
	v_dual_add_f32 v7, v7, v19 :: v_dual_mov_b32 v96, v121
	v_pk_mul_f32 v[90:91], v[130:131], v[114:115] op_sel:[1,1] op_sel_hi:[0,1]
	s_delay_alu instid0(VALU_DEP_3) | instskip(NEXT) | instid1(VALU_DEP_3)
	v_dual_fmac_f32 v181, v167, v110 :: v_dual_add_f32 v99, v5, v25
	v_dual_fma_f32 v180, v166, v110, -v13 :: v_dual_add_f32 v98, v7, v11
	v_fmac_f32_e32 v183, v169, v112
	s_delay_alu instid0(VALU_DEP_4)
	v_pk_fma_f32 v[100:101], v[130:131], v[114:115], v[90:91] op_sel_hi:[1,0,1]
	v_fma_f32 v182, v168, v112, -v15
	v_pk_mul_f32 v[92:93], v[172:173], v[92:93] op_sel_hi:[1,0]
	v_pk_add_f32 v[98:99], v[98:99], v[180:181]
	v_pk_fma_f32 v[90:91], v[130:131], v[114:115], v[90:91] neg_lo:[0,0,1] neg_hi:[0,0,1]
	v_pk_mul_f32 v[94:95], v[134:135], v[118:119] op_sel:[1,1] op_sel_hi:[0,1]
	v_mov_b32_e32 v91, v101
	v_pk_fma_f32 v[100:101], v[132:133], v[116:117], v[92:93] op_sel_hi:[1,0,1]
	v_pk_add_f32 v[98:99], v[98:99], v[182:183]
	v_pk_fma_f32 v[92:93], v[132:133], v[116:117], v[92:93] neg_lo:[0,0,1] neg_hi:[0,0,1]
	v_pk_fma_f32 v[104:105], v[134:135], v[118:119], v[94:95] op_sel_hi:[1,0,1]
	v_pk_mul_f32 v[96:97], v[174:175], v[96:97] op_sel_hi:[1,0]
	v_mov_b32_e32 v93, v101
	v_pk_add_f32 v[90:91], v[98:99], v[90:91]
	s_wait_loadcnt 0x2
	v_pk_mul_f32 v[102:103], v[138:139], v[122:123] op_sel:[1,1] op_sel_hi:[0,1]
	v_mov_b32_e32 v98, v125
	v_pk_fma_f32 v[94:95], v[134:135], v[118:119], v[94:95] neg_lo:[0,0,1] neg_hi:[0,0,1]
	v_pk_fma_f32 v[100:101], v[136:137], v[120:121], v[96:97] op_sel_hi:[1,0,1]
	v_mov_b32_e32 v95, v105
	v_pk_add_f32 v[90:91], v[90:91], v[92:93]
	v_pk_fma_f32 v[92:93], v[138:139], v[122:123], v[102:103] op_sel_hi:[1,0,1]
	v_pk_mul_f32 v[98:99], v[176:177], v[98:99] op_sel_hi:[1,0]
	v_pk_fma_f32 v[96:97], v[136:137], v[120:121], v[96:97] neg_lo:[0,0,1] neg_hi:[0,0,1]
	v_mov_b32_e32 v97, v101
	v_pk_add_f32 v[90:91], v[90:91], v[94:95]
	v_pk_fma_f32 v[100:101], v[138:139], v[122:123], v[102:103] neg_lo:[0,0,1] neg_hi:[0,0,1]
	v_mov_b32_e32 v101, v93
	v_pk_fma_f32 v[92:93], v[140:141], v[124:125], v[98:99] op_sel_hi:[1,0,1]
	s_wait_loadcnt 0x1
	v_pk_mul_f32 v[94:95], v[142:143], v[126:127] op_sel:[1,1] op_sel_hi:[0,1]
	v_pk_add_f32 v[90:91], v[90:91], v[96:97]
	v_mov_b32_e32 v92, v129
	v_pk_fma_f32 v[98:99], v[140:141], v[124:125], v[98:99] neg_lo:[0,0,1] neg_hi:[0,0,1]
	s_delay_alu instid0(VALU_DEP_4)
	v_pk_fma_f32 v[96:97], v[142:143], v[126:127], v[94:95] op_sel_hi:[1,0,1]
	v_mov_b32_e32 v99, v93
	v_pk_add_f32 v[90:91], v[90:91], v[100:101]
	v_pk_mul_f32 v[92:93], v[178:179], v[92:93] op_sel_hi:[1,0]
	v_pk_fma_f32 v[94:95], v[142:143], v[126:127], v[94:95] neg_lo:[0,0,1] neg_hi:[0,0,1]
	v_mov_b32_e32 v95, v97
	s_delay_alu instid0(VALU_DEP_4) | instskip(NEXT) | instid1(VALU_DEP_4)
	v_pk_add_f32 v[90:91], v[90:91], v[98:99]
	v_pk_fma_f32 v[96:97], v[144:145], v[128:129], v[92:93] op_sel_hi:[1,0,1]
	v_pk_fma_f32 v[92:93], v[144:145], v[128:129], v[92:93] neg_lo:[0,0,1] neg_hi:[0,0,1]
	s_delay_alu instid0(VALU_DEP_3) | instskip(NEXT) | instid1(VALU_DEP_3)
	v_pk_add_f32 v[90:91], v[90:91], v[94:95]
	v_mov_b32_e32 v93, v97
	s_delay_alu instid0(VALU_DEP_1) | instskip(SKIP_1) | instid1(VALU_DEP_1)
	v_pk_add_f32 v[90:91], v[90:91], v[92:93]
	s_wait_loadcnt 0x0
	v_pk_add_f32 v[90:91], v[170:171], v[90:91] neg_lo:[0,1] neg_hi:[0,1]
	scratch_store_b64 off, v[90:91], off offset:184
	s_wait_xcnt 0x0
	v_cmpx_lt_u32_e32 22, v0
	s_cbranch_execz .LBB43_233
; %bb.232:
	scratch_load_b64 v[90:91], off, off offset:176
	v_mov_b64_e32 v[92:93], 0
	scratch_store_b64 off, v[92:93], off offset:176
	s_wait_loadcnt 0x0
	ds_store_b64 v1, v[90:91]
.LBB43_233:
	s_wait_xcnt 0x0
	s_or_b32 exec_lo, exec_lo, s0
	s_wait_storecnt_dscnt 0x0
	s_barrier_signal -1
	s_barrier_wait -1
	s_clause 0xb
	scratch_load_b128 v[90:93], off, off offset:184
	scratch_load_b128 v[94:97], off, off offset:200
	;; [unrolled: 1-line block ×10, first 2 shown]
	scratch_load_b64 v[170:171], off, off offset:344
	scratch_load_b64 v[172:173], off, off offset:176
	v_mov_b32_e32 v5, 0
	ds_load_2addr_b64 v[130:133], v5 offset0:79 offset1:80
	ds_load_2addr_b64 v[134:137], v5 offset0:81 offset1:82
	;; [unrolled: 1-line block ×10, first 2 shown]
	ds_load_b64 v[174:175], v5 offset:696
	s_mov_b32 s0, exec_lo
	s_wait_dscnt 0x9
	v_dual_mov_b32 v177, v132 :: v_dual_mov_b32 v178, v137
	s_wait_dscnt 0x8
	v_dual_mov_b32 v179, v136 :: v_dual_mov_b32 v180, v141
	;; [unrolled: 2-line block ×3, first 2 shown]
	v_dual_mov_b32 v181, v140 :: v_dual_mov_b32 v182, v145
	s_wait_loadcnt_dscnt 0xb06
	v_dual_mul_f32 v7, v146, v91 :: v_dual_mul_f32 v31, v147, v91
	v_dual_mul_f32 v33, v149, v93 :: v_dual_mul_f32 v11, v148, v93
	s_wait_loadcnt_dscnt 0xa05
	v_mul_f32_e32 v13, v150, v95
	s_wait_loadcnt_dscnt 0x803
	v_dual_mul_f32 v43, v159, v103 :: v_dual_fma_f32 v31, v146, v90, -v31
	v_dual_fmac_f32 v7, v147, v90 :: v_dual_mul_f32 v45, v161, v105
	v_dual_mul_f32 v35, v151, v95 :: v_dual_mul_f32 v37, v153, v97
	v_dual_fmac_f32 v11, v149, v92 :: v_dual_fma_f32 v33, v148, v92, -v33
	s_delay_alu instid0(VALU_DEP_3) | instskip(NEXT) | instid1(VALU_DEP_3)
	v_dual_add_f32 v7, 0, v7 :: v_dual_fmac_f32 v13, v151, v94
	v_dual_add_f32 v31, 0, v31 :: v_dual_fma_f32 v35, v150, v94, -v35
	v_dual_mul_f32 v15, v152, v97 :: v_dual_mul_f32 v17, v154, v99
	s_delay_alu instid0(VALU_DEP_3) | instskip(NEXT) | instid1(VALU_DEP_3)
	v_add_f32_e32 v7, v7, v11
	v_dual_add_f32 v11, v31, v33 :: v_dual_fma_f32 v33, v152, v96, -v37
	v_dual_mul_f32 v39, v155, v99 :: v_dual_mul_f32 v41, v157, v101
	s_delay_alu instid0(VALU_DEP_3) | instskip(NEXT) | instid1(VALU_DEP_3)
	v_dual_fmac_f32 v15, v153, v96 :: v_dual_add_f32 v7, v7, v13
	v_dual_add_f32 v11, v11, v35 :: v_dual_mul_f32 v19, v156, v101
	v_dual_mul_f32 v21, v158, v103 :: v_dual_fmac_f32 v17, v155, v98
	s_wait_loadcnt 0x5
	v_dual_mov_b32 v90, v117 :: v_dual_fma_f32 v35, v154, v98, -v39
	s_wait_dscnt 0x1
	v_dual_add_f32 v7, v7, v15 :: v_dual_mul_f32 v15, v169, v113
	v_add_f32_e32 v11, v11, v33
	v_dual_mul_f32 v23, v160, v105 :: v_dual_mul_f32 v25, v162, v107
	v_dual_mul_f32 v13, v167, v111 :: v_dual_fmac_f32 v19, v157, v100
	s_delay_alu instid0(VALU_DEP_4) | instskip(NEXT) | instid1(VALU_DEP_3)
	v_dual_fma_f32 v33, v156, v100, -v41 :: v_dual_add_f32 v7, v7, v17
	v_dual_fmac_f32 v23, v161, v104 :: v_dual_add_f32 v11, v11, v35
	v_dual_mul_f32 v27, v164, v109 :: v_dual_mul_f32 v29, v166, v111
	v_dual_mul_f32 v47, v163, v107 :: v_dual_mul_f32 v31, v165, v109
	s_wait_loadcnt 0x4
	v_dual_fmac_f32 v21, v159, v102 :: v_dual_mov_b32 v94, v121
	v_dual_fma_f32 v35, v158, v102, -v43 :: v_dual_add_f32 v7, v7, v19
	v_fmac_f32_e32 v27, v165, v108
	v_dual_fma_f32 v19, v160, v104, -v45 :: v_dual_add_f32 v11, v11, v33
	v_dual_mul_f32 v185, v168, v113 :: v_dual_mul_f32 v187, v130, v115
	s_delay_alu instid0(VALU_DEP_4) | instskip(NEXT) | instid1(VALU_DEP_2)
	v_dual_add_f32 v7, v7, v21 :: v_dual_fma_f32 v13, v166, v110, -v13
	v_dual_add_f32 v11, v11, v35 :: v_dual_fmac_f32 v185, v169, v112
	v_pk_mul_f32 v[92:93], v[134:135], v[118:119] op_sel:[1,1] op_sel_hi:[0,1]
	v_dual_mul_f32 v17, v131, v115 :: v_dual_fma_f32 v21, v162, v106, -v47
	v_dual_fmac_f32 v25, v163, v106 :: v_dual_fma_f32 v184, v168, v112, -v15
	s_wait_loadcnt 0x3
	v_dual_add_f32 v7, v7, v23 :: v_dual_mov_b32 v100, v125
	s_delay_alu instid0(VALU_DEP_3) | instskip(SKIP_4) | instid1(VALU_DEP_4)
	v_dual_add_f32 v11, v11, v19 :: v_dual_fma_f32 v186, v130, v114, -v17
	v_pk_fma_f32 v[104:105], v[134:135], v[118:119], v[92:93] op_sel_hi:[1,0,1]
	v_pk_mul_f32 v[94:95], v[178:179], v[94:95] op_sel_hi:[1,0]
	v_pk_fma_f32 v[92:93], v[134:135], v[118:119], v[92:93] neg_lo:[0,0,1] neg_hi:[0,0,1]
	v_dual_fma_f32 v19, v164, v108, -v31 :: v_dual_add_f32 v7, v7, v25
	v_mov_b32_e32 v93, v105
	s_delay_alu instid0(VALU_DEP_4) | instskip(SKIP_3) | instid1(VALU_DEP_4)
	v_pk_fma_f32 v[104:105], v[136:137], v[120:121], v[94:95] op_sel_hi:[1,0,1]
	v_add_f32_e32 v11, v11, v21
	v_pk_fma_f32 v[94:95], v[136:137], v[120:121], v[94:95] neg_lo:[0,0,1] neg_hi:[0,0,1]
	v_fmac_f32_e32 v29, v167, v110
	v_dual_add_f32 v7, v7, v27 :: v_dual_mov_b32 v95, v105
	s_delay_alu instid0(VALU_DEP_4) | instskip(SKIP_2) | instid1(VALU_DEP_4)
	v_add_f32_e32 v11, v11, v19
	v_pk_mul_f32 v[90:91], v[176:177], v[90:91] op_sel_hi:[1,0]
	v_fmac_f32_e32 v187, v131, v114
	v_add_f32_e32 v99, v7, v29
	v_pk_mul_f32 v[96:97], v[138:139], v[122:123] op_sel:[1,1] op_sel_hi:[0,1]
	v_add_f32_e32 v98, v11, v13
	v_pk_fma_f32 v[102:103], v[132:133], v[116:117], v[90:91] op_sel_hi:[1,0,1]
	v_pk_fma_f32 v[90:91], v[132:133], v[116:117], v[90:91] neg_lo:[0,0,1] neg_hi:[0,0,1]
	v_pk_mul_f32 v[100:101], v[180:181], v[100:101] op_sel_hi:[1,0]
	s_delay_alu instid0(VALU_DEP_4) | instskip(NEXT) | instid1(VALU_DEP_4)
	v_pk_add_f32 v[98:99], v[98:99], v[184:185]
	v_mov_b32_e32 v91, v103
	s_wait_loadcnt 0x2
	v_pk_mul_f32 v[102:103], v[142:143], v[126:127] op_sel:[1,1] op_sel_hi:[0,1]
	s_delay_alu instid0(VALU_DEP_3) | instskip(NEXT) | instid1(VALU_DEP_1)
	v_pk_add_f32 v[98:99], v[98:99], v[186:187]
	v_pk_add_f32 v[90:91], v[98:99], v[90:91]
	v_pk_fma_f32 v[98:99], v[138:139], v[122:123], v[96:97] op_sel_hi:[1,0,1]
	v_pk_fma_f32 v[96:97], v[138:139], v[122:123], v[96:97] neg_lo:[0,0,1] neg_hi:[0,0,1]
	s_delay_alu instid0(VALU_DEP_3) | instskip(NEXT) | instid1(VALU_DEP_3)
	v_pk_add_f32 v[90:91], v[90:91], v[92:93]
	v_dual_mov_b32 v92, v129 :: v_dual_mov_b32 v97, v99
	v_pk_fma_f32 v[98:99], v[140:141], v[124:125], v[100:101] op_sel_hi:[1,0,1]
	v_pk_fma_f32 v[100:101], v[140:141], v[124:125], v[100:101] neg_lo:[0,0,1] neg_hi:[0,0,1]
	s_delay_alu instid0(VALU_DEP_4)
	v_pk_add_f32 v[90:91], v[90:91], v[94:95]
	v_pk_fma_f32 v[94:95], v[142:143], v[126:127], v[102:103] op_sel_hi:[1,0,1]
	v_pk_mul_f32 v[92:93], v[182:183], v[92:93] op_sel_hi:[1,0]
	v_mov_b32_e32 v101, v99
	s_wait_loadcnt_dscnt 0x100
	v_pk_mul_f32 v[98:99], v[174:175], v[170:171] op_sel:[1,1] op_sel_hi:[0,1]
	v_pk_add_f32 v[90:91], v[90:91], v[96:97]
	v_pk_fma_f32 v[96:97], v[142:143], v[126:127], v[102:103] neg_lo:[0,0,1] neg_hi:[0,0,1]
	v_mov_b32_e32 v97, v95
	v_pk_fma_f32 v[94:95], v[144:145], v[128:129], v[92:93] op_sel_hi:[1,0,1]
	v_pk_fma_f32 v[92:93], v[144:145], v[128:129], v[92:93] neg_lo:[0,0,1] neg_hi:[0,0,1]
	v_pk_add_f32 v[90:91], v[90:91], v[100:101]
	s_delay_alu instid0(VALU_DEP_3) | instskip(SKIP_1) | instid1(VALU_DEP_3)
	v_mov_b32_e32 v93, v95
	v_pk_fma_f32 v[94:95], v[174:175], v[170:171], v[98:99] op_sel_hi:[1,0,1]
	v_pk_add_f32 v[90:91], v[90:91], v[96:97]
	v_pk_fma_f32 v[96:97], v[174:175], v[170:171], v[98:99] neg_lo:[0,0,1] neg_hi:[0,0,1]
	s_delay_alu instid0(VALU_DEP_3) | instskip(NEXT) | instid1(VALU_DEP_3)
	v_mov_b32_e32 v97, v95
	v_pk_add_f32 v[90:91], v[90:91], v[92:93]
	s_delay_alu instid0(VALU_DEP_1) | instskip(SKIP_1) | instid1(VALU_DEP_1)
	v_pk_add_f32 v[90:91], v[90:91], v[96:97]
	s_wait_loadcnt 0x0
	v_pk_add_f32 v[90:91], v[172:173], v[90:91] neg_lo:[0,1] neg_hi:[0,1]
	scratch_store_b64 off, v[90:91], off offset:176
	s_wait_xcnt 0x0
	v_cmpx_lt_u32_e32 21, v0
	s_cbranch_execz .LBB43_235
; %bb.234:
	scratch_load_b64 v[90:91], off, off offset:168
	v_mov_b64_e32 v[92:93], 0
	scratch_store_b64 off, v[92:93], off offset:168
	s_wait_loadcnt 0x0
	ds_store_b64 v1, v[90:91]
.LBB43_235:
	s_wait_xcnt 0x0
	s_or_b32 exec_lo, exec_lo, s0
	s_wait_storecnt_dscnt 0x0
	s_barrier_signal -1
	s_barrier_wait -1
	s_clause 0xb
	scratch_load_b128 v[90:93], off, off offset:176
	scratch_load_b128 v[94:97], off, off offset:192
	;; [unrolled: 1-line block ×11, first 2 shown]
	scratch_load_b64 v[178:179], off, off offset:168
	ds_load_b128 v[134:137], v5 offset:640
	ds_load_b128 v[138:141], v5 offset:656
	;; [unrolled: 1-line block ×11, first 2 shown]
	s_mov_b32 s0, exec_lo
	s_wait_dscnt 0xa
	v_dual_mov_b32 v180, v137 :: v_dual_mov_b32 v181, v136
	s_wait_dscnt 0x9
	v_dual_mov_b32 v182, v141 :: v_dual_mov_b32 v183, v140
	;; [unrolled: 2-line block ×4, first 2 shown]
	s_wait_loadcnt_dscnt 0xb06
	v_dual_mul_f32 v5, v150, v91 :: v_dual_mul_f32 v7, v152, v93
	v_dual_mul_f32 v31, v151, v91 :: v_dual_mul_f32 v33, v153, v93
	s_wait_loadcnt_dscnt 0xa05
	v_dual_mul_f32 v11, v154, v95 :: v_dual_mul_f32 v13, v156, v97
	s_delay_alu instid0(VALU_DEP_2) | instskip(SKIP_3) | instid1(VALU_DEP_3)
	v_dual_fmac_f32 v5, v151, v90 :: v_dual_fma_f32 v31, v150, v90, -v31
	v_dual_mul_f32 v35, v155, v95 :: v_dual_mul_f32 v37, v157, v97
	s_wait_loadcnt_dscnt 0x803
	v_dual_mul_f32 v43, v163, v103 :: v_dual_fmac_f32 v7, v153, v92
	v_dual_fma_f32 v33, v152, v92, -v33 :: v_dual_add_f32 v5, 0, v5
	v_dual_add_f32 v31, 0, v31 :: v_dual_mul_f32 v45, v165, v105
	v_fmac_f32_e32 v11, v155, v94
	s_delay_alu instid0(VALU_DEP_3) | instskip(NEXT) | instid1(VALU_DEP_3)
	v_dual_fma_f32 v35, v154, v94, -v35 :: v_dual_add_f32 v5, v5, v7
	v_dual_add_f32 v7, v31, v33 :: v_dual_mul_f32 v15, v158, v99
	v_dual_mul_f32 v17, v160, v101 :: v_dual_mul_f32 v39, v159, v99
	s_wait_loadcnt_dscnt 0x702
	v_dual_mul_f32 v41, v161, v101 :: v_dual_mul_f32 v31, v167, v107
	v_fmac_f32_e32 v13, v157, v96
	v_dual_fma_f32 v33, v156, v96, -v37 :: v_dual_add_f32 v5, v5, v11
	v_dual_add_f32 v7, v7, v35 :: v_dual_mul_f32 v11, v169, v109
	v_fmac_f32_e32 v15, v159, v98
	s_delay_alu instid0(VALU_DEP_3) | instskip(NEXT) | instid1(VALU_DEP_3)
	v_dual_fma_f32 v35, v158, v98, -v39 :: v_dual_add_f32 v5, v5, v13
	v_dual_add_f32 v7, v7, v33 :: v_dual_mul_f32 v19, v162, v103
	s_wait_loadcnt_dscnt 0x601
	v_dual_mul_f32 v21, v164, v105 :: v_dual_mul_f32 v13, v171, v111
	v_fmac_f32_e32 v17, v161, v100
	v_dual_fma_f32 v33, v160, v100, -v41 :: v_dual_add_f32 v5, v5, v15
	v_dual_add_f32 v7, v7, v35 :: v_dual_mul_f32 v15, v173, v113
	v_fmac_f32_e32 v19, v163, v102
	s_delay_alu instid0(VALU_DEP_3) | instskip(NEXT) | instid1(VALU_DEP_3)
	v_dual_fma_f32 v35, v162, v102, -v43 :: v_dual_add_f32 v5, v5, v17
	v_dual_add_f32 v7, v7, v33 :: v_dual_mul_f32 v23, v166, v107
	;; [unrolled: 9-line block ×3, first 2 shown]
	v_dual_mul_f32 v29, v172, v113 :: v_dual_fmac_f32 v25, v169, v108
	s_delay_alu instid0(VALU_DEP_3) | instskip(NEXT) | instid1(VALU_DEP_3)
	v_dual_fma_f32 v11, v168, v108, -v11 :: v_dual_add_f32 v5, v5, v23
	v_fmac_f32_e32 v27, v171, v110
	s_wait_loadcnt 0x4
	v_dual_add_f32 v7, v7, v31 :: v_dual_mov_b32 v92, v121
	s_delay_alu instid0(VALU_DEP_3) | instskip(SKIP_1) | instid1(VALU_DEP_3)
	v_dual_fma_f32 v13, v170, v110, -v13 :: v_dual_add_f32 v5, v5, v25
	v_dual_mul_f32 v189, v174, v115 :: v_dual_mul_f32 v191, v176, v117
	v_dual_add_f32 v7, v7, v11 :: v_dual_fmac_f32 v29, v173, v112
	s_delay_alu instid0(VALU_DEP_3) | instskip(SKIP_2) | instid1(VALU_DEP_3)
	v_dual_fma_f32 v11, v172, v112, -v15 :: v_dual_add_f32 v5, v5, v27
	v_pk_mul_f32 v[90:91], v[134:135], v[118:119] op_sel:[1,1] op_sel_hi:[0,1]
	s_wait_loadcnt 0x3
	v_dual_add_f32 v7, v7, v13 :: v_dual_mov_b32 v96, v125
	s_delay_alu instid0(VALU_DEP_3) | instskip(NEXT) | instid1(VALU_DEP_2)
	v_dual_fmac_f32 v189, v175, v114 :: v_dual_add_f32 v99, v5, v29
	v_dual_fma_f32 v188, v174, v114, -v17 :: v_dual_add_f32 v98, v7, v11
	v_fmac_f32_e32 v191, v177, v116
	v_pk_fma_f32 v[100:101], v[134:135], v[118:119], v[90:91] op_sel_hi:[1,0,1]
	v_fma_f32 v190, v176, v116, -v19
	v_pk_mul_f32 v[92:93], v[180:181], v[92:93] op_sel_hi:[1,0]
	v_pk_add_f32 v[98:99], v[98:99], v[188:189]
	v_pk_fma_f32 v[90:91], v[134:135], v[118:119], v[90:91] neg_lo:[0,0,1] neg_hi:[0,0,1]
	v_pk_mul_f32 v[94:95], v[138:139], v[122:123] op_sel:[1,1] op_sel_hi:[0,1]
	v_mov_b32_e32 v91, v101
	v_pk_fma_f32 v[100:101], v[136:137], v[120:121], v[92:93] op_sel_hi:[1,0,1]
	v_pk_add_f32 v[98:99], v[98:99], v[190:191]
	v_pk_fma_f32 v[92:93], v[136:137], v[120:121], v[92:93] neg_lo:[0,0,1] neg_hi:[0,0,1]
	v_pk_fma_f32 v[104:105], v[138:139], v[122:123], v[94:95] op_sel_hi:[1,0,1]
	v_pk_mul_f32 v[96:97], v[182:183], v[96:97] op_sel_hi:[1,0]
	v_mov_b32_e32 v93, v101
	v_pk_add_f32 v[90:91], v[98:99], v[90:91]
	s_wait_loadcnt 0x2
	v_pk_mul_f32 v[102:103], v[142:143], v[126:127] op_sel:[1,1] op_sel_hi:[0,1]
	v_mov_b32_e32 v98, v129
	v_pk_fma_f32 v[94:95], v[138:139], v[122:123], v[94:95] neg_lo:[0,0,1] neg_hi:[0,0,1]
	v_pk_fma_f32 v[100:101], v[140:141], v[124:125], v[96:97] op_sel_hi:[1,0,1]
	v_mov_b32_e32 v95, v105
	v_pk_add_f32 v[90:91], v[90:91], v[92:93]
	v_pk_fma_f32 v[92:93], v[142:143], v[126:127], v[102:103] op_sel_hi:[1,0,1]
	v_pk_mul_f32 v[98:99], v[184:185], v[98:99] op_sel_hi:[1,0]
	v_pk_fma_f32 v[96:97], v[140:141], v[124:125], v[96:97] neg_lo:[0,0,1] neg_hi:[0,0,1]
	v_mov_b32_e32 v97, v101
	v_pk_add_f32 v[90:91], v[90:91], v[94:95]
	v_pk_fma_f32 v[100:101], v[142:143], v[126:127], v[102:103] neg_lo:[0,0,1] neg_hi:[0,0,1]
	v_mov_b32_e32 v101, v93
	v_pk_fma_f32 v[92:93], v[144:145], v[128:129], v[98:99] op_sel_hi:[1,0,1]
	s_wait_loadcnt 0x1
	v_pk_mul_f32 v[94:95], v[146:147], v[130:131] op_sel:[1,1] op_sel_hi:[0,1]
	v_pk_add_f32 v[90:91], v[90:91], v[96:97]
	v_mov_b32_e32 v92, v133
	v_pk_fma_f32 v[98:99], v[144:145], v[128:129], v[98:99] neg_lo:[0,0,1] neg_hi:[0,0,1]
	s_delay_alu instid0(VALU_DEP_4)
	v_pk_fma_f32 v[96:97], v[146:147], v[130:131], v[94:95] op_sel_hi:[1,0,1]
	v_mov_b32_e32 v99, v93
	v_pk_add_f32 v[90:91], v[90:91], v[100:101]
	v_pk_mul_f32 v[92:93], v[186:187], v[92:93] op_sel_hi:[1,0]
	v_pk_fma_f32 v[94:95], v[146:147], v[130:131], v[94:95] neg_lo:[0,0,1] neg_hi:[0,0,1]
	v_mov_b32_e32 v95, v97
	s_delay_alu instid0(VALU_DEP_4) | instskip(NEXT) | instid1(VALU_DEP_4)
	v_pk_add_f32 v[90:91], v[90:91], v[98:99]
	v_pk_fma_f32 v[96:97], v[148:149], v[132:133], v[92:93] op_sel_hi:[1,0,1]
	v_pk_fma_f32 v[92:93], v[148:149], v[132:133], v[92:93] neg_lo:[0,0,1] neg_hi:[0,0,1]
	s_delay_alu instid0(VALU_DEP_3) | instskip(NEXT) | instid1(VALU_DEP_3)
	v_pk_add_f32 v[90:91], v[90:91], v[94:95]
	v_mov_b32_e32 v93, v97
	s_delay_alu instid0(VALU_DEP_1) | instskip(SKIP_1) | instid1(VALU_DEP_1)
	v_pk_add_f32 v[90:91], v[90:91], v[92:93]
	s_wait_loadcnt 0x0
	v_pk_add_f32 v[90:91], v[178:179], v[90:91] neg_lo:[0,1] neg_hi:[0,1]
	scratch_store_b64 off, v[90:91], off offset:168
	s_wait_xcnt 0x0
	v_cmpx_lt_u32_e32 20, v0
	s_cbranch_execz .LBB43_237
; %bb.236:
	scratch_load_b64 v[90:91], off, off offset:160
	v_mov_b64_e32 v[92:93], 0
	scratch_store_b64 off, v[92:93], off offset:160
	s_wait_loadcnt 0x0
	ds_store_b64 v1, v[90:91]
.LBB43_237:
	s_wait_xcnt 0x0
	s_or_b32 exec_lo, exec_lo, s0
	s_wait_storecnt_dscnt 0x0
	s_barrier_signal -1
	s_barrier_wait -1
	s_clause 0xc
	scratch_load_b128 v[90:93], off, off offset:168
	scratch_load_b128 v[94:97], off, off offset:184
	scratch_load_b128 v[98:101], off, off offset:200
	scratch_load_b128 v[102:105], off, off offset:216
	scratch_load_b128 v[106:109], off, off offset:232
	scratch_load_b128 v[110:113], off, off offset:248
	scratch_load_b128 v[114:117], off, off offset:264
	scratch_load_b128 v[118:121], off, off offset:280
	scratch_load_b128 v[122:125], off, off offset:296
	scratch_load_b128 v[126:129], off, off offset:312
	scratch_load_b128 v[130:133], off, off offset:328
	scratch_load_b64 v[178:179], off, off offset:344
	scratch_load_b64 v[180:181], off, off offset:160
	v_mov_b32_e32 v5, 0
	ds_load_2addr_b64 v[134:137], v5 offset0:79 offset1:80
	ds_load_2addr_b64 v[138:141], v5 offset0:81 offset1:82
	;; [unrolled: 1-line block ×11, first 2 shown]
	ds_load_b64 v[182:183], v5 offset:696
	s_mov_b32 s0, exec_lo
	s_wait_dscnt 0xa
	v_dual_mov_b32 v185, v136 :: v_dual_mov_b32 v186, v141
	s_wait_dscnt 0x9
	v_dual_mov_b32 v187, v140 :: v_dual_mov_b32 v188, v145
	;; [unrolled: 2-line block ×3, first 2 shown]
	v_dual_mov_b32 v189, v144 :: v_dual_mov_b32 v190, v149
	s_wait_loadcnt_dscnt 0xc07
	v_dual_mul_f32 v7, v150, v91 :: v_dual_mul_f32 v11, v152, v93
	s_wait_loadcnt_dscnt 0xb06
	v_mul_f32_e32 v13, v154, v95
	v_dual_mul_f32 v35, v151, v91 :: v_dual_mul_f32 v37, v153, v93
	s_wait_loadcnt_dscnt 0x904
	v_dual_fmac_f32 v7, v151, v90 :: v_dual_mul_f32 v49, v165, v105
	s_delay_alu instid0(VALU_DEP_2) | instskip(NEXT) | instid1(VALU_DEP_3)
	v_dual_mul_f32 v47, v163, v103 :: v_dual_fma_f32 v35, v150, v90, -v35
	v_dual_fmac_f32 v11, v153, v92 :: v_dual_fma_f32 v37, v152, v92, -v37
	s_delay_alu instid0(VALU_DEP_3) | instskip(SKIP_3) | instid1(VALU_DEP_3)
	v_dual_add_f32 v7, 0, v7 :: v_dual_fmac_f32 v13, v155, v94
	v_dual_mul_f32 v15, v156, v97 :: v_dual_mul_f32 v17, v158, v99
	v_dual_mul_f32 v39, v155, v95 :: v_dual_mul_f32 v41, v157, v97
	v_add_f32_e32 v35, 0, v35
	v_dual_add_f32 v7, v7, v11 :: v_dual_fmac_f32 v15, v157, v96
	v_dual_mul_f32 v43, v159, v99 :: v_dual_mul_f32 v45, v161, v101
	s_delay_alu instid0(VALU_DEP_3) | instskip(NEXT) | instid1(VALU_DEP_3)
	v_dual_fma_f32 v39, v154, v94, -v39 :: v_dual_add_f32 v11, v35, v37
	v_dual_fma_f32 v37, v156, v96, -v41 :: v_dual_add_f32 v7, v7, v13
	v_dual_mul_f32 v19, v160, v101 :: v_dual_mul_f32 v21, v162, v103
	s_delay_alu instid0(VALU_DEP_3) | instskip(SKIP_1) | instid1(VALU_DEP_4)
	v_add_f32_e32 v11, v11, v39
	v_dual_fmac_f32 v17, v159, v98 :: v_dual_fma_f32 v39, v158, v98, -v43
	v_dual_add_f32 v7, v7, v15 :: v_dual_mul_f32 v23, v164, v105
	s_wait_loadcnt_dscnt 0x803
	v_mul_f32_e32 v25, v166, v107
	s_wait_loadcnt_dscnt 0x701
	v_dual_mul_f32 v13, v175, v111 :: v_dual_fmac_f32 v19, v161, v100
	v_mul_f32_e32 v15, v177, v113
	v_dual_add_f32 v11, v11, v37 :: v_dual_fma_f32 v37, v160, v100, -v45
	v_dual_add_f32 v7, v7, v17 :: v_dual_fmac_f32 v23, v165, v104
	v_dual_mul_f32 v27, v168, v109 :: v_dual_mul_f32 v29, v174, v111
	s_delay_alu instid0(VALU_DEP_3) | instskip(SKIP_2) | instid1(VALU_DEP_3)
	v_add_f32_e32 v11, v11, v39
	s_wait_loadcnt 0x5
	v_dual_fmac_f32 v21, v163, v102 :: v_dual_mov_b32 v90, v121
	v_dual_add_f32 v7, v7, v19 :: v_dual_fmac_f32 v27, v169, v108
	v_dual_mul_f32 v51, v167, v107 :: v_dual_mul_f32 v35, v169, v109
	v_dual_fma_f32 v39, v162, v102, -v47 :: v_dual_add_f32 v11, v11, v37
	s_delay_alu instid0(VALU_DEP_3) | instskip(SKIP_2) | instid1(VALU_DEP_3)
	v_dual_add_f32 v7, v7, v21 :: v_dual_fma_f32 v13, v174, v110, -v13
	v_dual_mul_f32 v17, v171, v115 :: v_dual_fma_f32 v37, v164, v104, -v49
	v_dual_mul_f32 v193, v172, v117 :: v_dual_mul_f32 v195, v134, v119
	v_dual_add_f32 v7, v7, v23 :: v_dual_fma_f32 v23, v168, v108, -v35
	s_wait_loadcnt 0x4
	v_dual_add_f32 v11, v11, v39 :: v_dual_mov_b32 v94, v125
	v_fma_f32 v39, v166, v106, -v51
	v_pk_mul_f32 v[92:93], v[138:139], v[122:123] op_sel:[1,1] op_sel_hi:[0,1]
	s_delay_alu instid0(VALU_DEP_3) | instskip(NEXT) | instid1(VALU_DEP_4)
	v_dual_fmac_f32 v193, v173, v116 :: v_dual_add_f32 v11, v11, v37
	v_pk_mul_f32 v[94:95], v[186:187], v[94:95] op_sel_hi:[1,0]
	v_dual_fmac_f32 v25, v167, v106 :: v_dual_fma_f32 v15, v176, v112, -v15
	s_delay_alu instid0(VALU_DEP_4) | instskip(SKIP_3) | instid1(VALU_DEP_3)
	v_pk_fma_f32 v[104:105], v[138:139], v[122:123], v[92:93] op_sel_hi:[1,0,1]
	s_wait_loadcnt 0x3
	v_dual_add_f32 v11, v11, v39 :: v_dual_mov_b32 v100, v129
	v_pk_fma_f32 v[92:93], v[138:139], v[122:123], v[92:93] neg_lo:[0,0,1] neg_hi:[0,0,1]
	v_dual_fmac_f32 v29, v175, v110 :: v_dual_mov_b32 v93, v105
	v_pk_fma_f32 v[104:105], v[140:141], v[124:125], v[94:95] op_sel_hi:[1,0,1]
	s_delay_alu instid0(VALU_DEP_4) | instskip(SKIP_3) | instid1(VALU_DEP_4)
	v_add_f32_e32 v11, v11, v23
	v_pk_fma_f32 v[94:95], v[140:141], v[124:125], v[94:95] neg_lo:[0,0,1] neg_hi:[0,0,1]
	v_dual_mul_f32 v31, v176, v113 :: v_dual_mul_f32 v33, v170, v115
	v_mul_f32_e32 v19, v173, v117
	v_dual_mov_b32 v95, v105 :: v_dual_add_f32 v11, v11, v13
	v_dual_fma_f32 v13, v170, v114, -v17 :: v_dual_add_f32 v7, v7, v25
	s_delay_alu instid0(VALU_DEP_3) | instskip(SKIP_1) | instid1(VALU_DEP_3)
	v_dual_fma_f32 v192, v172, v116, -v19 :: v_dual_mul_f32 v21, v135, v119
	v_dual_fmac_f32 v31, v177, v112 :: v_dual_fmac_f32 v33, v171, v114
	v_add_f32_e32 v7, v7, v27
	s_delay_alu instid0(VALU_DEP_3) | instskip(SKIP_2) | instid1(VALU_DEP_4)
	v_dual_add_f32 v11, v11, v15 :: v_dual_fma_f32 v194, v134, v118, -v21
	v_pk_mul_f32 v[90:91], v[184:185], v[90:91] op_sel_hi:[1,0]
	v_fmac_f32_e32 v195, v135, v118
	v_add_f32_e32 v7, v7, v29
	s_delay_alu instid0(VALU_DEP_4)
	v_add_f32_e32 v98, v11, v13
	v_pk_mul_f32 v[96:97], v[142:143], v[126:127] op_sel:[1,1] op_sel_hi:[0,1]
	v_pk_fma_f32 v[102:103], v[136:137], v[120:121], v[90:91] op_sel_hi:[1,0,1]
	v_pk_fma_f32 v[90:91], v[136:137], v[120:121], v[90:91] neg_lo:[0,0,1] neg_hi:[0,0,1]
	v_add_f32_e32 v7, v7, v31
	v_pk_mul_f32 v[100:101], v[188:189], v[100:101] op_sel_hi:[1,0]
	s_delay_alu instid0(VALU_DEP_4) | instskip(SKIP_3) | instid1(VALU_DEP_1)
	v_mov_b32_e32 v91, v103
	s_wait_loadcnt 0x2
	v_pk_mul_f32 v[102:103], v[146:147], v[130:131] op_sel:[1,1] op_sel_hi:[0,1]
	v_add_f32_e32 v99, v7, v33
	v_pk_add_f32 v[98:99], v[98:99], v[192:193]
	s_delay_alu instid0(VALU_DEP_1) | instskip(NEXT) | instid1(VALU_DEP_1)
	v_pk_add_f32 v[98:99], v[98:99], v[194:195]
	v_pk_add_f32 v[90:91], v[98:99], v[90:91]
	v_pk_fma_f32 v[98:99], v[142:143], v[126:127], v[96:97] op_sel_hi:[1,0,1]
	v_pk_fma_f32 v[96:97], v[142:143], v[126:127], v[96:97] neg_lo:[0,0,1] neg_hi:[0,0,1]
	s_delay_alu instid0(VALU_DEP_3) | instskip(NEXT) | instid1(VALU_DEP_3)
	v_pk_add_f32 v[90:91], v[90:91], v[92:93]
	v_dual_mov_b32 v92, v133 :: v_dual_mov_b32 v97, v99
	v_pk_fma_f32 v[98:99], v[144:145], v[128:129], v[100:101] op_sel_hi:[1,0,1]
	v_pk_fma_f32 v[100:101], v[144:145], v[128:129], v[100:101] neg_lo:[0,0,1] neg_hi:[0,0,1]
	s_delay_alu instid0(VALU_DEP_4)
	v_pk_add_f32 v[90:91], v[90:91], v[94:95]
	v_pk_fma_f32 v[94:95], v[146:147], v[130:131], v[102:103] op_sel_hi:[1,0,1]
	v_pk_mul_f32 v[92:93], v[190:191], v[92:93] op_sel_hi:[1,0]
	v_mov_b32_e32 v101, v99
	s_wait_loadcnt_dscnt 0x100
	v_pk_mul_f32 v[98:99], v[182:183], v[178:179] op_sel:[1,1] op_sel_hi:[0,1]
	v_pk_add_f32 v[90:91], v[90:91], v[96:97]
	v_pk_fma_f32 v[96:97], v[146:147], v[130:131], v[102:103] neg_lo:[0,0,1] neg_hi:[0,0,1]
	v_mov_b32_e32 v97, v95
	v_pk_fma_f32 v[94:95], v[148:149], v[132:133], v[92:93] op_sel_hi:[1,0,1]
	v_pk_fma_f32 v[92:93], v[148:149], v[132:133], v[92:93] neg_lo:[0,0,1] neg_hi:[0,0,1]
	v_pk_add_f32 v[90:91], v[90:91], v[100:101]
	s_delay_alu instid0(VALU_DEP_3) | instskip(SKIP_1) | instid1(VALU_DEP_3)
	v_mov_b32_e32 v93, v95
	v_pk_fma_f32 v[94:95], v[182:183], v[178:179], v[98:99] op_sel_hi:[1,0,1]
	v_pk_add_f32 v[90:91], v[90:91], v[96:97]
	v_pk_fma_f32 v[96:97], v[182:183], v[178:179], v[98:99] neg_lo:[0,0,1] neg_hi:[0,0,1]
	s_delay_alu instid0(VALU_DEP_3) | instskip(NEXT) | instid1(VALU_DEP_3)
	v_mov_b32_e32 v97, v95
	v_pk_add_f32 v[90:91], v[90:91], v[92:93]
	s_delay_alu instid0(VALU_DEP_1) | instskip(SKIP_1) | instid1(VALU_DEP_1)
	v_pk_add_f32 v[90:91], v[90:91], v[96:97]
	s_wait_loadcnt 0x0
	v_pk_add_f32 v[90:91], v[180:181], v[90:91] neg_lo:[0,1] neg_hi:[0,1]
	scratch_store_b64 off, v[90:91], off offset:160
	s_wait_xcnt 0x0
	v_cmpx_lt_u32_e32 19, v0
	s_cbranch_execz .LBB43_239
; %bb.238:
	scratch_load_b64 v[90:91], off, off offset:152
	v_mov_b64_e32 v[92:93], 0
	scratch_store_b64 off, v[92:93], off offset:152
	s_wait_loadcnt 0x0
	ds_store_b64 v1, v[90:91]
.LBB43_239:
	s_wait_xcnt 0x0
	s_or_b32 exec_lo, exec_lo, s0
	s_wait_storecnt_dscnt 0x0
	s_barrier_signal -1
	s_barrier_wait -1
	s_clause 0xc
	scratch_load_b128 v[90:93], off, off offset:160
	scratch_load_b128 v[94:97], off, off offset:176
	;; [unrolled: 1-line block ×12, first 2 shown]
	scratch_load_b64 v[186:187], off, off offset:152
	ds_load_b128 v[138:141], v5 offset:640
	ds_load_b128 v[142:145], v5 offset:656
	;; [unrolled: 1-line block ×12, first 2 shown]
	s_mov_b32 s0, exec_lo
	s_wait_dscnt 0xb
	v_dual_mov_b32 v188, v141 :: v_dual_mov_b32 v189, v140
	s_wait_dscnt 0xa
	v_dual_mov_b32 v190, v145 :: v_dual_mov_b32 v191, v144
	s_wait_dscnt 0x9
	v_dual_mov_b32 v192, v149 :: v_dual_mov_b32 v193, v148
	s_wait_dscnt 0x8
	v_dual_mov_b32 v194, v153 :: v_dual_mov_b32 v195, v152
	s_wait_loadcnt_dscnt 0xc07
	v_dual_mul_f32 v5, v154, v91 :: v_dual_mul_f32 v7, v156, v93
	v_dual_mul_f32 v35, v155, v91 :: v_dual_mul_f32 v37, v157, v93
	s_wait_loadcnt_dscnt 0xb06
	v_dual_mul_f32 v11, v158, v95 :: v_dual_mul_f32 v13, v160, v97
	s_delay_alu instid0(VALU_DEP_2) | instskip(SKIP_3) | instid1(VALU_DEP_3)
	v_dual_fmac_f32 v5, v155, v90 :: v_dual_fma_f32 v35, v154, v90, -v35
	v_dual_mul_f32 v39, v159, v95 :: v_dual_mul_f32 v41, v161, v97
	s_wait_loadcnt_dscnt 0x904
	v_dual_mul_f32 v47, v167, v103 :: v_dual_fmac_f32 v7, v157, v92
	v_dual_fma_f32 v37, v156, v92, -v37 :: v_dual_add_f32 v5, 0, v5
	v_dual_add_f32 v35, 0, v35 :: v_dual_mul_f32 v49, v169, v105
	v_fmac_f32_e32 v11, v159, v94
	s_delay_alu instid0(VALU_DEP_3) | instskip(NEXT) | instid1(VALU_DEP_3)
	v_dual_fma_f32 v39, v158, v94, -v39 :: v_dual_add_f32 v5, v5, v7
	v_dual_add_f32 v7, v35, v37 :: v_dual_mul_f32 v15, v162, v99
	v_dual_mul_f32 v17, v164, v101 :: v_dual_mul_f32 v43, v163, v99
	s_wait_loadcnt_dscnt 0x803
	v_dual_mul_f32 v45, v165, v101 :: v_dual_mul_f32 v35, v171, v107
	v_fmac_f32_e32 v13, v161, v96
	v_dual_fma_f32 v37, v160, v96, -v41 :: v_dual_add_f32 v5, v5, v11
	v_dual_add_f32 v7, v7, v39 :: v_dual_mul_f32 v11, v173, v109
	v_fmac_f32_e32 v15, v163, v98
	s_delay_alu instid0(VALU_DEP_3) | instskip(NEXT) | instid1(VALU_DEP_3)
	v_dual_fma_f32 v39, v162, v98, -v43 :: v_dual_add_f32 v5, v5, v13
	v_dual_add_f32 v7, v7, v37 :: v_dual_mul_f32 v19, v166, v103
	s_wait_loadcnt_dscnt 0x702
	v_dual_mul_f32 v21, v168, v105 :: v_dual_mul_f32 v13, v175, v111
	v_fmac_f32_e32 v17, v165, v100
	v_dual_fma_f32 v37, v164, v100, -v45 :: v_dual_add_f32 v5, v5, v15
	v_dual_add_f32 v7, v7, v39 :: v_dual_mul_f32 v15, v177, v113
	v_fmac_f32_e32 v19, v167, v102
	s_delay_alu instid0(VALU_DEP_3) | instskip(NEXT) | instid1(VALU_DEP_3)
	v_dual_fma_f32 v39, v166, v102, -v47 :: v_dual_add_f32 v5, v5, v17
	v_dual_add_f32 v7, v7, v37 :: v_dual_mul_f32 v23, v170, v107
	;; [unrolled: 9-line block ×3, first 2 shown]
	s_wait_loadcnt_dscnt 0x500
	v_dual_mul_f32 v29, v176, v113 :: v_dual_mul_f32 v21, v183, v119
	v_dual_fmac_f32 v25, v173, v108 :: v_dual_fma_f32 v11, v172, v108, -v11
	v_add_f32_e32 v5, v5, v23
	v_dual_add_f32 v7, v7, v35 :: v_dual_mul_f32 v23, v185, v121
	v_dual_fmac_f32 v27, v175, v110 :: v_dual_fma_f32 v13, v174, v110, -v13
	s_delay_alu instid0(VALU_DEP_2) | instskip(SKIP_2) | instid1(VALU_DEP_3)
	v_dual_add_f32 v5, v5, v25 :: v_dual_add_f32 v7, v7, v11
	v_dual_mul_f32 v31, v178, v115 :: v_dual_mul_f32 v33, v180, v117
	v_dual_fmac_f32 v29, v177, v112 :: v_dual_fma_f32 v11, v176, v112, -v15
	v_dual_add_f32 v5, v5, v27 :: v_dual_add_f32 v7, v7, v13
	s_wait_loadcnt 0x4
	s_delay_alu instid0(VALU_DEP_3) | instskip(NEXT) | instid1(VALU_DEP_2)
	v_dual_mov_b32 v92, v125 :: v_dual_fmac_f32 v31, v179, v114
	v_dual_fma_f32 v13, v178, v114, -v17 :: v_dual_add_f32 v5, v5, v29
	s_delay_alu instid0(VALU_DEP_3) | instskip(SKIP_1) | instid1(VALU_DEP_3)
	v_dual_add_f32 v7, v7, v11 :: v_dual_fmac_f32 v33, v181, v116
	v_dual_mul_f32 v197, v182, v119 :: v_dual_mul_f32 v199, v184, v121
	v_dual_fma_f32 v11, v180, v116, -v19 :: v_dual_add_f32 v5, v5, v31
	s_wait_loadcnt 0x3
	s_delay_alu instid0(VALU_DEP_3) | instskip(SKIP_1) | instid1(VALU_DEP_3)
	v_dual_add_f32 v7, v7, v13 :: v_dual_mov_b32 v96, v129
	v_pk_mul_f32 v[90:91], v[138:139], v[122:123] op_sel:[1,1] op_sel_hi:[0,1]
	v_dual_fmac_f32 v197, v183, v118 :: v_dual_add_f32 v99, v5, v33
	s_delay_alu instid0(VALU_DEP_3) | instskip(SKIP_1) | instid1(VALU_DEP_4)
	v_dual_fma_f32 v196, v182, v118, -v21 :: v_dual_add_f32 v98, v7, v11
	v_fmac_f32_e32 v199, v185, v120
	v_pk_fma_f32 v[100:101], v[138:139], v[122:123], v[90:91] op_sel_hi:[1,0,1]
	v_fma_f32 v198, v184, v120, -v23
	v_pk_mul_f32 v[92:93], v[188:189], v[92:93] op_sel_hi:[1,0]
	v_pk_add_f32 v[98:99], v[98:99], v[196:197]
	v_pk_fma_f32 v[90:91], v[138:139], v[122:123], v[90:91] neg_lo:[0,0,1] neg_hi:[0,0,1]
	v_pk_mul_f32 v[94:95], v[142:143], v[126:127] op_sel:[1,1] op_sel_hi:[0,1]
	v_mov_b32_e32 v91, v101
	v_pk_fma_f32 v[100:101], v[140:141], v[124:125], v[92:93] op_sel_hi:[1,0,1]
	v_pk_add_f32 v[98:99], v[98:99], v[198:199]
	v_pk_fma_f32 v[92:93], v[140:141], v[124:125], v[92:93] neg_lo:[0,0,1] neg_hi:[0,0,1]
	v_pk_fma_f32 v[104:105], v[142:143], v[126:127], v[94:95] op_sel_hi:[1,0,1]
	v_pk_mul_f32 v[96:97], v[190:191], v[96:97] op_sel_hi:[1,0]
	v_mov_b32_e32 v93, v101
	v_pk_add_f32 v[90:91], v[98:99], v[90:91]
	s_wait_loadcnt 0x2
	v_pk_mul_f32 v[102:103], v[146:147], v[130:131] op_sel:[1,1] op_sel_hi:[0,1]
	v_mov_b32_e32 v98, v133
	v_pk_fma_f32 v[94:95], v[142:143], v[126:127], v[94:95] neg_lo:[0,0,1] neg_hi:[0,0,1]
	v_pk_fma_f32 v[100:101], v[144:145], v[128:129], v[96:97] op_sel_hi:[1,0,1]
	v_mov_b32_e32 v95, v105
	v_pk_add_f32 v[90:91], v[90:91], v[92:93]
	v_pk_fma_f32 v[92:93], v[146:147], v[130:131], v[102:103] op_sel_hi:[1,0,1]
	v_pk_mul_f32 v[98:99], v[192:193], v[98:99] op_sel_hi:[1,0]
	v_pk_fma_f32 v[96:97], v[144:145], v[128:129], v[96:97] neg_lo:[0,0,1] neg_hi:[0,0,1]
	v_mov_b32_e32 v97, v101
	v_pk_add_f32 v[90:91], v[90:91], v[94:95]
	v_pk_fma_f32 v[100:101], v[146:147], v[130:131], v[102:103] neg_lo:[0,0,1] neg_hi:[0,0,1]
	v_mov_b32_e32 v101, v93
	v_pk_fma_f32 v[92:93], v[148:149], v[132:133], v[98:99] op_sel_hi:[1,0,1]
	s_wait_loadcnt 0x1
	v_pk_mul_f32 v[94:95], v[150:151], v[134:135] op_sel:[1,1] op_sel_hi:[0,1]
	v_pk_add_f32 v[90:91], v[90:91], v[96:97]
	v_mov_b32_e32 v92, v137
	v_pk_fma_f32 v[98:99], v[148:149], v[132:133], v[98:99] neg_lo:[0,0,1] neg_hi:[0,0,1]
	s_delay_alu instid0(VALU_DEP_4)
	v_pk_fma_f32 v[96:97], v[150:151], v[134:135], v[94:95] op_sel_hi:[1,0,1]
	v_mov_b32_e32 v99, v93
	v_pk_add_f32 v[90:91], v[90:91], v[100:101]
	v_pk_mul_f32 v[92:93], v[194:195], v[92:93] op_sel_hi:[1,0]
	v_pk_fma_f32 v[94:95], v[150:151], v[134:135], v[94:95] neg_lo:[0,0,1] neg_hi:[0,0,1]
	v_mov_b32_e32 v95, v97
	s_delay_alu instid0(VALU_DEP_4) | instskip(NEXT) | instid1(VALU_DEP_4)
	v_pk_add_f32 v[90:91], v[90:91], v[98:99]
	v_pk_fma_f32 v[96:97], v[152:153], v[136:137], v[92:93] op_sel_hi:[1,0,1]
	v_pk_fma_f32 v[92:93], v[152:153], v[136:137], v[92:93] neg_lo:[0,0,1] neg_hi:[0,0,1]
	s_delay_alu instid0(VALU_DEP_3) | instskip(NEXT) | instid1(VALU_DEP_3)
	v_pk_add_f32 v[90:91], v[90:91], v[94:95]
	v_mov_b32_e32 v93, v97
	s_delay_alu instid0(VALU_DEP_1) | instskip(SKIP_1) | instid1(VALU_DEP_1)
	v_pk_add_f32 v[90:91], v[90:91], v[92:93]
	s_wait_loadcnt 0x0
	v_pk_add_f32 v[90:91], v[186:187], v[90:91] neg_lo:[0,1] neg_hi:[0,1]
	scratch_store_b64 off, v[90:91], off offset:152
	s_wait_xcnt 0x0
	v_cmpx_lt_u32_e32 18, v0
	s_cbranch_execz .LBB43_241
; %bb.240:
	scratch_load_b64 v[90:91], off, off offset:144
	v_mov_b64_e32 v[92:93], 0
	scratch_store_b64 off, v[92:93], off offset:144
	s_wait_loadcnt 0x0
	ds_store_b64 v1, v[90:91]
.LBB43_241:
	s_wait_xcnt 0x0
	s_or_b32 exec_lo, exec_lo, s0
	s_wait_storecnt_dscnt 0x0
	s_barrier_signal -1
	s_barrier_wait -1
	s_clause 0xd
	scratch_load_b128 v[90:93], off, off offset:152
	scratch_load_b128 v[94:97], off, off offset:168
	;; [unrolled: 1-line block ×12, first 2 shown]
	scratch_load_b64 v[186:187], off, off offset:344
	scratch_load_b64 v[188:189], off, off offset:144
	v_mov_b32_e32 v5, 0
	ds_load_2addr_b64 v[138:141], v5 offset0:79 offset1:80
	ds_load_2addr_b64 v[142:145], v5 offset0:81 offset1:82
	;; [unrolled: 1-line block ×12, first 2 shown]
	ds_load_b64 v[190:191], v5 offset:696
	s_mov_b32 s0, exec_lo
	s_wait_dscnt 0xb
	v_dual_mov_b32 v193, v140 :: v_dual_mov_b32 v194, v145
	s_wait_dscnt 0xa
	v_dual_mov_b32 v195, v144 :: v_dual_mov_b32 v196, v149
	;; [unrolled: 2-line block ×3, first 2 shown]
	v_dual_mov_b32 v197, v148 :: v_dual_mov_b32 v198, v153
	s_wait_loadcnt_dscnt 0xd08
	v_dual_mul_f32 v7, v154, v91 :: v_dual_mul_f32 v39, v155, v91
	v_dual_mul_f32 v41, v157, v93 :: v_dual_mul_f32 v11, v156, v93
	s_wait_loadcnt_dscnt 0xc07
	v_mul_f32_e32 v13, v158, v95
	s_wait_loadcnt_dscnt 0xa05
	v_dual_mul_f32 v51, v167, v103 :: v_dual_fma_f32 v39, v154, v90, -v39
	v_dual_fmac_f32 v7, v155, v90 :: v_dual_mul_f32 v53, v169, v105
	v_dual_mul_f32 v43, v159, v95 :: v_dual_mul_f32 v45, v161, v97
	v_dual_fmac_f32 v11, v157, v92 :: v_dual_fma_f32 v41, v156, v92, -v41
	s_delay_alu instid0(VALU_DEP_3) | instskip(NEXT) | instid1(VALU_DEP_3)
	v_dual_add_f32 v7, 0, v7 :: v_dual_fmac_f32 v13, v159, v94
	v_dual_add_f32 v39, 0, v39 :: v_dual_fma_f32 v43, v158, v94, -v43
	v_dual_mul_f32 v15, v160, v97 :: v_dual_mul_f32 v17, v162, v99
	s_delay_alu instid0(VALU_DEP_3) | instskip(NEXT) | instid1(VALU_DEP_3)
	v_add_f32_e32 v7, v7, v11
	v_dual_add_f32 v11, v39, v41 :: v_dual_fma_f32 v41, v160, v96, -v45
	v_dual_mul_f32 v47, v163, v99 :: v_dual_mul_f32 v49, v165, v101
	s_delay_alu instid0(VALU_DEP_3) | instskip(NEXT) | instid1(VALU_DEP_2)
	v_dual_fmac_f32 v15, v161, v96 :: v_dual_add_f32 v7, v7, v13
	v_dual_add_f32 v11, v11, v43 :: v_dual_fma_f32 v43, v162, v98, -v47
	v_dual_mul_f32 v19, v164, v101 :: v_dual_mul_f32 v21, v166, v103
	s_wait_loadcnt_dscnt 0x803
	s_delay_alu instid0(VALU_DEP_3) | instskip(NEXT) | instid1(VALU_DEP_3)
	v_dual_add_f32 v7, v7, v15 :: v_dual_mul_f32 v15, v177, v113
	v_dual_add_f32 v11, v11, v41 :: v_dual_fma_f32 v41, v164, v100, -v49
	v_dual_mul_f32 v55, v171, v107 :: v_dual_mul_f32 v39, v173, v109
	v_fmac_f32_e32 v17, v163, v98
	s_delay_alu instid0(VALU_DEP_3) | instskip(SKIP_2) | instid1(VALU_DEP_3)
	v_dual_add_f32 v11, v11, v43 :: v_dual_fma_f32 v43, v166, v102, -v51
	v_dual_mul_f32 v23, v168, v105 :: v_dual_mul_f32 v25, v170, v107
	v_dual_mul_f32 v13, v175, v111 :: v_dual_fmac_f32 v19, v165, v100
	v_dual_add_f32 v11, v11, v41 :: v_dual_fma_f32 v39, v172, v108, -v39
	s_delay_alu instid0(VALU_DEP_3) | instskip(NEXT) | instid1(VALU_DEP_2)
	v_dual_add_f32 v7, v7, v17 :: v_dual_fmac_f32 v23, v169, v104
	v_dual_fma_f32 v41, v168, v104, -v53 :: v_dual_add_f32 v11, v11, v43
	s_wait_loadcnt 0x5
	v_dual_mov_b32 v90, v125 :: v_dual_mul_f32 v27, v172, v109
	v_mul_f32_e32 v29, v174, v111
	s_wait_dscnt 0x2
	v_dual_mul_f32 v17, v179, v115 :: v_dual_fma_f32 v43, v170, v106, -v55
	v_fmac_f32_e32 v21, v167, v102
	v_dual_add_f32 v7, v7, v19 :: v_dual_fmac_f32 v27, v173, v108
	s_wait_loadcnt 0x4
	v_dual_add_f32 v11, v11, v41 :: v_dual_mov_b32 v94, v129
	v_mul_f32_e32 v19, v181, v117
	s_delay_alu instid0(VALU_DEP_3) | instskip(NEXT) | instid1(VALU_DEP_3)
	v_dual_add_f32 v7, v7, v21 :: v_dual_fma_f32 v13, v174, v110, -v13
	v_add_f32_e32 v11, v11, v43
	v_dual_fmac_f32 v25, v171, v106 :: v_dual_fma_f32 v15, v176, v112, -v15
	s_delay_alu instid0(VALU_DEP_3)
	v_add_f32_e32 v7, v7, v23
	v_pk_mul_f32 v[92:93], v[142:143], v[126:127] op_sel:[1,1] op_sel_hi:[0,1]
	s_wait_loadcnt 0x3
	v_dual_add_f32 v11, v11, v39 :: v_dual_mov_b32 v100, v133
	s_wait_dscnt 0x1
	v_dual_mul_f32 v35, v180, v117 :: v_dual_mul_f32 v37, v182, v119
	v_pk_fma_f32 v[104:105], v[142:143], v[126:127], v[92:93] op_sel_hi:[1,0,1]
	s_delay_alu instid0(VALU_DEP_3) | instskip(NEXT) | instid1(VALU_DEP_3)
	v_dual_add_f32 v11, v11, v13 :: v_dual_fma_f32 v13, v178, v114, -v17
	v_dual_add_f32 v7, v7, v25 :: v_dual_fmac_f32 v35, v181, v116
	v_pk_fma_f32 v[92:93], v[142:143], v[126:127], v[92:93] neg_lo:[0,0,1] neg_hi:[0,0,1]
	v_dual_mul_f32 v31, v176, v113 :: v_dual_mul_f32 v33, v178, v115
	v_dual_mul_f32 v201, v184, v121 :: v_dual_mul_f32 v203, v138, v123
	s_delay_alu instid0(VALU_DEP_2) | instskip(SKIP_1) | instid1(VALU_DEP_3)
	v_dual_mul_f32 v21, v183, v119 :: v_dual_fmac_f32 v31, v177, v112
	v_dual_mul_f32 v23, v185, v121 :: v_dual_fmac_f32 v29, v175, v110
	v_dual_add_f32 v7, v7, v27 :: v_dual_fmac_f32 v201, v185, v120
	v_dual_mov_b32 v93, v105 :: v_dual_add_f32 v11, v11, v15
	s_delay_alu instid0(VALU_DEP_3) | instskip(SKIP_1) | instid1(VALU_DEP_3)
	v_dual_mul_f32 v25, v139, v123 :: v_dual_fma_f32 v200, v184, v120, -v23
	v_pk_mul_f32 v[94:95], v[194:195], v[94:95] op_sel_hi:[1,0]
	v_dual_fma_f32 v15, v180, v116, -v19 :: v_dual_add_f32 v11, v11, v13
	v_dual_fma_f32 v13, v182, v118, -v21 :: v_dual_add_f32 v7, v7, v29
	s_delay_alu instid0(VALU_DEP_4) | instskip(NEXT) | instid1(VALU_DEP_4)
	v_fma_f32 v202, v138, v122, -v25
	v_pk_fma_f32 v[104:105], v[144:145], v[128:129], v[94:95] op_sel_hi:[1,0,1]
	v_fmac_f32_e32 v33, v179, v114
	v_pk_fma_f32 v[94:95], v[144:145], v[128:129], v[94:95] neg_lo:[0,0,1] neg_hi:[0,0,1]
	v_add_f32_e32 v7, v7, v31
	s_delay_alu instid0(VALU_DEP_4) | instskip(SKIP_2) | instid1(VALU_DEP_4)
	v_dual_fmac_f32 v37, v183, v118 :: v_dual_mov_b32 v95, v105
	v_add_f32_e32 v11, v11, v15
	v_pk_mul_f32 v[90:91], v[192:193], v[90:91] op_sel_hi:[1,0]
	v_add_f32_e32 v7, v7, v33
	v_fmac_f32_e32 v203, v139, v122
	v_pk_mul_f32 v[96:97], v[146:147], v[130:131] op_sel:[1,1] op_sel_hi:[0,1]
	v_add_f32_e32 v98, v11, v13
	v_pk_fma_f32 v[102:103], v[140:141], v[124:125], v[90:91] op_sel_hi:[1,0,1]
	v_add_f32_e32 v7, v7, v35
	v_pk_fma_f32 v[90:91], v[140:141], v[124:125], v[90:91] neg_lo:[0,0,1] neg_hi:[0,0,1]
	v_pk_mul_f32 v[100:101], v[196:197], v[100:101] op_sel_hi:[1,0]
	s_delay_alu instid0(VALU_DEP_4) | instskip(NEXT) | instid1(VALU_DEP_4)
	v_mov_b32_e32 v91, v103
	v_add_f32_e32 v99, v7, v37
	s_wait_loadcnt 0x2
	v_pk_mul_f32 v[102:103], v[150:151], v[134:135] op_sel:[1,1] op_sel_hi:[0,1]
	s_delay_alu instid0(VALU_DEP_2) | instskip(NEXT) | instid1(VALU_DEP_1)
	v_pk_add_f32 v[98:99], v[98:99], v[200:201]
	v_pk_add_f32 v[98:99], v[98:99], v[202:203]
	s_delay_alu instid0(VALU_DEP_1) | instskip(SKIP_2) | instid1(VALU_DEP_3)
	v_pk_add_f32 v[90:91], v[98:99], v[90:91]
	v_pk_fma_f32 v[98:99], v[146:147], v[130:131], v[96:97] op_sel_hi:[1,0,1]
	v_pk_fma_f32 v[96:97], v[146:147], v[130:131], v[96:97] neg_lo:[0,0,1] neg_hi:[0,0,1]
	v_pk_add_f32 v[90:91], v[90:91], v[92:93]
	s_delay_alu instid0(VALU_DEP_3) | instskip(SKIP_2) | instid1(VALU_DEP_4)
	v_dual_mov_b32 v92, v137 :: v_dual_mov_b32 v97, v99
	v_pk_fma_f32 v[98:99], v[148:149], v[132:133], v[100:101] op_sel_hi:[1,0,1]
	v_pk_fma_f32 v[100:101], v[148:149], v[132:133], v[100:101] neg_lo:[0,0,1] neg_hi:[0,0,1]
	v_pk_add_f32 v[90:91], v[90:91], v[94:95]
	v_pk_fma_f32 v[94:95], v[150:151], v[134:135], v[102:103] op_sel_hi:[1,0,1]
	v_pk_mul_f32 v[92:93], v[198:199], v[92:93] op_sel_hi:[1,0]
	v_mov_b32_e32 v101, v99
	s_wait_loadcnt_dscnt 0x100
	v_pk_mul_f32 v[98:99], v[190:191], v[186:187] op_sel:[1,1] op_sel_hi:[0,1]
	v_pk_add_f32 v[90:91], v[90:91], v[96:97]
	v_pk_fma_f32 v[96:97], v[150:151], v[134:135], v[102:103] neg_lo:[0,0,1] neg_hi:[0,0,1]
	v_mov_b32_e32 v97, v95
	v_pk_fma_f32 v[94:95], v[152:153], v[136:137], v[92:93] op_sel_hi:[1,0,1]
	v_pk_fma_f32 v[92:93], v[152:153], v[136:137], v[92:93] neg_lo:[0,0,1] neg_hi:[0,0,1]
	v_pk_add_f32 v[90:91], v[90:91], v[100:101]
	s_delay_alu instid0(VALU_DEP_3) | instskip(SKIP_1) | instid1(VALU_DEP_3)
	v_mov_b32_e32 v93, v95
	v_pk_fma_f32 v[94:95], v[190:191], v[186:187], v[98:99] op_sel_hi:[1,0,1]
	v_pk_add_f32 v[90:91], v[90:91], v[96:97]
	v_pk_fma_f32 v[96:97], v[190:191], v[186:187], v[98:99] neg_lo:[0,0,1] neg_hi:[0,0,1]
	s_delay_alu instid0(VALU_DEP_3) | instskip(NEXT) | instid1(VALU_DEP_3)
	v_mov_b32_e32 v97, v95
	v_pk_add_f32 v[90:91], v[90:91], v[92:93]
	s_delay_alu instid0(VALU_DEP_1) | instskip(SKIP_1) | instid1(VALU_DEP_1)
	v_pk_add_f32 v[90:91], v[90:91], v[96:97]
	s_wait_loadcnt 0x0
	v_pk_add_f32 v[90:91], v[188:189], v[90:91] neg_lo:[0,1] neg_hi:[0,1]
	scratch_store_b64 off, v[90:91], off offset:144
	s_wait_xcnt 0x0
	v_cmpx_lt_u32_e32 17, v0
	s_cbranch_execz .LBB43_243
; %bb.242:
	scratch_load_b64 v[90:91], off, off offset:136
	v_mov_b64_e32 v[92:93], 0
	scratch_store_b64 off, v[92:93], off offset:136
	s_wait_loadcnt 0x0
	ds_store_b64 v1, v[90:91]
.LBB43_243:
	s_wait_xcnt 0x0
	s_or_b32 exec_lo, exec_lo, s0
	s_wait_storecnt_dscnt 0x0
	s_barrier_signal -1
	s_barrier_wait -1
	s_clause 0xd
	scratch_load_b128 v[90:93], off, off offset:144
	scratch_load_b128 v[94:97], off, off offset:160
	;; [unrolled: 1-line block ×13, first 2 shown]
	scratch_load_b64 v[194:195], off, off offset:136
	ds_load_b128 v[142:145], v5 offset:640
	ds_load_b128 v[146:149], v5 offset:656
	;; [unrolled: 1-line block ×13, first 2 shown]
	s_mov_b32 s0, exec_lo
	s_wait_dscnt 0xc
	v_dual_mov_b32 v196, v145 :: v_dual_mov_b32 v197, v144
	s_wait_dscnt 0xb
	v_dual_mov_b32 v198, v149 :: v_dual_mov_b32 v199, v148
	;; [unrolled: 2-line block ×4, first 2 shown]
	s_wait_loadcnt_dscnt 0xd08
	v_dual_mul_f32 v5, v158, v91 :: v_dual_mul_f32 v7, v160, v93
	v_dual_mul_f32 v39, v159, v91 :: v_dual_mul_f32 v41, v161, v93
	s_wait_loadcnt_dscnt 0xc07
	v_dual_mul_f32 v11, v162, v95 :: v_dual_mul_f32 v13, v164, v97
	s_delay_alu instid0(VALU_DEP_2) | instskip(SKIP_3) | instid1(VALU_DEP_3)
	v_dual_fmac_f32 v5, v159, v90 :: v_dual_fma_f32 v39, v158, v90, -v39
	v_dual_mul_f32 v43, v163, v95 :: v_dual_mul_f32 v45, v165, v97
	s_wait_loadcnt_dscnt 0xa05
	v_dual_mul_f32 v51, v171, v103 :: v_dual_fmac_f32 v7, v161, v92
	v_dual_fma_f32 v41, v160, v92, -v41 :: v_dual_add_f32 v5, 0, v5
	v_dual_add_f32 v39, 0, v39 :: v_dual_mul_f32 v53, v173, v105
	v_fmac_f32_e32 v11, v163, v94
	s_delay_alu instid0(VALU_DEP_3) | instskip(NEXT) | instid1(VALU_DEP_3)
	v_dual_fma_f32 v43, v162, v94, -v43 :: v_dual_add_f32 v5, v5, v7
	v_dual_add_f32 v7, v39, v41 :: v_dual_mul_f32 v15, v166, v99
	v_dual_mul_f32 v17, v168, v101 :: v_dual_mul_f32 v47, v167, v99
	s_wait_loadcnt_dscnt 0x903
	v_dual_mul_f32 v49, v169, v101 :: v_dual_mul_f32 v39, v179, v107
	v_fmac_f32_e32 v13, v165, v96
	v_dual_fma_f32 v41, v164, v96, -v45 :: v_dual_add_f32 v5, v5, v11
	v_dual_add_f32 v7, v7, v43 :: v_dual_mul_f32 v11, v181, v109
	v_fmac_f32_e32 v15, v167, v98
	s_delay_alu instid0(VALU_DEP_3) | instskip(NEXT) | instid1(VALU_DEP_3)
	v_dual_fma_f32 v43, v166, v98, -v47 :: v_dual_add_f32 v5, v5, v13
	v_dual_add_f32 v7, v7, v41 :: v_dual_mul_f32 v19, v170, v103
	s_wait_loadcnt_dscnt 0x802
	v_dual_mul_f32 v21, v172, v105 :: v_dual_mul_f32 v13, v183, v111
	v_fmac_f32_e32 v17, v169, v100
	v_dual_fma_f32 v41, v168, v100, -v49 :: v_dual_add_f32 v5, v5, v15
	v_dual_add_f32 v7, v7, v43 :: v_dual_mul_f32 v15, v185, v113
	v_fmac_f32_e32 v19, v171, v102
	s_delay_alu instid0(VALU_DEP_3) | instskip(NEXT) | instid1(VALU_DEP_3)
	v_dual_fma_f32 v43, v170, v102, -v51 :: v_dual_add_f32 v5, v5, v17
	v_dual_add_f32 v7, v7, v41 :: v_dual_mul_f32 v23, v178, v107
	;; [unrolled: 9-line block ×3, first 2 shown]
	s_wait_loadcnt_dscnt 0x600
	v_dual_mul_f32 v29, v184, v113 :: v_dual_mul_f32 v21, v191, v119
	v_dual_fmac_f32 v25, v181, v108 :: v_dual_fma_f32 v11, v180, v108, -v11
	v_add_f32_e32 v5, v5, v23
	v_dual_add_f32 v7, v7, v39 :: v_dual_mul_f32 v23, v193, v121
	v_dual_fmac_f32 v27, v183, v110 :: v_dual_fma_f32 v13, v182, v110, -v13
	s_delay_alu instid0(VALU_DEP_2) | instskip(SKIP_3) | instid1(VALU_DEP_3)
	v_dual_add_f32 v5, v5, v25 :: v_dual_add_f32 v7, v7, v11
	v_dual_mul_f32 v31, v186, v115 :: v_dual_mul_f32 v33, v188, v117
	s_wait_loadcnt 0x5
	v_dual_mul_f32 v11, v175, v123 :: v_dual_fmac_f32 v29, v185, v112
	v_dual_fma_f32 v15, v184, v112, -v15 :: v_dual_add_f32 v5, v5, v27
	v_dual_add_f32 v7, v7, v13 :: v_dual_fma_f32 v17, v186, v114, -v17
	v_dual_mul_f32 v13, v177, v125 :: v_dual_fmac_f32 v31, v187, v114
	s_delay_alu instid0(VALU_DEP_2) | instskip(SKIP_2) | instid1(VALU_DEP_3)
	v_dual_add_f32 v5, v5, v29 :: v_dual_add_f32 v7, v7, v15
	v_dual_mul_f32 v35, v190, v119 :: v_dual_mul_f32 v37, v192, v121
	v_dual_fmac_f32 v33, v189, v116 :: v_dual_fma_f32 v15, v188, v116, -v19
	v_dual_add_f32 v5, v5, v31 :: v_dual_add_f32 v7, v7, v17
	s_wait_loadcnt 0x4
	s_delay_alu instid0(VALU_DEP_3) | instskip(NEXT) | instid1(VALU_DEP_2)
	v_dual_mov_b32 v92, v129 :: v_dual_fmac_f32 v35, v191, v118
	v_dual_fma_f32 v17, v190, v118, -v21 :: v_dual_add_f32 v5, v5, v33
	s_delay_alu instid0(VALU_DEP_3) | instskip(SKIP_1) | instid1(VALU_DEP_3)
	v_dual_add_f32 v7, v7, v15 :: v_dual_fmac_f32 v37, v193, v120
	v_dual_mul_f32 v205, v174, v123 :: v_dual_mul_f32 v207, v176, v125
	v_dual_fma_f32 v15, v192, v120, -v23 :: v_dual_add_f32 v5, v5, v35
	s_wait_loadcnt 0x3
	s_delay_alu instid0(VALU_DEP_3) | instskip(SKIP_2) | instid1(VALU_DEP_3)
	v_dual_add_f32 v7, v7, v17 :: v_dual_mov_b32 v96, v133
	v_pk_mul_f32 v[90:91], v[142:143], v[126:127] op_sel:[1,1] op_sel_hi:[0,1]
	v_dual_fmac_f32 v205, v175, v122 :: v_dual_fma_f32 v204, v174, v122, -v11
	v_dual_add_f32 v99, v5, v37 :: v_dual_add_f32 v98, v7, v15
	v_dual_fmac_f32 v207, v177, v124 :: v_dual_fma_f32 v206, v176, v124, -v13
	s_delay_alu instid0(VALU_DEP_4) | instskip(SKIP_1) | instid1(VALU_DEP_4)
	v_pk_fma_f32 v[100:101], v[142:143], v[126:127], v[90:91] op_sel_hi:[1,0,1]
	v_pk_mul_f32 v[92:93], v[196:197], v[92:93] op_sel_hi:[1,0]
	v_pk_add_f32 v[98:99], v[98:99], v[204:205]
	v_pk_fma_f32 v[90:91], v[142:143], v[126:127], v[90:91] neg_lo:[0,0,1] neg_hi:[0,0,1]
	v_pk_mul_f32 v[94:95], v[146:147], v[130:131] op_sel:[1,1] op_sel_hi:[0,1]
	v_mov_b32_e32 v91, v101
	v_pk_fma_f32 v[100:101], v[144:145], v[128:129], v[92:93] op_sel_hi:[1,0,1]
	v_pk_add_f32 v[98:99], v[98:99], v[206:207]
	v_pk_fma_f32 v[92:93], v[144:145], v[128:129], v[92:93] neg_lo:[0,0,1] neg_hi:[0,0,1]
	v_pk_fma_f32 v[104:105], v[146:147], v[130:131], v[94:95] op_sel_hi:[1,0,1]
	v_pk_mul_f32 v[96:97], v[198:199], v[96:97] op_sel_hi:[1,0]
	v_mov_b32_e32 v93, v101
	v_pk_add_f32 v[90:91], v[98:99], v[90:91]
	s_wait_loadcnt 0x2
	v_pk_mul_f32 v[102:103], v[150:151], v[134:135] op_sel:[1,1] op_sel_hi:[0,1]
	v_mov_b32_e32 v98, v137
	v_pk_fma_f32 v[94:95], v[146:147], v[130:131], v[94:95] neg_lo:[0,0,1] neg_hi:[0,0,1]
	v_mov_b32_e32 v95, v105
	v_pk_fma_f32 v[100:101], v[148:149], v[132:133], v[96:97] op_sel_hi:[1,0,1]
	v_pk_add_f32 v[90:91], v[90:91], v[92:93]
	v_pk_fma_f32 v[92:93], v[150:151], v[134:135], v[102:103] op_sel_hi:[1,0,1]
	v_pk_mul_f32 v[98:99], v[200:201], v[98:99] op_sel_hi:[1,0]
	v_pk_fma_f32 v[96:97], v[148:149], v[132:133], v[96:97] neg_lo:[0,0,1] neg_hi:[0,0,1]
	v_mov_b32_e32 v97, v101
	v_pk_add_f32 v[90:91], v[90:91], v[94:95]
	v_pk_fma_f32 v[100:101], v[150:151], v[134:135], v[102:103] neg_lo:[0,0,1] neg_hi:[0,0,1]
	v_mov_b32_e32 v101, v93
	v_pk_fma_f32 v[92:93], v[152:153], v[136:137], v[98:99] op_sel_hi:[1,0,1]
	s_wait_loadcnt 0x1
	v_pk_mul_f32 v[94:95], v[154:155], v[138:139] op_sel:[1,1] op_sel_hi:[0,1]
	v_pk_add_f32 v[90:91], v[90:91], v[96:97]
	v_mov_b32_e32 v92, v141
	v_pk_fma_f32 v[98:99], v[152:153], v[136:137], v[98:99] neg_lo:[0,0,1] neg_hi:[0,0,1]
	v_mov_b32_e32 v99, v93
	v_pk_fma_f32 v[96:97], v[154:155], v[138:139], v[94:95] op_sel_hi:[1,0,1]
	v_pk_add_f32 v[90:91], v[90:91], v[100:101]
	v_pk_mul_f32 v[92:93], v[202:203], v[92:93] op_sel_hi:[1,0]
	v_pk_fma_f32 v[94:95], v[154:155], v[138:139], v[94:95] neg_lo:[0,0,1] neg_hi:[0,0,1]
	s_delay_alu instid0(VALU_DEP_4) | instskip(NEXT) | instid1(VALU_DEP_4)
	v_mov_b32_e32 v95, v97
	v_pk_add_f32 v[90:91], v[90:91], v[98:99]
	s_delay_alu instid0(VALU_DEP_4) | instskip(SKIP_1) | instid1(VALU_DEP_2)
	v_pk_fma_f32 v[96:97], v[156:157], v[140:141], v[92:93] op_sel_hi:[1,0,1]
	v_pk_fma_f32 v[92:93], v[156:157], v[140:141], v[92:93] neg_lo:[0,0,1] neg_hi:[0,0,1]
	v_mov_b32_e32 v93, v97
	s_delay_alu instid0(VALU_DEP_4) | instskip(NEXT) | instid1(VALU_DEP_1)
	v_pk_add_f32 v[90:91], v[90:91], v[94:95]
	v_pk_add_f32 v[90:91], v[90:91], v[92:93]
	s_wait_loadcnt 0x0
	s_delay_alu instid0(VALU_DEP_1)
	v_pk_add_f32 v[90:91], v[194:195], v[90:91] neg_lo:[0,1] neg_hi:[0,1]
	scratch_store_b64 off, v[90:91], off offset:136
	s_wait_xcnt 0x0
	v_cmpx_lt_u32_e32 16, v0
	s_cbranch_execz .LBB43_245
; %bb.244:
	scratch_load_b64 v[90:91], off, off offset:128
	v_mov_b64_e32 v[92:93], 0
	scratch_store_b64 off, v[92:93], off offset:128
	s_wait_loadcnt 0x0
	ds_store_b64 v1, v[90:91]
.LBB43_245:
	s_wait_xcnt 0x0
	s_or_b32 exec_lo, exec_lo, s0
	s_wait_storecnt_dscnt 0x0
	s_barrier_signal -1
	s_barrier_wait -1
	s_clause 0xe
	scratch_load_b128 v[90:93], off, off offset:136
	scratch_load_b128 v[94:97], off, off offset:152
	;; [unrolled: 1-line block ×13, first 2 shown]
	scratch_load_b64 v[194:195], off, off offset:344
	scratch_load_b64 v[196:197], off, off offset:128
	v_mov_b32_e32 v5, 0
	ds_load_2addr_b64 v[142:145], v5 offset0:79 offset1:80
	ds_load_2addr_b64 v[146:149], v5 offset0:81 offset1:82
	;; [unrolled: 1-line block ×13, first 2 shown]
	ds_load_b64 v[198:199], v5 offset:696
	s_mov_b32 s0, exec_lo
	s_wait_dscnt 0xc
	v_dual_mov_b32 v201, v144 :: v_dual_mov_b32 v202, v149
	s_wait_dscnt 0xb
	v_dual_mov_b32 v203, v148 :: v_dual_mov_b32 v204, v153
	s_wait_dscnt 0xa
	v_dual_mov_b32 v207, v156 :: v_dual_mov_b32 v200, v145
	v_dual_mov_b32 v205, v152 :: v_dual_mov_b32 v206, v157
	s_wait_loadcnt_dscnt 0xe09
	v_dual_mul_f32 v7, v158, v91 :: v_dual_mul_f32 v11, v160, v93
	s_wait_loadcnt_dscnt 0xd08
	v_mul_f32_e32 v13, v162, v95
	v_dual_mul_f32 v43, v159, v91 :: v_dual_mul_f32 v45, v161, v93
	s_wait_loadcnt_dscnt 0xb05
	v_dual_fmac_f32 v7, v159, v90 :: v_dual_mul_f32 v57, v177, v105
	s_delay_alu instid0(VALU_DEP_2) | instskip(NEXT) | instid1(VALU_DEP_3)
	v_dual_mul_f32 v55, v175, v103 :: v_dual_fma_f32 v43, v158, v90, -v43
	v_dual_fmac_f32 v11, v161, v92 :: v_dual_fma_f32 v45, v160, v92, -v45
	s_delay_alu instid0(VALU_DEP_3) | instskip(SKIP_3) | instid1(VALU_DEP_3)
	v_dual_add_f32 v7, 0, v7 :: v_dual_fmac_f32 v13, v163, v94
	v_dual_mul_f32 v15, v164, v97 :: v_dual_mul_f32 v17, v166, v99
	v_dual_mul_f32 v47, v163, v95 :: v_dual_mul_f32 v49, v165, v97
	v_add_f32_e32 v43, 0, v43
	v_dual_add_f32 v7, v7, v11 :: v_dual_fmac_f32 v15, v165, v96
	v_dual_mul_f32 v51, v167, v99 :: v_dual_mul_f32 v53, v169, v101
	s_delay_alu instid0(VALU_DEP_3) | instskip(NEXT) | instid1(VALU_DEP_3)
	v_dual_fma_f32 v47, v162, v94, -v47 :: v_dual_add_f32 v11, v43, v45
	v_dual_fma_f32 v45, v164, v96, -v49 :: v_dual_add_f32 v7, v7, v13
	v_dual_mul_f32 v19, v168, v101 :: v_dual_mul_f32 v21, v174, v103
	s_delay_alu instid0(VALU_DEP_3) | instskip(SKIP_1) | instid1(VALU_DEP_4)
	v_add_f32_e32 v11, v11, v47
	v_dual_fmac_f32 v17, v167, v98 :: v_dual_fma_f32 v47, v166, v98, -v51
	v_dual_add_f32 v7, v7, v15 :: v_dual_mul_f32 v23, v176, v105
	s_wait_loadcnt_dscnt 0xa04
	v_mul_f32_e32 v25, v178, v107
	s_wait_loadcnt_dscnt 0x903
	v_dual_mul_f32 v13, v183, v111 :: v_dual_fmac_f32 v19, v169, v100
	v_mul_f32_e32 v15, v185, v113
	v_dual_add_f32 v11, v11, v45 :: v_dual_fma_f32 v45, v168, v100, -v53
	v_dual_add_f32 v7, v7, v17 :: v_dual_fmac_f32 v23, v177, v104
	v_dual_mul_f32 v27, v180, v109 :: v_dual_mul_f32 v29, v182, v111
	s_delay_alu instid0(VALU_DEP_3) | instskip(SKIP_1) | instid1(VALU_DEP_3)
	v_add_f32_e32 v11, v11, v47
	v_fmac_f32_e32 v21, v175, v102
	v_dual_add_f32 v7, v7, v19 :: v_dual_fmac_f32 v27, v181, v108
	v_dual_mul_f32 v59, v179, v107 :: v_dual_mul_f32 v43, v181, v109
	s_delay_alu instid0(VALU_DEP_4) | instskip(NEXT) | instid1(VALU_DEP_3)
	v_dual_fma_f32 v47, v174, v102, -v55 :: v_dual_add_f32 v11, v11, v45
	v_dual_add_f32 v7, v7, v21 :: v_dual_fma_f32 v13, v182, v110, -v13
	s_wait_loadcnt_dscnt 0x802
	v_mul_f32_e32 v17, v187, v115
	v_dual_fmac_f32 v25, v179, v106 :: v_dual_fma_f32 v15, v184, v112, -v15
	v_dual_fma_f32 v43, v180, v108, -v43 :: v_dual_add_f32 v11, v11, v47
	v_dual_fma_f32 v47, v178, v106, -v59 :: v_dual_add_f32 v7, v7, v23
	s_delay_alu instid0(VALU_DEP_4) | instskip(SKIP_2) | instid1(VALU_DEP_3)
	v_dual_fma_f32 v17, v186, v114, -v17 :: v_dual_mul_f32 v35, v188, v117
	s_wait_loadcnt_dscnt 0x701
	v_dual_mul_f32 v37, v190, v119 :: v_dual_fma_f32 v45, v176, v104, -v57
	v_add_f32_e32 v7, v7, v25
	s_wait_loadcnt 0x6
	v_dual_mul_f32 v39, v192, v121 :: v_dual_mul_f32 v41, v170, v123
	v_dual_fmac_f32 v35, v189, v116 :: v_dual_mul_f32 v19, v189, v117
	s_delay_alu instid0(VALU_DEP_2)
	v_dual_add_f32 v7, v7, v27 :: v_dual_fmac_f32 v39, v193, v120
	v_mul_f32_e32 v27, v173, v125
	s_wait_loadcnt 0x5
	v_dual_add_f32 v11, v11, v45 :: v_dual_mov_b32 v90, v129
	v_mul_f32_e32 v23, v193, v121
	v_dual_mul_f32 v209, v172, v125 :: v_dual_mul_f32 v211, v142, v127
	s_delay_alu instid0(VALU_DEP_3) | instskip(SKIP_3) | instid1(VALU_DEP_3)
	v_add_f32_e32 v11, v11, v47
	s_wait_loadcnt 0x4
	v_pk_mul_f32 v[92:93], v[146:147], v[130:131] op_sel:[1,1] op_sel_hi:[0,1]
	v_dual_mul_f32 v31, v184, v113 :: v_dual_mul_f32 v33, v186, v115
	v_dual_fmac_f32 v209, v173, v124 :: v_dual_add_f32 v11, v11, v43
	s_delay_alu instid0(VALU_DEP_3) | instskip(SKIP_1) | instid1(VALU_DEP_4)
	v_pk_fma_f32 v[104:105], v[146:147], v[130:131], v[92:93] op_sel_hi:[1,0,1]
	v_pk_fma_f32 v[92:93], v[146:147], v[130:131], v[92:93] neg_lo:[0,0,1] neg_hi:[0,0,1]
	v_dual_mul_f32 v21, v191, v119 :: v_dual_fmac_f32 v31, v185, v112
	s_delay_alu instid0(VALU_DEP_4) | instskip(SKIP_2) | instid1(VALU_DEP_3)
	v_add_f32_e32 v11, v11, v13
	v_dual_fmac_f32 v29, v183, v110 :: v_dual_mov_b32 v94, v133
	v_dual_mov_b32 v93, v105 :: v_dual_mul_f32 v25, v171, v123
	v_dual_add_f32 v11, v11, v15 :: v_dual_fma_f32 v15, v188, v116, -v19
	s_delay_alu instid0(VALU_DEP_3) | instskip(SKIP_1) | instid1(VALU_DEP_3)
	v_add_f32_e32 v7, v7, v29
	v_dual_mul_f32 v13, v143, v127 :: v_dual_fma_f32 v208, v172, v124, -v27
	v_dual_add_f32 v11, v11, v17 :: v_dual_fma_f32 v17, v190, v118, -v21
	s_wait_loadcnt 0x3
	v_dual_fmac_f32 v33, v187, v114 :: v_dual_mov_b32 v100, v137
	v_pk_mul_f32 v[94:95], v[202:203], v[94:95] op_sel_hi:[1,0]
	s_delay_alu instid0(VALU_DEP_3) | instskip(SKIP_1) | instid1(VALU_DEP_3)
	v_dual_add_f32 v11, v11, v15 :: v_dual_fma_f32 v210, v142, v126, -v13
	v_dual_fmac_f32 v37, v191, v118 :: v_dual_fma_f32 v15, v192, v120, -v23
	v_pk_fma_f32 v[104:105], v[148:149], v[132:133], v[94:95] op_sel_hi:[1,0,1]
	s_delay_alu instid0(VALU_DEP_3) | instskip(SKIP_2) | instid1(VALU_DEP_4)
	v_dual_add_f32 v11, v11, v17 :: v_dual_fma_f32 v17, v170, v122, -v25
	v_add_f32_e32 v7, v7, v31
	v_pk_fma_f32 v[94:95], v[148:149], v[132:133], v[94:95] neg_lo:[0,0,1] neg_hi:[0,0,1]
	v_dual_mov_b32 v95, v105 :: v_dual_fmac_f32 v41, v171, v122
	s_delay_alu instid0(VALU_DEP_4) | instskip(NEXT) | instid1(VALU_DEP_4)
	v_add_f32_e32 v11, v11, v15
	v_add_f32_e32 v7, v7, v33
	v_pk_mul_f32 v[90:91], v[200:201], v[90:91] op_sel_hi:[1,0]
	v_fmac_f32_e32 v211, v143, v126
	v_pk_mul_f32 v[96:97], v[150:151], v[134:135] op_sel:[1,1] op_sel_hi:[0,1]
	v_add_f32_e32 v98, v11, v17
	v_add_f32_e32 v7, v7, v35
	v_pk_fma_f32 v[102:103], v[144:145], v[128:129], v[90:91] op_sel_hi:[1,0,1]
	v_pk_fma_f32 v[90:91], v[144:145], v[128:129], v[90:91] neg_lo:[0,0,1] neg_hi:[0,0,1]
	v_pk_mul_f32 v[100:101], v[204:205], v[100:101] op_sel_hi:[1,0]
	s_delay_alu instid0(VALU_DEP_4) | instskip(NEXT) | instid1(VALU_DEP_4)
	v_add_f32_e32 v7, v7, v37
	v_mov_b32_e32 v91, v103
	s_wait_loadcnt 0x2
	v_pk_mul_f32 v[102:103], v[154:155], v[138:139] op_sel:[1,1] op_sel_hi:[0,1]
	s_delay_alu instid0(VALU_DEP_3) | instskip(NEXT) | instid1(VALU_DEP_1)
	v_add_f32_e32 v7, v7, v39
	v_add_f32_e32 v99, v7, v41
	s_delay_alu instid0(VALU_DEP_1) | instskip(NEXT) | instid1(VALU_DEP_1)
	v_pk_add_f32 v[98:99], v[98:99], v[208:209]
	v_pk_add_f32 v[98:99], v[98:99], v[210:211]
	s_delay_alu instid0(VALU_DEP_1) | instskip(SKIP_2) | instid1(VALU_DEP_3)
	v_pk_add_f32 v[90:91], v[98:99], v[90:91]
	v_pk_fma_f32 v[98:99], v[150:151], v[134:135], v[96:97] op_sel_hi:[1,0,1]
	v_pk_fma_f32 v[96:97], v[150:151], v[134:135], v[96:97] neg_lo:[0,0,1] neg_hi:[0,0,1]
	v_pk_add_f32 v[90:91], v[90:91], v[92:93]
	s_delay_alu instid0(VALU_DEP_3) | instskip(SKIP_2) | instid1(VALU_DEP_4)
	v_dual_mov_b32 v92, v141 :: v_dual_mov_b32 v97, v99
	v_pk_fma_f32 v[98:99], v[152:153], v[136:137], v[100:101] op_sel_hi:[1,0,1]
	v_pk_fma_f32 v[100:101], v[152:153], v[136:137], v[100:101] neg_lo:[0,0,1] neg_hi:[0,0,1]
	v_pk_add_f32 v[90:91], v[90:91], v[94:95]
	v_pk_fma_f32 v[94:95], v[154:155], v[138:139], v[102:103] op_sel_hi:[1,0,1]
	v_pk_mul_f32 v[92:93], v[206:207], v[92:93] op_sel_hi:[1,0]
	v_mov_b32_e32 v101, v99
	s_wait_loadcnt_dscnt 0x100
	v_pk_mul_f32 v[98:99], v[198:199], v[194:195] op_sel:[1,1] op_sel_hi:[0,1]
	v_pk_add_f32 v[90:91], v[90:91], v[96:97]
	v_pk_fma_f32 v[96:97], v[154:155], v[138:139], v[102:103] neg_lo:[0,0,1] neg_hi:[0,0,1]
	v_mov_b32_e32 v97, v95
	v_pk_fma_f32 v[94:95], v[156:157], v[140:141], v[92:93] op_sel_hi:[1,0,1]
	v_pk_fma_f32 v[92:93], v[156:157], v[140:141], v[92:93] neg_lo:[0,0,1] neg_hi:[0,0,1]
	v_pk_add_f32 v[90:91], v[90:91], v[100:101]
	s_delay_alu instid0(VALU_DEP_3) | instskip(SKIP_1) | instid1(VALU_DEP_3)
	v_mov_b32_e32 v93, v95
	v_pk_fma_f32 v[94:95], v[198:199], v[194:195], v[98:99] op_sel_hi:[1,0,1]
	v_pk_add_f32 v[90:91], v[90:91], v[96:97]
	v_pk_fma_f32 v[96:97], v[198:199], v[194:195], v[98:99] neg_lo:[0,0,1] neg_hi:[0,0,1]
	s_delay_alu instid0(VALU_DEP_3) | instskip(NEXT) | instid1(VALU_DEP_3)
	v_mov_b32_e32 v97, v95
	v_pk_add_f32 v[90:91], v[90:91], v[92:93]
	s_delay_alu instid0(VALU_DEP_1) | instskip(SKIP_1) | instid1(VALU_DEP_1)
	v_pk_add_f32 v[90:91], v[90:91], v[96:97]
	s_wait_loadcnt 0x0
	v_pk_add_f32 v[90:91], v[196:197], v[90:91] neg_lo:[0,1] neg_hi:[0,1]
	scratch_store_b64 off, v[90:91], off offset:128
	s_wait_xcnt 0x0
	v_cmpx_lt_u32_e32 15, v0
	s_cbranch_execz .LBB43_247
; %bb.246:
	scratch_load_b64 v[90:91], off, off offset:120
	v_mov_b64_e32 v[92:93], 0
	scratch_store_b64 off, v[92:93], off offset:120
	s_wait_loadcnt 0x0
	ds_store_b64 v1, v[90:91]
.LBB43_247:
	s_wait_xcnt 0x0
	s_or_b32 exec_lo, exec_lo, s0
	s_wait_storecnt_dscnt 0x0
	s_barrier_signal -1
	s_barrier_wait -1
	s_clause 0xe
	scratch_load_b128 v[90:93], off, off offset:128
	scratch_load_b128 v[94:97], off, off offset:144
	;; [unrolled: 1-line block ×14, first 2 shown]
	scratch_load_b64 v[202:203], off, off offset:120
	ds_load_b128 v[146:149], v5 offset:640
	ds_load_b128 v[150:153], v5 offset:656
	;; [unrolled: 1-line block ×14, first 2 shown]
	s_mov_b32 s0, exec_lo
	s_wait_dscnt 0xd
	v_dual_mov_b32 v204, v149 :: v_dual_mov_b32 v205, v148
	s_wait_dscnt 0xc
	v_dual_mov_b32 v206, v153 :: v_dual_mov_b32 v207, v152
	;; [unrolled: 2-line block ×4, first 2 shown]
	s_wait_loadcnt_dscnt 0xe09
	v_dual_mul_f32 v5, v162, v91 :: v_dual_mul_f32 v7, v164, v93
	v_dual_mul_f32 v43, v163, v91 :: v_dual_mul_f32 v45, v165, v93
	s_wait_loadcnt_dscnt 0xd08
	v_dual_mul_f32 v11, v166, v95 :: v_dual_mul_f32 v13, v168, v97
	s_delay_alu instid0(VALU_DEP_2) | instskip(SKIP_3) | instid1(VALU_DEP_3)
	v_dual_fmac_f32 v5, v163, v90 :: v_dual_fma_f32 v43, v162, v90, -v43
	v_dual_mul_f32 v47, v167, v95 :: v_dual_mul_f32 v49, v169, v97
	s_wait_loadcnt_dscnt 0xb06
	v_dual_mul_f32 v55, v175, v103 :: v_dual_fmac_f32 v7, v165, v92
	v_dual_fma_f32 v45, v164, v92, -v45 :: v_dual_add_f32 v5, 0, v5
	v_dual_add_f32 v43, 0, v43 :: v_dual_mul_f32 v57, v177, v105
	v_fmac_f32_e32 v11, v167, v94
	s_delay_alu instid0(VALU_DEP_3) | instskip(NEXT) | instid1(VALU_DEP_3)
	v_dual_fma_f32 v47, v166, v94, -v47 :: v_dual_add_f32 v5, v5, v7
	v_dual_add_f32 v7, v43, v45 :: v_dual_mul_f32 v15, v170, v99
	v_dual_mul_f32 v17, v172, v101 :: v_dual_mul_f32 v51, v171, v99
	s_wait_loadcnt_dscnt 0xa05
	v_dual_mul_f32 v53, v173, v101 :: v_dual_mul_f32 v43, v179, v107
	v_fmac_f32_e32 v13, v169, v96
	v_dual_fma_f32 v45, v168, v96, -v49 :: v_dual_add_f32 v5, v5, v11
	v_dual_add_f32 v7, v7, v47 :: v_dual_mul_f32 v11, v181, v109
	v_fmac_f32_e32 v15, v171, v98
	s_delay_alu instid0(VALU_DEP_3) | instskip(NEXT) | instid1(VALU_DEP_3)
	v_dual_fma_f32 v47, v170, v98, -v51 :: v_dual_add_f32 v5, v5, v13
	v_dual_add_f32 v7, v7, v45 :: v_dual_mul_f32 v19, v174, v103
	s_wait_loadcnt_dscnt 0x904
	v_dual_mul_f32 v21, v176, v105 :: v_dual_mul_f32 v13, v183, v111
	v_fmac_f32_e32 v17, v173, v100
	v_dual_fma_f32 v45, v172, v100, -v53 :: v_dual_add_f32 v5, v5, v15
	v_dual_add_f32 v7, v7, v47 :: v_dual_mul_f32 v15, v185, v113
	v_fmac_f32_e32 v19, v175, v102
	s_delay_alu instid0(VALU_DEP_3) | instskip(NEXT) | instid1(VALU_DEP_3)
	v_dual_fma_f32 v47, v174, v102, -v55 :: v_dual_add_f32 v5, v5, v17
	v_dual_add_f32 v7, v7, v45 :: v_dual_mul_f32 v23, v178, v107
	;; [unrolled: 9-line block ×3, first 2 shown]
	s_wait_loadcnt_dscnt 0x702
	v_dual_mul_f32 v29, v184, v113 :: v_dual_mul_f32 v21, v191, v119
	v_dual_fmac_f32 v25, v181, v108 :: v_dual_fma_f32 v11, v180, v108, -v11
	v_add_f32_e32 v5, v5, v23
	v_dual_add_f32 v7, v7, v43 :: v_dual_mul_f32 v23, v193, v121
	v_dual_fmac_f32 v27, v183, v110 :: v_dual_fma_f32 v13, v182, v110, -v13
	s_delay_alu instid0(VALU_DEP_2) | instskip(SKIP_3) | instid1(VALU_DEP_3)
	v_dual_add_f32 v5, v5, v25 :: v_dual_add_f32 v7, v7, v11
	v_dual_mul_f32 v31, v186, v115 :: v_dual_mul_f32 v33, v188, v117
	s_wait_loadcnt_dscnt 0x601
	v_dual_mul_f32 v11, v195, v123 :: v_dual_fmac_f32 v29, v185, v112
	v_dual_fma_f32 v15, v184, v112, -v15 :: v_dual_add_f32 v5, v5, v27
	v_dual_add_f32 v7, v7, v13 :: v_dual_fma_f32 v17, v186, v114, -v17
	v_dual_mul_f32 v13, v197, v125 :: v_dual_fmac_f32 v31, v187, v114
	s_delay_alu instid0(VALU_DEP_2) | instskip(SKIP_3) | instid1(VALU_DEP_3)
	v_dual_add_f32 v5, v5, v29 :: v_dual_add_f32 v7, v7, v15
	v_dual_mul_f32 v35, v190, v119 :: v_dual_mul_f32 v37, v192, v121
	s_wait_loadcnt_dscnt 0x500
	v_dual_mul_f32 v15, v199, v127 :: v_dual_fmac_f32 v33, v189, v116
	v_dual_fma_f32 v19, v188, v116, -v19 :: v_dual_add_f32 v5, v5, v31
	v_dual_add_f32 v7, v7, v17 :: v_dual_fma_f32 v21, v190, v118, -v21
	v_dual_mul_f32 v17, v201, v129 :: v_dual_fmac_f32 v35, v191, v118
	s_delay_alu instid0(VALU_DEP_2) | instskip(SKIP_2) | instid1(VALU_DEP_3)
	v_dual_add_f32 v5, v5, v33 :: v_dual_add_f32 v7, v7, v19
	v_dual_mul_f32 v39, v194, v123 :: v_dual_mul_f32 v41, v196, v125
	v_dual_fmac_f32 v37, v193, v120 :: v_dual_fma_f32 v19, v192, v120, -v23
	v_dual_add_f32 v5, v5, v35 :: v_dual_add_f32 v7, v7, v21
	s_wait_loadcnt 0x4
	s_delay_alu instid0(VALU_DEP_3) | instskip(NEXT) | instid1(VALU_DEP_2)
	v_dual_mov_b32 v92, v133 :: v_dual_fmac_f32 v39, v195, v122
	v_dual_fma_f32 v11, v194, v122, -v11 :: v_dual_add_f32 v5, v5, v37
	s_delay_alu instid0(VALU_DEP_3) | instskip(SKIP_1) | instid1(VALU_DEP_3)
	v_dual_add_f32 v7, v7, v19 :: v_dual_fmac_f32 v41, v197, v124
	v_dual_mul_f32 v213, v198, v127 :: v_dual_mul_f32 v215, v200, v129
	v_dual_fma_f32 v13, v196, v124, -v13 :: v_dual_add_f32 v5, v5, v39
	s_wait_loadcnt 0x3
	s_delay_alu instid0(VALU_DEP_3) | instskip(SKIP_3) | instid1(VALU_DEP_4)
	v_dual_add_f32 v7, v7, v11 :: v_dual_mov_b32 v96, v137
	v_pk_mul_f32 v[90:91], v[146:147], v[130:131] op_sel:[1,1] op_sel_hi:[0,1]
	v_dual_fmac_f32 v213, v199, v126 :: v_dual_fma_f32 v212, v198, v126, -v15
	v_dual_add_f32 v99, v5, v41 :: v_dual_fma_f32 v214, v200, v128, -v17
	v_dual_add_f32 v98, v7, v13 :: v_dual_fmac_f32 v215, v201, v128
	s_delay_alu instid0(VALU_DEP_4) | instskip(SKIP_2) | instid1(VALU_DEP_4)
	v_pk_fma_f32 v[100:101], v[146:147], v[130:131], v[90:91] op_sel_hi:[1,0,1]
	v_pk_mul_f32 v[92:93], v[204:205], v[92:93] op_sel_hi:[1,0]
	v_pk_fma_f32 v[90:91], v[146:147], v[130:131], v[90:91] neg_lo:[0,0,1] neg_hi:[0,0,1]
	v_pk_add_f32 v[98:99], v[98:99], v[212:213]
	v_pk_mul_f32 v[94:95], v[150:151], v[134:135] op_sel:[1,1] op_sel_hi:[0,1]
	v_mov_b32_e32 v91, v101
	v_pk_fma_f32 v[100:101], v[148:149], v[132:133], v[92:93] op_sel_hi:[1,0,1]
	v_pk_fma_f32 v[92:93], v[148:149], v[132:133], v[92:93] neg_lo:[0,0,1] neg_hi:[0,0,1]
	v_pk_add_f32 v[98:99], v[98:99], v[214:215]
	v_pk_fma_f32 v[104:105], v[150:151], v[134:135], v[94:95] op_sel_hi:[1,0,1]
	v_pk_mul_f32 v[96:97], v[206:207], v[96:97] op_sel_hi:[1,0]
	v_mov_b32_e32 v93, v101
	s_wait_loadcnt 0x2
	v_pk_mul_f32 v[102:103], v[154:155], v[138:139] op_sel:[1,1] op_sel_hi:[0,1]
	v_pk_add_f32 v[90:91], v[98:99], v[90:91]
	v_mov_b32_e32 v98, v141
	v_pk_fma_f32 v[94:95], v[150:151], v[134:135], v[94:95] neg_lo:[0,0,1] neg_hi:[0,0,1]
	v_mov_b32_e32 v95, v105
	v_pk_fma_f32 v[100:101], v[152:153], v[136:137], v[96:97] op_sel_hi:[1,0,1]
	v_pk_add_f32 v[90:91], v[90:91], v[92:93]
	v_pk_fma_f32 v[92:93], v[154:155], v[138:139], v[102:103] op_sel_hi:[1,0,1]
	v_pk_mul_f32 v[98:99], v[208:209], v[98:99] op_sel_hi:[1,0]
	v_pk_fma_f32 v[96:97], v[152:153], v[136:137], v[96:97] neg_lo:[0,0,1] neg_hi:[0,0,1]
	v_mov_b32_e32 v97, v101
	v_pk_add_f32 v[90:91], v[90:91], v[94:95]
	v_pk_fma_f32 v[100:101], v[154:155], v[138:139], v[102:103] neg_lo:[0,0,1] neg_hi:[0,0,1]
	v_mov_b32_e32 v101, v93
	v_pk_fma_f32 v[92:93], v[156:157], v[140:141], v[98:99] op_sel_hi:[1,0,1]
	s_wait_loadcnt 0x1
	v_pk_mul_f32 v[94:95], v[158:159], v[142:143] op_sel:[1,1] op_sel_hi:[0,1]
	v_pk_add_f32 v[90:91], v[90:91], v[96:97]
	v_mov_b32_e32 v92, v145
	v_pk_fma_f32 v[98:99], v[156:157], v[140:141], v[98:99] neg_lo:[0,0,1] neg_hi:[0,0,1]
	v_mov_b32_e32 v99, v93
	v_pk_fma_f32 v[96:97], v[158:159], v[142:143], v[94:95] op_sel_hi:[1,0,1]
	v_pk_add_f32 v[90:91], v[90:91], v[100:101]
	v_pk_mul_f32 v[92:93], v[210:211], v[92:93] op_sel_hi:[1,0]
	v_pk_fma_f32 v[94:95], v[158:159], v[142:143], v[94:95] neg_lo:[0,0,1] neg_hi:[0,0,1]
	s_delay_alu instid0(VALU_DEP_4) | instskip(NEXT) | instid1(VALU_DEP_4)
	v_mov_b32_e32 v95, v97
	v_pk_add_f32 v[90:91], v[90:91], v[98:99]
	s_delay_alu instid0(VALU_DEP_4) | instskip(SKIP_1) | instid1(VALU_DEP_2)
	v_pk_fma_f32 v[96:97], v[160:161], v[144:145], v[92:93] op_sel_hi:[1,0,1]
	v_pk_fma_f32 v[92:93], v[160:161], v[144:145], v[92:93] neg_lo:[0,0,1] neg_hi:[0,0,1]
	v_mov_b32_e32 v93, v97
	s_delay_alu instid0(VALU_DEP_4) | instskip(NEXT) | instid1(VALU_DEP_1)
	v_pk_add_f32 v[90:91], v[90:91], v[94:95]
	v_pk_add_f32 v[90:91], v[90:91], v[92:93]
	s_wait_loadcnt 0x0
	s_delay_alu instid0(VALU_DEP_1)
	v_pk_add_f32 v[90:91], v[202:203], v[90:91] neg_lo:[0,1] neg_hi:[0,1]
	scratch_store_b64 off, v[90:91], off offset:120
	s_wait_xcnt 0x0
	v_cmpx_lt_u32_e32 14, v0
	s_cbranch_execz .LBB43_249
; %bb.248:
	scratch_load_b64 v[90:91], off, off offset:112
	v_mov_b64_e32 v[92:93], 0
	scratch_store_b64 off, v[92:93], off offset:112
	s_wait_loadcnt 0x0
	ds_store_b64 v1, v[90:91]
.LBB43_249:
	s_wait_xcnt 0x0
	s_or_b32 exec_lo, exec_lo, s0
	s_wait_storecnt_dscnt 0x0
	s_barrier_signal -1
	s_barrier_wait -1
	s_clause 0xf
	scratch_load_b128 v[90:93], off, off offset:120
	scratch_load_b128 v[94:97], off, off offset:136
	;; [unrolled: 1-line block ×14, first 2 shown]
	scratch_load_b64 v[202:203], off, off offset:344
	scratch_load_b64 v[204:205], off, off offset:112
	v_mov_b32_e32 v5, 0
	ds_load_2addr_b64 v[146:149], v5 offset0:79 offset1:80
	ds_load_2addr_b64 v[150:153], v5 offset0:81 offset1:82
	ds_load_2addr_b64 v[154:157], v5 offset0:83 offset1:84
	ds_load_2addr_b64 v[158:161], v5 offset0:85 offset1:86
	ds_load_2addr_b64 v[162:165], v5 offset0:59 offset1:60
	ds_load_2addr_b64 v[166:169], v5 offset0:61 offset1:62
	ds_load_2addr_b64 v[170:173], v5 offset0:63 offset1:64
	ds_load_2addr_b64 v[174:177], v5 offset0:65 offset1:66
	ds_load_2addr_b64 v[178:181], v5 offset0:67 offset1:68
	ds_load_2addr_b64 v[182:185], v5 offset0:69 offset1:70
	ds_load_2addr_b64 v[186:189], v5 offset0:71 offset1:72
	ds_load_2addr_b64 v[190:193], v5 offset0:73 offset1:74
	ds_load_2addr_b64 v[194:197], v5 offset0:75 offset1:76
	ds_load_2addr_b64 v[198:201], v5 offset0:77 offset1:78
	ds_load_b64 v[206:207], v5 offset:696
	s_mov_b32 s0, exec_lo
	s_wait_dscnt 0xd
	v_dual_mov_b32 v209, v148 :: v_dual_mov_b32 v210, v153
	s_wait_dscnt 0xc
	v_dual_mov_b32 v211, v152 :: v_dual_mov_b32 v212, v157
	;; [unrolled: 2-line block ×3, first 2 shown]
	v_dual_mov_b32 v213, v156 :: v_dual_mov_b32 v214, v161
	s_wait_loadcnt_dscnt 0xf0a
	v_dual_mul_f32 v7, v162, v91 :: v_dual_mul_f32 v11, v164, v93
	s_wait_loadcnt_dscnt 0xe09
	v_mul_f32_e32 v13, v166, v95
	v_dual_mul_f32 v47, v163, v91 :: v_dual_mul_f32 v49, v165, v93
	s_wait_loadcnt_dscnt 0xc07
	v_dual_fmac_f32 v7, v163, v90 :: v_dual_mul_f32 v61, v177, v105
	s_delay_alu instid0(VALU_DEP_2) | instskip(NEXT) | instid1(VALU_DEP_3)
	v_dual_mul_f32 v59, v175, v103 :: v_dual_fma_f32 v47, v162, v90, -v47
	v_dual_fmac_f32 v11, v165, v92 :: v_dual_fma_f32 v49, v164, v92, -v49
	s_delay_alu instid0(VALU_DEP_3) | instskip(SKIP_3) | instid1(VALU_DEP_3)
	v_dual_add_f32 v7, 0, v7 :: v_dual_fmac_f32 v13, v167, v94
	v_dual_mul_f32 v15, v168, v97 :: v_dual_mul_f32 v17, v170, v99
	v_dual_mul_f32 v51, v167, v95 :: v_dual_mul_f32 v53, v169, v97
	v_add_f32_e32 v47, 0, v47
	v_dual_add_f32 v7, v7, v11 :: v_dual_fmac_f32 v15, v169, v96
	v_dual_mul_f32 v55, v171, v99 :: v_dual_mul_f32 v57, v173, v101
	s_delay_alu instid0(VALU_DEP_3) | instskip(NEXT) | instid1(VALU_DEP_3)
	v_dual_fma_f32 v51, v166, v94, -v51 :: v_dual_add_f32 v11, v47, v49
	v_dual_fma_f32 v49, v168, v96, -v53 :: v_dual_add_f32 v7, v7, v13
	v_dual_mul_f32 v19, v172, v101 :: v_dual_mul_f32 v21, v174, v103
	s_delay_alu instid0(VALU_DEP_3) | instskip(SKIP_1) | instid1(VALU_DEP_4)
	v_add_f32_e32 v11, v11, v51
	v_dual_fmac_f32 v17, v171, v98 :: v_dual_fma_f32 v51, v170, v98, -v55
	v_dual_add_f32 v7, v7, v15 :: v_dual_mul_f32 v23, v176, v105
	s_wait_loadcnt_dscnt 0xb06
	v_mul_f32_e32 v25, v178, v107
	s_wait_loadcnt_dscnt 0xa05
	v_dual_mul_f32 v13, v183, v111 :: v_dual_fmac_f32 v19, v173, v100
	v_mul_f32_e32 v15, v185, v113
	v_dual_add_f32 v11, v11, v49 :: v_dual_fma_f32 v49, v172, v100, -v57
	v_dual_add_f32 v7, v7, v17 :: v_dual_fmac_f32 v23, v177, v104
	v_dual_mul_f32 v27, v180, v109 :: v_dual_mul_f32 v29, v182, v111
	s_delay_alu instid0(VALU_DEP_3) | instskip(SKIP_1) | instid1(VALU_DEP_3)
	v_add_f32_e32 v11, v11, v51
	v_fmac_f32_e32 v21, v175, v102
	v_dual_add_f32 v7, v7, v19 :: v_dual_fmac_f32 v27, v181, v108
	v_dual_mul_f32 v63, v179, v107 :: v_dual_mul_f32 v47, v181, v109
	s_delay_alu instid0(VALU_DEP_4) | instskip(NEXT) | instid1(VALU_DEP_3)
	v_dual_fma_f32 v51, v174, v102, -v59 :: v_dual_add_f32 v11, v11, v49
	v_dual_add_f32 v7, v7, v21 :: v_dual_fma_f32 v13, v182, v110, -v13
	s_wait_loadcnt_dscnt 0x904
	v_mul_f32_e32 v17, v187, v115
	v_dual_fmac_f32 v25, v179, v106 :: v_dual_fma_f32 v15, v184, v112, -v15
	v_dual_fma_f32 v47, v180, v108, -v47 :: v_dual_add_f32 v11, v11, v51
	v_dual_fma_f32 v51, v178, v106, -v63 :: v_dual_add_f32 v7, v7, v23
	s_delay_alu instid0(VALU_DEP_4) | instskip(SKIP_3) | instid1(VALU_DEP_3)
	v_dual_fma_f32 v17, v186, v114, -v17 :: v_dual_mul_f32 v19, v189, v117
	v_fma_f32 v49, v176, v104, -v61
	s_wait_loadcnt_dscnt 0x803
	v_dual_mul_f32 v35, v188, v117 :: v_dual_mul_f32 v37, v190, v119
	v_dual_add_f32 v7, v7, v25 :: v_dual_fma_f32 v19, v188, v116, -v19
	s_wait_loadcnt_dscnt 0x702
	v_dual_mul_f32 v39, v192, v121 :: v_dual_mul_f32 v41, v194, v123
	s_delay_alu instid0(VALU_DEP_2)
	v_dual_fmac_f32 v35, v189, v116 :: v_dual_add_f32 v7, v7, v27
	v_mul_f32_e32 v27, v197, v125
	v_add_f32_e32 v11, v11, v49
	v_mul_f32_e32 v23, v193, v121
	s_wait_loadcnt_dscnt 0x501
	v_dual_mul_f32 v217, v200, v129 :: v_dual_mul_f32 v219, v146, v131
	s_wait_loadcnt 0x4
	v_pk_mul_f32 v[92:93], v[150:151], v[134:135] op_sel:[1,1] op_sel_hi:[0,1]
	v_dual_add_f32 v11, v11, v51 :: v_dual_mov_b32 v94, v137
	v_dual_mul_f32 v31, v184, v113 :: v_dual_mul_f32 v33, v186, v115
	v_mul_f32_e32 v21, v191, v119
	s_delay_alu instid0(VALU_DEP_3) | instskip(SKIP_3) | instid1(VALU_DEP_4)
	v_add_f32_e32 v11, v11, v47
	v_dual_fmac_f32 v29, v183, v110 :: v_dual_mov_b32 v90, v133
	v_fmac_f32_e32 v217, v201, v128
	v_pk_fma_f32 v[104:105], v[150:151], v[134:135], v[92:93] op_sel_hi:[1,0,1]
	v_add_f32_e32 v11, v11, v13
	v_pk_mul_f32 v[94:95], v[210:211], v[94:95] op_sel_hi:[1,0]
	v_pk_fma_f32 v[92:93], v[150:151], v[134:135], v[92:93] neg_lo:[0,0,1] neg_hi:[0,0,1]
	v_dual_mul_f32 v43, v196, v125 :: v_dual_mul_f32 v45, v198, v127
	s_delay_alu instid0(VALU_DEP_4) | instskip(SKIP_3) | instid1(VALU_DEP_3)
	v_dual_add_f32 v11, v11, v15 :: v_dual_fmac_f32 v31, v185, v112
	v_dual_mul_f32 v25, v195, v123 :: v_dual_fma_f32 v21, v190, v118, -v21
	v_dual_fmac_f32 v37, v191, v118 :: v_dual_mov_b32 v93, v105
	s_wait_loadcnt 0x3
	v_dual_add_f32 v11, v11, v17 :: v_dual_mov_b32 v100, v141
	v_dual_fmac_f32 v39, v193, v120 :: v_dual_add_f32 v7, v7, v29
	v_pk_fma_f32 v[104:105], v[152:153], v[136:137], v[94:95] op_sel_hi:[1,0,1]
	s_delay_alu instid0(VALU_DEP_3) | instskip(SKIP_3) | instid1(VALU_DEP_4)
	v_add_f32_e32 v11, v11, v19
	v_pk_fma_f32 v[94:95], v[152:153], v[136:137], v[94:95] neg_lo:[0,0,1] neg_hi:[0,0,1]
	v_dual_mul_f32 v13, v199, v127 :: v_dual_fmac_f32 v43, v197, v124
	v_dual_fmac_f32 v33, v187, v114 :: v_dual_fma_f32 v19, v192, v120, -v23
	v_dual_mov_b32 v95, v105 :: v_dual_add_f32 v11, v11, v21
	v_dual_fma_f32 v21, v194, v122, -v25 :: v_dual_add_f32 v7, v7, v31
	s_delay_alu instid0(VALU_DEP_4) | instskip(NEXT) | instid1(VALU_DEP_3)
	v_dual_fma_f32 v13, v198, v126, -v13 :: v_dual_mul_f32 v15, v201, v129
	v_dual_add_f32 v11, v11, v19 :: v_dual_fma_f32 v19, v196, v124, -v27
	s_delay_alu instid0(VALU_DEP_3) | instskip(SKIP_1) | instid1(VALU_DEP_4)
	v_add_f32_e32 v7, v7, v33
	v_dual_mul_f32 v17, v147, v131 :: v_dual_fmac_f32 v219, v147, v130
	v_dual_fma_f32 v216, v200, v128, -v15 :: v_dual_fmac_f32 v41, v195, v122
	s_delay_alu instid0(VALU_DEP_2) | instskip(SKIP_3) | instid1(VALU_DEP_4)
	v_dual_add_f32 v7, v7, v35 :: v_dual_fma_f32 v218, v146, v130, -v17
	v_add_f32_e32 v11, v11, v21
	v_fmac_f32_e32 v45, v199, v126
	v_pk_mul_f32 v[90:91], v[208:209], v[90:91] op_sel_hi:[1,0]
	v_add_f32_e32 v7, v7, v37
	v_pk_mul_f32 v[96:97], v[154:155], v[138:139] op_sel:[1,1] op_sel_hi:[0,1]
	v_add_f32_e32 v11, v11, v19
	v_pk_mul_f32 v[100:101], v[212:213], v[100:101] op_sel_hi:[1,0]
	v_pk_fma_f32 v[102:103], v[148:149], v[132:133], v[90:91] op_sel_hi:[1,0,1]
	v_add_f32_e32 v7, v7, v39
	v_pk_fma_f32 v[90:91], v[148:149], v[132:133], v[90:91] neg_lo:[0,0,1] neg_hi:[0,0,1]
	v_add_f32_e32 v98, v11, v13
	s_delay_alu instid0(VALU_DEP_4) | instskip(NEXT) | instid1(VALU_DEP_4)
	v_mov_b32_e32 v91, v103
	v_add_f32_e32 v7, v7, v41
	s_wait_loadcnt 0x2
	v_pk_mul_f32 v[102:103], v[158:159], v[142:143] op_sel:[1,1] op_sel_hi:[0,1]
	s_delay_alu instid0(VALU_DEP_2) | instskip(NEXT) | instid1(VALU_DEP_1)
	v_add_f32_e32 v7, v7, v43
	v_add_f32_e32 v99, v7, v45
	s_delay_alu instid0(VALU_DEP_1) | instskip(NEXT) | instid1(VALU_DEP_1)
	v_pk_add_f32 v[98:99], v[98:99], v[216:217]
	v_pk_add_f32 v[98:99], v[98:99], v[218:219]
	s_delay_alu instid0(VALU_DEP_1) | instskip(SKIP_2) | instid1(VALU_DEP_3)
	v_pk_add_f32 v[90:91], v[98:99], v[90:91]
	v_pk_fma_f32 v[98:99], v[154:155], v[138:139], v[96:97] op_sel_hi:[1,0,1]
	v_pk_fma_f32 v[96:97], v[154:155], v[138:139], v[96:97] neg_lo:[0,0,1] neg_hi:[0,0,1]
	v_pk_add_f32 v[90:91], v[90:91], v[92:93]
	s_delay_alu instid0(VALU_DEP_3) | instskip(SKIP_2) | instid1(VALU_DEP_4)
	v_dual_mov_b32 v92, v145 :: v_dual_mov_b32 v97, v99
	v_pk_fma_f32 v[98:99], v[156:157], v[140:141], v[100:101] op_sel_hi:[1,0,1]
	v_pk_fma_f32 v[100:101], v[156:157], v[140:141], v[100:101] neg_lo:[0,0,1] neg_hi:[0,0,1]
	v_pk_add_f32 v[90:91], v[90:91], v[94:95]
	v_pk_fma_f32 v[94:95], v[158:159], v[142:143], v[102:103] op_sel_hi:[1,0,1]
	v_pk_mul_f32 v[92:93], v[214:215], v[92:93] op_sel_hi:[1,0]
	v_mov_b32_e32 v101, v99
	s_wait_loadcnt_dscnt 0x100
	v_pk_mul_f32 v[98:99], v[206:207], v[202:203] op_sel:[1,1] op_sel_hi:[0,1]
	v_pk_add_f32 v[90:91], v[90:91], v[96:97]
	v_pk_fma_f32 v[96:97], v[158:159], v[142:143], v[102:103] neg_lo:[0,0,1] neg_hi:[0,0,1]
	v_mov_b32_e32 v97, v95
	v_pk_fma_f32 v[94:95], v[160:161], v[144:145], v[92:93] op_sel_hi:[1,0,1]
	v_pk_fma_f32 v[92:93], v[160:161], v[144:145], v[92:93] neg_lo:[0,0,1] neg_hi:[0,0,1]
	v_pk_add_f32 v[90:91], v[90:91], v[100:101]
	s_delay_alu instid0(VALU_DEP_3) | instskip(SKIP_1) | instid1(VALU_DEP_3)
	v_mov_b32_e32 v93, v95
	v_pk_fma_f32 v[94:95], v[206:207], v[202:203], v[98:99] op_sel_hi:[1,0,1]
	v_pk_add_f32 v[90:91], v[90:91], v[96:97]
	v_pk_fma_f32 v[96:97], v[206:207], v[202:203], v[98:99] neg_lo:[0,0,1] neg_hi:[0,0,1]
	s_delay_alu instid0(VALU_DEP_3) | instskip(NEXT) | instid1(VALU_DEP_3)
	v_mov_b32_e32 v97, v95
	v_pk_add_f32 v[90:91], v[90:91], v[92:93]
	s_delay_alu instid0(VALU_DEP_1) | instskip(SKIP_1) | instid1(VALU_DEP_1)
	v_pk_add_f32 v[90:91], v[90:91], v[96:97]
	s_wait_loadcnt 0x0
	v_pk_add_f32 v[90:91], v[204:205], v[90:91] neg_lo:[0,1] neg_hi:[0,1]
	scratch_store_b64 off, v[90:91], off offset:112
	s_wait_xcnt 0x0
	v_cmpx_lt_u32_e32 13, v0
	s_cbranch_execz .LBB43_251
; %bb.250:
	scratch_load_b64 v[90:91], off, off offset:104
	v_mov_b64_e32 v[92:93], 0
	scratch_store_b64 off, v[92:93], off offset:104
	s_wait_loadcnt 0x0
	ds_store_b64 v1, v[90:91]
.LBB43_251:
	s_wait_xcnt 0x0
	s_or_b32 exec_lo, exec_lo, s0
	s_wait_storecnt_dscnt 0x0
	s_barrier_signal -1
	s_barrier_wait -1
	s_clause 0xf
	scratch_load_b128 v[90:93], off, off offset:112
	scratch_load_b128 v[94:97], off, off offset:128
	scratch_load_b128 v[98:101], off, off offset:144
	scratch_load_b128 v[102:105], off, off offset:160
	scratch_load_b128 v[106:109], off, off offset:176
	scratch_load_b128 v[110:113], off, off offset:192
	scratch_load_b128 v[114:117], off, off offset:208
	scratch_load_b128 v[118:121], off, off offset:224
	scratch_load_b128 v[122:125], off, off offset:240
	scratch_load_b128 v[126:129], off, off offset:256
	scratch_load_b128 v[130:133], off, off offset:272
	scratch_load_b128 v[134:137], off, off offset:288
	scratch_load_b128 v[138:141], off, off offset:304
	scratch_load_b128 v[142:145], off, off offset:320
	scratch_load_b128 v[146:149], off, off offset:336
	scratch_load_b64 v[210:211], off, off offset:104
	ds_load_b128 v[150:153], v5 offset:640
	ds_load_b128 v[154:157], v5 offset:656
	;; [unrolled: 1-line block ×15, first 2 shown]
	s_mov_b32 s0, exec_lo
	s_wait_dscnt 0xe
	v_dual_mov_b32 v212, v153 :: v_dual_mov_b32 v213, v152
	s_wait_dscnt 0xd
	v_dual_mov_b32 v214, v157 :: v_dual_mov_b32 v215, v156
	;; [unrolled: 2-line block ×4, first 2 shown]
	s_wait_loadcnt_dscnt 0xf0a
	v_dual_mul_f32 v5, v166, v91 :: v_dual_mul_f32 v7, v168, v93
	v_dual_mul_f32 v47, v167, v91 :: v_dual_mul_f32 v49, v169, v93
	s_wait_loadcnt_dscnt 0xe09
	v_dual_mul_f32 v11, v170, v95 :: v_dual_mul_f32 v13, v172, v97
	s_delay_alu instid0(VALU_DEP_2) | instskip(SKIP_3) | instid1(VALU_DEP_3)
	v_dual_fmac_f32 v5, v167, v90 :: v_dual_fma_f32 v47, v166, v90, -v47
	v_dual_mul_f32 v51, v171, v95 :: v_dual_mul_f32 v53, v173, v97
	s_wait_loadcnt_dscnt 0xc06
	v_dual_mul_f32 v59, v183, v103 :: v_dual_fmac_f32 v7, v169, v92
	v_dual_fma_f32 v49, v168, v92, -v49 :: v_dual_add_f32 v5, 0, v5
	v_dual_add_f32 v47, 0, v47 :: v_dual_mul_f32 v61, v185, v105
	v_fmac_f32_e32 v11, v171, v94
	s_delay_alu instid0(VALU_DEP_3) | instskip(NEXT) | instid1(VALU_DEP_3)
	v_dual_fma_f32 v51, v170, v94, -v51 :: v_dual_add_f32 v5, v5, v7
	v_dual_add_f32 v7, v47, v49 :: v_dual_mul_f32 v15, v178, v99
	v_dual_mul_f32 v17, v180, v101 :: v_dual_mul_f32 v55, v179, v99
	s_wait_loadcnt_dscnt 0xb05
	v_dual_mul_f32 v57, v181, v101 :: v_dual_mul_f32 v47, v187, v107
	v_fmac_f32_e32 v13, v173, v96
	v_dual_fma_f32 v49, v172, v96, -v53 :: v_dual_add_f32 v5, v5, v11
	v_dual_add_f32 v7, v7, v51 :: v_dual_mul_f32 v11, v189, v109
	v_fmac_f32_e32 v15, v179, v98
	s_delay_alu instid0(VALU_DEP_3) | instskip(NEXT) | instid1(VALU_DEP_3)
	v_dual_fma_f32 v51, v178, v98, -v55 :: v_dual_add_f32 v5, v5, v13
	v_dual_add_f32 v7, v7, v49 :: v_dual_mul_f32 v19, v182, v103
	s_wait_loadcnt_dscnt 0xa04
	v_dual_mul_f32 v21, v184, v105 :: v_dual_mul_f32 v13, v191, v111
	v_fmac_f32_e32 v17, v181, v100
	v_dual_fma_f32 v49, v180, v100, -v57 :: v_dual_add_f32 v5, v5, v15
	v_dual_add_f32 v7, v7, v51 :: v_dual_mul_f32 v15, v193, v113
	v_fmac_f32_e32 v19, v183, v102
	s_delay_alu instid0(VALU_DEP_3) | instskip(NEXT) | instid1(VALU_DEP_3)
	v_dual_fma_f32 v51, v182, v102, -v59 :: v_dual_add_f32 v5, v5, v17
	v_dual_add_f32 v7, v7, v49 :: v_dual_mul_f32 v23, v186, v107
	;; [unrolled: 9-line block ×3, first 2 shown]
	s_wait_loadcnt_dscnt 0x802
	v_dual_mul_f32 v29, v192, v113 :: v_dual_mul_f32 v21, v199, v119
	v_dual_fmac_f32 v25, v189, v108 :: v_dual_fma_f32 v11, v188, v108, -v11
	v_add_f32_e32 v5, v5, v23
	v_dual_add_f32 v7, v7, v47 :: v_dual_mul_f32 v23, v201, v121
	v_dual_fmac_f32 v27, v191, v110 :: v_dual_fma_f32 v13, v190, v110, -v13
	s_delay_alu instid0(VALU_DEP_2) | instskip(SKIP_3) | instid1(VALU_DEP_3)
	v_dual_add_f32 v5, v5, v25 :: v_dual_add_f32 v7, v7, v11
	v_dual_mul_f32 v31, v194, v115 :: v_dual_mul_f32 v33, v196, v117
	s_wait_loadcnt_dscnt 0x701
	v_dual_mul_f32 v11, v203, v123 :: v_dual_fmac_f32 v29, v193, v112
	v_dual_fma_f32 v15, v192, v112, -v15 :: v_dual_add_f32 v5, v5, v27
	v_dual_add_f32 v7, v7, v13 :: v_dual_fma_f32 v17, v194, v114, -v17
	v_dual_mul_f32 v13, v205, v125 :: v_dual_fmac_f32 v31, v195, v114
	s_delay_alu instid0(VALU_DEP_2) | instskip(SKIP_3) | instid1(VALU_DEP_3)
	v_dual_add_f32 v5, v5, v29 :: v_dual_add_f32 v7, v7, v15
	v_dual_mul_f32 v35, v198, v119 :: v_dual_mul_f32 v37, v200, v121
	s_wait_loadcnt_dscnt 0x600
	v_dual_mul_f32 v15, v207, v127 :: v_dual_fmac_f32 v33, v197, v116
	v_dual_fma_f32 v19, v196, v116, -v19 :: v_dual_add_f32 v5, v5, v31
	v_dual_add_f32 v7, v7, v17 :: v_dual_fma_f32 v21, v198, v118, -v21
	v_dual_mul_f32 v17, v209, v129 :: v_dual_fmac_f32 v35, v199, v118
	s_delay_alu instid0(VALU_DEP_2) | instskip(SKIP_3) | instid1(VALU_DEP_3)
	v_dual_add_f32 v5, v5, v33 :: v_dual_add_f32 v7, v7, v19
	v_dual_mul_f32 v39, v202, v123 :: v_dual_mul_f32 v41, v204, v125
	s_wait_loadcnt 0x5
	v_dual_mul_f32 v19, v175, v131 :: v_dual_fmac_f32 v37, v201, v120
	v_dual_fma_f32 v23, v200, v120, -v23 :: v_dual_add_f32 v5, v5, v35
	v_dual_add_f32 v7, v7, v21 :: v_dual_fma_f32 v11, v202, v122, -v11
	v_dual_mul_f32 v21, v177, v133 :: v_dual_fmac_f32 v39, v203, v122
	s_delay_alu instid0(VALU_DEP_2) | instskip(SKIP_2) | instid1(VALU_DEP_3)
	v_dual_add_f32 v5, v5, v37 :: v_dual_add_f32 v7, v7, v23
	v_dual_mul_f32 v43, v206, v127 :: v_dual_mul_f32 v45, v208, v129
	v_fmac_f32_e32 v41, v205, v124
	v_dual_fma_f32 v13, v204, v124, -v13 :: v_dual_add_f32 v5, v5, v39
	s_wait_loadcnt 0x4
	v_dual_add_f32 v7, v7, v11 :: v_dual_mov_b32 v92, v137
	v_fmac_f32_e32 v43, v207, v126
	s_delay_alu instid0(VALU_DEP_3) | instskip(NEXT) | instid1(VALU_DEP_3)
	v_dual_fma_f32 v11, v206, v126, -v15 :: v_dual_add_f32 v5, v5, v41
	v_dual_add_f32 v7, v7, v13 :: v_dual_fmac_f32 v45, v209, v128
	v_dual_mul_f32 v221, v174, v131 :: v_dual_mul_f32 v223, v176, v133
	s_delay_alu instid0(VALU_DEP_3) | instskip(SKIP_1) | instid1(VALU_DEP_3)
	v_dual_fma_f32 v13, v208, v128, -v17 :: v_dual_add_f32 v5, v5, v43
	s_wait_loadcnt 0x3
	v_dual_add_f32 v7, v7, v11 :: v_dual_mov_b32 v96, v141
	v_pk_mul_f32 v[90:91], v[150:151], v[134:135] op_sel:[1,1] op_sel_hi:[0,1]
	v_dual_fmac_f32 v221, v175, v130 :: v_dual_fma_f32 v220, v174, v130, -v19
	v_dual_add_f32 v99, v5, v45 :: v_dual_fma_f32 v222, v176, v132, -v21
	s_delay_alu instid0(VALU_DEP_4) | instskip(NEXT) | instid1(VALU_DEP_4)
	v_dual_add_f32 v98, v7, v13 :: v_dual_fmac_f32 v223, v177, v132
	v_pk_fma_f32 v[100:101], v[150:151], v[134:135], v[90:91] op_sel_hi:[1,0,1]
	v_pk_mul_f32 v[92:93], v[212:213], v[92:93] op_sel_hi:[1,0]
	v_pk_fma_f32 v[90:91], v[150:151], v[134:135], v[90:91] neg_lo:[0,0,1] neg_hi:[0,0,1]
	s_delay_alu instid0(VALU_DEP_4)
	v_pk_add_f32 v[98:99], v[98:99], v[220:221]
	v_pk_mul_f32 v[94:95], v[154:155], v[138:139] op_sel:[1,1] op_sel_hi:[0,1]
	v_mov_b32_e32 v91, v101
	v_pk_fma_f32 v[100:101], v[152:153], v[136:137], v[92:93] op_sel_hi:[1,0,1]
	v_pk_fma_f32 v[92:93], v[152:153], v[136:137], v[92:93] neg_lo:[0,0,1] neg_hi:[0,0,1]
	v_pk_add_f32 v[98:99], v[98:99], v[222:223]
	v_pk_fma_f32 v[104:105], v[154:155], v[138:139], v[94:95] op_sel_hi:[1,0,1]
	v_pk_mul_f32 v[96:97], v[214:215], v[96:97] op_sel_hi:[1,0]
	v_mov_b32_e32 v93, v101
	s_wait_loadcnt 0x2
	v_pk_mul_f32 v[102:103], v[158:159], v[142:143] op_sel:[1,1] op_sel_hi:[0,1]
	v_pk_add_f32 v[90:91], v[98:99], v[90:91]
	v_mov_b32_e32 v98, v145
	v_pk_fma_f32 v[94:95], v[154:155], v[138:139], v[94:95] neg_lo:[0,0,1] neg_hi:[0,0,1]
	v_mov_b32_e32 v95, v105
	v_pk_fma_f32 v[100:101], v[156:157], v[140:141], v[96:97] op_sel_hi:[1,0,1]
	v_pk_add_f32 v[90:91], v[90:91], v[92:93]
	v_pk_fma_f32 v[92:93], v[158:159], v[142:143], v[102:103] op_sel_hi:[1,0,1]
	v_pk_mul_f32 v[98:99], v[216:217], v[98:99] op_sel_hi:[1,0]
	v_pk_fma_f32 v[96:97], v[156:157], v[140:141], v[96:97] neg_lo:[0,0,1] neg_hi:[0,0,1]
	v_mov_b32_e32 v97, v101
	v_pk_add_f32 v[90:91], v[90:91], v[94:95]
	v_pk_fma_f32 v[100:101], v[158:159], v[142:143], v[102:103] neg_lo:[0,0,1] neg_hi:[0,0,1]
	v_mov_b32_e32 v101, v93
	v_pk_fma_f32 v[92:93], v[160:161], v[144:145], v[98:99] op_sel_hi:[1,0,1]
	s_wait_loadcnt 0x1
	v_pk_mul_f32 v[94:95], v[162:163], v[146:147] op_sel:[1,1] op_sel_hi:[0,1]
	v_pk_add_f32 v[90:91], v[90:91], v[96:97]
	v_mov_b32_e32 v92, v149
	v_pk_fma_f32 v[98:99], v[160:161], v[144:145], v[98:99] neg_lo:[0,0,1] neg_hi:[0,0,1]
	v_mov_b32_e32 v99, v93
	v_pk_fma_f32 v[96:97], v[162:163], v[146:147], v[94:95] op_sel_hi:[1,0,1]
	v_pk_add_f32 v[90:91], v[90:91], v[100:101]
	v_pk_mul_f32 v[92:93], v[218:219], v[92:93] op_sel_hi:[1,0]
	v_pk_fma_f32 v[94:95], v[162:163], v[146:147], v[94:95] neg_lo:[0,0,1] neg_hi:[0,0,1]
	s_delay_alu instid0(VALU_DEP_4) | instskip(NEXT) | instid1(VALU_DEP_4)
	v_mov_b32_e32 v95, v97
	v_pk_add_f32 v[90:91], v[90:91], v[98:99]
	s_delay_alu instid0(VALU_DEP_4) | instskip(SKIP_1) | instid1(VALU_DEP_2)
	v_pk_fma_f32 v[96:97], v[164:165], v[148:149], v[92:93] op_sel_hi:[1,0,1]
	v_pk_fma_f32 v[92:93], v[164:165], v[148:149], v[92:93] neg_lo:[0,0,1] neg_hi:[0,0,1]
	v_mov_b32_e32 v93, v97
	s_delay_alu instid0(VALU_DEP_4) | instskip(NEXT) | instid1(VALU_DEP_1)
	v_pk_add_f32 v[90:91], v[90:91], v[94:95]
	v_pk_add_f32 v[90:91], v[90:91], v[92:93]
	s_wait_loadcnt 0x0
	s_delay_alu instid0(VALU_DEP_1)
	v_pk_add_f32 v[90:91], v[210:211], v[90:91] neg_lo:[0,1] neg_hi:[0,1]
	scratch_store_b64 off, v[90:91], off offset:104
	s_wait_xcnt 0x0
	v_cmpx_lt_u32_e32 12, v0
	s_cbranch_execz .LBB43_253
; %bb.252:
	scratch_load_b64 v[90:91], off, off offset:96
	v_mov_b64_e32 v[92:93], 0
	scratch_store_b64 off, v[92:93], off offset:96
	s_wait_loadcnt 0x0
	ds_store_b64 v1, v[90:91]
.LBB43_253:
	s_wait_xcnt 0x0
	s_or_b32 exec_lo, exec_lo, s0
	s_wait_storecnt_dscnt 0x0
	s_barrier_signal -1
	s_barrier_wait -1
	s_clause 0x10
	scratch_load_b128 v[90:93], off, off offset:104
	scratch_load_b128 v[94:97], off, off offset:120
	;; [unrolled: 1-line block ×15, first 2 shown]
	scratch_load_b64 v[210:211], off, off offset:344
	scratch_load_b64 v[212:213], off, off offset:96
	v_mov_b32_e32 v5, 0
	ds_load_2addr_b64 v[150:153], v5 offset0:79 offset1:80
	ds_load_2addr_b64 v[154:157], v5 offset0:81 offset1:82
	;; [unrolled: 1-line block ×15, first 2 shown]
	ds_load_b64 v[214:215], v5 offset:696
	s_mov_b32 s0, exec_lo
	s_wait_dscnt 0xe
	v_dual_mov_b32 v217, v152 :: v_dual_mov_b32 v218, v157
	s_wait_dscnt 0xd
	v_dual_mov_b32 v219, v156 :: v_dual_mov_b32 v220, v161
	;; [unrolled: 2-line block ×3, first 2 shown]
	v_dual_mov_b32 v221, v160 :: v_dual_mov_b32 v222, v165
	s_wait_loadcnt_dscnt 0x100b
	v_dual_mul_f32 v7, v166, v91 :: v_dual_mul_f32 v11, v168, v93
	s_wait_loadcnt_dscnt 0xf09
	v_mul_f32_e32 v13, v174, v95
	v_dual_mul_f32 v51, v167, v91 :: v_dual_mul_f32 v53, v169, v93
	s_wait_loadcnt_dscnt 0xd07
	v_dual_fmac_f32 v7, v167, v90 :: v_dual_mul_f32 v65, v185, v105
	s_delay_alu instid0(VALU_DEP_2) | instskip(NEXT) | instid1(VALU_DEP_3)
	v_dual_mul_f32 v63, v183, v103 :: v_dual_fma_f32 v51, v166, v90, -v51
	v_dual_fmac_f32 v11, v169, v92 :: v_dual_fma_f32 v53, v168, v92, -v53
	s_delay_alu instid0(VALU_DEP_3) | instskip(SKIP_3) | instid1(VALU_DEP_3)
	v_dual_add_f32 v7, 0, v7 :: v_dual_fmac_f32 v13, v175, v94
	v_dual_mul_f32 v15, v176, v97 :: v_dual_mul_f32 v17, v178, v99
	v_dual_mul_f32 v55, v175, v95 :: v_dual_mul_f32 v57, v177, v97
	v_add_f32_e32 v51, 0, v51
	v_dual_add_f32 v7, v7, v11 :: v_dual_fmac_f32 v15, v177, v96
	v_dual_mul_f32 v59, v179, v99 :: v_dual_mul_f32 v61, v181, v101
	s_delay_alu instid0(VALU_DEP_3) | instskip(NEXT) | instid1(VALU_DEP_3)
	v_dual_fma_f32 v55, v174, v94, -v55 :: v_dual_add_f32 v11, v51, v53
	v_dual_fma_f32 v53, v176, v96, -v57 :: v_dual_add_f32 v7, v7, v13
	v_dual_mul_f32 v19, v180, v101 :: v_dual_mul_f32 v21, v182, v103
	s_delay_alu instid0(VALU_DEP_3) | instskip(SKIP_1) | instid1(VALU_DEP_4)
	v_add_f32_e32 v11, v11, v55
	v_dual_fmac_f32 v17, v179, v98 :: v_dual_fma_f32 v55, v178, v98, -v59
	v_dual_add_f32 v7, v7, v15 :: v_dual_mul_f32 v23, v184, v105
	s_wait_loadcnt_dscnt 0xc06
	v_mul_f32_e32 v25, v186, v107
	s_wait_loadcnt_dscnt 0xb05
	v_dual_mul_f32 v13, v191, v111 :: v_dual_fmac_f32 v19, v181, v100
	v_mul_f32_e32 v15, v193, v113
	v_dual_add_f32 v11, v11, v53 :: v_dual_fma_f32 v53, v180, v100, -v61
	v_dual_add_f32 v7, v7, v17 :: v_dual_fmac_f32 v23, v185, v104
	v_dual_mul_f32 v27, v188, v109 :: v_dual_mul_f32 v29, v190, v111
	s_delay_alu instid0(VALU_DEP_3) | instskip(SKIP_1) | instid1(VALU_DEP_3)
	v_add_f32_e32 v11, v11, v55
	v_fmac_f32_e32 v21, v183, v102
	v_dual_add_f32 v7, v7, v19 :: v_dual_fmac_f32 v27, v189, v108
	v_dual_mul_f32 v67, v187, v107 :: v_dual_mul_f32 v51, v189, v109
	s_delay_alu instid0(VALU_DEP_4) | instskip(NEXT) | instid1(VALU_DEP_3)
	v_dual_fma_f32 v55, v182, v102, -v63 :: v_dual_add_f32 v11, v11, v53
	v_dual_add_f32 v7, v7, v21 :: v_dual_fma_f32 v13, v190, v110, -v13
	s_wait_loadcnt_dscnt 0xa04
	v_mul_f32_e32 v17, v195, v115
	v_dual_fmac_f32 v25, v187, v106 :: v_dual_fma_f32 v15, v192, v112, -v15
	v_dual_fma_f32 v51, v188, v108, -v51 :: v_dual_add_f32 v11, v11, v55
	v_dual_fma_f32 v55, v186, v106, -v67 :: v_dual_add_f32 v7, v7, v23
	s_delay_alu instid0(VALU_DEP_4) | instskip(SKIP_3) | instid1(VALU_DEP_3)
	v_dual_fma_f32 v17, v194, v114, -v17 :: v_dual_mul_f32 v19, v197, v117
	v_fma_f32 v53, v184, v104, -v65
	s_wait_loadcnt_dscnt 0x903
	v_dual_mul_f32 v35, v196, v117 :: v_dual_mul_f32 v37, v198, v119
	v_dual_add_f32 v7, v7, v25 :: v_dual_fma_f32 v19, v196, v116, -v19
	s_wait_loadcnt_dscnt 0x802
	v_dual_mul_f32 v39, v200, v121 :: v_dual_mul_f32 v41, v202, v123
	s_delay_alu instid0(VALU_DEP_2)
	v_dual_fmac_f32 v35, v197, v116 :: v_dual_add_f32 v7, v7, v27
	v_mul_f32_e32 v27, v205, v125
	v_add_f32_e32 v11, v11, v53
	v_mul_f32_e32 v23, v201, v121
	s_wait_loadcnt 0x5
	v_dual_mov_b32 v90, v137 :: v_dual_mul_f32 v31, v192, v113
	v_mul_f32_e32 v33, v194, v115
	s_delay_alu instid0(VALU_DEP_3) | instskip(NEXT) | instid1(VALU_DEP_3)
	v_dual_add_f32 v11, v11, v55 :: v_dual_fma_f32 v23, v200, v120, -v23
	v_dual_mul_f32 v21, v199, v119 :: v_dual_fmac_f32 v31, v193, v112
	s_wait_loadcnt 0x4
	s_delay_alu instid0(VALU_DEP_2) | instskip(SKIP_1) | instid1(VALU_DEP_3)
	v_dual_mov_b32 v94, v141 :: v_dual_add_f32 v11, v11, v51
	v_dual_mul_f32 v225, v172, v133 :: v_dual_mul_f32 v227, v150, v135
	v_dual_mul_f32 v25, v203, v123 :: v_dual_fma_f32 v21, v198, v118, -v21
	s_delay_alu instid0(VALU_DEP_3) | instskip(SKIP_3) | instid1(VALU_DEP_3)
	v_add_f32_e32 v11, v11, v13
	v_dual_fmac_f32 v29, v191, v110 :: v_dual_mul_f32 v43, v204, v125
	s_wait_dscnt 0x1
	v_dual_mul_f32 v45, v206, v127 :: v_dual_fmac_f32 v39, v201, v120
	v_dual_add_f32 v11, v11, v15 :: v_dual_mul_f32 v15, v209, v129
	v_dual_fmac_f32 v225, v173, v132 :: v_dual_mul_f32 v13, v207, v127
	s_delay_alu instid0(VALU_DEP_2) | instskip(NEXT) | instid1(VALU_DEP_3)
	v_dual_fmac_f32 v43, v205, v124 :: v_dual_add_f32 v11, v11, v17
	v_dual_fma_f32 v15, v208, v128, -v15 :: v_dual_fmac_f32 v33, v195, v114
	v_fma_f32 v25, v202, v122, -v25
	v_fmac_f32_e32 v227, v151, v134
	s_delay_alu instid0(VALU_DEP_4) | instskip(SKIP_2) | instid1(VALU_DEP_3)
	v_dual_add_f32 v11, v11, v19 :: v_dual_mul_f32 v19, v173, v133
	v_add_f32_e32 v7, v7, v29
	v_dual_mul_f32 v47, v208, v129 :: v_dual_mul_f32 v49, v170, v131
	v_add_f32_e32 v11, v11, v21
	v_mul_f32_e32 v21, v151, v135
	s_delay_alu instid0(VALU_DEP_4) | instskip(NEXT) | instid1(VALU_DEP_4)
	v_dual_add_f32 v7, v7, v31 :: v_dual_fma_f32 v13, v206, v126, -v13
	v_dual_mul_f32 v17, v171, v131 :: v_dual_fmac_f32 v49, v171, v130
	s_delay_alu instid0(VALU_DEP_3) | instskip(NEXT) | instid1(VALU_DEP_3)
	v_dual_fma_f32 v226, v150, v134, -v21 :: v_dual_add_f32 v11, v11, v23
	v_dual_fma_f32 v23, v204, v124, -v27 :: v_dual_add_f32 v7, v7, v33
	v_dual_fmac_f32 v47, v209, v128 :: v_dual_fmac_f32 v37, v199, v118
	s_delay_alu instid0(VALU_DEP_3) | instskip(NEXT) | instid1(VALU_DEP_3)
	v_dual_fma_f32 v224, v172, v132, -v19 :: v_dual_add_f32 v11, v11, v25
	v_add_f32_e32 v7, v7, v35
	v_pk_mul_f32 v[92:93], v[154:155], v[138:139] op_sel:[1,1] op_sel_hi:[0,1]
	v_pk_mul_f32 v[94:95], v[218:219], v[94:95] op_sel_hi:[1,0]
	s_wait_loadcnt 0x3
	v_dual_mov_b32 v100, v145 :: v_dual_add_f32 v11, v11, v23
	v_fmac_f32_e32 v45, v207, v126
	v_pk_fma_f32 v[104:105], v[154:155], v[138:139], v[92:93] op_sel_hi:[1,0,1]
	v_pk_fma_f32 v[92:93], v[154:155], v[138:139], v[92:93] neg_lo:[0,0,1] neg_hi:[0,0,1]
	v_fmac_f32_e32 v41, v203, v122
	v_dual_add_f32 v11, v11, v13 :: v_dual_fma_f32 v13, v170, v130, -v17
	s_delay_alu instid0(VALU_DEP_4) | instskip(SKIP_2) | instid1(VALU_DEP_4)
	v_dual_add_f32 v7, v7, v37 :: v_dual_mov_b32 v93, v105
	v_pk_fma_f32 v[104:105], v[156:157], v[140:141], v[94:95] op_sel_hi:[1,0,1]
	v_pk_fma_f32 v[94:95], v[156:157], v[140:141], v[94:95] neg_lo:[0,0,1] neg_hi:[0,0,1]
	v_add_f32_e32 v11, v11, v15
	s_delay_alu instid0(VALU_DEP_4)
	v_add_f32_e32 v7, v7, v39
	v_pk_mul_f32 v[90:91], v[216:217], v[90:91] op_sel_hi:[1,0]
	v_mov_b32_e32 v95, v105
	v_pk_mul_f32 v[96:97], v[158:159], v[142:143] op_sel:[1,1] op_sel_hi:[0,1]
	v_add_f32_e32 v98, v11, v13
	v_add_f32_e32 v7, v7, v41
	v_pk_fma_f32 v[102:103], v[152:153], v[136:137], v[90:91] op_sel_hi:[1,0,1]
	v_pk_fma_f32 v[90:91], v[152:153], v[136:137], v[90:91] neg_lo:[0,0,1] neg_hi:[0,0,1]
	v_pk_mul_f32 v[100:101], v[220:221], v[100:101] op_sel_hi:[1,0]
	s_delay_alu instid0(VALU_DEP_4) | instskip(NEXT) | instid1(VALU_DEP_4)
	v_add_f32_e32 v7, v7, v43
	v_mov_b32_e32 v91, v103
	s_wait_loadcnt 0x2
	v_pk_mul_f32 v[102:103], v[162:163], v[146:147] op_sel:[1,1] op_sel_hi:[0,1]
	s_delay_alu instid0(VALU_DEP_3) | instskip(NEXT) | instid1(VALU_DEP_1)
	v_add_f32_e32 v7, v7, v45
	v_add_f32_e32 v7, v7, v47
	s_delay_alu instid0(VALU_DEP_1) | instskip(NEXT) | instid1(VALU_DEP_1)
	v_add_f32_e32 v99, v7, v49
	v_pk_add_f32 v[98:99], v[98:99], v[224:225]
	s_delay_alu instid0(VALU_DEP_1) | instskip(NEXT) | instid1(VALU_DEP_1)
	v_pk_add_f32 v[98:99], v[98:99], v[226:227]
	v_pk_add_f32 v[90:91], v[98:99], v[90:91]
	v_pk_fma_f32 v[98:99], v[158:159], v[142:143], v[96:97] op_sel_hi:[1,0,1]
	v_pk_fma_f32 v[96:97], v[158:159], v[142:143], v[96:97] neg_lo:[0,0,1] neg_hi:[0,0,1]
	s_delay_alu instid0(VALU_DEP_3) | instskip(NEXT) | instid1(VALU_DEP_3)
	v_pk_add_f32 v[90:91], v[90:91], v[92:93]
	v_dual_mov_b32 v92, v149 :: v_dual_mov_b32 v97, v99
	v_pk_fma_f32 v[98:99], v[160:161], v[144:145], v[100:101] op_sel_hi:[1,0,1]
	v_pk_fma_f32 v[100:101], v[160:161], v[144:145], v[100:101] neg_lo:[0,0,1] neg_hi:[0,0,1]
	s_delay_alu instid0(VALU_DEP_4)
	v_pk_add_f32 v[90:91], v[90:91], v[94:95]
	v_pk_fma_f32 v[94:95], v[162:163], v[146:147], v[102:103] op_sel_hi:[1,0,1]
	v_pk_mul_f32 v[92:93], v[222:223], v[92:93] op_sel_hi:[1,0]
	v_mov_b32_e32 v101, v99
	s_wait_loadcnt_dscnt 0x100
	v_pk_mul_f32 v[98:99], v[214:215], v[210:211] op_sel:[1,1] op_sel_hi:[0,1]
	v_pk_add_f32 v[90:91], v[90:91], v[96:97]
	v_pk_fma_f32 v[96:97], v[162:163], v[146:147], v[102:103] neg_lo:[0,0,1] neg_hi:[0,0,1]
	v_mov_b32_e32 v97, v95
	v_pk_fma_f32 v[94:95], v[164:165], v[148:149], v[92:93] op_sel_hi:[1,0,1]
	v_pk_fma_f32 v[92:93], v[164:165], v[148:149], v[92:93] neg_lo:[0,0,1] neg_hi:[0,0,1]
	v_pk_add_f32 v[90:91], v[90:91], v[100:101]
	s_delay_alu instid0(VALU_DEP_3) | instskip(SKIP_1) | instid1(VALU_DEP_3)
	v_mov_b32_e32 v93, v95
	v_pk_fma_f32 v[94:95], v[214:215], v[210:211], v[98:99] op_sel_hi:[1,0,1]
	v_pk_add_f32 v[90:91], v[90:91], v[96:97]
	v_pk_fma_f32 v[96:97], v[214:215], v[210:211], v[98:99] neg_lo:[0,0,1] neg_hi:[0,0,1]
	s_delay_alu instid0(VALU_DEP_3) | instskip(NEXT) | instid1(VALU_DEP_3)
	v_mov_b32_e32 v97, v95
	v_pk_add_f32 v[90:91], v[90:91], v[92:93]
	s_delay_alu instid0(VALU_DEP_1) | instskip(SKIP_1) | instid1(VALU_DEP_1)
	v_pk_add_f32 v[90:91], v[90:91], v[96:97]
	s_wait_loadcnt 0x0
	v_pk_add_f32 v[90:91], v[212:213], v[90:91] neg_lo:[0,1] neg_hi:[0,1]
	scratch_store_b64 off, v[90:91], off offset:96
	s_wait_xcnt 0x0
	v_cmpx_lt_u32_e32 11, v0
	s_cbranch_execz .LBB43_255
; %bb.254:
	scratch_load_b64 v[90:91], off, off offset:88
	v_mov_b64_e32 v[92:93], 0
	scratch_store_b64 off, v[92:93], off offset:88
	s_wait_loadcnt 0x0
	ds_store_b64 v1, v[90:91]
.LBB43_255:
	s_wait_xcnt 0x0
	s_or_b32 exec_lo, exec_lo, s0
	s_wait_storecnt_dscnt 0x0
	s_barrier_signal -1
	s_barrier_wait -1
	s_clause 0x10
	scratch_load_b128 v[90:93], off, off offset:96
	scratch_load_b128 v[94:97], off, off offset:112
	;; [unrolled: 1-line block ×16, first 2 shown]
	scratch_load_b64 v[218:219], off, off offset:88
	ds_load_b128 v[154:157], v5 offset:640
	ds_load_b128 v[158:161], v5 offset:656
	;; [unrolled: 1-line block ×16, first 2 shown]
	s_mov_b32 s0, exec_lo
	s_wait_dscnt 0xf
	v_dual_mov_b32 v220, v157 :: v_dual_mov_b32 v221, v156
	s_wait_dscnt 0xe
	v_dual_mov_b32 v222, v161 :: v_dual_mov_b32 v223, v160
	;; [unrolled: 2-line block ×4, first 2 shown]
	s_wait_loadcnt_dscnt 0x100b
	v_dual_mul_f32 v5, v170, v91 :: v_dual_mul_f32 v7, v172, v93
	v_dual_mul_f32 v51, v171, v91 :: v_dual_mul_f32 v53, v173, v93
	s_wait_loadcnt_dscnt 0xf0a
	v_dual_mul_f32 v11, v174, v95 :: v_dual_mul_f32 v13, v176, v97
	s_delay_alu instid0(VALU_DEP_2) | instskip(SKIP_3) | instid1(VALU_DEP_3)
	v_dual_fmac_f32 v5, v171, v90 :: v_dual_fma_f32 v51, v170, v90, -v51
	v_dual_mul_f32 v55, v175, v95 :: v_dual_mul_f32 v57, v177, v97
	s_wait_loadcnt_dscnt 0xd08
	v_dual_mul_f32 v63, v183, v103 :: v_dual_fmac_f32 v7, v173, v92
	v_dual_fma_f32 v53, v172, v92, -v53 :: v_dual_add_f32 v5, 0, v5
	v_dual_add_f32 v51, 0, v51 :: v_dual_mul_f32 v65, v185, v105
	v_fmac_f32_e32 v11, v175, v94
	s_delay_alu instid0(VALU_DEP_3) | instskip(NEXT) | instid1(VALU_DEP_3)
	v_dual_fma_f32 v55, v174, v94, -v55 :: v_dual_add_f32 v5, v5, v7
	v_dual_add_f32 v7, v51, v53 :: v_dual_mul_f32 v15, v178, v99
	v_dual_mul_f32 v17, v180, v101 :: v_dual_mul_f32 v59, v179, v99
	s_wait_loadcnt_dscnt 0xc07
	v_dual_mul_f32 v61, v181, v101 :: v_dual_mul_f32 v51, v187, v107
	v_fmac_f32_e32 v13, v177, v96
	v_dual_fma_f32 v53, v176, v96, -v57 :: v_dual_add_f32 v5, v5, v11
	v_dual_add_f32 v7, v7, v55 :: v_dual_mul_f32 v11, v189, v109
	v_fmac_f32_e32 v15, v179, v98
	s_delay_alu instid0(VALU_DEP_3) | instskip(NEXT) | instid1(VALU_DEP_3)
	v_dual_fma_f32 v55, v178, v98, -v59 :: v_dual_add_f32 v5, v5, v13
	v_dual_add_f32 v7, v7, v53 :: v_dual_mul_f32 v19, v182, v103
	s_wait_loadcnt_dscnt 0xb06
	v_dual_mul_f32 v21, v184, v105 :: v_dual_mul_f32 v13, v191, v111
	v_fmac_f32_e32 v17, v181, v100
	v_dual_fma_f32 v53, v180, v100, -v61 :: v_dual_add_f32 v5, v5, v15
	v_dual_add_f32 v7, v7, v55 :: v_dual_mul_f32 v15, v193, v113
	v_fmac_f32_e32 v19, v183, v102
	s_delay_alu instid0(VALU_DEP_3) | instskip(NEXT) | instid1(VALU_DEP_3)
	v_dual_fma_f32 v55, v182, v102, -v63 :: v_dual_add_f32 v5, v5, v17
	v_dual_add_f32 v7, v7, v53 :: v_dual_mul_f32 v23, v186, v107
	;; [unrolled: 9-line block ×3, first 2 shown]
	s_wait_loadcnt_dscnt 0x904
	v_dual_mul_f32 v29, v192, v113 :: v_dual_mul_f32 v21, v199, v119
	v_dual_fmac_f32 v25, v189, v108 :: v_dual_fma_f32 v11, v188, v108, -v11
	v_add_f32_e32 v5, v5, v23
	v_dual_add_f32 v7, v7, v51 :: v_dual_mul_f32 v23, v201, v121
	v_dual_fmac_f32 v27, v191, v110 :: v_dual_fma_f32 v13, v190, v110, -v13
	s_delay_alu instid0(VALU_DEP_2) | instskip(SKIP_3) | instid1(VALU_DEP_3)
	v_dual_add_f32 v5, v5, v25 :: v_dual_add_f32 v7, v7, v11
	v_dual_mul_f32 v31, v194, v115 :: v_dual_mul_f32 v33, v196, v117
	s_wait_loadcnt_dscnt 0x803
	v_dual_mul_f32 v11, v203, v123 :: v_dual_fmac_f32 v29, v193, v112
	v_dual_fma_f32 v15, v192, v112, -v15 :: v_dual_add_f32 v5, v5, v27
	v_dual_add_f32 v7, v7, v13 :: v_dual_fma_f32 v17, v194, v114, -v17
	v_dual_mul_f32 v13, v205, v125 :: v_dual_fmac_f32 v31, v195, v114
	s_delay_alu instid0(VALU_DEP_2) | instskip(SKIP_3) | instid1(VALU_DEP_3)
	v_dual_add_f32 v5, v5, v29 :: v_dual_add_f32 v7, v7, v15
	v_dual_mul_f32 v35, v198, v119 :: v_dual_mul_f32 v37, v200, v121
	s_wait_loadcnt_dscnt 0x702
	v_dual_mul_f32 v15, v207, v127 :: v_dual_fmac_f32 v33, v197, v116
	v_dual_fma_f32 v19, v196, v116, -v19 :: v_dual_add_f32 v5, v5, v31
	v_dual_add_f32 v7, v7, v17 :: v_dual_fma_f32 v21, v198, v118, -v21
	v_dual_mul_f32 v17, v209, v129 :: v_dual_fmac_f32 v35, v199, v118
	;; [unrolled: 8-line block ×3, first 2 shown]
	s_delay_alu instid0(VALU_DEP_2) | instskip(SKIP_3) | instid1(VALU_DEP_3)
	v_dual_add_f32 v5, v5, v37 :: v_dual_add_f32 v7, v7, v23
	v_dual_mul_f32 v43, v206, v127 :: v_dual_mul_f32 v45, v208, v129
	s_wait_loadcnt_dscnt 0x500
	v_dual_mul_f32 v23, v215, v135 :: v_dual_fmac_f32 v41, v205, v124
	v_dual_fma_f32 v13, v204, v124, -v13 :: v_dual_add_f32 v5, v5, v39
	v_dual_add_f32 v7, v7, v11 :: v_dual_mul_f32 v11, v217, v137
	v_fmac_f32_e32 v43, v207, v126
	s_delay_alu instid0(VALU_DEP_3) | instskip(NEXT) | instid1(VALU_DEP_3)
	v_dual_fma_f32 v15, v206, v126, -v15 :: v_dual_add_f32 v5, v5, v41
	v_dual_add_f32 v7, v7, v13 :: v_dual_mul_f32 v47, v210, v131
	v_dual_mul_f32 v49, v212, v133 :: v_dual_fmac_f32 v45, v209, v128
	s_delay_alu instid0(VALU_DEP_3) | instskip(SKIP_1) | instid1(VALU_DEP_3)
	v_dual_fma_f32 v13, v208, v128, -v17 :: v_dual_add_f32 v5, v5, v43
	s_wait_loadcnt 0x4
	v_dual_add_f32 v7, v7, v15 :: v_dual_mov_b32 v92, v141
	v_fmac_f32_e32 v47, v211, v130
	s_delay_alu instid0(VALU_DEP_3) | instskip(NEXT) | instid1(VALU_DEP_3)
	v_dual_fma_f32 v15, v210, v130, -v19 :: v_dual_add_f32 v5, v5, v45
	v_dual_add_f32 v7, v7, v13 :: v_dual_fmac_f32 v49, v213, v132
	v_dual_mul_f32 v229, v214, v135 :: v_dual_mul_f32 v231, v216, v137
	s_delay_alu instid0(VALU_DEP_3) | instskip(SKIP_1) | instid1(VALU_DEP_3)
	v_dual_fma_f32 v13, v212, v132, -v21 :: v_dual_add_f32 v5, v5, v47
	s_wait_loadcnt 0x3
	v_dual_add_f32 v7, v7, v15 :: v_dual_mov_b32 v96, v145
	v_pk_mul_f32 v[90:91], v[154:155], v[138:139] op_sel:[1,1] op_sel_hi:[0,1]
	v_dual_fmac_f32 v229, v215, v134 :: v_dual_fma_f32 v228, v214, v134, -v23
	v_dual_add_f32 v99, v5, v49 :: v_dual_fma_f32 v230, v216, v136, -v11
	s_delay_alu instid0(VALU_DEP_4) | instskip(NEXT) | instid1(VALU_DEP_4)
	v_dual_add_f32 v98, v7, v13 :: v_dual_fmac_f32 v231, v217, v136
	v_pk_fma_f32 v[100:101], v[154:155], v[138:139], v[90:91] op_sel_hi:[1,0,1]
	v_pk_mul_f32 v[92:93], v[220:221], v[92:93] op_sel_hi:[1,0]
	v_pk_fma_f32 v[90:91], v[154:155], v[138:139], v[90:91] neg_lo:[0,0,1] neg_hi:[0,0,1]
	s_delay_alu instid0(VALU_DEP_4)
	v_pk_add_f32 v[98:99], v[98:99], v[228:229]
	v_pk_mul_f32 v[94:95], v[158:159], v[142:143] op_sel:[1,1] op_sel_hi:[0,1]
	v_mov_b32_e32 v91, v101
	v_pk_fma_f32 v[100:101], v[156:157], v[140:141], v[92:93] op_sel_hi:[1,0,1]
	v_pk_fma_f32 v[92:93], v[156:157], v[140:141], v[92:93] neg_lo:[0,0,1] neg_hi:[0,0,1]
	v_pk_add_f32 v[98:99], v[98:99], v[230:231]
	v_pk_fma_f32 v[104:105], v[158:159], v[142:143], v[94:95] op_sel_hi:[1,0,1]
	v_pk_mul_f32 v[96:97], v[222:223], v[96:97] op_sel_hi:[1,0]
	v_mov_b32_e32 v93, v101
	s_wait_loadcnt 0x2
	v_pk_mul_f32 v[102:103], v[162:163], v[146:147] op_sel:[1,1] op_sel_hi:[0,1]
	v_pk_add_f32 v[90:91], v[98:99], v[90:91]
	v_mov_b32_e32 v98, v149
	v_pk_fma_f32 v[94:95], v[158:159], v[142:143], v[94:95] neg_lo:[0,0,1] neg_hi:[0,0,1]
	v_mov_b32_e32 v95, v105
	v_pk_fma_f32 v[100:101], v[160:161], v[144:145], v[96:97] op_sel_hi:[1,0,1]
	v_pk_add_f32 v[90:91], v[90:91], v[92:93]
	v_pk_fma_f32 v[92:93], v[162:163], v[146:147], v[102:103] op_sel_hi:[1,0,1]
	v_pk_mul_f32 v[98:99], v[224:225], v[98:99] op_sel_hi:[1,0]
	v_pk_fma_f32 v[96:97], v[160:161], v[144:145], v[96:97] neg_lo:[0,0,1] neg_hi:[0,0,1]
	v_mov_b32_e32 v97, v101
	v_pk_add_f32 v[90:91], v[90:91], v[94:95]
	v_pk_fma_f32 v[100:101], v[162:163], v[146:147], v[102:103] neg_lo:[0,0,1] neg_hi:[0,0,1]
	v_mov_b32_e32 v101, v93
	v_pk_fma_f32 v[92:93], v[164:165], v[148:149], v[98:99] op_sel_hi:[1,0,1]
	s_wait_loadcnt 0x1
	v_pk_mul_f32 v[94:95], v[166:167], v[150:151] op_sel:[1,1] op_sel_hi:[0,1]
	v_pk_add_f32 v[90:91], v[90:91], v[96:97]
	v_mov_b32_e32 v92, v153
	v_pk_fma_f32 v[98:99], v[164:165], v[148:149], v[98:99] neg_lo:[0,0,1] neg_hi:[0,0,1]
	v_mov_b32_e32 v99, v93
	v_pk_fma_f32 v[96:97], v[166:167], v[150:151], v[94:95] op_sel_hi:[1,0,1]
	v_pk_add_f32 v[90:91], v[90:91], v[100:101]
	v_pk_mul_f32 v[92:93], v[226:227], v[92:93] op_sel_hi:[1,0]
	v_pk_fma_f32 v[94:95], v[166:167], v[150:151], v[94:95] neg_lo:[0,0,1] neg_hi:[0,0,1]
	s_delay_alu instid0(VALU_DEP_4) | instskip(NEXT) | instid1(VALU_DEP_4)
	v_mov_b32_e32 v95, v97
	v_pk_add_f32 v[90:91], v[90:91], v[98:99]
	s_delay_alu instid0(VALU_DEP_4) | instskip(SKIP_1) | instid1(VALU_DEP_2)
	v_pk_fma_f32 v[96:97], v[168:169], v[152:153], v[92:93] op_sel_hi:[1,0,1]
	v_pk_fma_f32 v[92:93], v[168:169], v[152:153], v[92:93] neg_lo:[0,0,1] neg_hi:[0,0,1]
	v_mov_b32_e32 v93, v97
	s_delay_alu instid0(VALU_DEP_4) | instskip(NEXT) | instid1(VALU_DEP_1)
	v_pk_add_f32 v[90:91], v[90:91], v[94:95]
	v_pk_add_f32 v[90:91], v[90:91], v[92:93]
	s_wait_loadcnt 0x0
	s_delay_alu instid0(VALU_DEP_1)
	v_pk_add_f32 v[90:91], v[218:219], v[90:91] neg_lo:[0,1] neg_hi:[0,1]
	scratch_store_b64 off, v[90:91], off offset:88
	s_wait_xcnt 0x0
	v_cmpx_lt_u32_e32 10, v0
	s_cbranch_execz .LBB43_257
; %bb.256:
	scratch_load_b64 v[90:91], off, off offset:80
	v_mov_b64_e32 v[92:93], 0
	scratch_store_b64 off, v[92:93], off offset:80
	s_wait_loadcnt 0x0
	ds_store_b64 v1, v[90:91]
.LBB43_257:
	s_wait_xcnt 0x0
	s_or_b32 exec_lo, exec_lo, s0
	s_wait_storecnt_dscnt 0x0
	s_barrier_signal -1
	s_barrier_wait -1
	s_clause 0x11
	scratch_load_b128 v[90:93], off, off offset:88
	scratch_load_b128 v[94:97], off, off offset:104
	;; [unrolled: 1-line block ×16, first 2 shown]
	scratch_load_b64 v[218:219], off, off offset:344
	scratch_load_b64 v[220:221], off, off offset:80
	v_mov_b32_e32 v5, 0
	ds_load_2addr_b64 v[154:157], v5 offset0:79 offset1:80
	ds_load_2addr_b64 v[158:161], v5 offset0:81 offset1:82
	ds_load_2addr_b64 v[162:165], v5 offset0:83 offset1:84
	ds_load_2addr_b64 v[166:169], v5 offset0:85 offset1:86
	ds_load_2addr_b64 v[170:173], v5 offset0:55 offset1:56
	ds_load_2addr_b64 v[174:177], v5 offset0:57 offset1:58
	ds_load_2addr_b64 v[178:181], v5 offset0:59 offset1:60
	ds_load_2addr_b64 v[182:185], v5 offset0:61 offset1:62
	ds_load_2addr_b64 v[186:189], v5 offset0:63 offset1:64
	ds_load_2addr_b64 v[190:193], v5 offset0:65 offset1:66
	ds_load_2addr_b64 v[194:197], v5 offset0:67 offset1:68
	ds_load_2addr_b64 v[198:201], v5 offset0:69 offset1:70
	ds_load_2addr_b64 v[202:205], v5 offset0:71 offset1:72
	ds_load_2addr_b64 v[206:209], v5 offset0:73 offset1:74
	ds_load_2addr_b64 v[210:213], v5 offset0:75 offset1:76
	ds_load_2addr_b64 v[214:217], v5 offset0:77 offset1:78
	ds_load_b64 v[222:223], v5 offset:696
	s_mov_b32 s0, exec_lo
	s_wait_dscnt 0xf
	v_dual_mov_b32 v225, v156 :: v_dual_mov_b32 v226, v161
	s_wait_dscnt 0xe
	v_dual_mov_b32 v227, v160 :: v_dual_mov_b32 v228, v165
	;; [unrolled: 2-line block ×3, first 2 shown]
	v_dual_mov_b32 v229, v164 :: v_dual_mov_b32 v230, v169
	s_wait_loadcnt_dscnt 0x110c
	v_dual_mul_f32 v7, v170, v91 :: v_dual_mul_f32 v11, v172, v93
	s_wait_loadcnt_dscnt 0x100b
	v_mul_f32_e32 v13, v174, v95
	v_dual_mul_f32 v55, v171, v91 :: v_dual_mul_f32 v57, v173, v93
	s_wait_loadcnt_dscnt 0xe09
	v_dual_fmac_f32 v7, v171, v90 :: v_dual_mul_f32 v69, v185, v105
	s_delay_alu instid0(VALU_DEP_2) | instskip(NEXT) | instid1(VALU_DEP_3)
	v_dual_mul_f32 v67, v183, v103 :: v_dual_fma_f32 v55, v170, v90, -v55
	v_dual_fmac_f32 v11, v173, v92 :: v_dual_fma_f32 v57, v172, v92, -v57
	s_delay_alu instid0(VALU_DEP_3) | instskip(SKIP_3) | instid1(VALU_DEP_3)
	v_dual_add_f32 v7, 0, v7 :: v_dual_fmac_f32 v13, v175, v94
	v_dual_mul_f32 v15, v176, v97 :: v_dual_mul_f32 v17, v178, v99
	v_dual_mul_f32 v59, v175, v95 :: v_dual_mul_f32 v61, v177, v97
	v_add_f32_e32 v55, 0, v55
	v_dual_add_f32 v7, v7, v11 :: v_dual_fmac_f32 v15, v177, v96
	v_dual_mul_f32 v63, v179, v99 :: v_dual_mul_f32 v65, v181, v101
	s_delay_alu instid0(VALU_DEP_3) | instskip(NEXT) | instid1(VALU_DEP_3)
	v_dual_fma_f32 v59, v174, v94, -v59 :: v_dual_add_f32 v11, v55, v57
	v_dual_fma_f32 v57, v176, v96, -v61 :: v_dual_add_f32 v7, v7, v13
	v_dual_mul_f32 v19, v180, v101 :: v_dual_mul_f32 v21, v182, v103
	s_delay_alu instid0(VALU_DEP_3) | instskip(SKIP_1) | instid1(VALU_DEP_4)
	v_add_f32_e32 v11, v11, v59
	v_dual_fmac_f32 v17, v179, v98 :: v_dual_fma_f32 v59, v178, v98, -v63
	v_dual_add_f32 v7, v7, v15 :: v_dual_mul_f32 v23, v184, v105
	s_wait_loadcnt_dscnt 0xd08
	v_mul_f32_e32 v25, v186, v107
	s_wait_loadcnt_dscnt 0xc07
	v_dual_mul_f32 v13, v191, v111 :: v_dual_fmac_f32 v19, v181, v100
	v_mul_f32_e32 v15, v193, v113
	v_dual_add_f32 v11, v11, v57 :: v_dual_fma_f32 v57, v180, v100, -v65
	v_dual_add_f32 v7, v7, v17 :: v_dual_fmac_f32 v23, v185, v104
	v_dual_mul_f32 v27, v188, v109 :: v_dual_mul_f32 v29, v190, v111
	s_delay_alu instid0(VALU_DEP_3) | instskip(SKIP_1) | instid1(VALU_DEP_3)
	v_add_f32_e32 v11, v11, v59
	v_fmac_f32_e32 v21, v183, v102
	v_dual_add_f32 v7, v7, v19 :: v_dual_fmac_f32 v27, v189, v108
	v_dual_mul_f32 v71, v187, v107 :: v_dual_mul_f32 v55, v189, v109
	s_delay_alu instid0(VALU_DEP_4) | instskip(NEXT) | instid1(VALU_DEP_3)
	v_dual_fma_f32 v59, v182, v102, -v67 :: v_dual_add_f32 v11, v11, v57
	v_dual_add_f32 v7, v7, v21 :: v_dual_fma_f32 v13, v190, v110, -v13
	s_wait_loadcnt_dscnt 0xb06
	v_mul_f32_e32 v17, v195, v115
	v_dual_fmac_f32 v25, v187, v106 :: v_dual_fma_f32 v15, v192, v112, -v15
	v_dual_fma_f32 v55, v188, v108, -v55 :: v_dual_add_f32 v11, v11, v59
	v_dual_fma_f32 v59, v186, v106, -v71 :: v_dual_add_f32 v7, v7, v23
	s_delay_alu instid0(VALU_DEP_4) | instskip(SKIP_3) | instid1(VALU_DEP_3)
	v_dual_fma_f32 v17, v194, v114, -v17 :: v_dual_mul_f32 v19, v197, v117
	v_fma_f32 v57, v184, v104, -v69
	s_wait_loadcnt_dscnt 0xa05
	v_dual_mul_f32 v35, v196, v117 :: v_dual_mul_f32 v37, v198, v119
	v_dual_add_f32 v7, v7, v25 :: v_dual_fma_f32 v19, v196, v116, -v19
	s_wait_loadcnt_dscnt 0x904
	v_dual_mul_f32 v39, v200, v121 :: v_dual_mul_f32 v41, v202, v123
	s_delay_alu instid0(VALU_DEP_2)
	v_dual_fmac_f32 v35, v197, v116 :: v_dual_add_f32 v7, v7, v27
	v_mul_f32_e32 v27, v205, v125
	v_add_f32_e32 v11, v11, v57
	v_mul_f32_e32 v23, v201, v121
	s_wait_loadcnt_dscnt 0x803
	v_dual_mul_f32 v43, v204, v125 :: v_dual_mul_f32 v45, v206, v127
	v_dual_mul_f32 v31, v192, v113 :: v_dual_mul_f32 v33, v194, v115
	s_delay_alu instid0(VALU_DEP_3) | instskip(NEXT) | instid1(VALU_DEP_3)
	v_dual_add_f32 v11, v11, v59 :: v_dual_fma_f32 v23, v200, v120, -v23
	v_dual_fmac_f32 v43, v205, v124 :: v_dual_mul_f32 v21, v199, v119
	s_delay_alu instid0(VALU_DEP_2)
	v_dual_fmac_f32 v31, v193, v112 :: v_dual_add_f32 v11, v11, v55
	s_wait_loadcnt_dscnt 0x502
	v_dual_mov_b32 v90, v141 :: v_dual_mul_f32 v51, v212, v133
	s_wait_dscnt 0x1
	v_mul_f32_e32 v53, v214, v135
	v_dual_mul_f32 v25, v203, v123 :: v_dual_fma_f32 v21, v198, v118, -v21
	v_add_f32_e32 v11, v11, v13
	v_dual_fmac_f32 v29, v191, v110 :: v_dual_fmac_f32 v39, v201, v120
	v_dual_fmac_f32 v51, v213, v132 :: v_dual_mul_f32 v13, v207, v127
	s_delay_alu instid0(VALU_DEP_3) | instskip(SKIP_1) | instid1(VALU_DEP_2)
	v_dual_add_f32 v11, v11, v15 :: v_dual_mul_f32 v15, v209, v129
	v_dual_fmac_f32 v33, v195, v114 :: v_dual_fma_f32 v27, v204, v124, -v27
	v_dual_fma_f32 v25, v202, v122, -v25 :: v_dual_add_f32 v11, v11, v17
	s_delay_alu instid0(VALU_DEP_3)
	v_fma_f32 v15, v208, v128, -v15
	s_wait_loadcnt 0x4
	v_pk_mul_f32 v[92:93], v[158:159], v[142:143] op_sel:[1,1] op_sel_hi:[0,1]
	v_dual_mul_f32 v47, v208, v129 :: v_dual_mul_f32 v49, v210, v131
	v_dual_add_f32 v11, v11, v19 :: v_dual_mul_f32 v19, v213, v133
	s_wait_loadcnt 0x3
	v_dual_add_f32 v7, v7, v29 :: v_dual_mov_b32 v100, v149
	v_pk_fma_f32 v[104:105], v[158:159], v[142:143], v[92:93] op_sel_hi:[1,0,1]
	s_delay_alu instid0(VALU_DEP_3) | instskip(SKIP_3) | instid1(VALU_DEP_4)
	v_add_f32_e32 v11, v11, v21
	v_pk_fma_f32 v[92:93], v[158:159], v[142:143], v[92:93] neg_lo:[0,0,1] neg_hi:[0,0,1]
	v_dual_mul_f32 v17, v211, v131 :: v_dual_fmac_f32 v49, v211, v130
	v_dual_fmac_f32 v37, v199, v118 :: v_dual_mov_b32 v94, v145
	v_dual_add_f32 v11, v11, v23 :: v_dual_mul_f32 v23, v217, v137
	v_dual_add_f32 v7, v7, v31 :: v_dual_fma_f32 v13, v206, v126, -v13
	s_delay_alu instid0(VALU_DEP_2) | instskip(NEXT) | instid1(VALU_DEP_2)
	v_dual_fmac_f32 v47, v209, v128 :: v_dual_add_f32 v11, v11, v25
	v_dual_mov_b32 v93, v105 :: v_dual_add_f32 v7, v7, v33
	v_dual_mul_f32 v233, v216, v137 :: v_dual_mul_f32 v235, v154, v139
	s_delay_alu instid0(VALU_DEP_3) | instskip(SKIP_1) | instid1(VALU_DEP_4)
	v_add_f32_e32 v11, v11, v27
	v_dual_fmac_f32 v41, v203, v122 :: v_dual_fma_f32 v232, v216, v136, -v23
	v_add_f32_e32 v7, v7, v35
	s_delay_alu instid0(VALU_DEP_4) | instskip(NEXT) | instid1(VALU_DEP_4)
	v_dual_mul_f32 v25, v155, v139 :: v_dual_fmac_f32 v235, v155, v138
	v_dual_add_f32 v11, v11, v13 :: v_dual_fma_f32 v13, v210, v130, -v17
	s_delay_alu instid0(VALU_DEP_3) | instskip(SKIP_1) | instid1(VALU_DEP_3)
	v_dual_add_f32 v7, v7, v37 :: v_dual_fmac_f32 v233, v217, v136
	v_pk_mul_f32 v[94:95], v[226:227], v[94:95] op_sel_hi:[1,0]
	v_dual_add_f32 v11, v11, v15 :: v_dual_fma_f32 v15, v212, v132, -v19
	s_delay_alu instid0(VALU_DEP_3) | instskip(NEXT) | instid1(VALU_DEP_3)
	v_dual_add_f32 v7, v7, v39 :: v_dual_fma_f32 v234, v154, v138, -v25
	v_pk_fma_f32 v[104:105], v[160:161], v[144:145], v[94:95] op_sel_hi:[1,0,1]
	v_fmac_f32_e32 v45, v207, v126
	v_pk_fma_f32 v[94:95], v[160:161], v[144:145], v[94:95] neg_lo:[0,0,1] neg_hi:[0,0,1]
	s_delay_alu instid0(VALU_DEP_4) | instskip(SKIP_2) | instid1(VALU_DEP_2)
	v_add_f32_e32 v7, v7, v41
	v_dual_mul_f32 v21, v215, v135 :: v_dual_fmac_f32 v53, v215, v134
	v_dual_mov_b32 v95, v105 :: v_dual_add_f32 v11, v11, v13
	v_dual_add_f32 v7, v7, v43 :: v_dual_fma_f32 v13, v214, v134, -v21
	v_pk_mul_f32 v[90:91], v[224:225], v[90:91] op_sel_hi:[1,0]
	v_pk_mul_f32 v[96:97], v[162:163], v[146:147] op_sel:[1,1] op_sel_hi:[0,1]
	s_delay_alu instid0(VALU_DEP_4) | instskip(NEXT) | instid1(VALU_DEP_4)
	v_add_f32_e32 v11, v11, v15
	v_add_f32_e32 v7, v7, v45
	v_pk_mul_f32 v[100:101], v[228:229], v[100:101] op_sel_hi:[1,0]
	v_pk_fma_f32 v[102:103], v[156:157], v[140:141], v[90:91] op_sel_hi:[1,0,1]
	v_pk_fma_f32 v[90:91], v[156:157], v[140:141], v[90:91] neg_lo:[0,0,1] neg_hi:[0,0,1]
	v_add_f32_e32 v98, v11, v13
	v_add_f32_e32 v7, v7, v47
	s_delay_alu instid0(VALU_DEP_4) | instskip(SKIP_2) | instid1(VALU_DEP_3)
	v_mov_b32_e32 v91, v103
	s_wait_loadcnt 0x2
	v_pk_mul_f32 v[102:103], v[166:167], v[150:151] op_sel:[1,1] op_sel_hi:[0,1]
	v_add_f32_e32 v7, v7, v49
	s_delay_alu instid0(VALU_DEP_1) | instskip(NEXT) | instid1(VALU_DEP_1)
	v_add_f32_e32 v7, v7, v51
	v_add_f32_e32 v99, v7, v53
	s_delay_alu instid0(VALU_DEP_1) | instskip(NEXT) | instid1(VALU_DEP_1)
	v_pk_add_f32 v[98:99], v[98:99], v[232:233]
	v_pk_add_f32 v[98:99], v[98:99], v[234:235]
	s_delay_alu instid0(VALU_DEP_1) | instskip(SKIP_2) | instid1(VALU_DEP_3)
	v_pk_add_f32 v[90:91], v[98:99], v[90:91]
	v_pk_fma_f32 v[98:99], v[162:163], v[146:147], v[96:97] op_sel_hi:[1,0,1]
	v_pk_fma_f32 v[96:97], v[162:163], v[146:147], v[96:97] neg_lo:[0,0,1] neg_hi:[0,0,1]
	v_pk_add_f32 v[90:91], v[90:91], v[92:93]
	s_delay_alu instid0(VALU_DEP_3) | instskip(SKIP_2) | instid1(VALU_DEP_4)
	v_dual_mov_b32 v92, v153 :: v_dual_mov_b32 v97, v99
	v_pk_fma_f32 v[98:99], v[164:165], v[148:149], v[100:101] op_sel_hi:[1,0,1]
	v_pk_fma_f32 v[100:101], v[164:165], v[148:149], v[100:101] neg_lo:[0,0,1] neg_hi:[0,0,1]
	v_pk_add_f32 v[90:91], v[90:91], v[94:95]
	v_pk_fma_f32 v[94:95], v[166:167], v[150:151], v[102:103] op_sel_hi:[1,0,1]
	v_pk_mul_f32 v[92:93], v[230:231], v[92:93] op_sel_hi:[1,0]
	v_mov_b32_e32 v101, v99
	s_wait_loadcnt_dscnt 0x100
	v_pk_mul_f32 v[98:99], v[222:223], v[218:219] op_sel:[1,1] op_sel_hi:[0,1]
	v_pk_add_f32 v[90:91], v[90:91], v[96:97]
	v_pk_fma_f32 v[96:97], v[166:167], v[150:151], v[102:103] neg_lo:[0,0,1] neg_hi:[0,0,1]
	v_mov_b32_e32 v97, v95
	v_pk_fma_f32 v[94:95], v[168:169], v[152:153], v[92:93] op_sel_hi:[1,0,1]
	v_pk_fma_f32 v[92:93], v[168:169], v[152:153], v[92:93] neg_lo:[0,0,1] neg_hi:[0,0,1]
	v_pk_add_f32 v[90:91], v[90:91], v[100:101]
	s_delay_alu instid0(VALU_DEP_3) | instskip(SKIP_1) | instid1(VALU_DEP_3)
	v_mov_b32_e32 v93, v95
	v_pk_fma_f32 v[94:95], v[222:223], v[218:219], v[98:99] op_sel_hi:[1,0,1]
	v_pk_add_f32 v[90:91], v[90:91], v[96:97]
	v_pk_fma_f32 v[96:97], v[222:223], v[218:219], v[98:99] neg_lo:[0,0,1] neg_hi:[0,0,1]
	s_delay_alu instid0(VALU_DEP_3) | instskip(NEXT) | instid1(VALU_DEP_3)
	v_mov_b32_e32 v97, v95
	v_pk_add_f32 v[90:91], v[90:91], v[92:93]
	s_delay_alu instid0(VALU_DEP_1) | instskip(SKIP_1) | instid1(VALU_DEP_1)
	v_pk_add_f32 v[90:91], v[90:91], v[96:97]
	s_wait_loadcnt 0x0
	v_pk_add_f32 v[90:91], v[220:221], v[90:91] neg_lo:[0,1] neg_hi:[0,1]
	scratch_store_b64 off, v[90:91], off offset:80
	s_wait_xcnt 0x0
	v_cmpx_lt_u32_e32 9, v0
	s_cbranch_execz .LBB43_259
; %bb.258:
	scratch_load_b64 v[90:91], off, off offset:72
	v_mov_b64_e32 v[92:93], 0
	scratch_store_b64 off, v[92:93], off offset:72
	s_wait_loadcnt 0x0
	ds_store_b64 v1, v[90:91]
.LBB43_259:
	s_wait_xcnt 0x0
	s_or_b32 exec_lo, exec_lo, s0
	s_wait_storecnt_dscnt 0x0
	s_barrier_signal -1
	s_barrier_wait -1
	s_clause 0x11
	scratch_load_b128 v[90:93], off, off offset:80
	scratch_load_b128 v[94:97], off, off offset:96
	;; [unrolled: 1-line block ×17, first 2 shown]
	scratch_load_b64 v[226:227], off, off offset:72
	ds_load_b128 v[158:161], v5 offset:640
	ds_load_b128 v[162:165], v5 offset:656
	;; [unrolled: 1-line block ×17, first 2 shown]
	s_mov_b32 s0, exec_lo
	s_wait_dscnt 0x10
	v_dual_mov_b32 v228, v161 :: v_dual_mov_b32 v229, v160
	s_wait_dscnt 0xf
	v_dual_mov_b32 v230, v165 :: v_dual_mov_b32 v231, v164
	;; [unrolled: 2-line block ×4, first 2 shown]
	s_wait_loadcnt_dscnt 0x110b
	v_dual_mul_f32 v5, v178, v91 :: v_dual_mul_f32 v7, v180, v93
	v_dual_mul_f32 v55, v179, v91 :: v_dual_mul_f32 v57, v181, v93
	s_wait_loadcnt_dscnt 0x100a
	v_dual_mul_f32 v11, v182, v95 :: v_dual_mul_f32 v13, v184, v97
	s_delay_alu instid0(VALU_DEP_2) | instskip(SKIP_3) | instid1(VALU_DEP_3)
	v_dual_fmac_f32 v5, v179, v90 :: v_dual_fma_f32 v55, v178, v90, -v55
	v_dual_mul_f32 v59, v183, v95 :: v_dual_mul_f32 v61, v185, v97
	s_wait_loadcnt_dscnt 0xe08
	v_dual_mul_f32 v67, v191, v103 :: v_dual_fmac_f32 v7, v181, v92
	v_dual_fma_f32 v57, v180, v92, -v57 :: v_dual_add_f32 v5, 0, v5
	v_dual_add_f32 v55, 0, v55 :: v_dual_mul_f32 v69, v193, v105
	v_fmac_f32_e32 v11, v183, v94
	s_delay_alu instid0(VALU_DEP_3) | instskip(NEXT) | instid1(VALU_DEP_3)
	v_dual_fma_f32 v59, v182, v94, -v59 :: v_dual_add_f32 v5, v5, v7
	v_dual_add_f32 v7, v55, v57 :: v_dual_mul_f32 v15, v186, v99
	v_dual_mul_f32 v17, v188, v101 :: v_dual_mul_f32 v63, v187, v99
	s_wait_loadcnt_dscnt 0xd07
	v_dual_mul_f32 v65, v189, v101 :: v_dual_mul_f32 v55, v195, v107
	v_fmac_f32_e32 v13, v185, v96
	v_dual_fma_f32 v57, v184, v96, -v61 :: v_dual_add_f32 v5, v5, v11
	v_dual_add_f32 v7, v7, v59 :: v_dual_mul_f32 v11, v197, v109
	v_fmac_f32_e32 v15, v187, v98
	s_delay_alu instid0(VALU_DEP_3) | instskip(NEXT) | instid1(VALU_DEP_3)
	v_dual_fma_f32 v59, v186, v98, -v63 :: v_dual_add_f32 v5, v5, v13
	v_dual_add_f32 v7, v7, v57 :: v_dual_mul_f32 v19, v190, v103
	s_wait_loadcnt_dscnt 0xc06
	v_dual_mul_f32 v21, v192, v105 :: v_dual_mul_f32 v13, v199, v111
	v_fmac_f32_e32 v17, v189, v100
	v_dual_fma_f32 v57, v188, v100, -v65 :: v_dual_add_f32 v5, v5, v15
	v_dual_add_f32 v7, v7, v59 :: v_dual_mul_f32 v15, v201, v113
	v_fmac_f32_e32 v19, v191, v102
	s_delay_alu instid0(VALU_DEP_3) | instskip(NEXT) | instid1(VALU_DEP_3)
	v_dual_fma_f32 v59, v190, v102, -v67 :: v_dual_add_f32 v5, v5, v17
	v_dual_add_f32 v7, v7, v57 :: v_dual_mul_f32 v23, v194, v107
	;; [unrolled: 9-line block ×3, first 2 shown]
	s_wait_loadcnt_dscnt 0xa04
	v_dual_mul_f32 v29, v200, v113 :: v_dual_mul_f32 v21, v207, v119
	v_dual_fmac_f32 v25, v197, v108 :: v_dual_fma_f32 v11, v196, v108, -v11
	v_add_f32_e32 v5, v5, v23
	v_dual_add_f32 v7, v7, v55 :: v_dual_mul_f32 v23, v209, v121
	v_dual_fmac_f32 v27, v199, v110 :: v_dual_fma_f32 v13, v198, v110, -v13
	s_delay_alu instid0(VALU_DEP_2) | instskip(SKIP_3) | instid1(VALU_DEP_3)
	v_dual_add_f32 v5, v5, v25 :: v_dual_add_f32 v7, v7, v11
	v_dual_mul_f32 v31, v202, v115 :: v_dual_mul_f32 v33, v204, v117
	s_wait_loadcnt_dscnt 0x903
	v_dual_mul_f32 v11, v211, v123 :: v_dual_fmac_f32 v29, v201, v112
	v_dual_fma_f32 v15, v200, v112, -v15 :: v_dual_add_f32 v5, v5, v27
	v_dual_add_f32 v7, v7, v13 :: v_dual_fma_f32 v17, v202, v114, -v17
	v_dual_mul_f32 v13, v213, v125 :: v_dual_fmac_f32 v31, v203, v114
	s_delay_alu instid0(VALU_DEP_2) | instskip(SKIP_3) | instid1(VALU_DEP_3)
	v_dual_add_f32 v5, v5, v29 :: v_dual_add_f32 v7, v7, v15
	v_dual_mul_f32 v35, v206, v119 :: v_dual_mul_f32 v37, v208, v121
	s_wait_loadcnt_dscnt 0x802
	v_dual_mul_f32 v15, v215, v127 :: v_dual_fmac_f32 v33, v205, v116
	v_dual_fma_f32 v19, v204, v116, -v19 :: v_dual_add_f32 v5, v5, v31
	v_dual_add_f32 v7, v7, v17 :: v_dual_fma_f32 v21, v206, v118, -v21
	v_dual_mul_f32 v17, v217, v129 :: v_dual_fmac_f32 v35, v207, v118
	;; [unrolled: 8-line block ×3, first 2 shown]
	s_delay_alu instid0(VALU_DEP_2) | instskip(SKIP_3) | instid1(VALU_DEP_3)
	v_dual_add_f32 v5, v5, v37 :: v_dual_add_f32 v7, v7, v23
	v_dual_mul_f32 v43, v214, v127 :: v_dual_mul_f32 v45, v216, v129
	s_wait_loadcnt_dscnt 0x600
	v_dual_mul_f32 v23, v223, v135 :: v_dual_fmac_f32 v41, v213, v124
	v_dual_fma_f32 v13, v212, v124, -v13 :: v_dual_add_f32 v5, v5, v39
	v_dual_add_f32 v7, v7, v11 :: v_dual_mul_f32 v11, v225, v137
	v_fmac_f32_e32 v43, v215, v126
	s_delay_alu instid0(VALU_DEP_3) | instskip(NEXT) | instid1(VALU_DEP_3)
	v_dual_fma_f32 v15, v214, v126, -v15 :: v_dual_add_f32 v5, v5, v41
	v_dual_add_f32 v7, v7, v13 :: v_dual_mul_f32 v47, v218, v131
	s_wait_loadcnt 0x5
	v_dual_mul_f32 v49, v220, v133 :: v_dual_mul_f32 v13, v175, v139
	v_fmac_f32_e32 v45, v217, v128
	v_dual_fma_f32 v17, v216, v128, -v17 :: v_dual_add_f32 v5, v5, v43
	v_dual_add_f32 v7, v7, v15 :: v_dual_mul_f32 v15, v177, v141
	v_fmac_f32_e32 v47, v219, v130
	s_delay_alu instid0(VALU_DEP_3) | instskip(NEXT) | instid1(VALU_DEP_3)
	v_dual_fma_f32 v19, v218, v130, -v19 :: v_dual_add_f32 v5, v5, v45
	v_dual_add_f32 v7, v7, v17 :: v_dual_mul_f32 v51, v222, v135
	v_dual_mul_f32 v53, v224, v137 :: v_dual_fmac_f32 v49, v221, v132
	s_delay_alu instid0(VALU_DEP_3) | instskip(SKIP_1) | instid1(VALU_DEP_3)
	v_dual_fma_f32 v17, v220, v132, -v21 :: v_dual_add_f32 v5, v5, v47
	s_wait_loadcnt 0x4
	v_dual_add_f32 v7, v7, v19 :: v_dual_mov_b32 v92, v145
	v_fmac_f32_e32 v51, v223, v134
	s_delay_alu instid0(VALU_DEP_3) | instskip(NEXT) | instid1(VALU_DEP_3)
	v_dual_fma_f32 v19, v222, v134, -v23 :: v_dual_add_f32 v5, v5, v49
	v_dual_add_f32 v7, v7, v17 :: v_dual_fmac_f32 v53, v225, v136
	v_dual_mul_f32 v237, v174, v139 :: v_dual_mul_f32 v239, v176, v141
	s_delay_alu instid0(VALU_DEP_3) | instskip(SKIP_1) | instid1(VALU_DEP_3)
	v_dual_fma_f32 v11, v224, v136, -v11 :: v_dual_add_f32 v5, v5, v51
	s_wait_loadcnt 0x3
	v_dual_add_f32 v7, v7, v19 :: v_dual_mov_b32 v96, v149
	v_pk_mul_f32 v[90:91], v[158:159], v[142:143] op_sel:[1,1] op_sel_hi:[0,1]
	s_delay_alu instid0(VALU_DEP_3) | instskip(NEXT) | instid1(VALU_DEP_3)
	v_dual_fmac_f32 v237, v175, v138 :: v_dual_add_f32 v99, v5, v53
	v_dual_fma_f32 v236, v174, v138, -v13 :: v_dual_add_f32 v98, v7, v11
	v_fmac_f32_e32 v239, v177, v140
	s_delay_alu instid0(VALU_DEP_4)
	v_pk_fma_f32 v[100:101], v[158:159], v[142:143], v[90:91] op_sel_hi:[1,0,1]
	v_fma_f32 v238, v176, v140, -v15
	v_pk_mul_f32 v[92:93], v[228:229], v[92:93] op_sel_hi:[1,0]
	v_pk_add_f32 v[98:99], v[98:99], v[236:237]
	v_pk_fma_f32 v[90:91], v[158:159], v[142:143], v[90:91] neg_lo:[0,0,1] neg_hi:[0,0,1]
	v_pk_mul_f32 v[94:95], v[162:163], v[146:147] op_sel:[1,1] op_sel_hi:[0,1]
	v_mov_b32_e32 v91, v101
	v_pk_fma_f32 v[100:101], v[160:161], v[144:145], v[92:93] op_sel_hi:[1,0,1]
	v_pk_add_f32 v[98:99], v[98:99], v[238:239]
	v_pk_fma_f32 v[92:93], v[160:161], v[144:145], v[92:93] neg_lo:[0,0,1] neg_hi:[0,0,1]
	v_pk_fma_f32 v[104:105], v[162:163], v[146:147], v[94:95] op_sel_hi:[1,0,1]
	v_pk_mul_f32 v[96:97], v[230:231], v[96:97] op_sel_hi:[1,0]
	v_mov_b32_e32 v93, v101
	v_pk_add_f32 v[90:91], v[98:99], v[90:91]
	s_wait_loadcnt 0x2
	v_pk_mul_f32 v[102:103], v[166:167], v[150:151] op_sel:[1,1] op_sel_hi:[0,1]
	v_mov_b32_e32 v98, v153
	v_pk_fma_f32 v[94:95], v[162:163], v[146:147], v[94:95] neg_lo:[0,0,1] neg_hi:[0,0,1]
	v_pk_fma_f32 v[100:101], v[164:165], v[148:149], v[96:97] op_sel_hi:[1,0,1]
	v_mov_b32_e32 v95, v105
	v_pk_add_f32 v[90:91], v[90:91], v[92:93]
	v_pk_fma_f32 v[92:93], v[166:167], v[150:151], v[102:103] op_sel_hi:[1,0,1]
	v_pk_mul_f32 v[98:99], v[232:233], v[98:99] op_sel_hi:[1,0]
	v_pk_fma_f32 v[96:97], v[164:165], v[148:149], v[96:97] neg_lo:[0,0,1] neg_hi:[0,0,1]
	v_mov_b32_e32 v97, v101
	v_pk_add_f32 v[90:91], v[90:91], v[94:95]
	v_pk_fma_f32 v[100:101], v[166:167], v[150:151], v[102:103] neg_lo:[0,0,1] neg_hi:[0,0,1]
	v_mov_b32_e32 v101, v93
	v_pk_fma_f32 v[92:93], v[168:169], v[152:153], v[98:99] op_sel_hi:[1,0,1]
	s_wait_loadcnt 0x1
	v_pk_mul_f32 v[94:95], v[170:171], v[154:155] op_sel:[1,1] op_sel_hi:[0,1]
	v_pk_add_f32 v[90:91], v[90:91], v[96:97]
	v_mov_b32_e32 v92, v157
	v_pk_fma_f32 v[98:99], v[168:169], v[152:153], v[98:99] neg_lo:[0,0,1] neg_hi:[0,0,1]
	s_delay_alu instid0(VALU_DEP_4)
	v_pk_fma_f32 v[96:97], v[170:171], v[154:155], v[94:95] op_sel_hi:[1,0,1]
	v_mov_b32_e32 v99, v93
	v_pk_add_f32 v[90:91], v[90:91], v[100:101]
	v_pk_mul_f32 v[92:93], v[234:235], v[92:93] op_sel_hi:[1,0]
	v_pk_fma_f32 v[94:95], v[170:171], v[154:155], v[94:95] neg_lo:[0,0,1] neg_hi:[0,0,1]
	v_mov_b32_e32 v95, v97
	s_delay_alu instid0(VALU_DEP_4) | instskip(NEXT) | instid1(VALU_DEP_4)
	v_pk_add_f32 v[90:91], v[90:91], v[98:99]
	v_pk_fma_f32 v[96:97], v[172:173], v[156:157], v[92:93] op_sel_hi:[1,0,1]
	v_pk_fma_f32 v[92:93], v[172:173], v[156:157], v[92:93] neg_lo:[0,0,1] neg_hi:[0,0,1]
	s_delay_alu instid0(VALU_DEP_3) | instskip(NEXT) | instid1(VALU_DEP_3)
	v_pk_add_f32 v[90:91], v[90:91], v[94:95]
	v_mov_b32_e32 v93, v97
	s_delay_alu instid0(VALU_DEP_1) | instskip(SKIP_1) | instid1(VALU_DEP_1)
	v_pk_add_f32 v[90:91], v[90:91], v[92:93]
	s_wait_loadcnt 0x0
	v_pk_add_f32 v[90:91], v[226:227], v[90:91] neg_lo:[0,1] neg_hi:[0,1]
	scratch_store_b64 off, v[90:91], off offset:72
	s_wait_xcnt 0x0
	v_cmpx_lt_u32_e32 8, v0
	s_cbranch_execz .LBB43_261
; %bb.260:
	scratch_load_b64 v[90:91], off, off offset:64
	v_mov_b64_e32 v[92:93], 0
	scratch_store_b64 off, v[92:93], off offset:64
	s_wait_loadcnt 0x0
	ds_store_b64 v1, v[90:91]
.LBB43_261:
	s_wait_xcnt 0x0
	s_or_b32 exec_lo, exec_lo, s0
	s_wait_storecnt_dscnt 0x0
	s_barrier_signal -1
	s_barrier_wait -1
	s_clause 0x12
	scratch_load_b128 v[90:93], off, off offset:72
	scratch_load_b128 v[94:97], off, off offset:88
	;; [unrolled: 1-line block ×17, first 2 shown]
	scratch_load_b64 v[226:227], off, off offset:344
	scratch_load_b64 v[228:229], off, off offset:64
	v_mov_b32_e32 v5, 0
	ds_load_2addr_b64 v[158:161], v5 offset0:79 offset1:80
	ds_load_2addr_b64 v[162:165], v5 offset0:81 offset1:82
	;; [unrolled: 1-line block ×17, first 2 shown]
	ds_load_b64 v[230:231], v5 offset:696
	s_mov_b32 s0, exec_lo
	s_wait_dscnt 0x11
	v_dual_mov_b32 v232, v161 :: v_dual_mov_b32 v233, v160
	s_wait_dscnt 0x10
	v_dual_mov_b32 v234, v165 :: v_dual_mov_b32 v235, v164
	;; [unrolled: 2-line block ×3, first 2 shown]
	v_dual_mov_b32 v237, v168 :: v_dual_mov_b32 v238, v177
	s_wait_loadcnt_dscnt 0x120c
	v_dual_mul_f32 v7, v178, v91 :: v_dual_mul_f32 v11, v180, v93
	s_wait_loadcnt_dscnt 0x110b
	v_mul_f32_e32 v13, v182, v95
	v_dual_mul_f32 v59, v179, v91 :: v_dual_mul_f32 v61, v181, v93
	s_wait_loadcnt_dscnt 0xf09
	v_dual_fmac_f32 v7, v179, v90 :: v_dual_mul_f32 v73, v193, v105
	s_delay_alu instid0(VALU_DEP_2) | instskip(NEXT) | instid1(VALU_DEP_3)
	v_dual_mul_f32 v71, v191, v103 :: v_dual_fma_f32 v59, v178, v90, -v59
	v_dual_fmac_f32 v11, v181, v92 :: v_dual_fma_f32 v61, v180, v92, -v61
	s_delay_alu instid0(VALU_DEP_3) | instskip(SKIP_3) | instid1(VALU_DEP_3)
	v_dual_add_f32 v7, 0, v7 :: v_dual_fmac_f32 v13, v183, v94
	v_dual_mul_f32 v15, v184, v97 :: v_dual_mul_f32 v17, v186, v99
	v_dual_mul_f32 v63, v183, v95 :: v_dual_mul_f32 v65, v185, v97
	v_add_f32_e32 v59, 0, v59
	v_dual_add_f32 v7, v7, v11 :: v_dual_fmac_f32 v15, v185, v96
	v_dual_mul_f32 v67, v187, v99 :: v_dual_mul_f32 v69, v189, v101
	s_delay_alu instid0(VALU_DEP_3) | instskip(NEXT) | instid1(VALU_DEP_3)
	v_dual_fma_f32 v63, v182, v94, -v63 :: v_dual_add_f32 v11, v59, v61
	v_dual_fma_f32 v61, v184, v96, -v65 :: v_dual_add_f32 v7, v7, v13
	v_dual_mul_f32 v19, v188, v101 :: v_dual_mul_f32 v21, v190, v103
	s_delay_alu instid0(VALU_DEP_3) | instskip(SKIP_1) | instid1(VALU_DEP_4)
	v_add_f32_e32 v11, v11, v63
	v_dual_fmac_f32 v17, v187, v98 :: v_dual_fma_f32 v63, v186, v98, -v67
	v_dual_add_f32 v7, v7, v15 :: v_dual_mul_f32 v23, v192, v105
	s_wait_loadcnt_dscnt 0xe08
	v_mul_f32_e32 v25, v194, v107
	s_wait_loadcnt_dscnt 0xd07
	v_dual_mul_f32 v13, v199, v111 :: v_dual_fmac_f32 v19, v189, v100
	v_mul_f32_e32 v15, v201, v113
	v_dual_add_f32 v11, v11, v61 :: v_dual_fma_f32 v61, v188, v100, -v69
	v_dual_add_f32 v7, v7, v17 :: v_dual_fmac_f32 v23, v193, v104
	v_dual_mul_f32 v27, v196, v109 :: v_dual_mul_f32 v29, v198, v111
	s_delay_alu instid0(VALU_DEP_3) | instskip(SKIP_1) | instid1(VALU_DEP_3)
	v_add_f32_e32 v11, v11, v63
	v_fmac_f32_e32 v21, v191, v102
	v_dual_add_f32 v7, v7, v19 :: v_dual_fmac_f32 v27, v197, v108
	v_dual_mul_f32 v75, v195, v107 :: v_dual_mul_f32 v59, v197, v109
	s_delay_alu instid0(VALU_DEP_4) | instskip(NEXT) | instid1(VALU_DEP_3)
	v_dual_fma_f32 v63, v190, v102, -v71 :: v_dual_add_f32 v11, v11, v61
	v_dual_add_f32 v7, v7, v21 :: v_dual_fma_f32 v13, v198, v110, -v13
	s_wait_loadcnt_dscnt 0xc06
	v_mul_f32_e32 v17, v203, v115
	v_dual_fmac_f32 v25, v195, v106 :: v_dual_fma_f32 v15, v200, v112, -v15
	v_dual_fma_f32 v59, v196, v108, -v59 :: v_dual_add_f32 v11, v11, v63
	v_dual_fma_f32 v63, v194, v106, -v75 :: v_dual_add_f32 v7, v7, v23
	s_delay_alu instid0(VALU_DEP_4) | instskip(SKIP_3) | instid1(VALU_DEP_3)
	v_dual_fma_f32 v17, v202, v114, -v17 :: v_dual_mul_f32 v19, v205, v117
	v_fma_f32 v61, v192, v104, -v73
	s_wait_loadcnt_dscnt 0xb05
	v_dual_mul_f32 v35, v204, v117 :: v_dual_mul_f32 v37, v206, v119
	v_dual_add_f32 v7, v7, v25 :: v_dual_fma_f32 v19, v204, v116, -v19
	s_wait_loadcnt_dscnt 0xa04
	v_dual_mul_f32 v39, v208, v121 :: v_dual_mul_f32 v41, v210, v123
	s_delay_alu instid0(VALU_DEP_2)
	v_dual_fmac_f32 v35, v205, v116 :: v_dual_add_f32 v7, v7, v27
	v_mul_f32_e32 v27, v213, v125
	v_add_f32_e32 v11, v11, v61
	v_mul_f32_e32 v23, v209, v121
	s_wait_loadcnt_dscnt 0x903
	v_dual_mul_f32 v43, v212, v125 :: v_dual_mul_f32 v45, v214, v127
	v_dual_mul_f32 v31, v200, v113 :: v_dual_mul_f32 v33, v202, v115
	s_delay_alu instid0(VALU_DEP_3) | instskip(NEXT) | instid1(VALU_DEP_3)
	v_dual_add_f32 v11, v11, v63 :: v_dual_fma_f32 v23, v208, v120, -v23
	v_dual_fmac_f32 v43, v213, v124 :: v_dual_mul_f32 v21, v207, v119
	s_delay_alu instid0(VALU_DEP_2) | instskip(SKIP_2) | instid1(VALU_DEP_3)
	v_dual_fmac_f32 v31, v201, v112 :: v_dual_add_f32 v11, v11, v59
	s_wait_loadcnt_dscnt 0x701
	v_dual_mul_f32 v51, v220, v133 :: v_dual_mul_f32 v53, v222, v135
	v_dual_mul_f32 v25, v211, v123 :: v_dual_fma_f32 v21, v206, v118, -v21
	s_delay_alu instid0(VALU_DEP_3) | instskip(NEXT) | instid1(VALU_DEP_3)
	v_add_f32_e32 v11, v11, v13
	v_dual_fmac_f32 v29, v199, v110 :: v_dual_fmac_f32 v51, v221, v132
	s_delay_alu instid0(VALU_DEP_3) | instskip(NEXT) | instid1(VALU_DEP_3)
	v_dual_fmac_f32 v39, v209, v120 :: v_dual_fma_f32 v25, v210, v122, -v25
	v_dual_add_f32 v11, v11, v15 :: v_dual_mul_f32 v15, v217, v129
	s_wait_loadcnt 0x5
	v_dual_mul_f32 v241, v172, v141 :: v_dual_mul_f32 v243, v158, v143
	v_mul_f32_e32 v13, v215, v127
	s_delay_alu instid0(VALU_DEP_3) | instskip(SKIP_2) | instid1(VALU_DEP_3)
	v_dual_add_f32 v11, v11, v17 :: v_dual_fma_f32 v15, v216, v128, -v15
	v_dual_fmac_f32 v33, v203, v114 :: v_dual_fma_f32 v27, v212, v124, -v27
	v_dual_mul_f32 v47, v216, v129 :: v_dual_mul_f32 v49, v218, v131
	v_dual_add_f32 v11, v11, v19 :: v_dual_mul_f32 v19, v221, v133
	v_dual_add_f32 v7, v7, v29 :: v_dual_fmac_f32 v241, v173, v140
	s_delay_alu instid0(VALU_DEP_3) | instskip(NEXT) | instid1(VALU_DEP_3)
	v_dual_mul_f32 v17, v219, v131 :: v_dual_fmac_f32 v49, v219, v130
	v_add_f32_e32 v11, v11, v21
	v_dual_fmac_f32 v37, v207, v118 :: v_dual_mov_b32 v90, v145
	s_delay_alu instid0(VALU_DEP_3) | instskip(NEXT) | instid1(VALU_DEP_3)
	v_dual_fmac_f32 v47, v217, v128 :: v_dual_fma_f32 v17, v218, v130, -v17
	v_dual_add_f32 v11, v11, v23 :: v_dual_mul_f32 v23, v225, v137
	v_dual_add_f32 v7, v7, v31 :: v_dual_fma_f32 v13, v214, v126, -v13
	v_dual_mul_f32 v55, v224, v137 :: v_dual_mul_f32 v57, v170, v139
	s_delay_alu instid0(VALU_DEP_3) | instskip(NEXT) | instid1(VALU_DEP_3)
	v_add_f32_e32 v11, v11, v25
	v_add_f32_e32 v7, v7, v33
	v_dual_mul_f32 v21, v223, v135 :: v_dual_fmac_f32 v53, v223, v134
	s_wait_loadcnt 0x4
	v_dual_fmac_f32 v41, v211, v122 :: v_dual_mov_b32 v94, v149
	v_add_f32_e32 v11, v11, v27
	v_add_f32_e32 v7, v7, v35
	v_dual_mul_f32 v25, v171, v139 :: v_dual_fmac_f32 v57, v171, v138
	s_delay_alu instid0(VALU_DEP_3) | instskip(NEXT) | instid1(VALU_DEP_3)
	v_dual_fmac_f32 v55, v225, v136 :: v_dual_add_f32 v11, v11, v13
	v_add_f32_e32 v7, v7, v37
	v_dual_mul_f32 v27, v173, v141 :: v_dual_fmac_f32 v45, v215, v126
	v_pk_mul_f32 v[92:93], v[162:163], v[146:147] op_sel:[1,1] op_sel_hi:[0,1]
	s_delay_alu instid0(VALU_DEP_4) | instskip(NEXT) | instid1(VALU_DEP_3)
	v_dual_add_f32 v11, v11, v15 :: v_dual_fma_f32 v15, v220, v132, -v19
	v_dual_add_f32 v7, v7, v39 :: v_dual_fma_f32 v240, v172, v140, -v27
	s_wait_loadcnt 0x3
	s_delay_alu instid0(VALU_DEP_2) | instskip(NEXT) | instid1(VALU_DEP_2)
	v_dual_mov_b32 v100, v153 :: v_dual_add_f32 v11, v11, v17
	v_dual_fma_f32 v17, v222, v134, -v21 :: v_dual_add_f32 v7, v7, v41
	v_pk_fma_f32 v[104:105], v[162:163], v[146:147], v[92:93] op_sel_hi:[1,0,1]
	v_pk_fma_f32 v[92:93], v[162:163], v[146:147], v[92:93] neg_lo:[0,0,1] neg_hi:[0,0,1]
	s_delay_alu instid0(VALU_DEP_4) | instskip(SKIP_1) | instid1(VALU_DEP_2)
	v_dual_add_f32 v11, v11, v15 :: v_dual_fma_f32 v15, v224, v136, -v23
	v_dual_mul_f32 v13, v159, v143 :: v_dual_fmac_f32 v243, v159, v142
	v_dual_mov_b32 v93, v105 :: v_dual_add_f32 v11, v11, v17
	v_dual_fma_f32 v17, v170, v138, -v25 :: v_dual_add_f32 v7, v7, v43
	v_pk_mul_f32 v[90:91], v[232:233], v[90:91] op_sel_hi:[1,0]
	s_delay_alu instid0(VALU_DEP_3) | instskip(SKIP_1) | instid1(VALU_DEP_4)
	v_dual_fma_f32 v242, v158, v142, -v13 :: v_dual_add_f32 v11, v11, v15
	v_pk_mul_f32 v[94:95], v[234:235], v[94:95] op_sel_hi:[1,0]
	v_add_f32_e32 v7, v7, v45
	s_delay_alu instid0(VALU_DEP_4)
	v_pk_fma_f32 v[102:103], v[160:161], v[144:145], v[90:91] op_sel_hi:[1,0,1]
	v_pk_fma_f32 v[90:91], v[160:161], v[144:145], v[90:91] neg_lo:[0,0,1] neg_hi:[0,0,1]
	v_add_f32_e32 v98, v11, v17
	v_pk_mul_f32 v[96:97], v[166:167], v[150:151] op_sel:[1,1] op_sel_hi:[0,1]
	v_add_f32_e32 v7, v7, v47
	v_mov_b32_e32 v91, v103
	v_pk_fma_f32 v[104:105], v[164:165], v[148:149], v[94:95] op_sel_hi:[1,0,1]
	v_pk_fma_f32 v[94:95], v[164:165], v[148:149], v[94:95] neg_lo:[0,0,1] neg_hi:[0,0,1]
	v_pk_mul_f32 v[100:101], v[236:237], v[100:101] op_sel_hi:[1,0]
	v_add_f32_e32 v7, v7, v49
	s_wait_loadcnt 0x2
	v_pk_mul_f32 v[102:103], v[174:175], v[154:155] op_sel:[1,1] op_sel_hi:[0,1]
	s_delay_alu instid0(VALU_DEP_2) | instskip(NEXT) | instid1(VALU_DEP_1)
	v_dual_mov_b32 v95, v105 :: v_dual_add_f32 v7, v7, v51
	v_add_f32_e32 v7, v7, v53
	s_delay_alu instid0(VALU_DEP_1) | instskip(NEXT) | instid1(VALU_DEP_1)
	v_add_f32_e32 v7, v7, v55
	v_add_f32_e32 v99, v7, v57
	s_delay_alu instid0(VALU_DEP_1) | instskip(NEXT) | instid1(VALU_DEP_1)
	v_pk_add_f32 v[98:99], v[98:99], v[240:241]
	v_pk_add_f32 v[98:99], v[98:99], v[242:243]
	s_delay_alu instid0(VALU_DEP_1) | instskip(SKIP_2) | instid1(VALU_DEP_3)
	v_pk_add_f32 v[90:91], v[98:99], v[90:91]
	v_pk_fma_f32 v[98:99], v[166:167], v[150:151], v[96:97] op_sel_hi:[1,0,1]
	v_pk_fma_f32 v[96:97], v[166:167], v[150:151], v[96:97] neg_lo:[0,0,1] neg_hi:[0,0,1]
	v_pk_add_f32 v[90:91], v[90:91], v[92:93]
	s_delay_alu instid0(VALU_DEP_3) | instskip(SKIP_2) | instid1(VALU_DEP_4)
	v_dual_mov_b32 v92, v157 :: v_dual_mov_b32 v97, v99
	v_pk_fma_f32 v[98:99], v[168:169], v[152:153], v[100:101] op_sel_hi:[1,0,1]
	v_pk_fma_f32 v[100:101], v[168:169], v[152:153], v[100:101] neg_lo:[0,0,1] neg_hi:[0,0,1]
	v_pk_add_f32 v[90:91], v[90:91], v[94:95]
	v_pk_fma_f32 v[94:95], v[174:175], v[154:155], v[102:103] op_sel_hi:[1,0,1]
	v_pk_mul_f32 v[92:93], v[238:239], v[92:93] op_sel_hi:[1,0]
	v_mov_b32_e32 v101, v99
	s_wait_loadcnt_dscnt 0x100
	v_pk_mul_f32 v[98:99], v[230:231], v[226:227] op_sel:[1,1] op_sel_hi:[0,1]
	v_pk_add_f32 v[90:91], v[90:91], v[96:97]
	v_pk_fma_f32 v[96:97], v[174:175], v[154:155], v[102:103] neg_lo:[0,0,1] neg_hi:[0,0,1]
	v_mov_b32_e32 v97, v95
	v_pk_fma_f32 v[94:95], v[176:177], v[156:157], v[92:93] op_sel_hi:[1,0,1]
	v_pk_fma_f32 v[92:93], v[176:177], v[156:157], v[92:93] neg_lo:[0,0,1] neg_hi:[0,0,1]
	v_pk_add_f32 v[90:91], v[90:91], v[100:101]
	s_delay_alu instid0(VALU_DEP_3) | instskip(SKIP_1) | instid1(VALU_DEP_3)
	v_mov_b32_e32 v93, v95
	v_pk_fma_f32 v[94:95], v[230:231], v[226:227], v[98:99] op_sel_hi:[1,0,1]
	v_pk_add_f32 v[90:91], v[90:91], v[96:97]
	v_pk_fma_f32 v[96:97], v[230:231], v[226:227], v[98:99] neg_lo:[0,0,1] neg_hi:[0,0,1]
	s_delay_alu instid0(VALU_DEP_3) | instskip(NEXT) | instid1(VALU_DEP_3)
	v_mov_b32_e32 v97, v95
	v_pk_add_f32 v[90:91], v[90:91], v[92:93]
	s_delay_alu instid0(VALU_DEP_1) | instskip(SKIP_1) | instid1(VALU_DEP_1)
	v_pk_add_f32 v[90:91], v[90:91], v[96:97]
	s_wait_loadcnt 0x0
	v_pk_add_f32 v[90:91], v[228:229], v[90:91] neg_lo:[0,1] neg_hi:[0,1]
	scratch_store_b64 off, v[90:91], off offset:64
	s_wait_xcnt 0x0
	v_cmpx_lt_u32_e32 7, v0
	s_cbranch_execz .LBB43_263
; %bb.262:
	scratch_load_b64 v[90:91], off, off offset:56
	v_mov_b64_e32 v[92:93], 0
	scratch_store_b64 off, v[92:93], off offset:56
	s_wait_loadcnt 0x0
	ds_store_b64 v1, v[90:91]
.LBB43_263:
	s_wait_xcnt 0x0
	s_or_b32 exec_lo, exec_lo, s0
	s_wait_storecnt_dscnt 0x0
	s_barrier_signal -1
	s_barrier_wait -1
	s_clause 0x12
	scratch_load_b128 v[90:93], off, off offset:64
	scratch_load_b128 v[94:97], off, off offset:80
	;; [unrolled: 1-line block ×18, first 2 shown]
	scratch_load_b64 v[234:235], off, off offset:56
	ds_load_b128 v[162:165], v5 offset:640
	ds_load_b128 v[166:169], v5 offset:656
	;; [unrolled: 1-line block ×18, first 2 shown]
	s_mov_b32 s0, exec_lo
	s_wait_dscnt 0x11
	v_dual_mov_b32 v236, v165 :: v_dual_mov_b32 v237, v164
	s_wait_dscnt 0x10
	v_dual_mov_b32 v238, v169 :: v_dual_mov_b32 v239, v168
	;; [unrolled: 2-line block ×4, first 2 shown]
	s_wait_loadcnt_dscnt 0x120d
	v_dual_mul_f32 v5, v178, v91 :: v_dual_mul_f32 v7, v180, v93
	v_dual_mul_f32 v59, v179, v91 :: v_dual_mul_f32 v61, v181, v93
	s_wait_loadcnt_dscnt 0x110c
	v_dual_mul_f32 v11, v182, v95 :: v_dual_mul_f32 v13, v184, v97
	s_delay_alu instid0(VALU_DEP_2) | instskip(SKIP_3) | instid1(VALU_DEP_3)
	v_dual_fmac_f32 v5, v179, v90 :: v_dual_fma_f32 v59, v178, v90, -v59
	v_dual_mul_f32 v63, v183, v95 :: v_dual_mul_f32 v65, v185, v97
	s_wait_loadcnt_dscnt 0xf0a
	v_dual_mul_f32 v71, v191, v103 :: v_dual_fmac_f32 v7, v181, v92
	v_dual_fma_f32 v61, v180, v92, -v61 :: v_dual_add_f32 v5, 0, v5
	v_dual_add_f32 v59, 0, v59 :: v_dual_mul_f32 v73, v193, v105
	v_fmac_f32_e32 v11, v183, v94
	s_delay_alu instid0(VALU_DEP_3) | instskip(NEXT) | instid1(VALU_DEP_3)
	v_dual_fma_f32 v63, v182, v94, -v63 :: v_dual_add_f32 v5, v5, v7
	v_dual_add_f32 v7, v59, v61 :: v_dual_mul_f32 v15, v186, v99
	v_dual_mul_f32 v17, v188, v101 :: v_dual_mul_f32 v67, v187, v99
	s_wait_loadcnt_dscnt 0xe09
	v_dual_mul_f32 v69, v189, v101 :: v_dual_mul_f32 v59, v195, v107
	v_fmac_f32_e32 v13, v185, v96
	v_dual_fma_f32 v61, v184, v96, -v65 :: v_dual_add_f32 v5, v5, v11
	v_dual_add_f32 v7, v7, v63 :: v_dual_mul_f32 v11, v197, v109
	v_fmac_f32_e32 v15, v187, v98
	s_delay_alu instid0(VALU_DEP_3) | instskip(NEXT) | instid1(VALU_DEP_3)
	v_dual_fma_f32 v63, v186, v98, -v67 :: v_dual_add_f32 v5, v5, v13
	v_dual_add_f32 v7, v7, v61 :: v_dual_mul_f32 v19, v190, v103
	s_wait_loadcnt_dscnt 0xd08
	v_dual_mul_f32 v21, v192, v105 :: v_dual_mul_f32 v13, v199, v111
	v_fmac_f32_e32 v17, v189, v100
	v_dual_fma_f32 v61, v188, v100, -v69 :: v_dual_add_f32 v5, v5, v15
	v_dual_add_f32 v7, v7, v63 :: v_dual_mul_f32 v15, v201, v113
	v_fmac_f32_e32 v19, v191, v102
	s_delay_alu instid0(VALU_DEP_3) | instskip(NEXT) | instid1(VALU_DEP_3)
	v_dual_fma_f32 v63, v190, v102, -v71 :: v_dual_add_f32 v5, v5, v17
	v_dual_add_f32 v7, v7, v61 :: v_dual_mul_f32 v23, v194, v107
	;; [unrolled: 9-line block ×3, first 2 shown]
	s_wait_loadcnt_dscnt 0xb06
	v_dual_mul_f32 v29, v200, v113 :: v_dual_mul_f32 v21, v207, v119
	v_dual_fmac_f32 v25, v197, v108 :: v_dual_fma_f32 v11, v196, v108, -v11
	v_add_f32_e32 v5, v5, v23
	v_dual_add_f32 v7, v7, v59 :: v_dual_mul_f32 v23, v209, v121
	v_dual_fmac_f32 v27, v199, v110 :: v_dual_fma_f32 v13, v198, v110, -v13
	s_delay_alu instid0(VALU_DEP_2) | instskip(SKIP_3) | instid1(VALU_DEP_3)
	v_dual_add_f32 v5, v5, v25 :: v_dual_add_f32 v7, v7, v11
	v_dual_mul_f32 v31, v202, v115 :: v_dual_mul_f32 v33, v204, v117
	s_wait_loadcnt_dscnt 0xa05
	v_dual_mul_f32 v11, v211, v123 :: v_dual_fmac_f32 v29, v201, v112
	v_dual_fma_f32 v15, v200, v112, -v15 :: v_dual_add_f32 v5, v5, v27
	v_dual_add_f32 v7, v7, v13 :: v_dual_fma_f32 v17, v202, v114, -v17
	v_dual_mul_f32 v13, v213, v125 :: v_dual_fmac_f32 v31, v203, v114
	s_delay_alu instid0(VALU_DEP_2) | instskip(SKIP_3) | instid1(VALU_DEP_3)
	v_dual_add_f32 v5, v5, v29 :: v_dual_add_f32 v7, v7, v15
	v_dual_mul_f32 v35, v206, v119 :: v_dual_mul_f32 v37, v208, v121
	s_wait_loadcnt_dscnt 0x904
	v_dual_mul_f32 v15, v215, v127 :: v_dual_fmac_f32 v33, v205, v116
	v_dual_fma_f32 v19, v204, v116, -v19 :: v_dual_add_f32 v5, v5, v31
	v_dual_add_f32 v7, v7, v17 :: v_dual_fma_f32 v21, v206, v118, -v21
	v_dual_mul_f32 v17, v217, v129 :: v_dual_fmac_f32 v35, v207, v118
	;; [unrolled: 8-line block ×3, first 2 shown]
	s_delay_alu instid0(VALU_DEP_2) | instskip(SKIP_3) | instid1(VALU_DEP_3)
	v_dual_add_f32 v5, v5, v37 :: v_dual_add_f32 v7, v7, v23
	v_dual_mul_f32 v43, v214, v127 :: v_dual_mul_f32 v45, v216, v129
	s_wait_loadcnt_dscnt 0x702
	v_dual_mul_f32 v23, v223, v135 :: v_dual_fmac_f32 v41, v213, v124
	v_dual_fma_f32 v13, v212, v124, -v13 :: v_dual_add_f32 v5, v5, v39
	v_dual_add_f32 v7, v7, v11 :: v_dual_mul_f32 v11, v225, v137
	v_fmac_f32_e32 v43, v215, v126
	s_delay_alu instid0(VALU_DEP_3) | instskip(NEXT) | instid1(VALU_DEP_3)
	v_dual_fma_f32 v15, v214, v126, -v15 :: v_dual_add_f32 v5, v5, v41
	v_dual_add_f32 v7, v7, v13 :: v_dual_mul_f32 v47, v218, v131
	s_wait_loadcnt_dscnt 0x601
	v_dual_mul_f32 v49, v220, v133 :: v_dual_mul_f32 v13, v227, v139
	v_fmac_f32_e32 v45, v217, v128
	v_dual_fma_f32 v17, v216, v128, -v17 :: v_dual_add_f32 v5, v5, v43
	v_dual_add_f32 v7, v7, v15 :: v_dual_mul_f32 v15, v229, v141
	v_fmac_f32_e32 v47, v219, v130
	s_delay_alu instid0(VALU_DEP_3) | instskip(NEXT) | instid1(VALU_DEP_3)
	v_dual_fma_f32 v19, v218, v130, -v19 :: v_dual_add_f32 v5, v5, v45
	v_dual_add_f32 v7, v7, v17 :: v_dual_mul_f32 v51, v222, v135
	s_wait_loadcnt_dscnt 0x500
	v_dual_mul_f32 v53, v224, v137 :: v_dual_mul_f32 v17, v231, v143
	v_fmac_f32_e32 v49, v221, v132
	v_dual_fma_f32 v21, v220, v132, -v21 :: v_dual_add_f32 v5, v5, v47
	v_dual_add_f32 v7, v7, v19 :: v_dual_mul_f32 v19, v233, v145
	v_fmac_f32_e32 v51, v223, v134
	s_delay_alu instid0(VALU_DEP_3) | instskip(NEXT) | instid1(VALU_DEP_3)
	v_dual_fma_f32 v23, v222, v134, -v23 :: v_dual_add_f32 v5, v5, v49
	v_dual_add_f32 v7, v7, v21 :: v_dual_mul_f32 v55, v226, v139
	v_dual_mul_f32 v57, v228, v141 :: v_dual_fmac_f32 v53, v225, v136
	s_delay_alu instid0(VALU_DEP_3) | instskip(NEXT) | instid1(VALU_DEP_3)
	v_dual_fma_f32 v11, v224, v136, -v11 :: v_dual_add_f32 v5, v5, v51
	v_fmac_f32_e32 v55, v227, v138
	s_wait_loadcnt 0x4
	v_dual_add_f32 v7, v7, v23 :: v_dual_mov_b32 v92, v149
	s_delay_alu instid0(VALU_DEP_3) | instskip(SKIP_1) | instid1(VALU_DEP_3)
	v_dual_fma_f32 v13, v226, v138, -v13 :: v_dual_add_f32 v5, v5, v53
	v_dual_mul_f32 v245, v230, v143 :: v_dual_mul_f32 v247, v232, v145
	v_dual_add_f32 v7, v7, v11 :: v_dual_fmac_f32 v57, v229, v140
	s_delay_alu instid0(VALU_DEP_3) | instskip(SKIP_2) | instid1(VALU_DEP_3)
	v_dual_fma_f32 v11, v228, v140, -v15 :: v_dual_add_f32 v5, v5, v55
	v_pk_mul_f32 v[90:91], v[162:163], v[146:147] op_sel:[1,1] op_sel_hi:[0,1]
	s_wait_loadcnt 0x3
	v_dual_add_f32 v7, v7, v13 :: v_dual_mov_b32 v96, v153
	s_delay_alu instid0(VALU_DEP_3) | instskip(NEXT) | instid1(VALU_DEP_2)
	v_dual_fmac_f32 v245, v231, v142 :: v_dual_add_f32 v99, v5, v57
	v_dual_fma_f32 v244, v230, v142, -v17 :: v_dual_add_f32 v98, v7, v11
	v_fmac_f32_e32 v247, v233, v144
	v_pk_fma_f32 v[100:101], v[162:163], v[146:147], v[90:91] op_sel_hi:[1,0,1]
	v_fma_f32 v246, v232, v144, -v19
	v_pk_mul_f32 v[92:93], v[236:237], v[92:93] op_sel_hi:[1,0]
	v_pk_add_f32 v[98:99], v[98:99], v[244:245]
	v_pk_fma_f32 v[90:91], v[162:163], v[146:147], v[90:91] neg_lo:[0,0,1] neg_hi:[0,0,1]
	v_pk_mul_f32 v[94:95], v[166:167], v[150:151] op_sel:[1,1] op_sel_hi:[0,1]
	v_mov_b32_e32 v91, v101
	v_pk_fma_f32 v[100:101], v[164:165], v[148:149], v[92:93] op_sel_hi:[1,0,1]
	v_pk_add_f32 v[98:99], v[98:99], v[246:247]
	v_pk_fma_f32 v[92:93], v[164:165], v[148:149], v[92:93] neg_lo:[0,0,1] neg_hi:[0,0,1]
	v_pk_fma_f32 v[104:105], v[166:167], v[150:151], v[94:95] op_sel_hi:[1,0,1]
	v_pk_mul_f32 v[96:97], v[238:239], v[96:97] op_sel_hi:[1,0]
	v_mov_b32_e32 v93, v101
	v_pk_add_f32 v[90:91], v[98:99], v[90:91]
	s_wait_loadcnt 0x2
	v_pk_mul_f32 v[102:103], v[170:171], v[154:155] op_sel:[1,1] op_sel_hi:[0,1]
	v_mov_b32_e32 v98, v157
	v_pk_fma_f32 v[94:95], v[166:167], v[150:151], v[94:95] neg_lo:[0,0,1] neg_hi:[0,0,1]
	v_pk_fma_f32 v[100:101], v[168:169], v[152:153], v[96:97] op_sel_hi:[1,0,1]
	v_mov_b32_e32 v95, v105
	v_pk_add_f32 v[90:91], v[90:91], v[92:93]
	v_pk_fma_f32 v[92:93], v[170:171], v[154:155], v[102:103] op_sel_hi:[1,0,1]
	v_pk_mul_f32 v[98:99], v[240:241], v[98:99] op_sel_hi:[1,0]
	v_pk_fma_f32 v[96:97], v[168:169], v[152:153], v[96:97] neg_lo:[0,0,1] neg_hi:[0,0,1]
	v_mov_b32_e32 v97, v101
	v_pk_add_f32 v[90:91], v[90:91], v[94:95]
	v_pk_fma_f32 v[100:101], v[170:171], v[154:155], v[102:103] neg_lo:[0,0,1] neg_hi:[0,0,1]
	v_mov_b32_e32 v101, v93
	v_pk_fma_f32 v[92:93], v[172:173], v[156:157], v[98:99] op_sel_hi:[1,0,1]
	s_wait_loadcnt 0x1
	v_pk_mul_f32 v[94:95], v[174:175], v[158:159] op_sel:[1,1] op_sel_hi:[0,1]
	v_pk_add_f32 v[90:91], v[90:91], v[96:97]
	v_mov_b32_e32 v92, v161
	v_pk_fma_f32 v[98:99], v[172:173], v[156:157], v[98:99] neg_lo:[0,0,1] neg_hi:[0,0,1]
	s_delay_alu instid0(VALU_DEP_4)
	v_pk_fma_f32 v[96:97], v[174:175], v[158:159], v[94:95] op_sel_hi:[1,0,1]
	v_mov_b32_e32 v99, v93
	v_pk_add_f32 v[90:91], v[90:91], v[100:101]
	v_pk_mul_f32 v[92:93], v[242:243], v[92:93] op_sel_hi:[1,0]
	v_pk_fma_f32 v[94:95], v[174:175], v[158:159], v[94:95] neg_lo:[0,0,1] neg_hi:[0,0,1]
	v_mov_b32_e32 v95, v97
	s_delay_alu instid0(VALU_DEP_4) | instskip(NEXT) | instid1(VALU_DEP_4)
	v_pk_add_f32 v[90:91], v[90:91], v[98:99]
	v_pk_fma_f32 v[96:97], v[176:177], v[160:161], v[92:93] op_sel_hi:[1,0,1]
	v_pk_fma_f32 v[92:93], v[176:177], v[160:161], v[92:93] neg_lo:[0,0,1] neg_hi:[0,0,1]
	s_delay_alu instid0(VALU_DEP_3) | instskip(NEXT) | instid1(VALU_DEP_3)
	v_pk_add_f32 v[90:91], v[90:91], v[94:95]
	v_mov_b32_e32 v93, v97
	s_delay_alu instid0(VALU_DEP_1) | instskip(SKIP_1) | instid1(VALU_DEP_1)
	v_pk_add_f32 v[90:91], v[90:91], v[92:93]
	s_wait_loadcnt 0x0
	v_pk_add_f32 v[90:91], v[234:235], v[90:91] neg_lo:[0,1] neg_hi:[0,1]
	scratch_store_b64 off, v[90:91], off offset:56
	s_wait_xcnt 0x0
	v_cmpx_lt_u32_e32 6, v0
	s_cbranch_execz .LBB43_265
; %bb.264:
	scratch_load_b64 v[90:91], off, off offset:48
	v_mov_b64_e32 v[92:93], 0
	scratch_store_b64 off, v[92:93], off offset:48
	s_wait_loadcnt 0x0
	ds_store_b64 v1, v[90:91]
.LBB43_265:
	s_wait_xcnt 0x0
	s_or_b32 exec_lo, exec_lo, s0
	s_wait_storecnt_dscnt 0x0
	s_barrier_signal -1
	s_barrier_wait -1
	s_clause 0x13
	scratch_load_b128 v[90:93], off, off offset:56
	scratch_load_b128 v[94:97], off, off offset:72
	scratch_load_b128 v[98:101], off, off offset:88
	scratch_load_b128 v[102:105], off, off offset:104
	scratch_load_b128 v[106:109], off, off offset:120
	scratch_load_b128 v[110:113], off, off offset:136
	scratch_load_b128 v[114:117], off, off offset:152
	scratch_load_b128 v[118:121], off, off offset:168
	scratch_load_b128 v[122:125], off, off offset:184
	scratch_load_b128 v[126:129], off, off offset:200
	scratch_load_b128 v[130:133], off, off offset:216
	scratch_load_b128 v[134:137], off, off offset:232
	scratch_load_b128 v[138:141], off, off offset:248
	scratch_load_b128 v[142:145], off, off offset:264
	scratch_load_b128 v[146:149], off, off offset:280
	scratch_load_b128 v[150:153], off, off offset:296
	scratch_load_b128 v[154:157], off, off offset:312
	scratch_load_b128 v[158:161], off, off offset:328
	scratch_load_b64 v[234:235], off, off offset:344
	scratch_load_b64 v[236:237], off, off offset:48
	v_mov_b32_e32 v5, 0
	ds_load_2addr_b64 v[162:165], v5 offset0:79 offset1:80
	ds_load_2addr_b64 v[166:169], v5 offset0:81 offset1:82
	;; [unrolled: 1-line block ×18, first 2 shown]
	ds_load_b64 v[238:239], v5 offset:696
	s_mov_b32 s0, exec_lo
	s_wait_dscnt 0x12
	v_dual_mov_b32 v240, v165 :: v_dual_mov_b32 v241, v164
	s_wait_dscnt 0x11
	v_dual_mov_b32 v242, v169 :: v_dual_mov_b32 v243, v168
	;; [unrolled: 2-line block ×3, first 2 shown]
	v_dual_mov_b32 v245, v172 :: v_dual_mov_b32 v246, v185
	s_wait_loadcnt 0x13
	v_dual_mul_f32 v7, v174, v91 :: v_dual_mul_f32 v11, v176, v93
	s_wait_loadcnt 0x12
	v_mul_f32_e32 v13, v178, v95
	v_dual_mul_f32 v63, v175, v91 :: v_dual_mul_f32 v65, v177, v93
	s_wait_loadcnt_dscnt 0x100b
	v_dual_fmac_f32 v7, v175, v90 :: v_dual_mul_f32 v77, v193, v105
	s_delay_alu instid0(VALU_DEP_2) | instskip(NEXT) | instid1(VALU_DEP_3)
	v_dual_mul_f32 v75, v191, v103 :: v_dual_fma_f32 v63, v174, v90, -v63
	v_dual_fmac_f32 v11, v177, v92 :: v_dual_fma_f32 v65, v176, v92, -v65
	s_delay_alu instid0(VALU_DEP_3) | instskip(SKIP_3) | instid1(VALU_DEP_3)
	v_dual_add_f32 v7, 0, v7 :: v_dual_fmac_f32 v13, v179, v94
	v_dual_mul_f32 v15, v180, v97 :: v_dual_mul_f32 v17, v186, v99
	v_dual_mul_f32 v67, v179, v95 :: v_dual_mul_f32 v69, v181, v97
	v_add_f32_e32 v63, 0, v63
	v_dual_add_f32 v7, v7, v11 :: v_dual_fmac_f32 v15, v181, v96
	v_dual_mul_f32 v71, v187, v99 :: v_dual_mul_f32 v73, v189, v101
	s_delay_alu instid0(VALU_DEP_3) | instskip(NEXT) | instid1(VALU_DEP_3)
	v_dual_fma_f32 v67, v178, v94, -v67 :: v_dual_add_f32 v11, v63, v65
	v_dual_fma_f32 v65, v180, v96, -v69 :: v_dual_add_f32 v7, v7, v13
	v_dual_mul_f32 v19, v188, v101 :: v_dual_mul_f32 v21, v190, v103
	s_delay_alu instid0(VALU_DEP_3) | instskip(SKIP_1) | instid1(VALU_DEP_4)
	v_add_f32_e32 v11, v11, v67
	v_dual_fmac_f32 v17, v187, v98 :: v_dual_fma_f32 v67, v186, v98, -v71
	v_dual_add_f32 v7, v7, v15 :: v_dual_mul_f32 v23, v192, v105
	s_wait_loadcnt_dscnt 0xf0a
	v_mul_f32_e32 v25, v194, v107
	s_wait_loadcnt_dscnt 0xe09
	v_dual_mul_f32 v13, v199, v111 :: v_dual_fmac_f32 v19, v189, v100
	v_mul_f32_e32 v15, v201, v113
	v_dual_add_f32 v11, v11, v65 :: v_dual_fma_f32 v65, v188, v100, -v73
	v_dual_add_f32 v7, v7, v17 :: v_dual_fmac_f32 v23, v193, v104
	v_dual_mul_f32 v27, v196, v109 :: v_dual_mul_f32 v29, v198, v111
	s_delay_alu instid0(VALU_DEP_3) | instskip(SKIP_1) | instid1(VALU_DEP_3)
	v_add_f32_e32 v11, v11, v67
	v_fmac_f32_e32 v21, v191, v102
	v_dual_add_f32 v7, v7, v19 :: v_dual_fmac_f32 v27, v197, v108
	v_dual_mul_f32 v79, v195, v107 :: v_dual_mul_f32 v63, v197, v109
	s_delay_alu instid0(VALU_DEP_4) | instskip(NEXT) | instid1(VALU_DEP_3)
	v_dual_fma_f32 v67, v190, v102, -v75 :: v_dual_add_f32 v11, v11, v65
	v_dual_add_f32 v7, v7, v21 :: v_dual_fma_f32 v13, v198, v110, -v13
	s_wait_loadcnt_dscnt 0xd08
	v_mul_f32_e32 v17, v203, v115
	v_dual_fmac_f32 v25, v195, v106 :: v_dual_fma_f32 v15, v200, v112, -v15
	v_dual_fma_f32 v63, v196, v108, -v63 :: v_dual_add_f32 v11, v11, v67
	v_dual_fma_f32 v67, v194, v106, -v79 :: v_dual_add_f32 v7, v7, v23
	s_delay_alu instid0(VALU_DEP_4) | instskip(SKIP_3) | instid1(VALU_DEP_3)
	v_dual_fma_f32 v17, v202, v114, -v17 :: v_dual_mul_f32 v19, v205, v117
	v_fma_f32 v65, v192, v104, -v77
	s_wait_loadcnt_dscnt 0xc07
	v_dual_mul_f32 v35, v204, v117 :: v_dual_mul_f32 v37, v206, v119
	v_dual_add_f32 v7, v7, v25 :: v_dual_fma_f32 v19, v204, v116, -v19
	s_wait_loadcnt_dscnt 0xb06
	v_dual_mul_f32 v39, v208, v121 :: v_dual_mul_f32 v41, v210, v123
	s_delay_alu instid0(VALU_DEP_2)
	v_dual_fmac_f32 v35, v205, v116 :: v_dual_add_f32 v7, v7, v27
	v_mul_f32_e32 v27, v213, v125
	v_add_f32_e32 v11, v11, v65
	v_mul_f32_e32 v23, v209, v121
	s_wait_loadcnt_dscnt 0xa05
	v_dual_mul_f32 v43, v212, v125 :: v_dual_mul_f32 v45, v214, v127
	v_dual_mul_f32 v31, v200, v113 :: v_dual_mul_f32 v33, v202, v115
	s_delay_alu instid0(VALU_DEP_3) | instskip(NEXT) | instid1(VALU_DEP_3)
	v_dual_add_f32 v11, v11, v67 :: v_dual_fma_f32 v23, v208, v120, -v23
	v_dual_fmac_f32 v43, v213, v124 :: v_dual_mul_f32 v21, v207, v119
	s_delay_alu instid0(VALU_DEP_2) | instskip(SKIP_2) | instid1(VALU_DEP_3)
	v_dual_fmac_f32 v31, v201, v112 :: v_dual_add_f32 v11, v11, v63
	s_wait_loadcnt_dscnt 0x803
	v_dual_mul_f32 v51, v220, v133 :: v_dual_mul_f32 v53, v222, v135
	v_dual_mul_f32 v25, v211, v123 :: v_dual_fma_f32 v21, v206, v118, -v21
	s_delay_alu instid0(VALU_DEP_3) | instskip(NEXT) | instid1(VALU_DEP_3)
	v_add_f32_e32 v11, v11, v13
	v_dual_fmac_f32 v29, v199, v110 :: v_dual_fmac_f32 v51, v221, v132
	s_delay_alu instid0(VALU_DEP_3) | instskip(NEXT) | instid1(VALU_DEP_3)
	v_dual_fmac_f32 v39, v209, v120 :: v_dual_fma_f32 v25, v210, v122, -v25
	v_dual_add_f32 v11, v11, v15 :: v_dual_mul_f32 v15, v217, v129
	v_fmac_f32_e32 v53, v223, v134
	v_mul_f32_e32 v13, v215, v127
	v_dual_fmac_f32 v33, v203, v114 :: v_dual_fma_f32 v27, v212, v124, -v27
	s_delay_alu instid0(VALU_DEP_4) | instskip(SKIP_2) | instid1(VALU_DEP_2)
	v_dual_add_f32 v11, v11, v17 :: v_dual_fma_f32 v15, v216, v128, -v15
	v_dual_mul_f32 v47, v216, v129 :: v_dual_mul_f32 v49, v218, v131
	s_wait_loadcnt 0x4
	v_dual_mov_b32 v94, v153 :: v_dual_add_f32 v11, v11, v19
	v_mul_f32_e32 v19, v221, v133
	v_add_f32_e32 v7, v7, v29
	v_dual_mul_f32 v17, v219, v131 :: v_dual_fmac_f32 v49, v219, v130
	s_delay_alu instid0(VALU_DEP_4) | instskip(SKIP_2) | instid1(VALU_DEP_4)
	v_add_f32_e32 v11, v11, v21
	v_mul_f32_e32 v21, v223, v135
	v_dual_fmac_f32 v37, v207, v118 :: v_dual_fmac_f32 v47, v217, v128
	v_dual_fma_f32 v17, v218, v130, -v17 :: v_dual_mul_f32 v55, v224, v137
	s_wait_dscnt 0x2
	v_mul_f32_e32 v57, v226, v139
	v_dual_fma_f32 v21, v222, v134, -v21 :: v_dual_add_f32 v11, v11, v23
	v_dual_mul_f32 v23, v225, v137 :: v_dual_add_f32 v7, v7, v31
	v_fma_f32 v13, v214, v126, -v13
	v_dual_fmac_f32 v41, v211, v122 :: v_dual_mov_b32 v90, v149
	s_delay_alu instid0(VALU_DEP_4) | instskip(NEXT) | instid1(VALU_DEP_4)
	v_add_f32_e32 v11, v11, v25
	v_dual_add_f32 v7, v7, v33 :: v_dual_fma_f32 v19, v220, v132, -v19
	v_dual_mul_f32 v25, v227, v139 :: v_dual_fmac_f32 v57, v227, v138
	s_delay_alu instid0(VALU_DEP_3) | instskip(NEXT) | instid1(VALU_DEP_3)
	v_add_f32_e32 v11, v11, v27
	v_dual_add_f32 v7, v7, v35 :: v_dual_fmac_f32 v55, v225, v136
	s_wait_dscnt 0x1
	v_dual_mul_f32 v59, v228, v141 :: v_dual_mul_f32 v61, v230, v143
	s_delay_alu instid0(VALU_DEP_3) | instskip(SKIP_2) | instid1(VALU_DEP_3)
	v_add_f32_e32 v11, v11, v13
	v_dual_fmac_f32 v45, v215, v126 :: v_dual_mul_f32 v27, v229, v141
	v_dual_mul_f32 v249, v232, v145 :: v_dual_mul_f32 v251, v162, v147
	v_dual_add_f32 v11, v11, v15 :: v_dual_mul_f32 v15, v233, v145
	v_dual_add_f32 v7, v7, v37 :: v_dual_fmac_f32 v59, v229, v140
	v_pk_mul_f32 v[92:93], v[166:167], v[150:151] op_sel:[1,1] op_sel_hi:[0,1]
	s_delay_alu instid0(VALU_DEP_3) | instskip(SKIP_1) | instid1(VALU_DEP_3)
	v_dual_add_f32 v11, v11, v17 :: v_dual_fmac_f32 v249, v233, v144
	s_wait_loadcnt 0x3
	v_dual_add_f32 v7, v7, v39 :: v_dual_mov_b32 v100, v157
	s_delay_alu instid0(VALU_DEP_3) | instskip(NEXT) | instid1(VALU_DEP_3)
	v_pk_fma_f32 v[104:105], v[166:167], v[150:151], v[92:93] op_sel_hi:[1,0,1]
	v_dual_add_f32 v11, v11, v19 :: v_dual_fma_f32 v19, v224, v136, -v23
	s_delay_alu instid0(VALU_DEP_3) | instskip(SKIP_1) | instid1(VALU_DEP_3)
	v_add_f32_e32 v7, v7, v41
	v_pk_fma_f32 v[92:93], v[166:167], v[150:151], v[92:93] neg_lo:[0,0,1] neg_hi:[0,0,1]
	v_dual_mov_b32 v93, v105 :: v_dual_add_f32 v11, v11, v21
	s_delay_alu instid0(VALU_DEP_3) | instskip(SKIP_1) | instid1(VALU_DEP_3)
	v_dual_fma_f32 v21, v226, v138, -v25 :: v_dual_add_f32 v7, v7, v43
	v_dual_mul_f32 v13, v231, v143 :: v_dual_fmac_f32 v61, v231, v142
	v_dual_add_f32 v11, v11, v19 :: v_dual_fma_f32 v19, v228, v140, -v27
	s_delay_alu instid0(VALU_DEP_2) | instskip(SKIP_1) | instid1(VALU_DEP_3)
	v_dual_add_f32 v7, v7, v45 :: v_dual_fma_f32 v13, v230, v142, -v13
	v_dual_mul_f32 v17, v163, v147 :: v_dual_fmac_f32 v251, v163, v146
	v_add_f32_e32 v11, v11, v21
	s_delay_alu instid0(VALU_DEP_3) | instskip(SKIP_1) | instid1(VALU_DEP_3)
	v_dual_add_f32 v7, v7, v47 :: v_dual_fma_f32 v248, v232, v144, -v15
	v_pk_mul_f32 v[90:91], v[240:241], v[90:91] op_sel_hi:[1,0]
	v_dual_fma_f32 v250, v162, v146, -v17 :: v_dual_add_f32 v11, v11, v19
	s_delay_alu instid0(VALU_DEP_3) | instskip(SKIP_1) | instid1(VALU_DEP_4)
	v_add_f32_e32 v7, v7, v49
	v_pk_mul_f32 v[94:95], v[242:243], v[94:95] op_sel_hi:[1,0]
	v_pk_fma_f32 v[102:103], v[164:165], v[148:149], v[90:91] op_sel_hi:[1,0,1]
	v_pk_fma_f32 v[90:91], v[164:165], v[148:149], v[90:91] neg_lo:[0,0,1] neg_hi:[0,0,1]
	v_add_f32_e32 v98, v11, v13
	v_add_f32_e32 v7, v7, v51
	v_pk_mul_f32 v[96:97], v[170:171], v[154:155] op_sel:[1,1] op_sel_hi:[0,1]
	v_mov_b32_e32 v91, v103
	v_pk_fma_f32 v[104:105], v[168:169], v[152:153], v[94:95] op_sel_hi:[1,0,1]
	v_pk_fma_f32 v[94:95], v[168:169], v[152:153], v[94:95] neg_lo:[0,0,1] neg_hi:[0,0,1]
	v_add_f32_e32 v7, v7, v53
	v_pk_mul_f32 v[100:101], v[244:245], v[100:101] op_sel_hi:[1,0]
	s_wait_loadcnt 0x2
	v_pk_mul_f32 v[102:103], v[182:183], v[158:159] op_sel:[1,1] op_sel_hi:[0,1]
	s_delay_alu instid0(VALU_DEP_3) | instskip(NEXT) | instid1(VALU_DEP_1)
	v_dual_mov_b32 v95, v105 :: v_dual_add_f32 v7, v7, v55
	v_add_f32_e32 v7, v7, v57
	s_delay_alu instid0(VALU_DEP_1) | instskip(NEXT) | instid1(VALU_DEP_1)
	v_add_f32_e32 v7, v7, v59
	v_add_f32_e32 v99, v7, v61
	s_delay_alu instid0(VALU_DEP_1) | instskip(NEXT) | instid1(VALU_DEP_1)
	v_pk_add_f32 v[98:99], v[98:99], v[248:249]
	v_pk_add_f32 v[98:99], v[98:99], v[250:251]
	s_delay_alu instid0(VALU_DEP_1) | instskip(SKIP_2) | instid1(VALU_DEP_3)
	v_pk_add_f32 v[90:91], v[98:99], v[90:91]
	v_pk_fma_f32 v[98:99], v[170:171], v[154:155], v[96:97] op_sel_hi:[1,0,1]
	v_pk_fma_f32 v[96:97], v[170:171], v[154:155], v[96:97] neg_lo:[0,0,1] neg_hi:[0,0,1]
	v_pk_add_f32 v[90:91], v[90:91], v[92:93]
	s_delay_alu instid0(VALU_DEP_3) | instskip(SKIP_2) | instid1(VALU_DEP_4)
	v_dual_mov_b32 v92, v161 :: v_dual_mov_b32 v97, v99
	v_pk_fma_f32 v[98:99], v[172:173], v[156:157], v[100:101] op_sel_hi:[1,0,1]
	v_pk_fma_f32 v[100:101], v[172:173], v[156:157], v[100:101] neg_lo:[0,0,1] neg_hi:[0,0,1]
	v_pk_add_f32 v[90:91], v[90:91], v[94:95]
	v_pk_fma_f32 v[94:95], v[182:183], v[158:159], v[102:103] op_sel_hi:[1,0,1]
	v_pk_mul_f32 v[92:93], v[246:247], v[92:93] op_sel_hi:[1,0]
	v_mov_b32_e32 v101, v99
	s_wait_loadcnt_dscnt 0x100
	v_pk_mul_f32 v[98:99], v[238:239], v[234:235] op_sel:[1,1] op_sel_hi:[0,1]
	v_pk_add_f32 v[90:91], v[90:91], v[96:97]
	v_pk_fma_f32 v[96:97], v[182:183], v[158:159], v[102:103] neg_lo:[0,0,1] neg_hi:[0,0,1]
	v_mov_b32_e32 v97, v95
	v_pk_fma_f32 v[94:95], v[184:185], v[160:161], v[92:93] op_sel_hi:[1,0,1]
	v_pk_fma_f32 v[92:93], v[184:185], v[160:161], v[92:93] neg_lo:[0,0,1] neg_hi:[0,0,1]
	v_pk_add_f32 v[90:91], v[90:91], v[100:101]
	s_delay_alu instid0(VALU_DEP_3) | instskip(SKIP_1) | instid1(VALU_DEP_3)
	v_mov_b32_e32 v93, v95
	v_pk_fma_f32 v[94:95], v[238:239], v[234:235], v[98:99] op_sel_hi:[1,0,1]
	v_pk_add_f32 v[90:91], v[90:91], v[96:97]
	v_pk_fma_f32 v[96:97], v[238:239], v[234:235], v[98:99] neg_lo:[0,0,1] neg_hi:[0,0,1]
	s_delay_alu instid0(VALU_DEP_3) | instskip(NEXT) | instid1(VALU_DEP_3)
	v_mov_b32_e32 v97, v95
	v_pk_add_f32 v[90:91], v[90:91], v[92:93]
	s_delay_alu instid0(VALU_DEP_1) | instskip(SKIP_1) | instid1(VALU_DEP_1)
	v_pk_add_f32 v[90:91], v[90:91], v[96:97]
	s_wait_loadcnt 0x0
	v_pk_add_f32 v[90:91], v[236:237], v[90:91] neg_lo:[0,1] neg_hi:[0,1]
	scratch_store_b64 off, v[90:91], off offset:48
	s_wait_xcnt 0x0
	v_cmpx_lt_u32_e32 5, v0
	s_cbranch_execz .LBB43_267
; %bb.266:
	scratch_load_b64 v[90:91], off, off offset:40
	v_mov_b64_e32 v[92:93], 0
	scratch_store_b64 off, v[92:93], off offset:40
	s_wait_loadcnt 0x0
	ds_store_b64 v1, v[90:91]
.LBB43_267:
	s_wait_xcnt 0x0
	s_or_b32 exec_lo, exec_lo, s0
	s_wait_storecnt_dscnt 0x0
	s_barrier_signal -1
	s_barrier_wait -1
	s_clause 0x13
	scratch_load_b128 v[90:93], off, off offset:48
	scratch_load_b128 v[94:97], off, off offset:64
	;; [unrolled: 1-line block ×19, first 2 shown]
	scratch_load_b64 v[242:243], off, off offset:40
	ds_load_b128 v[166:169], v5 offset:640
	ds_load_b128 v[170:173], v5 offset:656
	;; [unrolled: 1-line block ×19, first 2 shown]
	s_mov_b32 s0, exec_lo
	s_wait_dscnt 0x12
	v_dual_mov_b32 v244, v169 :: v_dual_mov_b32 v245, v168
	s_wait_dscnt 0x11
	v_dual_mov_b32 v246, v173 :: v_dual_mov_b32 v247, v172
	;; [unrolled: 2-line block ×4, first 2 shown]
	s_wait_loadcnt_dscnt 0x130d
	v_dual_mul_f32 v5, v186, v91 :: v_dual_mul_f32 v7, v188, v93
	v_dual_mul_f32 v63, v187, v91 :: v_dual_mul_f32 v65, v189, v93
	s_wait_loadcnt_dscnt 0x120c
	v_dual_mul_f32 v11, v190, v95 :: v_dual_mul_f32 v13, v192, v97
	s_delay_alu instid0(VALU_DEP_2) | instskip(SKIP_3) | instid1(VALU_DEP_3)
	v_dual_fmac_f32 v5, v187, v90 :: v_dual_fma_f32 v63, v186, v90, -v63
	v_dual_mul_f32 v67, v191, v95 :: v_dual_mul_f32 v69, v193, v97
	s_wait_loadcnt_dscnt 0x100a
	v_dual_mul_f32 v75, v199, v103 :: v_dual_fmac_f32 v7, v189, v92
	v_dual_fma_f32 v65, v188, v92, -v65 :: v_dual_add_f32 v5, 0, v5
	v_dual_add_f32 v63, 0, v63 :: v_dual_mul_f32 v77, v201, v105
	v_fmac_f32_e32 v11, v191, v94
	s_delay_alu instid0(VALU_DEP_3) | instskip(NEXT) | instid1(VALU_DEP_3)
	v_dual_fma_f32 v67, v190, v94, -v67 :: v_dual_add_f32 v5, v5, v7
	v_dual_add_f32 v7, v63, v65 :: v_dual_mul_f32 v15, v194, v99
	v_dual_mul_f32 v17, v196, v101 :: v_dual_mul_f32 v71, v195, v99
	s_wait_loadcnt_dscnt 0xf09
	v_dual_mul_f32 v73, v197, v101 :: v_dual_mul_f32 v63, v203, v107
	v_fmac_f32_e32 v13, v193, v96
	v_dual_fma_f32 v65, v192, v96, -v69 :: v_dual_add_f32 v5, v5, v11
	v_dual_add_f32 v7, v7, v67 :: v_dual_mul_f32 v11, v205, v109
	v_fmac_f32_e32 v15, v195, v98
	s_delay_alu instid0(VALU_DEP_3) | instskip(NEXT) | instid1(VALU_DEP_3)
	v_dual_fma_f32 v67, v194, v98, -v71 :: v_dual_add_f32 v5, v5, v13
	v_dual_add_f32 v7, v7, v65 :: v_dual_mul_f32 v19, v198, v103
	s_wait_loadcnt_dscnt 0xe08
	v_dual_mul_f32 v21, v200, v105 :: v_dual_mul_f32 v13, v207, v111
	v_fmac_f32_e32 v17, v197, v100
	v_dual_fma_f32 v65, v196, v100, -v73 :: v_dual_add_f32 v5, v5, v15
	v_dual_add_f32 v7, v7, v67 :: v_dual_mul_f32 v15, v209, v113
	v_fmac_f32_e32 v19, v199, v102
	s_delay_alu instid0(VALU_DEP_3) | instskip(NEXT) | instid1(VALU_DEP_3)
	v_dual_fma_f32 v67, v198, v102, -v75 :: v_dual_add_f32 v5, v5, v17
	v_dual_add_f32 v7, v7, v65 :: v_dual_mul_f32 v23, v202, v107
	;; [unrolled: 9-line block ×3, first 2 shown]
	s_wait_loadcnt_dscnt 0xc06
	v_dual_mul_f32 v29, v208, v113 :: v_dual_mul_f32 v21, v215, v119
	v_dual_fmac_f32 v25, v205, v108 :: v_dual_fma_f32 v11, v204, v108, -v11
	v_add_f32_e32 v5, v5, v23
	v_dual_add_f32 v7, v7, v63 :: v_dual_mul_f32 v23, v217, v121
	v_dual_fmac_f32 v27, v207, v110 :: v_dual_fma_f32 v13, v206, v110, -v13
	s_delay_alu instid0(VALU_DEP_2) | instskip(SKIP_3) | instid1(VALU_DEP_3)
	v_dual_add_f32 v5, v5, v25 :: v_dual_add_f32 v7, v7, v11
	v_dual_mul_f32 v31, v210, v115 :: v_dual_mul_f32 v33, v212, v117
	s_wait_loadcnt_dscnt 0xb05
	v_dual_mul_f32 v11, v219, v123 :: v_dual_fmac_f32 v29, v209, v112
	v_dual_fma_f32 v15, v208, v112, -v15 :: v_dual_add_f32 v5, v5, v27
	v_dual_add_f32 v7, v7, v13 :: v_dual_fma_f32 v17, v210, v114, -v17
	v_dual_mul_f32 v13, v221, v125 :: v_dual_fmac_f32 v31, v211, v114
	s_delay_alu instid0(VALU_DEP_2) | instskip(SKIP_3) | instid1(VALU_DEP_3)
	v_dual_add_f32 v5, v5, v29 :: v_dual_add_f32 v7, v7, v15
	v_dual_mul_f32 v35, v214, v119 :: v_dual_mul_f32 v37, v216, v121
	s_wait_loadcnt_dscnt 0xa04
	v_dual_mul_f32 v15, v223, v127 :: v_dual_fmac_f32 v33, v213, v116
	v_dual_fma_f32 v19, v212, v116, -v19 :: v_dual_add_f32 v5, v5, v31
	v_dual_add_f32 v7, v7, v17 :: v_dual_fma_f32 v21, v214, v118, -v21
	v_dual_mul_f32 v17, v225, v129 :: v_dual_fmac_f32 v35, v215, v118
	;; [unrolled: 8-line block ×3, first 2 shown]
	s_delay_alu instid0(VALU_DEP_2) | instskip(SKIP_3) | instid1(VALU_DEP_3)
	v_dual_add_f32 v5, v5, v37 :: v_dual_add_f32 v7, v7, v23
	v_dual_mul_f32 v43, v222, v127 :: v_dual_mul_f32 v45, v224, v129
	s_wait_loadcnt_dscnt 0x802
	v_dual_mul_f32 v23, v231, v135 :: v_dual_fmac_f32 v41, v221, v124
	v_dual_fma_f32 v13, v220, v124, -v13 :: v_dual_add_f32 v5, v5, v39
	v_dual_add_f32 v7, v7, v11 :: v_dual_mul_f32 v11, v233, v137
	v_fmac_f32_e32 v43, v223, v126
	s_delay_alu instid0(VALU_DEP_3) | instskip(NEXT) | instid1(VALU_DEP_3)
	v_dual_fma_f32 v15, v222, v126, -v15 :: v_dual_add_f32 v5, v5, v41
	v_dual_add_f32 v7, v7, v13 :: v_dual_mul_f32 v47, v226, v131
	s_wait_loadcnt_dscnt 0x701
	v_dual_mul_f32 v49, v228, v133 :: v_dual_mul_f32 v13, v235, v139
	v_fmac_f32_e32 v45, v225, v128
	v_dual_fma_f32 v17, v224, v128, -v17 :: v_dual_add_f32 v5, v5, v43
	v_dual_add_f32 v7, v7, v15 :: v_dual_mul_f32 v15, v237, v141
	v_fmac_f32_e32 v47, v227, v130
	s_delay_alu instid0(VALU_DEP_3) | instskip(NEXT) | instid1(VALU_DEP_3)
	v_dual_fma_f32 v19, v226, v130, -v19 :: v_dual_add_f32 v5, v5, v45
	v_dual_add_f32 v7, v7, v17 :: v_dual_mul_f32 v51, v230, v135
	s_wait_loadcnt_dscnt 0x600
	v_dual_mul_f32 v53, v232, v137 :: v_dual_mul_f32 v17, v239, v143
	v_fmac_f32_e32 v49, v229, v132
	v_dual_fma_f32 v21, v228, v132, -v21 :: v_dual_add_f32 v5, v5, v47
	v_dual_add_f32 v7, v7, v19 :: v_dual_mul_f32 v19, v241, v145
	v_fmac_f32_e32 v51, v231, v134
	s_delay_alu instid0(VALU_DEP_3) | instskip(NEXT) | instid1(VALU_DEP_3)
	v_dual_fma_f32 v23, v230, v134, -v23 :: v_dual_add_f32 v5, v5, v49
	v_dual_add_f32 v7, v7, v21 :: v_dual_mul_f32 v55, v234, v139
	s_wait_loadcnt 0x5
	v_dual_mul_f32 v57, v236, v141 :: v_dual_mul_f32 v21, v175, v147
	v_dual_fmac_f32 v53, v233, v136 :: v_dual_fma_f32 v11, v232, v136, -v11
	v_add_f32_e32 v5, v5, v51
	v_dual_add_f32 v7, v7, v23 :: v_dual_mul_f32 v23, v177, v149
	v_dual_fmac_f32 v55, v235, v138 :: v_dual_fma_f32 v13, v234, v138, -v13
	s_delay_alu instid0(VALU_DEP_2) | instskip(SKIP_2) | instid1(VALU_DEP_3)
	v_dual_add_f32 v5, v5, v53 :: v_dual_add_f32 v7, v7, v11
	v_dual_mul_f32 v59, v238, v143 :: v_dual_mul_f32 v61, v240, v145
	v_dual_fmac_f32 v57, v237, v140 :: v_dual_fma_f32 v11, v236, v140, -v15
	v_dual_add_f32 v5, v5, v55 :: v_dual_add_f32 v7, v7, v13
	s_wait_loadcnt 0x4
	s_delay_alu instid0(VALU_DEP_3) | instskip(NEXT) | instid1(VALU_DEP_2)
	v_dual_mov_b32 v92, v153 :: v_dual_fmac_f32 v59, v239, v142
	v_dual_fma_f32 v13, v238, v142, -v17 :: v_dual_add_f32 v5, v5, v57
	s_delay_alu instid0(VALU_DEP_3) | instskip(SKIP_1) | instid1(VALU_DEP_3)
	v_dual_add_f32 v7, v7, v11 :: v_dual_fmac_f32 v61, v241, v144
	v_dual_mul_f32 v253, v174, v147 :: v_dual_mul_f32 v255, v176, v149
	v_dual_fma_f32 v11, v240, v144, -v19 :: v_dual_add_f32 v5, v5, v59
	s_wait_loadcnt 0x3
	s_delay_alu instid0(VALU_DEP_3) | instskip(SKIP_1) | instid1(VALU_DEP_3)
	v_dual_add_f32 v7, v7, v13 :: v_dual_mov_b32 v96, v157
	v_pk_mul_f32 v[90:91], v[166:167], v[150:151] op_sel:[1,1] op_sel_hi:[0,1]
	v_dual_fmac_f32 v253, v175, v146 :: v_dual_add_f32 v99, v5, v61
	s_delay_alu instid0(VALU_DEP_3) | instskip(SKIP_1) | instid1(VALU_DEP_4)
	v_dual_fma_f32 v252, v174, v146, -v21 :: v_dual_add_f32 v98, v7, v11
	v_fmac_f32_e32 v255, v177, v148
	v_pk_fma_f32 v[100:101], v[166:167], v[150:151], v[90:91] op_sel_hi:[1,0,1]
	v_fma_f32 v254, v176, v148, -v23
	v_pk_mul_f32 v[92:93], v[244:245], v[92:93] op_sel_hi:[1,0]
	v_pk_add_f32 v[98:99], v[98:99], v[252:253]
	v_pk_fma_f32 v[90:91], v[166:167], v[150:151], v[90:91] neg_lo:[0,0,1] neg_hi:[0,0,1]
	v_pk_mul_f32 v[94:95], v[170:171], v[154:155] op_sel:[1,1] op_sel_hi:[0,1]
	v_mov_b32_e32 v91, v101
	v_pk_fma_f32 v[100:101], v[168:169], v[152:153], v[92:93] op_sel_hi:[1,0,1]
	v_pk_add_f32 v[98:99], v[98:99], v[254:255]
	v_pk_fma_f32 v[92:93], v[168:169], v[152:153], v[92:93] neg_lo:[0,0,1] neg_hi:[0,0,1]
	v_pk_fma_f32 v[104:105], v[170:171], v[154:155], v[94:95] op_sel_hi:[1,0,1]
	v_pk_mul_f32 v[96:97], v[246:247], v[96:97] op_sel_hi:[1,0]
	v_mov_b32_e32 v93, v101
	v_pk_add_f32 v[90:91], v[98:99], v[90:91]
	s_wait_loadcnt 0x2
	v_pk_mul_f32 v[102:103], v[178:179], v[158:159] op_sel:[1,1] op_sel_hi:[0,1]
	v_mov_b32_e32 v98, v161
	v_pk_fma_f32 v[94:95], v[170:171], v[154:155], v[94:95] neg_lo:[0,0,1] neg_hi:[0,0,1]
	v_pk_fma_f32 v[100:101], v[172:173], v[156:157], v[96:97] op_sel_hi:[1,0,1]
	v_mov_b32_e32 v95, v105
	v_pk_add_f32 v[90:91], v[90:91], v[92:93]
	v_pk_fma_f32 v[92:93], v[178:179], v[158:159], v[102:103] op_sel_hi:[1,0,1]
	v_pk_mul_f32 v[98:99], v[248:249], v[98:99] op_sel_hi:[1,0]
	v_pk_fma_f32 v[96:97], v[172:173], v[156:157], v[96:97] neg_lo:[0,0,1] neg_hi:[0,0,1]
	v_mov_b32_e32 v97, v101
	v_pk_add_f32 v[90:91], v[90:91], v[94:95]
	v_pk_fma_f32 v[100:101], v[178:179], v[158:159], v[102:103] neg_lo:[0,0,1] neg_hi:[0,0,1]
	v_mov_b32_e32 v101, v93
	v_pk_fma_f32 v[92:93], v[180:181], v[160:161], v[98:99] op_sel_hi:[1,0,1]
	s_wait_loadcnt 0x1
	v_pk_mul_f32 v[94:95], v[182:183], v[162:163] op_sel:[1,1] op_sel_hi:[0,1]
	v_pk_add_f32 v[90:91], v[90:91], v[96:97]
	v_mov_b32_e32 v92, v165
	v_pk_fma_f32 v[98:99], v[180:181], v[160:161], v[98:99] neg_lo:[0,0,1] neg_hi:[0,0,1]
	s_delay_alu instid0(VALU_DEP_4)
	v_pk_fma_f32 v[96:97], v[182:183], v[162:163], v[94:95] op_sel_hi:[1,0,1]
	v_mov_b32_e32 v99, v93
	v_pk_add_f32 v[90:91], v[90:91], v[100:101]
	v_pk_mul_f32 v[92:93], v[250:251], v[92:93] op_sel_hi:[1,0]
	v_pk_fma_f32 v[94:95], v[182:183], v[162:163], v[94:95] neg_lo:[0,0,1] neg_hi:[0,0,1]
	v_mov_b32_e32 v95, v97
	s_delay_alu instid0(VALU_DEP_4) | instskip(NEXT) | instid1(VALU_DEP_4)
	v_pk_add_f32 v[90:91], v[90:91], v[98:99]
	v_pk_fma_f32 v[96:97], v[184:185], v[164:165], v[92:93] op_sel_hi:[1,0,1]
	v_pk_fma_f32 v[92:93], v[184:185], v[164:165], v[92:93] neg_lo:[0,0,1] neg_hi:[0,0,1]
	s_delay_alu instid0(VALU_DEP_3) | instskip(NEXT) | instid1(VALU_DEP_3)
	v_pk_add_f32 v[90:91], v[90:91], v[94:95]
	v_mov_b32_e32 v93, v97
	s_delay_alu instid0(VALU_DEP_1) | instskip(SKIP_1) | instid1(VALU_DEP_1)
	v_pk_add_f32 v[90:91], v[90:91], v[92:93]
	s_wait_loadcnt 0x0
	v_pk_add_f32 v[90:91], v[242:243], v[90:91] neg_lo:[0,1] neg_hi:[0,1]
	scratch_store_b64 off, v[90:91], off offset:40
	s_wait_xcnt 0x0
	v_cmpx_lt_u32_e32 4, v0
	s_cbranch_execz .LBB43_269
; %bb.268:
	scratch_load_b64 v[90:91], off, off offset:32
	v_mov_b64_e32 v[92:93], 0
	scratch_store_b64 off, v[92:93], off offset:32
	s_wait_loadcnt 0x0
	ds_store_b64 v1, v[90:91]
.LBB43_269:
	s_wait_xcnt 0x0
	s_or_b32 exec_lo, exec_lo, s0
	s_wait_storecnt_dscnt 0x0
	s_barrier_signal -1
	s_barrier_wait -1
	s_clause 0x14
	scratch_load_b128 v[90:93], off, off offset:40
	scratch_load_b128 v[94:97], off, off offset:56
	;; [unrolled: 1-line block ×19, first 2 shown]
	scratch_load_b64 v[242:243], off, off offset:344
	scratch_load_b64 v[244:245], off, off offset:32
	v_mov_b32_e32 v5, 0
	ds_load_2addr_b64 v[166:169], v5 offset0:79 offset1:80
	ds_load_2addr_b64 v[170:173], v5 offset0:77 offset1:78
	;; [unrolled: 1-line block ×19, first 2 shown]
	ds_load_b64 v[246:247], v5 offset:696
	s_wait_dscnt 0x13
	v_dual_mov_b32 v249, v168 :: v_dual_mov_b32 v248, v169
	s_wait_dscnt 0x11
	v_dual_mov_b32 v250, v177 :: v_dual_mov_b32 v251, v176
	s_wait_dscnt 0x10
	v_dual_mov_b32 v252, v181 :: v_dual_mov_b32 v253, v180
	s_wait_dscnt 0xd
	v_dual_mov_b32 v254, v193 :: v_dual_mov_b32 v255, v192
	s_mov_b32 s0, exec_lo
	s_wait_loadcnt 0x14
	v_dual_mul_f32 v7, v182, v91 :: v_dual_mul_f32 v11, v184, v93
	s_wait_loadcnt 0x13
	v_mul_f32_e32 v13, v186, v95
	v_dual_mul_f32 v67, v183, v91 :: v_dual_mul_f32 v69, v185, v93
	s_wait_loadcnt_dscnt 0x110b
	v_dual_fmac_f32 v7, v183, v90 :: v_dual_mul_f32 v81, v201, v105
	s_delay_alu instid0(VALU_DEP_2) | instskip(NEXT) | instid1(VALU_DEP_3)
	v_dual_mul_f32 v79, v199, v103 :: v_dual_fma_f32 v67, v182, v90, -v67
	v_dual_fmac_f32 v11, v185, v92 :: v_dual_fma_f32 v69, v184, v92, -v69
	s_delay_alu instid0(VALU_DEP_3) | instskip(SKIP_3) | instid1(VALU_DEP_3)
	v_dual_add_f32 v7, 0, v7 :: v_dual_fmac_f32 v13, v187, v94
	v_dual_mul_f32 v15, v188, v97 :: v_dual_mul_f32 v17, v194, v99
	v_dual_mul_f32 v71, v187, v95 :: v_dual_mul_f32 v73, v189, v97
	v_add_f32_e32 v67, 0, v67
	v_dual_add_f32 v7, v7, v11 :: v_dual_fmac_f32 v15, v189, v96
	v_dual_mul_f32 v75, v195, v99 :: v_dual_mul_f32 v77, v197, v101
	s_delay_alu instid0(VALU_DEP_3) | instskip(NEXT) | instid1(VALU_DEP_3)
	v_dual_fma_f32 v71, v186, v94, -v71 :: v_dual_add_f32 v11, v67, v69
	v_dual_fma_f32 v69, v188, v96, -v73 :: v_dual_add_f32 v7, v7, v13
	v_dual_mul_f32 v19, v196, v101 :: v_dual_mul_f32 v21, v198, v103
	s_delay_alu instid0(VALU_DEP_3) | instskip(SKIP_1) | instid1(VALU_DEP_4)
	v_add_f32_e32 v11, v11, v71
	v_dual_fmac_f32 v17, v195, v98 :: v_dual_fma_f32 v71, v194, v98, -v75
	v_dual_add_f32 v7, v7, v15 :: v_dual_mul_f32 v23, v200, v105
	s_wait_loadcnt_dscnt 0x100a
	v_mul_f32_e32 v25, v202, v107
	s_wait_loadcnt_dscnt 0xf09
	v_dual_mul_f32 v13, v207, v111 :: v_dual_fmac_f32 v19, v197, v100
	v_mul_f32_e32 v15, v209, v113
	v_dual_add_f32 v11, v11, v69 :: v_dual_fma_f32 v69, v196, v100, -v77
	v_dual_add_f32 v7, v7, v17 :: v_dual_fmac_f32 v23, v201, v104
	v_dual_mul_f32 v27, v204, v109 :: v_dual_mul_f32 v29, v206, v111
	s_delay_alu instid0(VALU_DEP_3) | instskip(SKIP_1) | instid1(VALU_DEP_3)
	v_add_f32_e32 v11, v11, v71
	v_fmac_f32_e32 v21, v199, v102
	v_dual_add_f32 v7, v7, v19 :: v_dual_fmac_f32 v27, v205, v108
	v_dual_mul_f32 v83, v203, v107 :: v_dual_mul_f32 v67, v205, v109
	s_delay_alu instid0(VALU_DEP_4) | instskip(NEXT) | instid1(VALU_DEP_3)
	v_dual_fma_f32 v71, v198, v102, -v79 :: v_dual_add_f32 v11, v11, v69
	v_dual_add_f32 v7, v7, v21 :: v_dual_fma_f32 v13, v206, v110, -v13
	s_wait_loadcnt_dscnt 0xe08
	v_mul_f32_e32 v17, v211, v115
	v_dual_fmac_f32 v25, v203, v106 :: v_dual_fma_f32 v15, v208, v112, -v15
	v_dual_fma_f32 v67, v204, v108, -v67 :: v_dual_add_f32 v11, v11, v71
	v_dual_fma_f32 v71, v202, v106, -v83 :: v_dual_add_f32 v7, v7, v23
	s_delay_alu instid0(VALU_DEP_4) | instskip(SKIP_3) | instid1(VALU_DEP_3)
	v_dual_fma_f32 v17, v210, v114, -v17 :: v_dual_mul_f32 v19, v213, v117
	v_fma_f32 v69, v200, v104, -v81
	s_wait_loadcnt_dscnt 0xd07
	v_dual_mul_f32 v35, v212, v117 :: v_dual_mul_f32 v37, v214, v119
	v_dual_add_f32 v7, v7, v25 :: v_dual_fma_f32 v19, v212, v116, -v19
	s_wait_loadcnt_dscnt 0xc06
	v_dual_mul_f32 v39, v216, v121 :: v_dual_mul_f32 v41, v218, v123
	s_delay_alu instid0(VALU_DEP_2)
	v_dual_fmac_f32 v35, v213, v116 :: v_dual_add_f32 v7, v7, v27
	v_mul_f32_e32 v27, v221, v125
	v_add_f32_e32 v11, v11, v69
	v_mul_f32_e32 v23, v217, v121
	s_wait_loadcnt_dscnt 0xb05
	v_dual_mul_f32 v43, v220, v125 :: v_dual_mul_f32 v45, v222, v127
	v_dual_mul_f32 v31, v208, v113 :: v_dual_mul_f32 v33, v210, v115
	s_delay_alu instid0(VALU_DEP_3) | instskip(NEXT) | instid1(VALU_DEP_3)
	v_dual_add_f32 v11, v11, v71 :: v_dual_fma_f32 v23, v216, v120, -v23
	v_dual_fmac_f32 v43, v221, v124 :: v_dual_mul_f32 v21, v215, v119
	s_delay_alu instid0(VALU_DEP_2) | instskip(SKIP_2) | instid1(VALU_DEP_3)
	v_dual_fmac_f32 v31, v209, v112 :: v_dual_add_f32 v11, v11, v67
	s_wait_loadcnt_dscnt 0x903
	v_dual_mul_f32 v51, v228, v133 :: v_dual_mul_f32 v53, v230, v135
	v_dual_mul_f32 v25, v219, v123 :: v_dual_fma_f32 v21, v214, v118, -v21
	s_delay_alu instid0(VALU_DEP_3) | instskip(NEXT) | instid1(VALU_DEP_3)
	v_add_f32_e32 v11, v11, v13
	v_dual_fmac_f32 v29, v207, v110 :: v_dual_fmac_f32 v51, v229, v132
	v_dual_mul_f32 v13, v223, v127 :: v_dual_fmac_f32 v39, v217, v120
	s_delay_alu instid0(VALU_DEP_3) | instskip(SKIP_3) | instid1(VALU_DEP_4)
	v_dual_add_f32 v11, v11, v15 :: v_dual_mul_f32 v15, v225, v129
	v_fma_f32 v25, v218, v122, -v25
	v_fmac_f32_e32 v53, v231, v134
	v_dual_fmac_f32 v33, v211, v114 :: v_dual_fma_f32 v27, v220, v124, -v27
	v_dual_add_f32 v11, v11, v17 :: v_dual_fma_f32 v15, v224, v128, -v15
	v_dual_mul_f32 v47, v224, v129 :: v_dual_mul_f32 v49, v226, v131
	s_wait_loadcnt 0x5
	s_delay_alu instid0(VALU_DEP_2)
	v_dual_mov_b32 v90, v153 :: v_dual_add_f32 v11, v11, v19
	v_mul_f32_e32 v19, v229, v133
	v_add_f32_e32 v7, v7, v29
	s_wait_dscnt 0x1
	v_dual_mul_f32 v63, v240, v145 :: v_dual_mul_f32 v65, v170, v147
	v_add_f32_e32 v11, v11, v21
	v_mul_f32_e32 v21, v231, v135
	v_dual_mul_f32 v17, v227, v131 :: v_dual_fmac_f32 v49, v227, v130
	v_dual_fmac_f32 v37, v215, v118 :: v_dual_fmac_f32 v47, v225, v128
	s_delay_alu instid0(VALU_DEP_3)
	v_dual_fma_f32 v21, v230, v134, -v21 :: v_dual_add_f32 v11, v11, v23
	v_dual_mul_f32 v23, v233, v137 :: v_dual_add_f32 v7, v7, v31
	v_fma_f32 v13, v222, v126, -v13
	v_fma_f32 v17, v226, v130, -v17
	s_wait_loadcnt 0x4
	v_pk_mul_f32 v[92:93], v[174:175], v[154:155] op_sel:[1,1] op_sel_hi:[0,1]
	v_dual_fma_f32 v23, v232, v136, -v23 :: v_dual_add_f32 v11, v11, v25
	v_dual_add_f32 v7, v7, v33 :: v_dual_fmac_f32 v63, v241, v144
	v_dual_mul_f32 v55, v232, v137 :: v_dual_mul_f32 v57, v234, v139
	s_delay_alu instid0(VALU_DEP_3) | instskip(NEXT) | instid1(VALU_DEP_3)
	v_add_f32_e32 v11, v11, v27
	v_add_f32_e32 v7, v7, v35
	v_dual_fmac_f32 v41, v219, v122 :: v_dual_fma_f32 v19, v228, v132, -v19
	v_pk_fma_f32 v[104:105], v[174:175], v[154:155], v[92:93] op_sel_hi:[1,0,1]
	s_delay_alu instid0(VALU_DEP_4) | instskip(SKIP_2) | instid1(VALU_DEP_3)
	v_add_f32_e32 v11, v11, v13
	v_pk_fma_f32 v[92:93], v[174:175], v[154:155], v[92:93] neg_lo:[0,0,1] neg_hi:[0,0,1]
	v_dual_mul_f32 v25, v235, v139 :: v_dual_fmac_f32 v57, v235, v138
	v_dual_fmac_f32 v55, v233, v136 :: v_dual_add_f32 v11, v11, v15
	v_mul_f32_e32 v15, v241, v145
	v_dual_add_f32 v7, v7, v37 :: v_dual_mov_b32 v93, v105
	v_dual_mul_f32 v59, v236, v141 :: v_dual_mul_f32 v61, v238, v143
	s_delay_alu instid0(VALU_DEP_4) | instskip(NEXT) | instid1(VALU_DEP_3)
	v_add_f32_e32 v11, v11, v17
	v_add_f32_e32 v7, v7, v39
	s_delay_alu instid0(VALU_DEP_3) | instskip(NEXT) | instid1(VALU_DEP_3)
	v_dual_fmac_f32 v45, v223, v126 :: v_dual_fmac_f32 v59, v237, v140
	v_dual_mul_f32 v27, v237, v141 :: v_dual_add_f32 v11, v11, v19
	v_mul_f32_e32 v19, v173, v149
	s_delay_alu instid0(VALU_DEP_4) | instskip(NEXT) | instid1(VALU_DEP_3)
	v_dual_add_f32 v7, v7, v41 :: v_dual_fma_f32 v25, v234, v138, -v25
	v_dual_mov_b32 v94, v157 :: v_dual_add_f32 v11, v11, v21
	s_delay_alu instid0(VALU_DEP_2) | instskip(SKIP_2) | instid1(VALU_DEP_3)
	v_dual_fma_f32 v15, v240, v144, -v15 :: v_dual_add_f32 v7, v7, v43
	s_wait_loadcnt 0x3
	v_mov_b32_e32 v100, v161
	v_pk_mul_f32 v[94:95], v[250:251], v[94:95] op_sel_hi:[1,0]
	v_dual_add_f32 v11, v11, v23 :: v_dual_fma_f32 v23, v236, v140, -v27
	v_add_f32_e32 v7, v7, v45
	v_dual_mul_f32 v13, v239, v143 :: v_dual_fmac_f32 v61, v239, v142
	s_delay_alu instid0(VALU_DEP_4) | instskip(SKIP_1) | instid1(VALU_DEP_4)
	v_pk_fma_f32 v[104:105], v[176:177], v[156:157], v[94:95] op_sel_hi:[1,0,1]
	v_pk_fma_f32 v[94:95], v[176:177], v[156:157], v[94:95] neg_lo:[0,0,1] neg_hi:[0,0,1]
	v_add_f32_e32 v7, v7, v47
	s_delay_alu instid0(VALU_DEP_4) | instskip(NEXT) | instid1(VALU_DEP_4)
	v_dual_add_f32 v11, v11, v25 :: v_dual_fma_f32 v13, v238, v142, -v13
	v_dual_mov_b32 v95, v105 :: v_dual_mul_f32 v17, v171, v147
	v_fmac_f32_e32 v65, v171, v146
	s_delay_alu instid0(VALU_DEP_4) | instskip(NEXT) | instid1(VALU_DEP_4)
	v_add_f32_e32 v7, v7, v49
	v_add_f32_e32 v11, v11, v23
	s_set_vgpr_msb 64                       ;  msbs: dst=1 src0=0 src1=0 src2=0
	v_dual_mul_f32 v1 /*v257*/, v172, v149 :: v_dual_mul_f32 v3 /*v259*/, v166, v151
	s_set_vgpr_msb 0                        ;  msbs: dst=0 src0=0 src1=0 src2=0
	v_mul_f32_e32 v21, v167, v151
	v_add_f32_e32 v7, v7, v51
	v_dual_add_f32 v11, v11, v13 :: v_dual_fma_f32 v13, v170, v146, -v17
	s_set_vgpr_msb 64                       ;  msbs: dst=1 src0=0 src1=0 src2=0
	v_dual_fmac_f32 v1 /*v257*/, v173, v148 :: v_dual_fmac_f32 v3 /*v259*/, v167, v150
	s_set_vgpr_msb 0                        ;  msbs: dst=0 src0=0 src1=0 src2=0
	v_add_f32_e32 v7, v7, v53
	v_add_f32_e32 v11, v11, v15
	s_set_vgpr_msb 64                       ;  msbs: dst=1 src0=0 src1=0 src2=0
	v_dual_fma_f32 v0 /*v256*/, v172, v148, -v19 :: v_dual_fma_f32 v2 /*v258*/, v166, v150, -v21
	s_set_vgpr_msb 0                        ;  msbs: dst=0 src0=0 src1=0 src2=0
	v_pk_mul_f32 v[90:91], v[248:249], v[90:91] op_sel_hi:[1,0]
	v_add_f32_e32 v7, v7, v55
	v_add_f32_e32 v98, v11, v13
	v_pk_mul_f32 v[96:97], v[178:179], v[158:159] op_sel:[1,1] op_sel_hi:[0,1]
	v_pk_mul_f32 v[100:101], v[252:253], v[100:101] op_sel_hi:[1,0]
	v_pk_fma_f32 v[102:103], v[168:169], v[152:153], v[90:91] op_sel_hi:[1,0,1]
	v_add_f32_e32 v7, v7, v57
	v_pk_fma_f32 v[90:91], v[168:169], v[152:153], v[90:91] neg_lo:[0,0,1] neg_hi:[0,0,1]
	s_delay_alu instid0(VALU_DEP_3) | instskip(NEXT) | instid1(VALU_DEP_3)
	v_mov_b32_e32 v91, v103
	v_add_f32_e32 v7, v7, v59
	s_wait_loadcnt 0x2
	v_pk_mul_f32 v[102:103], v[190:191], v[162:163] op_sel:[1,1] op_sel_hi:[0,1]
	s_delay_alu instid0(VALU_DEP_2) | instskip(NEXT) | instid1(VALU_DEP_1)
	v_add_f32_e32 v7, v7, v61
	v_add_f32_e32 v7, v7, v63
	s_delay_alu instid0(VALU_DEP_1) | instskip(SKIP_1) | instid1(VALU_DEP_1)
	v_add_f32_e32 v99, v7, v65
	s_set_vgpr_msb 4                        ;  msbs: dst=0 src0=0 src1=1 src2=0
	v_pk_add_f32 v[98:99], v[98:99], v[0:1] /*v[256:257]*/
	s_delay_alu instid0(VALU_DEP_1) | instskip(SKIP_1) | instid1(VALU_DEP_1)
	v_pk_add_f32 v[98:99], v[98:99], v[2:3] /*v[258:259]*/
	s_set_vgpr_msb 0                        ;  msbs: dst=0 src0=0 src1=0 src2=0
	v_pk_add_f32 v[90:91], v[98:99], v[90:91]
	v_pk_fma_f32 v[98:99], v[178:179], v[158:159], v[96:97] op_sel_hi:[1,0,1]
	v_pk_fma_f32 v[96:97], v[178:179], v[158:159], v[96:97] neg_lo:[0,0,1] neg_hi:[0,0,1]
	s_delay_alu instid0(VALU_DEP_3) | instskip(NEXT) | instid1(VALU_DEP_3)
	v_pk_add_f32 v[90:91], v[90:91], v[92:93]
	v_dual_mov_b32 v92, v165 :: v_dual_mov_b32 v97, v99
	v_pk_fma_f32 v[98:99], v[180:181], v[160:161], v[100:101] op_sel_hi:[1,0,1]
	v_pk_fma_f32 v[100:101], v[180:181], v[160:161], v[100:101] neg_lo:[0,0,1] neg_hi:[0,0,1]
	s_delay_alu instid0(VALU_DEP_4)
	v_pk_add_f32 v[90:91], v[90:91], v[94:95]
	v_pk_fma_f32 v[94:95], v[190:191], v[162:163], v[102:103] op_sel_hi:[1,0,1]
	v_pk_mul_f32 v[92:93], v[254:255], v[92:93] op_sel_hi:[1,0]
	v_mov_b32_e32 v101, v99
	s_wait_loadcnt_dscnt 0x100
	v_pk_mul_f32 v[98:99], v[246:247], v[242:243] op_sel:[1,1] op_sel_hi:[0,1]
	v_pk_add_f32 v[90:91], v[90:91], v[96:97]
	v_pk_fma_f32 v[96:97], v[190:191], v[162:163], v[102:103] neg_lo:[0,0,1] neg_hi:[0,0,1]
	v_mov_b32_e32 v97, v95
	v_pk_fma_f32 v[94:95], v[192:193], v[164:165], v[92:93] op_sel_hi:[1,0,1]
	v_pk_fma_f32 v[92:93], v[192:193], v[164:165], v[92:93] neg_lo:[0,0,1] neg_hi:[0,0,1]
	v_pk_add_f32 v[90:91], v[90:91], v[100:101]
	s_delay_alu instid0(VALU_DEP_3) | instskip(SKIP_1) | instid1(VALU_DEP_3)
	v_mov_b32_e32 v93, v95
	v_pk_fma_f32 v[94:95], v[246:247], v[242:243], v[98:99] op_sel_hi:[1,0,1]
	v_pk_add_f32 v[90:91], v[90:91], v[96:97]
	v_pk_fma_f32 v[96:97], v[246:247], v[242:243], v[98:99] neg_lo:[0,0,1] neg_hi:[0,0,1]
	s_delay_alu instid0(VALU_DEP_3) | instskip(NEXT) | instid1(VALU_DEP_3)
	v_mov_b32_e32 v97, v95
	v_pk_add_f32 v[90:91], v[90:91], v[92:93]
	s_delay_alu instid0(VALU_DEP_1) | instskip(SKIP_1) | instid1(VALU_DEP_1)
	v_pk_add_f32 v[90:91], v[90:91], v[96:97]
	s_wait_loadcnt 0x0
	v_pk_add_f32 v[90:91], v[244:245], v[90:91] neg_lo:[0,1] neg_hi:[0,1]
	scratch_store_b64 off, v[90:91], off offset:32
	s_wait_xcnt 0x0
	v_cmpx_lt_u32_e32 3, v0
	s_cbranch_execz .LBB43_271
; %bb.270:
	scratch_load_b64 v[90:91], off, off offset:24
	v_mov_b64_e32 v[92:93], 0
	scratch_store_b64 off, v[92:93], off offset:24
	s_wait_loadcnt 0x0
	ds_store_b64 v1, v[90:91]
.LBB43_271:
	s_wait_xcnt 0x0
	s_or_b32 exec_lo, exec_lo, s0
	s_wait_storecnt_dscnt 0x0
	s_barrier_signal -1
	s_barrier_wait -1
	s_clause 0x14
	scratch_load_b128 v[90:93], off, off offset:32
	scratch_load_b128 v[94:97], off, off offset:48
	;; [unrolled: 1-line block ×20, first 2 shown]
	scratch_load_b64 v[250:251], off, off offset:24
	ds_load_b128 v[170:173], v5 offset:640
	ds_load_b128 v[174:177], v5 offset:656
	;; [unrolled: 1-line block ×20, first 2 shown]
	s_wait_dscnt 0x13
	v_dual_mov_b32 v252, v173 :: v_dual_mov_b32 v253, v172
	s_wait_dscnt 0x12
	v_dual_mov_b32 v254, v177 :: v_dual_mov_b32 v255, v176
	s_wait_dscnt 0xf
	s_set_vgpr_msb 64                       ;  msbs: dst=1 src0=0 src1=0 src2=0
	v_dual_mov_b32 v0 /*v256*/, v189 :: v_dual_mov_b32 v1 /*v257*/, v188
	s_wait_dscnt 0xe
	v_dual_mov_b32 v2 /*v258*/, v193 :: v_dual_mov_b32 v3 /*v259*/, v192
	s_mov_b32 s0, exec_lo
	s_wait_loadcnt 0x14
	s_set_vgpr_msb 0                        ;  msbs: dst=0 src0=0 src1=0 src2=0
	v_dual_mul_f32 v5, v178, v91 :: v_dual_mul_f32 v7, v180, v93
	v_dual_mul_f32 v67, v179, v91 :: v_dual_mul_f32 v69, v181, v93
	s_wait_loadcnt 0x13
	v_dual_mul_f32 v11, v182, v95 :: v_dual_mul_f32 v13, v184, v97
	s_delay_alu instid0(VALU_DEP_2) | instskip(SKIP_3) | instid1(VALU_DEP_3)
	v_dual_fmac_f32 v5, v179, v90 :: v_dual_fma_f32 v67, v178, v90, -v67
	v_dual_mul_f32 v71, v183, v95 :: v_dual_mul_f32 v73, v185, v97
	s_wait_loadcnt_dscnt 0x110c
	v_dual_mul_f32 v79, v199, v103 :: v_dual_fmac_f32 v7, v181, v92
	v_dual_fma_f32 v69, v180, v92, -v69 :: v_dual_add_f32 v5, 0, v5
	v_dual_add_f32 v67, 0, v67 :: v_dual_mul_f32 v81, v201, v105
	v_fmac_f32_e32 v11, v183, v94
	s_delay_alu instid0(VALU_DEP_3) | instskip(NEXT) | instid1(VALU_DEP_3)
	v_dual_fma_f32 v71, v182, v94, -v71 :: v_dual_add_f32 v5, v5, v7
	v_dual_add_f32 v7, v67, v69 :: v_dual_mul_f32 v15, v194, v99
	v_dual_mul_f32 v17, v196, v101 :: v_dual_mul_f32 v75, v195, v99
	s_wait_loadcnt_dscnt 0x100b
	v_dual_mul_f32 v77, v197, v101 :: v_dual_mul_f32 v67, v203, v107
	v_fmac_f32_e32 v13, v185, v96
	v_dual_fma_f32 v69, v184, v96, -v73 :: v_dual_add_f32 v5, v5, v11
	v_dual_add_f32 v7, v7, v71 :: v_dual_mul_f32 v11, v205, v109
	v_fmac_f32_e32 v15, v195, v98
	s_delay_alu instid0(VALU_DEP_3) | instskip(NEXT) | instid1(VALU_DEP_3)
	v_dual_fma_f32 v71, v194, v98, -v75 :: v_dual_add_f32 v5, v5, v13
	v_dual_add_f32 v7, v7, v69 :: v_dual_mul_f32 v19, v198, v103
	s_wait_loadcnt_dscnt 0xf0a
	v_dual_mul_f32 v21, v200, v105 :: v_dual_mul_f32 v13, v207, v111
	v_fmac_f32_e32 v17, v197, v100
	v_dual_fma_f32 v69, v196, v100, -v77 :: v_dual_add_f32 v5, v5, v15
	v_dual_add_f32 v7, v7, v71 :: v_dual_mul_f32 v15, v209, v113
	v_fmac_f32_e32 v19, v199, v102
	s_delay_alu instid0(VALU_DEP_3) | instskip(NEXT) | instid1(VALU_DEP_3)
	v_dual_fma_f32 v71, v198, v102, -v79 :: v_dual_add_f32 v5, v5, v17
	v_dual_add_f32 v7, v7, v69 :: v_dual_mul_f32 v23, v202, v107
	;; [unrolled: 9-line block ×3, first 2 shown]
	s_wait_loadcnt_dscnt 0xd08
	v_dual_mul_f32 v29, v208, v113 :: v_dual_mul_f32 v21, v215, v119
	v_dual_fmac_f32 v25, v205, v108 :: v_dual_fma_f32 v11, v204, v108, -v11
	v_add_f32_e32 v5, v5, v23
	v_dual_add_f32 v7, v7, v67 :: v_dual_mul_f32 v23, v217, v121
	v_dual_fmac_f32 v27, v207, v110 :: v_dual_fma_f32 v13, v206, v110, -v13
	s_delay_alu instid0(VALU_DEP_2) | instskip(SKIP_3) | instid1(VALU_DEP_3)
	v_dual_add_f32 v5, v5, v25 :: v_dual_add_f32 v7, v7, v11
	v_dual_mul_f32 v31, v210, v115 :: v_dual_mul_f32 v33, v212, v117
	s_wait_loadcnt_dscnt 0xc07
	v_dual_mul_f32 v11, v219, v123 :: v_dual_fmac_f32 v29, v209, v112
	v_dual_fma_f32 v15, v208, v112, -v15 :: v_dual_add_f32 v5, v5, v27
	v_dual_add_f32 v7, v7, v13 :: v_dual_fma_f32 v17, v210, v114, -v17
	v_dual_mul_f32 v13, v221, v125 :: v_dual_fmac_f32 v31, v211, v114
	s_delay_alu instid0(VALU_DEP_2) | instskip(SKIP_3) | instid1(VALU_DEP_3)
	v_dual_add_f32 v5, v5, v29 :: v_dual_add_f32 v7, v7, v15
	v_dual_mul_f32 v35, v214, v119 :: v_dual_mul_f32 v37, v216, v121
	s_wait_loadcnt_dscnt 0xb06
	v_dual_mul_f32 v15, v223, v127 :: v_dual_fmac_f32 v33, v213, v116
	v_dual_fma_f32 v19, v212, v116, -v19 :: v_dual_add_f32 v5, v5, v31
	v_dual_add_f32 v7, v7, v17 :: v_dual_fma_f32 v21, v214, v118, -v21
	v_dual_mul_f32 v17, v225, v129 :: v_dual_fmac_f32 v35, v215, v118
	;; [unrolled: 8-line block ×3, first 2 shown]
	s_delay_alu instid0(VALU_DEP_2) | instskip(SKIP_3) | instid1(VALU_DEP_3)
	v_dual_add_f32 v5, v5, v37 :: v_dual_add_f32 v7, v7, v23
	v_dual_mul_f32 v43, v222, v127 :: v_dual_mul_f32 v45, v224, v129
	s_wait_loadcnt_dscnt 0x904
	v_dual_mul_f32 v23, v231, v135 :: v_dual_fmac_f32 v41, v221, v124
	v_dual_fma_f32 v13, v220, v124, -v13 :: v_dual_add_f32 v5, v5, v39
	v_dual_add_f32 v7, v7, v11 :: v_dual_mul_f32 v11, v233, v137
	v_fmac_f32_e32 v43, v223, v126
	s_delay_alu instid0(VALU_DEP_3) | instskip(NEXT) | instid1(VALU_DEP_3)
	v_dual_fma_f32 v15, v222, v126, -v15 :: v_dual_add_f32 v5, v5, v41
	v_dual_add_f32 v7, v7, v13 :: v_dual_mul_f32 v47, v226, v131
	s_wait_loadcnt_dscnt 0x803
	v_dual_mul_f32 v49, v228, v133 :: v_dual_mul_f32 v13, v235, v139
	v_fmac_f32_e32 v45, v225, v128
	v_dual_fma_f32 v17, v224, v128, -v17 :: v_dual_add_f32 v5, v5, v43
	v_dual_add_f32 v7, v7, v15 :: v_dual_mul_f32 v15, v237, v141
	v_fmac_f32_e32 v47, v227, v130
	s_delay_alu instid0(VALU_DEP_3) | instskip(NEXT) | instid1(VALU_DEP_3)
	v_dual_fma_f32 v19, v226, v130, -v19 :: v_dual_add_f32 v5, v5, v45
	v_dual_add_f32 v7, v7, v17 :: v_dual_mul_f32 v51, v230, v135
	s_wait_loadcnt_dscnt 0x702
	v_dual_mul_f32 v53, v232, v137 :: v_dual_mul_f32 v17, v239, v143
	v_fmac_f32_e32 v49, v229, v132
	v_dual_fma_f32 v21, v228, v132, -v21 :: v_dual_add_f32 v5, v5, v47
	v_dual_add_f32 v7, v7, v19 :: v_dual_mul_f32 v19, v241, v145
	v_fmac_f32_e32 v51, v231, v134
	s_delay_alu instid0(VALU_DEP_3) | instskip(NEXT) | instid1(VALU_DEP_3)
	v_dual_fma_f32 v23, v230, v134, -v23 :: v_dual_add_f32 v5, v5, v49
	v_dual_add_f32 v7, v7, v21 :: v_dual_mul_f32 v55, v234, v139
	s_wait_loadcnt_dscnt 0x601
	v_dual_mul_f32 v57, v236, v141 :: v_dual_mul_f32 v21, v243, v147
	v_dual_fmac_f32 v53, v233, v136 :: v_dual_fma_f32 v11, v232, v136, -v11
	v_add_f32_e32 v5, v5, v51
	v_dual_add_f32 v7, v7, v23 :: v_dual_mul_f32 v23, v245, v149
	v_dual_fmac_f32 v55, v235, v138 :: v_dual_fma_f32 v13, v234, v138, -v13
	s_delay_alu instid0(VALU_DEP_2) | instskip(SKIP_3) | instid1(VALU_DEP_3)
	v_dual_add_f32 v5, v5, v53 :: v_dual_add_f32 v7, v7, v11
	v_dual_mul_f32 v59, v238, v143 :: v_dual_mul_f32 v61, v240, v145
	s_wait_loadcnt_dscnt 0x500
	v_dual_mul_f32 v11, v247, v151 :: v_dual_fmac_f32 v57, v237, v140
	v_dual_fma_f32 v15, v236, v140, -v15 :: v_dual_add_f32 v5, v5, v55
	v_dual_add_f32 v7, v7, v13 :: v_dual_fma_f32 v17, v238, v142, -v17
	v_dual_mul_f32 v13, v249, v153 :: v_dual_fmac_f32 v59, v239, v142
	s_delay_alu instid0(VALU_DEP_2) | instskip(SKIP_2) | instid1(VALU_DEP_3)
	v_dual_add_f32 v5, v5, v57 :: v_dual_add_f32 v7, v7, v15
	v_dual_mul_f32 v63, v242, v147 :: v_dual_mul_f32 v65, v244, v149
	v_dual_fmac_f32 v61, v241, v144 :: v_dual_fma_f32 v15, v240, v144, -v19
	v_dual_add_f32 v5, v5, v59 :: v_dual_add_f32 v7, v7, v17
	s_wait_loadcnt 0x4
	s_delay_alu instid0(VALU_DEP_3) | instskip(NEXT) | instid1(VALU_DEP_2)
	v_dual_mov_b32 v92, v157 :: v_dual_fmac_f32 v63, v243, v146
	v_dual_fma_f32 v17, v242, v146, -v21 :: v_dual_add_f32 v5, v5, v61
	s_delay_alu instid0(VALU_DEP_3)
	v_dual_add_f32 v7, v7, v15 :: v_dual_fmac_f32 v65, v245, v148
	s_set_vgpr_msb 64                       ;  msbs: dst=1 src0=0 src1=0 src2=0
	v_dual_mul_f32 v5 /*v261*/, v246, v151 :: v_dual_mul_f32 v7 /*v263*/, v248, v153
	s_set_vgpr_msb 0                        ;  msbs: dst=0 src0=0 src1=0 src2=0
	v_dual_fma_f32 v15, v244, v148, -v23 :: v_dual_add_f32 v5, v5, v63
	s_wait_loadcnt 0x3
	v_dual_add_f32 v7, v7, v17 :: v_dual_mov_b32 v96, v161
	v_pk_mul_f32 v[90:91], v[170:171], v[154:155] op_sel:[1,1] op_sel_hi:[0,1]
	s_set_vgpr_msb 64                       ;  msbs: dst=1 src0=0 src1=0 src2=0
	v_dual_fmac_f32 v5 /*v261*/, v247, v150 :: v_dual_fmac_f32 v7 /*v263*/, v249, v152
	v_dual_fma_f32 v4 /*v260*/, v246, v150, -v11 :: v_dual_fma_f32 v6 /*v262*/, v248, v152, -v13
	s_set_vgpr_msb 0                        ;  msbs: dst=0 src0=0 src1=0 src2=0
	v_dual_add_f32 v99, v5, v65 :: v_dual_add_f32 v98, v7, v15
	v_pk_fma_f32 v[100:101], v[170:171], v[154:155], v[90:91] op_sel_hi:[1,0,1]
	v_pk_mul_f32 v[92:93], v[252:253], v[92:93] op_sel_hi:[1,0]
	v_pk_fma_f32 v[90:91], v[170:171], v[154:155], v[90:91] neg_lo:[0,0,1] neg_hi:[0,0,1]
	v_pk_mul_f32 v[94:95], v[174:175], v[158:159] op_sel:[1,1] op_sel_hi:[0,1]
	s_set_vgpr_msb 4                        ;  msbs: dst=0 src0=0 src1=1 src2=0
	v_pk_add_f32 v[98:99], v[98:99], v[4:5] /*v[260:261]*/
	v_mov_b32_e32 v91, v101
	s_set_vgpr_msb 0                        ;  msbs: dst=0 src0=0 src1=0 src2=0
	v_pk_fma_f32 v[100:101], v[172:173], v[156:157], v[92:93] op_sel_hi:[1,0,1]
	v_pk_fma_f32 v[92:93], v[172:173], v[156:157], v[92:93] neg_lo:[0,0,1] neg_hi:[0,0,1]
	v_pk_fma_f32 v[104:105], v[174:175], v[158:159], v[94:95] op_sel_hi:[1,0,1]
	s_set_vgpr_msb 4                        ;  msbs: dst=0 src0=0 src1=1 src2=0
	v_pk_add_f32 v[98:99], v[98:99], v[6:7] /*v[262:263]*/
	s_set_vgpr_msb 0                        ;  msbs: dst=0 src0=0 src1=0 src2=0
	v_pk_mul_f32 v[96:97], v[254:255], v[96:97] op_sel_hi:[1,0]
	v_mov_b32_e32 v93, v101
	s_wait_loadcnt 0x2
	v_pk_mul_f32 v[102:103], v[186:187], v[162:163] op_sel:[1,1] op_sel_hi:[0,1]
	v_pk_fma_f32 v[94:95], v[174:175], v[158:159], v[94:95] neg_lo:[0,0,1] neg_hi:[0,0,1]
	v_pk_add_f32 v[90:91], v[98:99], v[90:91]
	v_dual_mov_b32 v98, v165 :: v_dual_mov_b32 v95, v105
	v_pk_fma_f32 v[100:101], v[176:177], v[160:161], v[96:97] op_sel_hi:[1,0,1]
	v_pk_fma_f32 v[96:97], v[176:177], v[160:161], v[96:97] neg_lo:[0,0,1] neg_hi:[0,0,1]
	s_delay_alu instid0(VALU_DEP_4)
	v_pk_add_f32 v[90:91], v[90:91], v[92:93]
	v_pk_fma_f32 v[92:93], v[186:187], v[162:163], v[102:103] op_sel_hi:[1,0,1]
	s_set_vgpr_msb 1                        ;  msbs: dst=0 src0=1 src1=0 src2=0
	v_pk_mul_f32 v[98:99], v[0:1] /*v[256:257]*/, v[98:99] op_sel_hi:[1,0]
	s_set_vgpr_msb 0                        ;  msbs: dst=0 src0=0 src1=0 src2=0
	v_mov_b32_e32 v97, v101
	v_pk_fma_f32 v[100:101], v[186:187], v[162:163], v[102:103] neg_lo:[0,0,1] neg_hi:[0,0,1]
	v_pk_add_f32 v[90:91], v[90:91], v[94:95]
	v_mov_b32_e32 v101, v93
	v_pk_fma_f32 v[92:93], v[188:189], v[164:165], v[98:99] op_sel_hi:[1,0,1]
	s_wait_loadcnt 0x1
	v_pk_mul_f32 v[94:95], v[190:191], v[166:167] op_sel:[1,1] op_sel_hi:[0,1]
	v_mov_b32_e32 v92, v169
	v_pk_add_f32 v[90:91], v[90:91], v[96:97]
	v_pk_fma_f32 v[98:99], v[188:189], v[164:165], v[98:99] neg_lo:[0,0,1] neg_hi:[0,0,1]
	v_mov_b32_e32 v99, v93
	v_pk_fma_f32 v[96:97], v[190:191], v[166:167], v[94:95] op_sel_hi:[1,0,1]
	s_set_vgpr_msb 1                        ;  msbs: dst=0 src0=1 src1=0 src2=0
	v_pk_mul_f32 v[92:93], v[2:3] /*v[258:259]*/, v[92:93] op_sel_hi:[1,0]
	s_set_vgpr_msb 0                        ;  msbs: dst=0 src0=0 src1=0 src2=0
	v_pk_add_f32 v[90:91], v[90:91], v[100:101]
	v_pk_fma_f32 v[94:95], v[190:191], v[166:167], v[94:95] neg_lo:[0,0,1] neg_hi:[0,0,1]
	v_mov_b32_e32 v95, v97
	v_pk_fma_f32 v[96:97], v[192:193], v[168:169], v[92:93] op_sel_hi:[1,0,1]
	s_delay_alu instid0(VALU_DEP_4) | instskip(SKIP_1) | instid1(VALU_DEP_3)
	v_pk_add_f32 v[90:91], v[90:91], v[98:99]
	v_pk_fma_f32 v[92:93], v[192:193], v[168:169], v[92:93] neg_lo:[0,0,1] neg_hi:[0,0,1]
	v_mov_b32_e32 v93, v97
	s_delay_alu instid0(VALU_DEP_3) | instskip(NEXT) | instid1(VALU_DEP_1)
	v_pk_add_f32 v[90:91], v[90:91], v[94:95]
	v_pk_add_f32 v[90:91], v[90:91], v[92:93]
	s_wait_loadcnt 0x0
	s_delay_alu instid0(VALU_DEP_1)
	v_pk_add_f32 v[90:91], v[250:251], v[90:91] neg_lo:[0,1] neg_hi:[0,1]
	scratch_store_b64 off, v[90:91], off offset:24
	s_wait_xcnt 0x0
	v_cmpx_lt_u32_e32 2, v0
	s_cbranch_execz .LBB43_273
; %bb.272:
	scratch_load_b64 v[90:91], off, off offset:16
	v_mov_b64_e32 v[92:93], 0
	scratch_store_b64 off, v[92:93], off offset:16
	s_wait_loadcnt 0x0
	ds_store_b64 v1, v[90:91]
.LBB43_273:
	s_wait_xcnt 0x0
	s_or_b32 exec_lo, exec_lo, s0
	s_wait_storecnt_dscnt 0x0
	s_barrier_signal -1
	s_barrier_wait -1
	s_clause 0x10
	scratch_load_b128 v[94:97], off, off offset:24
	scratch_load_b128 v[102:105], off, off offset:40
	;; [unrolled: 1-line block ×17, first 2 shown]
	v_mov_b32_e32 v69, 0
	s_mov_b32 s0, exec_lo
	ds_load_2addr_b64 v[90:93], v69 offset0:47 offset1:48
	ds_load_2addr_b64 v[98:101], v69 offset0:49 offset1:50
	s_wait_loadcnt_dscnt 0x1001
	v_mul_f32_e32 v5, v90, v95
	ds_load_2addr_b64 v[202:205], v69 offset0:75 offset1:76
	ds_load_2addr_b64 v[210:213], v69 offset0:77 offset1:78
	v_mul_f32_e32 v7, v92, v97
	ds_load_2addr_b64 v[106:109], v69 offset0:51 offset1:52
	ds_load_2addr_b64 v[114:117], v69 offset0:53 offset1:54
	v_fmac_f32_e32 v5, v91, v94
	ds_load_2addr_b64 v[218:221], v69 offset0:79 offset1:80
	v_fmac_f32_e32 v7, v93, v96
	ds_load_2addr_b64 v[122:125], v69 offset0:55 offset1:56
	ds_load_2addr_b64 v[130:133], v69 offset0:57 offset1:58
	v_add_f32_e32 v5, 0, v5
	ds_load_2addr_b64 v[138:141], v69 offset0:59 offset1:60
	ds_load_2addr_b64 v[146:149], v69 offset0:61 offset1:62
	;; [unrolled: 1-line block ×4, first 2 shown]
	v_add_f32_e32 v5, v5, v7
	s_wait_loadcnt_dscnt 0xf0b
	v_mul_f32_e32 v7, v98, v103
	ds_load_2addr_b64 v[170:173], v69 offset0:67 offset1:68
	ds_load_2addr_b64 v[178:181], v69 offset0:69 offset1:70
	;; [unrolled: 1-line block ×4, first 2 shown]
	s_wait_loadcnt_dscnt 0xd0d
	v_dual_mul_f32 v241, v212, v217 :: v_dual_fmac_f32 v7, v99, v102
	s_clause 0x3
	scratch_load_b128 v[226:229], off, off offset:296
	scratch_load_b128 v[230:233], off, off offset:312
	;; [unrolled: 1-line block ×3, first 2 shown]
	scratch_load_b64 v[244:245], off, off offset:344
	s_wait_loadcnt_dscnt 0xe0a
	v_mul_f32_e32 v243, v218, v223
	v_dual_add_f32 v5, v5, v7 :: v_dual_mul_f32 v7, v100, v105
	s_delay_alu instid0(VALU_DEP_2) | instskip(NEXT) | instid1(VALU_DEP_2)
	v_dual_fmac_f32 v241, v213, v216 :: v_dual_fmac_f32 v243, v219, v222
	v_fmac_f32_e32 v7, v101, v104
	s_delay_alu instid0(VALU_DEP_1) | instskip(SKIP_1) | instid1(VALU_DEP_1)
	v_add_f32_e32 v5, v5, v7
	v_mul_f32_e32 v7, v106, v111
	v_fmac_f32_e32 v7, v107, v110
	s_delay_alu instid0(VALU_DEP_1) | instskip(NEXT) | instid1(VALU_DEP_1)
	v_dual_add_f32 v5, v5, v7 :: v_dual_mul_f32 v7, v108, v113
	v_fmac_f32_e32 v7, v109, v112
	s_delay_alu instid0(VALU_DEP_1) | instskip(SKIP_1) | instid1(VALU_DEP_1)
	v_add_f32_e32 v5, v5, v7
	v_mul_f32_e32 v7, v114, v119
	v_fmac_f32_e32 v7, v115, v118
	s_delay_alu instid0(VALU_DEP_1) | instskip(NEXT) | instid1(VALU_DEP_1)
	v_dual_add_f32 v5, v5, v7 :: v_dual_mul_f32 v7, v116, v121
	v_fmac_f32_e32 v7, v117, v120
	s_delay_alu instid0(VALU_DEP_1) | instskip(SKIP_2) | instid1(VALU_DEP_1)
	v_add_f32_e32 v5, v5, v7
	s_wait_loadcnt_dscnt 0xd09
	v_mul_f32_e32 v7, v122, v127
	v_fmac_f32_e32 v7, v123, v126
	s_delay_alu instid0(VALU_DEP_1) | instskip(NEXT) | instid1(VALU_DEP_1)
	v_dual_add_f32 v5, v5, v7 :: v_dual_mul_f32 v7, v124, v129
	v_fmac_f32_e32 v7, v125, v128
	s_delay_alu instid0(VALU_DEP_1) | instskip(SKIP_2) | instid1(VALU_DEP_1)
	v_add_f32_e32 v5, v5, v7
	s_wait_loadcnt_dscnt 0xc08
	;; [unrolled: 8-line block ×10, first 2 shown]
	v_mul_f32_e32 v7, v194, v199
	v_fmac_f32_e32 v7, v195, v198
	s_delay_alu instid0(VALU_DEP_1) | instskip(NEXT) | instid1(VALU_DEP_1)
	v_dual_add_f32 v5, v5, v7 :: v_dual_mul_f32 v7, v196, v201
	v_fmac_f32_e32 v7, v197, v200
	s_delay_alu instid0(VALU_DEP_1) | instskip(SKIP_1) | instid1(VALU_DEP_1)
	v_add_f32_e32 v5, v5, v7
	v_mul_f32_e32 v7, v202, v207
	v_fmac_f32_e32 v7, v203, v206
	s_delay_alu instid0(VALU_DEP_1) | instskip(NEXT) | instid1(VALU_DEP_1)
	v_dual_add_f32 v5, v5, v7 :: v_dual_mul_f32 v7, v204, v209
	v_fmac_f32_e32 v7, v205, v208
	s_delay_alu instid0(VALU_DEP_1) | instskip(SKIP_1) | instid1(VALU_DEP_1)
	v_add_f32_e32 v5, v5, v7
	v_mul_f32_e32 v7, v210, v215
	v_fmac_f32_e32 v7, v211, v214
	s_delay_alu instid0(VALU_DEP_1) | instskip(SKIP_1) | instid1(VALU_DEP_1)
	v_add_f32_e32 v239, v5, v7
	v_dual_mul_f32 v5, v91, v95 :: v_dual_mul_f32 v7, v93, v97
	v_dual_fma_f32 v5, v90, v94, -v5 :: v_dual_fma_f32 v7, v92, v96, -v7
	s_delay_alu instid0(VALU_DEP_1) | instskip(NEXT) | instid1(VALU_DEP_1)
	v_add_f32_e32 v5, 0, v5
	v_add_f32_e32 v5, v5, v7
	v_mul_f32_e32 v7, v99, v103
	s_delay_alu instid0(VALU_DEP_1) | instskip(NEXT) | instid1(VALU_DEP_1)
	v_fma_f32 v7, v98, v102, -v7
	v_add_f32_e32 v5, v5, v7
	v_mul_f32_e32 v7, v101, v105
	s_delay_alu instid0(VALU_DEP_1)
	v_fma_f32 v7, v100, v104, -v7
	ds_load_2addr_b64 v[90:93], v69 offset0:81 offset1:82
	ds_load_2addr_b64 v[94:97], v69 offset0:83 offset1:84
	;; [unrolled: 1-line block ×3, first 2 shown]
	ds_load_b64 v[102:103], v69 offset:696
	v_add_f32_e32 v5, v5, v7
	v_dual_mul_f32 v7, v107, v111 :: v_dual_mov_b32 v107, v220
	s_delay_alu instid0(VALU_DEP_1) | instskip(NEXT) | instid1(VALU_DEP_1)
	v_dual_fma_f32 v7, v106, v110, -v7 :: v_dual_mov_b32 v106, v221
	v_add_f32_e32 v5, v5, v7
	v_mul_f32_e32 v7, v109, v113
	s_delay_alu instid0(VALU_DEP_1) | instskip(NEXT) | instid1(VALU_DEP_1)
	v_dual_fma_f32 v7, v108, v112, -v7 :: v_dual_mov_b32 v108, v225
	v_add_f32_e32 v5, v5, v7
	v_mul_f32_e32 v7, v115, v119
	s_delay_alu instid0(VALU_DEP_3) | instskip(NEXT) | instid1(VALU_DEP_2)
	v_pk_mul_f32 v[106:107], v[106:107], v[108:109] op_sel_hi:[1,0]
	v_fma_f32 v7, v114, v118, -v7
	s_delay_alu instid0(VALU_DEP_2) | instskip(SKIP_1) | instid1(VALU_DEP_3)
	v_pk_fma_f32 v[108:109], v[220:221], v[224:225], v[106:107] neg_lo:[0,0,1] neg_hi:[0,0,1]
	v_pk_fma_f32 v[106:107], v[220:221], v[224:225], v[106:107] op_sel_hi:[1,0,1]
	v_add_f32_e32 v5, v5, v7
	s_delay_alu instid0(VALU_DEP_2) | instskip(SKIP_2) | instid1(VALU_DEP_2)
	v_dual_mul_f32 v7, v117, v121 :: v_dual_mov_b32 v109, v107
	s_wait_loadcnt_dscnt 0x303
	v_pk_mul_f32 v[106:107], v[90:91], v[226:227] op_sel:[1,1] op_sel_hi:[0,1]
	v_fma_f32 v7, v116, v120, -v7
	s_delay_alu instid0(VALU_DEP_1) | instskip(SKIP_1) | instid1(VALU_DEP_1)
	v_add_f32_e32 v5, v5, v7
	v_mul_f32_e32 v7, v123, v127
	v_fma_f32 v7, v122, v126, -v7
	s_delay_alu instid0(VALU_DEP_1) | instskip(SKIP_1) | instid1(VALU_DEP_1)
	v_add_f32_e32 v5, v5, v7
	v_mul_f32_e32 v7, v125, v129
	;; [unrolled: 4-line block ×24, first 2 shown]
	v_dual_fma_f32 v240, v212, v216, -v5 :: v_dual_mul_f32 v5, v219, v223
	s_delay_alu instid0(VALU_DEP_1) | instskip(NEXT) | instid1(VALU_DEP_2)
	v_pk_add_f32 v[104:105], v[238:239], v[240:241]
	v_fma_f32 v242, v218, v222, -v5
	s_delay_alu instid0(VALU_DEP_1) | instskip(NEXT) | instid1(VALU_DEP_1)
	v_pk_add_f32 v[104:105], v[104:105], v[242:243]
	v_pk_add_f32 v[104:105], v[104:105], v[108:109]
	v_pk_fma_f32 v[108:109], v[90:91], v[226:227], v[106:107] neg_lo:[0,0,1] neg_hi:[0,0,1]
	v_pk_fma_f32 v[90:91], v[90:91], v[226:227], v[106:107] op_sel_hi:[1,0,1]
	s_delay_alu instid0(VALU_DEP_1) | instskip(NEXT) | instid1(VALU_DEP_1)
	v_dual_mov_b32 v106, v229 :: v_dual_mov_b32 v109, v91
	v_pk_add_f32 v[90:91], v[104:105], v[108:109]
	v_dual_mov_b32 v104, v93 :: v_dual_mov_b32 v105, v92
	s_delay_alu instid0(VALU_DEP_1) | instskip(NEXT) | instid1(VALU_DEP_1)
	v_pk_mul_f32 v[104:105], v[104:105], v[106:107] op_sel_hi:[1,0]
	v_pk_fma_f32 v[106:107], v[92:93], v[228:229], v[104:105] neg_lo:[0,0,1] neg_hi:[0,0,1]
	v_pk_fma_f32 v[92:93], v[92:93], v[228:229], v[104:105] op_sel_hi:[1,0,1]
	s_delay_alu instid0(VALU_DEP_1) | instskip(SKIP_2) | instid1(VALU_DEP_2)
	v_mov_b32_e32 v107, v93
	s_wait_loadcnt_dscnt 0x202
	v_pk_mul_f32 v[92:93], v[94:95], v[230:231] op_sel:[1,1] op_sel_hi:[0,1]
	v_pk_add_f32 v[90:91], v[90:91], v[106:107]
	s_delay_alu instid0(VALU_DEP_2) | instskip(SKIP_2) | instid1(VALU_DEP_2)
	v_pk_fma_f32 v[104:105], v[94:95], v[230:231], v[92:93] neg_lo:[0,0,1] neg_hi:[0,0,1]
	v_pk_fma_f32 v[92:93], v[94:95], v[230:231], v[92:93] op_sel_hi:[1,0,1]
	v_dual_mov_b32 v92, v97 :: v_dual_mov_b32 v94, v233
	v_dual_mov_b32 v105, v93 :: v_dual_mov_b32 v93, v96
	s_delay_alu instid0(VALU_DEP_1) | instskip(NEXT) | instid1(VALU_DEP_2)
	v_pk_add_f32 v[90:91], v[90:91], v[104:105]
	v_pk_mul_f32 v[92:93], v[92:93], v[94:95] op_sel_hi:[1,0]
	s_delay_alu instid0(VALU_DEP_1) | instskip(SKIP_1) | instid1(VALU_DEP_1)
	v_pk_fma_f32 v[94:95], v[96:97], v[232:233], v[92:93] neg_lo:[0,0,1] neg_hi:[0,0,1]
	v_pk_fma_f32 v[92:93], v[96:97], v[232:233], v[92:93] op_sel_hi:[1,0,1]
	v_mov_b32_e32 v95, v93
	s_wait_loadcnt_dscnt 0x101
	v_pk_mul_f32 v[92:93], v[98:99], v[234:235] op_sel:[1,1] op_sel_hi:[0,1]
	s_delay_alu instid0(VALU_DEP_2) | instskip(NEXT) | instid1(VALU_DEP_2)
	v_pk_add_f32 v[90:91], v[90:91], v[94:95]
	v_pk_fma_f32 v[94:95], v[98:99], v[234:235], v[92:93] neg_lo:[0,0,1] neg_hi:[0,0,1]
	v_pk_fma_f32 v[92:93], v[98:99], v[234:235], v[92:93] op_sel_hi:[1,0,1]
	s_delay_alu instid0(VALU_DEP_1) | instskip(SKIP_1) | instid1(VALU_DEP_2)
	v_dual_mov_b32 v92, v101 :: v_dual_mov_b32 v95, v93
	v_mov_b32_e32 v93, v100
	v_pk_add_f32 v[90:91], v[90:91], v[94:95]
	v_mov_b32_e32 v94, v237
	s_delay_alu instid0(VALU_DEP_1) | instskip(NEXT) | instid1(VALU_DEP_1)
	v_pk_mul_f32 v[92:93], v[92:93], v[94:95] op_sel_hi:[1,0]
	v_pk_fma_f32 v[94:95], v[100:101], v[236:237], v[92:93] neg_lo:[0,0,1] neg_hi:[0,0,1]
	v_pk_fma_f32 v[92:93], v[100:101], v[236:237], v[92:93] op_sel_hi:[1,0,1]
	s_delay_alu instid0(VALU_DEP_1) | instskip(SKIP_2) | instid1(VALU_DEP_2)
	v_mov_b32_e32 v95, v93
	s_wait_loadcnt_dscnt 0x0
	v_pk_mul_f32 v[92:93], v[102:103], v[244:245] op_sel:[1,1] op_sel_hi:[0,1]
	v_pk_add_f32 v[90:91], v[90:91], v[94:95]
	s_delay_alu instid0(VALU_DEP_2) | instskip(SKIP_1) | instid1(VALU_DEP_1)
	v_pk_fma_f32 v[94:95], v[102:103], v[244:245], v[92:93] neg_lo:[0,0,1] neg_hi:[0,0,1]
	v_pk_fma_f32 v[92:93], v[102:103], v[244:245], v[92:93] op_sel_hi:[1,0,1]
	v_mov_b32_e32 v95, v93
	scratch_load_b64 v[92:93], off, off offset:16
	v_pk_add_f32 v[90:91], v[90:91], v[94:95]
	s_wait_loadcnt 0x0
	s_delay_alu instid0(VALU_DEP_1)
	v_pk_add_f32 v[90:91], v[92:93], v[90:91] neg_lo:[0,1] neg_hi:[0,1]
	scratch_store_b64 off, v[90:91], off offset:16
	s_wait_xcnt 0x0
	v_cmpx_lt_u32_e32 1, v0
	s_cbranch_execz .LBB43_275
; %bb.274:
	scratch_load_b64 v[90:91], off, off offset:8
	v_mov_b64_e32 v[92:93], 0
	scratch_store_b64 off, v[92:93], off offset:8
	s_wait_loadcnt 0x0
	ds_store_b64 v1, v[90:91]
.LBB43_275:
	s_wait_xcnt 0x0
	s_or_b32 exec_lo, exec_lo, s0
	s_wait_storecnt_dscnt 0x0
	s_barrier_signal -1
	s_barrier_wait -1
	s_clause 0x15
	scratch_load_b128 v[90:93], off, off offset:16
	scratch_load_b128 v[94:97], off, off offset:32
	;; [unrolled: 1-line block ×21, first 2 shown]
	scratch_load_b64 v[250:251], off, off offset:8
	ds_load_b128 v[174:177], v69 offset:368
	ds_load_b128 v[178:181], v69 offset:384
	;; [unrolled: 1-line block ×19, first 2 shown]
	v_dual_ashrrev_i32 v67, 31, v66 :: v_dual_ashrrev_i32 v5, 31, v4
	v_ashrrev_i32_e32 v7, 31, v6
	v_dual_ashrrev_i32 v11, 31, v10 :: v_dual_ashrrev_i32 v13, 31, v12
	v_dual_ashrrev_i32 v15, 31, v14 :: v_dual_ashrrev_i32 v17, 31, v16
	;; [unrolled: 1-line block ×14, first 2 shown]
	s_mov_b32 s0, exec_lo
	s_wait_loadcnt_dscnt 0x1512
	v_dual_mul_f32 v71, v174, v91 :: v_dual_mul_f32 v77, v177, v93
	v_dual_mul_f32 v73, v176, v93 :: v_dual_mul_f32 v75, v175, v91
	s_wait_loadcnt_dscnt 0x1411
	s_delay_alu instid0(VALU_DEP_2) | instskip(NEXT) | instid1(VALU_DEP_3)
	v_dual_mul_f32 v79, v178, v95 :: v_dual_fmac_f32 v71, v175, v90
	v_fma_f32 v77, v176, v92, -v77
	s_wait_loadcnt_dscnt 0x1310
	v_dual_mul_f32 v81, v180, v97 :: v_dual_mul_f32 v83, v182, v99
	v_dual_mul_f32 v85, v184, v101 :: v_dual_mul_f32 v87, v179, v95
	;; [unrolled: 1-line block ×3, first 2 shown]
	s_wait_loadcnt_dscnt 0x120f
	v_dual_mul_f32 v175, v186, v103 :: v_dual_mul_f32 v176, v188, v105
	v_dual_mul_f32 v103, v187, v103 :: v_dual_mul_f32 v105, v189, v105
	v_dual_fmac_f32 v73, v177, v92 :: v_dual_fma_f32 v75, v174, v90, -v75
	v_dual_mul_f32 v101, v185, v101 :: v_dual_fmac_f32 v79, v179, v94
	v_dual_fmac_f32 v81, v181, v96 :: v_dual_fma_f32 v87, v178, v94, -v87
	v_dual_fma_f32 v89, v180, v96, -v89 :: v_dual_fmac_f32 v83, v183, v98
	v_fma_f32 v178, v188, v104, -v105
	s_wait_loadcnt_dscnt 0x1100
	v_dual_mov_b32 v105, v248 :: v_dual_mul_f32 v179, v190, v107
	v_dual_mul_f32 v180, v192, v109 :: v_dual_mul_f32 v107, v191, v107
	s_wait_loadcnt 0x10
	v_dual_mul_f32 v181, v194, v111 :: v_dual_mul_f32 v109, v193, v109
	s_delay_alu instid0(VALU_DEP_2) | instskip(NEXT) | instid1(VALU_DEP_3)
	v_dual_fmac_f32 v179, v191, v106 :: v_dual_fmac_f32 v180, v193, v108
	v_dual_fma_f32 v106, v190, v106, -v107 :: v_dual_add_f32 v71, 0, v71
	s_delay_alu instid0(VALU_DEP_3)
	v_dual_fma_f32 v108, v192, v108, -v109 :: v_dual_add_f32 v75, 0, v75
	v_fma_f32 v174, v184, v100, -v101
	ds_load_b128 v[90:93], v69 offset:592
	ds_load_b128 v[94:97], v69 offset:608
	v_dual_add_f32 v71, v71, v73 :: v_dual_fmac_f32 v85, v185, v100
	v_dual_fma_f32 v69, v182, v98, -v99 :: v_dual_add_f32 v75, v75, v77
	s_wait_loadcnt 0xe
	v_dual_mul_f32 v77, v202, v119 :: v_dual_mul_f32 v73, v200, v117
	s_delay_alu instid0(VALU_DEP_3) | instskip(SKIP_3) | instid1(VALU_DEP_3)
	v_add_f32_e32 v71, v71, v79
	s_wait_loadcnt 0xd
	v_dual_mul_f32 v79, v206, v123 :: v_dual_mul_f32 v184, v204, v121
	v_dual_add_f32 v75, v75, v87 :: v_dual_mov_b32 v98, v237
	v_dual_add_f32 v71, v71, v81 :: v_dual_mov_b32 v101, v240
	v_fmac_f32_e32 v175, v187, v102
	s_wait_loadcnt 0xb
	s_delay_alu instid0(VALU_DEP_3) | instskip(NEXT) | instid1(VALU_DEP_3)
	v_dual_add_f32 v75, v75, v89 :: v_dual_mul_f32 v89, v214, v131
	v_dual_mul_f32 v81, v212, v129 :: v_dual_add_f32 v71, v71, v83
	s_wait_loadcnt 0xa
	s_delay_alu instid0(VALU_DEP_2) | instskip(SKIP_2) | instid1(VALU_DEP_3)
	v_dual_mul_f32 v83, v218, v135 :: v_dual_add_f32 v69, v75, v69
	v_dual_fmac_f32 v176, v189, v104 :: v_dual_fma_f32 v177, v186, v102, -v103
	v_mul_f32_e32 v75, v220, v137
	v_dual_add_f32 v71, v71, v85 :: v_dual_add_f32 v69, v69, v174
	s_wait_loadcnt 0x9
	v_dual_mul_f32 v85, v224, v141 :: v_dual_mov_b32 v102, v245
	v_dual_mul_f32 v182, v196, v113 :: v_dual_mul_f32 v183, v198, v115
	s_delay_alu instid0(VALU_DEP_3)
	v_dual_add_f32 v71, v71, v175 :: v_dual_add_f32 v69, v69, v177
	s_wait_loadcnt 0x8
	v_dual_mul_f32 v188, v228, v145 :: v_dual_mul_f32 v107, v195, v111
	s_wait_loadcnt_dscnt 0x600
	v_dual_mul_f32 v109, v197, v113 :: v_dual_mul_f32 v111, v94, v151
	v_dual_add_f32 v71, v71, v176 :: v_dual_mul_f32 v177, v92, v149
	v_add_f32_e32 v69, v69, v178
	v_dual_fmac_f32 v181, v195, v110 :: v_dual_fmac_f32 v182, v197, v112
	s_delay_alu instid0(VALU_DEP_3) | instskip(NEXT) | instid1(VALU_DEP_3)
	v_dual_add_f32 v71, v71, v179 :: v_dual_fma_f32 v110, v194, v110, -v107
	v_dual_fma_f32 v112, v196, v112, -v109 :: v_dual_add_f32 v69, v69, v106
	s_wait_loadcnt 0x5
	v_dual_mul_f32 v109, v232, v157 :: v_dual_mul_f32 v106, v199, v115
	s_delay_alu instid0(VALU_DEP_3) | instskip(NEXT) | instid1(VALU_DEP_3)
	v_dual_mul_f32 v115, v201, v117 :: v_dual_add_f32 v71, v71, v180
	v_dual_add_f32 v69, v69, v108 :: v_dual_mul_f32 v108, v203, v119
	v_dual_fmac_f32 v183, v199, v114 :: v_dual_fmac_f32 v73, v201, v116
	s_delay_alu instid0(VALU_DEP_2) | instskip(SKIP_1) | instid1(VALU_DEP_2)
	v_dual_add_f32 v71, v71, v181 :: v_dual_add_f32 v69, v69, v110
	v_dual_mul_f32 v110, v209, v125 :: v_dual_fma_f32 v106, v198, v114, -v106
	v_dual_fma_f32 v114, v200, v116, -v115 :: v_dual_add_f32 v71, v71, v182
	s_delay_alu instid0(VALU_DEP_3) | instskip(SKIP_1) | instid1(VALU_DEP_2)
	v_dual_add_f32 v69, v69, v112 :: v_dual_mul_f32 v112, v211, v127
	v_dual_mul_f32 v117, v205, v121 :: v_dual_mul_f32 v119, v207, v123
	v_dual_add_f32 v71, v71, v183 :: v_dual_add_f32 v69, v69, v106
	v_dual_mul_f32 v106, v213, v129 :: v_dual_fmac_f32 v77, v203, v118
	s_delay_alu instid0(VALU_DEP_2) | instskip(NEXT) | instid1(VALU_DEP_3)
	v_dual_fma_f32 v108, v202, v118, -v108 :: v_dual_add_f32 v71, v71, v73
	v_dual_add_f32 v69, v69, v114 :: v_dual_mul_f32 v73, v215, v131
	v_dual_fmac_f32 v184, v205, v120 :: v_dual_fma_f32 v114, v204, v120, -v117
	s_delay_alu instid0(VALU_DEP_2) | instskip(SKIP_2) | instid1(VALU_DEP_3)
	v_dual_add_f32 v71, v71, v77 :: v_dual_add_f32 v69, v69, v108
	v_dual_mul_f32 v87, v208, v125 :: v_dual_mul_f32 v185, v210, v127
	v_dual_mul_f32 v77, v217, v133 :: v_dual_fmac_f32 v79, v207, v122
	v_dual_fma_f32 v108, v206, v122, -v119 :: v_dual_add_f32 v71, v71, v184
	s_delay_alu instid0(VALU_DEP_4) | instskip(NEXT) | instid1(VALU_DEP_4)
	v_dual_add_f32 v69, v69, v114 :: v_dual_mul_f32 v114, v219, v135
	v_dual_fmac_f32 v87, v209, v124 :: v_dual_fma_f32 v110, v208, v124, -v110
	s_delay_alu instid0(VALU_DEP_2) | instskip(SKIP_1) | instid1(VALU_DEP_2)
	v_dual_add_f32 v71, v71, v79 :: v_dual_add_f32 v69, v69, v108
	v_dual_mul_f32 v79, v221, v137 :: v_dual_fmac_f32 v185, v211, v126
	v_dual_fma_f32 v108, v210, v126, -v112 :: v_dual_add_f32 v71, v71, v87
	s_delay_alu instid0(VALU_DEP_3) | instskip(SKIP_1) | instid1(VALU_DEP_2)
	v_dual_add_f32 v69, v69, v110 :: v_dual_mul_f32 v87, v223, v139
	v_dual_fmac_f32 v81, v213, v128 :: v_dual_fma_f32 v106, v212, v128, -v106
	v_dual_add_f32 v71, v71, v185 :: v_dual_add_f32 v69, v69, v108
	v_dual_mul_f32 v186, v216, v133 :: v_dual_mul_f32 v187, v222, v139
	v_dual_mul_f32 v108, v225, v141 :: v_dual_fmac_f32 v89, v215, v130
	s_delay_alu instid0(VALU_DEP_3) | instskip(NEXT) | instid1(VALU_DEP_4)
	v_dual_fma_f32 v73, v214, v130, -v73 :: v_dual_add_f32 v71, v71, v81
	v_dual_add_f32 v69, v69, v106 :: v_dual_mul_f32 v81, v227, v143
	s_delay_alu instid0(VALU_DEP_4) | instskip(NEXT) | instid1(VALU_DEP_3)
	v_dual_fmac_f32 v186, v217, v132 :: v_dual_fma_f32 v77, v216, v132, -v77
	v_dual_add_f32 v71, v71, v89 :: v_dual_fma_f32 v89, v218, v134, -v114
	s_delay_alu instid0(VALU_DEP_3) | instskip(NEXT) | instid1(VALU_DEP_2)
	v_dual_add_f32 v69, v69, v73 :: v_dual_fmac_f32 v83, v219, v134
	v_dual_mul_f32 v73, v229, v145 :: v_dual_add_f32 v71, v71, v186
	v_fmac_f32_e32 v75, v221, v136
	s_delay_alu instid0(VALU_DEP_3) | instskip(NEXT) | instid1(VALU_DEP_3)
	v_dual_add_f32 v69, v69, v77 :: v_dual_mul_f32 v77, v91, v147
	v_dual_fma_f32 v79, v220, v136, -v79 :: v_dual_add_f32 v71, v71, v83
	v_dual_mul_f32 v83, v93, v149 :: v_dual_fmac_f32 v187, v223, v138
	s_delay_alu instid0(VALU_DEP_3) | instskip(NEXT) | instid1(VALU_DEP_3)
	v_dual_add_f32 v69, v69, v89 :: v_dual_fma_f32 v87, v222, v138, -v87
	v_add_f32_e32 v71, v71, v75
	v_mul_f32_e32 v174, v226, v143
	v_dual_mul_f32 v75, v95, v151 :: v_dual_fmac_f32 v85, v225, v140
	s_delay_alu instid0(VALU_DEP_4) | instskip(NEXT) | instid1(VALU_DEP_4)
	v_dual_add_f32 v69, v69, v79 :: v_dual_fma_f32 v79, v224, v140, -v108
	v_add_f32_e32 v71, v71, v187
	s_delay_alu instid0(VALU_DEP_4) | instskip(NEXT) | instid1(VALU_DEP_3)
	v_dual_fmac_f32 v174, v227, v142 :: v_dual_mul_f32 v175, v90, v147
	v_add_f32_e32 v69, v69, v87
	v_dual_mul_f32 v87, v97, v153 :: v_dual_fma_f32 v81, v226, v142, -v81
	s_delay_alu instid0(VALU_DEP_4) | instskip(NEXT) | instid1(VALU_DEP_3)
	v_dual_add_f32 v71, v71, v85 :: v_dual_fmac_f32 v188, v229, v144
	v_dual_add_f32 v69, v69, v79 :: v_dual_fma_f32 v73, v228, v144, -v73
	v_mul_f32_e32 v79, v231, v155
	s_delay_alu instid0(VALU_DEP_3) | instskip(NEXT) | instid1(VALU_DEP_3)
	v_add_f32_e32 v71, v71, v174
	v_dual_fmac_f32 v175, v91, v146 :: v_dual_add_f32 v69, v69, v81
	v_dual_mul_f32 v81, v233, v157 :: v_dual_fma_f32 v77, v90, v146, -v77
	s_delay_alu instid0(VALU_DEP_3) | instskip(SKIP_1) | instid1(VALU_DEP_4)
	v_add_f32_e32 v71, v71, v188
	v_fmac_f32_e32 v177, v93, v148
	v_dual_add_f32 v69, v69, v73 :: v_dual_fma_f32 v73, v92, v148, -v83
	v_dual_mul_f32 v113, v96, v153 :: v_dual_mul_f32 v107, v230, v155
	s_delay_alu instid0(VALU_DEP_2) | instskip(SKIP_2) | instid1(VALU_DEP_2)
	v_dual_add_f32 v71, v71, v175 :: v_dual_add_f32 v69, v69, v77
	s_wait_loadcnt 0x4
	v_dual_fmac_f32 v111, v95, v150 :: v_dual_mov_b32 v92, v161
	v_dual_fma_f32 v75, v94, v150, -v75 :: v_dual_add_f32 v71, v71, v177
	v_fmac_f32_e32 v113, v97, v152
	v_dual_add_f32 v69, v69, v73 :: v_dual_fma_f32 v73, v96, v152, -v87
	v_dual_mov_b32 v99, v236 :: v_dual_mov_b32 v100, v241
	s_wait_loadcnt 0x3
	v_dual_add_f32 v71, v71, v111 :: v_dual_mov_b32 v96, v165
	s_delay_alu instid0(VALU_DEP_3) | instskip(SKIP_1) | instid1(VALU_DEP_3)
	v_dual_add_f32 v69, v69, v75 :: v_dual_fmac_f32 v107, v231, v154
	v_pk_mul_f32 v[90:91], v[234:235], v[158:159] op_sel:[1,1] op_sel_hi:[0,1]
	v_dual_fma_f32 v106, v230, v154, -v79 :: v_dual_add_f32 v111, v71, v113
	s_delay_alu instid0(VALU_DEP_3) | instskip(SKIP_1) | instid1(VALU_DEP_4)
	v_dual_add_f32 v110, v69, v73 :: v_dual_fma_f32 v108, v232, v156, -v81
	v_pk_mul_f32 v[92:93], v[98:99], v[92:93] op_sel_hi:[1,0]
	v_pk_fma_f32 v[112:113], v[234:235], v[158:159], v[90:91] op_sel_hi:[1,0,1]
	v_pk_fma_f32 v[90:91], v[234:235], v[158:159], v[90:91] neg_lo:[0,0,1] neg_hi:[0,0,1]
	s_delay_alu instid0(VALU_DEP_4)
	v_pk_add_f32 v[98:99], v[110:111], v[106:107]
	v_pk_mul_f32 v[94:95], v[238:239], v[162:163] op_sel:[1,1] op_sel_hi:[0,1]
	v_pk_fma_f32 v[110:111], v[236:237], v[160:161], v[92:93] op_sel_hi:[1,0,1]
	v_fmac_f32_e32 v109, v233, v156
	v_pk_fma_f32 v[92:93], v[236:237], v[160:161], v[92:93] neg_lo:[0,0,1] neg_hi:[0,0,1]
	v_mov_b32_e32 v91, v113
	v_pk_mul_f32 v[96:97], v[100:101], v[96:97] op_sel_hi:[1,0]
	v_mov_b32_e32 v93, v111
	v_pk_add_f32 v[98:99], v[98:99], v[108:109]
	v_pk_fma_f32 v[108:109], v[238:239], v[162:163], v[94:95] op_sel_hi:[1,0,1]
	v_dual_mov_b32 v103, v244 :: v_dual_mov_b32 v104, v249
	s_wait_loadcnt 0x2
	v_pk_mul_f32 v[106:107], v[242:243], v[166:167] op_sel:[1,1] op_sel_hi:[0,1]
	v_pk_add_f32 v[90:91], v[98:99], v[90:91]
	v_mov_b32_e32 v98, v169
	v_pk_fma_f32 v[94:95], v[238:239], v[162:163], v[94:95] neg_lo:[0,0,1] neg_hi:[0,0,1]
	v_pk_fma_f32 v[100:101], v[240:241], v[164:165], v[96:97] op_sel_hi:[1,0,1]
	v_mov_b32_e32 v95, v109
	v_pk_add_f32 v[90:91], v[90:91], v[92:93]
	v_pk_fma_f32 v[92:93], v[242:243], v[166:167], v[106:107] op_sel_hi:[1,0,1]
	v_pk_mul_f32 v[98:99], v[102:103], v[98:99] op_sel_hi:[1,0]
	v_pk_fma_f32 v[96:97], v[240:241], v[164:165], v[96:97] neg_lo:[0,0,1] neg_hi:[0,0,1]
	v_mov_b32_e32 v97, v101
	v_pk_add_f32 v[90:91], v[90:91], v[94:95]
	v_pk_fma_f32 v[100:101], v[242:243], v[166:167], v[106:107] neg_lo:[0,0,1] neg_hi:[0,0,1]
	v_mov_b32_e32 v101, v93
	v_pk_fma_f32 v[92:93], v[244:245], v[168:169], v[98:99] op_sel_hi:[1,0,1]
	s_wait_loadcnt 0x1
	v_pk_mul_f32 v[94:95], v[246:247], v[170:171] op_sel:[1,1] op_sel_hi:[0,1]
	v_pk_add_f32 v[90:91], v[90:91], v[96:97]
	v_mov_b32_e32 v92, v173
	v_pk_fma_f32 v[98:99], v[244:245], v[168:169], v[98:99] neg_lo:[0,0,1] neg_hi:[0,0,1]
	v_dual_mov_b32 v99, v93 :: v_dual_ashrrev_i32 v69, 31, v68
	v_pk_fma_f32 v[96:97], v[246:247], v[170:171], v[94:95] op_sel_hi:[1,0,1]
	v_pk_add_f32 v[90:91], v[90:91], v[100:101]
	v_pk_mul_f32 v[92:93], v[104:105], v[92:93] op_sel_hi:[1,0]
	v_pk_fma_f32 v[94:95], v[246:247], v[170:171], v[94:95] neg_lo:[0,0,1] neg_hi:[0,0,1]
	s_delay_alu instid0(VALU_DEP_4) | instskip(NEXT) | instid1(VALU_DEP_4)
	v_dual_ashrrev_i32 v71, 31, v70 :: v_dual_mov_b32 v95, v97
	v_pk_add_f32 v[90:91], v[90:91], v[98:99]
	s_delay_alu instid0(VALU_DEP_4)
	v_pk_fma_f32 v[96:97], v[248:249], v[172:173], v[92:93] op_sel_hi:[1,0,1]
	v_pk_fma_f32 v[92:93], v[248:249], v[172:173], v[92:93] neg_lo:[0,0,1] neg_hi:[0,0,1]
	v_dual_ashrrev_i32 v73, 31, v72 :: v_dual_ashrrev_i32 v75, 31, v74
	v_ashrrev_i32_e32 v77, 31, v76
	v_pk_add_f32 v[90:91], v[90:91], v[94:95]
	v_dual_mov_b32 v93, v97 :: v_dual_ashrrev_i32 v79, 31, v78
	v_dual_ashrrev_i32 v81, 31, v80 :: v_dual_ashrrev_i32 v83, 31, v82
	v_ashrrev_i32_e32 v85, 31, v84
	s_delay_alu instid0(VALU_DEP_3) | instskip(SKIP_2) | instid1(VALU_DEP_2)
	v_pk_add_f32 v[90:91], v[90:91], v[92:93]
	v_dual_ashrrev_i32 v87, 31, v86 :: v_dual_ashrrev_i32 v89, 31, v88
	s_wait_loadcnt 0x0
	v_pk_add_f32 v[90:91], v[250:251], v[90:91] neg_lo:[0,1] neg_hi:[0,1]
	scratch_store_b64 off, v[90:91], off offset:8
	s_wait_xcnt 0x0
	v_cmpx_ne_u32_e32 0, v0
	s_cbranch_execz .LBB43_277
; %bb.276:
	scratch_load_b64 v[90:91], off, off
	v_mov_b64_e32 v[92:93], 0
	scratch_store_b64 off, v[92:93], off
	s_wait_loadcnt 0x0
	ds_store_b64 v1, v[90:91]
.LBB43_277:
	s_wait_xcnt 0x0
	s_or_b32 exec_lo, exec_lo, s0
	s_wait_storecnt_dscnt 0x0
	s_barrier_signal -1
	s_barrier_wait -1
	s_clause 0x11
	scratch_load_b128 v[96:99], off, off offset:8
	scratch_load_b128 v[104:107], off, off offset:24
	;; [unrolled: 1-line block ×18, first 2 shown]
	v_mov_b32_e32 v90, 0
	s_and_b32 vcc_lo, exec_lo, s18
	ds_load_2addr_b64 v[92:95], v90 offset0:45 offset1:46
	ds_load_2addr_b64 v[100:103], v90 offset0:47 offset1:48
	s_wait_loadcnt_dscnt 0x1101
	v_mul_f32_e32 v0, v92, v97
	ds_load_2addr_b64 v[220:223], v90 offset0:77 offset1:78
	ds_load_2addr_b64 v[228:231], v90 offset0:79 offset1:80
	v_mul_f32_e32 v1, v94, v99
	ds_load_2addr_b64 v[108:111], v90 offset0:49 offset1:50
	ds_load_2addr_b64 v[116:119], v90 offset0:51 offset1:52
	v_fmac_f32_e32 v0, v93, v96
	ds_load_2addr_b64 v[124:127], v90 offset0:53 offset1:54
	ds_load_2addr_b64 v[132:135], v90 offset0:55 offset1:56
	v_fmac_f32_e32 v1, v95, v98
	ds_load_2addr_b64 v[140:143], v90 offset0:57 offset1:58
	ds_load_2addr_b64 v[148:151], v90 offset0:59 offset1:60
	v_add_f32_e32 v0, 0, v0
	ds_load_2addr_b64 v[156:159], v90 offset0:61 offset1:62
	ds_load_2addr_b64 v[164:167], v90 offset0:63 offset1:64
	;; [unrolled: 1-line block ×4, first 2 shown]
	v_add_f32_e32 v0, v0, v1
	s_wait_loadcnt_dscnt 0x100c
	v_mul_f32_e32 v1, v100, v105
	ds_load_2addr_b64 v[188:191], v90 offset0:69 offset1:70
	ds_load_2addr_b64 v[196:199], v90 offset0:71 offset1:72
	s_wait_loadcnt_dscnt 0xf0d
	v_mul_f32_e32 v249, v222, v227
	ds_load_2addr_b64 v[204:207], v90 offset0:73 offset1:74
	ds_load_2addr_b64 v[212:215], v90 offset0:75 offset1:76
	v_fmac_f32_e32 v1, v101, v104
	s_clause 0x3
	scratch_load_b128 v[236:239], off, off offset:296
	scratch_load_b128 v[240:243], off, off offset:312
	;; [unrolled: 1-line block ×3, first 2 shown]
	scratch_load_b64 v[252:253], off, off offset:344
	s_wait_loadcnt_dscnt 0x120e
	v_dual_mul_f32 v251, v228, v233 :: v_dual_fmac_f32 v249, v223, v226
	v_dual_mul_f32 v91, v95, v99 :: v_dual_add_f32 v0, v0, v1
	s_delay_alu instid0(VALU_DEP_2) | instskip(NEXT) | instid1(VALU_DEP_2)
	v_dual_mul_f32 v1, v102, v107 :: v_dual_fmac_f32 v251, v229, v232
	v_fma_f32 v91, v94, v98, -v91
	s_delay_alu instid0(VALU_DEP_2) | instskip(NEXT) | instid1(VALU_DEP_1)
	v_fmac_f32_e32 v1, v103, v106
	v_add_f32_e32 v0, v0, v1
	s_wait_loadcnt_dscnt 0x110d
	v_mul_f32_e32 v1, v108, v113
	s_delay_alu instid0(VALU_DEP_1) | instskip(NEXT) | instid1(VALU_DEP_1)
	v_fmac_f32_e32 v1, v109, v112
	v_dual_add_f32 v0, v0, v1 :: v_dual_mul_f32 v1, v110, v115
	s_delay_alu instid0(VALU_DEP_1) | instskip(NEXT) | instid1(VALU_DEP_1)
	v_fmac_f32_e32 v1, v111, v114
	v_add_f32_e32 v0, v0, v1
	s_wait_loadcnt_dscnt 0x100c
	v_mul_f32_e32 v1, v116, v121
	s_delay_alu instid0(VALU_DEP_1) | instskip(NEXT) | instid1(VALU_DEP_1)
	v_fmac_f32_e32 v1, v117, v120
	v_dual_add_f32 v0, v0, v1 :: v_dual_mul_f32 v1, v118, v123
	s_delay_alu instid0(VALU_DEP_1) | instskip(NEXT) | instid1(VALU_DEP_1)
	v_fmac_f32_e32 v1, v119, v122
	v_add_f32_e32 v0, v0, v1
	s_wait_loadcnt_dscnt 0xf0b
	v_mul_f32_e32 v1, v124, v129
	s_delay_alu instid0(VALU_DEP_1) | instskip(NEXT) | instid1(VALU_DEP_1)
	v_fmac_f32_e32 v1, v125, v128
	v_dual_add_f32 v0, v0, v1 :: v_dual_mul_f32 v1, v126, v131
	s_delay_alu instid0(VALU_DEP_1) | instskip(NEXT) | instid1(VALU_DEP_1)
	v_fmac_f32_e32 v1, v127, v130
	v_add_f32_e32 v0, v0, v1
	s_wait_loadcnt_dscnt 0xe0a
	v_mul_f32_e32 v1, v132, v137
	s_delay_alu instid0(VALU_DEP_1) | instskip(NEXT) | instid1(VALU_DEP_1)
	v_fmac_f32_e32 v1, v133, v136
	v_dual_add_f32 v0, v0, v1 :: v_dual_mul_f32 v1, v134, v139
	s_delay_alu instid0(VALU_DEP_1) | instskip(NEXT) | instid1(VALU_DEP_1)
	v_fmac_f32_e32 v1, v135, v138
	v_add_f32_e32 v0, v0, v1
	s_wait_loadcnt_dscnt 0xd09
	v_mul_f32_e32 v1, v140, v145
	s_delay_alu instid0(VALU_DEP_1) | instskip(NEXT) | instid1(VALU_DEP_1)
	v_fmac_f32_e32 v1, v141, v144
	v_dual_add_f32 v0, v0, v1 :: v_dual_mul_f32 v1, v142, v147
	s_delay_alu instid0(VALU_DEP_1) | instskip(NEXT) | instid1(VALU_DEP_1)
	v_fmac_f32_e32 v1, v143, v146
	v_add_f32_e32 v0, v0, v1
	s_wait_loadcnt_dscnt 0xc08
	v_mul_f32_e32 v1, v148, v153
	s_delay_alu instid0(VALU_DEP_1) | instskip(NEXT) | instid1(VALU_DEP_1)
	v_fmac_f32_e32 v1, v149, v152
	v_dual_add_f32 v0, v0, v1 :: v_dual_mul_f32 v1, v150, v155
	s_delay_alu instid0(VALU_DEP_1) | instskip(NEXT) | instid1(VALU_DEP_1)
	v_fmac_f32_e32 v1, v151, v154
	v_add_f32_e32 v0, v0, v1
	s_wait_loadcnt_dscnt 0xb07
	v_mul_f32_e32 v1, v156, v161
	s_delay_alu instid0(VALU_DEP_1) | instskip(NEXT) | instid1(VALU_DEP_1)
	v_fmac_f32_e32 v1, v157, v160
	v_dual_add_f32 v0, v0, v1 :: v_dual_mul_f32 v1, v158, v163
	s_delay_alu instid0(VALU_DEP_1) | instskip(NEXT) | instid1(VALU_DEP_1)
	v_fmac_f32_e32 v1, v159, v162
	v_add_f32_e32 v0, v0, v1
	s_wait_loadcnt_dscnt 0xa06
	v_mul_f32_e32 v1, v164, v169
	s_delay_alu instid0(VALU_DEP_1) | instskip(NEXT) | instid1(VALU_DEP_1)
	v_fmac_f32_e32 v1, v165, v168
	v_dual_add_f32 v0, v0, v1 :: v_dual_mul_f32 v1, v166, v171
	s_delay_alu instid0(VALU_DEP_1) | instskip(NEXT) | instid1(VALU_DEP_1)
	v_fmac_f32_e32 v1, v167, v170
	v_add_f32_e32 v0, v0, v1
	s_wait_loadcnt_dscnt 0x905
	v_mul_f32_e32 v1, v172, v177
	s_delay_alu instid0(VALU_DEP_1) | instskip(NEXT) | instid1(VALU_DEP_1)
	v_fmac_f32_e32 v1, v173, v176
	v_dual_add_f32 v0, v0, v1 :: v_dual_mul_f32 v1, v174, v179
	s_delay_alu instid0(VALU_DEP_1) | instskip(NEXT) | instid1(VALU_DEP_1)
	v_fmac_f32_e32 v1, v175, v178
	v_add_f32_e32 v0, v0, v1
	s_wait_loadcnt_dscnt 0x804
	v_mul_f32_e32 v1, v180, v185
	s_delay_alu instid0(VALU_DEP_1) | instskip(NEXT) | instid1(VALU_DEP_1)
	v_fmac_f32_e32 v1, v181, v184
	v_dual_add_f32 v0, v0, v1 :: v_dual_mul_f32 v1, v182, v187
	s_delay_alu instid0(VALU_DEP_1) | instskip(NEXT) | instid1(VALU_DEP_1)
	v_fmac_f32_e32 v1, v183, v186
	v_add_f32_e32 v0, v0, v1
	s_wait_loadcnt_dscnt 0x703
	v_mul_f32_e32 v1, v188, v193
	s_delay_alu instid0(VALU_DEP_1) | instskip(NEXT) | instid1(VALU_DEP_1)
	v_fmac_f32_e32 v1, v189, v192
	v_dual_add_f32 v0, v0, v1 :: v_dual_mul_f32 v1, v190, v195
	s_delay_alu instid0(VALU_DEP_1) | instskip(NEXT) | instid1(VALU_DEP_1)
	v_fmac_f32_e32 v1, v191, v194
	v_add_f32_e32 v0, v0, v1
	s_wait_loadcnt_dscnt 0x602
	v_mul_f32_e32 v1, v196, v201
	s_delay_alu instid0(VALU_DEP_1) | instskip(NEXT) | instid1(VALU_DEP_1)
	v_fmac_f32_e32 v1, v197, v200
	v_dual_add_f32 v0, v0, v1 :: v_dual_mul_f32 v1, v198, v203
	s_delay_alu instid0(VALU_DEP_1) | instskip(NEXT) | instid1(VALU_DEP_1)
	v_fmac_f32_e32 v1, v199, v202
	v_add_f32_e32 v0, v0, v1
	s_wait_loadcnt_dscnt 0x501
	v_mul_f32_e32 v1, v204, v209
	s_delay_alu instid0(VALU_DEP_1) | instskip(NEXT) | instid1(VALU_DEP_1)
	v_fmac_f32_e32 v1, v205, v208
	v_dual_add_f32 v0, v0, v1 :: v_dual_mul_f32 v1, v206, v211
	s_delay_alu instid0(VALU_DEP_1) | instskip(NEXT) | instid1(VALU_DEP_1)
	v_fmac_f32_e32 v1, v207, v210
	v_add_f32_e32 v0, v0, v1
	s_wait_loadcnt_dscnt 0x400
	v_mul_f32_e32 v1, v212, v217
	s_delay_alu instid0(VALU_DEP_1) | instskip(NEXT) | instid1(VALU_DEP_1)
	v_fmac_f32_e32 v1, v213, v216
	v_dual_add_f32 v0, v0, v1 :: v_dual_mul_f32 v1, v214, v219
	s_delay_alu instid0(VALU_DEP_1) | instskip(NEXT) | instid1(VALU_DEP_1)
	v_fmac_f32_e32 v1, v215, v218
	v_add_f32_e32 v0, v0, v1
	v_mul_f32_e32 v1, v220, v225
	s_delay_alu instid0(VALU_DEP_1) | instskip(NEXT) | instid1(VALU_DEP_1)
	v_fmac_f32_e32 v1, v221, v224
	v_add_f32_e32 v1, v0, v1
	v_mul_f32_e32 v0, v93, v97
	s_delay_alu instid0(VALU_DEP_1) | instskip(NEXT) | instid1(VALU_DEP_1)
	v_fma_f32 v0, v92, v96, -v0
	v_add_f32_e32 v0, 0, v0
	s_delay_alu instid0(VALU_DEP_1) | instskip(NEXT) | instid1(VALU_DEP_1)
	v_dual_add_f32 v0, v0, v91 :: v_dual_mul_f32 v91, v101, v105
	v_fma_f32 v91, v100, v104, -v91
	s_delay_alu instid0(VALU_DEP_1) | instskip(SKIP_1) | instid1(VALU_DEP_1)
	v_add_f32_e32 v0, v0, v91
	v_dual_mul_f32 v91, v103, v107 :: v_dual_mov_b32 v107, v230
	v_dual_fma_f32 v91, v102, v106, -v91 :: v_dual_mov_b32 v106, v231
	ds_load_2addr_b64 v[92:95], v90 offset0:81 offset1:82
	ds_load_2addr_b64 v[96:99], v90 offset0:83 offset1:84
	;; [unrolled: 1-line block ×3, first 2 shown]
	ds_load_b64 v[104:105], v90 offset:696
	v_dual_add_f32 v0, v0, v91 :: v_dual_mul_f32 v91, v109, v113
	s_delay_alu instid0(VALU_DEP_1) | instskip(NEXT) | instid1(VALU_DEP_1)
	v_dual_fma_f32 v91, v108, v112, -v91 :: v_dual_mov_b32 v108, v235
	v_add_f32_e32 v0, v0, v91
	v_mul_f32_e32 v91, v111, v115
	s_delay_alu instid0(VALU_DEP_3) | instskip(NEXT) | instid1(VALU_DEP_2)
	v_pk_mul_f32 v[106:107], v[106:107], v[108:109] op_sel_hi:[1,0]
	v_fma_f32 v91, v110, v114, -v91
	s_delay_alu instid0(VALU_DEP_2) | instskip(SKIP_1) | instid1(VALU_DEP_3)
	v_pk_fma_f32 v[108:109], v[230:231], v[234:235], v[106:107] neg_lo:[0,0,1] neg_hi:[0,0,1]
	v_pk_fma_f32 v[106:107], v[230:231], v[234:235], v[106:107] op_sel_hi:[1,0,1]
	v_dual_add_f32 v0, v0, v91 :: v_dual_mul_f32 v91, v117, v121
	s_delay_alu instid0(VALU_DEP_2) | instskip(SKIP_2) | instid1(VALU_DEP_3)
	v_mov_b32_e32 v109, v107
	s_wait_loadcnt_dscnt 0x303
	v_pk_mul_f32 v[106:107], v[92:93], v[236:237] op_sel:[1,1] op_sel_hi:[0,1]
	v_fma_f32 v91, v116, v120, -v91
	s_delay_alu instid0(VALU_DEP_1) | instskip(SKIP_1) | instid1(VALU_DEP_1)
	v_add_f32_e32 v0, v0, v91
	v_mul_f32_e32 v91, v119, v123
	v_fma_f32 v91, v118, v122, -v91
	s_delay_alu instid0(VALU_DEP_1) | instskip(NEXT) | instid1(VALU_DEP_1)
	v_dual_add_f32 v0, v0, v91 :: v_dual_mul_f32 v91, v125, v129
	v_fma_f32 v91, v124, v128, -v91
	s_delay_alu instid0(VALU_DEP_1) | instskip(SKIP_1) | instid1(VALU_DEP_1)
	v_add_f32_e32 v0, v0, v91
	v_mul_f32_e32 v91, v127, v131
	v_fma_f32 v91, v126, v130, -v91
	s_delay_alu instid0(VALU_DEP_1) | instskip(NEXT) | instid1(VALU_DEP_1)
	v_dual_add_f32 v0, v0, v91 :: v_dual_mul_f32 v91, v133, v137
	;; [unrolled: 7-line block ×13, first 2 shown]
	v_fma_f32 v91, v220, v224, -v91
	s_delay_alu instid0(VALU_DEP_1) | instskip(SKIP_1) | instid1(VALU_DEP_1)
	v_add_f32_e32 v0, v0, v91
	v_mul_f32_e32 v91, v223, v227
	v_dual_fma_f32 v248, v222, v226, -v91 :: v_dual_mul_f32 v91, v229, v233
	s_delay_alu instid0(VALU_DEP_1) | instskip(NEXT) | instid1(VALU_DEP_2)
	v_pk_add_f32 v[0:1], v[0:1], v[248:249]
	v_fma_f32 v250, v228, v232, -v91
	s_delay_alu instid0(VALU_DEP_1) | instskip(NEXT) | instid1(VALU_DEP_1)
	v_pk_add_f32 v[0:1], v[0:1], v[250:251]
	v_pk_add_f32 v[0:1], v[0:1], v[108:109]
	v_pk_fma_f32 v[108:109], v[92:93], v[236:237], v[106:107] neg_lo:[0,0,1] neg_hi:[0,0,1]
	v_pk_fma_f32 v[92:93], v[92:93], v[236:237], v[106:107] op_sel_hi:[1,0,1]
	v_dual_mov_b32 v92, v95 :: v_dual_mov_b32 v106, v239
	s_delay_alu instid0(VALU_DEP_2) | instskip(NEXT) | instid1(VALU_DEP_1)
	v_dual_mov_b32 v109, v93 :: v_dual_mov_b32 v93, v94
	v_pk_add_f32 v[0:1], v[0:1], v[108:109]
	s_delay_alu instid0(VALU_DEP_2) | instskip(NEXT) | instid1(VALU_DEP_1)
	v_pk_mul_f32 v[92:93], v[92:93], v[106:107] op_sel_hi:[1,0]
	v_pk_fma_f32 v[106:107], v[94:95], v[238:239], v[92:93] neg_lo:[0,0,1] neg_hi:[0,0,1]
	v_pk_fma_f32 v[92:93], v[94:95], v[238:239], v[92:93] op_sel_hi:[1,0,1]
	s_delay_alu instid0(VALU_DEP_1) | instskip(SKIP_2) | instid1(VALU_DEP_2)
	v_mov_b32_e32 v107, v93
	s_wait_loadcnt_dscnt 0x202
	v_pk_mul_f32 v[92:93], v[96:97], v[240:241] op_sel:[1,1] op_sel_hi:[0,1]
	v_pk_add_f32 v[0:1], v[0:1], v[106:107]
	s_delay_alu instid0(VALU_DEP_2) | instskip(SKIP_1) | instid1(VALU_DEP_1)
	v_pk_fma_f32 v[94:95], v[96:97], v[240:241], v[92:93] neg_lo:[0,0,1] neg_hi:[0,0,1]
	v_pk_fma_f32 v[92:93], v[96:97], v[240:241], v[92:93] op_sel_hi:[1,0,1]
	v_dual_mov_b32 v92, v99 :: v_dual_mov_b32 v95, v93
	v_mov_b32_e32 v93, v98
	s_delay_alu instid0(VALU_DEP_2) | instskip(SKIP_1) | instid1(VALU_DEP_1)
	v_pk_add_f32 v[0:1], v[0:1], v[94:95]
	v_mov_b32_e32 v94, v243
	v_pk_mul_f32 v[92:93], v[92:93], v[94:95] op_sel_hi:[1,0]
	s_delay_alu instid0(VALU_DEP_1) | instskip(SKIP_1) | instid1(VALU_DEP_1)
	v_pk_fma_f32 v[94:95], v[98:99], v[242:243], v[92:93] neg_lo:[0,0,1] neg_hi:[0,0,1]
	v_pk_fma_f32 v[92:93], v[98:99], v[242:243], v[92:93] op_sel_hi:[1,0,1]
	v_mov_b32_e32 v95, v93
	s_wait_loadcnt_dscnt 0x101
	v_pk_mul_f32 v[92:93], v[100:101], v[244:245] op_sel:[1,1] op_sel_hi:[0,1]
	s_delay_alu instid0(VALU_DEP_2) | instskip(NEXT) | instid1(VALU_DEP_2)
	v_pk_add_f32 v[0:1], v[0:1], v[94:95]
	v_pk_fma_f32 v[94:95], v[100:101], v[244:245], v[92:93] neg_lo:[0,0,1] neg_hi:[0,0,1]
	v_pk_fma_f32 v[92:93], v[100:101], v[244:245], v[92:93] op_sel_hi:[1,0,1]
	s_delay_alu instid0(VALU_DEP_1) | instskip(SKIP_1) | instid1(VALU_DEP_2)
	v_dual_mov_b32 v92, v103 :: v_dual_mov_b32 v95, v93
	v_mov_b32_e32 v93, v102
	v_pk_add_f32 v[0:1], v[0:1], v[94:95]
	v_mov_b32_e32 v94, v247
	s_delay_alu instid0(VALU_DEP_1) | instskip(NEXT) | instid1(VALU_DEP_1)
	v_pk_mul_f32 v[92:93], v[92:93], v[94:95] op_sel_hi:[1,0]
	v_pk_fma_f32 v[94:95], v[102:103], v[246:247], v[92:93] neg_lo:[0,0,1] neg_hi:[0,0,1]
	v_pk_fma_f32 v[92:93], v[102:103], v[246:247], v[92:93] op_sel_hi:[1,0,1]
	s_delay_alu instid0(VALU_DEP_1) | instskip(SKIP_2) | instid1(VALU_DEP_2)
	v_mov_b32_e32 v95, v93
	s_wait_loadcnt_dscnt 0x0
	v_pk_mul_f32 v[92:93], v[104:105], v[252:253] op_sel:[1,1] op_sel_hi:[0,1]
	v_pk_add_f32 v[0:1], v[0:1], v[94:95]
	s_delay_alu instid0(VALU_DEP_2) | instskip(SKIP_1) | instid1(VALU_DEP_1)
	v_pk_fma_f32 v[94:95], v[104:105], v[252:253], v[92:93] neg_lo:[0,0,1] neg_hi:[0,0,1]
	v_pk_fma_f32 v[92:93], v[104:105], v[252:253], v[92:93] op_sel_hi:[1,0,1]
	v_mov_b32_e32 v95, v93
	scratch_load_b64 v[92:93], off, off
	v_pk_add_f32 v[0:1], v[0:1], v[94:95]
	s_wait_loadcnt 0x0
	s_delay_alu instid0(VALU_DEP_1)
	v_pk_add_f32 v[0:1], v[92:93], v[0:1] neg_lo:[0,1] neg_hi:[0,1]
	scratch_store_b64 off, v[0:1], off
	s_cbranch_vccz .LBB43_364
; %bb.278:
	global_load_b32 v0, v90, s[2:3] offset:168
	s_wait_loadcnt 0x0
	v_cmp_ne_u32_e32 vcc_lo, 43, v0
	s_cbranch_vccz .LBB43_280
; %bb.279:
	v_lshlrev_b32_e32 v0, 3, v0
	s_delay_alu instid0(VALU_DEP_1)
	v_mov_b32_e32 v92, v0
	scratch_load_b64 v[0:1], v92, off offset:-8
	scratch_load_b64 v[90:91], off, off offset:336
	s_wait_loadcnt 0x1
	scratch_store_b64 off, v[0:1], off offset:336
	s_wait_loadcnt 0x0
	scratch_store_b64 v92, v[90:91], off offset:-8
.LBB43_280:
	s_wait_xcnt 0x1
	v_mov_b32_e32 v0, 0
	global_load_b32 v1, v0, s[2:3] offset:164
	s_wait_loadcnt 0x0
	v_cmp_eq_u32_e32 vcc_lo, 42, v1
	s_cbranch_vccnz .LBB43_282
; %bb.281:
	v_lshlrev_b32_e32 v1, 3, v1
	scratch_load_b64 v[90:91], v1, off offset:-8
	scratch_load_b64 v[92:93], off, off offset:328
	s_wait_loadcnt 0x1
	scratch_store_b64 off, v[90:91], off offset:328
	s_wait_loadcnt 0x0
	scratch_store_b64 v1, v[92:93], off offset:-8
.LBB43_282:
	global_load_b32 v0, v0, s[2:3] offset:160
	s_wait_loadcnt 0x0
	v_cmp_eq_u32_e32 vcc_lo, 41, v0
	s_cbranch_vccnz .LBB43_284
; %bb.283:
	s_wait_xcnt 0x0
	v_lshlrev_b32_e32 v0, 3, v0
	s_delay_alu instid0(VALU_DEP_1)
	v_mov_b32_e32 v92, v0
	scratch_load_b64 v[0:1], v92, off offset:-8
	scratch_load_b64 v[90:91], off, off offset:320
	s_wait_loadcnt 0x1
	scratch_store_b64 off, v[0:1], off offset:320
	s_wait_loadcnt 0x0
	scratch_store_b64 v92, v[90:91], off offset:-8
.LBB43_284:
	s_wait_xcnt 0x0
	v_mov_b32_e32 v0, 0
	global_load_b32 v1, v0, s[2:3] offset:156
	s_wait_loadcnt 0x0
	v_cmp_eq_u32_e32 vcc_lo, 40, v1
	s_cbranch_vccnz .LBB43_286
; %bb.285:
	v_lshlrev_b32_e32 v1, 3, v1
	scratch_load_b64 v[90:91], v1, off offset:-8
	scratch_load_b64 v[92:93], off, off offset:312
	s_wait_loadcnt 0x1
	scratch_store_b64 off, v[90:91], off offset:312
	s_wait_loadcnt 0x0
	scratch_store_b64 v1, v[92:93], off offset:-8
.LBB43_286:
	global_load_b32 v0, v0, s[2:3] offset:152
	s_wait_loadcnt 0x0
	v_cmp_eq_u32_e32 vcc_lo, 39, v0
	s_cbranch_vccnz .LBB43_288
; %bb.287:
	s_wait_xcnt 0x0
	v_lshlrev_b32_e32 v0, 3, v0
	s_delay_alu instid0(VALU_DEP_1)
	v_mov_b32_e32 v92, v0
	scratch_load_b64 v[0:1], v92, off offset:-8
	scratch_load_b64 v[90:91], off, off offset:304
	s_wait_loadcnt 0x1
	scratch_store_b64 off, v[0:1], off offset:304
	s_wait_loadcnt 0x0
	scratch_store_b64 v92, v[90:91], off offset:-8
.LBB43_288:
	;; [unrolled: 31-line block ×20, first 2 shown]
	s_wait_xcnt 0x0
	v_mov_b32_e32 v0, 0
	global_load_b32 v1, v0, s[2:3] offset:4
	s_wait_loadcnt 0x0
	v_cmp_eq_u32_e32 vcc_lo, 2, v1
	s_cbranch_vccnz .LBB43_362
; %bb.361:
	v_lshlrev_b32_e32 v1, 3, v1
	scratch_load_b64 v[90:91], v1, off offset:-8
	scratch_load_b64 v[92:93], off, off offset:8
	s_wait_loadcnt 0x1
	scratch_store_b64 off, v[90:91], off offset:8
	s_wait_loadcnt 0x0
	scratch_store_b64 v1, v[92:93], off offset:-8
.LBB43_362:
	global_load_b32 v90, v0, s[2:3]
	scratch_load_b64 v[0:1], off, off
	s_wait_loadcnt 0x1
	v_cmp_eq_u32_e32 vcc_lo, 1, v90
	s_cbranch_vccnz .LBB43_364
; %bb.363:
	v_lshlrev_b32_e32 v90, 3, v90
	s_delay_alu instid0(VALU_DEP_1)
	v_mov_b32_e32 v92, v90
	scratch_load_b64 v[90:91], v92, off offset:-8
	s_wait_loadcnt 0x0
	scratch_store_b64 off, v[90:91], off
	scratch_store_b64 v92, v[0:1], off offset:-8
	scratch_load_b64 v[0:1], off, off
.LBB43_364:
	s_clause 0x15
	scratch_load_b128 v[90:93], off, off offset:8
	scratch_load_b128 v[94:97], off, off offset:24
	;; [unrolled: 1-line block ×21, first 2 shown]
	scratch_load_b64 v[174:175], off, off offset:344
	v_lshl_add_u64 v[4:5], v[4:5], 3, s[4:5]
	v_lshl_add_u64 v[6:7], v[6:7], 3, s[4:5]
	;; [unrolled: 1-line block ×42, first 2 shown]
	s_wait_loadcnt 0x16
	global_store_b64 v[2:3], v[0:1], off
	s_wait_loadcnt 0x15
	s_clause 0x1
	global_store_b64 v[8:9], v[90:91], off
	global_store_b64 v[4:5], v[92:93], off
	s_wait_loadcnt 0x14
	s_clause 0x1
	global_store_b64 v[6:7], v[94:95], off
	;; [unrolled: 4-line block ×21, first 2 shown]
	global_store_b64 v[86:87], v[172:173], off
	s_wait_loadcnt 0x0
	global_store_b64 v[88:89], v[174:175], off
	s_sendmsg sendmsg(MSG_DEALLOC_VGPRS)
	s_endpgm
	.section	.rodata,"a",@progbits
	.p2align	6, 0x0
	.amdhsa_kernel _ZN9rocsolver6v33100L18getri_kernel_smallILi44E19rocblas_complex_numIfEPS3_EEvT1_iilPiilS6_bb
		.amdhsa_group_segment_fixed_size 708
		.amdhsa_private_segment_fixed_size 368
		.amdhsa_kernarg_size 60
		.amdhsa_user_sgpr_count 2
		.amdhsa_user_sgpr_dispatch_ptr 0
		.amdhsa_user_sgpr_queue_ptr 0
		.amdhsa_user_sgpr_kernarg_segment_ptr 1
		.amdhsa_user_sgpr_dispatch_id 0
		.amdhsa_user_sgpr_kernarg_preload_length 0
		.amdhsa_user_sgpr_kernarg_preload_offset 0
		.amdhsa_user_sgpr_private_segment_size 0
		.amdhsa_wavefront_size32 1
		.amdhsa_uses_dynamic_stack 0
		.amdhsa_enable_private_segment 1
		.amdhsa_system_sgpr_workgroup_id_x 1
		.amdhsa_system_sgpr_workgroup_id_y 0
		.amdhsa_system_sgpr_workgroup_id_z 0
		.amdhsa_system_sgpr_workgroup_info 0
		.amdhsa_system_vgpr_workitem_id 0
		.amdhsa_next_free_vgpr 264
		.amdhsa_next_free_sgpr 19
		.amdhsa_named_barrier_count 0
		.amdhsa_reserve_vcc 1
		.amdhsa_float_round_mode_32 0
		.amdhsa_float_round_mode_16_64 0
		.amdhsa_float_denorm_mode_32 3
		.amdhsa_float_denorm_mode_16_64 3
		.amdhsa_fp16_overflow 0
		.amdhsa_memory_ordered 1
		.amdhsa_forward_progress 1
		.amdhsa_inst_pref_size 255
		.amdhsa_round_robin_scheduling 0
		.amdhsa_exception_fp_ieee_invalid_op 0
		.amdhsa_exception_fp_denorm_src 0
		.amdhsa_exception_fp_ieee_div_zero 0
		.amdhsa_exception_fp_ieee_overflow 0
		.amdhsa_exception_fp_ieee_underflow 0
		.amdhsa_exception_fp_ieee_inexact 0
		.amdhsa_exception_int_div_zero 0
	.end_amdhsa_kernel
	.section	.text._ZN9rocsolver6v33100L18getri_kernel_smallILi44E19rocblas_complex_numIfEPS3_EEvT1_iilPiilS6_bb,"axG",@progbits,_ZN9rocsolver6v33100L18getri_kernel_smallILi44E19rocblas_complex_numIfEPS3_EEvT1_iilPiilS6_bb,comdat
.Lfunc_end43:
	.size	_ZN9rocsolver6v33100L18getri_kernel_smallILi44E19rocblas_complex_numIfEPS3_EEvT1_iilPiilS6_bb, .Lfunc_end43-_ZN9rocsolver6v33100L18getri_kernel_smallILi44E19rocblas_complex_numIfEPS3_EEvT1_iilPiilS6_bb
                                        ; -- End function
	.set _ZN9rocsolver6v33100L18getri_kernel_smallILi44E19rocblas_complex_numIfEPS3_EEvT1_iilPiilS6_bb.num_vgpr, 264
	.set _ZN9rocsolver6v33100L18getri_kernel_smallILi44E19rocblas_complex_numIfEPS3_EEvT1_iilPiilS6_bb.num_agpr, 0
	.set _ZN9rocsolver6v33100L18getri_kernel_smallILi44E19rocblas_complex_numIfEPS3_EEvT1_iilPiilS6_bb.numbered_sgpr, 19
	.set _ZN9rocsolver6v33100L18getri_kernel_smallILi44E19rocblas_complex_numIfEPS3_EEvT1_iilPiilS6_bb.num_named_barrier, 0
	.set _ZN9rocsolver6v33100L18getri_kernel_smallILi44E19rocblas_complex_numIfEPS3_EEvT1_iilPiilS6_bb.private_seg_size, 368
	.set _ZN9rocsolver6v33100L18getri_kernel_smallILi44E19rocblas_complex_numIfEPS3_EEvT1_iilPiilS6_bb.uses_vcc, 1
	.set _ZN9rocsolver6v33100L18getri_kernel_smallILi44E19rocblas_complex_numIfEPS3_EEvT1_iilPiilS6_bb.uses_flat_scratch, 1
	.set _ZN9rocsolver6v33100L18getri_kernel_smallILi44E19rocblas_complex_numIfEPS3_EEvT1_iilPiilS6_bb.has_dyn_sized_stack, 0
	.set _ZN9rocsolver6v33100L18getri_kernel_smallILi44E19rocblas_complex_numIfEPS3_EEvT1_iilPiilS6_bb.has_recursion, 0
	.set _ZN9rocsolver6v33100L18getri_kernel_smallILi44E19rocblas_complex_numIfEPS3_EEvT1_iilPiilS6_bb.has_indirect_call, 0
	.section	.AMDGPU.csdata,"",@progbits
; Kernel info:
; codeLenInByte = 73936
; TotalNumSgprs: 21
; NumVgprs: 264
; ScratchSize: 368
; MemoryBound: 0
; FloatMode: 240
; IeeeMode: 1
; LDSByteSize: 708 bytes/workgroup (compile time only)
; SGPRBlocks: 0
; VGPRBlocks: 16
; NumSGPRsForWavesPerEU: 21
; NumVGPRsForWavesPerEU: 264
; NamedBarCnt: 0
; Occupancy: 3
; WaveLimiterHint : 1
; COMPUTE_PGM_RSRC2:SCRATCH_EN: 1
; COMPUTE_PGM_RSRC2:USER_SGPR: 2
; COMPUTE_PGM_RSRC2:TRAP_HANDLER: 0
; COMPUTE_PGM_RSRC2:TGID_X_EN: 1
; COMPUTE_PGM_RSRC2:TGID_Y_EN: 0
; COMPUTE_PGM_RSRC2:TGID_Z_EN: 0
; COMPUTE_PGM_RSRC2:TIDIG_COMP_CNT: 0
	.section	.text._ZN9rocsolver6v33100L18getri_kernel_smallILi45E19rocblas_complex_numIfEPS3_EEvT1_iilPiilS6_bb,"axG",@progbits,_ZN9rocsolver6v33100L18getri_kernel_smallILi45E19rocblas_complex_numIfEPS3_EEvT1_iilPiilS6_bb,comdat
	.globl	_ZN9rocsolver6v33100L18getri_kernel_smallILi45E19rocblas_complex_numIfEPS3_EEvT1_iilPiilS6_bb ; -- Begin function _ZN9rocsolver6v33100L18getri_kernel_smallILi45E19rocblas_complex_numIfEPS3_EEvT1_iilPiilS6_bb
	.p2align	8
	.type	_ZN9rocsolver6v33100L18getri_kernel_smallILi45E19rocblas_complex_numIfEPS3_EEvT1_iilPiilS6_bb,@function
_ZN9rocsolver6v33100L18getri_kernel_smallILi45E19rocblas_complex_numIfEPS3_EEvT1_iilPiilS6_bb: ; @_ZN9rocsolver6v33100L18getri_kernel_smallILi45E19rocblas_complex_numIfEPS3_EEvT1_iilPiilS6_bb
; %bb.0:
	s_mov_b32 s2, exec_lo
	v_cmpx_gt_u32_e32 45, v0
	s_cbranch_execz .LBB44_194
; %bb.1:
	s_clause 0x2
	s_load_b32 s2, s[0:1], 0x38
	s_load_b128 s[12:15], s[0:1], 0x10
	s_load_b128 s[4:7], s[0:1], 0x28
	s_getreg_b32 s9, hwreg(HW_REG_IB_STS2, 6, 4)
	s_wait_kmcnt 0x0
	s_bitcmp1_b32 s2, 8
	s_cselect_b32 s18, -1, 0
	s_bfe_u32 s3, ttmp6, 0x4000c
	s_and_b32 s8, ttmp6, 15
	s_add_co_i32 s3, s3, 1
	s_delay_alu instid0(SALU_CYCLE_1) | instskip(NEXT) | instid1(SALU_CYCLE_1)
	s_mul_i32 s3, ttmp9, s3
	s_add_co_i32 s8, s8, s3
	s_cmp_eq_u32 s9, 0
	s_cselect_b32 s16, ttmp9, s8
	s_bfe_u32 s2, s2, 0x10008
	s_ashr_i32 s17, s16, 31
	s_cmp_eq_u32 s2, 0
                                        ; implicit-def: $sgpr2_sgpr3
	s_cbranch_scc1 .LBB44_3
; %bb.2:
	s_load_b32 s2, s[0:1], 0x20
	s_mul_u64 s[4:5], s[4:5], s[16:17]
	s_delay_alu instid0(SALU_CYCLE_1) | instskip(NEXT) | instid1(SALU_CYCLE_1)
	s_lshl_b64 s[4:5], s[4:5], 2
	s_add_nc_u64 s[4:5], s[14:15], s[4:5]
	s_wait_kmcnt 0x0
	s_ashr_i32 s3, s2, 31
	s_delay_alu instid0(SALU_CYCLE_1) | instskip(NEXT) | instid1(SALU_CYCLE_1)
	s_lshl_b64 s[2:3], s[2:3], 2
	s_add_nc_u64 s[2:3], s[4:5], s[2:3]
.LBB44_3:
	s_clause 0x1
	s_load_b128 s[8:11], s[0:1], 0x0
	s_load_b32 s14, s[0:1], 0x38
	s_wait_xcnt 0x0
	s_mul_u64 s[0:1], s[12:13], s[16:17]
	v_lshlrev_b32_e32 v92, 3, v0
	s_lshl_b64 s[0:1], s[0:1], 3
	s_wait_kmcnt 0x0
	v_add3_u32 v4, s11, s11, v0
	s_ashr_i32 s5, s10, 31
	s_mov_b32 s4, s10
	s_add_nc_u64 s[0:1], s[8:9], s[0:1]
	s_lshl_b64 s[4:5], s[4:5], 3
	v_add_nc_u32_e32 v6, s11, v4
	s_add_nc_u64 s[4:5], s[0:1], s[4:5]
	s_ashr_i32 s1, s11, 31
	s_mov_b32 s0, s11
	s_bitcmp0_b32 s14, 0
	v_add_nc_u32_e32 v10, s11, v6
	s_delay_alu instid0(VALU_DEP_1) | instskip(NEXT) | instid1(VALU_DEP_1)
	v_add_nc_u32_e32 v12, s11, v10
	v_add_nc_u32_e32 v14, s11, v12
	s_delay_alu instid0(VALU_DEP_1) | instskip(NEXT) | instid1(VALU_DEP_1)
	v_add_nc_u32_e32 v16, s11, v14
	;; [unrolled: 3-line block ×12, first 2 shown]
	v_add_nc_u32_e32 v58, s11, v56
	s_delay_alu instid0(VALU_DEP_1) | instskip(NEXT) | instid1(VALU_DEP_1)
	v_dual_mov_b32 v93, 0 :: v_dual_add_nc_u32 v60, s11, v58
	v_add_nc_u32_e32 v62, s11, v60
	s_delay_alu instid0(VALU_DEP_2) | instskip(NEXT) | instid1(VALU_DEP_2)
	v_add_nc_u64_e32 v[2:3], s[4:5], v[92:93]
	v_add_nc_u32_e32 v64, s11, v62
	s_delay_alu instid0(VALU_DEP_2) | instskip(SKIP_1) | instid1(VALU_DEP_2)
	v_lshl_add_u64 v[8:9], s[0:1], 3, v[2:3]
	s_mov_b32 s1, -1
	v_add_nc_u32_e32 v66, s11, v64
	s_clause 0x9
	global_load_b64 v[94:95], v0, s[4:5] scale_offset
	global_load_b64 v[96:97], v[8:9], off
	global_load_b64 v[98:99], v4, s[4:5] scale_offset
	global_load_b64 v[100:101], v6, s[4:5] scale_offset
	global_load_b64 v[102:103], v10, s[4:5] scale_offset
	global_load_b64 v[104:105], v12, s[4:5] scale_offset
	global_load_b64 v[106:107], v14, s[4:5] scale_offset
	global_load_b64 v[108:109], v16, s[4:5] scale_offset
	global_load_b64 v[110:111], v18, s[4:5] scale_offset
	global_load_b64 v[112:113], v20, s[4:5] scale_offset
	v_add_nc_u32_e32 v68, s11, v66
	s_clause 0xf
	global_load_b64 v[114:115], v22, s[4:5] scale_offset
	global_load_b64 v[116:117], v24, s[4:5] scale_offset
	global_load_b64 v[118:119], v26, s[4:5] scale_offset
	global_load_b64 v[120:121], v28, s[4:5] scale_offset
	global_load_b64 v[122:123], v30, s[4:5] scale_offset
	global_load_b64 v[124:125], v32, s[4:5] scale_offset
	global_load_b64 v[126:127], v34, s[4:5] scale_offset
	global_load_b64 v[128:129], v36, s[4:5] scale_offset
	global_load_b64 v[130:131], v38, s[4:5] scale_offset
	global_load_b64 v[132:133], v40, s[4:5] scale_offset
	global_load_b64 v[134:135], v42, s[4:5] scale_offset
	global_load_b64 v[136:137], v44, s[4:5] scale_offset
	global_load_b64 v[138:139], v46, s[4:5] scale_offset
	global_load_b64 v[140:141], v48, s[4:5] scale_offset
	global_load_b64 v[142:143], v50, s[4:5] scale_offset
	global_load_b64 v[144:145], v52, s[4:5] scale_offset
	v_add_nc_u32_e32 v70, s11, v68
	s_clause 0x3
	global_load_b64 v[146:147], v54, s[4:5] scale_offset
	global_load_b64 v[148:149], v56, s[4:5] scale_offset
	;; [unrolled: 1-line block ×4, first 2 shown]
	v_add_nc_u32_e32 v72, s11, v70
	s_delay_alu instid0(VALU_DEP_1)
	v_add_nc_u32_e32 v74, s11, v72
	s_clause 0x3
	global_load_b64 v[154:155], v62, s[4:5] scale_offset
	global_load_b64 v[156:157], v64, s[4:5] scale_offset
	;; [unrolled: 1-line block ×4, first 2 shown]
	v_add_nc_u32_e32 v76, s11, v74
	s_delay_alu instid0(VALU_DEP_1) | instskip(NEXT) | instid1(VALU_DEP_1)
	v_add_nc_u32_e32 v78, s11, v76
	v_add_nc_u32_e32 v80, s11, v78
	s_delay_alu instid0(VALU_DEP_1)
	v_add_nc_u32_e32 v82, s11, v80
	s_clause 0x3
	global_load_b64 v[162:163], v70, s[4:5] scale_offset
	global_load_b64 v[164:165], v72, s[4:5] scale_offset
	;; [unrolled: 1-line block ×4, first 2 shown]
	v_add_nc_u32_e32 v84, s11, v82
	s_delay_alu instid0(VALU_DEP_1)
	v_add_nc_u32_e32 v86, s11, v84
	s_clause 0x3
	global_load_b64 v[170:171], v78, s[4:5] scale_offset
	global_load_b64 v[172:173], v80, s[4:5] scale_offset
	;; [unrolled: 1-line block ×4, first 2 shown]
	v_add_nc_u32_e32 v88, s11, v86
	s_delay_alu instid0(VALU_DEP_1)
	v_add_nc_u32_e32 v90, s11, v88
	s_clause 0x2
	global_load_b64 v[178:179], v86, s[4:5] scale_offset
	global_load_b64 v[180:181], v88, s[4:5] scale_offset
	;; [unrolled: 1-line block ×3, first 2 shown]
	s_wait_loadcnt 0x2b
	scratch_store_b128 off, v[94:97], off
	s_wait_loadcnt 0x29
	scratch_store_b128 off, v[98:101], off offset:16
	s_wait_loadcnt 0x27
	scratch_store_b128 off, v[102:105], off offset:32
	;; [unrolled: 2-line block ×21, first 2 shown]
	s_wait_loadcnt 0x0
	scratch_store_b64 off, v[182:183], off offset:352
	s_cbranch_scc1 .LBB44_192
; %bb.4:
	v_cmp_eq_u32_e64 s0, 0, v0
	s_wait_xcnt 0x0
	s_and_saveexec_b32 s1, s0
; %bb.5:
	v_mov_b32_e32 v1, 0
	ds_store_b32 v1, v1 offset:360
; %bb.6:
	s_or_b32 exec_lo, exec_lo, s1
	s_wait_storecnt_dscnt 0x0
	s_barrier_signal -1
	s_barrier_wait -1
	scratch_load_b64 v[94:95], v0, off scale_offset
	s_wait_loadcnt 0x0
	v_cmp_eq_f32_e32 vcc_lo, 0, v94
	v_cmp_eq_f32_e64 s1, 0, v95
	s_and_b32 s1, vcc_lo, s1
	s_delay_alu instid0(SALU_CYCLE_1)
	s_and_saveexec_b32 s8, s1
	s_cbranch_execz .LBB44_10
; %bb.7:
	v_mov_b32_e32 v1, 0
	s_mov_b32 s9, 0
	ds_load_b32 v5, v1 offset:360
	s_wait_dscnt 0x0
	v_readfirstlane_b32 s1, v5
	v_add_nc_u32_e32 v5, 1, v0
	s_cmp_eq_u32 s1, 0
	s_delay_alu instid0(VALU_DEP_1) | instskip(SKIP_1) | instid1(SALU_CYCLE_1)
	v_cmp_gt_i32_e32 vcc_lo, s1, v5
	s_cselect_b32 s10, -1, 0
	s_or_b32 s10, s10, vcc_lo
	s_delay_alu instid0(SALU_CYCLE_1)
	s_and_b32 exec_lo, exec_lo, s10
	s_cbranch_execz .LBB44_10
; %bb.8:
	v_mov_b32_e32 v7, s1
.LBB44_9:                               ; =>This Inner Loop Header: Depth=1
	ds_cmpstore_rtn_b32 v7, v1, v5, v7 offset:360
	s_wait_dscnt 0x0
	v_cmp_ne_u32_e32 vcc_lo, 0, v7
	v_cmp_le_i32_e64 s1, v7, v5
	s_and_b32 s1, vcc_lo, s1
	s_delay_alu instid0(SALU_CYCLE_1) | instskip(NEXT) | instid1(SALU_CYCLE_1)
	s_and_b32 s1, exec_lo, s1
	s_or_b32 s9, s1, s9
	s_delay_alu instid0(SALU_CYCLE_1)
	s_and_not1_b32 exec_lo, exec_lo, s9
	s_cbranch_execnz .LBB44_9
.LBB44_10:
	s_or_b32 exec_lo, exec_lo, s8
	v_mov_b32_e32 v1, 0
	s_barrier_signal -1
	s_barrier_wait -1
	ds_load_b32 v5, v1 offset:360
	s_and_saveexec_b32 s1, s0
	s_cbranch_execz .LBB44_12
; %bb.11:
	s_lshl_b64 s[8:9], s[16:17], 2
	s_delay_alu instid0(SALU_CYCLE_1)
	s_add_nc_u64 s[8:9], s[6:7], s[8:9]
	s_wait_dscnt 0x0
	global_store_b32 v1, v5, s[8:9]
.LBB44_12:
	s_wait_xcnt 0x0
	s_or_b32 exec_lo, exec_lo, s1
	s_wait_dscnt 0x0
	v_cmp_ne_u32_e32 vcc_lo, 0, v5
	s_mov_b32 s1, 0
	s_cbranch_vccnz .LBB44_192
; %bb.13:
	v_lshl_add_u32 v5, v0, 3, 0
                                        ; implicit-def: $vgpr97
                                        ; implicit-def: $vgpr98
	scratch_load_b64 v[94:95], v5, off
	s_wait_loadcnt 0x0
	v_cmp_ngt_f32_e64 s1, |v94|, |v95|
	s_wait_xcnt 0x0
	s_and_saveexec_b32 s8, s1
	s_delay_alu instid0(SALU_CYCLE_1)
	s_xor_b32 s1, exec_lo, s8
	s_cbranch_execz .LBB44_15
; %bb.14:
	v_div_scale_f32 v1, null, v95, v95, v94
	v_div_scale_f32 v13, vcc_lo, v94, v95, v94
	s_delay_alu instid0(VALU_DEP_2) | instskip(SKIP_1) | instid1(TRANS32_DEP_1)
	v_rcp_f32_e32 v7, v1
	v_nop
	v_fma_f32 v11, -v1, v7, 1.0
	s_delay_alu instid0(VALU_DEP_1) | instskip(NEXT) | instid1(VALU_DEP_1)
	v_fmac_f32_e32 v7, v11, v7
	v_mul_f32_e32 v11, v13, v7
	s_delay_alu instid0(VALU_DEP_1) | instskip(NEXT) | instid1(VALU_DEP_1)
	v_fma_f32 v15, -v1, v11, v13
	v_fmac_f32_e32 v11, v15, v7
	s_delay_alu instid0(VALU_DEP_1) | instskip(NEXT) | instid1(VALU_DEP_1)
	v_fma_f32 v1, -v1, v11, v13
	v_div_fmas_f32 v1, v1, v7, v11
	s_delay_alu instid0(VALU_DEP_1) | instskip(NEXT) | instid1(VALU_DEP_1)
	v_div_fixup_f32 v1, v1, v95, v94
	v_fmac_f32_e32 v95, v94, v1
	s_delay_alu instid0(VALU_DEP_1) | instskip(NEXT) | instid1(VALU_DEP_1)
	v_div_scale_f32 v7, null, v95, v95, -1.0
	v_rcp_f32_e32 v11, v7
	v_nop
	s_delay_alu instid0(TRANS32_DEP_1) | instskip(NEXT) | instid1(VALU_DEP_1)
	v_fma_f32 v13, -v7, v11, 1.0
	v_fmac_f32_e32 v11, v13, v11
	v_div_scale_f32 v13, vcc_lo, -1.0, v95, -1.0
	s_delay_alu instid0(VALU_DEP_1) | instskip(NEXT) | instid1(VALU_DEP_1)
	v_mul_f32_e32 v15, v13, v11
	v_fma_f32 v17, -v7, v15, v13
	s_delay_alu instid0(VALU_DEP_1) | instskip(NEXT) | instid1(VALU_DEP_1)
	v_fmac_f32_e32 v15, v17, v11
	v_fma_f32 v7, -v7, v15, v13
	s_delay_alu instid0(VALU_DEP_1) | instskip(NEXT) | instid1(VALU_DEP_1)
	v_div_fmas_f32 v7, v7, v11, v15
	v_div_fixup_f32 v97, v7, v95, -1.0
                                        ; implicit-def: $vgpr94_vgpr95
	s_delay_alu instid0(VALU_DEP_1) | instskip(NEXT) | instid1(VALU_DEP_1)
	v_mul_f32_e32 v98, v1, v97
	v_xor_b32_e32 v96, 0x80000000, v98
.LBB44_15:
	s_and_not1_saveexec_b32 s1, s1
	s_cbranch_execz .LBB44_17
; %bb.16:
	v_div_scale_f32 v1, null, v94, v94, v95
	v_div_scale_f32 v13, vcc_lo, v95, v94, v95
	s_delay_alu instid0(VALU_DEP_2) | instskip(SKIP_1) | instid1(TRANS32_DEP_1)
	v_rcp_f32_e32 v7, v1
	v_nop
	v_fma_f32 v11, -v1, v7, 1.0
	s_delay_alu instid0(VALU_DEP_1) | instskip(NEXT) | instid1(VALU_DEP_1)
	v_fmac_f32_e32 v7, v11, v7
	v_mul_f32_e32 v11, v13, v7
	s_delay_alu instid0(VALU_DEP_1) | instskip(NEXT) | instid1(VALU_DEP_1)
	v_fma_f32 v15, -v1, v11, v13
	v_fmac_f32_e32 v11, v15, v7
	s_delay_alu instid0(VALU_DEP_1) | instskip(NEXT) | instid1(VALU_DEP_1)
	v_fma_f32 v1, -v1, v11, v13
	v_div_fmas_f32 v1, v1, v7, v11
	s_delay_alu instid0(VALU_DEP_1) | instskip(NEXT) | instid1(VALU_DEP_1)
	v_div_fixup_f32 v1, v1, v94, v95
	v_fmac_f32_e32 v94, v95, v1
	s_delay_alu instid0(VALU_DEP_1) | instskip(SKIP_1) | instid1(VALU_DEP_2)
	v_div_scale_f32 v7, null, v94, v94, 1.0
	v_div_scale_f32 v15, vcc_lo, 1.0, v94, 1.0
	v_rcp_f32_e32 v11, v7
	v_nop
	s_delay_alu instid0(TRANS32_DEP_1) | instskip(NEXT) | instid1(VALU_DEP_1)
	v_fma_f32 v13, -v7, v11, 1.0
	v_fmac_f32_e32 v11, v13, v11
	s_delay_alu instid0(VALU_DEP_1) | instskip(NEXT) | instid1(VALU_DEP_1)
	v_mul_f32_e32 v13, v15, v11
	v_fma_f32 v17, -v7, v13, v15
	s_delay_alu instid0(VALU_DEP_1) | instskip(NEXT) | instid1(VALU_DEP_1)
	v_fmac_f32_e32 v13, v17, v11
	v_fma_f32 v7, -v7, v13, v15
	s_delay_alu instid0(VALU_DEP_1) | instskip(NEXT) | instid1(VALU_DEP_1)
	v_div_fmas_f32 v7, v7, v11, v13
	v_div_fixup_f32 v96, v7, v94, 1.0
	s_delay_alu instid0(VALU_DEP_1)
	v_xor_b32_e32 v98, 0x80000000, v96
	v_mul_f32_e64 v97, v1, -v96
.LBB44_17:
	s_or_b32 exec_lo, exec_lo, s1
	scratch_store_b64 v5, v[96:97], off
	scratch_load_b64 v[94:95], off, off offset:8
	v_xor_b32_e32 v99, 0x80000000, v97
	v_add_nc_u32_e32 v1, 0x170, v92
	s_wait_loadcnt 0x0
	ds_store_2addr_b64 v92, v[98:99], v[94:95] offset1:46
	s_wait_storecnt_dscnt 0x0
	s_barrier_signal -1
	s_barrier_wait -1
	s_wait_xcnt 0x0
	s_and_saveexec_b32 s1, s0
	s_cbranch_execz .LBB44_19
; %bb.18:
	scratch_load_b64 v[94:95], v5, off
	ds_load_b64 v[96:97], v1
	s_wait_loadcnt_dscnt 0x0
	v_pk_mul_f32 v[100:101], v[96:97], v[94:95] op_sel:[1,1] op_sel_hi:[0,1]
	s_delay_alu instid0(VALU_DEP_1) | instskip(SKIP_2) | instid1(VALU_DEP_3)
	v_pk_fma_f32 v[102:103], v[96:97], v[94:95], v[100:101] op_sel_hi:[1,0,1]
	v_mov_b32_e32 v7, 0
	v_pk_fma_f32 v[94:95], v[96:97], v[94:95], v[100:101] neg_lo:[0,0,1] neg_hi:[0,0,1]
	v_mov_b32_e32 v95, v103
	ds_load_b64 v[98:99], v7 offset:8
	v_pk_add_f32 v[94:95], v[94:95], 0 op_sel_hi:[1,0]
	s_wait_dscnt 0x0
	s_delay_alu instid0(VALU_DEP_1) | instskip(NEXT) | instid1(VALU_DEP_1)
	v_pk_mul_f32 v[96:97], v[94:95], v[98:99] op_sel:[1,1] op_sel_hi:[0,1]
	v_pk_fma_f32 v[100:101], v[94:95], v[98:99], v[96:97] op_sel_hi:[1,0,1]
	v_pk_fma_f32 v[94:95], v[94:95], v[98:99], v[96:97] neg_lo:[0,0,1] neg_hi:[0,0,1]
	s_delay_alu instid0(VALU_DEP_2)
	v_mov_b32_e32 v95, v101
	scratch_store_b64 off, v[94:95], off offset:8
.LBB44_19:
	s_wait_xcnt 0x0
	s_or_b32 exec_lo, exec_lo, s1
	s_wait_storecnt 0x0
	s_barrier_signal -1
	s_barrier_wait -1
	scratch_load_b64 v[94:95], off, off offset:16
	s_mov_b32 s1, exec_lo
	s_wait_loadcnt 0x0
	ds_store_b64 v1, v[94:95]
	s_wait_dscnt 0x0
	s_barrier_signal -1
	s_barrier_wait -1
	v_cmpx_gt_u32_e32 2, v0
	s_cbranch_execz .LBB44_23
; %bb.20:
	scratch_load_b64 v[94:95], v5, off
	ds_load_b64 v[96:97], v1
	s_wait_loadcnt_dscnt 0x0
	v_pk_mul_f32 v[98:99], v[96:97], v[94:95] op_sel:[1,1] op_sel_hi:[0,1]
	s_delay_alu instid0(VALU_DEP_1) | instskip(SKIP_1) | instid1(VALU_DEP_2)
	v_pk_fma_f32 v[100:101], v[96:97], v[94:95], v[98:99] op_sel_hi:[1,0,1]
	v_pk_fma_f32 v[94:95], v[96:97], v[94:95], v[98:99] neg_lo:[0,0,1] neg_hi:[0,0,1]
	v_mov_b32_e32 v95, v101
	s_delay_alu instid0(VALU_DEP_1)
	v_pk_add_f32 v[94:95], v[94:95], 0 op_sel_hi:[1,0]
	s_and_saveexec_b32 s8, s0
	s_cbranch_execz .LBB44_22
; %bb.21:
	scratch_load_b64 v[96:97], off, off offset:8
	v_mov_b32_e32 v5, 0
	ds_load_b64 v[98:99], v5 offset:376
	s_wait_loadcnt_dscnt 0x0
	v_pk_mul_f32 v[100:101], v[98:99], v[96:97] op_sel:[1,1] op_sel_hi:[0,1]
	s_delay_alu instid0(VALU_DEP_1) | instskip(SKIP_1) | instid1(VALU_DEP_2)
	v_pk_fma_f32 v[102:103], v[98:99], v[96:97], v[100:101] op_sel_hi:[1,0,1]
	v_pk_fma_f32 v[96:97], v[98:99], v[96:97], v[100:101] neg_lo:[0,0,1] neg_hi:[0,0,1]
	v_mov_b32_e32 v97, v103
	s_delay_alu instid0(VALU_DEP_1)
	v_pk_add_f32 v[94:95], v[94:95], v[96:97]
.LBB44_22:
	s_or_b32 exec_lo, exec_lo, s8
	v_mov_b32_e32 v5, 0
	ds_load_b64 v[96:97], v5 offset:16
	s_wait_dscnt 0x0
	v_pk_mul_f32 v[98:99], v[94:95], v[96:97] op_sel:[1,1] op_sel_hi:[0,1]
	s_delay_alu instid0(VALU_DEP_1) | instskip(SKIP_1) | instid1(VALU_DEP_2)
	v_pk_fma_f32 v[100:101], v[94:95], v[96:97], v[98:99] op_sel_hi:[1,0,1]
	v_pk_fma_f32 v[94:95], v[94:95], v[96:97], v[98:99] neg_lo:[0,0,1] neg_hi:[0,0,1]
	v_mov_b32_e32 v95, v101
	scratch_store_b64 off, v[94:95], off offset:16
.LBB44_23:
	s_wait_xcnt 0x0
	s_or_b32 exec_lo, exec_lo, s1
	s_wait_storecnt 0x0
	s_barrier_signal -1
	s_barrier_wait -1
	scratch_load_b64 v[94:95], off, off offset:24
	v_add_nc_u32_e32 v5, -1, v0
	s_mov_b32 s0, exec_lo
	s_wait_loadcnt 0x0
	ds_store_b64 v1, v[94:95]
	s_wait_dscnt 0x0
	s_barrier_signal -1
	s_barrier_wait -1
	v_cmpx_gt_u32_e32 3, v0
	s_cbranch_execz .LBB44_27
; %bb.24:
	v_dual_mov_b32 v94, 0 :: v_dual_add_nc_u32 v7, -1, v0
	v_add_nc_u32_e32 v11, 0x170, v92
	v_mov_b32_e32 v13, v92
	s_mov_b32 s1, 0
	s_delay_alu instid0(VALU_DEP_3)
	v_mov_b32_e32 v95, v94
.LBB44_25:                              ; =>This Inner Loop Header: Depth=1
	scratch_load_b64 v[96:97], v13, off
	ds_load_b64 v[98:99], v11
	s_wait_xcnt 0x0
	v_dual_add_nc_u32 v11, 8, v11 :: v_dual_add_nc_u32 v13, 8, v13
	s_wait_loadcnt_dscnt 0x0
	v_pk_mul_f32 v[100:101], v[98:99], v[96:97] op_sel:[1,1] op_sel_hi:[0,1]
	s_delay_alu instid0(VALU_DEP_1) | instskip(SKIP_2) | instid1(VALU_DEP_3)
	v_pk_fma_f32 v[102:103], v[98:99], v[96:97], v[100:101] op_sel_hi:[1,0,1]
	v_add_nc_u32_e32 v7, 1, v7
	v_pk_fma_f32 v[96:97], v[98:99], v[96:97], v[100:101] neg_lo:[0,0,1] neg_hi:[0,0,1]
	v_mov_b32_e32 v97, v103
	s_delay_alu instid0(VALU_DEP_3) | instskip(NEXT) | instid1(VALU_DEP_2)
	v_cmp_lt_u32_e32 vcc_lo, 1, v7
	v_pk_add_f32 v[94:95], v[94:95], v[96:97]
	s_or_b32 s1, vcc_lo, s1
	s_delay_alu instid0(SALU_CYCLE_1)
	s_and_not1_b32 exec_lo, exec_lo, s1
	s_cbranch_execnz .LBB44_25
; %bb.26:
	s_or_b32 exec_lo, exec_lo, s1
	v_mov_b32_e32 v7, 0
	ds_load_b64 v[96:97], v7 offset:24
	s_wait_dscnt 0x0
	v_pk_mul_f32 v[98:99], v[94:95], v[96:97] op_sel:[1,1] op_sel_hi:[0,1]
	s_delay_alu instid0(VALU_DEP_1) | instskip(SKIP_1) | instid1(VALU_DEP_2)
	v_pk_fma_f32 v[100:101], v[94:95], v[96:97], v[98:99] op_sel_hi:[1,0,1]
	v_pk_fma_f32 v[94:95], v[94:95], v[96:97], v[98:99] neg_lo:[0,0,1] neg_hi:[0,0,1]
	v_mov_b32_e32 v95, v101
	scratch_store_b64 off, v[94:95], off offset:24
.LBB44_27:
	s_wait_xcnt 0x0
	s_or_b32 exec_lo, exec_lo, s0
	s_wait_storecnt 0x0
	s_barrier_signal -1
	s_barrier_wait -1
	scratch_load_b64 v[94:95], off, off offset:32
	s_mov_b32 s0, exec_lo
	s_wait_loadcnt 0x0
	ds_store_b64 v1, v[94:95]
	s_wait_dscnt 0x0
	s_barrier_signal -1
	s_barrier_wait -1
	v_cmpx_gt_u32_e32 4, v0
	s_cbranch_execz .LBB44_31
; %bb.28:
	v_dual_mov_b32 v94, 0 :: v_dual_add_nc_u32 v7, -1, v0
	v_add_nc_u32_e32 v11, 0x170, v92
	v_mov_b32_e32 v13, v92
	s_mov_b32 s1, 0
	s_delay_alu instid0(VALU_DEP_3)
	v_mov_b32_e32 v95, v94
.LBB44_29:                              ; =>This Inner Loop Header: Depth=1
	scratch_load_b64 v[96:97], v13, off
	ds_load_b64 v[98:99], v11
	s_wait_xcnt 0x0
	v_dual_add_nc_u32 v11, 8, v11 :: v_dual_add_nc_u32 v13, 8, v13
	s_wait_loadcnt_dscnt 0x0
	v_pk_mul_f32 v[100:101], v[98:99], v[96:97] op_sel:[1,1] op_sel_hi:[0,1]
	s_delay_alu instid0(VALU_DEP_1) | instskip(SKIP_2) | instid1(VALU_DEP_3)
	v_pk_fma_f32 v[102:103], v[98:99], v[96:97], v[100:101] op_sel_hi:[1,0,1]
	v_add_nc_u32_e32 v7, 1, v7
	v_pk_fma_f32 v[96:97], v[98:99], v[96:97], v[100:101] neg_lo:[0,0,1] neg_hi:[0,0,1]
	v_mov_b32_e32 v97, v103
	s_delay_alu instid0(VALU_DEP_3) | instskip(NEXT) | instid1(VALU_DEP_2)
	v_cmp_lt_u32_e32 vcc_lo, 2, v7
	v_pk_add_f32 v[94:95], v[94:95], v[96:97]
	s_or_b32 s1, vcc_lo, s1
	s_delay_alu instid0(SALU_CYCLE_1)
	s_and_not1_b32 exec_lo, exec_lo, s1
	s_cbranch_execnz .LBB44_29
; %bb.30:
	s_or_b32 exec_lo, exec_lo, s1
	v_mov_b32_e32 v7, 0
	ds_load_b64 v[96:97], v7 offset:32
	s_wait_dscnt 0x0
	v_pk_mul_f32 v[98:99], v[94:95], v[96:97] op_sel:[1,1] op_sel_hi:[0,1]
	s_delay_alu instid0(VALU_DEP_1) | instskip(SKIP_1) | instid1(VALU_DEP_2)
	v_pk_fma_f32 v[100:101], v[94:95], v[96:97], v[98:99] op_sel_hi:[1,0,1]
	v_pk_fma_f32 v[94:95], v[94:95], v[96:97], v[98:99] neg_lo:[0,0,1] neg_hi:[0,0,1]
	v_mov_b32_e32 v95, v101
	scratch_store_b64 off, v[94:95], off offset:32
.LBB44_31:
	s_wait_xcnt 0x0
	s_or_b32 exec_lo, exec_lo, s0
	s_wait_storecnt 0x0
	s_barrier_signal -1
	s_barrier_wait -1
	scratch_load_b64 v[94:95], off, off offset:40
	;; [unrolled: 52-line block ×19, first 2 shown]
	s_mov_b32 s0, exec_lo
	s_wait_loadcnt 0x0
	ds_store_b64 v1, v[94:95]
	s_wait_dscnt 0x0
	s_barrier_signal -1
	s_barrier_wait -1
	v_cmpx_gt_u32_e32 22, v0
	s_cbranch_execz .LBB44_103
; %bb.100:
	v_dual_mov_b32 v94, 0 :: v_dual_add_nc_u32 v7, -1, v0
	v_add_nc_u32_e32 v11, 0x170, v92
	v_mov_b32_e32 v13, v92
	s_mov_b32 s1, 0
	s_delay_alu instid0(VALU_DEP_3)
	v_mov_b32_e32 v95, v94
.LBB44_101:                             ; =>This Inner Loop Header: Depth=1
	scratch_load_b64 v[96:97], v13, off
	ds_load_b64 v[98:99], v11
	s_wait_xcnt 0x0
	v_dual_add_nc_u32 v11, 8, v11 :: v_dual_add_nc_u32 v13, 8, v13
	s_wait_loadcnt_dscnt 0x0
	v_pk_mul_f32 v[100:101], v[98:99], v[96:97] op_sel:[1,1] op_sel_hi:[0,1]
	s_delay_alu instid0(VALU_DEP_1) | instskip(SKIP_2) | instid1(VALU_DEP_3)
	v_pk_fma_f32 v[102:103], v[98:99], v[96:97], v[100:101] op_sel_hi:[1,0,1]
	v_add_nc_u32_e32 v7, 1, v7
	v_pk_fma_f32 v[96:97], v[98:99], v[96:97], v[100:101] neg_lo:[0,0,1] neg_hi:[0,0,1]
	v_mov_b32_e32 v97, v103
	s_delay_alu instid0(VALU_DEP_3) | instskip(NEXT) | instid1(VALU_DEP_2)
	v_cmp_lt_u32_e32 vcc_lo, 20, v7
	v_pk_add_f32 v[94:95], v[94:95], v[96:97]
	s_or_b32 s1, vcc_lo, s1
	s_delay_alu instid0(SALU_CYCLE_1)
	s_and_not1_b32 exec_lo, exec_lo, s1
	s_cbranch_execnz .LBB44_101
; %bb.102:
	s_or_b32 exec_lo, exec_lo, s1
	v_mov_b32_e32 v7, 0
	ds_load_b64 v[96:97], v7 offset:176
	s_wait_dscnt 0x0
	v_pk_mul_f32 v[98:99], v[94:95], v[96:97] op_sel:[1,1] op_sel_hi:[0,1]
	s_delay_alu instid0(VALU_DEP_1) | instskip(SKIP_1) | instid1(VALU_DEP_2)
	v_pk_fma_f32 v[100:101], v[94:95], v[96:97], v[98:99] op_sel_hi:[1,0,1]
	v_pk_fma_f32 v[94:95], v[94:95], v[96:97], v[98:99] neg_lo:[0,0,1] neg_hi:[0,0,1]
	v_mov_b32_e32 v95, v101
	scratch_store_b64 off, v[94:95], off offset:176
.LBB44_103:
	s_wait_xcnt 0x0
	s_or_b32 exec_lo, exec_lo, s0
	s_wait_storecnt 0x0
	s_barrier_signal -1
	s_barrier_wait -1
	scratch_load_b64 v[94:95], off, off offset:184
	s_mov_b32 s0, exec_lo
	s_wait_loadcnt 0x0
	ds_store_b64 v1, v[94:95]
	s_wait_dscnt 0x0
	s_barrier_signal -1
	s_barrier_wait -1
	v_cmpx_gt_u32_e32 23, v0
	s_cbranch_execz .LBB44_107
; %bb.104:
	v_dual_mov_b32 v94, 0 :: v_dual_add_nc_u32 v7, -1, v0
	v_add_nc_u32_e32 v11, 0x170, v92
	v_mov_b32_e32 v13, v92
	s_mov_b32 s1, 0
	s_delay_alu instid0(VALU_DEP_3)
	v_mov_b32_e32 v95, v94
.LBB44_105:                             ; =>This Inner Loop Header: Depth=1
	scratch_load_b64 v[96:97], v13, off
	ds_load_b64 v[98:99], v11
	s_wait_xcnt 0x0
	v_dual_add_nc_u32 v11, 8, v11 :: v_dual_add_nc_u32 v13, 8, v13
	s_wait_loadcnt_dscnt 0x0
	v_pk_mul_f32 v[100:101], v[98:99], v[96:97] op_sel:[1,1] op_sel_hi:[0,1]
	s_delay_alu instid0(VALU_DEP_1) | instskip(SKIP_2) | instid1(VALU_DEP_3)
	v_pk_fma_f32 v[102:103], v[98:99], v[96:97], v[100:101] op_sel_hi:[1,0,1]
	v_add_nc_u32_e32 v7, 1, v7
	v_pk_fma_f32 v[96:97], v[98:99], v[96:97], v[100:101] neg_lo:[0,0,1] neg_hi:[0,0,1]
	v_mov_b32_e32 v97, v103
	s_delay_alu instid0(VALU_DEP_3) | instskip(NEXT) | instid1(VALU_DEP_2)
	v_cmp_lt_u32_e32 vcc_lo, 21, v7
	v_pk_add_f32 v[94:95], v[94:95], v[96:97]
	s_or_b32 s1, vcc_lo, s1
	s_delay_alu instid0(SALU_CYCLE_1)
	s_and_not1_b32 exec_lo, exec_lo, s1
	s_cbranch_execnz .LBB44_105
; %bb.106:
	s_or_b32 exec_lo, exec_lo, s1
	v_mov_b32_e32 v7, 0
	ds_load_b64 v[96:97], v7 offset:184
	s_wait_dscnt 0x0
	v_pk_mul_f32 v[98:99], v[94:95], v[96:97] op_sel:[1,1] op_sel_hi:[0,1]
	s_delay_alu instid0(VALU_DEP_1) | instskip(SKIP_1) | instid1(VALU_DEP_2)
	v_pk_fma_f32 v[100:101], v[94:95], v[96:97], v[98:99] op_sel_hi:[1,0,1]
	v_pk_fma_f32 v[94:95], v[94:95], v[96:97], v[98:99] neg_lo:[0,0,1] neg_hi:[0,0,1]
	v_mov_b32_e32 v95, v101
	scratch_store_b64 off, v[94:95], off offset:184
.LBB44_107:
	s_wait_xcnt 0x0
	s_or_b32 exec_lo, exec_lo, s0
	s_wait_storecnt 0x0
	s_barrier_signal -1
	s_barrier_wait -1
	scratch_load_b64 v[94:95], off, off offset:192
	s_mov_b32 s0, exec_lo
	s_wait_loadcnt 0x0
	ds_store_b64 v1, v[94:95]
	s_wait_dscnt 0x0
	s_barrier_signal -1
	s_barrier_wait -1
	v_cmpx_gt_u32_e32 24, v0
	s_cbranch_execz .LBB44_111
; %bb.108:
	v_dual_mov_b32 v94, 0 :: v_dual_add_nc_u32 v7, -1, v0
	v_add_nc_u32_e32 v11, 0x170, v92
	v_mov_b32_e32 v13, v92
	s_mov_b32 s1, 0
	s_delay_alu instid0(VALU_DEP_3)
	v_mov_b32_e32 v95, v94
.LBB44_109:                             ; =>This Inner Loop Header: Depth=1
	scratch_load_b64 v[96:97], v13, off
	ds_load_b64 v[98:99], v11
	s_wait_xcnt 0x0
	v_dual_add_nc_u32 v11, 8, v11 :: v_dual_add_nc_u32 v13, 8, v13
	s_wait_loadcnt_dscnt 0x0
	v_pk_mul_f32 v[100:101], v[98:99], v[96:97] op_sel:[1,1] op_sel_hi:[0,1]
	s_delay_alu instid0(VALU_DEP_1) | instskip(SKIP_2) | instid1(VALU_DEP_3)
	v_pk_fma_f32 v[102:103], v[98:99], v[96:97], v[100:101] op_sel_hi:[1,0,1]
	v_add_nc_u32_e32 v7, 1, v7
	v_pk_fma_f32 v[96:97], v[98:99], v[96:97], v[100:101] neg_lo:[0,0,1] neg_hi:[0,0,1]
	v_mov_b32_e32 v97, v103
	s_delay_alu instid0(VALU_DEP_3) | instskip(NEXT) | instid1(VALU_DEP_2)
	v_cmp_lt_u32_e32 vcc_lo, 22, v7
	v_pk_add_f32 v[94:95], v[94:95], v[96:97]
	s_or_b32 s1, vcc_lo, s1
	s_delay_alu instid0(SALU_CYCLE_1)
	s_and_not1_b32 exec_lo, exec_lo, s1
	s_cbranch_execnz .LBB44_109
; %bb.110:
	s_or_b32 exec_lo, exec_lo, s1
	v_mov_b32_e32 v7, 0
	ds_load_b64 v[96:97], v7 offset:192
	s_wait_dscnt 0x0
	v_pk_mul_f32 v[98:99], v[94:95], v[96:97] op_sel:[1,1] op_sel_hi:[0,1]
	s_delay_alu instid0(VALU_DEP_1) | instskip(SKIP_1) | instid1(VALU_DEP_2)
	v_pk_fma_f32 v[100:101], v[94:95], v[96:97], v[98:99] op_sel_hi:[1,0,1]
	v_pk_fma_f32 v[94:95], v[94:95], v[96:97], v[98:99] neg_lo:[0,0,1] neg_hi:[0,0,1]
	v_mov_b32_e32 v95, v101
	scratch_store_b64 off, v[94:95], off offset:192
.LBB44_111:
	s_wait_xcnt 0x0
	s_or_b32 exec_lo, exec_lo, s0
	s_wait_storecnt 0x0
	s_barrier_signal -1
	s_barrier_wait -1
	scratch_load_b64 v[94:95], off, off offset:200
	s_mov_b32 s0, exec_lo
	s_wait_loadcnt 0x0
	ds_store_b64 v1, v[94:95]
	s_wait_dscnt 0x0
	s_barrier_signal -1
	s_barrier_wait -1
	v_cmpx_gt_u32_e32 25, v0
	s_cbranch_execz .LBB44_115
; %bb.112:
	v_dual_mov_b32 v94, 0 :: v_dual_add_nc_u32 v7, -1, v0
	v_add_nc_u32_e32 v11, 0x170, v92
	v_mov_b32_e32 v13, v92
	s_mov_b32 s1, 0
	s_delay_alu instid0(VALU_DEP_3)
	v_mov_b32_e32 v95, v94
.LBB44_113:                             ; =>This Inner Loop Header: Depth=1
	scratch_load_b64 v[96:97], v13, off
	ds_load_b64 v[98:99], v11
	s_wait_xcnt 0x0
	v_dual_add_nc_u32 v11, 8, v11 :: v_dual_add_nc_u32 v13, 8, v13
	s_wait_loadcnt_dscnt 0x0
	v_pk_mul_f32 v[100:101], v[98:99], v[96:97] op_sel:[1,1] op_sel_hi:[0,1]
	s_delay_alu instid0(VALU_DEP_1) | instskip(SKIP_2) | instid1(VALU_DEP_3)
	v_pk_fma_f32 v[102:103], v[98:99], v[96:97], v[100:101] op_sel_hi:[1,0,1]
	v_add_nc_u32_e32 v7, 1, v7
	v_pk_fma_f32 v[96:97], v[98:99], v[96:97], v[100:101] neg_lo:[0,0,1] neg_hi:[0,0,1]
	v_mov_b32_e32 v97, v103
	s_delay_alu instid0(VALU_DEP_3) | instskip(NEXT) | instid1(VALU_DEP_2)
	v_cmp_lt_u32_e32 vcc_lo, 23, v7
	v_pk_add_f32 v[94:95], v[94:95], v[96:97]
	s_or_b32 s1, vcc_lo, s1
	s_delay_alu instid0(SALU_CYCLE_1)
	s_and_not1_b32 exec_lo, exec_lo, s1
	s_cbranch_execnz .LBB44_113
; %bb.114:
	s_or_b32 exec_lo, exec_lo, s1
	v_mov_b32_e32 v7, 0
	ds_load_b64 v[96:97], v7 offset:200
	s_wait_dscnt 0x0
	v_pk_mul_f32 v[98:99], v[94:95], v[96:97] op_sel:[1,1] op_sel_hi:[0,1]
	s_delay_alu instid0(VALU_DEP_1) | instskip(SKIP_1) | instid1(VALU_DEP_2)
	v_pk_fma_f32 v[100:101], v[94:95], v[96:97], v[98:99] op_sel_hi:[1,0,1]
	v_pk_fma_f32 v[94:95], v[94:95], v[96:97], v[98:99] neg_lo:[0,0,1] neg_hi:[0,0,1]
	v_mov_b32_e32 v95, v101
	scratch_store_b64 off, v[94:95], off offset:200
.LBB44_115:
	s_wait_xcnt 0x0
	s_or_b32 exec_lo, exec_lo, s0
	s_wait_storecnt 0x0
	s_barrier_signal -1
	s_barrier_wait -1
	scratch_load_b64 v[94:95], off, off offset:208
	s_mov_b32 s0, exec_lo
	s_wait_loadcnt 0x0
	ds_store_b64 v1, v[94:95]
	s_wait_dscnt 0x0
	s_barrier_signal -1
	s_barrier_wait -1
	v_cmpx_gt_u32_e32 26, v0
	s_cbranch_execz .LBB44_119
; %bb.116:
	v_dual_mov_b32 v94, 0 :: v_dual_add_nc_u32 v7, -1, v0
	v_add_nc_u32_e32 v11, 0x170, v92
	v_mov_b32_e32 v13, v92
	s_mov_b32 s1, 0
	s_delay_alu instid0(VALU_DEP_3)
	v_mov_b32_e32 v95, v94
.LBB44_117:                             ; =>This Inner Loop Header: Depth=1
	scratch_load_b64 v[96:97], v13, off
	ds_load_b64 v[98:99], v11
	s_wait_xcnt 0x0
	v_dual_add_nc_u32 v11, 8, v11 :: v_dual_add_nc_u32 v13, 8, v13
	s_wait_loadcnt_dscnt 0x0
	v_pk_mul_f32 v[100:101], v[98:99], v[96:97] op_sel:[1,1] op_sel_hi:[0,1]
	s_delay_alu instid0(VALU_DEP_1) | instskip(SKIP_2) | instid1(VALU_DEP_3)
	v_pk_fma_f32 v[102:103], v[98:99], v[96:97], v[100:101] op_sel_hi:[1,0,1]
	v_add_nc_u32_e32 v7, 1, v7
	v_pk_fma_f32 v[96:97], v[98:99], v[96:97], v[100:101] neg_lo:[0,0,1] neg_hi:[0,0,1]
	v_mov_b32_e32 v97, v103
	s_delay_alu instid0(VALU_DEP_3) | instskip(NEXT) | instid1(VALU_DEP_2)
	v_cmp_lt_u32_e32 vcc_lo, 24, v7
	v_pk_add_f32 v[94:95], v[94:95], v[96:97]
	s_or_b32 s1, vcc_lo, s1
	s_delay_alu instid0(SALU_CYCLE_1)
	s_and_not1_b32 exec_lo, exec_lo, s1
	s_cbranch_execnz .LBB44_117
; %bb.118:
	s_or_b32 exec_lo, exec_lo, s1
	v_mov_b32_e32 v7, 0
	ds_load_b64 v[96:97], v7 offset:208
	s_wait_dscnt 0x0
	v_pk_mul_f32 v[98:99], v[94:95], v[96:97] op_sel:[1,1] op_sel_hi:[0,1]
	s_delay_alu instid0(VALU_DEP_1) | instskip(SKIP_1) | instid1(VALU_DEP_2)
	v_pk_fma_f32 v[100:101], v[94:95], v[96:97], v[98:99] op_sel_hi:[1,0,1]
	v_pk_fma_f32 v[94:95], v[94:95], v[96:97], v[98:99] neg_lo:[0,0,1] neg_hi:[0,0,1]
	v_mov_b32_e32 v95, v101
	scratch_store_b64 off, v[94:95], off offset:208
.LBB44_119:
	s_wait_xcnt 0x0
	s_or_b32 exec_lo, exec_lo, s0
	s_wait_storecnt 0x0
	s_barrier_signal -1
	s_barrier_wait -1
	scratch_load_b64 v[94:95], off, off offset:216
	s_mov_b32 s0, exec_lo
	s_wait_loadcnt 0x0
	ds_store_b64 v1, v[94:95]
	s_wait_dscnt 0x0
	s_barrier_signal -1
	s_barrier_wait -1
	v_cmpx_gt_u32_e32 27, v0
	s_cbranch_execz .LBB44_123
; %bb.120:
	v_dual_mov_b32 v94, 0 :: v_dual_add_nc_u32 v7, -1, v0
	v_add_nc_u32_e32 v11, 0x170, v92
	v_mov_b32_e32 v13, v92
	s_mov_b32 s1, 0
	s_delay_alu instid0(VALU_DEP_3)
	v_mov_b32_e32 v95, v94
.LBB44_121:                             ; =>This Inner Loop Header: Depth=1
	scratch_load_b64 v[96:97], v13, off
	ds_load_b64 v[98:99], v11
	s_wait_xcnt 0x0
	v_dual_add_nc_u32 v11, 8, v11 :: v_dual_add_nc_u32 v13, 8, v13
	s_wait_loadcnt_dscnt 0x0
	v_pk_mul_f32 v[100:101], v[98:99], v[96:97] op_sel:[1,1] op_sel_hi:[0,1]
	s_delay_alu instid0(VALU_DEP_1) | instskip(SKIP_2) | instid1(VALU_DEP_3)
	v_pk_fma_f32 v[102:103], v[98:99], v[96:97], v[100:101] op_sel_hi:[1,0,1]
	v_add_nc_u32_e32 v7, 1, v7
	v_pk_fma_f32 v[96:97], v[98:99], v[96:97], v[100:101] neg_lo:[0,0,1] neg_hi:[0,0,1]
	v_mov_b32_e32 v97, v103
	s_delay_alu instid0(VALU_DEP_3) | instskip(NEXT) | instid1(VALU_DEP_2)
	v_cmp_lt_u32_e32 vcc_lo, 25, v7
	v_pk_add_f32 v[94:95], v[94:95], v[96:97]
	s_or_b32 s1, vcc_lo, s1
	s_delay_alu instid0(SALU_CYCLE_1)
	s_and_not1_b32 exec_lo, exec_lo, s1
	s_cbranch_execnz .LBB44_121
; %bb.122:
	s_or_b32 exec_lo, exec_lo, s1
	v_mov_b32_e32 v7, 0
	ds_load_b64 v[96:97], v7 offset:216
	s_wait_dscnt 0x0
	v_pk_mul_f32 v[98:99], v[94:95], v[96:97] op_sel:[1,1] op_sel_hi:[0,1]
	s_delay_alu instid0(VALU_DEP_1) | instskip(SKIP_1) | instid1(VALU_DEP_2)
	v_pk_fma_f32 v[100:101], v[94:95], v[96:97], v[98:99] op_sel_hi:[1,0,1]
	v_pk_fma_f32 v[94:95], v[94:95], v[96:97], v[98:99] neg_lo:[0,0,1] neg_hi:[0,0,1]
	v_mov_b32_e32 v95, v101
	scratch_store_b64 off, v[94:95], off offset:216
.LBB44_123:
	s_wait_xcnt 0x0
	s_or_b32 exec_lo, exec_lo, s0
	s_wait_storecnt 0x0
	s_barrier_signal -1
	s_barrier_wait -1
	scratch_load_b64 v[94:95], off, off offset:224
	s_mov_b32 s0, exec_lo
	s_wait_loadcnt 0x0
	ds_store_b64 v1, v[94:95]
	s_wait_dscnt 0x0
	s_barrier_signal -1
	s_barrier_wait -1
	v_cmpx_gt_u32_e32 28, v0
	s_cbranch_execz .LBB44_127
; %bb.124:
	v_dual_mov_b32 v94, 0 :: v_dual_add_nc_u32 v7, -1, v0
	v_add_nc_u32_e32 v11, 0x170, v92
	v_mov_b32_e32 v13, v92
	s_mov_b32 s1, 0
	s_delay_alu instid0(VALU_DEP_3)
	v_mov_b32_e32 v95, v94
.LBB44_125:                             ; =>This Inner Loop Header: Depth=1
	scratch_load_b64 v[96:97], v13, off
	ds_load_b64 v[98:99], v11
	s_wait_xcnt 0x0
	v_dual_add_nc_u32 v11, 8, v11 :: v_dual_add_nc_u32 v13, 8, v13
	s_wait_loadcnt_dscnt 0x0
	v_pk_mul_f32 v[100:101], v[98:99], v[96:97] op_sel:[1,1] op_sel_hi:[0,1]
	s_delay_alu instid0(VALU_DEP_1) | instskip(SKIP_2) | instid1(VALU_DEP_3)
	v_pk_fma_f32 v[102:103], v[98:99], v[96:97], v[100:101] op_sel_hi:[1,0,1]
	v_add_nc_u32_e32 v7, 1, v7
	v_pk_fma_f32 v[96:97], v[98:99], v[96:97], v[100:101] neg_lo:[0,0,1] neg_hi:[0,0,1]
	v_mov_b32_e32 v97, v103
	s_delay_alu instid0(VALU_DEP_3) | instskip(NEXT) | instid1(VALU_DEP_2)
	v_cmp_lt_u32_e32 vcc_lo, 26, v7
	v_pk_add_f32 v[94:95], v[94:95], v[96:97]
	s_or_b32 s1, vcc_lo, s1
	s_delay_alu instid0(SALU_CYCLE_1)
	s_and_not1_b32 exec_lo, exec_lo, s1
	s_cbranch_execnz .LBB44_125
; %bb.126:
	s_or_b32 exec_lo, exec_lo, s1
	v_mov_b32_e32 v7, 0
	ds_load_b64 v[96:97], v7 offset:224
	s_wait_dscnt 0x0
	v_pk_mul_f32 v[98:99], v[94:95], v[96:97] op_sel:[1,1] op_sel_hi:[0,1]
	s_delay_alu instid0(VALU_DEP_1) | instskip(SKIP_1) | instid1(VALU_DEP_2)
	v_pk_fma_f32 v[100:101], v[94:95], v[96:97], v[98:99] op_sel_hi:[1,0,1]
	v_pk_fma_f32 v[94:95], v[94:95], v[96:97], v[98:99] neg_lo:[0,0,1] neg_hi:[0,0,1]
	v_mov_b32_e32 v95, v101
	scratch_store_b64 off, v[94:95], off offset:224
.LBB44_127:
	s_wait_xcnt 0x0
	s_or_b32 exec_lo, exec_lo, s0
	s_wait_storecnt 0x0
	s_barrier_signal -1
	s_barrier_wait -1
	scratch_load_b64 v[94:95], off, off offset:232
	s_mov_b32 s0, exec_lo
	s_wait_loadcnt 0x0
	ds_store_b64 v1, v[94:95]
	s_wait_dscnt 0x0
	s_barrier_signal -1
	s_barrier_wait -1
	v_cmpx_gt_u32_e32 29, v0
	s_cbranch_execz .LBB44_131
; %bb.128:
	v_dual_mov_b32 v94, 0 :: v_dual_add_nc_u32 v7, -1, v0
	v_add_nc_u32_e32 v11, 0x170, v92
	v_mov_b32_e32 v13, v92
	s_mov_b32 s1, 0
	s_delay_alu instid0(VALU_DEP_3)
	v_mov_b32_e32 v95, v94
.LBB44_129:                             ; =>This Inner Loop Header: Depth=1
	scratch_load_b64 v[96:97], v13, off
	ds_load_b64 v[98:99], v11
	s_wait_xcnt 0x0
	v_dual_add_nc_u32 v11, 8, v11 :: v_dual_add_nc_u32 v13, 8, v13
	s_wait_loadcnt_dscnt 0x0
	v_pk_mul_f32 v[100:101], v[98:99], v[96:97] op_sel:[1,1] op_sel_hi:[0,1]
	s_delay_alu instid0(VALU_DEP_1) | instskip(SKIP_2) | instid1(VALU_DEP_3)
	v_pk_fma_f32 v[102:103], v[98:99], v[96:97], v[100:101] op_sel_hi:[1,0,1]
	v_add_nc_u32_e32 v7, 1, v7
	v_pk_fma_f32 v[96:97], v[98:99], v[96:97], v[100:101] neg_lo:[0,0,1] neg_hi:[0,0,1]
	v_mov_b32_e32 v97, v103
	s_delay_alu instid0(VALU_DEP_3) | instskip(NEXT) | instid1(VALU_DEP_2)
	v_cmp_lt_u32_e32 vcc_lo, 27, v7
	v_pk_add_f32 v[94:95], v[94:95], v[96:97]
	s_or_b32 s1, vcc_lo, s1
	s_delay_alu instid0(SALU_CYCLE_1)
	s_and_not1_b32 exec_lo, exec_lo, s1
	s_cbranch_execnz .LBB44_129
; %bb.130:
	s_or_b32 exec_lo, exec_lo, s1
	v_mov_b32_e32 v7, 0
	ds_load_b64 v[96:97], v7 offset:232
	s_wait_dscnt 0x0
	v_pk_mul_f32 v[98:99], v[94:95], v[96:97] op_sel:[1,1] op_sel_hi:[0,1]
	s_delay_alu instid0(VALU_DEP_1) | instskip(SKIP_1) | instid1(VALU_DEP_2)
	v_pk_fma_f32 v[100:101], v[94:95], v[96:97], v[98:99] op_sel_hi:[1,0,1]
	v_pk_fma_f32 v[94:95], v[94:95], v[96:97], v[98:99] neg_lo:[0,0,1] neg_hi:[0,0,1]
	v_mov_b32_e32 v95, v101
	scratch_store_b64 off, v[94:95], off offset:232
.LBB44_131:
	s_wait_xcnt 0x0
	s_or_b32 exec_lo, exec_lo, s0
	s_wait_storecnt 0x0
	s_barrier_signal -1
	s_barrier_wait -1
	scratch_load_b64 v[94:95], off, off offset:240
	s_mov_b32 s0, exec_lo
	s_wait_loadcnt 0x0
	ds_store_b64 v1, v[94:95]
	s_wait_dscnt 0x0
	s_barrier_signal -1
	s_barrier_wait -1
	v_cmpx_gt_u32_e32 30, v0
	s_cbranch_execz .LBB44_135
; %bb.132:
	v_dual_mov_b32 v94, 0 :: v_dual_add_nc_u32 v7, -1, v0
	v_add_nc_u32_e32 v11, 0x170, v92
	v_mov_b32_e32 v13, v92
	s_mov_b32 s1, 0
	s_delay_alu instid0(VALU_DEP_3)
	v_mov_b32_e32 v95, v94
.LBB44_133:                             ; =>This Inner Loop Header: Depth=1
	scratch_load_b64 v[96:97], v13, off
	ds_load_b64 v[98:99], v11
	s_wait_xcnt 0x0
	v_dual_add_nc_u32 v11, 8, v11 :: v_dual_add_nc_u32 v13, 8, v13
	s_wait_loadcnt_dscnt 0x0
	v_pk_mul_f32 v[100:101], v[98:99], v[96:97] op_sel:[1,1] op_sel_hi:[0,1]
	s_delay_alu instid0(VALU_DEP_1) | instskip(SKIP_2) | instid1(VALU_DEP_3)
	v_pk_fma_f32 v[102:103], v[98:99], v[96:97], v[100:101] op_sel_hi:[1,0,1]
	v_add_nc_u32_e32 v7, 1, v7
	v_pk_fma_f32 v[96:97], v[98:99], v[96:97], v[100:101] neg_lo:[0,0,1] neg_hi:[0,0,1]
	v_mov_b32_e32 v97, v103
	s_delay_alu instid0(VALU_DEP_3) | instskip(NEXT) | instid1(VALU_DEP_2)
	v_cmp_lt_u32_e32 vcc_lo, 28, v7
	v_pk_add_f32 v[94:95], v[94:95], v[96:97]
	s_or_b32 s1, vcc_lo, s1
	s_delay_alu instid0(SALU_CYCLE_1)
	s_and_not1_b32 exec_lo, exec_lo, s1
	s_cbranch_execnz .LBB44_133
; %bb.134:
	s_or_b32 exec_lo, exec_lo, s1
	v_mov_b32_e32 v7, 0
	ds_load_b64 v[96:97], v7 offset:240
	s_wait_dscnt 0x0
	v_pk_mul_f32 v[98:99], v[94:95], v[96:97] op_sel:[1,1] op_sel_hi:[0,1]
	s_delay_alu instid0(VALU_DEP_1) | instskip(SKIP_1) | instid1(VALU_DEP_2)
	v_pk_fma_f32 v[100:101], v[94:95], v[96:97], v[98:99] op_sel_hi:[1,0,1]
	v_pk_fma_f32 v[94:95], v[94:95], v[96:97], v[98:99] neg_lo:[0,0,1] neg_hi:[0,0,1]
	v_mov_b32_e32 v95, v101
	scratch_store_b64 off, v[94:95], off offset:240
.LBB44_135:
	s_wait_xcnt 0x0
	s_or_b32 exec_lo, exec_lo, s0
	s_wait_storecnt 0x0
	s_barrier_signal -1
	s_barrier_wait -1
	scratch_load_b64 v[94:95], off, off offset:248
	s_mov_b32 s0, exec_lo
	s_wait_loadcnt 0x0
	ds_store_b64 v1, v[94:95]
	s_wait_dscnt 0x0
	s_barrier_signal -1
	s_barrier_wait -1
	v_cmpx_gt_u32_e32 31, v0
	s_cbranch_execz .LBB44_139
; %bb.136:
	v_dual_mov_b32 v94, 0 :: v_dual_add_nc_u32 v7, -1, v0
	v_add_nc_u32_e32 v11, 0x170, v92
	v_mov_b32_e32 v13, v92
	s_mov_b32 s1, 0
	s_delay_alu instid0(VALU_DEP_3)
	v_mov_b32_e32 v95, v94
.LBB44_137:                             ; =>This Inner Loop Header: Depth=1
	scratch_load_b64 v[96:97], v13, off
	ds_load_b64 v[98:99], v11
	s_wait_xcnt 0x0
	v_dual_add_nc_u32 v11, 8, v11 :: v_dual_add_nc_u32 v13, 8, v13
	s_wait_loadcnt_dscnt 0x0
	v_pk_mul_f32 v[100:101], v[98:99], v[96:97] op_sel:[1,1] op_sel_hi:[0,1]
	s_delay_alu instid0(VALU_DEP_1) | instskip(SKIP_2) | instid1(VALU_DEP_3)
	v_pk_fma_f32 v[102:103], v[98:99], v[96:97], v[100:101] op_sel_hi:[1,0,1]
	v_add_nc_u32_e32 v7, 1, v7
	v_pk_fma_f32 v[96:97], v[98:99], v[96:97], v[100:101] neg_lo:[0,0,1] neg_hi:[0,0,1]
	v_mov_b32_e32 v97, v103
	s_delay_alu instid0(VALU_DEP_3) | instskip(NEXT) | instid1(VALU_DEP_2)
	v_cmp_lt_u32_e32 vcc_lo, 29, v7
	v_pk_add_f32 v[94:95], v[94:95], v[96:97]
	s_or_b32 s1, vcc_lo, s1
	s_delay_alu instid0(SALU_CYCLE_1)
	s_and_not1_b32 exec_lo, exec_lo, s1
	s_cbranch_execnz .LBB44_137
; %bb.138:
	s_or_b32 exec_lo, exec_lo, s1
	v_mov_b32_e32 v7, 0
	ds_load_b64 v[96:97], v7 offset:248
	s_wait_dscnt 0x0
	v_pk_mul_f32 v[98:99], v[94:95], v[96:97] op_sel:[1,1] op_sel_hi:[0,1]
	s_delay_alu instid0(VALU_DEP_1) | instskip(SKIP_1) | instid1(VALU_DEP_2)
	v_pk_fma_f32 v[100:101], v[94:95], v[96:97], v[98:99] op_sel_hi:[1,0,1]
	v_pk_fma_f32 v[94:95], v[94:95], v[96:97], v[98:99] neg_lo:[0,0,1] neg_hi:[0,0,1]
	v_mov_b32_e32 v95, v101
	scratch_store_b64 off, v[94:95], off offset:248
.LBB44_139:
	s_wait_xcnt 0x0
	s_or_b32 exec_lo, exec_lo, s0
	s_wait_storecnt 0x0
	s_barrier_signal -1
	s_barrier_wait -1
	scratch_load_b64 v[94:95], off, off offset:256
	s_mov_b32 s0, exec_lo
	s_wait_loadcnt 0x0
	ds_store_b64 v1, v[94:95]
	s_wait_dscnt 0x0
	s_barrier_signal -1
	s_barrier_wait -1
	v_cmpx_gt_u32_e32 32, v0
	s_cbranch_execz .LBB44_143
; %bb.140:
	v_dual_mov_b32 v94, 0 :: v_dual_add_nc_u32 v7, -1, v0
	v_add_nc_u32_e32 v11, 0x170, v92
	v_mov_b32_e32 v13, v92
	s_mov_b32 s1, 0
	s_delay_alu instid0(VALU_DEP_3)
	v_mov_b32_e32 v95, v94
.LBB44_141:                             ; =>This Inner Loop Header: Depth=1
	scratch_load_b64 v[96:97], v13, off
	ds_load_b64 v[98:99], v11
	s_wait_xcnt 0x0
	v_dual_add_nc_u32 v11, 8, v11 :: v_dual_add_nc_u32 v13, 8, v13
	s_wait_loadcnt_dscnt 0x0
	v_pk_mul_f32 v[100:101], v[98:99], v[96:97] op_sel:[1,1] op_sel_hi:[0,1]
	s_delay_alu instid0(VALU_DEP_1) | instskip(SKIP_2) | instid1(VALU_DEP_3)
	v_pk_fma_f32 v[102:103], v[98:99], v[96:97], v[100:101] op_sel_hi:[1,0,1]
	v_add_nc_u32_e32 v7, 1, v7
	v_pk_fma_f32 v[96:97], v[98:99], v[96:97], v[100:101] neg_lo:[0,0,1] neg_hi:[0,0,1]
	v_mov_b32_e32 v97, v103
	s_delay_alu instid0(VALU_DEP_3) | instskip(NEXT) | instid1(VALU_DEP_2)
	v_cmp_lt_u32_e32 vcc_lo, 30, v7
	v_pk_add_f32 v[94:95], v[94:95], v[96:97]
	s_or_b32 s1, vcc_lo, s1
	s_delay_alu instid0(SALU_CYCLE_1)
	s_and_not1_b32 exec_lo, exec_lo, s1
	s_cbranch_execnz .LBB44_141
; %bb.142:
	s_or_b32 exec_lo, exec_lo, s1
	v_mov_b32_e32 v7, 0
	ds_load_b64 v[96:97], v7 offset:256
	s_wait_dscnt 0x0
	v_pk_mul_f32 v[98:99], v[94:95], v[96:97] op_sel:[1,1] op_sel_hi:[0,1]
	s_delay_alu instid0(VALU_DEP_1) | instskip(SKIP_1) | instid1(VALU_DEP_2)
	v_pk_fma_f32 v[100:101], v[94:95], v[96:97], v[98:99] op_sel_hi:[1,0,1]
	v_pk_fma_f32 v[94:95], v[94:95], v[96:97], v[98:99] neg_lo:[0,0,1] neg_hi:[0,0,1]
	v_mov_b32_e32 v95, v101
	scratch_store_b64 off, v[94:95], off offset:256
.LBB44_143:
	s_wait_xcnt 0x0
	s_or_b32 exec_lo, exec_lo, s0
	s_wait_storecnt 0x0
	s_barrier_signal -1
	s_barrier_wait -1
	scratch_load_b64 v[94:95], off, off offset:264
	s_mov_b32 s0, exec_lo
	s_wait_loadcnt 0x0
	ds_store_b64 v1, v[94:95]
	s_wait_dscnt 0x0
	s_barrier_signal -1
	s_barrier_wait -1
	v_cmpx_gt_u32_e32 33, v0
	s_cbranch_execz .LBB44_147
; %bb.144:
	v_dual_mov_b32 v94, 0 :: v_dual_add_nc_u32 v7, -1, v0
	v_add_nc_u32_e32 v11, 0x170, v92
	v_mov_b32_e32 v13, v92
	s_mov_b32 s1, 0
	s_delay_alu instid0(VALU_DEP_3)
	v_mov_b32_e32 v95, v94
.LBB44_145:                             ; =>This Inner Loop Header: Depth=1
	scratch_load_b64 v[96:97], v13, off
	ds_load_b64 v[98:99], v11
	s_wait_xcnt 0x0
	v_dual_add_nc_u32 v11, 8, v11 :: v_dual_add_nc_u32 v13, 8, v13
	s_wait_loadcnt_dscnt 0x0
	v_pk_mul_f32 v[100:101], v[98:99], v[96:97] op_sel:[1,1] op_sel_hi:[0,1]
	s_delay_alu instid0(VALU_DEP_1) | instskip(SKIP_2) | instid1(VALU_DEP_3)
	v_pk_fma_f32 v[102:103], v[98:99], v[96:97], v[100:101] op_sel_hi:[1,0,1]
	v_add_nc_u32_e32 v7, 1, v7
	v_pk_fma_f32 v[96:97], v[98:99], v[96:97], v[100:101] neg_lo:[0,0,1] neg_hi:[0,0,1]
	v_mov_b32_e32 v97, v103
	s_delay_alu instid0(VALU_DEP_3) | instskip(NEXT) | instid1(VALU_DEP_2)
	v_cmp_lt_u32_e32 vcc_lo, 31, v7
	v_pk_add_f32 v[94:95], v[94:95], v[96:97]
	s_or_b32 s1, vcc_lo, s1
	s_delay_alu instid0(SALU_CYCLE_1)
	s_and_not1_b32 exec_lo, exec_lo, s1
	s_cbranch_execnz .LBB44_145
; %bb.146:
	s_or_b32 exec_lo, exec_lo, s1
	v_mov_b32_e32 v7, 0
	ds_load_b64 v[96:97], v7 offset:264
	s_wait_dscnt 0x0
	v_pk_mul_f32 v[98:99], v[94:95], v[96:97] op_sel:[1,1] op_sel_hi:[0,1]
	s_delay_alu instid0(VALU_DEP_1) | instskip(SKIP_1) | instid1(VALU_DEP_2)
	v_pk_fma_f32 v[100:101], v[94:95], v[96:97], v[98:99] op_sel_hi:[1,0,1]
	v_pk_fma_f32 v[94:95], v[94:95], v[96:97], v[98:99] neg_lo:[0,0,1] neg_hi:[0,0,1]
	v_mov_b32_e32 v95, v101
	scratch_store_b64 off, v[94:95], off offset:264
.LBB44_147:
	s_wait_xcnt 0x0
	s_or_b32 exec_lo, exec_lo, s0
	s_wait_storecnt 0x0
	s_barrier_signal -1
	s_barrier_wait -1
	scratch_load_b64 v[94:95], off, off offset:272
	s_mov_b32 s0, exec_lo
	s_wait_loadcnt 0x0
	ds_store_b64 v1, v[94:95]
	s_wait_dscnt 0x0
	s_barrier_signal -1
	s_barrier_wait -1
	v_cmpx_gt_u32_e32 34, v0
	s_cbranch_execz .LBB44_151
; %bb.148:
	v_dual_mov_b32 v94, 0 :: v_dual_add_nc_u32 v7, -1, v0
	v_add_nc_u32_e32 v11, 0x170, v92
	v_mov_b32_e32 v13, v92
	s_mov_b32 s1, 0
	s_delay_alu instid0(VALU_DEP_3)
	v_mov_b32_e32 v95, v94
.LBB44_149:                             ; =>This Inner Loop Header: Depth=1
	scratch_load_b64 v[96:97], v13, off
	ds_load_b64 v[98:99], v11
	s_wait_xcnt 0x0
	v_dual_add_nc_u32 v11, 8, v11 :: v_dual_add_nc_u32 v13, 8, v13
	s_wait_loadcnt_dscnt 0x0
	v_pk_mul_f32 v[100:101], v[98:99], v[96:97] op_sel:[1,1] op_sel_hi:[0,1]
	s_delay_alu instid0(VALU_DEP_1) | instskip(SKIP_2) | instid1(VALU_DEP_3)
	v_pk_fma_f32 v[102:103], v[98:99], v[96:97], v[100:101] op_sel_hi:[1,0,1]
	v_add_nc_u32_e32 v7, 1, v7
	v_pk_fma_f32 v[96:97], v[98:99], v[96:97], v[100:101] neg_lo:[0,0,1] neg_hi:[0,0,1]
	v_mov_b32_e32 v97, v103
	s_delay_alu instid0(VALU_DEP_3) | instskip(NEXT) | instid1(VALU_DEP_2)
	v_cmp_lt_u32_e32 vcc_lo, 32, v7
	v_pk_add_f32 v[94:95], v[94:95], v[96:97]
	s_or_b32 s1, vcc_lo, s1
	s_delay_alu instid0(SALU_CYCLE_1)
	s_and_not1_b32 exec_lo, exec_lo, s1
	s_cbranch_execnz .LBB44_149
; %bb.150:
	s_or_b32 exec_lo, exec_lo, s1
	v_mov_b32_e32 v7, 0
	ds_load_b64 v[96:97], v7 offset:272
	s_wait_dscnt 0x0
	v_pk_mul_f32 v[98:99], v[94:95], v[96:97] op_sel:[1,1] op_sel_hi:[0,1]
	s_delay_alu instid0(VALU_DEP_1) | instskip(SKIP_1) | instid1(VALU_DEP_2)
	v_pk_fma_f32 v[100:101], v[94:95], v[96:97], v[98:99] op_sel_hi:[1,0,1]
	v_pk_fma_f32 v[94:95], v[94:95], v[96:97], v[98:99] neg_lo:[0,0,1] neg_hi:[0,0,1]
	v_mov_b32_e32 v95, v101
	scratch_store_b64 off, v[94:95], off offset:272
.LBB44_151:
	s_wait_xcnt 0x0
	s_or_b32 exec_lo, exec_lo, s0
	s_wait_storecnt 0x0
	s_barrier_signal -1
	s_barrier_wait -1
	scratch_load_b64 v[94:95], off, off offset:280
	s_mov_b32 s0, exec_lo
	s_wait_loadcnt 0x0
	ds_store_b64 v1, v[94:95]
	s_wait_dscnt 0x0
	s_barrier_signal -1
	s_barrier_wait -1
	v_cmpx_gt_u32_e32 35, v0
	s_cbranch_execz .LBB44_155
; %bb.152:
	v_dual_mov_b32 v94, 0 :: v_dual_add_nc_u32 v7, -1, v0
	v_add_nc_u32_e32 v11, 0x170, v92
	v_mov_b32_e32 v13, v92
	s_mov_b32 s1, 0
	s_delay_alu instid0(VALU_DEP_3)
	v_mov_b32_e32 v95, v94
.LBB44_153:                             ; =>This Inner Loop Header: Depth=1
	scratch_load_b64 v[96:97], v13, off
	ds_load_b64 v[98:99], v11
	s_wait_xcnt 0x0
	v_dual_add_nc_u32 v11, 8, v11 :: v_dual_add_nc_u32 v13, 8, v13
	s_wait_loadcnt_dscnt 0x0
	v_pk_mul_f32 v[100:101], v[98:99], v[96:97] op_sel:[1,1] op_sel_hi:[0,1]
	s_delay_alu instid0(VALU_DEP_1) | instskip(SKIP_2) | instid1(VALU_DEP_3)
	v_pk_fma_f32 v[102:103], v[98:99], v[96:97], v[100:101] op_sel_hi:[1,0,1]
	v_add_nc_u32_e32 v7, 1, v7
	v_pk_fma_f32 v[96:97], v[98:99], v[96:97], v[100:101] neg_lo:[0,0,1] neg_hi:[0,0,1]
	v_mov_b32_e32 v97, v103
	s_delay_alu instid0(VALU_DEP_3) | instskip(NEXT) | instid1(VALU_DEP_2)
	v_cmp_lt_u32_e32 vcc_lo, 33, v7
	v_pk_add_f32 v[94:95], v[94:95], v[96:97]
	s_or_b32 s1, vcc_lo, s1
	s_delay_alu instid0(SALU_CYCLE_1)
	s_and_not1_b32 exec_lo, exec_lo, s1
	s_cbranch_execnz .LBB44_153
; %bb.154:
	s_or_b32 exec_lo, exec_lo, s1
	v_mov_b32_e32 v7, 0
	ds_load_b64 v[96:97], v7 offset:280
	s_wait_dscnt 0x0
	v_pk_mul_f32 v[98:99], v[94:95], v[96:97] op_sel:[1,1] op_sel_hi:[0,1]
	s_delay_alu instid0(VALU_DEP_1) | instskip(SKIP_1) | instid1(VALU_DEP_2)
	v_pk_fma_f32 v[100:101], v[94:95], v[96:97], v[98:99] op_sel_hi:[1,0,1]
	v_pk_fma_f32 v[94:95], v[94:95], v[96:97], v[98:99] neg_lo:[0,0,1] neg_hi:[0,0,1]
	v_mov_b32_e32 v95, v101
	scratch_store_b64 off, v[94:95], off offset:280
.LBB44_155:
	s_wait_xcnt 0x0
	s_or_b32 exec_lo, exec_lo, s0
	s_wait_storecnt 0x0
	s_barrier_signal -1
	s_barrier_wait -1
	scratch_load_b64 v[94:95], off, off offset:288
	s_mov_b32 s0, exec_lo
	s_wait_loadcnt 0x0
	ds_store_b64 v1, v[94:95]
	s_wait_dscnt 0x0
	s_barrier_signal -1
	s_barrier_wait -1
	v_cmpx_gt_u32_e32 36, v0
	s_cbranch_execz .LBB44_159
; %bb.156:
	v_dual_mov_b32 v94, 0 :: v_dual_add_nc_u32 v7, -1, v0
	v_add_nc_u32_e32 v11, 0x170, v92
	v_mov_b32_e32 v13, v92
	s_mov_b32 s1, 0
	s_delay_alu instid0(VALU_DEP_3)
	v_mov_b32_e32 v95, v94
.LBB44_157:                             ; =>This Inner Loop Header: Depth=1
	scratch_load_b64 v[96:97], v13, off
	ds_load_b64 v[98:99], v11
	s_wait_xcnt 0x0
	v_dual_add_nc_u32 v11, 8, v11 :: v_dual_add_nc_u32 v13, 8, v13
	s_wait_loadcnt_dscnt 0x0
	v_pk_mul_f32 v[100:101], v[98:99], v[96:97] op_sel:[1,1] op_sel_hi:[0,1]
	s_delay_alu instid0(VALU_DEP_1) | instskip(SKIP_2) | instid1(VALU_DEP_3)
	v_pk_fma_f32 v[102:103], v[98:99], v[96:97], v[100:101] op_sel_hi:[1,0,1]
	v_add_nc_u32_e32 v7, 1, v7
	v_pk_fma_f32 v[96:97], v[98:99], v[96:97], v[100:101] neg_lo:[0,0,1] neg_hi:[0,0,1]
	v_mov_b32_e32 v97, v103
	s_delay_alu instid0(VALU_DEP_3) | instskip(NEXT) | instid1(VALU_DEP_2)
	v_cmp_lt_u32_e32 vcc_lo, 34, v7
	v_pk_add_f32 v[94:95], v[94:95], v[96:97]
	s_or_b32 s1, vcc_lo, s1
	s_delay_alu instid0(SALU_CYCLE_1)
	s_and_not1_b32 exec_lo, exec_lo, s1
	s_cbranch_execnz .LBB44_157
; %bb.158:
	s_or_b32 exec_lo, exec_lo, s1
	v_mov_b32_e32 v7, 0
	ds_load_b64 v[96:97], v7 offset:288
	s_wait_dscnt 0x0
	v_pk_mul_f32 v[98:99], v[94:95], v[96:97] op_sel:[1,1] op_sel_hi:[0,1]
	s_delay_alu instid0(VALU_DEP_1) | instskip(SKIP_1) | instid1(VALU_DEP_2)
	v_pk_fma_f32 v[100:101], v[94:95], v[96:97], v[98:99] op_sel_hi:[1,0,1]
	v_pk_fma_f32 v[94:95], v[94:95], v[96:97], v[98:99] neg_lo:[0,0,1] neg_hi:[0,0,1]
	v_mov_b32_e32 v95, v101
	scratch_store_b64 off, v[94:95], off offset:288
.LBB44_159:
	s_wait_xcnt 0x0
	s_or_b32 exec_lo, exec_lo, s0
	s_wait_storecnt 0x0
	s_barrier_signal -1
	s_barrier_wait -1
	scratch_load_b64 v[94:95], off, off offset:296
	s_mov_b32 s0, exec_lo
	s_wait_loadcnt 0x0
	ds_store_b64 v1, v[94:95]
	s_wait_dscnt 0x0
	s_barrier_signal -1
	s_barrier_wait -1
	v_cmpx_gt_u32_e32 37, v0
	s_cbranch_execz .LBB44_163
; %bb.160:
	v_dual_mov_b32 v94, 0 :: v_dual_add_nc_u32 v7, -1, v0
	v_add_nc_u32_e32 v11, 0x170, v92
	v_mov_b32_e32 v13, v92
	s_mov_b32 s1, 0
	s_delay_alu instid0(VALU_DEP_3)
	v_mov_b32_e32 v95, v94
.LBB44_161:                             ; =>This Inner Loop Header: Depth=1
	scratch_load_b64 v[96:97], v13, off
	ds_load_b64 v[98:99], v11
	s_wait_xcnt 0x0
	v_dual_add_nc_u32 v11, 8, v11 :: v_dual_add_nc_u32 v13, 8, v13
	s_wait_loadcnt_dscnt 0x0
	v_pk_mul_f32 v[100:101], v[98:99], v[96:97] op_sel:[1,1] op_sel_hi:[0,1]
	s_delay_alu instid0(VALU_DEP_1) | instskip(SKIP_2) | instid1(VALU_DEP_3)
	v_pk_fma_f32 v[102:103], v[98:99], v[96:97], v[100:101] op_sel_hi:[1,0,1]
	v_add_nc_u32_e32 v7, 1, v7
	v_pk_fma_f32 v[96:97], v[98:99], v[96:97], v[100:101] neg_lo:[0,0,1] neg_hi:[0,0,1]
	v_mov_b32_e32 v97, v103
	s_delay_alu instid0(VALU_DEP_3) | instskip(NEXT) | instid1(VALU_DEP_2)
	v_cmp_lt_u32_e32 vcc_lo, 35, v7
	v_pk_add_f32 v[94:95], v[94:95], v[96:97]
	s_or_b32 s1, vcc_lo, s1
	s_delay_alu instid0(SALU_CYCLE_1)
	s_and_not1_b32 exec_lo, exec_lo, s1
	s_cbranch_execnz .LBB44_161
; %bb.162:
	s_or_b32 exec_lo, exec_lo, s1
	v_mov_b32_e32 v7, 0
	ds_load_b64 v[96:97], v7 offset:296
	s_wait_dscnt 0x0
	v_pk_mul_f32 v[98:99], v[94:95], v[96:97] op_sel:[1,1] op_sel_hi:[0,1]
	s_delay_alu instid0(VALU_DEP_1) | instskip(SKIP_1) | instid1(VALU_DEP_2)
	v_pk_fma_f32 v[100:101], v[94:95], v[96:97], v[98:99] op_sel_hi:[1,0,1]
	v_pk_fma_f32 v[94:95], v[94:95], v[96:97], v[98:99] neg_lo:[0,0,1] neg_hi:[0,0,1]
	v_mov_b32_e32 v95, v101
	scratch_store_b64 off, v[94:95], off offset:296
.LBB44_163:
	s_wait_xcnt 0x0
	s_or_b32 exec_lo, exec_lo, s0
	s_wait_storecnt 0x0
	s_barrier_signal -1
	s_barrier_wait -1
	scratch_load_b64 v[94:95], off, off offset:304
	s_mov_b32 s0, exec_lo
	s_wait_loadcnt 0x0
	ds_store_b64 v1, v[94:95]
	s_wait_dscnt 0x0
	s_barrier_signal -1
	s_barrier_wait -1
	v_cmpx_gt_u32_e32 38, v0
	s_cbranch_execz .LBB44_167
; %bb.164:
	v_dual_mov_b32 v94, 0 :: v_dual_add_nc_u32 v7, -1, v0
	v_add_nc_u32_e32 v11, 0x170, v92
	v_mov_b32_e32 v13, v92
	s_mov_b32 s1, 0
	s_delay_alu instid0(VALU_DEP_3)
	v_mov_b32_e32 v95, v94
.LBB44_165:                             ; =>This Inner Loop Header: Depth=1
	scratch_load_b64 v[96:97], v13, off
	ds_load_b64 v[98:99], v11
	s_wait_xcnt 0x0
	v_dual_add_nc_u32 v11, 8, v11 :: v_dual_add_nc_u32 v13, 8, v13
	s_wait_loadcnt_dscnt 0x0
	v_pk_mul_f32 v[100:101], v[98:99], v[96:97] op_sel:[1,1] op_sel_hi:[0,1]
	s_delay_alu instid0(VALU_DEP_1) | instskip(SKIP_2) | instid1(VALU_DEP_3)
	v_pk_fma_f32 v[102:103], v[98:99], v[96:97], v[100:101] op_sel_hi:[1,0,1]
	v_add_nc_u32_e32 v7, 1, v7
	v_pk_fma_f32 v[96:97], v[98:99], v[96:97], v[100:101] neg_lo:[0,0,1] neg_hi:[0,0,1]
	v_mov_b32_e32 v97, v103
	s_delay_alu instid0(VALU_DEP_3) | instskip(NEXT) | instid1(VALU_DEP_2)
	v_cmp_lt_u32_e32 vcc_lo, 36, v7
	v_pk_add_f32 v[94:95], v[94:95], v[96:97]
	s_or_b32 s1, vcc_lo, s1
	s_delay_alu instid0(SALU_CYCLE_1)
	s_and_not1_b32 exec_lo, exec_lo, s1
	s_cbranch_execnz .LBB44_165
; %bb.166:
	s_or_b32 exec_lo, exec_lo, s1
	v_mov_b32_e32 v7, 0
	ds_load_b64 v[96:97], v7 offset:304
	s_wait_dscnt 0x0
	v_pk_mul_f32 v[98:99], v[94:95], v[96:97] op_sel:[1,1] op_sel_hi:[0,1]
	s_delay_alu instid0(VALU_DEP_1) | instskip(SKIP_1) | instid1(VALU_DEP_2)
	v_pk_fma_f32 v[100:101], v[94:95], v[96:97], v[98:99] op_sel_hi:[1,0,1]
	v_pk_fma_f32 v[94:95], v[94:95], v[96:97], v[98:99] neg_lo:[0,0,1] neg_hi:[0,0,1]
	v_mov_b32_e32 v95, v101
	scratch_store_b64 off, v[94:95], off offset:304
.LBB44_167:
	s_wait_xcnt 0x0
	s_or_b32 exec_lo, exec_lo, s0
	s_wait_storecnt 0x0
	s_barrier_signal -1
	s_barrier_wait -1
	scratch_load_b64 v[94:95], off, off offset:312
	s_mov_b32 s0, exec_lo
	s_wait_loadcnt 0x0
	ds_store_b64 v1, v[94:95]
	s_wait_dscnt 0x0
	s_barrier_signal -1
	s_barrier_wait -1
	v_cmpx_gt_u32_e32 39, v0
	s_cbranch_execz .LBB44_171
; %bb.168:
	v_dual_mov_b32 v94, 0 :: v_dual_add_nc_u32 v7, -1, v0
	v_add_nc_u32_e32 v11, 0x170, v92
	v_mov_b32_e32 v13, v92
	s_mov_b32 s1, 0
	s_delay_alu instid0(VALU_DEP_3)
	v_mov_b32_e32 v95, v94
.LBB44_169:                             ; =>This Inner Loop Header: Depth=1
	scratch_load_b64 v[96:97], v13, off
	ds_load_b64 v[98:99], v11
	s_wait_xcnt 0x0
	v_dual_add_nc_u32 v11, 8, v11 :: v_dual_add_nc_u32 v13, 8, v13
	s_wait_loadcnt_dscnt 0x0
	v_pk_mul_f32 v[100:101], v[98:99], v[96:97] op_sel:[1,1] op_sel_hi:[0,1]
	s_delay_alu instid0(VALU_DEP_1) | instskip(SKIP_2) | instid1(VALU_DEP_3)
	v_pk_fma_f32 v[102:103], v[98:99], v[96:97], v[100:101] op_sel_hi:[1,0,1]
	v_add_nc_u32_e32 v7, 1, v7
	v_pk_fma_f32 v[96:97], v[98:99], v[96:97], v[100:101] neg_lo:[0,0,1] neg_hi:[0,0,1]
	v_mov_b32_e32 v97, v103
	s_delay_alu instid0(VALU_DEP_3) | instskip(NEXT) | instid1(VALU_DEP_2)
	v_cmp_lt_u32_e32 vcc_lo, 37, v7
	v_pk_add_f32 v[94:95], v[94:95], v[96:97]
	s_or_b32 s1, vcc_lo, s1
	s_delay_alu instid0(SALU_CYCLE_1)
	s_and_not1_b32 exec_lo, exec_lo, s1
	s_cbranch_execnz .LBB44_169
; %bb.170:
	s_or_b32 exec_lo, exec_lo, s1
	v_mov_b32_e32 v7, 0
	ds_load_b64 v[96:97], v7 offset:312
	s_wait_dscnt 0x0
	v_pk_mul_f32 v[98:99], v[94:95], v[96:97] op_sel:[1,1] op_sel_hi:[0,1]
	s_delay_alu instid0(VALU_DEP_1) | instskip(SKIP_1) | instid1(VALU_DEP_2)
	v_pk_fma_f32 v[100:101], v[94:95], v[96:97], v[98:99] op_sel_hi:[1,0,1]
	v_pk_fma_f32 v[94:95], v[94:95], v[96:97], v[98:99] neg_lo:[0,0,1] neg_hi:[0,0,1]
	v_mov_b32_e32 v95, v101
	scratch_store_b64 off, v[94:95], off offset:312
.LBB44_171:
	s_wait_xcnt 0x0
	s_or_b32 exec_lo, exec_lo, s0
	s_wait_storecnt 0x0
	s_barrier_signal -1
	s_barrier_wait -1
	scratch_load_b64 v[94:95], off, off offset:320
	s_mov_b32 s0, exec_lo
	s_wait_loadcnt 0x0
	ds_store_b64 v1, v[94:95]
	s_wait_dscnt 0x0
	s_barrier_signal -1
	s_barrier_wait -1
	v_cmpx_gt_u32_e32 40, v0
	s_cbranch_execz .LBB44_175
; %bb.172:
	v_dual_mov_b32 v94, 0 :: v_dual_add_nc_u32 v7, -1, v0
	v_add_nc_u32_e32 v11, 0x170, v92
	v_mov_b32_e32 v13, v92
	s_mov_b32 s1, 0
	s_delay_alu instid0(VALU_DEP_3)
	v_mov_b32_e32 v95, v94
.LBB44_173:                             ; =>This Inner Loop Header: Depth=1
	scratch_load_b64 v[96:97], v13, off
	ds_load_b64 v[98:99], v11
	s_wait_xcnt 0x0
	v_dual_add_nc_u32 v11, 8, v11 :: v_dual_add_nc_u32 v13, 8, v13
	s_wait_loadcnt_dscnt 0x0
	v_pk_mul_f32 v[100:101], v[98:99], v[96:97] op_sel:[1,1] op_sel_hi:[0,1]
	s_delay_alu instid0(VALU_DEP_1) | instskip(SKIP_2) | instid1(VALU_DEP_3)
	v_pk_fma_f32 v[102:103], v[98:99], v[96:97], v[100:101] op_sel_hi:[1,0,1]
	v_add_nc_u32_e32 v7, 1, v7
	v_pk_fma_f32 v[96:97], v[98:99], v[96:97], v[100:101] neg_lo:[0,0,1] neg_hi:[0,0,1]
	v_mov_b32_e32 v97, v103
	s_delay_alu instid0(VALU_DEP_3) | instskip(NEXT) | instid1(VALU_DEP_2)
	v_cmp_lt_u32_e32 vcc_lo, 38, v7
	v_pk_add_f32 v[94:95], v[94:95], v[96:97]
	s_or_b32 s1, vcc_lo, s1
	s_delay_alu instid0(SALU_CYCLE_1)
	s_and_not1_b32 exec_lo, exec_lo, s1
	s_cbranch_execnz .LBB44_173
; %bb.174:
	s_or_b32 exec_lo, exec_lo, s1
	v_mov_b32_e32 v7, 0
	ds_load_b64 v[96:97], v7 offset:320
	s_wait_dscnt 0x0
	v_pk_mul_f32 v[98:99], v[94:95], v[96:97] op_sel:[1,1] op_sel_hi:[0,1]
	s_delay_alu instid0(VALU_DEP_1) | instskip(SKIP_1) | instid1(VALU_DEP_2)
	v_pk_fma_f32 v[100:101], v[94:95], v[96:97], v[98:99] op_sel_hi:[1,0,1]
	v_pk_fma_f32 v[94:95], v[94:95], v[96:97], v[98:99] neg_lo:[0,0,1] neg_hi:[0,0,1]
	v_mov_b32_e32 v95, v101
	scratch_store_b64 off, v[94:95], off offset:320
.LBB44_175:
	s_wait_xcnt 0x0
	s_or_b32 exec_lo, exec_lo, s0
	s_wait_storecnt 0x0
	s_barrier_signal -1
	s_barrier_wait -1
	scratch_load_b64 v[94:95], off, off offset:328
	s_mov_b32 s0, exec_lo
	s_wait_loadcnt 0x0
	ds_store_b64 v1, v[94:95]
	s_wait_dscnt 0x0
	s_barrier_signal -1
	s_barrier_wait -1
	v_cmpx_gt_u32_e32 41, v0
	s_cbranch_execz .LBB44_179
; %bb.176:
	v_dual_mov_b32 v94, 0 :: v_dual_add_nc_u32 v7, -1, v0
	v_add_nc_u32_e32 v11, 0x170, v92
	v_mov_b32_e32 v13, v92
	s_mov_b32 s1, 0
	s_delay_alu instid0(VALU_DEP_3)
	v_mov_b32_e32 v95, v94
.LBB44_177:                             ; =>This Inner Loop Header: Depth=1
	scratch_load_b64 v[96:97], v13, off
	ds_load_b64 v[98:99], v11
	s_wait_xcnt 0x0
	v_dual_add_nc_u32 v11, 8, v11 :: v_dual_add_nc_u32 v13, 8, v13
	s_wait_loadcnt_dscnt 0x0
	v_pk_mul_f32 v[100:101], v[98:99], v[96:97] op_sel:[1,1] op_sel_hi:[0,1]
	s_delay_alu instid0(VALU_DEP_1) | instskip(SKIP_2) | instid1(VALU_DEP_3)
	v_pk_fma_f32 v[102:103], v[98:99], v[96:97], v[100:101] op_sel_hi:[1,0,1]
	v_add_nc_u32_e32 v7, 1, v7
	v_pk_fma_f32 v[96:97], v[98:99], v[96:97], v[100:101] neg_lo:[0,0,1] neg_hi:[0,0,1]
	v_mov_b32_e32 v97, v103
	s_delay_alu instid0(VALU_DEP_3) | instskip(NEXT) | instid1(VALU_DEP_2)
	v_cmp_lt_u32_e32 vcc_lo, 39, v7
	v_pk_add_f32 v[94:95], v[94:95], v[96:97]
	s_or_b32 s1, vcc_lo, s1
	s_delay_alu instid0(SALU_CYCLE_1)
	s_and_not1_b32 exec_lo, exec_lo, s1
	s_cbranch_execnz .LBB44_177
; %bb.178:
	s_or_b32 exec_lo, exec_lo, s1
	v_mov_b32_e32 v7, 0
	ds_load_b64 v[96:97], v7 offset:328
	s_wait_dscnt 0x0
	v_pk_mul_f32 v[98:99], v[94:95], v[96:97] op_sel:[1,1] op_sel_hi:[0,1]
	s_delay_alu instid0(VALU_DEP_1) | instskip(SKIP_1) | instid1(VALU_DEP_2)
	v_pk_fma_f32 v[100:101], v[94:95], v[96:97], v[98:99] op_sel_hi:[1,0,1]
	v_pk_fma_f32 v[94:95], v[94:95], v[96:97], v[98:99] neg_lo:[0,0,1] neg_hi:[0,0,1]
	v_mov_b32_e32 v95, v101
	scratch_store_b64 off, v[94:95], off offset:328
.LBB44_179:
	s_wait_xcnt 0x0
	s_or_b32 exec_lo, exec_lo, s0
	s_wait_storecnt 0x0
	s_barrier_signal -1
	s_barrier_wait -1
	scratch_load_b64 v[94:95], off, off offset:336
	s_mov_b32 s0, exec_lo
	s_wait_loadcnt 0x0
	ds_store_b64 v1, v[94:95]
	s_wait_dscnt 0x0
	s_barrier_signal -1
	s_barrier_wait -1
	v_cmpx_gt_u32_e32 42, v0
	s_cbranch_execz .LBB44_183
; %bb.180:
	v_dual_mov_b32 v94, 0 :: v_dual_add_nc_u32 v7, -1, v0
	v_add_nc_u32_e32 v11, 0x170, v92
	v_mov_b32_e32 v13, v92
	s_mov_b32 s1, 0
	s_delay_alu instid0(VALU_DEP_3)
	v_mov_b32_e32 v95, v94
.LBB44_181:                             ; =>This Inner Loop Header: Depth=1
	scratch_load_b64 v[96:97], v13, off
	ds_load_b64 v[98:99], v11
	s_wait_xcnt 0x0
	v_dual_add_nc_u32 v11, 8, v11 :: v_dual_add_nc_u32 v13, 8, v13
	s_wait_loadcnt_dscnt 0x0
	v_pk_mul_f32 v[100:101], v[98:99], v[96:97] op_sel:[1,1] op_sel_hi:[0,1]
	s_delay_alu instid0(VALU_DEP_1) | instskip(SKIP_2) | instid1(VALU_DEP_3)
	v_pk_fma_f32 v[102:103], v[98:99], v[96:97], v[100:101] op_sel_hi:[1,0,1]
	v_add_nc_u32_e32 v7, 1, v7
	v_pk_fma_f32 v[96:97], v[98:99], v[96:97], v[100:101] neg_lo:[0,0,1] neg_hi:[0,0,1]
	v_mov_b32_e32 v97, v103
	s_delay_alu instid0(VALU_DEP_3) | instskip(NEXT) | instid1(VALU_DEP_2)
	v_cmp_lt_u32_e32 vcc_lo, 40, v7
	v_pk_add_f32 v[94:95], v[94:95], v[96:97]
	s_or_b32 s1, vcc_lo, s1
	s_delay_alu instid0(SALU_CYCLE_1)
	s_and_not1_b32 exec_lo, exec_lo, s1
	s_cbranch_execnz .LBB44_181
; %bb.182:
	s_or_b32 exec_lo, exec_lo, s1
	v_mov_b32_e32 v7, 0
	ds_load_b64 v[96:97], v7 offset:336
	s_wait_dscnt 0x0
	v_pk_mul_f32 v[98:99], v[94:95], v[96:97] op_sel:[1,1] op_sel_hi:[0,1]
	s_delay_alu instid0(VALU_DEP_1) | instskip(SKIP_1) | instid1(VALU_DEP_2)
	v_pk_fma_f32 v[100:101], v[94:95], v[96:97], v[98:99] op_sel_hi:[1,0,1]
	v_pk_fma_f32 v[94:95], v[94:95], v[96:97], v[98:99] neg_lo:[0,0,1] neg_hi:[0,0,1]
	v_mov_b32_e32 v95, v101
	scratch_store_b64 off, v[94:95], off offset:336
.LBB44_183:
	s_wait_xcnt 0x0
	s_or_b32 exec_lo, exec_lo, s0
	s_wait_storecnt 0x0
	s_barrier_signal -1
	s_barrier_wait -1
	scratch_load_b64 v[94:95], off, off offset:344
	s_mov_b32 s0, exec_lo
	s_wait_loadcnt 0x0
	ds_store_b64 v1, v[94:95]
	s_wait_dscnt 0x0
	s_barrier_signal -1
	s_barrier_wait -1
	v_cmpx_gt_u32_e32 43, v0
	s_cbranch_execz .LBB44_187
; %bb.184:
	v_dual_mov_b32 v94, 0 :: v_dual_add_nc_u32 v7, -1, v0
	v_add_nc_u32_e32 v11, 0x170, v92
	v_mov_b32_e32 v13, v92
	s_mov_b32 s1, 0
	s_delay_alu instid0(VALU_DEP_3)
	v_mov_b32_e32 v95, v94
.LBB44_185:                             ; =>This Inner Loop Header: Depth=1
	scratch_load_b64 v[96:97], v13, off
	ds_load_b64 v[98:99], v11
	s_wait_xcnt 0x0
	v_dual_add_nc_u32 v11, 8, v11 :: v_dual_add_nc_u32 v13, 8, v13
	s_wait_loadcnt_dscnt 0x0
	v_pk_mul_f32 v[100:101], v[98:99], v[96:97] op_sel:[1,1] op_sel_hi:[0,1]
	s_delay_alu instid0(VALU_DEP_1) | instskip(SKIP_2) | instid1(VALU_DEP_3)
	v_pk_fma_f32 v[102:103], v[98:99], v[96:97], v[100:101] op_sel_hi:[1,0,1]
	v_add_nc_u32_e32 v7, 1, v7
	v_pk_fma_f32 v[96:97], v[98:99], v[96:97], v[100:101] neg_lo:[0,0,1] neg_hi:[0,0,1]
	v_mov_b32_e32 v97, v103
	s_delay_alu instid0(VALU_DEP_3) | instskip(NEXT) | instid1(VALU_DEP_2)
	v_cmp_lt_u32_e32 vcc_lo, 41, v7
	v_pk_add_f32 v[94:95], v[94:95], v[96:97]
	s_or_b32 s1, vcc_lo, s1
	s_delay_alu instid0(SALU_CYCLE_1)
	s_and_not1_b32 exec_lo, exec_lo, s1
	s_cbranch_execnz .LBB44_185
; %bb.186:
	s_or_b32 exec_lo, exec_lo, s1
	v_mov_b32_e32 v7, 0
	ds_load_b64 v[96:97], v7 offset:344
	s_wait_dscnt 0x0
	v_pk_mul_f32 v[98:99], v[94:95], v[96:97] op_sel:[1,1] op_sel_hi:[0,1]
	s_delay_alu instid0(VALU_DEP_1) | instskip(SKIP_1) | instid1(VALU_DEP_2)
	v_pk_fma_f32 v[100:101], v[94:95], v[96:97], v[98:99] op_sel_hi:[1,0,1]
	v_pk_fma_f32 v[94:95], v[94:95], v[96:97], v[98:99] neg_lo:[0,0,1] neg_hi:[0,0,1]
	v_mov_b32_e32 v95, v101
	scratch_store_b64 off, v[94:95], off offset:344
.LBB44_187:
	s_wait_xcnt 0x0
	s_or_b32 exec_lo, exec_lo, s0
	s_wait_storecnt 0x0
	s_barrier_signal -1
	s_barrier_wait -1
	scratch_load_b64 v[94:95], off, off offset:352
	s_mov_b32 s0, exec_lo
	s_wait_loadcnt 0x0
	ds_store_b64 v1, v[94:95]
	s_wait_dscnt 0x0
	s_barrier_signal -1
	s_barrier_wait -1
	v_cmpx_ne_u32_e32 44, v0
	s_cbranch_execz .LBB44_191
; %bb.188:
	v_dual_mov_b32 v94, 0 :: v_dual_mov_b32 v7, v92
	s_mov_b32 s1, 0
	s_delay_alu instid0(VALU_DEP_1)
	v_mov_b32_e32 v95, v94
.LBB44_189:                             ; =>This Inner Loop Header: Depth=1
	scratch_load_b64 v[92:93], v7, off
	ds_load_b64 v[96:97], v1
	s_wait_xcnt 0x0
	v_dual_add_nc_u32 v1, 8, v1 :: v_dual_add_nc_u32 v7, 8, v7
	s_wait_loadcnt_dscnt 0x0
	v_pk_mul_f32 v[98:99], v[96:97], v[92:93] op_sel:[1,1] op_sel_hi:[0,1]
	s_delay_alu instid0(VALU_DEP_1) | instskip(SKIP_2) | instid1(VALU_DEP_3)
	v_pk_fma_f32 v[100:101], v[96:97], v[92:93], v[98:99] op_sel_hi:[1,0,1]
	v_add_nc_u32_e32 v5, 1, v5
	v_pk_fma_f32 v[92:93], v[96:97], v[92:93], v[98:99] neg_lo:[0,0,1] neg_hi:[0,0,1]
	v_mov_b32_e32 v93, v101
	s_delay_alu instid0(VALU_DEP_3) | instskip(NEXT) | instid1(VALU_DEP_2)
	v_cmp_lt_u32_e32 vcc_lo, 42, v5
	v_pk_add_f32 v[94:95], v[94:95], v[92:93]
	s_or_b32 s1, vcc_lo, s1
	s_delay_alu instid0(SALU_CYCLE_1)
	s_and_not1_b32 exec_lo, exec_lo, s1
	s_cbranch_execnz .LBB44_189
; %bb.190:
	s_or_b32 exec_lo, exec_lo, s1
	v_mov_b32_e32 v1, 0
	ds_load_b64 v[92:93], v1 offset:352
	s_wait_dscnt 0x0
	v_pk_mul_f32 v[96:97], v[94:95], v[92:93] op_sel:[1,1] op_sel_hi:[0,1]
	s_delay_alu instid0(VALU_DEP_1) | instskip(SKIP_1) | instid1(VALU_DEP_2)
	v_pk_fma_f32 v[98:99], v[94:95], v[92:93], v[96:97] op_sel_hi:[1,0,1]
	v_pk_fma_f32 v[92:93], v[94:95], v[92:93], v[96:97] neg_lo:[0,0,1] neg_hi:[0,0,1]
	v_mov_b32_e32 v93, v99
	scratch_store_b64 off, v[92:93], off offset:352
.LBB44_191:
	s_wait_xcnt 0x0
	s_or_b32 exec_lo, exec_lo, s0
	s_mov_b32 s1, -1
	s_wait_storecnt 0x0
	s_barrier_signal -1
	s_barrier_wait -1
.LBB44_192:
	s_and_b32 vcc_lo, exec_lo, s1
	s_cbranch_vccz .LBB44_194
; %bb.193:
	v_mov_b32_e32 v1, 0
	s_lshl_b64 s[0:1], s[16:17], 2
	s_delay_alu instid0(SALU_CYCLE_1)
	s_add_nc_u64 s[0:1], s[6:7], s[0:1]
	global_load_b32 v1, v1, s[0:1]
	s_wait_loadcnt 0x0
	v_cmp_ne_u32_e32 vcc_lo, 0, v1
	s_cbranch_vccz .LBB44_195
.LBB44_194:
	s_sendmsg sendmsg(MSG_DEALLOC_VGPRS)
	s_endpgm
.LBB44_195:
	s_wait_xcnt 0x0
	v_lshl_add_u32 v1, v0, 3, 0x170
	s_mov_b32 s0, exec_lo
	v_cmpx_eq_u32_e32 44, v0
	s_cbranch_execz .LBB44_197
; %bb.196:
	scratch_load_b64 v[92:93], off, off offset:344
	v_mov_b64_e32 v[94:95], 0
	scratch_store_b64 off, v[94:95], off offset:344
	s_wait_loadcnt 0x0
	ds_store_b64 v1, v[92:93]
.LBB44_197:
	s_wait_xcnt 0x0
	s_or_b32 exec_lo, exec_lo, s0
	s_wait_storecnt_dscnt 0x0
	s_barrier_signal -1
	s_barrier_wait -1
	s_clause 0x1
	scratch_load_b64 v[92:93], off, off offset:352
	scratch_load_b64 v[94:95], off, off offset:344
	v_mov_b32_e32 v5, 0
	s_mov_b32 s0, exec_lo
	ds_load_b64 v[96:97], v5 offset:720
	s_wait_loadcnt_dscnt 0x100
	v_pk_mul_f32 v[98:99], v[96:97], v[92:93] op_sel:[1,1] op_sel_hi:[0,1]
	s_delay_alu instid0(VALU_DEP_1) | instskip(SKIP_1) | instid1(VALU_DEP_2)
	v_pk_fma_f32 v[100:101], v[96:97], v[92:93], v[98:99] op_sel_hi:[1,0,1]
	v_pk_fma_f32 v[92:93], v[96:97], v[92:93], v[98:99] neg_lo:[0,0,1] neg_hi:[0,0,1]
	v_mov_b32_e32 v93, v101
	s_delay_alu instid0(VALU_DEP_1) | instskip(SKIP_1) | instid1(VALU_DEP_1)
	v_pk_add_f32 v[92:93], v[92:93], 0 op_sel_hi:[1,0]
	s_wait_loadcnt 0x0
	v_pk_add_f32 v[92:93], v[94:95], v[92:93] neg_lo:[0,1] neg_hi:[0,1]
	scratch_store_b64 off, v[92:93], off offset:344
	s_wait_xcnt 0x0
	v_cmpx_lt_u32_e32 42, v0
	s_cbranch_execz .LBB44_199
; %bb.198:
	scratch_load_b64 v[92:93], off, off offset:336
	v_mov_b64_e32 v[94:95], 0
	scratch_store_b64 off, v[94:95], off offset:336
	s_wait_loadcnt 0x0
	ds_store_b64 v1, v[92:93]
.LBB44_199:
	s_wait_xcnt 0x0
	s_or_b32 exec_lo, exec_lo, s0
	s_wait_storecnt_dscnt 0x0
	s_barrier_signal -1
	s_barrier_wait -1
	s_clause 0x1
	scratch_load_b128 v[92:95], off, off offset:344
	scratch_load_b64 v[100:101], off, off offset:336
	ds_load_2addr_b64 v[96:99], v5 offset0:89 offset1:90
	s_mov_b32 s0, exec_lo
	s_wait_dscnt 0x0
	v_dual_mov_b32 v102, v99 :: v_dual_mov_b32 v103, v98
	s_wait_loadcnt 0x1
	v_pk_mul_f32 v[104:105], v[96:97], v[92:93] op_sel:[1,1] op_sel_hi:[0,1]
	s_delay_alu instid0(VALU_DEP_1) | instskip(SKIP_2) | instid1(VALU_DEP_3)
	v_pk_fma_f32 v[108:109], v[96:97], v[92:93], v[104:105] op_sel_hi:[1,0,1]
	v_mov_b32_e32 v106, v95
	v_pk_fma_f32 v[92:93], v[96:97], v[92:93], v[104:105] neg_lo:[0,0,1] neg_hi:[0,0,1]
	v_mov_b32_e32 v93, v109
	s_delay_alu instid0(VALU_DEP_3) | instskip(NEXT) | instid1(VALU_DEP_2)
	v_pk_mul_f32 v[102:103], v[102:103], v[106:107] op_sel_hi:[1,0]
	v_pk_add_f32 v[92:93], v[92:93], 0 op_sel_hi:[1,0]
	s_delay_alu instid0(VALU_DEP_2) | instskip(SKIP_1) | instid1(VALU_DEP_2)
	v_pk_fma_f32 v[96:97], v[98:99], v[94:95], v[102:103] op_sel_hi:[1,0,1]
	v_pk_fma_f32 v[94:95], v[98:99], v[94:95], v[102:103] neg_lo:[0,0,1] neg_hi:[0,0,1]
	v_mov_b32_e32 v95, v97
	s_delay_alu instid0(VALU_DEP_1) | instskip(SKIP_1) | instid1(VALU_DEP_1)
	v_pk_add_f32 v[92:93], v[92:93], v[94:95]
	s_wait_loadcnt 0x0
	v_pk_add_f32 v[92:93], v[100:101], v[92:93] neg_lo:[0,1] neg_hi:[0,1]
	scratch_store_b64 off, v[92:93], off offset:336
	s_wait_xcnt 0x0
	v_cmpx_lt_u32_e32 41, v0
	s_cbranch_execz .LBB44_201
; %bb.200:
	scratch_load_b64 v[92:93], off, off offset:328
	v_mov_b64_e32 v[94:95], 0
	scratch_store_b64 off, v[94:95], off offset:328
	s_wait_loadcnt 0x0
	ds_store_b64 v1, v[92:93]
.LBB44_201:
	s_wait_xcnt 0x0
	s_or_b32 exec_lo, exec_lo, s0
	s_wait_storecnt_dscnt 0x0
	s_barrier_signal -1
	s_barrier_wait -1
	s_clause 0x2
	scratch_load_b128 v[92:95], off, off offset:336
	scratch_load_b64 v[100:101], off, off offset:352
	scratch_load_b64 v[102:103], off, off offset:328
	v_mov_b32_e32 v5, 0
	ds_load_b128 v[96:99], v5 offset:704
	ds_load_b64 v[104:105], v5 offset:720
	s_mov_b32 s0, exec_lo
	s_wait_dscnt 0x1
	v_dual_mov_b32 v106, v99 :: v_dual_mov_b32 v107, v98
	s_wait_loadcnt 0x2
	v_mov_b32_e32 v110, v95
	v_pk_mul_f32 v[108:109], v[96:97], v[92:93] op_sel:[1,1] op_sel_hi:[0,1]
	s_delay_alu instid0(VALU_DEP_2) | instskip(NEXT) | instid1(VALU_DEP_2)
	v_pk_mul_f32 v[106:107], v[106:107], v[110:111] op_sel_hi:[1,0]
	v_pk_fma_f32 v[112:113], v[96:97], v[92:93], v[108:109] op_sel_hi:[1,0,1]
	v_pk_fma_f32 v[92:93], v[96:97], v[92:93], v[108:109] neg_lo:[0,0,1] neg_hi:[0,0,1]
	s_wait_loadcnt_dscnt 0x100
	v_pk_mul_f32 v[108:109], v[104:105], v[100:101] op_sel:[1,1] op_sel_hi:[0,1]
	v_pk_fma_f32 v[96:97], v[98:99], v[94:95], v[106:107] op_sel_hi:[1,0,1]
	v_mov_b32_e32 v93, v113
	v_pk_fma_f32 v[94:95], v[98:99], v[94:95], v[106:107] neg_lo:[0,0,1] neg_hi:[0,0,1]
	s_delay_alu instid0(VALU_DEP_4) | instskip(NEXT) | instid1(VALU_DEP_4)
	v_pk_fma_f32 v[98:99], v[104:105], v[100:101], v[108:109] neg_lo:[0,0,1] neg_hi:[0,0,1]
	v_mov_b32_e32 v95, v97
	s_delay_alu instid0(VALU_DEP_4) | instskip(SKIP_1) | instid1(VALU_DEP_2)
	v_pk_add_f32 v[92:93], v[92:93], 0 op_sel_hi:[1,0]
	v_pk_fma_f32 v[96:97], v[104:105], v[100:101], v[108:109] op_sel_hi:[1,0,1]
	v_pk_add_f32 v[92:93], v[92:93], v[94:95]
	s_delay_alu instid0(VALU_DEP_2) | instskip(NEXT) | instid1(VALU_DEP_1)
	v_mov_b32_e32 v99, v97
	v_pk_add_f32 v[92:93], v[92:93], v[98:99]
	s_wait_loadcnt 0x0
	s_delay_alu instid0(VALU_DEP_1)
	v_pk_add_f32 v[92:93], v[102:103], v[92:93] neg_lo:[0,1] neg_hi:[0,1]
	scratch_store_b64 off, v[92:93], off offset:328
	s_wait_xcnt 0x0
	v_cmpx_lt_u32_e32 40, v0
	s_cbranch_execz .LBB44_203
; %bb.202:
	scratch_load_b64 v[92:93], off, off offset:320
	v_mov_b64_e32 v[94:95], 0
	scratch_store_b64 off, v[94:95], off offset:320
	s_wait_loadcnt 0x0
	ds_store_b64 v1, v[92:93]
.LBB44_203:
	s_wait_xcnt 0x0
	s_or_b32 exec_lo, exec_lo, s0
	s_wait_storecnt_dscnt 0x0
	s_barrier_signal -1
	s_barrier_wait -1
	s_clause 0x2
	scratch_load_b128 v[92:95], off, off offset:328
	scratch_load_b128 v[96:99], off, off offset:344
	scratch_load_b64 v[108:109], off, off offset:320
	ds_load_2addr_b64 v[100:103], v5 offset0:87 offset1:88
	ds_load_2addr_b64 v[104:107], v5 offset0:89 offset1:90
	s_mov_b32 s0, exec_lo
	s_wait_dscnt 0x1
	v_dual_mov_b32 v110, v103 :: v_dual_mov_b32 v111, v102
	s_wait_loadcnt_dscnt 0x200
	v_dual_mov_b32 v116, v107 :: v_dual_mov_b32 v114, v95
	v_pk_mul_f32 v[112:113], v[100:101], v[92:93] op_sel:[1,1] op_sel_hi:[0,1]
	s_delay_alu instid0(VALU_DEP_2) | instskip(NEXT) | instid1(VALU_DEP_2)
	v_pk_mul_f32 v[110:111], v[110:111], v[114:115] op_sel_hi:[1,0]
	v_pk_fma_f32 v[118:119], v[100:101], v[92:93], v[112:113] op_sel_hi:[1,0,1]
	v_pk_fma_f32 v[92:93], v[100:101], v[92:93], v[112:113] neg_lo:[0,0,1] neg_hi:[0,0,1]
	v_mov_b32_e32 v117, v106
	s_wait_loadcnt 0x1
	v_pk_mul_f32 v[114:115], v[104:105], v[96:97] op_sel:[1,1] op_sel_hi:[0,1]
	v_pk_fma_f32 v[100:101], v[102:103], v[94:95], v[110:111] op_sel_hi:[1,0,1]
	v_dual_mov_b32 v93, v119 :: v_dual_mov_b32 v100, v99
	v_pk_fma_f32 v[94:95], v[102:103], v[94:95], v[110:111] neg_lo:[0,0,1] neg_hi:[0,0,1]
	s_delay_alu instid0(VALU_DEP_4) | instskip(NEXT) | instid1(VALU_DEP_4)
	v_pk_fma_f32 v[112:113], v[104:105], v[96:97], v[114:115] op_sel_hi:[1,0,1]
	v_mov_b32_e32 v95, v101
	s_delay_alu instid0(VALU_DEP_4) | instskip(SKIP_2) | instid1(VALU_DEP_3)
	v_pk_add_f32 v[92:93], v[92:93], 0 op_sel_hi:[1,0]
	v_pk_mul_f32 v[100:101], v[116:117], v[100:101] op_sel_hi:[1,0]
	v_pk_fma_f32 v[96:97], v[104:105], v[96:97], v[114:115] neg_lo:[0,0,1] neg_hi:[0,0,1]
	v_pk_add_f32 v[92:93], v[92:93], v[94:95]
	s_delay_alu instid0(VALU_DEP_3) | instskip(SKIP_2) | instid1(VALU_DEP_3)
	v_pk_fma_f32 v[94:95], v[106:107], v[98:99], v[100:101] op_sel_hi:[1,0,1]
	v_mov_b32_e32 v97, v113
	v_pk_fma_f32 v[98:99], v[106:107], v[98:99], v[100:101] neg_lo:[0,0,1] neg_hi:[0,0,1]
	v_mov_b32_e32 v99, v95
	s_delay_alu instid0(VALU_DEP_3) | instskip(NEXT) | instid1(VALU_DEP_1)
	v_pk_add_f32 v[92:93], v[92:93], v[96:97]
	v_pk_add_f32 v[92:93], v[92:93], v[98:99]
	s_wait_loadcnt 0x0
	s_delay_alu instid0(VALU_DEP_1)
	v_pk_add_f32 v[92:93], v[108:109], v[92:93] neg_lo:[0,1] neg_hi:[0,1]
	scratch_store_b64 off, v[92:93], off offset:320
	s_wait_xcnt 0x0
	v_cmpx_lt_u32_e32 39, v0
	s_cbranch_execz .LBB44_205
; %bb.204:
	scratch_load_b64 v[92:93], off, off offset:312
	v_mov_b64_e32 v[94:95], 0
	scratch_store_b64 off, v[94:95], off offset:312
	s_wait_loadcnt 0x0
	ds_store_b64 v1, v[92:93]
.LBB44_205:
	s_wait_xcnt 0x0
	s_or_b32 exec_lo, exec_lo, s0
	s_wait_storecnt_dscnt 0x0
	s_barrier_signal -1
	s_barrier_wait -1
	s_clause 0x3
	scratch_load_b128 v[92:95], off, off offset:320
	scratch_load_b128 v[96:99], off, off offset:336
	scratch_load_b64 v[108:109], off, off offset:352
	scratch_load_b64 v[110:111], off, off offset:312
	v_mov_b32_e32 v5, 0
	ds_load_b128 v[100:103], v5 offset:688
	ds_load_b128 v[104:107], v5 offset:704
	s_mov_b32 s0, exec_lo
	s_wait_dscnt 0x1
	v_dual_mov_b32 v112, v103 :: v_dual_mov_b32 v113, v102
	ds_load_b64 v[118:119], v5 offset:720
	s_wait_dscnt 0x1
	v_dual_mov_b32 v120, v107 :: v_dual_mov_b32 v121, v106
	s_wait_loadcnt 0x3
	v_pk_mul_f32 v[114:115], v[100:101], v[92:93] op_sel:[1,1] op_sel_hi:[0,1]
	v_mov_b32_e32 v116, v95
	s_delay_alu instid0(VALU_DEP_2) | instskip(NEXT) | instid1(VALU_DEP_2)
	v_pk_fma_f32 v[122:123], v[100:101], v[92:93], v[114:115] op_sel_hi:[1,0,1]
	v_pk_mul_f32 v[112:113], v[112:113], v[116:117] op_sel_hi:[1,0]
	v_pk_fma_f32 v[92:93], v[100:101], v[92:93], v[114:115] neg_lo:[0,0,1] neg_hi:[0,0,1]
	s_wait_loadcnt 0x2
	v_pk_mul_f32 v[116:117], v[104:105], v[96:97] op_sel:[1,1] op_sel_hi:[0,1]
	v_dual_mov_b32 v122, v99 :: v_dual_mov_b32 v93, v123
	v_pk_fma_f32 v[100:101], v[102:103], v[94:95], v[112:113] op_sel_hi:[1,0,1]
	v_pk_fma_f32 v[94:95], v[102:103], v[94:95], v[112:113] neg_lo:[0,0,1] neg_hi:[0,0,1]
	s_delay_alu instid0(VALU_DEP_4) | instskip(NEXT) | instid1(VALU_DEP_4)
	v_pk_fma_f32 v[114:115], v[104:105], v[96:97], v[116:117] op_sel_hi:[1,0,1]
	v_pk_mul_f32 v[120:121], v[120:121], v[122:123] op_sel_hi:[1,0]
	v_pk_add_f32 v[92:93], v[92:93], 0 op_sel_hi:[1,0]
	v_mov_b32_e32 v95, v101
	v_pk_fma_f32 v[96:97], v[104:105], v[96:97], v[116:117] neg_lo:[0,0,1] neg_hi:[0,0,1]
	v_mov_b32_e32 v97, v115
	v_pk_fma_f32 v[100:101], v[106:107], v[98:99], v[120:121] op_sel_hi:[1,0,1]
	v_pk_fma_f32 v[98:99], v[106:107], v[98:99], v[120:121] neg_lo:[0,0,1] neg_hi:[0,0,1]
	v_pk_add_f32 v[92:93], v[92:93], v[94:95]
	s_wait_loadcnt_dscnt 0x100
	v_pk_mul_f32 v[94:95], v[118:119], v[108:109] op_sel:[1,1] op_sel_hi:[0,1]
	s_delay_alu instid0(VALU_DEP_2) | instskip(NEXT) | instid1(VALU_DEP_2)
	v_pk_add_f32 v[92:93], v[92:93], v[96:97]
	v_pk_fma_f32 v[96:97], v[118:119], v[108:109], v[94:95] op_sel_hi:[1,0,1]
	v_mov_b32_e32 v99, v101
	v_pk_fma_f32 v[94:95], v[118:119], v[108:109], v[94:95] neg_lo:[0,0,1] neg_hi:[0,0,1]
	s_delay_alu instid0(VALU_DEP_3) | instskip(NEXT) | instid1(VALU_DEP_3)
	v_mov_b32_e32 v95, v97
	v_pk_add_f32 v[92:93], v[92:93], v[98:99]
	s_delay_alu instid0(VALU_DEP_1) | instskip(SKIP_1) | instid1(VALU_DEP_1)
	v_pk_add_f32 v[92:93], v[92:93], v[94:95]
	s_wait_loadcnt 0x0
	v_pk_add_f32 v[92:93], v[110:111], v[92:93] neg_lo:[0,1] neg_hi:[0,1]
	scratch_store_b64 off, v[92:93], off offset:312
	s_wait_xcnt 0x0
	v_cmpx_lt_u32_e32 38, v0
	s_cbranch_execz .LBB44_207
; %bb.206:
	scratch_load_b64 v[92:93], off, off offset:304
	v_mov_b64_e32 v[94:95], 0
	scratch_store_b64 off, v[94:95], off offset:304
	s_wait_loadcnt 0x0
	ds_store_b64 v1, v[92:93]
.LBB44_207:
	s_wait_xcnt 0x0
	s_or_b32 exec_lo, exec_lo, s0
	s_wait_storecnt_dscnt 0x0
	s_barrier_signal -1
	s_barrier_wait -1
	s_clause 0x3
	scratch_load_b128 v[92:95], off, off offset:312
	scratch_load_b128 v[96:99], off, off offset:328
	;; [unrolled: 1-line block ×3, first 2 shown]
	scratch_load_b64 v[116:117], off, off offset:304
	ds_load_2addr_b64 v[104:107], v5 offset0:85 offset1:86
	ds_load_2addr_b64 v[108:111], v5 offset0:87 offset1:88
	;; [unrolled: 1-line block ×3, first 2 shown]
	s_mov_b32 s0, exec_lo
	s_wait_dscnt 0x2
	v_dual_mov_b32 v118, v107 :: v_dual_mov_b32 v119, v106
	s_wait_dscnt 0x1
	v_dual_mov_b32 v120, v111 :: v_dual_mov_b32 v121, v110
	;; [unrolled: 2-line block ×3, first 2 shown]
	s_wait_loadcnt 0x3
	v_pk_mul_f32 v[122:123], v[104:105], v[92:93] op_sel:[1,1] op_sel_hi:[0,1]
	v_mov_b32_e32 v124, v95
	s_delay_alu instid0(VALU_DEP_2) | instskip(NEXT) | instid1(VALU_DEP_2)
	v_pk_fma_f32 v[128:129], v[104:105], v[92:93], v[122:123] op_sel_hi:[1,0,1]
	v_pk_mul_f32 v[118:119], v[118:119], v[124:125] op_sel_hi:[1,0]
	v_pk_fma_f32 v[92:93], v[104:105], v[92:93], v[122:123] neg_lo:[0,0,1] neg_hi:[0,0,1]
	s_wait_loadcnt 0x2
	v_pk_mul_f32 v[124:125], v[108:109], v[96:97] op_sel:[1,1] op_sel_hi:[0,1]
	v_mov_b32_e32 v128, v99
	v_pk_fma_f32 v[104:105], v[106:107], v[94:95], v[118:119] op_sel_hi:[1,0,1]
	v_mov_b32_e32 v93, v129
	v_pk_fma_f32 v[94:95], v[106:107], v[94:95], v[118:119] neg_lo:[0,0,1] neg_hi:[0,0,1]
	v_pk_fma_f32 v[122:123], v[108:109], v[96:97], v[124:125] op_sel_hi:[1,0,1]
	v_pk_mul_f32 v[120:121], v[120:121], v[128:129] op_sel_hi:[1,0]
	v_mov_b32_e32 v95, v105
	v_pk_add_f32 v[92:93], v[92:93], 0 op_sel_hi:[1,0]
	v_pk_fma_f32 v[96:97], v[108:109], v[96:97], v[124:125] neg_lo:[0,0,1] neg_hi:[0,0,1]
	s_wait_loadcnt 0x1
	v_pk_mul_f32 v[104:105], v[112:113], v[100:101] op_sel:[1,1] op_sel_hi:[0,1]
	v_mov_b32_e32 v97, v123
	v_pk_fma_f32 v[106:107], v[110:111], v[98:99], v[120:121] op_sel_hi:[1,0,1]
	v_pk_add_f32 v[92:93], v[92:93], v[94:95]
	v_mov_b32_e32 v94, v103
	v_pk_fma_f32 v[98:99], v[110:111], v[98:99], v[120:121] neg_lo:[0,0,1] neg_hi:[0,0,1]
	v_pk_fma_f32 v[108:109], v[112:113], v[100:101], v[104:105] op_sel_hi:[1,0,1]
	v_mov_b32_e32 v99, v107
	v_pk_add_f32 v[92:93], v[92:93], v[96:97]
	v_pk_mul_f32 v[94:95], v[126:127], v[94:95] op_sel_hi:[1,0]
	v_pk_fma_f32 v[96:97], v[112:113], v[100:101], v[104:105] neg_lo:[0,0,1] neg_hi:[0,0,1]
	v_mov_b32_e32 v97, v109
	s_delay_alu instid0(VALU_DEP_4) | instskip(NEXT) | instid1(VALU_DEP_4)
	v_pk_add_f32 v[92:93], v[92:93], v[98:99]
	v_pk_fma_f32 v[98:99], v[114:115], v[102:103], v[94:95] op_sel_hi:[1,0,1]
	v_pk_fma_f32 v[94:95], v[114:115], v[102:103], v[94:95] neg_lo:[0,0,1] neg_hi:[0,0,1]
	s_delay_alu instid0(VALU_DEP_3) | instskip(NEXT) | instid1(VALU_DEP_3)
	v_pk_add_f32 v[92:93], v[92:93], v[96:97]
	v_mov_b32_e32 v95, v99
	s_delay_alu instid0(VALU_DEP_1) | instskip(SKIP_1) | instid1(VALU_DEP_1)
	v_pk_add_f32 v[92:93], v[92:93], v[94:95]
	s_wait_loadcnt 0x0
	v_pk_add_f32 v[92:93], v[116:117], v[92:93] neg_lo:[0,1] neg_hi:[0,1]
	scratch_store_b64 off, v[92:93], off offset:304
	s_wait_xcnt 0x0
	v_cmpx_lt_u32_e32 37, v0
	s_cbranch_execz .LBB44_209
; %bb.208:
	scratch_load_b64 v[92:93], off, off offset:296
	v_mov_b64_e32 v[94:95], 0
	scratch_store_b64 off, v[94:95], off offset:296
	s_wait_loadcnt 0x0
	ds_store_b64 v1, v[92:93]
.LBB44_209:
	s_wait_xcnt 0x0
	s_or_b32 exec_lo, exec_lo, s0
	s_wait_storecnt_dscnt 0x0
	s_barrier_signal -1
	s_barrier_wait -1
	s_clause 0x4
	scratch_load_b128 v[92:95], off, off offset:304
	scratch_load_b128 v[96:99], off, off offset:320
	;; [unrolled: 1-line block ×3, first 2 shown]
	scratch_load_b64 v[116:117], off, off offset:352
	scratch_load_b64 v[118:119], off, off offset:296
	v_mov_b32_e32 v5, 0
	ds_load_b128 v[104:107], v5 offset:672
	ds_load_b128 v[108:111], v5 offset:688
	;; [unrolled: 1-line block ×3, first 2 shown]
	ds_load_b64 v[120:121], v5 offset:720
	s_mov_b32 s0, exec_lo
	s_wait_dscnt 0x3
	v_dual_mov_b32 v122, v107 :: v_dual_mov_b32 v123, v106
	s_wait_dscnt 0x2
	v_dual_mov_b32 v124, v111 :: v_dual_mov_b32 v125, v110
	;; [unrolled: 2-line block ×3, first 2 shown]
	s_wait_loadcnt 0x4
	v_pk_mul_f32 v[126:127], v[104:105], v[92:93] op_sel:[1,1] op_sel_hi:[0,1]
	v_mov_b32_e32 v128, v95
	s_wait_loadcnt 0x3
	v_pk_mul_f32 v[132:133], v[108:109], v[96:97] op_sel:[1,1] op_sel_hi:[0,1]
	s_wait_loadcnt 0x2
	v_pk_mul_f32 v[136:137], v[112:113], v[100:101] op_sel:[1,1] op_sel_hi:[0,1]
	v_pk_fma_f32 v[134:135], v[104:105], v[92:93], v[126:127] op_sel_hi:[1,0,1]
	v_pk_mul_f32 v[122:123], v[122:123], v[128:129] op_sel_hi:[1,0]
	v_pk_fma_f32 v[92:93], v[104:105], v[92:93], v[126:127] neg_lo:[0,0,1] neg_hi:[0,0,1]
	v_mov_b32_e32 v128, v99
	v_pk_fma_f32 v[126:127], v[108:109], v[96:97], v[132:133] op_sel_hi:[1,0,1]
	v_mov_b32_e32 v93, v135
	v_pk_fma_f32 v[104:105], v[106:107], v[94:95], v[122:123] op_sel_hi:[1,0,1]
	v_pk_fma_f32 v[94:95], v[106:107], v[94:95], v[122:123] neg_lo:[0,0,1] neg_hi:[0,0,1]
	v_pk_mul_f32 v[124:125], v[124:125], v[128:129] op_sel_hi:[1,0]
	v_pk_fma_f32 v[96:97], v[108:109], v[96:97], v[132:133] neg_lo:[0,0,1] neg_hi:[0,0,1]
	v_pk_add_f32 v[92:93], v[92:93], 0 op_sel_hi:[1,0]
	v_dual_mov_b32 v95, v105 :: v_dual_mov_b32 v104, v103
	s_delay_alu instid0(VALU_DEP_4) | instskip(SKIP_2) | instid1(VALU_DEP_4)
	v_pk_fma_f32 v[106:107], v[110:111], v[98:99], v[124:125] op_sel_hi:[1,0,1]
	v_mov_b32_e32 v97, v127
	v_pk_fma_f32 v[98:99], v[110:111], v[98:99], v[124:125] neg_lo:[0,0,1] neg_hi:[0,0,1]
	v_pk_add_f32 v[92:93], v[92:93], v[94:95]
	v_pk_fma_f32 v[94:95], v[112:113], v[100:101], v[136:137] op_sel_hi:[1,0,1]
	v_pk_mul_f32 v[104:105], v[130:131], v[104:105] op_sel_hi:[1,0]
	v_mov_b32_e32 v99, v107
	s_delay_alu instid0(VALU_DEP_4)
	v_pk_add_f32 v[92:93], v[92:93], v[96:97]
	v_pk_fma_f32 v[96:97], v[112:113], v[100:101], v[136:137] neg_lo:[0,0,1] neg_hi:[0,0,1]
	v_mov_b32_e32 v97, v95
	v_pk_fma_f32 v[94:95], v[114:115], v[102:103], v[104:105] op_sel_hi:[1,0,1]
	v_pk_fma_f32 v[100:101], v[114:115], v[102:103], v[104:105] neg_lo:[0,0,1] neg_hi:[0,0,1]
	v_pk_add_f32 v[92:93], v[92:93], v[98:99]
	s_wait_loadcnt_dscnt 0x100
	v_pk_mul_f32 v[98:99], v[120:121], v[116:117] op_sel:[1,1] op_sel_hi:[0,1]
	v_mov_b32_e32 v101, v95
	s_delay_alu instid0(VALU_DEP_3) | instskip(NEXT) | instid1(VALU_DEP_3)
	v_pk_add_f32 v[92:93], v[92:93], v[96:97]
	v_pk_fma_f32 v[94:95], v[120:121], v[116:117], v[98:99] op_sel_hi:[1,0,1]
	v_pk_fma_f32 v[96:97], v[120:121], v[116:117], v[98:99] neg_lo:[0,0,1] neg_hi:[0,0,1]
	s_delay_alu instid0(VALU_DEP_3) | instskip(NEXT) | instid1(VALU_DEP_3)
	v_pk_add_f32 v[92:93], v[92:93], v[100:101]
	v_mov_b32_e32 v97, v95
	s_delay_alu instid0(VALU_DEP_1) | instskip(SKIP_1) | instid1(VALU_DEP_1)
	v_pk_add_f32 v[92:93], v[92:93], v[96:97]
	s_wait_loadcnt 0x0
	v_pk_add_f32 v[92:93], v[118:119], v[92:93] neg_lo:[0,1] neg_hi:[0,1]
	scratch_store_b64 off, v[92:93], off offset:296
	s_wait_xcnt 0x0
	v_cmpx_lt_u32_e32 36, v0
	s_cbranch_execz .LBB44_211
; %bb.210:
	scratch_load_b64 v[92:93], off, off offset:288
	v_mov_b64_e32 v[94:95], 0
	scratch_store_b64 off, v[94:95], off offset:288
	s_wait_loadcnt 0x0
	ds_store_b64 v1, v[92:93]
.LBB44_211:
	s_wait_xcnt 0x0
	s_or_b32 exec_lo, exec_lo, s0
	s_wait_storecnt_dscnt 0x0
	s_barrier_signal -1
	s_barrier_wait -1
	s_clause 0x4
	scratch_load_b128 v[92:95], off, off offset:296
	scratch_load_b128 v[96:99], off, off offset:312
	;; [unrolled: 1-line block ×4, first 2 shown]
	scratch_load_b64 v[124:125], off, off offset:288
	ds_load_2addr_b64 v[108:111], v5 offset0:83 offset1:84
	ds_load_2addr_b64 v[112:115], v5 offset0:85 offset1:86
	;; [unrolled: 1-line block ×4, first 2 shown]
	s_mov_b32 s0, exec_lo
	s_wait_dscnt 0x3
	v_dual_mov_b32 v126, v111 :: v_dual_mov_b32 v127, v110
	s_wait_dscnt 0x2
	v_dual_mov_b32 v128, v115 :: v_dual_mov_b32 v129, v114
	s_wait_dscnt 0x0
	v_dual_mov_b32 v137, v122 :: v_dual_mov_b32 v130, v119
	v_dual_mov_b32 v131, v118 :: v_dual_mov_b32 v136, v123
	s_wait_loadcnt 0x4
	v_mov_b32_e32 v134, v95
	v_pk_mul_f32 v[132:133], v[108:109], v[92:93] op_sel:[1,1] op_sel_hi:[0,1]
	s_wait_loadcnt 0x3
	v_pk_mul_f32 v[138:139], v[112:113], v[96:97] op_sel:[1,1] op_sel_hi:[0,1]
	s_wait_loadcnt 0x2
	v_pk_mul_f32 v[142:143], v[116:117], v[100:101] op_sel:[1,1] op_sel_hi:[0,1]
	v_pk_mul_f32 v[126:127], v[126:127], v[134:135] op_sel_hi:[1,0]
	v_pk_fma_f32 v[140:141], v[108:109], v[92:93], v[132:133] op_sel_hi:[1,0,1]
	v_pk_fma_f32 v[92:93], v[108:109], v[92:93], v[132:133] neg_lo:[0,0,1] neg_hi:[0,0,1]
	v_mov_b32_e32 v134, v99
	v_pk_fma_f32 v[132:133], v[112:113], v[96:97], v[138:139] op_sel_hi:[1,0,1]
	v_pk_fma_f32 v[108:109], v[110:111], v[94:95], v[126:127] op_sel_hi:[1,0,1]
	v_mov_b32_e32 v93, v141
	v_pk_fma_f32 v[94:95], v[110:111], v[94:95], v[126:127] neg_lo:[0,0,1] neg_hi:[0,0,1]
	v_pk_mul_f32 v[128:129], v[128:129], v[134:135] op_sel_hi:[1,0]
	s_delay_alu instid0(VALU_DEP_4) | instskip(NEXT) | instid1(VALU_DEP_4)
	v_dual_mov_b32 v108, v103 :: v_dual_mov_b32 v95, v109
	v_pk_add_f32 v[92:93], v[92:93], 0 op_sel_hi:[1,0]
	v_pk_fma_f32 v[96:97], v[112:113], v[96:97], v[138:139] neg_lo:[0,0,1] neg_hi:[0,0,1]
	v_mov_b32_e32 v97, v133
	v_pk_fma_f32 v[110:111], v[114:115], v[98:99], v[128:129] op_sel_hi:[1,0,1]
	v_pk_mul_f32 v[108:109], v[130:131], v[108:109] op_sel_hi:[1,0]
	v_pk_add_f32 v[92:93], v[92:93], v[94:95]
	v_pk_fma_f32 v[94:95], v[116:117], v[100:101], v[142:143] op_sel_hi:[1,0,1]
	v_pk_fma_f32 v[98:99], v[114:115], v[98:99], v[128:129] neg_lo:[0,0,1] neg_hi:[0,0,1]
	v_mov_b32_e32 v99, v111
	v_pk_fma_f32 v[100:101], v[116:117], v[100:101], v[142:143] neg_lo:[0,0,1] neg_hi:[0,0,1]
	v_pk_add_f32 v[92:93], v[92:93], v[96:97]
	v_mov_b32_e32 v101, v95
	v_pk_fma_f32 v[94:95], v[118:119], v[102:103], v[108:109] op_sel_hi:[1,0,1]
	s_wait_loadcnt 0x1
	v_pk_mul_f32 v[96:97], v[120:121], v[104:105] op_sel:[1,1] op_sel_hi:[0,1]
	v_mov_b32_e32 v94, v107
	v_pk_add_f32 v[92:93], v[92:93], v[98:99]
	v_pk_fma_f32 v[102:103], v[118:119], v[102:103], v[108:109] neg_lo:[0,0,1] neg_hi:[0,0,1]
	v_mov_b32_e32 v103, v95
	v_pk_fma_f32 v[98:99], v[120:121], v[104:105], v[96:97] op_sel_hi:[1,0,1]
	v_pk_mul_f32 v[94:95], v[136:137], v[94:95] op_sel_hi:[1,0]
	v_pk_add_f32 v[92:93], v[92:93], v[100:101]
	v_pk_fma_f32 v[96:97], v[120:121], v[104:105], v[96:97] neg_lo:[0,0,1] neg_hi:[0,0,1]
	s_delay_alu instid0(VALU_DEP_4) | instskip(NEXT) | instid1(VALU_DEP_4)
	v_mov_b32_e32 v97, v99
	v_pk_fma_f32 v[98:99], v[122:123], v[106:107], v[94:95] op_sel_hi:[1,0,1]
	s_delay_alu instid0(VALU_DEP_4) | instskip(SKIP_1) | instid1(VALU_DEP_3)
	v_pk_add_f32 v[92:93], v[92:93], v[102:103]
	v_pk_fma_f32 v[94:95], v[122:123], v[106:107], v[94:95] neg_lo:[0,0,1] neg_hi:[0,0,1]
	v_mov_b32_e32 v95, v99
	s_delay_alu instid0(VALU_DEP_3) | instskip(NEXT) | instid1(VALU_DEP_1)
	v_pk_add_f32 v[92:93], v[92:93], v[96:97]
	v_pk_add_f32 v[92:93], v[92:93], v[94:95]
	s_wait_loadcnt 0x0
	s_delay_alu instid0(VALU_DEP_1)
	v_pk_add_f32 v[92:93], v[124:125], v[92:93] neg_lo:[0,1] neg_hi:[0,1]
	scratch_store_b64 off, v[92:93], off offset:288
	s_wait_xcnt 0x0
	v_cmpx_lt_u32_e32 35, v0
	s_cbranch_execz .LBB44_213
; %bb.212:
	scratch_load_b64 v[92:93], off, off offset:280
	v_mov_b64_e32 v[94:95], 0
	scratch_store_b64 off, v[94:95], off offset:280
	s_wait_loadcnt 0x0
	ds_store_b64 v1, v[92:93]
.LBB44_213:
	s_wait_xcnt 0x0
	s_or_b32 exec_lo, exec_lo, s0
	s_wait_storecnt_dscnt 0x0
	s_barrier_signal -1
	s_barrier_wait -1
	s_clause 0x5
	scratch_load_b128 v[92:95], off, off offset:288
	scratch_load_b128 v[96:99], off, off offset:304
	;; [unrolled: 1-line block ×4, first 2 shown]
	scratch_load_b64 v[124:125], off, off offset:352
	scratch_load_b64 v[126:127], off, off offset:280
	v_mov_b32_e32 v5, 0
	ds_load_b128 v[108:111], v5 offset:656
	ds_load_b128 v[112:115], v5 offset:672
	;; [unrolled: 1-line block ×4, first 2 shown]
	ds_load_b64 v[128:129], v5 offset:720
	s_mov_b32 s0, exec_lo
	s_wait_dscnt 0x4
	v_dual_mov_b32 v130, v111 :: v_dual_mov_b32 v131, v110
	s_wait_dscnt 0x1
	v_dual_mov_b32 v132, v115 :: v_dual_mov_b32 v137, v122
	v_dual_mov_b32 v133, v114 :: v_dual_mov_b32 v134, v119
	v_dual_mov_b32 v135, v118 :: v_dual_mov_b32 v136, v123
	s_wait_loadcnt 0x5
	v_dual_mov_b32 v138, v95 :: v_dual_mul_f32 v139, v108, v93
	v_mul_f32_e32 v7, v109, v93
	s_wait_loadcnt 0x4
	v_pk_mul_f32 v[140:141], v[112:113], v[96:97] op_sel:[1,1] op_sel_hi:[0,1]
	v_mov_b32_e32 v142, v99
	s_wait_loadcnt 0x3
	v_pk_mul_f32 v[144:145], v[116:117], v[100:101] op_sel:[1,1] op_sel_hi:[0,1]
	v_pk_mul_f32 v[130:131], v[130:131], v[138:139] op_sel_hi:[1,0]
	v_fmac_f32_e32 v139, v109, v92
	v_dual_fma_f32 v138, v108, v92, -v7 :: v_dual_mov_b32 v92, v103
	v_pk_fma_f32 v[146:147], v[112:113], v[96:97], v[140:141] op_sel_hi:[1,0,1]
	s_delay_alu instid0(VALU_DEP_4)
	v_pk_fma_f32 v[108:109], v[110:111], v[94:95], v[130:131] op_sel_hi:[1,0,1]
	v_pk_fma_f32 v[94:95], v[110:111], v[94:95], v[130:131] neg_lo:[0,0,1] neg_hi:[0,0,1]
	v_pk_mul_f32 v[132:133], v[132:133], v[142:143] op_sel_hi:[1,0]
	v_pk_add_f32 v[138:139], v[138:139], 0 op_sel_hi:[1,0]
	v_pk_fma_f32 v[96:97], v[112:113], v[96:97], v[140:141] neg_lo:[0,0,1] neg_hi:[0,0,1]
	v_dual_mov_b32 v95, v109 :: v_dual_mov_b32 v97, v147
	s_delay_alu instid0(VALU_DEP_4) | instskip(SKIP_2) | instid1(VALU_DEP_4)
	v_pk_fma_f32 v[110:111], v[114:115], v[98:99], v[132:133] op_sel_hi:[1,0,1]
	v_pk_fma_f32 v[98:99], v[114:115], v[98:99], v[132:133] neg_lo:[0,0,1] neg_hi:[0,0,1]
	v_pk_fma_f32 v[112:113], v[116:117], v[100:101], v[144:145] op_sel_hi:[1,0,1]
	v_pk_add_f32 v[94:95], v[138:139], v[94:95]
	v_pk_mul_f32 v[92:93], v[134:135], v[92:93] op_sel_hi:[1,0]
	v_mov_b32_e32 v99, v111
	v_pk_fma_f32 v[100:101], v[116:117], v[100:101], v[144:145] neg_lo:[0,0,1] neg_hi:[0,0,1]
	s_wait_loadcnt 0x2
	v_pk_mul_f32 v[108:109], v[120:121], v[104:105] op_sel:[1,1] op_sel_hi:[0,1]
	v_pk_add_f32 v[94:95], v[94:95], v[96:97]
	v_mov_b32_e32 v96, v107
	v_pk_fma_f32 v[110:111], v[118:119], v[102:103], v[92:93] op_sel_hi:[1,0,1]
	v_mov_b32_e32 v101, v113
	v_pk_fma_f32 v[92:93], v[118:119], v[102:103], v[92:93] neg_lo:[0,0,1] neg_hi:[0,0,1]
	v_pk_add_f32 v[94:95], v[94:95], v[98:99]
	v_pk_fma_f32 v[98:99], v[120:121], v[104:105], v[108:109] op_sel_hi:[1,0,1]
	v_pk_mul_f32 v[96:97], v[136:137], v[96:97] op_sel_hi:[1,0]
	v_mov_b32_e32 v93, v111
	s_delay_alu instid0(VALU_DEP_4)
	v_pk_add_f32 v[94:95], v[94:95], v[100:101]
	v_pk_fma_f32 v[100:101], v[120:121], v[104:105], v[108:109] neg_lo:[0,0,1] neg_hi:[0,0,1]
	v_mov_b32_e32 v101, v99
	v_pk_fma_f32 v[98:99], v[122:123], v[106:107], v[96:97] op_sel_hi:[1,0,1]
	v_pk_fma_f32 v[96:97], v[122:123], v[106:107], v[96:97] neg_lo:[0,0,1] neg_hi:[0,0,1]
	v_pk_add_f32 v[92:93], v[94:95], v[92:93]
	s_wait_loadcnt_dscnt 0x100
	v_pk_mul_f32 v[94:95], v[128:129], v[124:125] op_sel:[1,1] op_sel_hi:[0,1]
	v_mov_b32_e32 v97, v99
	s_delay_alu instid0(VALU_DEP_3) | instskip(NEXT) | instid1(VALU_DEP_3)
	v_pk_add_f32 v[92:93], v[92:93], v[100:101]
	v_pk_fma_f32 v[98:99], v[128:129], v[124:125], v[94:95] op_sel_hi:[1,0,1]
	v_pk_fma_f32 v[94:95], v[128:129], v[124:125], v[94:95] neg_lo:[0,0,1] neg_hi:[0,0,1]
	s_delay_alu instid0(VALU_DEP_3) | instskip(NEXT) | instid1(VALU_DEP_3)
	v_pk_add_f32 v[92:93], v[92:93], v[96:97]
	v_mov_b32_e32 v95, v99
	s_delay_alu instid0(VALU_DEP_1) | instskip(SKIP_1) | instid1(VALU_DEP_1)
	v_pk_add_f32 v[92:93], v[92:93], v[94:95]
	s_wait_loadcnt 0x0
	v_pk_add_f32 v[92:93], v[126:127], v[92:93] neg_lo:[0,1] neg_hi:[0,1]
	scratch_store_b64 off, v[92:93], off offset:280
	s_wait_xcnt 0x0
	v_cmpx_lt_u32_e32 34, v0
	s_cbranch_execz .LBB44_215
; %bb.214:
	scratch_load_b64 v[92:93], off, off offset:272
	v_mov_b64_e32 v[94:95], 0
	scratch_store_b64 off, v[94:95], off offset:272
	s_wait_loadcnt 0x0
	ds_store_b64 v1, v[92:93]
.LBB44_215:
	s_wait_xcnt 0x0
	s_or_b32 exec_lo, exec_lo, s0
	s_wait_storecnt_dscnt 0x0
	s_barrier_signal -1
	s_barrier_wait -1
	s_clause 0x5
	scratch_load_b128 v[92:95], off, off offset:280
	scratch_load_b128 v[96:99], off, off offset:296
	;; [unrolled: 1-line block ×5, first 2 shown]
	scratch_load_b64 v[132:133], off, off offset:272
	ds_load_2addr_b64 v[112:115], v5 offset0:83 offset1:84
	ds_load_2addr_b64 v[116:119], v5 offset0:85 offset1:86
	;; [unrolled: 1-line block ×5, first 2 shown]
	s_mov_b32 s0, exec_lo
	s_wait_dscnt 0x4
	v_dual_mov_b32 v134, v115 :: v_dual_mov_b32 v135, v114
	s_wait_dscnt 0x3
	v_dual_mov_b32 v136, v119 :: v_dual_mov_b32 v137, v118
	;; [unrolled: 2-line block ×4, first 2 shown]
	s_wait_loadcnt_dscnt 0x500
	v_dual_mul_f32 v143, v128, v93 :: v_dual_mul_f32 v145, v130, v95
	v_dual_mul_f32 v5, v129, v93 :: v_dual_mul_f32 v7, v131, v95
	s_wait_loadcnt 0x4
	v_pk_mul_f32 v[146:147], v[112:113], v[96:97] op_sel:[1,1] op_sel_hi:[0,1]
	s_wait_loadcnt 0x3
	v_dual_mov_b32 v148, v99 :: v_dual_mov_b32 v152, v103
	v_dual_fmac_f32 v143, v129, v92 :: v_dual_fma_f32 v142, v128, v92, -v5
	v_dual_fmac_f32 v145, v131, v94 :: v_dual_fma_f32 v144, v130, v94, -v7
	v_pk_fma_f32 v[92:93], v[112:113], v[96:97], v[146:147] op_sel_hi:[1,0,1]
	s_delay_alu instid0(VALU_DEP_4) | instskip(NEXT) | instid1(VALU_DEP_4)
	v_pk_mul_f32 v[94:95], v[134:135], v[148:149] op_sel_hi:[1,0]
	v_pk_add_f32 v[128:129], v[142:143], 0 op_sel_hi:[1,0]
	v_pk_fma_f32 v[96:97], v[112:113], v[96:97], v[146:147] neg_lo:[0,0,1] neg_hi:[0,0,1]
	v_pk_mul_f32 v[150:151], v[116:117], v[100:101] op_sel:[1,1] op_sel_hi:[0,1]
	v_mov_b32_e32 v97, v93
	v_pk_fma_f32 v[92:93], v[114:115], v[98:99], v[94:95] op_sel_hi:[1,0,1]
	v_pk_add_f32 v[112:113], v[128:129], v[144:145]
	v_pk_fma_f32 v[94:95], v[114:115], v[98:99], v[94:95] neg_lo:[0,0,1] neg_hi:[0,0,1]
	v_pk_fma_f32 v[128:129], v[116:117], v[100:101], v[150:151] op_sel_hi:[1,0,1]
	v_pk_mul_f32 v[134:135], v[136:137], v[152:153] op_sel_hi:[1,0]
	v_mov_b32_e32 v95, v93
	v_pk_add_f32 v[92:93], v[112:113], v[96:97]
	s_wait_loadcnt 0x2
	v_pk_mul_f32 v[130:131], v[120:121], v[104:105] op_sel:[1,1] op_sel_hi:[0,1]
	v_mov_b32_e32 v96, v107
	v_pk_fma_f32 v[98:99], v[116:117], v[100:101], v[150:151] neg_lo:[0,0,1] neg_hi:[0,0,1]
	v_mov_b32_e32 v99, v129
	v_pk_fma_f32 v[100:101], v[118:119], v[102:103], v[134:135] op_sel_hi:[1,0,1]
	v_pk_add_f32 v[92:93], v[92:93], v[94:95]
	v_pk_fma_f32 v[94:95], v[120:121], v[104:105], v[130:131] op_sel_hi:[1,0,1]
	v_pk_mul_f32 v[96:97], v[138:139], v[96:97] op_sel_hi:[1,0]
	v_pk_fma_f32 v[102:103], v[118:119], v[102:103], v[134:135] neg_lo:[0,0,1] neg_hi:[0,0,1]
	v_mov_b32_e32 v103, v101
	v_pk_add_f32 v[92:93], v[92:93], v[98:99]
	v_pk_fma_f32 v[100:101], v[120:121], v[104:105], v[130:131] neg_lo:[0,0,1] neg_hi:[0,0,1]
	v_mov_b32_e32 v101, v95
	v_pk_fma_f32 v[94:95], v[122:123], v[106:107], v[96:97] op_sel_hi:[1,0,1]
	s_wait_loadcnt 0x1
	v_pk_mul_f32 v[98:99], v[124:125], v[108:109] op_sel:[1,1] op_sel_hi:[0,1]
	v_pk_add_f32 v[92:93], v[92:93], v[102:103]
	v_mov_b32_e32 v94, v111
	v_pk_fma_f32 v[96:97], v[122:123], v[106:107], v[96:97] neg_lo:[0,0,1] neg_hi:[0,0,1]
	v_mov_b32_e32 v97, v95
	v_pk_fma_f32 v[102:103], v[124:125], v[108:109], v[98:99] op_sel_hi:[1,0,1]
	v_pk_add_f32 v[92:93], v[92:93], v[100:101]
	v_pk_mul_f32 v[94:95], v[140:141], v[94:95] op_sel_hi:[1,0]
	v_pk_fma_f32 v[98:99], v[124:125], v[108:109], v[98:99] neg_lo:[0,0,1] neg_hi:[0,0,1]
	s_delay_alu instid0(VALU_DEP_3) | instskip(NEXT) | instid1(VALU_DEP_3)
	v_pk_add_f32 v[92:93], v[92:93], v[96:97]
	v_pk_fma_f32 v[96:97], v[126:127], v[110:111], v[94:95] op_sel_hi:[1,0,1]
	v_mov_b32_e32 v99, v103
	v_pk_fma_f32 v[94:95], v[126:127], v[110:111], v[94:95] neg_lo:[0,0,1] neg_hi:[0,0,1]
	s_delay_alu instid0(VALU_DEP_3) | instskip(NEXT) | instid1(VALU_DEP_3)
	v_mov_b32_e32 v95, v97
	v_pk_add_f32 v[92:93], v[92:93], v[98:99]
	s_delay_alu instid0(VALU_DEP_1) | instskip(SKIP_1) | instid1(VALU_DEP_1)
	v_pk_add_f32 v[92:93], v[92:93], v[94:95]
	s_wait_loadcnt 0x0
	v_pk_add_f32 v[92:93], v[132:133], v[92:93] neg_lo:[0,1] neg_hi:[0,1]
	scratch_store_b64 off, v[92:93], off offset:272
	s_wait_xcnt 0x0
	v_cmpx_lt_u32_e32 33, v0
	s_cbranch_execz .LBB44_217
; %bb.216:
	scratch_load_b64 v[92:93], off, off offset:264
	v_mov_b64_e32 v[94:95], 0
	scratch_store_b64 off, v[94:95], off offset:264
	s_wait_loadcnt 0x0
	ds_store_b64 v1, v[92:93]
.LBB44_217:
	s_wait_xcnt 0x0
	s_or_b32 exec_lo, exec_lo, s0
	s_wait_storecnt_dscnt 0x0
	s_barrier_signal -1
	s_barrier_wait -1
	s_clause 0x6
	scratch_load_b128 v[92:95], off, off offset:272
	scratch_load_b128 v[96:99], off, off offset:288
	;; [unrolled: 1-line block ×5, first 2 shown]
	scratch_load_b64 v[132:133], off, off offset:352
	scratch_load_b64 v[134:135], off, off offset:264
	v_mov_b32_e32 v5, 0
	ds_load_b128 v[112:115], v5 offset:656
	ds_load_b128 v[116:119], v5 offset:672
	;; [unrolled: 1-line block ×5, first 2 shown]
	ds_load_b64 v[136:137], v5 offset:720
	s_mov_b32 s0, exec_lo
	s_wait_dscnt 0x5
	v_dual_mov_b32 v138, v115 :: v_dual_mov_b32 v139, v114
	s_wait_dscnt 0x2
	v_dual_mov_b32 v140, v119 :: v_dual_mov_b32 v145, v126
	v_dual_mov_b32 v141, v118 :: v_dual_mov_b32 v142, v123
	;; [unrolled: 1-line block ×3, first 2 shown]
	s_wait_loadcnt_dscnt 0x601
	v_dual_mul_f32 v7, v128, v93 :: v_dual_mul_f32 v11, v129, v93
	v_dual_mul_f32 v13, v131, v95 :: v_dual_mul_f32 v147, v130, v95
	s_wait_loadcnt 0x5
	v_dual_mul_f32 v149, v112, v97 :: v_dual_mul_f32 v15, v113, v97
	s_wait_loadcnt 0x4
	v_dual_mov_b32 v148, v99 :: v_dual_mov_b32 v152, v103
	v_fmac_f32_e32 v7, v129, v92
	v_dual_fma_f32 v11, v128, v92, -v11 :: v_dual_fma_f32 v146, v130, v94, -v13
	v_fmac_f32_e32 v147, v131, v94
	s_delay_alu instid0(VALU_DEP_4) | instskip(NEXT) | instid1(VALU_DEP_4)
	v_pk_mul_f32 v[92:93], v[138:139], v[148:149] op_sel_hi:[1,0]
	v_add_f32_e32 v95, 0, v7
	s_wait_loadcnt 0x3
	v_dual_add_f32 v94, 0, v11 :: v_dual_mov_b32 v128, v107
	v_pk_mul_f32 v[150:151], v[116:117], v[100:101] op_sel:[1,1] op_sel_hi:[0,1]
	v_dual_fmac_f32 v149, v113, v96 :: v_dual_fma_f32 v148, v112, v96, -v15
	v_pk_fma_f32 v[96:97], v[114:115], v[98:99], v[92:93] op_sel_hi:[1,0,1]
	s_delay_alu instid0(VALU_DEP_4)
	v_pk_add_f32 v[94:95], v[94:95], v[146:147]
	v_pk_fma_f32 v[92:93], v[114:115], v[98:99], v[92:93] neg_lo:[0,0,1] neg_hi:[0,0,1]
	v_pk_fma_f32 v[112:113], v[116:117], v[100:101], v[150:151] op_sel_hi:[1,0,1]
	v_pk_mul_f32 v[130:131], v[140:141], v[152:153] op_sel_hi:[1,0]
	v_mov_b32_e32 v93, v97
	v_pk_add_f32 v[94:95], v[94:95], v[148:149]
	v_pk_fma_f32 v[98:99], v[116:117], v[100:101], v[150:151] neg_lo:[0,0,1] neg_hi:[0,0,1]
	v_pk_mul_f32 v[154:155], v[120:121], v[104:105] op_sel:[1,1] op_sel_hi:[0,1]
	v_mov_b32_e32 v99, v113
	v_pk_fma_f32 v[100:101], v[118:119], v[102:103], v[130:131] op_sel_hi:[1,0,1]
	v_pk_add_f32 v[92:93], v[94:95], v[92:93]
	v_pk_fma_f32 v[102:103], v[118:119], v[102:103], v[130:131] neg_lo:[0,0,1] neg_hi:[0,0,1]
	v_pk_fma_f32 v[94:95], v[120:121], v[104:105], v[154:155] op_sel_hi:[1,0,1]
	v_pk_mul_f32 v[112:113], v[142:143], v[128:129] op_sel_hi:[1,0]
	s_wait_loadcnt 0x2
	v_dual_mov_b32 v103, v101 :: v_dual_mov_b32 v94, v111
	v_pk_add_f32 v[92:93], v[92:93], v[98:99]
	v_pk_fma_f32 v[98:99], v[120:121], v[104:105], v[154:155] neg_lo:[0,0,1] neg_hi:[0,0,1]
	v_pk_mul_f32 v[96:97], v[124:125], v[108:109] op_sel:[1,1] op_sel_hi:[0,1]
	v_pk_fma_f32 v[100:101], v[122:123], v[106:107], v[112:113] op_sel_hi:[1,0,1]
	v_mov_b32_e32 v99, v95
	v_pk_add_f32 v[92:93], v[92:93], v[102:103]
	v_pk_fma_f32 v[104:105], v[122:123], v[106:107], v[112:113] neg_lo:[0,0,1] neg_hi:[0,0,1]
	v_pk_fma_f32 v[102:103], v[124:125], v[108:109], v[96:97] op_sel_hi:[1,0,1]
	v_pk_mul_f32 v[94:95], v[144:145], v[94:95] op_sel_hi:[1,0]
	v_mov_b32_e32 v105, v101
	v_pk_add_f32 v[92:93], v[92:93], v[98:99]
	v_pk_fma_f32 v[96:97], v[124:125], v[108:109], v[96:97] neg_lo:[0,0,1] neg_hi:[0,0,1]
	s_wait_loadcnt_dscnt 0x100
	v_pk_mul_f32 v[100:101], v[136:137], v[132:133] op_sel:[1,1] op_sel_hi:[0,1]
	v_pk_fma_f32 v[98:99], v[126:127], v[110:111], v[94:95] op_sel_hi:[1,0,1]
	v_mov_b32_e32 v97, v103
	v_pk_add_f32 v[92:93], v[92:93], v[104:105]
	v_pk_fma_f32 v[94:95], v[126:127], v[110:111], v[94:95] neg_lo:[0,0,1] neg_hi:[0,0,1]
	s_delay_alu instid0(VALU_DEP_4) | instskip(SKIP_1) | instid1(VALU_DEP_4)
	v_mov_b32_e32 v95, v99
	v_pk_fma_f32 v[98:99], v[136:137], v[132:133], v[100:101] neg_lo:[0,0,1] neg_hi:[0,0,1]
	v_pk_add_f32 v[92:93], v[92:93], v[96:97]
	v_pk_fma_f32 v[96:97], v[136:137], v[132:133], v[100:101] op_sel_hi:[1,0,1]
	s_delay_alu instid0(VALU_DEP_2) | instskip(NEXT) | instid1(VALU_DEP_2)
	v_pk_add_f32 v[92:93], v[92:93], v[94:95]
	v_mov_b32_e32 v99, v97
	s_delay_alu instid0(VALU_DEP_1) | instskip(SKIP_1) | instid1(VALU_DEP_1)
	v_pk_add_f32 v[92:93], v[92:93], v[98:99]
	s_wait_loadcnt 0x0
	v_pk_add_f32 v[92:93], v[134:135], v[92:93] neg_lo:[0,1] neg_hi:[0,1]
	scratch_store_b64 off, v[92:93], off offset:264
	s_wait_xcnt 0x0
	v_cmpx_lt_u32_e32 32, v0
	s_cbranch_execz .LBB44_219
; %bb.218:
	scratch_load_b64 v[92:93], off, off offset:256
	v_mov_b64_e32 v[94:95], 0
	scratch_store_b64 off, v[94:95], off offset:256
	s_wait_loadcnt 0x0
	ds_store_b64 v1, v[92:93]
.LBB44_219:
	s_wait_xcnt 0x0
	s_or_b32 exec_lo, exec_lo, s0
	s_wait_storecnt_dscnt 0x0
	s_barrier_signal -1
	s_barrier_wait -1
	s_clause 0x6
	scratch_load_b128 v[92:95], off, off offset:264
	scratch_load_b128 v[96:99], off, off offset:280
	;; [unrolled: 1-line block ×6, first 2 shown]
	scratch_load_b64 v[140:141], off, off offset:256
	ds_load_2addr_b64 v[116:119], v5 offset0:83 offset1:84
	ds_load_2addr_b64 v[120:123], v5 offset0:85 offset1:86
	;; [unrolled: 1-line block ×6, first 2 shown]
	s_mov_b32 s0, exec_lo
	s_wait_dscnt 0x5
	v_dual_mov_b32 v142, v119 :: v_dual_mov_b32 v143, v118
	s_wait_dscnt 0x4
	v_dual_mov_b32 v144, v123 :: v_dual_mov_b32 v145, v122
	;; [unrolled: 2-line block ×4, first 2 shown]
	s_wait_loadcnt_dscnt 0x601
	v_dual_mul_f32 v5, v132, v93 :: v_dual_mul_f32 v7, v134, v95
	v_dual_mul_f32 v11, v133, v93 :: v_dual_mul_f32 v13, v135, v95
	s_wait_loadcnt 0x4
	s_delay_alu instid0(VALU_DEP_2)
	v_dual_mov_b32 v156, v103 :: v_dual_fmac_f32 v5, v133, v92
	s_wait_dscnt 0x0
	v_dual_mul_f32 v151, v136, v97 :: v_dual_mul_f32 v153, v138, v99
	v_dual_fma_f32 v11, v132, v92, -v11 :: v_dual_fma_f32 v13, v134, v94, -v13
	v_dual_mul_f32 v15, v137, v97 :: v_dual_mul_f32 v17, v139, v99
	v_dual_fmac_f32 v7, v135, v94 :: v_dual_add_f32 v5, 0, v5
	s_wait_loadcnt 0x3
	s_delay_alu instid0(VALU_DEP_3)
	v_dual_add_f32 v11, 0, v11 :: v_dual_mov_b32 v94, v107
	v_pk_mul_f32 v[154:155], v[116:117], v[100:101] op_sel:[1,1] op_sel_hi:[0,1]
	v_pk_mul_f32 v[92:93], v[120:121], v[104:105] op_sel:[1,1] op_sel_hi:[0,1]
	v_fmac_f32_e32 v151, v137, v96
	v_dual_fma_f32 v150, v136, v96, -v15 :: v_dual_add_f32 v97, v5, v7
	v_add_f32_e32 v96, v11, v13
	v_fmac_f32_e32 v153, v139, v98
	v_fma_f32 v152, v138, v98, -v17
	v_pk_fma_f32 v[98:99], v[116:117], v[100:101], v[154:155] op_sel_hi:[1,0,1]
	v_pk_mul_f32 v[132:133], v[142:143], v[156:157] op_sel_hi:[1,0]
	v_pk_add_f32 v[96:97], v[96:97], v[150:151]
	v_pk_fma_f32 v[100:101], v[116:117], v[100:101], v[154:155] neg_lo:[0,0,1] neg_hi:[0,0,1]
	v_pk_fma_f32 v[116:117], v[120:121], v[104:105], v[92:93] op_sel_hi:[1,0,1]
	v_pk_fma_f32 v[92:93], v[120:121], v[104:105], v[92:93] neg_lo:[0,0,1] neg_hi:[0,0,1]
	v_mov_b32_e32 v101, v99
	v_pk_fma_f32 v[98:99], v[118:119], v[102:103], v[132:133] op_sel_hi:[1,0,1]
	v_pk_fma_f32 v[102:103], v[118:119], v[102:103], v[132:133] neg_lo:[0,0,1] neg_hi:[0,0,1]
	v_mov_b32_e32 v93, v117
	v_pk_add_f32 v[96:97], v[96:97], v[152:153]
	v_pk_mul_f32 v[94:95], v[144:145], v[94:95] op_sel_hi:[1,0]
	s_wait_loadcnt 0x2
	v_dual_mov_b32 v103, v99 :: v_dual_mov_b32 v98, v111
	v_pk_mul_f32 v[134:135], v[124:125], v[108:109] op_sel:[1,1] op_sel_hi:[0,1]
	v_pk_add_f32 v[96:97], v[96:97], v[100:101]
	v_pk_fma_f32 v[100:101], v[122:123], v[106:107], v[94:95] op_sel_hi:[1,0,1]
	v_pk_fma_f32 v[94:95], v[122:123], v[106:107], v[94:95] neg_lo:[0,0,1] neg_hi:[0,0,1]
	v_pk_mul_f32 v[98:99], v[146:147], v[98:99] op_sel_hi:[1,0]
	s_delay_alu instid0(VALU_DEP_4) | instskip(SKIP_3) | instid1(VALU_DEP_4)
	v_pk_add_f32 v[96:97], v[96:97], v[102:103]
	v_pk_fma_f32 v[102:103], v[124:125], v[108:109], v[134:135] op_sel_hi:[1,0,1]
	v_mov_b32_e32 v95, v101
	v_pk_fma_f32 v[100:101], v[124:125], v[108:109], v[134:135] neg_lo:[0,0,1] neg_hi:[0,0,1]
	v_pk_add_f32 v[92:93], v[96:97], v[92:93]
	s_wait_loadcnt 0x1
	v_pk_mul_f32 v[96:97], v[128:129], v[112:113] op_sel:[1,1] op_sel_hi:[0,1]
	v_mov_b32_e32 v101, v103
	v_pk_fma_f32 v[102:103], v[126:127], v[110:111], v[98:99] op_sel_hi:[1,0,1]
	v_pk_fma_f32 v[98:99], v[126:127], v[110:111], v[98:99] neg_lo:[0,0,1] neg_hi:[0,0,1]
	v_pk_add_f32 v[92:93], v[92:93], v[94:95]
	v_mov_b32_e32 v94, v115
	v_pk_fma_f32 v[104:105], v[128:129], v[112:113], v[96:97] op_sel_hi:[1,0,1]
	v_mov_b32_e32 v99, v103
	v_pk_fma_f32 v[96:97], v[128:129], v[112:113], v[96:97] neg_lo:[0,0,1] neg_hi:[0,0,1]
	v_pk_add_f32 v[92:93], v[92:93], v[100:101]
	v_pk_mul_f32 v[94:95], v[148:149], v[94:95] op_sel_hi:[1,0]
	s_delay_alu instid0(VALU_DEP_2) | instskip(NEXT) | instid1(VALU_DEP_2)
	v_pk_add_f32 v[92:93], v[92:93], v[98:99]
	v_pk_fma_f32 v[98:99], v[130:131], v[114:115], v[94:95] op_sel_hi:[1,0,1]
	v_mov_b32_e32 v97, v105
	v_pk_fma_f32 v[94:95], v[130:131], v[114:115], v[94:95] neg_lo:[0,0,1] neg_hi:[0,0,1]
	s_delay_alu instid0(VALU_DEP_3) | instskip(NEXT) | instid1(VALU_DEP_3)
	v_mov_b32_e32 v95, v99
	v_pk_add_f32 v[92:93], v[92:93], v[96:97]
	s_delay_alu instid0(VALU_DEP_1) | instskip(SKIP_1) | instid1(VALU_DEP_1)
	v_pk_add_f32 v[92:93], v[92:93], v[94:95]
	s_wait_loadcnt 0x0
	v_pk_add_f32 v[92:93], v[140:141], v[92:93] neg_lo:[0,1] neg_hi:[0,1]
	scratch_store_b64 off, v[92:93], off offset:256
	s_wait_xcnt 0x0
	v_cmpx_lt_u32_e32 31, v0
	s_cbranch_execz .LBB44_221
; %bb.220:
	scratch_load_b64 v[92:93], off, off offset:248
	v_mov_b64_e32 v[94:95], 0
	scratch_store_b64 off, v[94:95], off offset:248
	s_wait_loadcnt 0x0
	ds_store_b64 v1, v[92:93]
.LBB44_221:
	s_wait_xcnt 0x0
	s_or_b32 exec_lo, exec_lo, s0
	s_wait_storecnt_dscnt 0x0
	s_barrier_signal -1
	s_barrier_wait -1
	s_clause 0x7
	scratch_load_b128 v[92:95], off, off offset:256
	scratch_load_b128 v[96:99], off, off offset:272
	;; [unrolled: 1-line block ×6, first 2 shown]
	scratch_load_b64 v[140:141], off, off offset:352
	scratch_load_b64 v[142:143], off, off offset:248
	v_mov_b32_e32 v5, 0
	ds_load_b128 v[116:119], v5 offset:656
	ds_load_b128 v[120:123], v5 offset:672
	;; [unrolled: 1-line block ×6, first 2 shown]
	ds_load_b64 v[144:145], v5 offset:720
	s_mov_b32 s0, exec_lo
	s_wait_dscnt 0x6
	v_dual_mov_b32 v146, v119 :: v_dual_mov_b32 v147, v118
	s_wait_dscnt 0x3
	v_dual_mov_b32 v148, v123 :: v_dual_mov_b32 v153, v130
	v_dual_mov_b32 v149, v122 :: v_dual_mov_b32 v150, v127
	;; [unrolled: 1-line block ×3, first 2 shown]
	s_wait_loadcnt_dscnt 0x702
	v_dual_mul_f32 v7, v132, v93 :: v_dual_mul_f32 v15, v133, v93
	v_dual_mul_f32 v17, v135, v95 :: v_dual_mul_f32 v11, v134, v95
	s_wait_loadcnt_dscnt 0x601
	s_delay_alu instid0(VALU_DEP_2) | instskip(NEXT) | instid1(VALU_DEP_2)
	v_dual_mul_f32 v13, v136, v97 :: v_dual_fmac_f32 v7, v133, v92
	v_dual_fma_f32 v15, v132, v92, -v15 :: v_dual_fma_f32 v17, v134, v94, -v17
	s_wait_loadcnt 0x5
	v_dual_mul_f32 v155, v138, v99 :: v_dual_mul_f32 v157, v116, v101
	v_dual_mul_f32 v19, v137, v97 :: v_dual_mul_f32 v21, v139, v99
	v_dual_mul_f32 v23, v117, v101 :: v_dual_mov_b32 v156, v103
	s_wait_loadcnt 0x4
	v_mov_b32_e32 v92, v107
	v_dual_fmac_f32 v11, v135, v94 :: v_dual_add_f32 v7, 0, v7
	v_dual_add_f32 v15, 0, v15 :: v_dual_fmac_f32 v13, v137, v96
	v_fma_f32 v19, v136, v96, -v19
	v_pk_mul_f32 v[96:97], v[146:147], v[156:157] op_sel_hi:[1,0]
	s_delay_alu instid0(VALU_DEP_4) | instskip(NEXT) | instid1(VALU_DEP_4)
	v_add_f32_e32 v7, v7, v11
	v_dual_add_f32 v11, v15, v17 :: v_dual_fma_f32 v154, v138, v98, -v21
	v_dual_fmac_f32 v155, v139, v98 :: v_dual_fmac_f32 v157, v117, v100
	s_delay_alu instid0(VALU_DEP_3) | instskip(SKIP_1) | instid1(VALU_DEP_4)
	v_dual_add_f32 v99, v7, v13 :: v_dual_fma_f32 v156, v116, v100, -v23
	v_pk_fma_f32 v[100:101], v[118:119], v[102:103], v[96:97] op_sel_hi:[1,0,1]
	v_add_f32_e32 v98, v11, v19
	v_pk_fma_f32 v[96:97], v[118:119], v[102:103], v[96:97] neg_lo:[0,0,1] neg_hi:[0,0,1]
	v_pk_mul_f32 v[158:159], v[120:121], v[104:105] op_sel:[1,1] op_sel_hi:[0,1]
	v_pk_mul_f32 v[92:93], v[148:149], v[92:93] op_sel_hi:[1,0]
	v_mov_b32_e32 v97, v101
	v_pk_add_f32 v[98:99], v[98:99], v[154:155]
	s_wait_loadcnt 0x3
	v_pk_mul_f32 v[94:95], v[124:125], v[108:109] op_sel:[1,1] op_sel_hi:[0,1]
	v_pk_fma_f32 v[116:117], v[120:121], v[104:105], v[158:159] op_sel_hi:[1,0,1]
	v_pk_fma_f32 v[102:103], v[120:121], v[104:105], v[158:159] neg_lo:[0,0,1] neg_hi:[0,0,1]
	v_mov_b32_e32 v132, v111
	v_pk_add_f32 v[98:99], v[98:99], v[156:157]
	v_pk_fma_f32 v[104:105], v[122:123], v[106:107], v[92:93] op_sel_hi:[1,0,1]
	v_mov_b32_e32 v103, v117
	v_pk_fma_f32 v[92:93], v[122:123], v[106:107], v[92:93] neg_lo:[0,0,1] neg_hi:[0,0,1]
	v_pk_mul_f32 v[116:117], v[150:151], v[132:133] op_sel_hi:[1,0]
	v_pk_add_f32 v[96:97], v[98:99], v[96:97]
	v_pk_fma_f32 v[98:99], v[124:125], v[108:109], v[94:95] op_sel_hi:[1,0,1]
	s_wait_loadcnt 0x2
	v_dual_mov_b32 v93, v105 :: v_dual_mov_b32 v98, v115
	v_pk_fma_f32 v[94:95], v[124:125], v[108:109], v[94:95] neg_lo:[0,0,1] neg_hi:[0,0,1]
	v_pk_add_f32 v[96:97], v[96:97], v[102:103]
	v_pk_mul_f32 v[100:101], v[128:129], v[112:113] op_sel:[1,1] op_sel_hi:[0,1]
	v_pk_fma_f32 v[102:103], v[126:127], v[110:111], v[116:117] op_sel_hi:[1,0,1]
	v_mov_b32_e32 v95, v99
	v_pk_fma_f32 v[104:105], v[126:127], v[110:111], v[116:117] neg_lo:[0,0,1] neg_hi:[0,0,1]
	v_pk_add_f32 v[92:93], v[96:97], v[92:93]
	v_pk_fma_f32 v[96:97], v[128:129], v[112:113], v[100:101] op_sel_hi:[1,0,1]
	v_pk_mul_f32 v[98:99], v[152:153], v[98:99] op_sel_hi:[1,0]
	v_mov_b32_e32 v105, v103
	s_delay_alu instid0(VALU_DEP_4)
	v_pk_add_f32 v[92:93], v[92:93], v[94:95]
	v_pk_fma_f32 v[94:95], v[128:129], v[112:113], v[100:101] neg_lo:[0,0,1] neg_hi:[0,0,1]
	v_mov_b32_e32 v95, v97
	v_pk_fma_f32 v[96:97], v[130:131], v[114:115], v[98:99] op_sel_hi:[1,0,1]
	s_wait_loadcnt_dscnt 0x100
	v_pk_mul_f32 v[100:101], v[144:145], v[140:141] op_sel:[1,1] op_sel_hi:[0,1]
	v_pk_add_f32 v[92:93], v[92:93], v[104:105]
	v_pk_fma_f32 v[98:99], v[130:131], v[114:115], v[98:99] neg_lo:[0,0,1] neg_hi:[0,0,1]
	v_mov_b32_e32 v99, v97
	s_delay_alu instid0(VALU_DEP_4) | instskip(NEXT) | instid1(VALU_DEP_4)
	v_pk_fma_f32 v[96:97], v[144:145], v[140:141], v[100:101] neg_lo:[0,0,1] neg_hi:[0,0,1]
	v_pk_add_f32 v[92:93], v[92:93], v[94:95]
	v_pk_fma_f32 v[94:95], v[144:145], v[140:141], v[100:101] op_sel_hi:[1,0,1]
	s_delay_alu instid0(VALU_DEP_2) | instskip(NEXT) | instid1(VALU_DEP_2)
	v_pk_add_f32 v[92:93], v[92:93], v[98:99]
	v_mov_b32_e32 v97, v95
	s_delay_alu instid0(VALU_DEP_1) | instskip(SKIP_1) | instid1(VALU_DEP_1)
	v_pk_add_f32 v[92:93], v[92:93], v[96:97]
	s_wait_loadcnt 0x0
	v_pk_add_f32 v[92:93], v[142:143], v[92:93] neg_lo:[0,1] neg_hi:[0,1]
	scratch_store_b64 off, v[92:93], off offset:248
	s_wait_xcnt 0x0
	v_cmpx_lt_u32_e32 30, v0
	s_cbranch_execz .LBB44_223
; %bb.222:
	scratch_load_b64 v[92:93], off, off offset:240
	v_mov_b64_e32 v[94:95], 0
	scratch_store_b64 off, v[94:95], off offset:240
	s_wait_loadcnt 0x0
	ds_store_b64 v1, v[92:93]
.LBB44_223:
	s_wait_xcnt 0x0
	s_or_b32 exec_lo, exec_lo, s0
	s_wait_storecnt_dscnt 0x0
	s_barrier_signal -1
	s_barrier_wait -1
	s_clause 0x7
	scratch_load_b128 v[92:95], off, off offset:248
	scratch_load_b128 v[96:99], off, off offset:264
	;; [unrolled: 1-line block ×7, first 2 shown]
	scratch_load_b64 v[148:149], off, off offset:240
	ds_load_2addr_b64 v[120:123], v5 offset0:83 offset1:84
	ds_load_2addr_b64 v[124:127], v5 offset0:85 offset1:86
	;; [unrolled: 1-line block ×7, first 2 shown]
	s_mov_b32 s0, exec_lo
	s_wait_dscnt 0x6
	v_dual_mov_b32 v150, v123 :: v_dual_mov_b32 v151, v122
	s_wait_dscnt 0x5
	v_dual_mov_b32 v152, v127 :: v_dual_mov_b32 v153, v126
	;; [unrolled: 2-line block ×4, first 2 shown]
	s_wait_loadcnt_dscnt 0x702
	v_dual_mul_f32 v5, v136, v93 :: v_dual_mul_f32 v7, v138, v95
	v_dual_mul_f32 v15, v137, v93 :: v_dual_mul_f32 v17, v139, v95
	s_wait_loadcnt_dscnt 0x601
	v_dual_mul_f32 v11, v140, v97 :: v_dual_mul_f32 v13, v142, v99
	s_delay_alu instid0(VALU_DEP_2) | instskip(SKIP_2) | instid1(VALU_DEP_3)
	v_dual_fmac_f32 v5, v137, v92 :: v_dual_fma_f32 v15, v136, v92, -v15
	v_dual_mul_f32 v19, v141, v97 :: v_dual_mul_f32 v21, v143, v99
	v_dual_fmac_f32 v7, v139, v94 :: v_dual_fma_f32 v17, v138, v94, -v17
	v_dual_add_f32 v5, 0, v5 :: v_dual_add_f32 v15, 0, v15
	s_wait_loadcnt 0x4
	v_dual_mov_b32 v94, v107 :: v_dual_fmac_f32 v11, v141, v96
	s_delay_alu instid0(VALU_DEP_2) | instskip(NEXT) | instid1(VALU_DEP_3)
	v_dual_fma_f32 v19, v140, v96, -v19 :: v_dual_add_f32 v5, v5, v7
	v_dual_add_f32 v7, v15, v17 :: v_dual_fma_f32 v15, v142, v98, -v21
	s_wait_dscnt 0x0
	v_dual_mul_f32 v159, v144, v101 :: v_dual_mul_f32 v161, v146, v103
	v_dual_mul_f32 v23, v145, v101 :: v_dual_mul_f32 v25, v147, v103
	v_dual_fmac_f32 v13, v143, v98 :: v_dual_add_f32 v5, v5, v11
	s_delay_alu instid0(VALU_DEP_3)
	v_dual_add_f32 v7, v7, v19 :: v_dual_fmac_f32 v159, v145, v100
	v_pk_mul_f32 v[92:93], v[120:121], v[104:105] op_sel:[1,1] op_sel_hi:[0,1]
	s_wait_loadcnt 0x3
	v_pk_mul_f32 v[96:97], v[124:125], v[108:109] op_sel:[1,1] op_sel_hi:[0,1]
	v_dual_mov_b32 v98, v111 :: v_dual_fma_f32 v158, v144, v100, -v23
	v_dual_add_f32 v101, v5, v13 :: v_dual_add_f32 v100, v7, v15
	v_fmac_f32_e32 v161, v147, v102
	v_fma_f32 v160, v146, v102, -v25
	v_pk_fma_f32 v[102:103], v[120:121], v[104:105], v[92:93] op_sel_hi:[1,0,1]
	v_pk_mul_f32 v[94:95], v[150:151], v[94:95] op_sel_hi:[1,0]
	v_pk_add_f32 v[100:101], v[100:101], v[158:159]
	v_pk_fma_f32 v[92:93], v[120:121], v[104:105], v[92:93] neg_lo:[0,0,1] neg_hi:[0,0,1]
	v_pk_fma_f32 v[104:105], v[124:125], v[108:109], v[96:97] op_sel_hi:[1,0,1]
	v_pk_fma_f32 v[96:97], v[124:125], v[108:109], v[96:97] neg_lo:[0,0,1] neg_hi:[0,0,1]
	v_mov_b32_e32 v93, v103
	v_pk_fma_f32 v[102:103], v[122:123], v[106:107], v[94:95] op_sel_hi:[1,0,1]
	v_pk_fma_f32 v[94:95], v[122:123], v[106:107], v[94:95] neg_lo:[0,0,1] neg_hi:[0,0,1]
	v_mov_b32_e32 v97, v105
	v_pk_add_f32 v[100:101], v[100:101], v[160:161]
	v_pk_mul_f32 v[98:99], v[152:153], v[98:99] op_sel_hi:[1,0]
	v_mov_b32_e32 v95, v103
	s_wait_loadcnt 0x2
	v_pk_mul_f32 v[136:137], v[128:129], v[112:113] op_sel:[1,1] op_sel_hi:[0,1]
	v_pk_add_f32 v[92:93], v[100:101], v[92:93]
	v_mov_b32_e32 v100, v115
	v_pk_fma_f32 v[102:103], v[126:127], v[110:111], v[98:99] op_sel_hi:[1,0,1]
	v_pk_fma_f32 v[98:99], v[126:127], v[110:111], v[98:99] neg_lo:[0,0,1] neg_hi:[0,0,1]
	s_delay_alu instid0(VALU_DEP_4)
	v_pk_add_f32 v[92:93], v[92:93], v[94:95]
	v_pk_fma_f32 v[94:95], v[128:129], v[112:113], v[136:137] op_sel_hi:[1,0,1]
	v_pk_mul_f32 v[100:101], v[154:155], v[100:101] op_sel_hi:[1,0]
	v_mov_b32_e32 v99, v103
	v_pk_fma_f32 v[102:103], v[128:129], v[112:113], v[136:137] neg_lo:[0,0,1] neg_hi:[0,0,1]
	v_pk_add_f32 v[92:93], v[92:93], v[96:97]
	v_mov_b32_e32 v103, v95
	v_pk_fma_f32 v[94:95], v[130:131], v[114:115], v[100:101] op_sel_hi:[1,0,1]
	s_wait_loadcnt 0x1
	v_pk_mul_f32 v[96:97], v[132:133], v[116:117] op_sel:[1,1] op_sel_hi:[0,1]
	v_mov_b32_e32 v94, v119
	v_pk_add_f32 v[92:93], v[92:93], v[98:99]
	v_pk_fma_f32 v[100:101], v[130:131], v[114:115], v[100:101] neg_lo:[0,0,1] neg_hi:[0,0,1]
	v_mov_b32_e32 v101, v95
	v_pk_fma_f32 v[98:99], v[132:133], v[116:117], v[96:97] op_sel_hi:[1,0,1]
	v_pk_mul_f32 v[94:95], v[156:157], v[94:95] op_sel_hi:[1,0]
	v_pk_add_f32 v[92:93], v[92:93], v[102:103]
	v_pk_fma_f32 v[96:97], v[132:133], v[116:117], v[96:97] neg_lo:[0,0,1] neg_hi:[0,0,1]
	s_delay_alu instid0(VALU_DEP_4) | instskip(NEXT) | instid1(VALU_DEP_4)
	v_mov_b32_e32 v97, v99
	v_pk_fma_f32 v[98:99], v[134:135], v[118:119], v[94:95] op_sel_hi:[1,0,1]
	s_delay_alu instid0(VALU_DEP_4) | instskip(SKIP_1) | instid1(VALU_DEP_3)
	v_pk_add_f32 v[92:93], v[92:93], v[100:101]
	v_pk_fma_f32 v[94:95], v[134:135], v[118:119], v[94:95] neg_lo:[0,0,1] neg_hi:[0,0,1]
	v_mov_b32_e32 v95, v99
	s_delay_alu instid0(VALU_DEP_3) | instskip(NEXT) | instid1(VALU_DEP_1)
	v_pk_add_f32 v[92:93], v[92:93], v[96:97]
	v_pk_add_f32 v[92:93], v[92:93], v[94:95]
	s_wait_loadcnt 0x0
	s_delay_alu instid0(VALU_DEP_1)
	v_pk_add_f32 v[92:93], v[148:149], v[92:93] neg_lo:[0,1] neg_hi:[0,1]
	scratch_store_b64 off, v[92:93], off offset:240
	s_wait_xcnt 0x0
	v_cmpx_lt_u32_e32 29, v0
	s_cbranch_execz .LBB44_225
; %bb.224:
	scratch_load_b64 v[92:93], off, off offset:232
	v_mov_b64_e32 v[94:95], 0
	scratch_store_b64 off, v[94:95], off offset:232
	s_wait_loadcnt 0x0
	ds_store_b64 v1, v[92:93]
.LBB44_225:
	s_wait_xcnt 0x0
	s_or_b32 exec_lo, exec_lo, s0
	s_wait_storecnt_dscnt 0x0
	s_barrier_signal -1
	s_barrier_wait -1
	s_clause 0x8
	scratch_load_b128 v[92:95], off, off offset:240
	scratch_load_b128 v[96:99], off, off offset:256
	;; [unrolled: 1-line block ×7, first 2 shown]
	scratch_load_b64 v[148:149], off, off offset:352
	scratch_load_b64 v[150:151], off, off offset:232
	v_mov_b32_e32 v5, 0
	ds_load_b128 v[120:123], v5 offset:656
	ds_load_b128 v[124:127], v5 offset:672
	;; [unrolled: 1-line block ×7, first 2 shown]
	ds_load_b64 v[152:153], v5 offset:720
	s_mov_b32 s0, exec_lo
	s_wait_dscnt 0x7
	v_dual_mov_b32 v154, v123 :: v_dual_mov_b32 v155, v122
	s_wait_dscnt 0x4
	v_dual_mov_b32 v156, v127 :: v_dual_mov_b32 v161, v134
	v_dual_mov_b32 v157, v126 :: v_dual_mov_b32 v158, v131
	;; [unrolled: 1-line block ×3, first 2 shown]
	s_wait_loadcnt_dscnt 0x803
	v_dual_mul_f32 v7, v136, v93 :: v_dual_mul_f32 v19, v137, v93
	v_dual_mul_f32 v21, v139, v95 :: v_dual_mul_f32 v11, v138, v95
	s_wait_loadcnt_dscnt 0x702
	v_mul_f32_e32 v13, v140, v97
	s_wait_loadcnt 0x5
	v_dual_mul_f32 v31, v121, v105 :: v_dual_fma_f32 v19, v136, v92, -v19
	v_dual_fmac_f32 v7, v137, v92 :: v_dual_mov_b32 v92, v107
	v_dual_mul_f32 v23, v141, v97 :: v_dual_mul_f32 v25, v143, v99
	v_dual_fmac_f32 v11, v139, v94 :: v_dual_fma_f32 v21, v138, v94, -v21
	s_delay_alu instid0(VALU_DEP_3) | instskip(NEXT) | instid1(VALU_DEP_3)
	v_dual_add_f32 v7, 0, v7 :: v_dual_fmac_f32 v13, v141, v96
	v_dual_add_f32 v19, 0, v19 :: v_dual_fma_f32 v23, v140, v96, -v23
	s_wait_dscnt 0x1
	v_dual_mul_f32 v15, v142, v99 :: v_dual_mul_f32 v17, v144, v101
	s_delay_alu instid0(VALU_DEP_3) | instskip(NEXT) | instid1(VALU_DEP_3)
	v_add_f32_e32 v7, v7, v11
	v_dual_add_f32 v11, v19, v21 :: v_dual_mul_f32 v163, v146, v103
	v_mul_f32_e32 v165, v120, v105
	v_dual_mul_f32 v27, v145, v101 :: v_dual_mul_f32 v29, v147, v103
	s_wait_loadcnt 0x4
	v_pk_mul_f32 v[94:95], v[124:125], v[108:109] op_sel:[1,1] op_sel_hi:[0,1]
	s_delay_alu instid0(VALU_DEP_3)
	v_dual_fmac_f32 v15, v143, v98 :: v_dual_fmac_f32 v165, v121, v104
	v_dual_fma_f32 v19, v142, v98, -v25 :: v_dual_add_f32 v7, v7, v13
	v_fma_f32 v162, v146, v102, -v29
	v_dual_fmac_f32 v17, v145, v100 :: v_dual_add_f32 v11, v11, v23
	v_fma_f32 v164, v120, v104, -v31
	v_pk_mul_f32 v[92:93], v[154:155], v[92:93] op_sel_hi:[1,0]
	v_dual_mov_b32 v96, v111 :: v_dual_fma_f32 v13, v144, v100, -v27
	v_pk_fma_f32 v[120:121], v[124:125], v[108:109], v[94:95] op_sel_hi:[1,0,1]
	v_add_f32_e32 v11, v11, v19
	s_delay_alu instid0(VALU_DEP_4) | instskip(SKIP_3) | instid1(VALU_DEP_4)
	v_pk_fma_f32 v[104:105], v[122:123], v[106:107], v[92:93] op_sel_hi:[1,0,1]
	v_add_f32_e32 v7, v7, v15
	v_pk_fma_f32 v[92:93], v[122:123], v[106:107], v[92:93] neg_lo:[0,0,1] neg_hi:[0,0,1]
	v_pk_fma_f32 v[94:95], v[124:125], v[108:109], v[94:95] neg_lo:[0,0,1] neg_hi:[0,0,1]
	v_dual_fmac_f32 v163, v147, v102 :: v_dual_mov_b32 v93, v105
	s_delay_alu instid0(VALU_DEP_4)
	v_dual_add_f32 v101, v7, v17 :: v_dual_mov_b32 v95, v121
	v_add_f32_e32 v100, v11, v13
	v_pk_mul_f32 v[96:97], v[156:157], v[96:97] op_sel_hi:[1,0]
	s_wait_loadcnt 0x3
	v_pk_mul_f32 v[98:99], v[128:129], v[112:113] op_sel:[1,1] op_sel_hi:[0,1]
	s_wait_loadcnt 0x2
	v_pk_mul_f32 v[104:105], v[132:133], v[116:117] op_sel:[1,1] op_sel_hi:[0,1]
	v_pk_add_f32 v[100:101], v[100:101], v[162:163]
	v_pk_fma_f32 v[106:107], v[126:127], v[110:111], v[96:97] op_sel_hi:[1,0,1]
	v_mov_b32_e32 v102, v115
	v_pk_fma_f32 v[96:97], v[126:127], v[110:111], v[96:97] neg_lo:[0,0,1] neg_hi:[0,0,1]
	s_delay_alu instid0(VALU_DEP_4) | instskip(NEXT) | instid1(VALU_DEP_4)
	v_pk_add_f32 v[100:101], v[100:101], v[164:165]
	v_mov_b32_e32 v97, v107
	s_delay_alu instid0(VALU_DEP_4) | instskip(NEXT) | instid1(VALU_DEP_3)
	v_pk_mul_f32 v[102:103], v[158:159], v[102:103] op_sel_hi:[1,0]
	v_pk_add_f32 v[92:93], v[100:101], v[92:93]
	v_pk_fma_f32 v[100:101], v[128:129], v[112:113], v[98:99] op_sel_hi:[1,0,1]
	v_pk_fma_f32 v[98:99], v[128:129], v[112:113], v[98:99] neg_lo:[0,0,1] neg_hi:[0,0,1]
	s_delay_alu instid0(VALU_DEP_3) | instskip(NEXT) | instid1(VALU_DEP_3)
	v_pk_add_f32 v[92:93], v[92:93], v[94:95]
	v_dual_mov_b32 v94, v119 :: v_dual_mov_b32 v99, v101
	v_pk_fma_f32 v[100:101], v[130:131], v[114:115], v[102:103] op_sel_hi:[1,0,1]
	v_pk_fma_f32 v[102:103], v[130:131], v[114:115], v[102:103] neg_lo:[0,0,1] neg_hi:[0,0,1]
	s_delay_alu instid0(VALU_DEP_4)
	v_pk_add_f32 v[92:93], v[92:93], v[96:97]
	v_pk_fma_f32 v[96:97], v[132:133], v[116:117], v[104:105] op_sel_hi:[1,0,1]
	v_pk_mul_f32 v[94:95], v[160:161], v[94:95] op_sel_hi:[1,0]
	v_mov_b32_e32 v103, v101
	s_wait_loadcnt_dscnt 0x100
	v_pk_mul_f32 v[100:101], v[152:153], v[148:149] op_sel:[1,1] op_sel_hi:[0,1]
	v_pk_add_f32 v[92:93], v[92:93], v[98:99]
	v_pk_fma_f32 v[98:99], v[132:133], v[116:117], v[104:105] neg_lo:[0,0,1] neg_hi:[0,0,1]
	v_mov_b32_e32 v99, v97
	v_pk_fma_f32 v[96:97], v[134:135], v[118:119], v[94:95] op_sel_hi:[1,0,1]
	v_pk_fma_f32 v[94:95], v[134:135], v[118:119], v[94:95] neg_lo:[0,0,1] neg_hi:[0,0,1]
	v_pk_add_f32 v[92:93], v[92:93], v[102:103]
	s_delay_alu instid0(VALU_DEP_3) | instskip(SKIP_1) | instid1(VALU_DEP_3)
	v_mov_b32_e32 v95, v97
	v_pk_fma_f32 v[96:97], v[152:153], v[148:149], v[100:101] op_sel_hi:[1,0,1]
	v_pk_add_f32 v[92:93], v[92:93], v[98:99]
	v_pk_fma_f32 v[98:99], v[152:153], v[148:149], v[100:101] neg_lo:[0,0,1] neg_hi:[0,0,1]
	s_delay_alu instid0(VALU_DEP_3) | instskip(NEXT) | instid1(VALU_DEP_3)
	v_mov_b32_e32 v99, v97
	v_pk_add_f32 v[92:93], v[92:93], v[94:95]
	s_delay_alu instid0(VALU_DEP_1) | instskip(SKIP_1) | instid1(VALU_DEP_1)
	v_pk_add_f32 v[92:93], v[92:93], v[98:99]
	s_wait_loadcnt 0x0
	v_pk_add_f32 v[92:93], v[150:151], v[92:93] neg_lo:[0,1] neg_hi:[0,1]
	scratch_store_b64 off, v[92:93], off offset:232
	s_wait_xcnt 0x0
	v_cmpx_lt_u32_e32 28, v0
	s_cbranch_execz .LBB44_227
; %bb.226:
	scratch_load_b64 v[92:93], off, off offset:224
	v_mov_b64_e32 v[94:95], 0
	scratch_store_b64 off, v[94:95], off offset:224
	s_wait_loadcnt 0x0
	ds_store_b64 v1, v[92:93]
.LBB44_227:
	s_wait_xcnt 0x0
	s_or_b32 exec_lo, exec_lo, s0
	s_wait_storecnt_dscnt 0x0
	s_barrier_signal -1
	s_barrier_wait -1
	s_clause 0x8
	scratch_load_b128 v[92:95], off, off offset:232
	scratch_load_b128 v[96:99], off, off offset:248
	;; [unrolled: 1-line block ×8, first 2 shown]
	scratch_load_b64 v[156:157], off, off offset:224
	ds_load_2addr_b64 v[124:127], v5 offset0:83 offset1:84
	ds_load_2addr_b64 v[128:131], v5 offset0:85 offset1:86
	;; [unrolled: 1-line block ×8, first 2 shown]
	s_mov_b32 s0, exec_lo
	s_wait_dscnt 0x7
	v_dual_mov_b32 v158, v127 :: v_dual_mov_b32 v159, v126
	s_wait_dscnt 0x6
	v_dual_mov_b32 v160, v131 :: v_dual_mov_b32 v161, v130
	s_wait_dscnt 0x5
	v_dual_mov_b32 v162, v135 :: v_dual_mov_b32 v163, v134
	s_wait_dscnt 0x4
	v_dual_mov_b32 v164, v139 :: v_dual_mov_b32 v165, v138
	s_wait_loadcnt_dscnt 0x803
	v_dual_mul_f32 v5, v140, v93 :: v_dual_mul_f32 v7, v142, v95
	v_dual_mul_f32 v19, v141, v93 :: v_dual_mul_f32 v21, v143, v95
	s_wait_loadcnt_dscnt 0x702
	v_dual_mul_f32 v11, v144, v97 :: v_dual_mul_f32 v13, v146, v99
	s_delay_alu instid0(VALU_DEP_2) | instskip(SKIP_3) | instid1(VALU_DEP_3)
	v_dual_fmac_f32 v5, v141, v92 :: v_dual_fma_f32 v19, v140, v92, -v19
	v_dual_mul_f32 v23, v145, v97 :: v_dual_mul_f32 v25, v147, v99
	s_wait_loadcnt_dscnt 0x500
	v_dual_mul_f32 v31, v153, v105 :: v_dual_fmac_f32 v7, v143, v94
	v_dual_fma_f32 v21, v142, v94, -v21 :: v_dual_add_f32 v5, 0, v5
	v_dual_add_f32 v19, 0, v19 :: v_dual_fmac_f32 v11, v145, v96
	v_dual_mul_f32 v33, v155, v107 :: v_dual_fma_f32 v23, v144, v96, -v23
	s_delay_alu instid0(VALU_DEP_2) | instskip(SKIP_2) | instid1(VALU_DEP_3)
	v_dual_add_f32 v5, v5, v7 :: v_dual_add_f32 v7, v19, v21
	v_dual_mul_f32 v15, v148, v101 :: v_dual_mul_f32 v17, v150, v103
	v_dual_mul_f32 v27, v149, v101 :: v_dual_mul_f32 v29, v151, v103
	v_dual_fmac_f32 v13, v147, v98 :: v_dual_add_f32 v5, v5, v11
	s_delay_alu instid0(VALU_DEP_4) | instskip(SKIP_2) | instid1(VALU_DEP_3)
	v_dual_fma_f32 v19, v146, v98, -v25 :: v_dual_add_f32 v7, v7, v23
	s_wait_loadcnt 0x4
	v_dual_mov_b32 v94, v111 :: v_dual_fmac_f32 v15, v149, v100
	v_dual_fma_f32 v11, v148, v100, -v27 :: v_dual_add_f32 v5, v5, v13
	s_delay_alu instid0(VALU_DEP_3) | instskip(SKIP_1) | instid1(VALU_DEP_3)
	v_dual_add_f32 v7, v7, v19 :: v_dual_fma_f32 v13, v150, v102, -v29
	v_dual_mul_f32 v167, v152, v105 :: v_dual_mul_f32 v169, v154, v107
	v_dual_fmac_f32 v17, v151, v102 :: v_dual_add_f32 v5, v5, v15
	s_delay_alu instid0(VALU_DEP_2)
	v_dual_add_f32 v7, v7, v11 :: v_dual_fmac_f32 v167, v153, v104
	v_pk_mul_f32 v[92:93], v[124:125], v[108:109] op_sel:[1,1] op_sel_hi:[0,1]
	s_wait_loadcnt 0x3
	v_dual_mov_b32 v98, v115 :: v_dual_fma_f32 v166, v152, v104, -v31
	v_dual_add_f32 v101, v5, v17 :: v_dual_fmac_f32 v169, v155, v106
	v_dual_add_f32 v100, v7, v13 :: v_dual_fma_f32 v168, v154, v106, -v33
	v_pk_fma_f32 v[102:103], v[124:125], v[108:109], v[92:93] op_sel_hi:[1,0,1]
	v_pk_mul_f32 v[94:95], v[158:159], v[94:95] op_sel_hi:[1,0]
	v_pk_fma_f32 v[92:93], v[124:125], v[108:109], v[92:93] neg_lo:[0,0,1] neg_hi:[0,0,1]
	s_delay_alu instid0(VALU_DEP_4)
	v_pk_add_f32 v[100:101], v[100:101], v[166:167]
	v_pk_mul_f32 v[96:97], v[128:129], v[112:113] op_sel:[1,1] op_sel_hi:[0,1]
	v_mov_b32_e32 v93, v103
	v_pk_fma_f32 v[102:103], v[126:127], v[110:111], v[94:95] op_sel_hi:[1,0,1]
	v_pk_fma_f32 v[94:95], v[126:127], v[110:111], v[94:95] neg_lo:[0,0,1] neg_hi:[0,0,1]
	v_pk_add_f32 v[100:101], v[100:101], v[168:169]
	v_pk_fma_f32 v[106:107], v[128:129], v[112:113], v[96:97] op_sel_hi:[1,0,1]
	v_pk_mul_f32 v[98:99], v[160:161], v[98:99] op_sel_hi:[1,0]
	v_mov_b32_e32 v95, v103
	s_wait_loadcnt 0x2
	v_pk_mul_f32 v[104:105], v[132:133], v[116:117] op_sel:[1,1] op_sel_hi:[0,1]
	v_pk_add_f32 v[92:93], v[100:101], v[92:93]
	v_mov_b32_e32 v100, v119
	v_pk_fma_f32 v[96:97], v[128:129], v[112:113], v[96:97] neg_lo:[0,0,1] neg_hi:[0,0,1]
	v_mov_b32_e32 v97, v107
	v_pk_fma_f32 v[102:103], v[130:131], v[114:115], v[98:99] op_sel_hi:[1,0,1]
	v_pk_add_f32 v[92:93], v[92:93], v[94:95]
	v_pk_fma_f32 v[94:95], v[132:133], v[116:117], v[104:105] op_sel_hi:[1,0,1]
	v_pk_mul_f32 v[100:101], v[162:163], v[100:101] op_sel_hi:[1,0]
	v_pk_fma_f32 v[98:99], v[130:131], v[114:115], v[98:99] neg_lo:[0,0,1] neg_hi:[0,0,1]
	v_mov_b32_e32 v99, v103
	v_pk_add_f32 v[92:93], v[92:93], v[96:97]
	v_pk_fma_f32 v[102:103], v[132:133], v[116:117], v[104:105] neg_lo:[0,0,1] neg_hi:[0,0,1]
	v_mov_b32_e32 v103, v95
	v_pk_fma_f32 v[94:95], v[134:135], v[118:119], v[100:101] op_sel_hi:[1,0,1]
	s_wait_loadcnt 0x1
	v_pk_mul_f32 v[96:97], v[136:137], v[120:121] op_sel:[1,1] op_sel_hi:[0,1]
	v_pk_add_f32 v[92:93], v[92:93], v[98:99]
	v_mov_b32_e32 v94, v123
	v_pk_fma_f32 v[100:101], v[134:135], v[118:119], v[100:101] neg_lo:[0,0,1] neg_hi:[0,0,1]
	v_mov_b32_e32 v101, v95
	v_pk_fma_f32 v[98:99], v[136:137], v[120:121], v[96:97] op_sel_hi:[1,0,1]
	v_pk_add_f32 v[92:93], v[92:93], v[102:103]
	v_pk_mul_f32 v[94:95], v[164:165], v[94:95] op_sel_hi:[1,0]
	v_pk_fma_f32 v[96:97], v[136:137], v[120:121], v[96:97] neg_lo:[0,0,1] neg_hi:[0,0,1]
	s_delay_alu instid0(VALU_DEP_4) | instskip(NEXT) | instid1(VALU_DEP_4)
	v_mov_b32_e32 v97, v99
	v_pk_add_f32 v[92:93], v[92:93], v[100:101]
	s_delay_alu instid0(VALU_DEP_4) | instskip(SKIP_1) | instid1(VALU_DEP_2)
	v_pk_fma_f32 v[98:99], v[138:139], v[122:123], v[94:95] op_sel_hi:[1,0,1]
	v_pk_fma_f32 v[94:95], v[138:139], v[122:123], v[94:95] neg_lo:[0,0,1] neg_hi:[0,0,1]
	v_mov_b32_e32 v95, v99
	s_delay_alu instid0(VALU_DEP_4) | instskip(NEXT) | instid1(VALU_DEP_1)
	v_pk_add_f32 v[92:93], v[92:93], v[96:97]
	v_pk_add_f32 v[92:93], v[92:93], v[94:95]
	s_wait_loadcnt 0x0
	s_delay_alu instid0(VALU_DEP_1)
	v_pk_add_f32 v[92:93], v[156:157], v[92:93] neg_lo:[0,1] neg_hi:[0,1]
	scratch_store_b64 off, v[92:93], off offset:224
	s_wait_xcnt 0x0
	v_cmpx_lt_u32_e32 27, v0
	s_cbranch_execz .LBB44_229
; %bb.228:
	scratch_load_b64 v[92:93], off, off offset:216
	v_mov_b64_e32 v[94:95], 0
	scratch_store_b64 off, v[94:95], off offset:216
	s_wait_loadcnt 0x0
	ds_store_b64 v1, v[92:93]
.LBB44_229:
	s_wait_xcnt 0x0
	s_or_b32 exec_lo, exec_lo, s0
	s_wait_storecnt_dscnt 0x0
	s_barrier_signal -1
	s_barrier_wait -1
	s_clause 0x9
	scratch_load_b128 v[92:95], off, off offset:224
	scratch_load_b128 v[96:99], off, off offset:240
	;; [unrolled: 1-line block ×8, first 2 shown]
	scratch_load_b64 v[156:157], off, off offset:352
	scratch_load_b64 v[158:159], off, off offset:216
	v_mov_b32_e32 v5, 0
	ds_load_b128 v[124:127], v5 offset:656
	ds_load_b128 v[128:131], v5 offset:672
	;; [unrolled: 1-line block ×8, first 2 shown]
	ds_load_b64 v[160:161], v5 offset:720
	s_mov_b32 s0, exec_lo
	s_wait_dscnt 0x8
	v_dual_mov_b32 v162, v127 :: v_dual_mov_b32 v163, v126
	s_wait_dscnt 0x5
	v_dual_mov_b32 v164, v131 :: v_dual_mov_b32 v169, v138
	v_dual_mov_b32 v165, v130 :: v_dual_mov_b32 v166, v135
	;; [unrolled: 1-line block ×3, first 2 shown]
	s_wait_loadcnt_dscnt 0x904
	v_dual_mul_f32 v7, v140, v93 :: v_dual_mul_f32 v23, v141, v93
	v_dual_mul_f32 v25, v143, v95 :: v_dual_mul_f32 v11, v142, v95
	s_wait_loadcnt_dscnt 0x803
	v_mul_f32_e32 v13, v144, v97
	s_wait_loadcnt_dscnt 0x601
	v_dual_mul_f32 v35, v153, v105 :: v_dual_fma_f32 v23, v140, v92, -v23
	v_dual_fmac_f32 v7, v141, v92 :: v_dual_mul_f32 v37, v155, v107
	v_dual_mul_f32 v27, v145, v97 :: v_dual_mul_f32 v29, v147, v99
	v_dual_fmac_f32 v11, v143, v94 :: v_dual_fma_f32 v25, v142, v94, -v25
	s_wait_loadcnt 0x5
	s_delay_alu instid0(VALU_DEP_3) | instskip(SKIP_2) | instid1(VALU_DEP_3)
	v_dual_add_f32 v7, 0, v7 :: v_dual_mul_f32 v39, v125, v109
	v_dual_add_f32 v23, 0, v23 :: v_dual_fmac_f32 v13, v145, v96
	v_dual_mul_f32 v15, v146, v99 :: v_dual_mul_f32 v17, v148, v101
	v_dual_fma_f32 v27, v144, v96, -v27 :: v_dual_add_f32 v7, v7, v11
	s_delay_alu instid0(VALU_DEP_3) | instskip(SKIP_3) | instid1(VALU_DEP_3)
	v_dual_add_f32 v11, v23, v25 :: v_dual_fma_f32 v23, v146, v98, -v29
	v_dual_mul_f32 v19, v150, v103 :: v_dual_mul_f32 v21, v152, v105
	v_dual_mul_f32 v31, v149, v101 :: v_dual_mul_f32 v33, v151, v103
	v_dual_mov_b32 v92, v111 :: v_dual_fmac_f32 v17, v149, v100
	v_dual_fmac_f32 v15, v147, v98 :: v_dual_fmac_f32 v21, v153, v104
	s_delay_alu instid0(VALU_DEP_3) | instskip(SKIP_1) | instid1(VALU_DEP_4)
	v_dual_add_f32 v7, v7, v13 :: v_dual_fma_f32 v13, v148, v100, -v31
	v_add_f32_e32 v11, v11, v27
	v_pk_mul_f32 v[92:93], v[162:163], v[92:93] op_sel_hi:[1,0]
	v_dual_mul_f32 v171, v154, v107 :: v_dual_mul_f32 v173, v124, v109
	s_delay_alu instid0(VALU_DEP_4) | instskip(NEXT) | instid1(VALU_DEP_4)
	v_dual_add_f32 v7, v7, v15 :: v_dual_fma_f32 v15, v150, v102, -v33
	v_dual_add_f32 v11, v11, v23 :: v_dual_fma_f32 v170, v154, v106, -v37
	s_delay_alu instid0(VALU_DEP_3) | instskip(NEXT) | instid1(VALU_DEP_2)
	v_dual_fmac_f32 v19, v151, v102 :: v_dual_fmac_f32 v173, v125, v108
	v_dual_fma_f32 v172, v124, v108, -v39 :: v_dual_add_f32 v11, v11, v13
	s_delay_alu instid0(VALU_DEP_4)
	v_dual_fma_f32 v13, v152, v104, -v35 :: v_dual_add_f32 v7, v7, v17
	v_pk_fma_f32 v[104:105], v[126:127], v[110:111], v[92:93] op_sel_hi:[1,0,1]
	v_pk_fma_f32 v[92:93], v[126:127], v[110:111], v[92:93] neg_lo:[0,0,1] neg_hi:[0,0,1]
	v_fmac_f32_e32 v171, v155, v106
	s_wait_loadcnt 0x4
	v_pk_mul_f32 v[94:95], v[128:129], v[112:113] op_sel:[1,1] op_sel_hi:[0,1]
	v_dual_add_f32 v7, v7, v19 :: v_dual_mov_b32 v93, v105
	v_add_f32_e32 v11, v11, v15
	s_wait_loadcnt 0x3
	v_dual_mov_b32 v96, v115 :: v_dual_mov_b32 v102, v119
	s_delay_alu instid0(VALU_DEP_3) | instskip(SKIP_2) | instid1(VALU_DEP_4)
	v_add_f32_e32 v101, v7, v21
	v_pk_fma_f32 v[106:107], v[128:129], v[112:113], v[94:95] op_sel_hi:[1,0,1]
	v_add_f32_e32 v100, v11, v13
	v_pk_mul_f32 v[96:97], v[164:165], v[96:97] op_sel_hi:[1,0]
	v_pk_fma_f32 v[94:95], v[128:129], v[112:113], v[94:95] neg_lo:[0,0,1] neg_hi:[0,0,1]
	v_pk_mul_f32 v[98:99], v[132:133], v[116:117] op_sel:[1,1] op_sel_hi:[0,1]
	v_mov_b32_e32 v95, v107
	v_pk_add_f32 v[100:101], v[100:101], v[170:171]
	v_pk_fma_f32 v[106:107], v[130:131], v[114:115], v[96:97] op_sel_hi:[1,0,1]
	v_pk_fma_f32 v[96:97], v[130:131], v[114:115], v[96:97] neg_lo:[0,0,1] neg_hi:[0,0,1]
	v_pk_mul_f32 v[102:103], v[166:167], v[102:103] op_sel_hi:[1,0]
	s_wait_loadcnt 0x2
	v_pk_mul_f32 v[104:105], v[136:137], v[120:121] op_sel:[1,1] op_sel_hi:[0,1]
	v_pk_add_f32 v[100:101], v[100:101], v[172:173]
	v_mov_b32_e32 v97, v107
	s_delay_alu instid0(VALU_DEP_2) | instskip(SKIP_2) | instid1(VALU_DEP_3)
	v_pk_add_f32 v[92:93], v[100:101], v[92:93]
	v_pk_fma_f32 v[100:101], v[132:133], v[116:117], v[98:99] op_sel_hi:[1,0,1]
	v_pk_fma_f32 v[98:99], v[132:133], v[116:117], v[98:99] neg_lo:[0,0,1] neg_hi:[0,0,1]
	v_pk_add_f32 v[92:93], v[92:93], v[94:95]
	s_delay_alu instid0(VALU_DEP_3) | instskip(SKIP_2) | instid1(VALU_DEP_4)
	v_dual_mov_b32 v94, v123 :: v_dual_mov_b32 v99, v101
	v_pk_fma_f32 v[100:101], v[134:135], v[118:119], v[102:103] op_sel_hi:[1,0,1]
	v_pk_fma_f32 v[102:103], v[134:135], v[118:119], v[102:103] neg_lo:[0,0,1] neg_hi:[0,0,1]
	v_pk_add_f32 v[92:93], v[92:93], v[96:97]
	v_pk_fma_f32 v[96:97], v[136:137], v[120:121], v[104:105] op_sel_hi:[1,0,1]
	v_pk_mul_f32 v[94:95], v[168:169], v[94:95] op_sel_hi:[1,0]
	v_mov_b32_e32 v103, v101
	s_wait_loadcnt_dscnt 0x100
	v_pk_mul_f32 v[100:101], v[160:161], v[156:157] op_sel:[1,1] op_sel_hi:[0,1]
	v_pk_add_f32 v[92:93], v[92:93], v[98:99]
	v_pk_fma_f32 v[98:99], v[136:137], v[120:121], v[104:105] neg_lo:[0,0,1] neg_hi:[0,0,1]
	v_mov_b32_e32 v99, v97
	v_pk_fma_f32 v[96:97], v[138:139], v[122:123], v[94:95] op_sel_hi:[1,0,1]
	v_pk_fma_f32 v[94:95], v[138:139], v[122:123], v[94:95] neg_lo:[0,0,1] neg_hi:[0,0,1]
	v_pk_add_f32 v[92:93], v[92:93], v[102:103]
	s_delay_alu instid0(VALU_DEP_3) | instskip(SKIP_1) | instid1(VALU_DEP_3)
	v_mov_b32_e32 v95, v97
	v_pk_fma_f32 v[96:97], v[160:161], v[156:157], v[100:101] op_sel_hi:[1,0,1]
	v_pk_add_f32 v[92:93], v[92:93], v[98:99]
	v_pk_fma_f32 v[98:99], v[160:161], v[156:157], v[100:101] neg_lo:[0,0,1] neg_hi:[0,0,1]
	s_delay_alu instid0(VALU_DEP_3) | instskip(NEXT) | instid1(VALU_DEP_3)
	v_mov_b32_e32 v99, v97
	v_pk_add_f32 v[92:93], v[92:93], v[94:95]
	s_delay_alu instid0(VALU_DEP_1) | instskip(SKIP_1) | instid1(VALU_DEP_1)
	v_pk_add_f32 v[92:93], v[92:93], v[98:99]
	s_wait_loadcnt 0x0
	v_pk_add_f32 v[92:93], v[158:159], v[92:93] neg_lo:[0,1] neg_hi:[0,1]
	scratch_store_b64 off, v[92:93], off offset:216
	s_wait_xcnt 0x0
	v_cmpx_lt_u32_e32 26, v0
	s_cbranch_execz .LBB44_231
; %bb.230:
	scratch_load_b64 v[92:93], off, off offset:208
	v_mov_b64_e32 v[94:95], 0
	scratch_store_b64 off, v[94:95], off offset:208
	s_wait_loadcnt 0x0
	ds_store_b64 v1, v[92:93]
.LBB44_231:
	s_wait_xcnt 0x0
	s_or_b32 exec_lo, exec_lo, s0
	s_wait_storecnt_dscnt 0x0
	s_barrier_signal -1
	s_barrier_wait -1
	s_clause 0x9
	scratch_load_b128 v[92:95], off, off offset:216
	scratch_load_b128 v[96:99], off, off offset:232
	;; [unrolled: 1-line block ×9, first 2 shown]
	scratch_load_b64 v[164:165], off, off offset:208
	ds_load_2addr_b64 v[128:131], v5 offset0:83 offset1:84
	ds_load_2addr_b64 v[132:135], v5 offset0:85 offset1:86
	;; [unrolled: 1-line block ×9, first 2 shown]
	s_mov_b32 s0, exec_lo
	s_wait_dscnt 0x8
	v_dual_mov_b32 v166, v131 :: v_dual_mov_b32 v167, v130
	s_wait_dscnt 0x7
	v_dual_mov_b32 v168, v135 :: v_dual_mov_b32 v169, v134
	;; [unrolled: 2-line block ×4, first 2 shown]
	s_wait_loadcnt_dscnt 0x904
	v_dual_mul_f32 v5, v144, v93 :: v_dual_mul_f32 v7, v146, v95
	v_dual_mul_f32 v23, v145, v93 :: v_dual_mul_f32 v25, v147, v95
	s_wait_loadcnt_dscnt 0x803
	v_dual_mul_f32 v11, v148, v97 :: v_dual_mul_f32 v13, v150, v99
	s_delay_alu instid0(VALU_DEP_2) | instskip(SKIP_3) | instid1(VALU_DEP_3)
	v_dual_fmac_f32 v5, v145, v92 :: v_dual_fma_f32 v23, v144, v92, -v23
	v_dual_mul_f32 v27, v149, v97 :: v_dual_mul_f32 v29, v151, v99
	s_wait_loadcnt_dscnt 0x601
	v_dual_mul_f32 v35, v157, v105 :: v_dual_fmac_f32 v7, v147, v94
	v_dual_fma_f32 v25, v146, v94, -v25 :: v_dual_add_f32 v5, 0, v5
	v_dual_add_f32 v23, 0, v23 :: v_dual_fmac_f32 v11, v149, v96
	v_dual_mul_f32 v37, v159, v107 :: v_dual_fma_f32 v27, v148, v96, -v27
	s_delay_alu instid0(VALU_DEP_2)
	v_dual_add_f32 v5, v5, v7 :: v_dual_add_f32 v7, v23, v25
	v_dual_mul_f32 v15, v152, v101 :: v_dual_mul_f32 v17, v154, v103
	v_dual_mul_f32 v31, v153, v101 :: v_dual_mul_f32 v33, v155, v103
	s_wait_loadcnt_dscnt 0x500
	v_dual_mul_f32 v23, v161, v109 :: v_dual_fmac_f32 v13, v151, v98
	v_dual_fma_f32 v25, v150, v98, -v29 :: v_dual_add_f32 v5, v5, v11
	v_dual_add_f32 v7, v7, v27 :: v_dual_fmac_f32 v15, v153, v100
	v_dual_mul_f32 v11, v163, v111 :: v_dual_fma_f32 v27, v152, v100, -v31
	s_delay_alu instid0(VALU_DEP_3) | instskip(NEXT) | instid1(VALU_DEP_3)
	v_dual_add_f32 v5, v5, v13 :: v_dual_fmac_f32 v17, v155, v102
	v_dual_add_f32 v7, v7, v25 :: v_dual_fma_f32 v13, v154, v102, -v33
	v_dual_mul_f32 v19, v156, v105 :: v_dual_mul_f32 v21, v158, v107
	s_wait_loadcnt 0x4
	s_delay_alu instid0(VALU_DEP_3) | instskip(NEXT) | instid1(VALU_DEP_2)
	v_dual_add_f32 v5, v5, v15 :: v_dual_mov_b32 v94, v115
	v_dual_add_f32 v7, v7, v27 :: v_dual_fmac_f32 v19, v157, v104
	s_delay_alu instid0(VALU_DEP_2) | instskip(SKIP_1) | instid1(VALU_DEP_3)
	v_dual_fma_f32 v15, v156, v104, -v35 :: v_dual_add_f32 v5, v5, v17
	v_dual_mul_f32 v175, v160, v109 :: v_dual_mul_f32 v177, v162, v111
	v_dual_add_f32 v7, v7, v13 :: v_dual_fma_f32 v13, v158, v106, -v37
	s_delay_alu instid0(VALU_DEP_3) | instskip(SKIP_1) | instid1(VALU_DEP_3)
	v_dual_fmac_f32 v21, v159, v106 :: v_dual_add_f32 v5, v5, v19
	v_pk_mul_f32 v[92:93], v[128:129], v[112:113] op_sel:[1,1] op_sel_hi:[0,1]
	v_dual_add_f32 v7, v7, v15 :: v_dual_fmac_f32 v175, v161, v108
	s_wait_loadcnt 0x3
	v_dual_mov_b32 v98, v119 :: v_dual_fma_f32 v174, v160, v108, -v23
	v_dual_add_f32 v101, v5, v21 :: v_dual_fmac_f32 v177, v163, v110
	s_delay_alu instid0(VALU_DEP_3) | instskip(SKIP_3) | instid1(VALU_DEP_4)
	v_dual_add_f32 v100, v7, v13 :: v_dual_fma_f32 v176, v162, v110, -v11
	v_pk_fma_f32 v[102:103], v[128:129], v[112:113], v[92:93] op_sel_hi:[1,0,1]
	v_pk_mul_f32 v[94:95], v[166:167], v[94:95] op_sel_hi:[1,0]
	v_pk_fma_f32 v[92:93], v[128:129], v[112:113], v[92:93] neg_lo:[0,0,1] neg_hi:[0,0,1]
	v_pk_add_f32 v[100:101], v[100:101], v[174:175]
	v_pk_mul_f32 v[96:97], v[132:133], v[116:117] op_sel:[1,1] op_sel_hi:[0,1]
	v_mov_b32_e32 v93, v103
	v_pk_fma_f32 v[102:103], v[130:131], v[114:115], v[94:95] op_sel_hi:[1,0,1]
	v_pk_fma_f32 v[94:95], v[130:131], v[114:115], v[94:95] neg_lo:[0,0,1] neg_hi:[0,0,1]
	v_pk_add_f32 v[100:101], v[100:101], v[176:177]
	v_pk_fma_f32 v[106:107], v[132:133], v[116:117], v[96:97] op_sel_hi:[1,0,1]
	v_pk_mul_f32 v[98:99], v[168:169], v[98:99] op_sel_hi:[1,0]
	v_mov_b32_e32 v95, v103
	s_wait_loadcnt 0x2
	v_pk_mul_f32 v[104:105], v[136:137], v[120:121] op_sel:[1,1] op_sel_hi:[0,1]
	v_pk_add_f32 v[92:93], v[100:101], v[92:93]
	v_mov_b32_e32 v100, v123
	v_pk_fma_f32 v[96:97], v[132:133], v[116:117], v[96:97] neg_lo:[0,0,1] neg_hi:[0,0,1]
	v_mov_b32_e32 v97, v107
	v_pk_fma_f32 v[102:103], v[134:135], v[118:119], v[98:99] op_sel_hi:[1,0,1]
	v_pk_add_f32 v[92:93], v[92:93], v[94:95]
	v_pk_fma_f32 v[94:95], v[136:137], v[120:121], v[104:105] op_sel_hi:[1,0,1]
	v_pk_mul_f32 v[100:101], v[170:171], v[100:101] op_sel_hi:[1,0]
	v_pk_fma_f32 v[98:99], v[134:135], v[118:119], v[98:99] neg_lo:[0,0,1] neg_hi:[0,0,1]
	v_mov_b32_e32 v99, v103
	v_pk_add_f32 v[92:93], v[92:93], v[96:97]
	v_pk_fma_f32 v[102:103], v[136:137], v[120:121], v[104:105] neg_lo:[0,0,1] neg_hi:[0,0,1]
	v_mov_b32_e32 v103, v95
	v_pk_fma_f32 v[94:95], v[138:139], v[122:123], v[100:101] op_sel_hi:[1,0,1]
	s_wait_loadcnt 0x1
	v_pk_mul_f32 v[96:97], v[140:141], v[124:125] op_sel:[1,1] op_sel_hi:[0,1]
	v_pk_add_f32 v[92:93], v[92:93], v[98:99]
	v_mov_b32_e32 v94, v127
	v_pk_fma_f32 v[100:101], v[138:139], v[122:123], v[100:101] neg_lo:[0,0,1] neg_hi:[0,0,1]
	v_mov_b32_e32 v101, v95
	v_pk_fma_f32 v[98:99], v[140:141], v[124:125], v[96:97] op_sel_hi:[1,0,1]
	v_pk_add_f32 v[92:93], v[92:93], v[102:103]
	v_pk_mul_f32 v[94:95], v[172:173], v[94:95] op_sel_hi:[1,0]
	v_pk_fma_f32 v[96:97], v[140:141], v[124:125], v[96:97] neg_lo:[0,0,1] neg_hi:[0,0,1]
	s_delay_alu instid0(VALU_DEP_4) | instskip(NEXT) | instid1(VALU_DEP_4)
	v_mov_b32_e32 v97, v99
	v_pk_add_f32 v[92:93], v[92:93], v[100:101]
	s_delay_alu instid0(VALU_DEP_4) | instskip(SKIP_1) | instid1(VALU_DEP_2)
	v_pk_fma_f32 v[98:99], v[142:143], v[126:127], v[94:95] op_sel_hi:[1,0,1]
	v_pk_fma_f32 v[94:95], v[142:143], v[126:127], v[94:95] neg_lo:[0,0,1] neg_hi:[0,0,1]
	v_mov_b32_e32 v95, v99
	s_delay_alu instid0(VALU_DEP_4) | instskip(NEXT) | instid1(VALU_DEP_1)
	v_pk_add_f32 v[92:93], v[92:93], v[96:97]
	v_pk_add_f32 v[92:93], v[92:93], v[94:95]
	s_wait_loadcnt 0x0
	s_delay_alu instid0(VALU_DEP_1)
	v_pk_add_f32 v[92:93], v[164:165], v[92:93] neg_lo:[0,1] neg_hi:[0,1]
	scratch_store_b64 off, v[92:93], off offset:208
	s_wait_xcnt 0x0
	v_cmpx_lt_u32_e32 25, v0
	s_cbranch_execz .LBB44_233
; %bb.232:
	scratch_load_b64 v[92:93], off, off offset:200
	v_mov_b64_e32 v[94:95], 0
	scratch_store_b64 off, v[94:95], off offset:200
	s_wait_loadcnt 0x0
	ds_store_b64 v1, v[92:93]
.LBB44_233:
	s_wait_xcnt 0x0
	s_or_b32 exec_lo, exec_lo, s0
	s_wait_storecnt_dscnt 0x0
	s_barrier_signal -1
	s_barrier_wait -1
	s_clause 0xa
	scratch_load_b128 v[92:95], off, off offset:208
	scratch_load_b128 v[96:99], off, off offset:224
	;; [unrolled: 1-line block ×9, first 2 shown]
	scratch_load_b64 v[164:165], off, off offset:352
	scratch_load_b64 v[166:167], off, off offset:200
	v_mov_b32_e32 v5, 0
	ds_load_b128 v[128:131], v5 offset:656
	ds_load_b128 v[132:135], v5 offset:672
	;; [unrolled: 1-line block ×9, first 2 shown]
	ds_load_b64 v[168:169], v5 offset:720
	s_mov_b32 s0, exec_lo
	s_wait_dscnt 0x9
	v_dual_mov_b32 v170, v131 :: v_dual_mov_b32 v171, v130
	s_wait_dscnt 0x6
	v_dual_mov_b32 v172, v135 :: v_dual_mov_b32 v177, v142
	v_dual_mov_b32 v173, v134 :: v_dual_mov_b32 v174, v139
	;; [unrolled: 1-line block ×3, first 2 shown]
	s_wait_loadcnt_dscnt 0xa05
	v_dual_mul_f32 v7, v144, v93 :: v_dual_mul_f32 v27, v145, v93
	v_dual_mul_f32 v29, v147, v95 :: v_dual_mul_f32 v11, v146, v95
	s_wait_loadcnt_dscnt 0x904
	v_mul_f32_e32 v13, v148, v97
	s_wait_loadcnt_dscnt 0x702
	v_dual_mul_f32 v39, v157, v105 :: v_dual_fma_f32 v27, v144, v92, -v27
	v_dual_fmac_f32 v7, v145, v92 :: v_dual_mul_f32 v41, v159, v107
	v_dual_mul_f32 v31, v149, v97 :: v_dual_mul_f32 v33, v151, v99
	v_dual_fmac_f32 v11, v147, v94 :: v_dual_fma_f32 v29, v146, v94, -v29
	s_wait_loadcnt_dscnt 0x601
	s_delay_alu instid0(VALU_DEP_3) | instskip(SKIP_2) | instid1(VALU_DEP_3)
	v_dual_add_f32 v7, 0, v7 :: v_dual_mul_f32 v43, v161, v109
	v_dual_add_f32 v27, 0, v27 :: v_dual_fmac_f32 v13, v149, v96
	v_dual_mul_f32 v15, v150, v99 :: v_dual_mul_f32 v17, v152, v101
	v_dual_fma_f32 v31, v148, v96, -v31 :: v_dual_add_f32 v7, v7, v11
	s_delay_alu instid0(VALU_DEP_3) | instskip(SKIP_1) | instid1(VALU_DEP_4)
	v_dual_add_f32 v11, v27, v29 :: v_dual_fma_f32 v29, v150, v98, -v33
	v_dual_mul_f32 v35, v153, v101 :: v_dual_mul_f32 v37, v155, v103
	v_dual_fmac_f32 v15, v151, v98 :: v_dual_fmac_f32 v17, v153, v100
	s_delay_alu instid0(VALU_DEP_4) | instskip(NEXT) | instid1(VALU_DEP_4)
	v_add_f32_e32 v7, v7, v13
	v_add_f32_e32 v11, v11, v31
	v_dual_mul_f32 v19, v154, v103 :: v_dual_mul_f32 v21, v156, v105
	s_delay_alu instid0(VALU_DEP_3) | instskip(NEXT) | instid1(VALU_DEP_3)
	v_dual_fma_f32 v31, v152, v100, -v35 :: v_dual_add_f32 v7, v7, v15
	v_dual_fma_f32 v15, v154, v102, -v37 :: v_dual_add_f32 v11, v11, v29
	v_dual_mul_f32 v23, v158, v107 :: v_dual_mul_f32 v25, v160, v109
	s_wait_loadcnt 0x4
	v_dual_mov_b32 v92, v115 :: v_dual_mov_b32 v96, v119
	v_dual_fmac_f32 v19, v155, v102 :: v_dual_fmac_f32 v21, v157, v104
	v_dual_add_f32 v7, v7, v17 :: v_dual_fma_f32 v17, v156, v104, -v39
	v_add_f32_e32 v11, v11, v31
	v_dual_mul_f32 v179, v162, v111 :: v_dual_mul_f32 v181, v128, v113
	v_dual_mul_f32 v27, v163, v111 :: v_dual_mul_f32 v13, v129, v113
	s_delay_alu instid0(VALU_DEP_3) | instskip(SKIP_1) | instid1(VALU_DEP_3)
	v_dual_add_f32 v11, v11, v15 :: v_dual_fma_f32 v15, v158, v106, -v41
	v_dual_fmac_f32 v25, v161, v108 :: v_dual_add_f32 v7, v7, v19
	v_fma_f32 v178, v162, v110, -v27
	v_pk_mul_f32 v[92:93], v[170:171], v[92:93] op_sel_hi:[1,0]
	v_dual_fmac_f32 v23, v159, v106 :: v_dual_fma_f32 v180, v128, v112, -v13
	v_dual_fmac_f32 v181, v129, v112 :: v_dual_add_f32 v11, v11, v17
	s_delay_alu instid0(VALU_DEP_3) | instskip(SKIP_2) | instid1(VALU_DEP_4)
	v_pk_fma_f32 v[104:105], v[130:131], v[114:115], v[92:93] op_sel_hi:[1,0,1]
	v_add_f32_e32 v7, v7, v21
	v_pk_fma_f32 v[92:93], v[130:131], v[114:115], v[92:93] neg_lo:[0,0,1] neg_hi:[0,0,1]
	v_dual_fma_f32 v17, v160, v108, -v43 :: v_dual_add_f32 v11, v11, v15
	s_delay_alu instid0(VALU_DEP_3) | instskip(SKIP_2) | instid1(VALU_DEP_4)
	v_dual_mov_b32 v93, v105 :: v_dual_add_f32 v7, v7, v23
	v_fmac_f32_e32 v179, v163, v110
	v_pk_mul_f32 v[94:95], v[132:133], v[116:117] op_sel:[1,1] op_sel_hi:[0,1]
	v_add_f32_e32 v100, v11, v17
	v_pk_mul_f32 v[96:97], v[172:173], v[96:97] op_sel_hi:[1,0]
	v_add_f32_e32 v101, v7, v25
	s_wait_loadcnt 0x3
	v_pk_mul_f32 v[98:99], v[136:137], v[120:121] op_sel:[1,1] op_sel_hi:[0,1]
	v_pk_fma_f32 v[106:107], v[132:133], v[116:117], v[94:95] op_sel_hi:[1,0,1]
	v_pk_fma_f32 v[94:95], v[132:133], v[116:117], v[94:95] neg_lo:[0,0,1] neg_hi:[0,0,1]
	v_mov_b32_e32 v102, v123
	v_pk_add_f32 v[100:101], v[100:101], v[178:179]
	s_wait_loadcnt 0x2
	v_pk_mul_f32 v[104:105], v[140:141], v[124:125] op_sel:[1,1] op_sel_hi:[0,1]
	v_mov_b32_e32 v95, v107
	v_pk_fma_f32 v[106:107], v[134:135], v[118:119], v[96:97] op_sel_hi:[1,0,1]
	v_pk_fma_f32 v[96:97], v[134:135], v[118:119], v[96:97] neg_lo:[0,0,1] neg_hi:[0,0,1]
	v_pk_add_f32 v[100:101], v[100:101], v[180:181]
	v_pk_mul_f32 v[102:103], v[174:175], v[102:103] op_sel_hi:[1,0]
	s_delay_alu instid0(VALU_DEP_4) | instskip(NEXT) | instid1(VALU_DEP_3)
	v_mov_b32_e32 v97, v107
	v_pk_add_f32 v[92:93], v[100:101], v[92:93]
	v_pk_fma_f32 v[100:101], v[136:137], v[120:121], v[98:99] op_sel_hi:[1,0,1]
	v_pk_fma_f32 v[98:99], v[136:137], v[120:121], v[98:99] neg_lo:[0,0,1] neg_hi:[0,0,1]
	s_delay_alu instid0(VALU_DEP_3) | instskip(NEXT) | instid1(VALU_DEP_3)
	v_pk_add_f32 v[92:93], v[92:93], v[94:95]
	v_dual_mov_b32 v94, v127 :: v_dual_mov_b32 v99, v101
	v_pk_fma_f32 v[100:101], v[138:139], v[122:123], v[102:103] op_sel_hi:[1,0,1]
	v_pk_fma_f32 v[102:103], v[138:139], v[122:123], v[102:103] neg_lo:[0,0,1] neg_hi:[0,0,1]
	s_delay_alu instid0(VALU_DEP_4)
	v_pk_add_f32 v[92:93], v[92:93], v[96:97]
	v_pk_fma_f32 v[96:97], v[140:141], v[124:125], v[104:105] op_sel_hi:[1,0,1]
	v_pk_mul_f32 v[94:95], v[176:177], v[94:95] op_sel_hi:[1,0]
	v_mov_b32_e32 v103, v101
	s_wait_loadcnt_dscnt 0x100
	v_pk_mul_f32 v[100:101], v[168:169], v[164:165] op_sel:[1,1] op_sel_hi:[0,1]
	v_pk_add_f32 v[92:93], v[92:93], v[98:99]
	v_pk_fma_f32 v[98:99], v[140:141], v[124:125], v[104:105] neg_lo:[0,0,1] neg_hi:[0,0,1]
	v_mov_b32_e32 v99, v97
	v_pk_fma_f32 v[96:97], v[142:143], v[126:127], v[94:95] op_sel_hi:[1,0,1]
	v_pk_fma_f32 v[94:95], v[142:143], v[126:127], v[94:95] neg_lo:[0,0,1] neg_hi:[0,0,1]
	v_pk_add_f32 v[92:93], v[92:93], v[102:103]
	s_delay_alu instid0(VALU_DEP_3) | instskip(SKIP_1) | instid1(VALU_DEP_3)
	v_mov_b32_e32 v95, v97
	v_pk_fma_f32 v[96:97], v[168:169], v[164:165], v[100:101] op_sel_hi:[1,0,1]
	v_pk_add_f32 v[92:93], v[92:93], v[98:99]
	v_pk_fma_f32 v[98:99], v[168:169], v[164:165], v[100:101] neg_lo:[0,0,1] neg_hi:[0,0,1]
	s_delay_alu instid0(VALU_DEP_3) | instskip(NEXT) | instid1(VALU_DEP_3)
	v_mov_b32_e32 v99, v97
	v_pk_add_f32 v[92:93], v[92:93], v[94:95]
	s_delay_alu instid0(VALU_DEP_1) | instskip(SKIP_1) | instid1(VALU_DEP_1)
	v_pk_add_f32 v[92:93], v[92:93], v[98:99]
	s_wait_loadcnt 0x0
	v_pk_add_f32 v[92:93], v[166:167], v[92:93] neg_lo:[0,1] neg_hi:[0,1]
	scratch_store_b64 off, v[92:93], off offset:200
	s_wait_xcnt 0x0
	v_cmpx_lt_u32_e32 24, v0
	s_cbranch_execz .LBB44_235
; %bb.234:
	scratch_load_b64 v[92:93], off, off offset:192
	v_mov_b64_e32 v[94:95], 0
	scratch_store_b64 off, v[94:95], off offset:192
	s_wait_loadcnt 0x0
	ds_store_b64 v1, v[92:93]
.LBB44_235:
	s_wait_xcnt 0x0
	s_or_b32 exec_lo, exec_lo, s0
	s_wait_storecnt_dscnt 0x0
	s_barrier_signal -1
	s_barrier_wait -1
	s_clause 0xa
	scratch_load_b128 v[92:95], off, off offset:200
	scratch_load_b128 v[96:99], off, off offset:216
	;; [unrolled: 1-line block ×10, first 2 shown]
	scratch_load_b64 v[172:173], off, off offset:192
	ds_load_2addr_b64 v[132:135], v5 offset0:83 offset1:84
	ds_load_2addr_b64 v[136:139], v5 offset0:85 offset1:86
	;; [unrolled: 1-line block ×10, first 2 shown]
	s_mov_b32 s0, exec_lo
	s_wait_dscnt 0x9
	v_dual_mov_b32 v174, v135 :: v_dual_mov_b32 v175, v134
	s_wait_dscnt 0x8
	v_dual_mov_b32 v176, v139 :: v_dual_mov_b32 v177, v138
	;; [unrolled: 2-line block ×4, first 2 shown]
	s_wait_loadcnt_dscnt 0xa05
	v_dual_mul_f32 v5, v148, v93 :: v_dual_mul_f32 v7, v150, v95
	v_dual_mul_f32 v27, v149, v93 :: v_dual_mul_f32 v29, v151, v95
	s_wait_loadcnt_dscnt 0x904
	v_dual_mul_f32 v11, v152, v97 :: v_dual_mul_f32 v13, v154, v99
	s_delay_alu instid0(VALU_DEP_2) | instskip(SKIP_3) | instid1(VALU_DEP_3)
	v_dual_fmac_f32 v5, v149, v92 :: v_dual_fma_f32 v27, v148, v92, -v27
	v_dual_mul_f32 v31, v153, v97 :: v_dual_mul_f32 v33, v155, v99
	s_wait_loadcnt_dscnt 0x702
	v_dual_mul_f32 v39, v161, v105 :: v_dual_fmac_f32 v7, v151, v94
	v_dual_fma_f32 v29, v150, v94, -v29 :: v_dual_add_f32 v5, 0, v5
	v_dual_add_f32 v27, 0, v27 :: v_dual_fmac_f32 v11, v153, v96
	v_dual_mul_f32 v41, v163, v107 :: v_dual_fma_f32 v31, v152, v96, -v31
	s_delay_alu instid0(VALU_DEP_2)
	v_dual_add_f32 v5, v5, v7 :: v_dual_add_f32 v7, v27, v29
	v_dual_mul_f32 v15, v156, v101 :: v_dual_mul_f32 v17, v158, v103
	v_dual_mul_f32 v35, v157, v101 :: v_dual_mul_f32 v37, v159, v103
	s_wait_loadcnt_dscnt 0x601
	v_dual_mul_f32 v27, v165, v109 :: v_dual_fmac_f32 v13, v155, v98
	v_dual_fma_f32 v29, v154, v98, -v33 :: v_dual_add_f32 v5, v5, v11
	v_dual_add_f32 v7, v7, v31 :: v_dual_fmac_f32 v15, v157, v100
	v_dual_mul_f32 v11, v167, v111 :: v_dual_fma_f32 v31, v156, v100, -v35
	s_delay_alu instid0(VALU_DEP_3) | instskip(NEXT) | instid1(VALU_DEP_3)
	v_dual_add_f32 v5, v5, v13 :: v_dual_fmac_f32 v17, v159, v102
	v_dual_add_f32 v7, v7, v29 :: v_dual_fma_f32 v29, v158, v102, -v37
	v_dual_mul_f32 v19, v160, v105 :: v_dual_mul_f32 v21, v162, v107
	s_wait_loadcnt_dscnt 0x500
	s_delay_alu instid0(VALU_DEP_2) | instskip(SKIP_1) | instid1(VALU_DEP_3)
	v_dual_mul_f32 v13, v169, v113 :: v_dual_add_f32 v7, v7, v31
	v_dual_add_f32 v5, v5, v15 :: v_dual_fma_f32 v31, v160, v104, -v39
	v_dual_mul_f32 v15, v171, v115 :: v_dual_fmac_f32 v19, v161, v104
	s_delay_alu instid0(VALU_DEP_3) | instskip(NEXT) | instid1(VALU_DEP_3)
	v_add_f32_e32 v7, v7, v29
	v_dual_add_f32 v5, v5, v17 :: v_dual_fmac_f32 v21, v163, v106
	v_dual_mul_f32 v23, v164, v109 :: v_dual_mul_f32 v25, v166, v111
	s_delay_alu instid0(VALU_DEP_2) | instskip(SKIP_2) | instid1(VALU_DEP_3)
	v_dual_fma_f32 v17, v162, v106, -v41 :: v_dual_add_f32 v5, v5, v19
	s_wait_loadcnt 0x4
	v_mov_b32_e32 v94, v119
	v_dual_add_f32 v7, v7, v31 :: v_dual_fmac_f32 v23, v165, v108
	s_delay_alu instid0(VALU_DEP_3) | instskip(SKIP_1) | instid1(VALU_DEP_3)
	v_dual_fma_f32 v19, v164, v108, -v27 :: v_dual_add_f32 v5, v5, v21
	v_dual_mul_f32 v183, v168, v113 :: v_dual_mul_f32 v185, v170, v115
	v_dual_add_f32 v7, v7, v17 :: v_dual_fma_f32 v11, v166, v110, -v11
	s_delay_alu instid0(VALU_DEP_3) | instskip(SKIP_1) | instid1(VALU_DEP_3)
	v_dual_fmac_f32 v25, v167, v110 :: v_dual_add_f32 v5, v5, v23
	v_pk_mul_f32 v[92:93], v[132:133], v[116:117] op_sel:[1,1] op_sel_hi:[0,1]
	v_dual_add_f32 v7, v7, v19 :: v_dual_fmac_f32 v183, v169, v112
	s_wait_loadcnt 0x3
	v_dual_mov_b32 v98, v123 :: v_dual_fma_f32 v182, v168, v112, -v13
	s_delay_alu instid0(VALU_DEP_2) | instskip(SKIP_3) | instid1(VALU_DEP_4)
	v_dual_add_f32 v101, v5, v25 :: v_dual_add_f32 v100, v7, v11
	v_dual_fmac_f32 v185, v171, v114 :: v_dual_fma_f32 v184, v170, v114, -v15
	v_pk_fma_f32 v[102:103], v[132:133], v[116:117], v[92:93] op_sel_hi:[1,0,1]
	v_pk_mul_f32 v[94:95], v[174:175], v[94:95] op_sel_hi:[1,0]
	v_pk_add_f32 v[100:101], v[100:101], v[182:183]
	v_pk_fma_f32 v[92:93], v[132:133], v[116:117], v[92:93] neg_lo:[0,0,1] neg_hi:[0,0,1]
	v_pk_mul_f32 v[96:97], v[136:137], v[120:121] op_sel:[1,1] op_sel_hi:[0,1]
	v_mov_b32_e32 v93, v103
	v_pk_fma_f32 v[102:103], v[134:135], v[118:119], v[94:95] op_sel_hi:[1,0,1]
	v_pk_add_f32 v[100:101], v[100:101], v[184:185]
	v_pk_fma_f32 v[94:95], v[134:135], v[118:119], v[94:95] neg_lo:[0,0,1] neg_hi:[0,0,1]
	v_pk_fma_f32 v[106:107], v[136:137], v[120:121], v[96:97] op_sel_hi:[1,0,1]
	v_pk_mul_f32 v[98:99], v[176:177], v[98:99] op_sel_hi:[1,0]
	v_mov_b32_e32 v95, v103
	v_pk_add_f32 v[92:93], v[100:101], v[92:93]
	s_wait_loadcnt 0x2
	v_pk_mul_f32 v[104:105], v[140:141], v[124:125] op_sel:[1,1] op_sel_hi:[0,1]
	v_mov_b32_e32 v100, v127
	v_pk_fma_f32 v[96:97], v[136:137], v[120:121], v[96:97] neg_lo:[0,0,1] neg_hi:[0,0,1]
	v_mov_b32_e32 v97, v107
	v_pk_fma_f32 v[102:103], v[138:139], v[122:123], v[98:99] op_sel_hi:[1,0,1]
	v_pk_add_f32 v[92:93], v[92:93], v[94:95]
	v_pk_fma_f32 v[94:95], v[140:141], v[124:125], v[104:105] op_sel_hi:[1,0,1]
	v_pk_mul_f32 v[100:101], v[178:179], v[100:101] op_sel_hi:[1,0]
	v_pk_fma_f32 v[98:99], v[138:139], v[122:123], v[98:99] neg_lo:[0,0,1] neg_hi:[0,0,1]
	v_mov_b32_e32 v99, v103
	v_pk_add_f32 v[92:93], v[92:93], v[96:97]
	v_pk_fma_f32 v[102:103], v[140:141], v[124:125], v[104:105] neg_lo:[0,0,1] neg_hi:[0,0,1]
	v_mov_b32_e32 v103, v95
	v_pk_fma_f32 v[94:95], v[142:143], v[126:127], v[100:101] op_sel_hi:[1,0,1]
	s_wait_loadcnt 0x1
	v_pk_mul_f32 v[96:97], v[144:145], v[128:129] op_sel:[1,1] op_sel_hi:[0,1]
	v_pk_add_f32 v[92:93], v[92:93], v[98:99]
	v_mov_b32_e32 v94, v131
	v_pk_fma_f32 v[100:101], v[142:143], v[126:127], v[100:101] neg_lo:[0,0,1] neg_hi:[0,0,1]
	v_mov_b32_e32 v101, v95
	v_pk_fma_f32 v[98:99], v[144:145], v[128:129], v[96:97] op_sel_hi:[1,0,1]
	v_pk_add_f32 v[92:93], v[92:93], v[102:103]
	v_pk_mul_f32 v[94:95], v[180:181], v[94:95] op_sel_hi:[1,0]
	v_pk_fma_f32 v[96:97], v[144:145], v[128:129], v[96:97] neg_lo:[0,0,1] neg_hi:[0,0,1]
	s_delay_alu instid0(VALU_DEP_4) | instskip(NEXT) | instid1(VALU_DEP_4)
	v_mov_b32_e32 v97, v99
	v_pk_add_f32 v[92:93], v[92:93], v[100:101]
	s_delay_alu instid0(VALU_DEP_4) | instskip(SKIP_1) | instid1(VALU_DEP_2)
	v_pk_fma_f32 v[98:99], v[146:147], v[130:131], v[94:95] op_sel_hi:[1,0,1]
	v_pk_fma_f32 v[94:95], v[146:147], v[130:131], v[94:95] neg_lo:[0,0,1] neg_hi:[0,0,1]
	v_mov_b32_e32 v95, v99
	s_delay_alu instid0(VALU_DEP_4) | instskip(NEXT) | instid1(VALU_DEP_1)
	v_pk_add_f32 v[92:93], v[92:93], v[96:97]
	v_pk_add_f32 v[92:93], v[92:93], v[94:95]
	s_wait_loadcnt 0x0
	s_delay_alu instid0(VALU_DEP_1)
	v_pk_add_f32 v[92:93], v[172:173], v[92:93] neg_lo:[0,1] neg_hi:[0,1]
	scratch_store_b64 off, v[92:93], off offset:192
	s_wait_xcnt 0x0
	v_cmpx_lt_u32_e32 23, v0
	s_cbranch_execz .LBB44_237
; %bb.236:
	scratch_load_b64 v[92:93], off, off offset:184
	v_mov_b64_e32 v[94:95], 0
	scratch_store_b64 off, v[94:95], off offset:184
	s_wait_loadcnt 0x0
	ds_store_b64 v1, v[92:93]
.LBB44_237:
	s_wait_xcnt 0x0
	s_or_b32 exec_lo, exec_lo, s0
	s_wait_storecnt_dscnt 0x0
	s_barrier_signal -1
	s_barrier_wait -1
	s_clause 0xb
	scratch_load_b128 v[92:95], off, off offset:192
	scratch_load_b128 v[96:99], off, off offset:208
	;; [unrolled: 1-line block ×10, first 2 shown]
	scratch_load_b64 v[172:173], off, off offset:352
	scratch_load_b64 v[174:175], off, off offset:184
	v_mov_b32_e32 v5, 0
	ds_load_b128 v[132:135], v5 offset:656
	ds_load_b128 v[136:139], v5 offset:672
	;; [unrolled: 1-line block ×10, first 2 shown]
	ds_load_b64 v[176:177], v5 offset:720
	s_mov_b32 s0, exec_lo
	s_wait_dscnt 0xa
	v_dual_mov_b32 v178, v135 :: v_dual_mov_b32 v179, v134
	s_wait_dscnt 0x7
	v_dual_mov_b32 v180, v139 :: v_dual_mov_b32 v185, v146
	v_dual_mov_b32 v181, v138 :: v_dual_mov_b32 v182, v143
	;; [unrolled: 1-line block ×3, first 2 shown]
	s_wait_loadcnt_dscnt 0xb06
	v_dual_mul_f32 v7, v148, v93 :: v_dual_mul_f32 v11, v150, v95
	s_wait_loadcnt_dscnt 0xa05
	v_mul_f32_e32 v13, v152, v97
	v_dual_mul_f32 v31, v149, v93 :: v_dual_mul_f32 v33, v151, v95
	s_wait_loadcnt_dscnt 0x803
	v_dual_fmac_f32 v7, v149, v92 :: v_dual_mul_f32 v45, v163, v107
	v_dual_mul_f32 v35, v153, v97 :: v_dual_mul_f32 v37, v155, v99
	s_delay_alu instid0(VALU_DEP_3)
	v_dual_mul_f32 v43, v161, v105 :: v_dual_fma_f32 v31, v148, v92, -v31
	v_dual_fmac_f32 v11, v151, v94 :: v_dual_fma_f32 v33, v150, v94, -v33
	s_wait_loadcnt_dscnt 0x702
	v_dual_add_f32 v7, 0, v7 :: v_dual_mul_f32 v47, v165, v109
	v_dual_mul_f32 v15, v154, v99 :: v_dual_mul_f32 v17, v156, v101
	v_dual_add_f32 v31, 0, v31 :: v_dual_fmac_f32 v13, v153, v96
	s_delay_alu instid0(VALU_DEP_3) | instskip(SKIP_1) | instid1(VALU_DEP_3)
	v_dual_fma_f32 v35, v152, v96, -v35 :: v_dual_add_f32 v7, v7, v11
	v_dual_mul_f32 v39, v157, v101 :: v_dual_mul_f32 v41, v159, v103
	v_dual_add_f32 v11, v31, v33 :: v_dual_fma_f32 v33, v154, v98, -v37
	v_dual_fmac_f32 v15, v155, v98 :: v_dual_fmac_f32 v17, v157, v100
	s_delay_alu instid0(VALU_DEP_4) | instskip(NEXT) | instid1(VALU_DEP_3)
	v_dual_add_f32 v7, v7, v13 :: v_dual_mul_f32 v19, v158, v103
	v_dual_mul_f32 v21, v160, v105 :: v_dual_add_f32 v11, v11, v35
	s_delay_alu instid0(VALU_DEP_2) | instskip(SKIP_1) | instid1(VALU_DEP_3)
	v_dual_fma_f32 v35, v156, v100, -v39 :: v_dual_add_f32 v7, v7, v15
	v_dual_mul_f32 v23, v162, v107 :: v_dual_mul_f32 v25, v164, v109
	v_dual_add_f32 v11, v11, v33 :: v_dual_fmac_f32 v21, v161, v104
	v_fmac_f32_e32 v19, v159, v102
	s_delay_alu instid0(VALU_DEP_4) | instskip(SKIP_3) | instid1(VALU_DEP_3)
	v_add_f32_e32 v7, v7, v17
	s_wait_loadcnt_dscnt 0x601
	v_dual_mul_f32 v31, v167, v111 :: v_dual_mul_f32 v13, v169, v113
	v_dual_fma_f32 v33, v158, v102, -v41 :: v_dual_add_f32 v11, v11, v35
	v_dual_fmac_f32 v25, v165, v108 :: v_dual_add_f32 v7, v7, v19
	v_dual_mul_f32 v27, v166, v111 :: v_dual_mul_f32 v29, v168, v113
	v_dual_mul_f32 v15, v171, v115 :: v_dual_fma_f32 v35, v160, v104, -v43
	s_wait_loadcnt 0x4
	v_dual_mov_b32 v92, v119 :: v_dual_mov_b32 v96, v123
	s_delay_alu instid0(VALU_DEP_2) | instskip(SKIP_4) | instid1(VALU_DEP_4)
	v_dual_add_f32 v7, v7, v21 :: v_dual_fma_f32 v186, v170, v114, -v15
	v_dual_fma_f32 v21, v164, v108, -v47 :: v_dual_add_f32 v11, v11, v33
	v_dual_fmac_f32 v29, v169, v112 :: v_dual_mul_f32 v187, v170, v115
	v_dual_mul_f32 v189, v132, v117 :: v_dual_fmac_f32 v23, v163, v106
	v_fma_f32 v13, v168, v112, -v13
	v_dual_fma_f32 v19, v162, v106, -v45 :: v_dual_add_f32 v11, v11, v35
	s_delay_alu instid0(VALU_DEP_3) | instskip(SKIP_4) | instid1(VALU_DEP_4)
	v_fmac_f32_e32 v189, v133, v116
	v_pk_mul_f32 v[92:93], v[178:179], v[92:93] op_sel_hi:[1,0]
	v_dual_mul_f32 v17, v133, v117 :: v_dual_add_f32 v7, v7, v23
	v_fmac_f32_e32 v27, v167, v110
	v_fmac_f32_e32 v187, v171, v114
	v_pk_fma_f32 v[104:105], v[134:135], v[118:119], v[92:93] op_sel_hi:[1,0,1]
	v_add_f32_e32 v11, v11, v19
	v_pk_fma_f32 v[92:93], v[134:135], v[118:119], v[92:93] neg_lo:[0,0,1] neg_hi:[0,0,1]
	v_dual_fma_f32 v19, v166, v110, -v31 :: v_dual_fma_f32 v188, v132, v116, -v17
	s_delay_alu instid0(VALU_DEP_4) | instskip(NEXT) | instid1(VALU_DEP_4)
	v_dual_add_f32 v7, v7, v25 :: v_dual_mov_b32 v93, v105
	v_add_f32_e32 v11, v11, v21
	v_pk_mul_f32 v[94:95], v[136:137], v[120:121] op_sel:[1,1] op_sel_hi:[0,1]
	v_pk_mul_f32 v[96:97], v[180:181], v[96:97] op_sel_hi:[1,0]
	s_delay_alu instid0(VALU_DEP_4)
	v_add_f32_e32 v7, v7, v27
	s_wait_loadcnt 0x3
	v_pk_mul_f32 v[98:99], v[140:141], v[124:125] op_sel:[1,1] op_sel_hi:[0,1]
	v_add_f32_e32 v11, v11, v19
	v_pk_fma_f32 v[106:107], v[136:137], v[120:121], v[94:95] op_sel_hi:[1,0,1]
	v_pk_fma_f32 v[94:95], v[136:137], v[120:121], v[94:95] neg_lo:[0,0,1] neg_hi:[0,0,1]
	v_add_f32_e32 v101, v7, v29
	v_mov_b32_e32 v102, v127
	v_add_f32_e32 v100, v11, v13
	v_mov_b32_e32 v95, v107
	v_pk_fma_f32 v[106:107], v[138:139], v[122:123], v[96:97] op_sel_hi:[1,0,1]
	v_pk_fma_f32 v[96:97], v[138:139], v[122:123], v[96:97] neg_lo:[0,0,1] neg_hi:[0,0,1]
	v_pk_mul_f32 v[102:103], v[182:183], v[102:103] op_sel_hi:[1,0]
	v_pk_add_f32 v[100:101], v[100:101], v[186:187]
	s_wait_loadcnt 0x2
	v_pk_mul_f32 v[104:105], v[144:145], v[128:129] op_sel:[1,1] op_sel_hi:[0,1]
	v_mov_b32_e32 v97, v107
	s_delay_alu instid0(VALU_DEP_3) | instskip(NEXT) | instid1(VALU_DEP_1)
	v_pk_add_f32 v[100:101], v[100:101], v[188:189]
	v_pk_add_f32 v[92:93], v[100:101], v[92:93]
	v_pk_fma_f32 v[100:101], v[140:141], v[124:125], v[98:99] op_sel_hi:[1,0,1]
	v_pk_fma_f32 v[98:99], v[140:141], v[124:125], v[98:99] neg_lo:[0,0,1] neg_hi:[0,0,1]
	s_delay_alu instid0(VALU_DEP_3) | instskip(NEXT) | instid1(VALU_DEP_3)
	v_pk_add_f32 v[92:93], v[92:93], v[94:95]
	v_dual_mov_b32 v94, v131 :: v_dual_mov_b32 v99, v101
	v_pk_fma_f32 v[100:101], v[142:143], v[126:127], v[102:103] op_sel_hi:[1,0,1]
	v_pk_fma_f32 v[102:103], v[142:143], v[126:127], v[102:103] neg_lo:[0,0,1] neg_hi:[0,0,1]
	s_delay_alu instid0(VALU_DEP_4)
	v_pk_add_f32 v[92:93], v[92:93], v[96:97]
	v_pk_fma_f32 v[96:97], v[144:145], v[128:129], v[104:105] op_sel_hi:[1,0,1]
	v_pk_mul_f32 v[94:95], v[184:185], v[94:95] op_sel_hi:[1,0]
	v_mov_b32_e32 v103, v101
	s_wait_loadcnt_dscnt 0x100
	v_pk_mul_f32 v[100:101], v[176:177], v[172:173] op_sel:[1,1] op_sel_hi:[0,1]
	v_pk_add_f32 v[92:93], v[92:93], v[98:99]
	v_pk_fma_f32 v[98:99], v[144:145], v[128:129], v[104:105] neg_lo:[0,0,1] neg_hi:[0,0,1]
	v_mov_b32_e32 v99, v97
	v_pk_fma_f32 v[96:97], v[146:147], v[130:131], v[94:95] op_sel_hi:[1,0,1]
	v_pk_fma_f32 v[94:95], v[146:147], v[130:131], v[94:95] neg_lo:[0,0,1] neg_hi:[0,0,1]
	v_pk_add_f32 v[92:93], v[92:93], v[102:103]
	s_delay_alu instid0(VALU_DEP_3) | instskip(SKIP_1) | instid1(VALU_DEP_3)
	v_mov_b32_e32 v95, v97
	v_pk_fma_f32 v[96:97], v[176:177], v[172:173], v[100:101] op_sel_hi:[1,0,1]
	v_pk_add_f32 v[92:93], v[92:93], v[98:99]
	v_pk_fma_f32 v[98:99], v[176:177], v[172:173], v[100:101] neg_lo:[0,0,1] neg_hi:[0,0,1]
	s_delay_alu instid0(VALU_DEP_3) | instskip(NEXT) | instid1(VALU_DEP_3)
	v_mov_b32_e32 v99, v97
	v_pk_add_f32 v[92:93], v[92:93], v[94:95]
	s_delay_alu instid0(VALU_DEP_1) | instskip(SKIP_1) | instid1(VALU_DEP_1)
	v_pk_add_f32 v[92:93], v[92:93], v[98:99]
	s_wait_loadcnt 0x0
	v_pk_add_f32 v[92:93], v[174:175], v[92:93] neg_lo:[0,1] neg_hi:[0,1]
	scratch_store_b64 off, v[92:93], off offset:184
	s_wait_xcnt 0x0
	v_cmpx_lt_u32_e32 22, v0
	s_cbranch_execz .LBB44_239
; %bb.238:
	scratch_load_b64 v[92:93], off, off offset:176
	v_mov_b64_e32 v[94:95], 0
	scratch_store_b64 off, v[94:95], off offset:176
	s_wait_loadcnt 0x0
	ds_store_b64 v1, v[92:93]
.LBB44_239:
	s_wait_xcnt 0x0
	s_or_b32 exec_lo, exec_lo, s0
	s_wait_storecnt_dscnt 0x0
	s_barrier_signal -1
	s_barrier_wait -1
	s_clause 0xb
	scratch_load_b128 v[92:95], off, off offset:184
	scratch_load_b128 v[96:99], off, off offset:200
	;; [unrolled: 1-line block ×11, first 2 shown]
	scratch_load_b64 v[180:181], off, off offset:176
	ds_load_2addr_b64 v[136:139], v5 offset0:83 offset1:84
	ds_load_2addr_b64 v[140:143], v5 offset0:85 offset1:86
	;; [unrolled: 1-line block ×11, first 2 shown]
	s_mov_b32 s0, exec_lo
	s_wait_dscnt 0xa
	v_dual_mov_b32 v182, v139 :: v_dual_mov_b32 v183, v138
	s_wait_dscnt 0x9
	v_dual_mov_b32 v184, v143 :: v_dual_mov_b32 v185, v142
	;; [unrolled: 2-line block ×4, first 2 shown]
	s_wait_loadcnt_dscnt 0xb06
	v_dual_mul_f32 v5, v152, v93 :: v_dual_mul_f32 v7, v154, v95
	v_dual_mul_f32 v31, v153, v93 :: v_dual_mul_f32 v33, v155, v95
	s_wait_loadcnt_dscnt 0xa05
	v_dual_mul_f32 v11, v156, v97 :: v_dual_mul_f32 v13, v158, v99
	s_delay_alu instid0(VALU_DEP_2) | instskip(SKIP_3) | instid1(VALU_DEP_3)
	v_dual_fmac_f32 v5, v153, v92 :: v_dual_fma_f32 v31, v152, v92, -v31
	v_dual_mul_f32 v35, v157, v97 :: v_dual_mul_f32 v37, v159, v99
	s_wait_loadcnt_dscnt 0x803
	v_dual_mul_f32 v43, v165, v105 :: v_dual_fmac_f32 v7, v155, v94
	v_dual_fma_f32 v33, v154, v94, -v33 :: v_dual_add_f32 v5, 0, v5
	v_dual_add_f32 v31, 0, v31 :: v_dual_fmac_f32 v11, v157, v96
	v_dual_mul_f32 v45, v167, v107 :: v_dual_fma_f32 v35, v156, v96, -v35
	s_delay_alu instid0(VALU_DEP_2)
	v_dual_add_f32 v5, v5, v7 :: v_dual_add_f32 v7, v31, v33
	v_dual_mul_f32 v15, v160, v101 :: v_dual_mul_f32 v17, v162, v103
	v_dual_mul_f32 v39, v161, v101 :: v_dual_mul_f32 v41, v163, v103
	s_wait_loadcnt_dscnt 0x702
	v_dual_mul_f32 v31, v169, v109 :: v_dual_fmac_f32 v13, v159, v98
	v_dual_fma_f32 v33, v158, v98, -v37 :: v_dual_add_f32 v5, v5, v11
	v_dual_add_f32 v7, v7, v35 :: v_dual_fmac_f32 v15, v161, v100
	v_dual_mul_f32 v11, v171, v111 :: v_dual_fma_f32 v35, v160, v100, -v39
	s_delay_alu instid0(VALU_DEP_3) | instskip(NEXT) | instid1(VALU_DEP_3)
	v_dual_add_f32 v5, v5, v13 :: v_dual_fmac_f32 v17, v163, v102
	v_dual_add_f32 v7, v7, v33 :: v_dual_fma_f32 v33, v162, v102, -v41
	v_dual_mul_f32 v19, v164, v105 :: v_dual_mul_f32 v21, v166, v107
	s_wait_loadcnt_dscnt 0x601
	s_delay_alu instid0(VALU_DEP_2) | instskip(SKIP_1) | instid1(VALU_DEP_3)
	v_dual_mul_f32 v13, v173, v113 :: v_dual_add_f32 v7, v7, v35
	v_dual_add_f32 v5, v5, v15 :: v_dual_fma_f32 v35, v164, v104, -v43
	v_dual_mul_f32 v15, v175, v115 :: v_dual_fmac_f32 v19, v165, v104
	s_delay_alu instid0(VALU_DEP_3) | instskip(NEXT) | instid1(VALU_DEP_3)
	v_dual_add_f32 v7, v7, v33 :: v_dual_fma_f32 v33, v166, v106, -v45
	v_dual_add_f32 v5, v5, v17 :: v_dual_fmac_f32 v21, v167, v106
	v_dual_mul_f32 v23, v168, v109 :: v_dual_mul_f32 v25, v170, v111
	s_wait_loadcnt_dscnt 0x500
	s_delay_alu instid0(VALU_DEP_3) | instskip(NEXT) | instid1(VALU_DEP_3)
	v_dual_mul_f32 v17, v177, v117 :: v_dual_add_f32 v7, v7, v35
	v_dual_add_f32 v5, v5, v19 :: v_dual_fma_f32 v31, v168, v108, -v31
	s_delay_alu instid0(VALU_DEP_3) | instskip(NEXT) | instid1(VALU_DEP_3)
	v_dual_mul_f32 v19, v179, v119 :: v_dual_fmac_f32 v23, v169, v108
	v_dual_add_f32 v7, v7, v33 :: v_dual_fma_f32 v11, v170, v110, -v11
	s_delay_alu instid0(VALU_DEP_3) | instskip(SKIP_1) | instid1(VALU_DEP_3)
	v_dual_add_f32 v5, v5, v21 :: v_dual_fmac_f32 v25, v171, v110
	v_dual_mul_f32 v27, v172, v113 :: v_dual_mul_f32 v29, v174, v115
	v_add_f32_e32 v7, v7, v31
	s_wait_loadcnt 0x4
	s_delay_alu instid0(VALU_DEP_3) | instskip(NEXT) | instid1(VALU_DEP_3)
	v_dual_add_f32 v5, v5, v23 :: v_dual_mov_b32 v94, v123
	v_dual_fmac_f32 v27, v173, v112 :: v_dual_fma_f32 v13, v172, v112, -v13
	s_delay_alu instid0(VALU_DEP_3) | instskip(NEXT) | instid1(VALU_DEP_3)
	v_dual_add_f32 v7, v7, v11 :: v_dual_fma_f32 v11, v174, v114, -v15
	v_add_f32_e32 v5, v5, v25
	v_dual_mul_f32 v191, v176, v117 :: v_dual_mul_f32 v193, v178, v119
	v_fmac_f32_e32 v29, v175, v114
	s_delay_alu instid0(VALU_DEP_3)
	v_dual_add_f32 v7, v7, v13 :: v_dual_add_f32 v5, v5, v27
	v_pk_mul_f32 v[92:93], v[136:137], v[120:121] op_sel:[1,1] op_sel_hi:[0,1]
	s_wait_loadcnt 0x3
	v_dual_mov_b32 v98, v127 :: v_dual_fma_f32 v190, v176, v116, -v17
	v_fmac_f32_e32 v191, v177, v116
	v_dual_add_f32 v101, v5, v29 :: v_dual_add_f32 v100, v7, v11
	v_dual_fmac_f32 v193, v179, v118 :: v_dual_fma_f32 v192, v178, v118, -v19
	v_pk_fma_f32 v[102:103], v[136:137], v[120:121], v[92:93] op_sel_hi:[1,0,1]
	v_pk_mul_f32 v[94:95], v[182:183], v[94:95] op_sel_hi:[1,0]
	s_delay_alu instid0(VALU_DEP_4)
	v_pk_add_f32 v[100:101], v[100:101], v[190:191]
	v_pk_fma_f32 v[92:93], v[136:137], v[120:121], v[92:93] neg_lo:[0,0,1] neg_hi:[0,0,1]
	v_pk_mul_f32 v[96:97], v[140:141], v[124:125] op_sel:[1,1] op_sel_hi:[0,1]
	v_mov_b32_e32 v93, v103
	v_pk_fma_f32 v[102:103], v[138:139], v[122:123], v[94:95] op_sel_hi:[1,0,1]
	v_pk_add_f32 v[100:101], v[100:101], v[192:193]
	v_pk_fma_f32 v[94:95], v[138:139], v[122:123], v[94:95] neg_lo:[0,0,1] neg_hi:[0,0,1]
	v_pk_fma_f32 v[106:107], v[140:141], v[124:125], v[96:97] op_sel_hi:[1,0,1]
	v_pk_mul_f32 v[98:99], v[184:185], v[98:99] op_sel_hi:[1,0]
	v_mov_b32_e32 v95, v103
	v_pk_add_f32 v[92:93], v[100:101], v[92:93]
	s_wait_loadcnt 0x2
	v_pk_mul_f32 v[104:105], v[144:145], v[128:129] op_sel:[1,1] op_sel_hi:[0,1]
	v_mov_b32_e32 v100, v131
	v_pk_fma_f32 v[96:97], v[140:141], v[124:125], v[96:97] neg_lo:[0,0,1] neg_hi:[0,0,1]
	v_mov_b32_e32 v97, v107
	v_pk_fma_f32 v[102:103], v[142:143], v[126:127], v[98:99] op_sel_hi:[1,0,1]
	v_pk_add_f32 v[92:93], v[92:93], v[94:95]
	v_pk_fma_f32 v[94:95], v[144:145], v[128:129], v[104:105] op_sel_hi:[1,0,1]
	v_pk_mul_f32 v[100:101], v[186:187], v[100:101] op_sel_hi:[1,0]
	v_pk_fma_f32 v[98:99], v[142:143], v[126:127], v[98:99] neg_lo:[0,0,1] neg_hi:[0,0,1]
	v_mov_b32_e32 v99, v103
	v_pk_add_f32 v[92:93], v[92:93], v[96:97]
	v_pk_fma_f32 v[102:103], v[144:145], v[128:129], v[104:105] neg_lo:[0,0,1] neg_hi:[0,0,1]
	v_mov_b32_e32 v103, v95
	v_pk_fma_f32 v[94:95], v[146:147], v[130:131], v[100:101] op_sel_hi:[1,0,1]
	s_wait_loadcnt 0x1
	v_pk_mul_f32 v[96:97], v[148:149], v[132:133] op_sel:[1,1] op_sel_hi:[0,1]
	v_pk_add_f32 v[92:93], v[92:93], v[98:99]
	v_mov_b32_e32 v94, v135
	v_pk_fma_f32 v[100:101], v[146:147], v[130:131], v[100:101] neg_lo:[0,0,1] neg_hi:[0,0,1]
	v_mov_b32_e32 v101, v95
	v_pk_fma_f32 v[98:99], v[148:149], v[132:133], v[96:97] op_sel_hi:[1,0,1]
	v_pk_add_f32 v[92:93], v[92:93], v[102:103]
	v_pk_mul_f32 v[94:95], v[188:189], v[94:95] op_sel_hi:[1,0]
	v_pk_fma_f32 v[96:97], v[148:149], v[132:133], v[96:97] neg_lo:[0,0,1] neg_hi:[0,0,1]
	s_delay_alu instid0(VALU_DEP_4) | instskip(NEXT) | instid1(VALU_DEP_4)
	v_mov_b32_e32 v97, v99
	v_pk_add_f32 v[92:93], v[92:93], v[100:101]
	s_delay_alu instid0(VALU_DEP_4) | instskip(SKIP_1) | instid1(VALU_DEP_2)
	v_pk_fma_f32 v[98:99], v[150:151], v[134:135], v[94:95] op_sel_hi:[1,0,1]
	v_pk_fma_f32 v[94:95], v[150:151], v[134:135], v[94:95] neg_lo:[0,0,1] neg_hi:[0,0,1]
	v_mov_b32_e32 v95, v99
	s_delay_alu instid0(VALU_DEP_4) | instskip(NEXT) | instid1(VALU_DEP_1)
	v_pk_add_f32 v[92:93], v[92:93], v[96:97]
	v_pk_add_f32 v[92:93], v[92:93], v[94:95]
	s_wait_loadcnt 0x0
	s_delay_alu instid0(VALU_DEP_1)
	v_pk_add_f32 v[92:93], v[180:181], v[92:93] neg_lo:[0,1] neg_hi:[0,1]
	scratch_store_b64 off, v[92:93], off offset:176
	s_wait_xcnt 0x0
	v_cmpx_lt_u32_e32 21, v0
	s_cbranch_execz .LBB44_241
; %bb.240:
	scratch_load_b64 v[92:93], off, off offset:168
	v_mov_b64_e32 v[94:95], 0
	scratch_store_b64 off, v[94:95], off offset:168
	s_wait_loadcnt 0x0
	ds_store_b64 v1, v[92:93]
.LBB44_241:
	s_wait_xcnt 0x0
	s_or_b32 exec_lo, exec_lo, s0
	s_wait_storecnt_dscnt 0x0
	s_barrier_signal -1
	s_barrier_wait -1
	s_clause 0xc
	scratch_load_b128 v[92:95], off, off offset:176
	scratch_load_b128 v[96:99], off, off offset:192
	;; [unrolled: 1-line block ×11, first 2 shown]
	scratch_load_b64 v[180:181], off, off offset:352
	scratch_load_b64 v[182:183], off, off offset:168
	v_mov_b32_e32 v5, 0
	ds_load_b128 v[136:139], v5 offset:656
	ds_load_b128 v[140:143], v5 offset:672
	;; [unrolled: 1-line block ×11, first 2 shown]
	ds_load_b64 v[184:185], v5 offset:720
	s_mov_b32 s0, exec_lo
	s_wait_dscnt 0xb
	v_dual_mov_b32 v186, v139 :: v_dual_mov_b32 v187, v138
	s_wait_dscnt 0x8
	v_dual_mov_b32 v188, v143 :: v_dual_mov_b32 v193, v150
	v_dual_mov_b32 v189, v142 :: v_dual_mov_b32 v190, v147
	;; [unrolled: 1-line block ×3, first 2 shown]
	s_wait_loadcnt_dscnt 0xc07
	v_dual_mul_f32 v7, v152, v93 :: v_dual_mul_f32 v35, v153, v93
	v_dual_mul_f32 v37, v155, v95 :: v_dual_mul_f32 v11, v154, v95
	s_wait_loadcnt_dscnt 0xb06
	v_mul_f32_e32 v13, v156, v97
	s_wait_loadcnt_dscnt 0x904
	v_dual_mul_f32 v47, v165, v105 :: v_dual_fma_f32 v35, v152, v92, -v35
	v_dual_fmac_f32 v7, v153, v92 :: v_dual_mul_f32 v49, v167, v107
	v_dual_mul_f32 v39, v157, v97 :: v_dual_mul_f32 v41, v159, v99
	v_dual_fmac_f32 v11, v155, v94 :: v_dual_fma_f32 v37, v154, v94, -v37
	s_wait_loadcnt_dscnt 0x803
	s_delay_alu instid0(VALU_DEP_3) | instskip(SKIP_1) | instid1(VALU_DEP_2)
	v_dual_add_f32 v7, 0, v7 :: v_dual_mul_f32 v51, v169, v109
	v_dual_add_f32 v35, 0, v35 :: v_dual_fmac_f32 v13, v157, v96
	v_dual_fma_f32 v39, v156, v96, -v39 :: v_dual_add_f32 v7, v7, v11
	v_dual_mul_f32 v15, v158, v99 :: v_dual_mul_f32 v17, v160, v101
	s_delay_alu instid0(VALU_DEP_3) | instskip(SKIP_2) | instid1(VALU_DEP_3)
	v_dual_add_f32 v11, v35, v37 :: v_dual_fma_f32 v37, v158, v98, -v41
	v_dual_mul_f32 v43, v161, v101 :: v_dual_mul_f32 v45, v163, v103
	v_dual_mul_f32 v19, v162, v103 :: v_dual_mul_f32 v21, v164, v105
	v_add_f32_e32 v11, v11, v39
	v_dual_fmac_f32 v15, v159, v98 :: v_dual_fmac_f32 v17, v161, v100
	s_delay_alu instid0(VALU_DEP_4) | instskip(NEXT) | instid1(VALU_DEP_3)
	v_dual_add_f32 v7, v7, v13 :: v_dual_fma_f32 v39, v160, v100, -v43
	v_dual_add_f32 v11, v11, v37 :: v_dual_fmac_f32 v21, v165, v104
	v_dual_mul_f32 v23, v166, v107 :: v_dual_mul_f32 v25, v168, v109
	s_delay_alu instid0(VALU_DEP_3) | instskip(NEXT) | instid1(VALU_DEP_3)
	v_dual_add_f32 v7, v7, v15 :: v_dual_fma_f32 v37, v162, v102, -v45
	v_add_f32_e32 v11, v11, v39
	s_wait_loadcnt_dscnt 0x701
	v_dual_mul_f32 v35, v171, v111 :: v_dual_mul_f32 v13, v177, v113
	v_dual_mul_f32 v15, v179, v115 :: v_dual_fma_f32 v39, v164, v104, -v47
	v_fmac_f32_e32 v19, v163, v102
	v_dual_add_f32 v7, v7, v17 :: v_dual_fmac_f32 v25, v169, v108
	v_dual_add_f32 v11, v11, v37 :: v_dual_mul_f32 v27, v170, v111
	v_dual_mul_f32 v29, v176, v113 :: v_dual_mul_f32 v31, v178, v115
	s_wait_loadcnt 0x6
	v_dual_mul_f32 v33, v172, v117 :: v_dual_fma_f32 v37, v166, v106, -v49
	v_add_f32_e32 v7, v7, v19
	v_add_f32_e32 v11, v11, v39
	s_wait_loadcnt 0x4
	v_dual_mov_b32 v92, v123 :: v_dual_mov_b32 v96, v127
	v_dual_mul_f32 v19, v175, v119 :: v_dual_fmac_f32 v29, v177, v112
	v_dual_fmac_f32 v23, v167, v106 :: v_dual_fma_f32 v13, v176, v112, -v13
	v_dual_fma_f32 v39, v168, v108, -v51 :: v_dual_add_f32 v7, v7, v21
	v_dual_fma_f32 v15, v178, v114, -v15 :: v_dual_fmac_f32 v33, v173, v116
	s_delay_alu instid0(VALU_DEP_4) | instskip(SKIP_1) | instid1(VALU_DEP_4)
	v_dual_add_f32 v11, v11, v37 :: v_dual_fma_f32 v194, v174, v118, -v19
	v_pk_mul_f32 v[92:93], v[186:187], v[92:93] op_sel_hi:[1,0]
	v_dual_mul_f32 v17, v173, v117 :: v_dual_add_f32 v7, v7, v23
	v_fma_f32 v23, v170, v110, -v35
	v_dual_mul_f32 v195, v174, v119 :: v_dual_mul_f32 v197, v136, v121
	s_delay_alu instid0(VALU_DEP_4) | instskip(SKIP_4) | instid1(VALU_DEP_4)
	v_pk_fma_f32 v[104:105], v[138:139], v[122:123], v[92:93] op_sel_hi:[1,0,1]
	v_add_f32_e32 v11, v11, v39
	v_pk_fma_f32 v[92:93], v[138:139], v[122:123], v[92:93] neg_lo:[0,0,1] neg_hi:[0,0,1]
	v_dual_mul_f32 v21, v137, v121 :: v_dual_fmac_f32 v27, v171, v110
	v_fmac_f32_e32 v197, v137, v120
	v_dual_mov_b32 v93, v105 :: v_dual_add_f32 v11, v11, v23
	s_delay_alu instid0(VALU_DEP_3) | instskip(SKIP_2) | instid1(VALU_DEP_4)
	v_dual_fma_f32 v196, v136, v120, -v21 :: v_dual_fmac_f32 v31, v179, v114
	v_fmac_f32_e32 v195, v175, v118
	v_pk_mul_f32 v[94:95], v[140:141], v[124:125] op_sel:[1,1] op_sel_hi:[0,1]
	v_dual_add_f32 v11, v11, v13 :: v_dual_fma_f32 v13, v172, v116, -v17
	v_add_f32_e32 v7, v7, v25
	v_pk_mul_f32 v[96:97], v[188:189], v[96:97] op_sel_hi:[1,0]
	s_delay_alu instid0(VALU_DEP_4) | instskip(NEXT) | instid1(VALU_DEP_4)
	v_pk_fma_f32 v[106:107], v[140:141], v[124:125], v[94:95] op_sel_hi:[1,0,1]
	v_add_f32_e32 v11, v11, v15
	v_pk_fma_f32 v[94:95], v[140:141], v[124:125], v[94:95] neg_lo:[0,0,1] neg_hi:[0,0,1]
	v_add_f32_e32 v7, v7, v27
	s_wait_loadcnt 0x3
	v_pk_mul_f32 v[98:99], v[144:145], v[128:129] op_sel:[1,1] op_sel_hi:[0,1]
	v_dual_mov_b32 v102, v131 :: v_dual_mov_b32 v95, v107
	v_add_f32_e32 v100, v11, v13
	v_add_f32_e32 v7, v7, v29
	v_pk_fma_f32 v[106:107], v[142:143], v[126:127], v[96:97] op_sel_hi:[1,0,1]
	v_pk_fma_f32 v[96:97], v[142:143], v[126:127], v[96:97] neg_lo:[0,0,1] neg_hi:[0,0,1]
	v_pk_mul_f32 v[102:103], v[190:191], v[102:103] op_sel_hi:[1,0]
	s_wait_loadcnt 0x2
	v_pk_mul_f32 v[104:105], v[148:149], v[132:133] op_sel:[1,1] op_sel_hi:[0,1]
	v_add_f32_e32 v7, v7, v31
	v_mov_b32_e32 v97, v107
	s_delay_alu instid0(VALU_DEP_2) | instskip(NEXT) | instid1(VALU_DEP_1)
	v_add_f32_e32 v101, v7, v33
	v_pk_add_f32 v[100:101], v[100:101], v[194:195]
	s_delay_alu instid0(VALU_DEP_1) | instskip(NEXT) | instid1(VALU_DEP_1)
	v_pk_add_f32 v[100:101], v[100:101], v[196:197]
	v_pk_add_f32 v[92:93], v[100:101], v[92:93]
	v_pk_fma_f32 v[100:101], v[144:145], v[128:129], v[98:99] op_sel_hi:[1,0,1]
	v_pk_fma_f32 v[98:99], v[144:145], v[128:129], v[98:99] neg_lo:[0,0,1] neg_hi:[0,0,1]
	s_delay_alu instid0(VALU_DEP_3) | instskip(NEXT) | instid1(VALU_DEP_3)
	v_pk_add_f32 v[92:93], v[92:93], v[94:95]
	v_dual_mov_b32 v94, v135 :: v_dual_mov_b32 v99, v101
	v_pk_fma_f32 v[100:101], v[146:147], v[130:131], v[102:103] op_sel_hi:[1,0,1]
	v_pk_fma_f32 v[102:103], v[146:147], v[130:131], v[102:103] neg_lo:[0,0,1] neg_hi:[0,0,1]
	s_delay_alu instid0(VALU_DEP_4)
	v_pk_add_f32 v[92:93], v[92:93], v[96:97]
	v_pk_fma_f32 v[96:97], v[148:149], v[132:133], v[104:105] op_sel_hi:[1,0,1]
	v_pk_mul_f32 v[94:95], v[192:193], v[94:95] op_sel_hi:[1,0]
	v_mov_b32_e32 v103, v101
	s_wait_loadcnt_dscnt 0x100
	v_pk_mul_f32 v[100:101], v[184:185], v[180:181] op_sel:[1,1] op_sel_hi:[0,1]
	v_pk_add_f32 v[92:93], v[92:93], v[98:99]
	v_pk_fma_f32 v[98:99], v[148:149], v[132:133], v[104:105] neg_lo:[0,0,1] neg_hi:[0,0,1]
	v_mov_b32_e32 v99, v97
	v_pk_fma_f32 v[96:97], v[150:151], v[134:135], v[94:95] op_sel_hi:[1,0,1]
	v_pk_fma_f32 v[94:95], v[150:151], v[134:135], v[94:95] neg_lo:[0,0,1] neg_hi:[0,0,1]
	v_pk_add_f32 v[92:93], v[92:93], v[102:103]
	s_delay_alu instid0(VALU_DEP_3) | instskip(SKIP_1) | instid1(VALU_DEP_3)
	v_mov_b32_e32 v95, v97
	v_pk_fma_f32 v[96:97], v[184:185], v[180:181], v[100:101] op_sel_hi:[1,0,1]
	v_pk_add_f32 v[92:93], v[92:93], v[98:99]
	v_pk_fma_f32 v[98:99], v[184:185], v[180:181], v[100:101] neg_lo:[0,0,1] neg_hi:[0,0,1]
	s_delay_alu instid0(VALU_DEP_3) | instskip(NEXT) | instid1(VALU_DEP_3)
	v_mov_b32_e32 v99, v97
	v_pk_add_f32 v[92:93], v[92:93], v[94:95]
	s_delay_alu instid0(VALU_DEP_1) | instskip(SKIP_1) | instid1(VALU_DEP_1)
	v_pk_add_f32 v[92:93], v[92:93], v[98:99]
	s_wait_loadcnt 0x0
	v_pk_add_f32 v[92:93], v[182:183], v[92:93] neg_lo:[0,1] neg_hi:[0,1]
	scratch_store_b64 off, v[92:93], off offset:168
	s_wait_xcnt 0x0
	v_cmpx_lt_u32_e32 20, v0
	s_cbranch_execz .LBB44_243
; %bb.242:
	scratch_load_b64 v[92:93], off, off offset:160
	v_mov_b64_e32 v[94:95], 0
	scratch_store_b64 off, v[94:95], off offset:160
	s_wait_loadcnt 0x0
	ds_store_b64 v1, v[92:93]
.LBB44_243:
	s_wait_xcnt 0x0
	s_or_b32 exec_lo, exec_lo, s0
	s_wait_storecnt_dscnt 0x0
	s_barrier_signal -1
	s_barrier_wait -1
	s_clause 0xc
	scratch_load_b128 v[92:95], off, off offset:168
	scratch_load_b128 v[96:99], off, off offset:184
	;; [unrolled: 1-line block ×12, first 2 shown]
	scratch_load_b64 v[188:189], off, off offset:160
	ds_load_2addr_b64 v[140:143], v5 offset0:83 offset1:84
	ds_load_2addr_b64 v[144:147], v5 offset0:85 offset1:86
	;; [unrolled: 1-line block ×12, first 2 shown]
	s_mov_b32 s0, exec_lo
	s_wait_dscnt 0xb
	v_dual_mov_b32 v190, v143 :: v_dual_mov_b32 v191, v142
	s_wait_dscnt 0xa
	v_dual_mov_b32 v192, v147 :: v_dual_mov_b32 v193, v146
	;; [unrolled: 2-line block ×4, first 2 shown]
	s_wait_loadcnt_dscnt 0xc07
	v_dual_mul_f32 v5, v156, v93 :: v_dual_mul_f32 v7, v158, v95
	v_dual_mul_f32 v35, v157, v93 :: v_dual_mul_f32 v37, v159, v95
	s_wait_loadcnt_dscnt 0xb06
	v_dual_mul_f32 v11, v160, v97 :: v_dual_mul_f32 v13, v162, v99
	s_delay_alu instid0(VALU_DEP_2) | instskip(SKIP_3) | instid1(VALU_DEP_3)
	v_dual_fmac_f32 v5, v157, v92 :: v_dual_fma_f32 v35, v156, v92, -v35
	v_dual_mul_f32 v39, v161, v97 :: v_dual_mul_f32 v41, v163, v99
	s_wait_loadcnt_dscnt 0x904
	v_dual_mul_f32 v47, v169, v105 :: v_dual_fmac_f32 v7, v159, v94
	v_dual_fma_f32 v37, v158, v94, -v37 :: v_dual_add_f32 v5, 0, v5
	v_dual_add_f32 v35, 0, v35 :: v_dual_fmac_f32 v11, v161, v96
	v_dual_mul_f32 v49, v171, v107 :: v_dual_fma_f32 v39, v160, v96, -v39
	s_delay_alu instid0(VALU_DEP_2)
	v_dual_add_f32 v5, v5, v7 :: v_dual_add_f32 v7, v35, v37
	v_dual_mul_f32 v15, v164, v101 :: v_dual_mul_f32 v17, v166, v103
	v_dual_mul_f32 v43, v165, v101 :: v_dual_mul_f32 v45, v167, v103
	s_wait_loadcnt_dscnt 0x803
	v_dual_mul_f32 v35, v173, v109 :: v_dual_fmac_f32 v13, v163, v98
	v_dual_fma_f32 v37, v162, v98, -v41 :: v_dual_add_f32 v5, v5, v11
	v_dual_add_f32 v7, v7, v39 :: v_dual_fmac_f32 v15, v165, v100
	v_dual_mul_f32 v11, v175, v111 :: v_dual_fma_f32 v39, v164, v100, -v43
	s_delay_alu instid0(VALU_DEP_3) | instskip(NEXT) | instid1(VALU_DEP_3)
	v_dual_add_f32 v5, v5, v13 :: v_dual_fmac_f32 v17, v167, v102
	v_dual_add_f32 v7, v7, v37 :: v_dual_fma_f32 v37, v166, v102, -v45
	v_dual_mul_f32 v19, v168, v105 :: v_dual_mul_f32 v21, v170, v107
	s_wait_loadcnt_dscnt 0x702
	s_delay_alu instid0(VALU_DEP_2) | instskip(SKIP_1) | instid1(VALU_DEP_3)
	v_dual_mul_f32 v13, v177, v113 :: v_dual_add_f32 v7, v7, v39
	v_dual_add_f32 v5, v5, v15 :: v_dual_fma_f32 v39, v168, v104, -v47
	v_dual_mul_f32 v15, v179, v115 :: v_dual_fmac_f32 v19, v169, v104
	s_delay_alu instid0(VALU_DEP_3) | instskip(NEXT) | instid1(VALU_DEP_3)
	v_dual_add_f32 v7, v7, v37 :: v_dual_fma_f32 v37, v170, v106, -v49
	v_dual_add_f32 v5, v5, v17 :: v_dual_fmac_f32 v21, v171, v106
	v_dual_mul_f32 v23, v172, v109 :: v_dual_mul_f32 v25, v174, v111
	s_wait_loadcnt_dscnt 0x601
	s_delay_alu instid0(VALU_DEP_3) | instskip(NEXT) | instid1(VALU_DEP_3)
	v_dual_mul_f32 v17, v181, v117 :: v_dual_add_f32 v7, v7, v39
	v_dual_add_f32 v5, v5, v19 :: v_dual_fma_f32 v35, v172, v108, -v35
	s_delay_alu instid0(VALU_DEP_3) | instskip(NEXT) | instid1(VALU_DEP_3)
	v_dual_mul_f32 v19, v183, v119 :: v_dual_fmac_f32 v23, v173, v108
	v_dual_add_f32 v7, v7, v37 :: v_dual_fma_f32 v11, v174, v110, -v11
	s_delay_alu instid0(VALU_DEP_3) | instskip(SKIP_2) | instid1(VALU_DEP_3)
	v_dual_add_f32 v5, v5, v21 :: v_dual_fmac_f32 v25, v175, v110
	v_dual_mul_f32 v27, v176, v113 :: v_dual_mul_f32 v29, v178, v115
	s_wait_loadcnt_dscnt 0x500
	v_dual_mul_f32 v21, v185, v121 :: v_dual_add_f32 v7, v7, v35
	s_delay_alu instid0(VALU_DEP_3) | instskip(NEXT) | instid1(VALU_DEP_3)
	v_dual_add_f32 v5, v5, v23 :: v_dual_fma_f32 v13, v176, v112, -v13
	v_dual_mul_f32 v23, v187, v123 :: v_dual_fmac_f32 v27, v177, v112
	s_delay_alu instid0(VALU_DEP_2) | instskip(SKIP_2) | instid1(VALU_DEP_3)
	v_dual_add_f32 v7, v7, v11 :: v_dual_add_f32 v5, v5, v25
	v_dual_mul_f32 v31, v180, v117 :: v_dual_mul_f32 v33, v182, v119
	v_dual_fmac_f32 v29, v179, v114 :: v_dual_fma_f32 v11, v178, v114, -v15
	v_dual_add_f32 v5, v5, v27 :: v_dual_add_f32 v7, v7, v13
	s_wait_loadcnt 0x4
	s_delay_alu instid0(VALU_DEP_3) | instskip(NEXT) | instid1(VALU_DEP_2)
	v_dual_mov_b32 v94, v127 :: v_dual_fmac_f32 v31, v181, v116
	v_dual_fma_f32 v13, v180, v116, -v17 :: v_dual_add_f32 v5, v5, v29
	s_delay_alu instid0(VALU_DEP_3) | instskip(SKIP_1) | instid1(VALU_DEP_3)
	v_dual_add_f32 v7, v7, v11 :: v_dual_fma_f32 v11, v182, v118, -v19
	v_dual_mul_f32 v199, v184, v121 :: v_dual_mul_f32 v201, v186, v123
	v_dual_fmac_f32 v33, v183, v118 :: v_dual_add_f32 v5, v5, v31
	s_delay_alu instid0(VALU_DEP_2) | instskip(SKIP_3) | instid1(VALU_DEP_3)
	v_dual_add_f32 v7, v7, v13 :: v_dual_fmac_f32 v199, v185, v120
	v_pk_mul_f32 v[92:93], v[140:141], v[124:125] op_sel:[1,1] op_sel_hi:[0,1]
	s_wait_loadcnt 0x3
	v_dual_mov_b32 v98, v131 :: v_dual_fma_f32 v198, v184, v120, -v21
	v_dual_add_f32 v101, v5, v33 :: v_dual_add_f32 v100, v7, v11
	v_dual_fmac_f32 v201, v187, v122 :: v_dual_fma_f32 v200, v186, v122, -v23
	v_pk_fma_f32 v[102:103], v[140:141], v[124:125], v[92:93] op_sel_hi:[1,0,1]
	v_pk_mul_f32 v[94:95], v[190:191], v[94:95] op_sel_hi:[1,0]
	s_delay_alu instid0(VALU_DEP_4)
	v_pk_add_f32 v[100:101], v[100:101], v[198:199]
	v_pk_fma_f32 v[92:93], v[140:141], v[124:125], v[92:93] neg_lo:[0,0,1] neg_hi:[0,0,1]
	v_pk_mul_f32 v[96:97], v[144:145], v[128:129] op_sel:[1,1] op_sel_hi:[0,1]
	v_mov_b32_e32 v93, v103
	v_pk_fma_f32 v[102:103], v[142:143], v[126:127], v[94:95] op_sel_hi:[1,0,1]
	v_pk_add_f32 v[100:101], v[100:101], v[200:201]
	v_pk_fma_f32 v[94:95], v[142:143], v[126:127], v[94:95] neg_lo:[0,0,1] neg_hi:[0,0,1]
	v_pk_fma_f32 v[106:107], v[144:145], v[128:129], v[96:97] op_sel_hi:[1,0,1]
	v_pk_mul_f32 v[98:99], v[192:193], v[98:99] op_sel_hi:[1,0]
	v_mov_b32_e32 v95, v103
	v_pk_add_f32 v[92:93], v[100:101], v[92:93]
	s_wait_loadcnt 0x2
	v_pk_mul_f32 v[104:105], v[148:149], v[132:133] op_sel:[1,1] op_sel_hi:[0,1]
	v_mov_b32_e32 v100, v135
	v_pk_fma_f32 v[96:97], v[144:145], v[128:129], v[96:97] neg_lo:[0,0,1] neg_hi:[0,0,1]
	v_mov_b32_e32 v97, v107
	v_pk_fma_f32 v[102:103], v[146:147], v[130:131], v[98:99] op_sel_hi:[1,0,1]
	v_pk_add_f32 v[92:93], v[92:93], v[94:95]
	v_pk_fma_f32 v[94:95], v[148:149], v[132:133], v[104:105] op_sel_hi:[1,0,1]
	v_pk_mul_f32 v[100:101], v[194:195], v[100:101] op_sel_hi:[1,0]
	v_pk_fma_f32 v[98:99], v[146:147], v[130:131], v[98:99] neg_lo:[0,0,1] neg_hi:[0,0,1]
	v_mov_b32_e32 v99, v103
	v_pk_add_f32 v[92:93], v[92:93], v[96:97]
	v_pk_fma_f32 v[102:103], v[148:149], v[132:133], v[104:105] neg_lo:[0,0,1] neg_hi:[0,0,1]
	v_mov_b32_e32 v103, v95
	v_pk_fma_f32 v[94:95], v[150:151], v[134:135], v[100:101] op_sel_hi:[1,0,1]
	s_wait_loadcnt 0x1
	v_pk_mul_f32 v[96:97], v[152:153], v[136:137] op_sel:[1,1] op_sel_hi:[0,1]
	v_pk_add_f32 v[92:93], v[92:93], v[98:99]
	v_mov_b32_e32 v94, v139
	v_pk_fma_f32 v[100:101], v[150:151], v[134:135], v[100:101] neg_lo:[0,0,1] neg_hi:[0,0,1]
	v_mov_b32_e32 v101, v95
	v_pk_fma_f32 v[98:99], v[152:153], v[136:137], v[96:97] op_sel_hi:[1,0,1]
	v_pk_add_f32 v[92:93], v[92:93], v[102:103]
	v_pk_mul_f32 v[94:95], v[196:197], v[94:95] op_sel_hi:[1,0]
	v_pk_fma_f32 v[96:97], v[152:153], v[136:137], v[96:97] neg_lo:[0,0,1] neg_hi:[0,0,1]
	s_delay_alu instid0(VALU_DEP_4) | instskip(NEXT) | instid1(VALU_DEP_4)
	v_mov_b32_e32 v97, v99
	v_pk_add_f32 v[92:93], v[92:93], v[100:101]
	s_delay_alu instid0(VALU_DEP_4) | instskip(SKIP_1) | instid1(VALU_DEP_2)
	v_pk_fma_f32 v[98:99], v[154:155], v[138:139], v[94:95] op_sel_hi:[1,0,1]
	v_pk_fma_f32 v[94:95], v[154:155], v[138:139], v[94:95] neg_lo:[0,0,1] neg_hi:[0,0,1]
	v_mov_b32_e32 v95, v99
	s_delay_alu instid0(VALU_DEP_4) | instskip(NEXT) | instid1(VALU_DEP_1)
	v_pk_add_f32 v[92:93], v[92:93], v[96:97]
	v_pk_add_f32 v[92:93], v[92:93], v[94:95]
	s_wait_loadcnt 0x0
	s_delay_alu instid0(VALU_DEP_1)
	v_pk_add_f32 v[92:93], v[188:189], v[92:93] neg_lo:[0,1] neg_hi:[0,1]
	scratch_store_b64 off, v[92:93], off offset:160
	s_wait_xcnt 0x0
	v_cmpx_lt_u32_e32 19, v0
	s_cbranch_execz .LBB44_245
; %bb.244:
	scratch_load_b64 v[92:93], off, off offset:152
	v_mov_b64_e32 v[94:95], 0
	scratch_store_b64 off, v[94:95], off offset:152
	s_wait_loadcnt 0x0
	ds_store_b64 v1, v[92:93]
.LBB44_245:
	s_wait_xcnt 0x0
	s_or_b32 exec_lo, exec_lo, s0
	s_wait_storecnt_dscnt 0x0
	s_barrier_signal -1
	s_barrier_wait -1
	s_clause 0xd
	scratch_load_b128 v[92:95], off, off offset:160
	scratch_load_b128 v[96:99], off, off offset:176
	;; [unrolled: 1-line block ×12, first 2 shown]
	scratch_load_b64 v[188:189], off, off offset:352
	scratch_load_b64 v[190:191], off, off offset:152
	v_mov_b32_e32 v5, 0
	ds_load_b128 v[140:143], v5 offset:656
	ds_load_b128 v[144:147], v5 offset:672
	;; [unrolled: 1-line block ×12, first 2 shown]
	ds_load_b64 v[192:193], v5 offset:720
	s_mov_b32 s0, exec_lo
	s_wait_dscnt 0xc
	v_dual_mov_b32 v194, v143 :: v_dual_mov_b32 v195, v142
	s_wait_dscnt 0x9
	v_dual_mov_b32 v196, v147 :: v_dual_mov_b32 v201, v154
	v_dual_mov_b32 v197, v146 :: v_dual_mov_b32 v198, v151
	;; [unrolled: 1-line block ×3, first 2 shown]
	s_wait_loadcnt_dscnt 0xd08
	v_dual_mul_f32 v7, v156, v93 :: v_dual_mul_f32 v39, v157, v93
	v_dual_mul_f32 v41, v159, v95 :: v_dual_mul_f32 v11, v158, v95
	s_wait_loadcnt_dscnt 0xc07
	v_mul_f32_e32 v13, v160, v97
	s_wait_loadcnt_dscnt 0xa05
	v_dual_mul_f32 v51, v169, v105 :: v_dual_fma_f32 v39, v156, v92, -v39
	v_dual_fmac_f32 v7, v157, v92 :: v_dual_mul_f32 v53, v171, v107
	v_dual_mul_f32 v43, v161, v97 :: v_dual_mul_f32 v45, v163, v99
	v_dual_fmac_f32 v11, v159, v94 :: v_dual_fma_f32 v41, v158, v94, -v41
	s_wait_loadcnt_dscnt 0x904
	s_delay_alu instid0(VALU_DEP_3) | instskip(SKIP_2) | instid1(VALU_DEP_3)
	v_dual_add_f32 v7, 0, v7 :: v_dual_mul_f32 v55, v173, v109
	v_dual_add_f32 v39, 0, v39 :: v_dual_fmac_f32 v13, v161, v96
	v_dual_mul_f32 v15, v162, v99 :: v_dual_mul_f32 v17, v164, v101
	v_dual_fma_f32 v43, v160, v96, -v43 :: v_dual_add_f32 v7, v7, v11
	s_delay_alu instid0(VALU_DEP_3) | instskip(SKIP_1) | instid1(VALU_DEP_4)
	v_dual_add_f32 v11, v39, v41 :: v_dual_fma_f32 v41, v162, v98, -v45
	v_dual_mul_f32 v47, v165, v101 :: v_dual_mul_f32 v49, v167, v103
	v_dual_fmac_f32 v15, v163, v98 :: v_dual_fmac_f32 v17, v165, v100
	s_delay_alu instid0(VALU_DEP_4) | instskip(NEXT) | instid1(VALU_DEP_4)
	v_add_f32_e32 v7, v7, v13
	v_add_f32_e32 v11, v11, v43
	v_dual_mul_f32 v19, v166, v103 :: v_dual_mul_f32 v21, v168, v105
	s_delay_alu instid0(VALU_DEP_3) | instskip(NEXT) | instid1(VALU_DEP_3)
	v_dual_fma_f32 v43, v164, v100, -v47 :: v_dual_add_f32 v7, v7, v15
	v_dual_add_f32 v11, v11, v41 :: v_dual_mul_f32 v23, v170, v107
	s_delay_alu instid0(VALU_DEP_3) | instskip(NEXT) | instid1(VALU_DEP_3)
	v_dual_mul_f32 v25, v172, v109 :: v_dual_fmac_f32 v19, v167, v102
	v_dual_fma_f32 v41, v166, v102, -v49 :: v_dual_add_f32 v7, v7, v17
	s_delay_alu instid0(VALU_DEP_3) | instskip(NEXT) | instid1(VALU_DEP_3)
	v_dual_fmac_f32 v21, v169, v104 :: v_dual_add_f32 v11, v11, v43
	v_dual_fmac_f32 v25, v173, v108 :: v_dual_mul_f32 v39, v175, v111
	s_wait_loadcnt_dscnt 0x803
	v_dual_mul_f32 v13, v177, v113 :: v_dual_mul_f32 v15, v179, v115
	s_delay_alu instid0(VALU_DEP_3) | instskip(NEXT) | instid1(VALU_DEP_3)
	v_dual_fma_f32 v43, v168, v104, -v51 :: v_dual_add_f32 v11, v11, v41
	v_fma_f32 v39, v174, v110, -v39
	v_dual_fma_f32 v41, v170, v106, -v53 :: v_dual_add_f32 v7, v7, v19
	v_dual_mul_f32 v27, v174, v111 :: v_dual_mul_f32 v29, v176, v113
	v_fmac_f32_e32 v23, v171, v106
	v_dual_add_f32 v11, v11, v43 :: v_dual_fma_f32 v15, v178, v114, -v15
	s_delay_alu instid0(VALU_DEP_4) | instskip(SKIP_4) | instid1(VALU_DEP_2)
	v_dual_fma_f32 v43, v172, v108, -v55 :: v_dual_add_f32 v7, v7, v21
	v_dual_fma_f32 v13, v176, v112, -v13 :: v_dual_mul_f32 v31, v178, v115
	s_wait_loadcnt_dscnt 0x702
	v_dual_mul_f32 v33, v180, v117 :: v_dual_mul_f32 v17, v181, v117
	v_dual_add_f32 v11, v11, v41 :: v_dual_fmac_f32 v29, v177, v112
	v_dual_add_f32 v7, v7, v23 :: v_dual_fmac_f32 v33, v181, v116
	s_wait_loadcnt_dscnt 0x601
	v_dual_mul_f32 v19, v183, v119 :: v_dual_mul_f32 v21, v185, v121
	v_dual_mul_f32 v35, v182, v119 :: v_dual_mul_f32 v37, v184, v121
	s_delay_alu instid0(VALU_DEP_3) | instskip(SKIP_4) | instid1(VALU_DEP_3)
	v_add_f32_e32 v7, v7, v25
	s_wait_loadcnt 0x5
	v_dual_mul_f32 v25, v141, v125 :: v_dual_mul_f32 v23, v187, v123
	v_add_f32_e32 v11, v11, v43
	v_dual_fmac_f32 v27, v175, v110 :: v_dual_fmac_f32 v37, v185, v120
	v_dual_fma_f32 v204, v140, v124, -v25 :: v_dual_mov_b32 v92, v127
	s_wait_loadcnt 0x4
	v_mov_b32_e32 v96, v131
	v_add_f32_e32 v11, v11, v39
	v_dual_mul_f32 v203, v186, v123 :: v_dual_mul_f32 v205, v140, v125
	v_pk_mul_f32 v[92:93], v[194:195], v[92:93] op_sel_hi:[1,0]
	v_fmac_f32_e32 v35, v183, v118
	s_delay_alu instid0(VALU_DEP_4) | instskip(NEXT) | instid1(VALU_DEP_4)
	v_dual_add_f32 v11, v11, v13 :: v_dual_fma_f32 v13, v180, v116, -v17
	v_fmac_f32_e32 v205, v141, v124
	s_delay_alu instid0(VALU_DEP_4) | instskip(SKIP_1) | instid1(VALU_DEP_4)
	v_pk_fma_f32 v[104:105], v[142:143], v[126:127], v[92:93] op_sel_hi:[1,0,1]
	v_fmac_f32_e32 v31, v179, v114
	v_add_f32_e32 v11, v11, v15
	v_pk_fma_f32 v[92:93], v[142:143], v[126:127], v[92:93] neg_lo:[0,0,1] neg_hi:[0,0,1]
	s_delay_alu instid0(VALU_DEP_4) | instskip(SKIP_1) | instid1(VALU_DEP_4)
	v_dual_fma_f32 v15, v182, v118, -v19 :: v_dual_mov_b32 v93, v105
	v_fmac_f32_e32 v203, v187, v122
	v_dual_add_f32 v11, v11, v13 :: v_dual_fma_f32 v13, v184, v120, -v21
	v_dual_add_f32 v7, v7, v27 :: v_dual_fma_f32 v202, v186, v122, -v23
	v_pk_mul_f32 v[94:95], v[144:145], v[128:129] op_sel:[1,1] op_sel_hi:[0,1]
	s_delay_alu instid0(VALU_DEP_3) | instskip(SKIP_1) | instid1(VALU_DEP_4)
	v_add_f32_e32 v11, v11, v15
	v_pk_mul_f32 v[96:97], v[196:197], v[96:97] op_sel_hi:[1,0]
	v_add_f32_e32 v7, v7, v29
	s_wait_loadcnt 0x3
	v_pk_mul_f32 v[98:99], v[148:149], v[132:133] op_sel:[1,1] op_sel_hi:[0,1]
	v_pk_fma_f32 v[106:107], v[144:145], v[128:129], v[94:95] op_sel_hi:[1,0,1]
	v_add_f32_e32 v100, v11, v13
	v_pk_fma_f32 v[94:95], v[144:145], v[128:129], v[94:95] neg_lo:[0,0,1] neg_hi:[0,0,1]
	v_add_f32_e32 v7, v7, v31
	s_delay_alu instid0(VALU_DEP_4) | instskip(SKIP_2) | instid1(VALU_DEP_4)
	v_dual_mov_b32 v102, v135 :: v_dual_mov_b32 v95, v107
	v_pk_fma_f32 v[106:107], v[146:147], v[130:131], v[96:97] op_sel_hi:[1,0,1]
	v_pk_fma_f32 v[96:97], v[146:147], v[130:131], v[96:97] neg_lo:[0,0,1] neg_hi:[0,0,1]
	v_add_f32_e32 v7, v7, v33
	s_delay_alu instid0(VALU_DEP_4) | instskip(SKIP_4) | instid1(VALU_DEP_1)
	v_pk_mul_f32 v[102:103], v[198:199], v[102:103] op_sel_hi:[1,0]
	s_wait_loadcnt 0x2
	v_pk_mul_f32 v[104:105], v[152:153], v[136:137] op_sel:[1,1] op_sel_hi:[0,1]
	v_mov_b32_e32 v97, v107
	v_add_f32_e32 v7, v7, v35
	v_add_f32_e32 v101, v7, v37
	s_delay_alu instid0(VALU_DEP_1) | instskip(NEXT) | instid1(VALU_DEP_1)
	v_pk_add_f32 v[100:101], v[100:101], v[202:203]
	v_pk_add_f32 v[100:101], v[100:101], v[204:205]
	s_delay_alu instid0(VALU_DEP_1) | instskip(SKIP_2) | instid1(VALU_DEP_3)
	v_pk_add_f32 v[92:93], v[100:101], v[92:93]
	v_pk_fma_f32 v[100:101], v[148:149], v[132:133], v[98:99] op_sel_hi:[1,0,1]
	v_pk_fma_f32 v[98:99], v[148:149], v[132:133], v[98:99] neg_lo:[0,0,1] neg_hi:[0,0,1]
	v_pk_add_f32 v[92:93], v[92:93], v[94:95]
	s_delay_alu instid0(VALU_DEP_3) | instskip(SKIP_2) | instid1(VALU_DEP_4)
	v_dual_mov_b32 v94, v139 :: v_dual_mov_b32 v99, v101
	v_pk_fma_f32 v[100:101], v[150:151], v[134:135], v[102:103] op_sel_hi:[1,0,1]
	v_pk_fma_f32 v[102:103], v[150:151], v[134:135], v[102:103] neg_lo:[0,0,1] neg_hi:[0,0,1]
	v_pk_add_f32 v[92:93], v[92:93], v[96:97]
	v_pk_fma_f32 v[96:97], v[152:153], v[136:137], v[104:105] op_sel_hi:[1,0,1]
	v_pk_mul_f32 v[94:95], v[200:201], v[94:95] op_sel_hi:[1,0]
	v_mov_b32_e32 v103, v101
	s_wait_loadcnt_dscnt 0x100
	v_pk_mul_f32 v[100:101], v[192:193], v[188:189] op_sel:[1,1] op_sel_hi:[0,1]
	v_pk_add_f32 v[92:93], v[92:93], v[98:99]
	v_pk_fma_f32 v[98:99], v[152:153], v[136:137], v[104:105] neg_lo:[0,0,1] neg_hi:[0,0,1]
	v_mov_b32_e32 v99, v97
	v_pk_fma_f32 v[96:97], v[154:155], v[138:139], v[94:95] op_sel_hi:[1,0,1]
	v_pk_fma_f32 v[94:95], v[154:155], v[138:139], v[94:95] neg_lo:[0,0,1] neg_hi:[0,0,1]
	v_pk_add_f32 v[92:93], v[92:93], v[102:103]
	s_delay_alu instid0(VALU_DEP_3) | instskip(SKIP_1) | instid1(VALU_DEP_3)
	v_mov_b32_e32 v95, v97
	v_pk_fma_f32 v[96:97], v[192:193], v[188:189], v[100:101] op_sel_hi:[1,0,1]
	v_pk_add_f32 v[92:93], v[92:93], v[98:99]
	v_pk_fma_f32 v[98:99], v[192:193], v[188:189], v[100:101] neg_lo:[0,0,1] neg_hi:[0,0,1]
	s_delay_alu instid0(VALU_DEP_3) | instskip(NEXT) | instid1(VALU_DEP_3)
	v_mov_b32_e32 v99, v97
	v_pk_add_f32 v[92:93], v[92:93], v[94:95]
	s_delay_alu instid0(VALU_DEP_1) | instskip(SKIP_1) | instid1(VALU_DEP_1)
	v_pk_add_f32 v[92:93], v[92:93], v[98:99]
	s_wait_loadcnt 0x0
	v_pk_add_f32 v[92:93], v[190:191], v[92:93] neg_lo:[0,1] neg_hi:[0,1]
	scratch_store_b64 off, v[92:93], off offset:152
	s_wait_xcnt 0x0
	v_cmpx_lt_u32_e32 18, v0
	s_cbranch_execz .LBB44_247
; %bb.246:
	scratch_load_b64 v[92:93], off, off offset:144
	v_mov_b64_e32 v[94:95], 0
	scratch_store_b64 off, v[94:95], off offset:144
	s_wait_loadcnt 0x0
	ds_store_b64 v1, v[92:93]
.LBB44_247:
	s_wait_xcnt 0x0
	s_or_b32 exec_lo, exec_lo, s0
	s_wait_storecnt_dscnt 0x0
	s_barrier_signal -1
	s_barrier_wait -1
	s_clause 0xd
	scratch_load_b128 v[92:95], off, off offset:152
	scratch_load_b128 v[96:99], off, off offset:168
	;; [unrolled: 1-line block ×13, first 2 shown]
	scratch_load_b64 v[196:197], off, off offset:144
	ds_load_2addr_b64 v[144:147], v5 offset0:83 offset1:84
	ds_load_2addr_b64 v[148:151], v5 offset0:85 offset1:86
	;; [unrolled: 1-line block ×13, first 2 shown]
	s_mov_b32 s0, exec_lo
	s_wait_dscnt 0xc
	v_dual_mov_b32 v198, v147 :: v_dual_mov_b32 v199, v146
	s_wait_dscnt 0xb
	v_dual_mov_b32 v200, v151 :: v_dual_mov_b32 v201, v150
	;; [unrolled: 2-line block ×4, first 2 shown]
	s_wait_loadcnt_dscnt 0xd08
	v_dual_mul_f32 v5, v160, v93 :: v_dual_mul_f32 v7, v162, v95
	v_dual_mul_f32 v39, v161, v93 :: v_dual_mul_f32 v41, v163, v95
	s_wait_loadcnt_dscnt 0xc07
	v_dual_mul_f32 v11, v164, v97 :: v_dual_mul_f32 v13, v166, v99
	s_delay_alu instid0(VALU_DEP_2) | instskip(SKIP_3) | instid1(VALU_DEP_3)
	v_dual_fmac_f32 v5, v161, v92 :: v_dual_fma_f32 v39, v160, v92, -v39
	v_dual_mul_f32 v43, v165, v97 :: v_dual_mul_f32 v45, v167, v99
	s_wait_loadcnt_dscnt 0xa05
	v_dual_mul_f32 v51, v173, v105 :: v_dual_fmac_f32 v7, v163, v94
	v_dual_fma_f32 v41, v162, v94, -v41 :: v_dual_add_f32 v5, 0, v5
	v_dual_add_f32 v39, 0, v39 :: v_dual_fmac_f32 v11, v165, v96
	v_dual_mul_f32 v53, v175, v107 :: v_dual_fma_f32 v43, v164, v96, -v43
	s_delay_alu instid0(VALU_DEP_2)
	v_dual_add_f32 v5, v5, v7 :: v_dual_add_f32 v7, v39, v41
	v_dual_mul_f32 v15, v168, v101 :: v_dual_mul_f32 v17, v170, v103
	v_dual_mul_f32 v47, v169, v101 :: v_dual_mul_f32 v49, v171, v103
	s_wait_loadcnt_dscnt 0x903
	v_dual_mul_f32 v39, v181, v109 :: v_dual_fmac_f32 v13, v167, v98
	v_dual_fma_f32 v41, v166, v98, -v45 :: v_dual_add_f32 v5, v5, v11
	v_dual_add_f32 v7, v7, v43 :: v_dual_fmac_f32 v15, v169, v100
	v_dual_mul_f32 v11, v183, v111 :: v_dual_fma_f32 v43, v168, v100, -v47
	s_delay_alu instid0(VALU_DEP_3) | instskip(NEXT) | instid1(VALU_DEP_3)
	v_dual_add_f32 v5, v5, v13 :: v_dual_fmac_f32 v17, v171, v102
	v_dual_add_f32 v7, v7, v41 :: v_dual_fma_f32 v41, v170, v102, -v49
	v_dual_mul_f32 v19, v172, v105 :: v_dual_mul_f32 v21, v174, v107
	s_wait_loadcnt_dscnt 0x802
	s_delay_alu instid0(VALU_DEP_2) | instskip(SKIP_1) | instid1(VALU_DEP_3)
	v_dual_mul_f32 v13, v185, v113 :: v_dual_add_f32 v7, v7, v43
	v_dual_add_f32 v5, v5, v15 :: v_dual_fma_f32 v43, v172, v104, -v51
	v_dual_mul_f32 v15, v187, v115 :: v_dual_fmac_f32 v19, v173, v104
	s_delay_alu instid0(VALU_DEP_3) | instskip(NEXT) | instid1(VALU_DEP_3)
	v_dual_add_f32 v7, v7, v41 :: v_dual_fma_f32 v41, v174, v106, -v53
	v_dual_add_f32 v5, v5, v17 :: v_dual_fmac_f32 v21, v175, v106
	v_dual_mul_f32 v23, v180, v109 :: v_dual_mul_f32 v25, v182, v111
	s_wait_loadcnt_dscnt 0x701
	s_delay_alu instid0(VALU_DEP_3) | instskip(NEXT) | instid1(VALU_DEP_3)
	v_dual_mul_f32 v17, v189, v117 :: v_dual_add_f32 v7, v7, v43
	v_dual_add_f32 v5, v5, v19 :: v_dual_fma_f32 v39, v180, v108, -v39
	s_delay_alu instid0(VALU_DEP_3) | instskip(NEXT) | instid1(VALU_DEP_3)
	v_dual_mul_f32 v19, v191, v119 :: v_dual_fmac_f32 v23, v181, v108
	v_dual_add_f32 v7, v7, v41 :: v_dual_fma_f32 v11, v182, v110, -v11
	s_delay_alu instid0(VALU_DEP_3) | instskip(SKIP_2) | instid1(VALU_DEP_3)
	v_dual_add_f32 v5, v5, v21 :: v_dual_fmac_f32 v25, v183, v110
	v_dual_mul_f32 v27, v184, v113 :: v_dual_mul_f32 v29, v186, v115
	s_wait_loadcnt_dscnt 0x600
	v_dual_mul_f32 v21, v193, v121 :: v_dual_add_f32 v7, v7, v39
	s_delay_alu instid0(VALU_DEP_3) | instskip(NEXT) | instid1(VALU_DEP_3)
	v_dual_add_f32 v5, v5, v23 :: v_dual_fma_f32 v13, v184, v112, -v13
	v_dual_mul_f32 v23, v195, v123 :: v_dual_fmac_f32 v27, v185, v112
	s_delay_alu instid0(VALU_DEP_2) | instskip(SKIP_3) | instid1(VALU_DEP_3)
	v_dual_add_f32 v7, v7, v11 :: v_dual_add_f32 v5, v5, v25
	v_dual_mul_f32 v31, v188, v117 :: v_dual_mul_f32 v33, v190, v119
	s_wait_loadcnt 0x5
	v_dual_mul_f32 v11, v177, v125 :: v_dual_fmac_f32 v29, v187, v114
	v_dual_fma_f32 v15, v186, v114, -v15 :: v_dual_add_f32 v5, v5, v27
	s_delay_alu instid0(VALU_DEP_3) | instskip(SKIP_1) | instid1(VALU_DEP_2)
	v_dual_add_f32 v7, v7, v13 :: v_dual_fmac_f32 v31, v189, v116
	v_dual_mul_f32 v13, v179, v127 :: v_dual_fma_f32 v17, v188, v116, -v17
	v_dual_add_f32 v5, v5, v29 :: v_dual_add_f32 v7, v7, v15
	v_dual_mul_f32 v35, v192, v121 :: v_dual_mul_f32 v37, v194, v123
	v_dual_fmac_f32 v33, v191, v118 :: v_dual_fma_f32 v15, v190, v118, -v19
	s_delay_alu instid0(VALU_DEP_3) | instskip(SKIP_1) | instid1(VALU_DEP_3)
	v_dual_add_f32 v5, v5, v31 :: v_dual_add_f32 v7, v7, v17
	s_wait_loadcnt 0x4
	v_dual_mov_b32 v94, v131 :: v_dual_fmac_f32 v35, v193, v120
	s_delay_alu instid0(VALU_DEP_2) | instskip(NEXT) | instid1(VALU_DEP_3)
	v_dual_fma_f32 v17, v192, v120, -v21 :: v_dual_add_f32 v5, v5, v33
	v_dual_add_f32 v7, v7, v15 :: v_dual_fma_f32 v15, v194, v122, -v23
	v_dual_mul_f32 v207, v176, v125 :: v_dual_mul_f32 v209, v178, v127
	s_delay_alu instid0(VALU_DEP_3) | instskip(NEXT) | instid1(VALU_DEP_2)
	v_dual_fmac_f32 v37, v195, v122 :: v_dual_add_f32 v5, v5, v35
	v_dual_add_f32 v7, v7, v17 :: v_dual_fmac_f32 v207, v177, v124
	v_pk_mul_f32 v[92:93], v[144:145], v[128:129] op_sel:[1,1] op_sel_hi:[0,1]
	s_wait_loadcnt 0x3
	v_dual_mov_b32 v98, v135 :: v_dual_fma_f32 v206, v176, v124, -v11
	s_delay_alu instid0(VALU_DEP_3)
	v_dual_add_f32 v101, v5, v37 :: v_dual_add_f32 v100, v7, v15
	v_fmac_f32_e32 v209, v179, v126
	v_pk_fma_f32 v[102:103], v[144:145], v[128:129], v[92:93] op_sel_hi:[1,0,1]
	v_fma_f32 v208, v178, v126, -v13
	v_pk_mul_f32 v[94:95], v[198:199], v[94:95] op_sel_hi:[1,0]
	v_pk_add_f32 v[100:101], v[100:101], v[206:207]
	v_pk_fma_f32 v[92:93], v[144:145], v[128:129], v[92:93] neg_lo:[0,0,1] neg_hi:[0,0,1]
	v_pk_mul_f32 v[96:97], v[148:149], v[132:133] op_sel:[1,1] op_sel_hi:[0,1]
	v_mov_b32_e32 v93, v103
	v_pk_fma_f32 v[102:103], v[146:147], v[130:131], v[94:95] op_sel_hi:[1,0,1]
	v_pk_add_f32 v[100:101], v[100:101], v[208:209]
	v_pk_fma_f32 v[94:95], v[146:147], v[130:131], v[94:95] neg_lo:[0,0,1] neg_hi:[0,0,1]
	v_pk_fma_f32 v[106:107], v[148:149], v[132:133], v[96:97] op_sel_hi:[1,0,1]
	v_pk_mul_f32 v[98:99], v[200:201], v[98:99] op_sel_hi:[1,0]
	v_mov_b32_e32 v95, v103
	v_pk_add_f32 v[92:93], v[100:101], v[92:93]
	s_wait_loadcnt 0x2
	v_pk_mul_f32 v[104:105], v[152:153], v[136:137] op_sel:[1,1] op_sel_hi:[0,1]
	v_mov_b32_e32 v100, v139
	v_pk_fma_f32 v[96:97], v[148:149], v[132:133], v[96:97] neg_lo:[0,0,1] neg_hi:[0,0,1]
	v_pk_fma_f32 v[102:103], v[150:151], v[134:135], v[98:99] op_sel_hi:[1,0,1]
	v_mov_b32_e32 v97, v107
	v_pk_add_f32 v[92:93], v[92:93], v[94:95]
	v_pk_fma_f32 v[94:95], v[152:153], v[136:137], v[104:105] op_sel_hi:[1,0,1]
	v_pk_mul_f32 v[100:101], v[202:203], v[100:101] op_sel_hi:[1,0]
	v_pk_fma_f32 v[98:99], v[150:151], v[134:135], v[98:99] neg_lo:[0,0,1] neg_hi:[0,0,1]
	v_mov_b32_e32 v99, v103
	v_pk_add_f32 v[92:93], v[92:93], v[96:97]
	v_pk_fma_f32 v[102:103], v[152:153], v[136:137], v[104:105] neg_lo:[0,0,1] neg_hi:[0,0,1]
	v_mov_b32_e32 v103, v95
	v_pk_fma_f32 v[94:95], v[154:155], v[138:139], v[100:101] op_sel_hi:[1,0,1]
	s_wait_loadcnt 0x1
	v_pk_mul_f32 v[96:97], v[156:157], v[140:141] op_sel:[1,1] op_sel_hi:[0,1]
	v_pk_add_f32 v[92:93], v[92:93], v[98:99]
	v_mov_b32_e32 v94, v143
	v_pk_fma_f32 v[100:101], v[154:155], v[138:139], v[100:101] neg_lo:[0,0,1] neg_hi:[0,0,1]
	s_delay_alu instid0(VALU_DEP_4)
	v_pk_fma_f32 v[98:99], v[156:157], v[140:141], v[96:97] op_sel_hi:[1,0,1]
	v_mov_b32_e32 v101, v95
	v_pk_add_f32 v[92:93], v[92:93], v[102:103]
	v_pk_mul_f32 v[94:95], v[204:205], v[94:95] op_sel_hi:[1,0]
	v_pk_fma_f32 v[96:97], v[156:157], v[140:141], v[96:97] neg_lo:[0,0,1] neg_hi:[0,0,1]
	v_mov_b32_e32 v97, v99
	s_delay_alu instid0(VALU_DEP_4) | instskip(NEXT) | instid1(VALU_DEP_4)
	v_pk_add_f32 v[92:93], v[92:93], v[100:101]
	v_pk_fma_f32 v[98:99], v[158:159], v[142:143], v[94:95] op_sel_hi:[1,0,1]
	v_pk_fma_f32 v[94:95], v[158:159], v[142:143], v[94:95] neg_lo:[0,0,1] neg_hi:[0,0,1]
	s_delay_alu instid0(VALU_DEP_3) | instskip(NEXT) | instid1(VALU_DEP_3)
	v_pk_add_f32 v[92:93], v[92:93], v[96:97]
	v_mov_b32_e32 v95, v99
	s_delay_alu instid0(VALU_DEP_1) | instskip(SKIP_1) | instid1(VALU_DEP_1)
	v_pk_add_f32 v[92:93], v[92:93], v[94:95]
	s_wait_loadcnt 0x0
	v_pk_add_f32 v[92:93], v[196:197], v[92:93] neg_lo:[0,1] neg_hi:[0,1]
	scratch_store_b64 off, v[92:93], off offset:144
	s_wait_xcnt 0x0
	v_cmpx_lt_u32_e32 17, v0
	s_cbranch_execz .LBB44_249
; %bb.248:
	scratch_load_b64 v[92:93], off, off offset:136
	v_mov_b64_e32 v[94:95], 0
	scratch_store_b64 off, v[94:95], off offset:136
	s_wait_loadcnt 0x0
	ds_store_b64 v1, v[92:93]
.LBB44_249:
	s_wait_xcnt 0x0
	s_or_b32 exec_lo, exec_lo, s0
	s_wait_storecnt_dscnt 0x0
	s_barrier_signal -1
	s_barrier_wait -1
	s_clause 0xe
	scratch_load_b128 v[92:95], off, off offset:144
	scratch_load_b128 v[96:99], off, off offset:160
	scratch_load_b128 v[100:103], off, off offset:176
	scratch_load_b128 v[104:107], off, off offset:192
	scratch_load_b128 v[108:111], off, off offset:208
	scratch_load_b128 v[112:115], off, off offset:224
	scratch_load_b128 v[116:119], off, off offset:240
	scratch_load_b128 v[120:123], off, off offset:256
	scratch_load_b128 v[124:127], off, off offset:272
	scratch_load_b128 v[128:131], off, off offset:288
	scratch_load_b128 v[132:135], off, off offset:304
	scratch_load_b128 v[136:139], off, off offset:320
	scratch_load_b128 v[140:143], off, off offset:336
	scratch_load_b64 v[196:197], off, off offset:352
	scratch_load_b64 v[198:199], off, off offset:136
	v_mov_b32_e32 v5, 0
	ds_load_b128 v[144:147], v5 offset:656
	ds_load_b128 v[148:151], v5 offset:672
	;; [unrolled: 1-line block ×13, first 2 shown]
	ds_load_b64 v[200:201], v5 offset:720
	s_mov_b32 s0, exec_lo
	s_wait_dscnt 0xd
	v_dual_mov_b32 v202, v147 :: v_dual_mov_b32 v203, v146
	s_wait_dscnt 0xa
	v_dual_mov_b32 v204, v151 :: v_dual_mov_b32 v209, v158
	v_dual_mov_b32 v205, v150 :: v_dual_mov_b32 v206, v155
	v_dual_mov_b32 v207, v154 :: v_dual_mov_b32 v208, v159
	s_wait_loadcnt_dscnt 0xe09
	v_dual_mul_f32 v7, v160, v93 :: v_dual_mul_f32 v43, v161, v93
	v_dual_mul_f32 v45, v163, v95 :: v_dual_mul_f32 v11, v162, v95
	s_wait_loadcnt_dscnt 0xd08
	v_mul_f32_e32 v13, v164, v97
	s_wait_loadcnt_dscnt 0xb05
	v_dual_mul_f32 v55, v177, v105 :: v_dual_fma_f32 v43, v160, v92, -v43
	v_dual_fmac_f32 v7, v161, v92 :: v_dual_mul_f32 v57, v179, v107
	v_dual_mul_f32 v47, v165, v97 :: v_dual_mul_f32 v49, v167, v99
	v_dual_fmac_f32 v11, v163, v94 :: v_dual_fma_f32 v45, v162, v94, -v45
	s_wait_loadcnt_dscnt 0xa04
	s_delay_alu instid0(VALU_DEP_3) | instskip(SKIP_1) | instid1(VALU_DEP_2)
	v_dual_add_f32 v7, 0, v7 :: v_dual_mul_f32 v59, v181, v109
	v_dual_add_f32 v43, 0, v43 :: v_dual_fmac_f32 v13, v165, v96
	v_dual_fma_f32 v47, v164, v96, -v47 :: v_dual_add_f32 v7, v7, v11
	v_dual_mul_f32 v51, v169, v101 :: v_dual_mul_f32 v53, v171, v103
	s_delay_alu instid0(VALU_DEP_3) | instskip(SKIP_2) | instid1(VALU_DEP_3)
	v_dual_add_f32 v11, v43, v45 :: v_dual_fma_f32 v45, v166, v98, -v49
	v_dual_mul_f32 v15, v166, v99 :: v_dual_mul_f32 v17, v168, v101
	v_dual_mul_f32 v19, v170, v103 :: v_dual_mul_f32 v21, v176, v105
	v_add_f32_e32 v11, v11, v47
	v_dual_add_f32 v7, v7, v13 :: v_dual_fma_f32 v47, v168, v100, -v51
	v_dual_mul_f32 v23, v178, v107 :: v_dual_mul_f32 v25, v180, v109
	s_delay_alu instid0(VALU_DEP_3) | instskip(SKIP_1) | instid1(VALU_DEP_2)
	v_dual_add_f32 v11, v11, v45 :: v_dual_fmac_f32 v21, v177, v104
	v_dual_fmac_f32 v15, v167, v98 :: v_dual_fmac_f32 v17, v169, v100
	v_dual_fma_f32 v45, v170, v102, -v53 :: v_dual_add_f32 v11, v11, v47
	s_delay_alu instid0(VALU_DEP_4) | instskip(SKIP_1) | instid1(VALU_DEP_3)
	v_dual_fmac_f32 v25, v181, v108 :: v_dual_mul_f32 v43, v183, v111
	s_wait_loadcnt_dscnt 0x903
	v_dual_mul_f32 v13, v185, v113 :: v_dual_add_f32 v7, v7, v15
	v_dual_mul_f32 v15, v187, v115 :: v_dual_fma_f32 v47, v176, v104, -v55
	s_delay_alu instid0(VALU_DEP_3) | instskip(SKIP_1) | instid1(VALU_DEP_4)
	v_dual_add_f32 v11, v11, v45 :: v_dual_fma_f32 v43, v182, v110, -v43
	v_fmac_f32_e32 v19, v171, v102
	v_dual_add_f32 v7, v7, v17 :: v_dual_fma_f32 v45, v178, v106, -v57
	s_delay_alu instid0(VALU_DEP_3) | instskip(SKIP_2) | instid1(VALU_DEP_3)
	v_dual_add_f32 v11, v11, v47 :: v_dual_fma_f32 v15, v186, v114, -v15
	s_wait_loadcnt_dscnt 0x802
	v_dual_mul_f32 v31, v186, v115 :: v_dual_mul_f32 v33, v188, v117
	v_dual_add_f32 v7, v7, v19 :: v_dual_fma_f32 v47, v180, v108, -v59
	s_delay_alu instid0(VALU_DEP_3) | instskip(SKIP_1) | instid1(VALU_DEP_3)
	v_dual_add_f32 v11, v11, v45 :: v_dual_mul_f32 v27, v182, v111
	v_mul_f32_e32 v29, v184, v113
	v_dual_add_f32 v7, v7, v21 :: v_dual_fma_f32 v13, v184, v112, -v13
	s_wait_loadcnt_dscnt 0x701
	v_mul_f32_e32 v21, v193, v121
	v_dual_fmac_f32 v33, v189, v116 :: v_dual_add_f32 v11, v11, v47
	s_wait_loadcnt 0x6
	v_dual_mul_f32 v39, v194, v123 :: v_dual_mul_f32 v41, v172, v125
	v_dual_fmac_f32 v23, v179, v106 :: v_dual_fmac_f32 v29, v185, v112
	s_delay_alu instid0(VALU_DEP_3) | instskip(NEXT) | instid1(VALU_DEP_2)
	v_dual_add_f32 v11, v11, v43 :: v_dual_mul_f32 v17, v189, v117
	v_dual_fmac_f32 v41, v173, v124 :: v_dual_add_f32 v7, v7, v23
	v_mul_f32_e32 v19, v191, v119
	s_delay_alu instid0(VALU_DEP_3) | instskip(SKIP_4) | instid1(VALU_DEP_3)
	v_add_f32_e32 v11, v11, v13
	s_wait_loadcnt 0x5
	v_dual_mul_f32 v13, v145, v129 :: v_dual_mul_f32 v23, v195, v123
	v_dual_fma_f32 v17, v188, v116, -v17 :: v_dual_mul_f32 v35, v190, v119
	v_mul_f32_e32 v37, v192, v121
	v_dual_fma_f32 v212, v144, v128, -v13 :: v_dual_add_f32 v11, v11, v15
	v_fmac_f32_e32 v27, v183, v110
	v_add_f32_e32 v7, v7, v25
	v_dual_mul_f32 v25, v173, v125 :: v_dual_fma_f32 v15, v190, v118, -v19
	s_delay_alu instid0(VALU_DEP_4) | instskip(SKIP_3) | instid1(VALU_DEP_3)
	v_add_f32_e32 v11, v11, v17
	s_wait_loadcnt 0x4
	v_dual_mov_b32 v92, v131 :: v_dual_mov_b32 v96, v135
	v_dual_fmac_f32 v37, v193, v120 :: v_dual_add_f32 v7, v7, v27
	v_dual_fma_f32 v17, v192, v120, -v21 :: v_dual_add_f32 v11, v11, v15
	v_dual_mul_f32 v211, v174, v127 :: v_dual_mul_f32 v213, v144, v129
	v_mul_f32_e32 v27, v175, v127
	v_fmac_f32_e32 v31, v187, v114
	s_delay_alu instid0(VALU_DEP_4) | instskip(SKIP_1) | instid1(VALU_DEP_4)
	v_dual_fma_f32 v15, v194, v122, -v23 :: v_dual_add_f32 v11, v11, v17
	v_dual_fma_f32 v17, v172, v124, -v25 :: v_dual_add_f32 v7, v7, v29
	v_fma_f32 v210, v174, v126, -v27
	v_pk_mul_f32 v[92:93], v[202:203], v[92:93] op_sel_hi:[1,0]
	v_dual_fmac_f32 v213, v145, v128 :: v_dual_fmac_f32 v35, v191, v118
	v_fmac_f32_e32 v39, v195, v122
	v_add_f32_e32 v11, v11, v15
	s_delay_alu instid0(VALU_DEP_4) | instskip(SKIP_3) | instid1(VALU_DEP_4)
	v_pk_fma_f32 v[104:105], v[146:147], v[130:131], v[92:93] op_sel_hi:[1,0,1]
	v_add_f32_e32 v7, v7, v31
	v_pk_fma_f32 v[92:93], v[146:147], v[130:131], v[92:93] neg_lo:[0,0,1] neg_hi:[0,0,1]
	v_fmac_f32_e32 v211, v175, v126
	v_dual_add_f32 v100, v11, v17 :: v_dual_mov_b32 v93, v105
	s_delay_alu instid0(VALU_DEP_4)
	v_add_f32_e32 v7, v7, v33
	v_pk_mul_f32 v[94:95], v[148:149], v[132:133] op_sel:[1,1] op_sel_hi:[0,1]
	v_pk_mul_f32 v[96:97], v[204:205], v[96:97] op_sel_hi:[1,0]
	s_wait_loadcnt 0x3
	v_pk_mul_f32 v[98:99], v[152:153], v[136:137] op_sel:[1,1] op_sel_hi:[0,1]
	s_wait_loadcnt 0x2
	v_pk_mul_f32 v[104:105], v[156:157], v[140:141] op_sel:[1,1] op_sel_hi:[0,1]
	v_add_f32_e32 v7, v7, v35
	v_pk_fma_f32 v[106:107], v[148:149], v[132:133], v[94:95] op_sel_hi:[1,0,1]
	v_pk_fma_f32 v[94:95], v[148:149], v[132:133], v[94:95] neg_lo:[0,0,1] neg_hi:[0,0,1]
	v_mov_b32_e32 v102, v139
	s_delay_alu instid0(VALU_DEP_4) | instskip(NEXT) | instid1(VALU_DEP_4)
	v_add_f32_e32 v7, v7, v37
	v_mov_b32_e32 v95, v107
	v_pk_fma_f32 v[106:107], v[150:151], v[134:135], v[96:97] op_sel_hi:[1,0,1]
	v_pk_fma_f32 v[96:97], v[150:151], v[134:135], v[96:97] neg_lo:[0,0,1] neg_hi:[0,0,1]
	v_pk_mul_f32 v[102:103], v[206:207], v[102:103] op_sel_hi:[1,0]
	v_add_f32_e32 v7, v7, v39
	s_delay_alu instid0(VALU_DEP_4) | instskip(NEXT) | instid1(VALU_DEP_2)
	v_mov_b32_e32 v97, v107
	v_add_f32_e32 v101, v7, v41
	s_delay_alu instid0(VALU_DEP_1) | instskip(NEXT) | instid1(VALU_DEP_1)
	v_pk_add_f32 v[100:101], v[100:101], v[210:211]
	v_pk_add_f32 v[100:101], v[100:101], v[212:213]
	s_delay_alu instid0(VALU_DEP_1) | instskip(SKIP_2) | instid1(VALU_DEP_3)
	v_pk_add_f32 v[92:93], v[100:101], v[92:93]
	v_pk_fma_f32 v[100:101], v[152:153], v[136:137], v[98:99] op_sel_hi:[1,0,1]
	v_pk_fma_f32 v[98:99], v[152:153], v[136:137], v[98:99] neg_lo:[0,0,1] neg_hi:[0,0,1]
	v_pk_add_f32 v[92:93], v[92:93], v[94:95]
	s_delay_alu instid0(VALU_DEP_3) | instskip(SKIP_2) | instid1(VALU_DEP_4)
	v_dual_mov_b32 v94, v143 :: v_dual_mov_b32 v99, v101
	v_pk_fma_f32 v[100:101], v[154:155], v[138:139], v[102:103] op_sel_hi:[1,0,1]
	v_pk_fma_f32 v[102:103], v[154:155], v[138:139], v[102:103] neg_lo:[0,0,1] neg_hi:[0,0,1]
	v_pk_add_f32 v[92:93], v[92:93], v[96:97]
	v_pk_fma_f32 v[96:97], v[156:157], v[140:141], v[104:105] op_sel_hi:[1,0,1]
	v_pk_mul_f32 v[94:95], v[208:209], v[94:95] op_sel_hi:[1,0]
	v_mov_b32_e32 v103, v101
	s_wait_loadcnt_dscnt 0x100
	v_pk_mul_f32 v[100:101], v[200:201], v[196:197] op_sel:[1,1] op_sel_hi:[0,1]
	v_pk_add_f32 v[92:93], v[92:93], v[98:99]
	v_pk_fma_f32 v[98:99], v[156:157], v[140:141], v[104:105] neg_lo:[0,0,1] neg_hi:[0,0,1]
	v_mov_b32_e32 v99, v97
	v_pk_fma_f32 v[96:97], v[158:159], v[142:143], v[94:95] op_sel_hi:[1,0,1]
	v_pk_fma_f32 v[94:95], v[158:159], v[142:143], v[94:95] neg_lo:[0,0,1] neg_hi:[0,0,1]
	v_pk_add_f32 v[92:93], v[92:93], v[102:103]
	s_delay_alu instid0(VALU_DEP_3) | instskip(SKIP_1) | instid1(VALU_DEP_3)
	v_mov_b32_e32 v95, v97
	v_pk_fma_f32 v[96:97], v[200:201], v[196:197], v[100:101] op_sel_hi:[1,0,1]
	v_pk_add_f32 v[92:93], v[92:93], v[98:99]
	v_pk_fma_f32 v[98:99], v[200:201], v[196:197], v[100:101] neg_lo:[0,0,1] neg_hi:[0,0,1]
	s_delay_alu instid0(VALU_DEP_3) | instskip(NEXT) | instid1(VALU_DEP_3)
	v_mov_b32_e32 v99, v97
	v_pk_add_f32 v[92:93], v[92:93], v[94:95]
	s_delay_alu instid0(VALU_DEP_1) | instskip(SKIP_1) | instid1(VALU_DEP_1)
	v_pk_add_f32 v[92:93], v[92:93], v[98:99]
	s_wait_loadcnt 0x0
	v_pk_add_f32 v[92:93], v[198:199], v[92:93] neg_lo:[0,1] neg_hi:[0,1]
	scratch_store_b64 off, v[92:93], off offset:136
	s_wait_xcnt 0x0
	v_cmpx_lt_u32_e32 16, v0
	s_cbranch_execz .LBB44_251
; %bb.250:
	scratch_load_b64 v[92:93], off, off offset:128
	v_mov_b64_e32 v[94:95], 0
	scratch_store_b64 off, v[94:95], off offset:128
	s_wait_loadcnt 0x0
	ds_store_b64 v1, v[92:93]
.LBB44_251:
	s_wait_xcnt 0x0
	s_or_b32 exec_lo, exec_lo, s0
	s_wait_storecnt_dscnt 0x0
	s_barrier_signal -1
	s_barrier_wait -1
	s_clause 0xe
	scratch_load_b128 v[92:95], off, off offset:136
	scratch_load_b128 v[96:99], off, off offset:152
	;; [unrolled: 1-line block ×14, first 2 shown]
	scratch_load_b64 v[204:205], off, off offset:128
	ds_load_2addr_b64 v[148:151], v5 offset0:83 offset1:84
	ds_load_2addr_b64 v[152:155], v5 offset0:85 offset1:86
	;; [unrolled: 1-line block ×14, first 2 shown]
	s_mov_b32 s0, exec_lo
	s_wait_dscnt 0xd
	v_dual_mov_b32 v206, v151 :: v_dual_mov_b32 v207, v150
	s_wait_dscnt 0xc
	v_dual_mov_b32 v208, v155 :: v_dual_mov_b32 v209, v154
	;; [unrolled: 2-line block ×4, first 2 shown]
	s_wait_loadcnt_dscnt 0xe09
	v_dual_mul_f32 v5, v164, v93 :: v_dual_mul_f32 v7, v166, v95
	v_dual_mul_f32 v43, v165, v93 :: v_dual_mul_f32 v45, v167, v95
	s_wait_loadcnt_dscnt 0xd08
	v_dual_mul_f32 v11, v168, v97 :: v_dual_mul_f32 v13, v170, v99
	s_delay_alu instid0(VALU_DEP_2) | instskip(SKIP_3) | instid1(VALU_DEP_3)
	v_dual_fmac_f32 v5, v165, v92 :: v_dual_fma_f32 v43, v164, v92, -v43
	v_dual_mul_f32 v47, v169, v97 :: v_dual_mul_f32 v49, v171, v99
	s_wait_loadcnt_dscnt 0xb06
	v_dual_mul_f32 v55, v177, v105 :: v_dual_fmac_f32 v7, v167, v94
	v_dual_fma_f32 v45, v166, v94, -v45 :: v_dual_add_f32 v5, 0, v5
	v_dual_add_f32 v43, 0, v43 :: v_dual_fmac_f32 v11, v169, v96
	v_dual_mul_f32 v57, v179, v107 :: v_dual_fma_f32 v47, v168, v96, -v47
	s_delay_alu instid0(VALU_DEP_2)
	v_dual_add_f32 v5, v5, v7 :: v_dual_add_f32 v7, v43, v45
	v_dual_mul_f32 v15, v172, v101 :: v_dual_mul_f32 v17, v174, v103
	v_dual_mul_f32 v51, v173, v101 :: v_dual_mul_f32 v53, v175, v103
	s_wait_loadcnt_dscnt 0xa05
	v_dual_mul_f32 v43, v181, v109 :: v_dual_fmac_f32 v13, v171, v98
	v_dual_fma_f32 v45, v170, v98, -v49 :: v_dual_add_f32 v5, v5, v11
	v_dual_add_f32 v7, v7, v47 :: v_dual_fmac_f32 v15, v173, v100
	v_dual_mul_f32 v11, v183, v111 :: v_dual_fma_f32 v47, v172, v100, -v51
	s_delay_alu instid0(VALU_DEP_3) | instskip(NEXT) | instid1(VALU_DEP_3)
	v_dual_add_f32 v5, v5, v13 :: v_dual_fmac_f32 v17, v175, v102
	v_dual_add_f32 v7, v7, v45 :: v_dual_fma_f32 v45, v174, v102, -v53
	v_dual_mul_f32 v19, v176, v105 :: v_dual_mul_f32 v21, v178, v107
	s_wait_loadcnt_dscnt 0x904
	s_delay_alu instid0(VALU_DEP_2) | instskip(SKIP_1) | instid1(VALU_DEP_3)
	v_dual_mul_f32 v13, v185, v113 :: v_dual_add_f32 v7, v7, v47
	v_dual_add_f32 v5, v5, v15 :: v_dual_fma_f32 v47, v176, v104, -v55
	v_dual_mul_f32 v15, v187, v115 :: v_dual_fmac_f32 v19, v177, v104
	s_delay_alu instid0(VALU_DEP_3) | instskip(NEXT) | instid1(VALU_DEP_3)
	v_dual_add_f32 v7, v7, v45 :: v_dual_fma_f32 v45, v178, v106, -v57
	v_dual_add_f32 v5, v5, v17 :: v_dual_fmac_f32 v21, v179, v106
	v_dual_mul_f32 v23, v180, v109 :: v_dual_mul_f32 v25, v182, v111
	s_wait_loadcnt_dscnt 0x803
	s_delay_alu instid0(VALU_DEP_3) | instskip(NEXT) | instid1(VALU_DEP_3)
	v_dual_mul_f32 v17, v189, v117 :: v_dual_add_f32 v7, v7, v47
	v_dual_add_f32 v5, v5, v19 :: v_dual_fma_f32 v43, v180, v108, -v43
	s_delay_alu instid0(VALU_DEP_3) | instskip(NEXT) | instid1(VALU_DEP_3)
	v_dual_mul_f32 v19, v191, v119 :: v_dual_fmac_f32 v23, v181, v108
	v_dual_add_f32 v7, v7, v45 :: v_dual_fma_f32 v11, v182, v110, -v11
	s_delay_alu instid0(VALU_DEP_3) | instskip(SKIP_2) | instid1(VALU_DEP_3)
	v_dual_add_f32 v5, v5, v21 :: v_dual_fmac_f32 v25, v183, v110
	v_dual_mul_f32 v27, v184, v113 :: v_dual_mul_f32 v29, v186, v115
	s_wait_loadcnt_dscnt 0x702
	v_dual_mul_f32 v21, v193, v121 :: v_dual_add_f32 v7, v7, v43
	s_delay_alu instid0(VALU_DEP_3) | instskip(NEXT) | instid1(VALU_DEP_3)
	v_dual_add_f32 v5, v5, v23 :: v_dual_fma_f32 v13, v184, v112, -v13
	v_dual_mul_f32 v23, v195, v123 :: v_dual_fmac_f32 v27, v185, v112
	s_delay_alu instid0(VALU_DEP_2) | instskip(SKIP_3) | instid1(VALU_DEP_3)
	v_dual_add_f32 v7, v7, v11 :: v_dual_add_f32 v5, v5, v25
	v_dual_mul_f32 v31, v188, v117 :: v_dual_mul_f32 v33, v190, v119
	s_wait_loadcnt_dscnt 0x601
	v_dual_mul_f32 v11, v197, v125 :: v_dual_fmac_f32 v29, v187, v114
	v_dual_fma_f32 v15, v186, v114, -v15 :: v_dual_add_f32 v5, v5, v27
	s_delay_alu instid0(VALU_DEP_3) | instskip(SKIP_1) | instid1(VALU_DEP_2)
	v_dual_add_f32 v7, v7, v13 :: v_dual_fmac_f32 v31, v189, v116
	v_dual_mul_f32 v13, v199, v127 :: v_dual_fma_f32 v17, v188, v116, -v17
	v_dual_add_f32 v5, v5, v29 :: v_dual_add_f32 v7, v7, v15
	v_dual_mul_f32 v35, v192, v121 :: v_dual_mul_f32 v37, v194, v123
	s_wait_loadcnt_dscnt 0x500
	v_dual_mul_f32 v15, v201, v129 :: v_dual_fmac_f32 v33, v191, v118
	s_delay_alu instid0(VALU_DEP_3) | instskip(NEXT) | instid1(VALU_DEP_3)
	v_dual_fma_f32 v19, v190, v118, -v19 :: v_dual_add_f32 v5, v5, v31
	v_dual_add_f32 v7, v7, v17 :: v_dual_fmac_f32 v35, v193, v120
	v_dual_mul_f32 v17, v203, v131 :: v_dual_fma_f32 v21, v192, v120, -v21
	s_delay_alu instid0(VALU_DEP_2) | instskip(SKIP_2) | instid1(VALU_DEP_3)
	v_dual_add_f32 v5, v5, v33 :: v_dual_add_f32 v7, v7, v19
	v_dual_mul_f32 v39, v196, v125 :: v_dual_mul_f32 v41, v198, v127
	v_dual_fmac_f32 v37, v195, v122 :: v_dual_fma_f32 v19, v194, v122, -v23
	v_dual_add_f32 v5, v5, v35 :: v_dual_add_f32 v7, v7, v21
	s_wait_loadcnt 0x4
	s_delay_alu instid0(VALU_DEP_3) | instskip(NEXT) | instid1(VALU_DEP_2)
	v_dual_mov_b32 v94, v135 :: v_dual_fmac_f32 v39, v197, v124
	v_dual_fma_f32 v11, v196, v124, -v11 :: v_dual_add_f32 v5, v5, v37
	s_delay_alu instid0(VALU_DEP_3) | instskip(SKIP_1) | instid1(VALU_DEP_3)
	v_dual_add_f32 v7, v7, v19 :: v_dual_fma_f32 v13, v198, v126, -v13
	v_dual_mul_f32 v215, v200, v129 :: v_dual_mul_f32 v217, v202, v131
	v_dual_fmac_f32 v41, v199, v126 :: v_dual_add_f32 v5, v5, v39
	s_delay_alu instid0(VALU_DEP_2)
	v_dual_add_f32 v7, v7, v11 :: v_dual_fmac_f32 v215, v201, v128
	v_pk_mul_f32 v[92:93], v[148:149], v[132:133] op_sel:[1,1] op_sel_hi:[0,1]
	s_wait_loadcnt 0x3
	v_dual_mov_b32 v98, v139 :: v_dual_fma_f32 v214, v200, v128, -v15
	v_dual_add_f32 v101, v5, v41 :: v_dual_fmac_f32 v217, v203, v130
	v_dual_add_f32 v100, v7, v13 :: v_dual_fma_f32 v216, v202, v130, -v17
	v_pk_fma_f32 v[102:103], v[148:149], v[132:133], v[92:93] op_sel_hi:[1,0,1]
	v_pk_mul_f32 v[94:95], v[206:207], v[94:95] op_sel_hi:[1,0]
	v_pk_fma_f32 v[92:93], v[148:149], v[132:133], v[92:93] neg_lo:[0,0,1] neg_hi:[0,0,1]
	s_delay_alu instid0(VALU_DEP_4)
	v_pk_add_f32 v[100:101], v[100:101], v[214:215]
	v_pk_mul_f32 v[96:97], v[152:153], v[136:137] op_sel:[1,1] op_sel_hi:[0,1]
	v_mov_b32_e32 v93, v103
	v_pk_fma_f32 v[102:103], v[150:151], v[134:135], v[94:95] op_sel_hi:[1,0,1]
	v_pk_fma_f32 v[94:95], v[150:151], v[134:135], v[94:95] neg_lo:[0,0,1] neg_hi:[0,0,1]
	v_pk_add_f32 v[100:101], v[100:101], v[216:217]
	v_pk_fma_f32 v[106:107], v[152:153], v[136:137], v[96:97] op_sel_hi:[1,0,1]
	v_pk_mul_f32 v[98:99], v[208:209], v[98:99] op_sel_hi:[1,0]
	v_mov_b32_e32 v95, v103
	s_wait_loadcnt 0x2
	v_pk_mul_f32 v[104:105], v[156:157], v[140:141] op_sel:[1,1] op_sel_hi:[0,1]
	v_pk_add_f32 v[92:93], v[100:101], v[92:93]
	v_mov_b32_e32 v100, v143
	v_pk_fma_f32 v[96:97], v[152:153], v[136:137], v[96:97] neg_lo:[0,0,1] neg_hi:[0,0,1]
	v_mov_b32_e32 v97, v107
	v_pk_fma_f32 v[102:103], v[154:155], v[138:139], v[98:99] op_sel_hi:[1,0,1]
	v_pk_add_f32 v[92:93], v[92:93], v[94:95]
	v_pk_fma_f32 v[94:95], v[156:157], v[140:141], v[104:105] op_sel_hi:[1,0,1]
	v_pk_mul_f32 v[100:101], v[210:211], v[100:101] op_sel_hi:[1,0]
	v_pk_fma_f32 v[98:99], v[154:155], v[138:139], v[98:99] neg_lo:[0,0,1] neg_hi:[0,0,1]
	v_mov_b32_e32 v99, v103
	v_pk_add_f32 v[92:93], v[92:93], v[96:97]
	v_pk_fma_f32 v[102:103], v[156:157], v[140:141], v[104:105] neg_lo:[0,0,1] neg_hi:[0,0,1]
	v_mov_b32_e32 v103, v95
	v_pk_fma_f32 v[94:95], v[158:159], v[142:143], v[100:101] op_sel_hi:[1,0,1]
	s_wait_loadcnt 0x1
	v_pk_mul_f32 v[96:97], v[160:161], v[144:145] op_sel:[1,1] op_sel_hi:[0,1]
	v_pk_add_f32 v[92:93], v[92:93], v[98:99]
	v_mov_b32_e32 v94, v147
	v_pk_fma_f32 v[100:101], v[158:159], v[142:143], v[100:101] neg_lo:[0,0,1] neg_hi:[0,0,1]
	v_mov_b32_e32 v101, v95
	v_pk_fma_f32 v[98:99], v[160:161], v[144:145], v[96:97] op_sel_hi:[1,0,1]
	v_pk_add_f32 v[92:93], v[92:93], v[102:103]
	v_pk_mul_f32 v[94:95], v[212:213], v[94:95] op_sel_hi:[1,0]
	v_pk_fma_f32 v[96:97], v[160:161], v[144:145], v[96:97] neg_lo:[0,0,1] neg_hi:[0,0,1]
	s_delay_alu instid0(VALU_DEP_4) | instskip(NEXT) | instid1(VALU_DEP_4)
	v_mov_b32_e32 v97, v99
	v_pk_add_f32 v[92:93], v[92:93], v[100:101]
	s_delay_alu instid0(VALU_DEP_4) | instskip(SKIP_1) | instid1(VALU_DEP_2)
	v_pk_fma_f32 v[98:99], v[162:163], v[146:147], v[94:95] op_sel_hi:[1,0,1]
	v_pk_fma_f32 v[94:95], v[162:163], v[146:147], v[94:95] neg_lo:[0,0,1] neg_hi:[0,0,1]
	v_mov_b32_e32 v95, v99
	s_delay_alu instid0(VALU_DEP_4) | instskip(NEXT) | instid1(VALU_DEP_1)
	v_pk_add_f32 v[92:93], v[92:93], v[96:97]
	v_pk_add_f32 v[92:93], v[92:93], v[94:95]
	s_wait_loadcnt 0x0
	s_delay_alu instid0(VALU_DEP_1)
	v_pk_add_f32 v[92:93], v[204:205], v[92:93] neg_lo:[0,1] neg_hi:[0,1]
	scratch_store_b64 off, v[92:93], off offset:128
	s_wait_xcnt 0x0
	v_cmpx_lt_u32_e32 15, v0
	s_cbranch_execz .LBB44_253
; %bb.252:
	scratch_load_b64 v[92:93], off, off offset:120
	v_mov_b64_e32 v[94:95], 0
	scratch_store_b64 off, v[94:95], off offset:120
	s_wait_loadcnt 0x0
	ds_store_b64 v1, v[92:93]
.LBB44_253:
	s_wait_xcnt 0x0
	s_or_b32 exec_lo, exec_lo, s0
	s_wait_storecnt_dscnt 0x0
	s_barrier_signal -1
	s_barrier_wait -1
	s_clause 0xf
	scratch_load_b128 v[92:95], off, off offset:128
	scratch_load_b128 v[96:99], off, off offset:144
	;; [unrolled: 1-line block ×14, first 2 shown]
	scratch_load_b64 v[204:205], off, off offset:352
	scratch_load_b64 v[206:207], off, off offset:120
	v_mov_b32_e32 v5, 0
	ds_load_b128 v[148:151], v5 offset:656
	ds_load_b128 v[152:155], v5 offset:672
	ds_load_b128 v[156:159], v5 offset:688
	ds_load_b128 v[160:163], v5 offset:704
	ds_load_b128 v[164:167], v5 offset:496
	ds_load_b128 v[168:171], v5 offset:512
	ds_load_b128 v[172:175], v5 offset:528
	ds_load_b128 v[176:179], v5 offset:544
	ds_load_b128 v[180:183], v5 offset:560
	ds_load_b128 v[184:187], v5 offset:576
	ds_load_b128 v[188:191], v5 offset:592
	ds_load_b128 v[192:195], v5 offset:608
	ds_load_b128 v[196:199], v5 offset:624
	ds_load_b128 v[200:203], v5 offset:640
	ds_load_b64 v[208:209], v5 offset:720
	s_mov_b32 s0, exec_lo
	s_wait_dscnt 0xe
	v_dual_mov_b32 v210, v151 :: v_dual_mov_b32 v211, v150
	s_wait_dscnt 0xb
	v_dual_mov_b32 v212, v155 :: v_dual_mov_b32 v217, v162
	v_dual_mov_b32 v213, v154 :: v_dual_mov_b32 v214, v159
	;; [unrolled: 1-line block ×3, first 2 shown]
	s_wait_loadcnt_dscnt 0xf0a
	v_dual_mul_f32 v7, v164, v93 :: v_dual_mul_f32 v47, v165, v93
	v_dual_mul_f32 v49, v167, v95 :: v_dual_mul_f32 v11, v166, v95
	s_wait_loadcnt_dscnt 0xe09
	v_mul_f32_e32 v13, v168, v97
	s_wait_loadcnt_dscnt 0xc07
	v_dual_mul_f32 v59, v177, v105 :: v_dual_fma_f32 v47, v164, v92, -v47
	v_dual_fmac_f32 v7, v165, v92 :: v_dual_mul_f32 v61, v179, v107
	v_dual_mul_f32 v51, v169, v97 :: v_dual_mul_f32 v53, v171, v99
	v_dual_fmac_f32 v11, v167, v94 :: v_dual_fma_f32 v49, v166, v94, -v49
	s_wait_loadcnt_dscnt 0xb06
	s_delay_alu instid0(VALU_DEP_3) | instskip(SKIP_1) | instid1(VALU_DEP_2)
	v_dual_add_f32 v7, 0, v7 :: v_dual_mul_f32 v63, v181, v109
	v_dual_add_f32 v47, 0, v47 :: v_dual_fmac_f32 v13, v169, v96
	v_dual_fma_f32 v51, v168, v96, -v51 :: v_dual_add_f32 v7, v7, v11
	v_dual_mul_f32 v55, v173, v101 :: v_dual_mul_f32 v57, v175, v103
	s_delay_alu instid0(VALU_DEP_3) | instskip(SKIP_2) | instid1(VALU_DEP_3)
	v_dual_add_f32 v11, v47, v49 :: v_dual_fma_f32 v49, v170, v98, -v53
	v_dual_mul_f32 v15, v170, v99 :: v_dual_mul_f32 v17, v172, v101
	v_dual_mul_f32 v19, v174, v103 :: v_dual_mul_f32 v21, v176, v105
	v_add_f32_e32 v11, v11, v51
	v_dual_add_f32 v7, v7, v13 :: v_dual_fma_f32 v51, v172, v100, -v55
	v_dual_mul_f32 v23, v178, v107 :: v_dual_mul_f32 v25, v180, v109
	s_delay_alu instid0(VALU_DEP_3) | instskip(SKIP_1) | instid1(VALU_DEP_2)
	v_dual_add_f32 v11, v11, v49 :: v_dual_fmac_f32 v21, v177, v104
	v_dual_fmac_f32 v15, v171, v98 :: v_dual_fmac_f32 v17, v173, v100
	v_dual_fma_f32 v49, v174, v102, -v57 :: v_dual_add_f32 v11, v11, v51
	s_delay_alu instid0(VALU_DEP_4) | instskip(SKIP_1) | instid1(VALU_DEP_3)
	v_dual_fmac_f32 v25, v181, v108 :: v_dual_mul_f32 v47, v183, v111
	s_wait_loadcnt_dscnt 0xa05
	v_dual_mul_f32 v13, v185, v113 :: v_dual_add_f32 v7, v7, v15
	v_dual_mul_f32 v15, v187, v115 :: v_dual_fma_f32 v51, v176, v104, -v59
	s_delay_alu instid0(VALU_DEP_3) | instskip(SKIP_1) | instid1(VALU_DEP_4)
	v_dual_add_f32 v11, v11, v49 :: v_dual_fma_f32 v47, v182, v110, -v47
	v_fmac_f32_e32 v19, v175, v102
	v_dual_add_f32 v7, v7, v17 :: v_dual_fma_f32 v49, v178, v106, -v61
	s_delay_alu instid0(VALU_DEP_3) | instskip(SKIP_2) | instid1(VALU_DEP_3)
	v_dual_add_f32 v11, v11, v51 :: v_dual_fma_f32 v15, v186, v114, -v15
	s_wait_loadcnt_dscnt 0x904
	v_dual_mul_f32 v31, v186, v115 :: v_dual_mul_f32 v33, v188, v117
	v_dual_add_f32 v7, v7, v19 :: v_dual_fma_f32 v51, v180, v108, -v63
	s_delay_alu instid0(VALU_DEP_3) | instskip(SKIP_4) | instid1(VALU_DEP_3)
	v_dual_add_f32 v11, v11, v49 :: v_dual_mul_f32 v27, v182, v111
	v_dual_mul_f32 v29, v184, v113 :: v_dual_mul_f32 v35, v190, v119
	s_wait_loadcnt_dscnt 0x803
	v_mul_f32_e32 v37, v192, v121
	v_dual_mul_f32 v17, v189, v117 :: v_dual_fmac_f32 v23, v179, v106
	v_dual_fmac_f32 v29, v185, v112 :: v_dual_add_f32 v7, v7, v21
	v_fma_f32 v13, v184, v112, -v13
	v_dual_fmac_f32 v33, v189, v116 :: v_dual_add_f32 v11, v11, v51
	s_delay_alu instid0(VALU_DEP_3) | instskip(SKIP_1) | instid1(VALU_DEP_3)
	v_dual_fmac_f32 v37, v193, v120 :: v_dual_add_f32 v7, v7, v23
	v_dual_mul_f32 v23, v195, v123 :: v_dual_fma_f32 v17, v188, v116, -v17
	v_add_f32_e32 v11, v11, v47
	s_wait_loadcnt_dscnt 0x601
	v_dual_mul_f32 v43, v198, v127 :: v_dual_mul_f32 v45, v200, v129
	s_wait_loadcnt 0x4
	v_dual_mov_b32 v92, v135 :: v_dual_mov_b32 v96, v139
	v_dual_add_f32 v11, v11, v13 :: v_dual_mul_f32 v219, v202, v131
	v_dual_mul_f32 v221, v148, v133 :: v_dual_mul_f32 v19, v191, v119
	s_delay_alu instid0(VALU_DEP_2) | instskip(NEXT) | instid1(VALU_DEP_3)
	v_dual_fmac_f32 v45, v201, v128 :: v_dual_add_f32 v11, v11, v15
	v_dual_mul_f32 v15, v203, v131 :: v_dual_fmac_f32 v219, v203, v130
	v_pk_mul_f32 v[92:93], v[210:211], v[92:93] op_sel_hi:[1,0]
	v_dual_mul_f32 v21, v193, v121 :: v_dual_fmac_f32 v27, v183, v110
	v_mul_f32_e32 v13, v201, v129
	v_add_f32_e32 v7, v7, v25
	v_dual_mul_f32 v25, v197, v125 :: v_dual_fma_f32 v19, v190, v118, -v19
	v_fma_f32 v218, v202, v130, -v15
	v_pk_fma_f32 v[104:105], v[150:151], v[134:135], v[92:93] op_sel_hi:[1,0,1]
	v_add_f32_e32 v11, v11, v17
	v_pk_fma_f32 v[92:93], v[150:151], v[134:135], v[92:93] neg_lo:[0,0,1] neg_hi:[0,0,1]
	v_dual_mul_f32 v39, v194, v123 :: v_dual_mul_f32 v41, v196, v125
	v_dual_mul_f32 v17, v149, v133 :: v_dual_add_f32 v7, v7, v27
	v_dual_fma_f32 v21, v192, v120, -v21 :: v_dual_mov_b32 v93, v105
	v_add_f32_e32 v11, v11, v19
	s_delay_alu instid0(VALU_DEP_4) | instskip(SKIP_2) | instid1(VALU_DEP_4)
	v_dual_mul_f32 v27, v199, v127 :: v_dual_fmac_f32 v41, v197, v124
	v_fmac_f32_e32 v31, v187, v114
	v_dual_add_f32 v7, v7, v29 :: v_dual_fma_f32 v19, v194, v122, -v23
	v_dual_add_f32 v11, v11, v21 :: v_dual_fma_f32 v21, v196, v124, -v25
	v_dual_fmac_f32 v35, v191, v118 :: v_dual_fmac_f32 v221, v149, v132
	s_delay_alu instid0(VALU_DEP_2) | instskip(NEXT) | instid1(VALU_DEP_4)
	v_dual_fma_f32 v13, v200, v128, -v13 :: v_dual_add_f32 v11, v11, v19
	v_dual_fma_f32 v19, v198, v126, -v27 :: v_dual_add_f32 v7, v7, v31
	v_dual_fma_f32 v220, v148, v132, -v17 :: v_dual_fmac_f32 v39, v195, v122
	v_fmac_f32_e32 v43, v199, v126
	s_delay_alu instid0(VALU_DEP_4) | instskip(NEXT) | instid1(VALU_DEP_4)
	v_add_f32_e32 v11, v11, v21
	v_add_f32_e32 v7, v7, v33
	v_pk_mul_f32 v[94:95], v[152:153], v[136:137] op_sel:[1,1] op_sel_hi:[0,1]
	v_pk_mul_f32 v[96:97], v[212:213], v[96:97] op_sel_hi:[1,0]
	s_wait_loadcnt 0x3
	v_pk_mul_f32 v[98:99], v[156:157], v[140:141] op_sel:[1,1] op_sel_hi:[0,1]
	v_add_f32_e32 v11, v11, v19
	v_add_f32_e32 v7, v7, v35
	v_pk_fma_f32 v[106:107], v[152:153], v[136:137], v[94:95] op_sel_hi:[1,0,1]
	v_pk_fma_f32 v[94:95], v[152:153], v[136:137], v[94:95] neg_lo:[0,0,1] neg_hi:[0,0,1]
	v_mov_b32_e32 v102, v143
	v_add_f32_e32 v100, v11, v13
	v_add_f32_e32 v7, v7, v37
	v_mov_b32_e32 v95, v107
	v_pk_fma_f32 v[106:107], v[154:155], v[138:139], v[96:97] op_sel_hi:[1,0,1]
	v_pk_fma_f32 v[96:97], v[154:155], v[138:139], v[96:97] neg_lo:[0,0,1] neg_hi:[0,0,1]
	v_pk_mul_f32 v[102:103], v[214:215], v[102:103] op_sel_hi:[1,0]
	v_add_f32_e32 v7, v7, v39
	s_wait_loadcnt 0x2
	v_pk_mul_f32 v[104:105], v[160:161], v[144:145] op_sel:[1,1] op_sel_hi:[0,1]
	v_mov_b32_e32 v97, v107
	s_delay_alu instid0(VALU_DEP_3) | instskip(NEXT) | instid1(VALU_DEP_1)
	v_add_f32_e32 v7, v7, v41
	v_add_f32_e32 v7, v7, v43
	s_delay_alu instid0(VALU_DEP_1) | instskip(NEXT) | instid1(VALU_DEP_1)
	v_add_f32_e32 v101, v7, v45
	v_pk_add_f32 v[100:101], v[100:101], v[218:219]
	s_delay_alu instid0(VALU_DEP_1) | instskip(NEXT) | instid1(VALU_DEP_1)
	v_pk_add_f32 v[100:101], v[100:101], v[220:221]
	v_pk_add_f32 v[92:93], v[100:101], v[92:93]
	v_pk_fma_f32 v[100:101], v[156:157], v[140:141], v[98:99] op_sel_hi:[1,0,1]
	v_pk_fma_f32 v[98:99], v[156:157], v[140:141], v[98:99] neg_lo:[0,0,1] neg_hi:[0,0,1]
	s_delay_alu instid0(VALU_DEP_3) | instskip(NEXT) | instid1(VALU_DEP_3)
	v_pk_add_f32 v[92:93], v[92:93], v[94:95]
	v_dual_mov_b32 v94, v147 :: v_dual_mov_b32 v99, v101
	v_pk_fma_f32 v[100:101], v[158:159], v[142:143], v[102:103] op_sel_hi:[1,0,1]
	v_pk_fma_f32 v[102:103], v[158:159], v[142:143], v[102:103] neg_lo:[0,0,1] neg_hi:[0,0,1]
	s_delay_alu instid0(VALU_DEP_4)
	v_pk_add_f32 v[92:93], v[92:93], v[96:97]
	v_pk_fma_f32 v[96:97], v[160:161], v[144:145], v[104:105] op_sel_hi:[1,0,1]
	v_pk_mul_f32 v[94:95], v[216:217], v[94:95] op_sel_hi:[1,0]
	v_mov_b32_e32 v103, v101
	s_wait_loadcnt_dscnt 0x100
	v_pk_mul_f32 v[100:101], v[208:209], v[204:205] op_sel:[1,1] op_sel_hi:[0,1]
	v_pk_add_f32 v[92:93], v[92:93], v[98:99]
	v_pk_fma_f32 v[98:99], v[160:161], v[144:145], v[104:105] neg_lo:[0,0,1] neg_hi:[0,0,1]
	v_mov_b32_e32 v99, v97
	v_pk_fma_f32 v[96:97], v[162:163], v[146:147], v[94:95] op_sel_hi:[1,0,1]
	v_pk_fma_f32 v[94:95], v[162:163], v[146:147], v[94:95] neg_lo:[0,0,1] neg_hi:[0,0,1]
	v_pk_add_f32 v[92:93], v[92:93], v[102:103]
	s_delay_alu instid0(VALU_DEP_3) | instskip(SKIP_1) | instid1(VALU_DEP_3)
	v_mov_b32_e32 v95, v97
	v_pk_fma_f32 v[96:97], v[208:209], v[204:205], v[100:101] op_sel_hi:[1,0,1]
	v_pk_add_f32 v[92:93], v[92:93], v[98:99]
	v_pk_fma_f32 v[98:99], v[208:209], v[204:205], v[100:101] neg_lo:[0,0,1] neg_hi:[0,0,1]
	s_delay_alu instid0(VALU_DEP_3) | instskip(NEXT) | instid1(VALU_DEP_3)
	v_mov_b32_e32 v99, v97
	v_pk_add_f32 v[92:93], v[92:93], v[94:95]
	s_delay_alu instid0(VALU_DEP_1) | instskip(SKIP_1) | instid1(VALU_DEP_1)
	v_pk_add_f32 v[92:93], v[92:93], v[98:99]
	s_wait_loadcnt 0x0
	v_pk_add_f32 v[92:93], v[206:207], v[92:93] neg_lo:[0,1] neg_hi:[0,1]
	scratch_store_b64 off, v[92:93], off offset:120
	s_wait_xcnt 0x0
	v_cmpx_lt_u32_e32 14, v0
	s_cbranch_execz .LBB44_255
; %bb.254:
	scratch_load_b64 v[92:93], off, off offset:112
	v_mov_b64_e32 v[94:95], 0
	scratch_store_b64 off, v[94:95], off offset:112
	s_wait_loadcnt 0x0
	ds_store_b64 v1, v[92:93]
.LBB44_255:
	s_wait_xcnt 0x0
	s_or_b32 exec_lo, exec_lo, s0
	s_wait_storecnt_dscnt 0x0
	s_barrier_signal -1
	s_barrier_wait -1
	s_clause 0xf
	scratch_load_b128 v[92:95], off, off offset:120
	scratch_load_b128 v[96:99], off, off offset:136
	;; [unrolled: 1-line block ×15, first 2 shown]
	scratch_load_b64 v[212:213], off, off offset:112
	ds_load_2addr_b64 v[152:155], v5 offset0:83 offset1:84
	ds_load_2addr_b64 v[156:159], v5 offset0:85 offset1:86
	;; [unrolled: 1-line block ×15, first 2 shown]
	s_mov_b32 s0, exec_lo
	s_wait_dscnt 0xe
	v_dual_mov_b32 v214, v155 :: v_dual_mov_b32 v215, v154
	s_wait_dscnt 0xd
	v_dual_mov_b32 v216, v159 :: v_dual_mov_b32 v217, v158
	;; [unrolled: 2-line block ×4, first 2 shown]
	s_wait_loadcnt_dscnt 0xf0a
	v_dual_mul_f32 v5, v168, v93 :: v_dual_mul_f32 v7, v170, v95
	v_dual_mul_f32 v47, v169, v93 :: v_dual_mul_f32 v49, v171, v95
	s_wait_loadcnt_dscnt 0xe09
	v_dual_mul_f32 v11, v172, v97 :: v_dual_mul_f32 v13, v174, v99
	s_delay_alu instid0(VALU_DEP_2) | instskip(SKIP_3) | instid1(VALU_DEP_3)
	v_dual_fmac_f32 v5, v169, v92 :: v_dual_fma_f32 v47, v168, v92, -v47
	v_dual_mul_f32 v51, v173, v97 :: v_dual_mul_f32 v53, v175, v99
	s_wait_loadcnt_dscnt 0xc06
	v_dual_mul_f32 v59, v185, v105 :: v_dual_fmac_f32 v7, v171, v94
	v_dual_fma_f32 v49, v170, v94, -v49 :: v_dual_add_f32 v5, 0, v5
	v_dual_add_f32 v47, 0, v47 :: v_dual_fmac_f32 v11, v173, v96
	v_dual_mul_f32 v61, v187, v107 :: v_dual_fma_f32 v51, v172, v96, -v51
	s_delay_alu instid0(VALU_DEP_2)
	v_dual_add_f32 v5, v5, v7 :: v_dual_add_f32 v7, v47, v49
	v_dual_mul_f32 v15, v180, v101 :: v_dual_mul_f32 v17, v182, v103
	v_dual_mul_f32 v55, v181, v101 :: v_dual_mul_f32 v57, v183, v103
	s_wait_loadcnt_dscnt 0xb05
	v_dual_mul_f32 v47, v189, v109 :: v_dual_fmac_f32 v13, v175, v98
	v_dual_fma_f32 v49, v174, v98, -v53 :: v_dual_add_f32 v5, v5, v11
	v_dual_add_f32 v7, v7, v51 :: v_dual_fmac_f32 v15, v181, v100
	v_dual_mul_f32 v11, v191, v111 :: v_dual_fma_f32 v51, v180, v100, -v55
	s_delay_alu instid0(VALU_DEP_3) | instskip(NEXT) | instid1(VALU_DEP_3)
	v_dual_add_f32 v5, v5, v13 :: v_dual_fmac_f32 v17, v183, v102
	v_dual_add_f32 v7, v7, v49 :: v_dual_fma_f32 v49, v182, v102, -v57
	v_dual_mul_f32 v19, v184, v105 :: v_dual_mul_f32 v21, v186, v107
	s_wait_loadcnt_dscnt 0xa04
	s_delay_alu instid0(VALU_DEP_2) | instskip(SKIP_1) | instid1(VALU_DEP_3)
	v_dual_mul_f32 v13, v193, v113 :: v_dual_add_f32 v7, v7, v51
	v_dual_add_f32 v5, v5, v15 :: v_dual_fma_f32 v51, v184, v104, -v59
	v_dual_mul_f32 v15, v195, v115 :: v_dual_fmac_f32 v19, v185, v104
	s_delay_alu instid0(VALU_DEP_3) | instskip(NEXT) | instid1(VALU_DEP_3)
	v_dual_add_f32 v7, v7, v49 :: v_dual_fma_f32 v49, v186, v106, -v61
	v_dual_add_f32 v5, v5, v17 :: v_dual_fmac_f32 v21, v187, v106
	v_dual_mul_f32 v23, v188, v109 :: v_dual_mul_f32 v25, v190, v111
	s_wait_loadcnt_dscnt 0x903
	s_delay_alu instid0(VALU_DEP_3) | instskip(NEXT) | instid1(VALU_DEP_3)
	v_dual_mul_f32 v17, v197, v117 :: v_dual_add_f32 v7, v7, v51
	v_dual_add_f32 v5, v5, v19 :: v_dual_fma_f32 v47, v188, v108, -v47
	s_delay_alu instid0(VALU_DEP_3) | instskip(NEXT) | instid1(VALU_DEP_3)
	v_dual_mul_f32 v19, v199, v119 :: v_dual_fmac_f32 v23, v189, v108
	v_dual_add_f32 v7, v7, v49 :: v_dual_fma_f32 v11, v190, v110, -v11
	s_delay_alu instid0(VALU_DEP_3) | instskip(SKIP_2) | instid1(VALU_DEP_3)
	v_dual_add_f32 v5, v5, v21 :: v_dual_fmac_f32 v25, v191, v110
	v_dual_mul_f32 v27, v192, v113 :: v_dual_mul_f32 v29, v194, v115
	s_wait_loadcnt_dscnt 0x802
	v_dual_mul_f32 v21, v201, v121 :: v_dual_add_f32 v7, v7, v47
	s_delay_alu instid0(VALU_DEP_3) | instskip(NEXT) | instid1(VALU_DEP_3)
	v_dual_add_f32 v5, v5, v23 :: v_dual_fma_f32 v13, v192, v112, -v13
	v_dual_mul_f32 v23, v203, v123 :: v_dual_fmac_f32 v27, v193, v112
	s_delay_alu instid0(VALU_DEP_2) | instskip(SKIP_3) | instid1(VALU_DEP_3)
	v_dual_add_f32 v7, v7, v11 :: v_dual_add_f32 v5, v5, v25
	v_dual_mul_f32 v31, v196, v117 :: v_dual_mul_f32 v33, v198, v119
	s_wait_loadcnt_dscnt 0x701
	v_dual_mul_f32 v11, v205, v125 :: v_dual_fmac_f32 v29, v195, v114
	v_dual_fma_f32 v15, v194, v114, -v15 :: v_dual_add_f32 v5, v5, v27
	s_delay_alu instid0(VALU_DEP_3) | instskip(SKIP_1) | instid1(VALU_DEP_2)
	v_dual_add_f32 v7, v7, v13 :: v_dual_fmac_f32 v31, v197, v116
	v_dual_mul_f32 v13, v207, v127 :: v_dual_fma_f32 v17, v196, v116, -v17
	v_dual_add_f32 v5, v5, v29 :: v_dual_add_f32 v7, v7, v15
	v_dual_mul_f32 v35, v200, v121 :: v_dual_mul_f32 v37, v202, v123
	s_wait_loadcnt_dscnt 0x600
	v_dual_mul_f32 v15, v209, v129 :: v_dual_fmac_f32 v33, v199, v118
	s_delay_alu instid0(VALU_DEP_3) | instskip(NEXT) | instid1(VALU_DEP_3)
	v_dual_fma_f32 v19, v198, v118, -v19 :: v_dual_add_f32 v5, v5, v31
	v_dual_add_f32 v7, v7, v17 :: v_dual_fmac_f32 v35, v201, v120
	v_dual_mul_f32 v17, v211, v131 :: v_dual_fma_f32 v21, v200, v120, -v21
	s_delay_alu instid0(VALU_DEP_2) | instskip(SKIP_3) | instid1(VALU_DEP_3)
	v_dual_add_f32 v5, v5, v33 :: v_dual_add_f32 v7, v7, v19
	v_dual_mul_f32 v39, v204, v125 :: v_dual_mul_f32 v41, v206, v127
	s_wait_loadcnt 0x5
	v_dual_mul_f32 v19, v177, v133 :: v_dual_fmac_f32 v37, v203, v122
	v_dual_fma_f32 v23, v202, v122, -v23 :: v_dual_add_f32 v5, v5, v35
	s_delay_alu instid0(VALU_DEP_3) | instskip(SKIP_1) | instid1(VALU_DEP_2)
	v_dual_add_f32 v7, v7, v21 :: v_dual_fmac_f32 v39, v205, v124
	v_dual_mul_f32 v21, v179, v135 :: v_dual_fma_f32 v11, v204, v124, -v11
	v_dual_add_f32 v5, v5, v37 :: v_dual_add_f32 v7, v7, v23
	v_dual_mul_f32 v43, v208, v129 :: v_dual_mul_f32 v45, v210, v131
	s_delay_alu instid0(VALU_DEP_2) | instskip(NEXT) | instid1(VALU_DEP_3)
	v_dual_fmac_f32 v41, v207, v126 :: v_dual_add_f32 v5, v5, v39
	v_dual_fma_f32 v13, v206, v126, -v13 :: v_dual_add_f32 v7, v7, v11
	s_wait_loadcnt 0x4
	s_delay_alu instid0(VALU_DEP_3) | instskip(NEXT) | instid1(VALU_DEP_3)
	v_dual_mov_b32 v94, v139 :: v_dual_fmac_f32 v43, v209, v128
	v_dual_fma_f32 v11, v208, v128, -v15 :: v_dual_add_f32 v5, v5, v41
	s_delay_alu instid0(VALU_DEP_3) | instskip(SKIP_1) | instid1(VALU_DEP_3)
	v_dual_add_f32 v7, v7, v13 :: v_dual_fma_f32 v13, v210, v130, -v17
	v_dual_mul_f32 v223, v176, v133 :: v_dual_mul_f32 v225, v178, v135
	v_dual_fmac_f32 v45, v211, v130 :: v_dual_add_f32 v5, v5, v43
	s_delay_alu instid0(VALU_DEP_2)
	v_dual_add_f32 v7, v7, v11 :: v_dual_fmac_f32 v223, v177, v132
	v_pk_mul_f32 v[92:93], v[152:153], v[136:137] op_sel:[1,1] op_sel_hi:[0,1]
	s_wait_loadcnt 0x3
	v_dual_mov_b32 v98, v143 :: v_dual_fma_f32 v222, v176, v132, -v19
	v_dual_add_f32 v101, v5, v45 :: v_dual_fmac_f32 v225, v179, v134
	v_dual_add_f32 v100, v7, v13 :: v_dual_fma_f32 v224, v178, v134, -v21
	v_pk_fma_f32 v[102:103], v[152:153], v[136:137], v[92:93] op_sel_hi:[1,0,1]
	v_pk_mul_f32 v[94:95], v[214:215], v[94:95] op_sel_hi:[1,0]
	v_pk_fma_f32 v[92:93], v[152:153], v[136:137], v[92:93] neg_lo:[0,0,1] neg_hi:[0,0,1]
	s_delay_alu instid0(VALU_DEP_4)
	v_pk_add_f32 v[100:101], v[100:101], v[222:223]
	v_pk_mul_f32 v[96:97], v[156:157], v[140:141] op_sel:[1,1] op_sel_hi:[0,1]
	v_mov_b32_e32 v93, v103
	v_pk_fma_f32 v[102:103], v[154:155], v[138:139], v[94:95] op_sel_hi:[1,0,1]
	v_pk_fma_f32 v[94:95], v[154:155], v[138:139], v[94:95] neg_lo:[0,0,1] neg_hi:[0,0,1]
	v_pk_add_f32 v[100:101], v[100:101], v[224:225]
	v_pk_fma_f32 v[106:107], v[156:157], v[140:141], v[96:97] op_sel_hi:[1,0,1]
	v_pk_mul_f32 v[98:99], v[216:217], v[98:99] op_sel_hi:[1,0]
	v_mov_b32_e32 v95, v103
	s_wait_loadcnt 0x2
	v_pk_mul_f32 v[104:105], v[160:161], v[144:145] op_sel:[1,1] op_sel_hi:[0,1]
	v_pk_add_f32 v[92:93], v[100:101], v[92:93]
	v_mov_b32_e32 v100, v147
	v_pk_fma_f32 v[96:97], v[156:157], v[140:141], v[96:97] neg_lo:[0,0,1] neg_hi:[0,0,1]
	v_mov_b32_e32 v97, v107
	v_pk_fma_f32 v[102:103], v[158:159], v[142:143], v[98:99] op_sel_hi:[1,0,1]
	v_pk_add_f32 v[92:93], v[92:93], v[94:95]
	v_pk_fma_f32 v[94:95], v[160:161], v[144:145], v[104:105] op_sel_hi:[1,0,1]
	v_pk_mul_f32 v[100:101], v[218:219], v[100:101] op_sel_hi:[1,0]
	v_pk_fma_f32 v[98:99], v[158:159], v[142:143], v[98:99] neg_lo:[0,0,1] neg_hi:[0,0,1]
	v_mov_b32_e32 v99, v103
	v_pk_add_f32 v[92:93], v[92:93], v[96:97]
	v_pk_fma_f32 v[102:103], v[160:161], v[144:145], v[104:105] neg_lo:[0,0,1] neg_hi:[0,0,1]
	v_mov_b32_e32 v103, v95
	v_pk_fma_f32 v[94:95], v[162:163], v[146:147], v[100:101] op_sel_hi:[1,0,1]
	s_wait_loadcnt 0x1
	v_pk_mul_f32 v[96:97], v[164:165], v[148:149] op_sel:[1,1] op_sel_hi:[0,1]
	v_pk_add_f32 v[92:93], v[92:93], v[98:99]
	v_mov_b32_e32 v94, v151
	v_pk_fma_f32 v[100:101], v[162:163], v[146:147], v[100:101] neg_lo:[0,0,1] neg_hi:[0,0,1]
	v_mov_b32_e32 v101, v95
	v_pk_fma_f32 v[98:99], v[164:165], v[148:149], v[96:97] op_sel_hi:[1,0,1]
	v_pk_add_f32 v[92:93], v[92:93], v[102:103]
	v_pk_mul_f32 v[94:95], v[220:221], v[94:95] op_sel_hi:[1,0]
	v_pk_fma_f32 v[96:97], v[164:165], v[148:149], v[96:97] neg_lo:[0,0,1] neg_hi:[0,0,1]
	s_delay_alu instid0(VALU_DEP_4) | instskip(NEXT) | instid1(VALU_DEP_4)
	v_mov_b32_e32 v97, v99
	v_pk_add_f32 v[92:93], v[92:93], v[100:101]
	s_delay_alu instid0(VALU_DEP_4) | instskip(SKIP_1) | instid1(VALU_DEP_2)
	v_pk_fma_f32 v[98:99], v[166:167], v[150:151], v[94:95] op_sel_hi:[1,0,1]
	v_pk_fma_f32 v[94:95], v[166:167], v[150:151], v[94:95] neg_lo:[0,0,1] neg_hi:[0,0,1]
	v_mov_b32_e32 v95, v99
	s_delay_alu instid0(VALU_DEP_4) | instskip(NEXT) | instid1(VALU_DEP_1)
	v_pk_add_f32 v[92:93], v[92:93], v[96:97]
	v_pk_add_f32 v[92:93], v[92:93], v[94:95]
	s_wait_loadcnt 0x0
	s_delay_alu instid0(VALU_DEP_1)
	v_pk_add_f32 v[92:93], v[212:213], v[92:93] neg_lo:[0,1] neg_hi:[0,1]
	scratch_store_b64 off, v[92:93], off offset:112
	s_wait_xcnt 0x0
	v_cmpx_lt_u32_e32 13, v0
	s_cbranch_execz .LBB44_257
; %bb.256:
	scratch_load_b64 v[92:93], off, off offset:104
	v_mov_b64_e32 v[94:95], 0
	scratch_store_b64 off, v[94:95], off offset:104
	s_wait_loadcnt 0x0
	ds_store_b64 v1, v[92:93]
.LBB44_257:
	s_wait_xcnt 0x0
	s_or_b32 exec_lo, exec_lo, s0
	s_wait_storecnt_dscnt 0x0
	s_barrier_signal -1
	s_barrier_wait -1
	s_clause 0x10
	scratch_load_b128 v[92:95], off, off offset:112
	scratch_load_b128 v[96:99], off, off offset:128
	scratch_load_b128 v[100:103], off, off offset:144
	scratch_load_b128 v[104:107], off, off offset:160
	scratch_load_b128 v[108:111], off, off offset:176
	scratch_load_b128 v[112:115], off, off offset:192
	scratch_load_b128 v[116:119], off, off offset:208
	scratch_load_b128 v[120:123], off, off offset:224
	scratch_load_b128 v[124:127], off, off offset:240
	scratch_load_b128 v[128:131], off, off offset:256
	scratch_load_b128 v[132:135], off, off offset:272
	scratch_load_b128 v[136:139], off, off offset:288
	scratch_load_b128 v[140:143], off, off offset:304
	scratch_load_b128 v[144:147], off, off offset:320
	scratch_load_b128 v[148:151], off, off offset:336
	scratch_load_b64 v[212:213], off, off offset:352
	scratch_load_b64 v[214:215], off, off offset:104
	v_mov_b32_e32 v5, 0
	ds_load_b128 v[152:155], v5 offset:656
	ds_load_b128 v[156:159], v5 offset:672
	;; [unrolled: 1-line block ×15, first 2 shown]
	ds_load_b64 v[216:217], v5 offset:720
	s_mov_b32 s0, exec_lo
	s_wait_dscnt 0xf
	v_dual_mov_b32 v218, v155 :: v_dual_mov_b32 v219, v154
	s_wait_dscnt 0xc
	v_dual_mov_b32 v220, v159 :: v_dual_mov_b32 v225, v166
	v_dual_mov_b32 v221, v158 :: v_dual_mov_b32 v222, v163
	;; [unrolled: 1-line block ×3, first 2 shown]
	s_wait_loadcnt_dscnt 0x100b
	v_dual_mul_f32 v7, v168, v93 :: v_dual_mul_f32 v51, v169, v93
	v_dual_mul_f32 v53, v171, v95 :: v_dual_mul_f32 v11, v170, v95
	s_wait_loadcnt_dscnt 0xf09
	v_mul_f32_e32 v13, v176, v97
	s_wait_loadcnt_dscnt 0xd07
	v_dual_mul_f32 v63, v185, v105 :: v_dual_fma_f32 v51, v168, v92, -v51
	v_dual_fmac_f32 v7, v169, v92 :: v_dual_mul_f32 v65, v187, v107
	v_dual_mul_f32 v55, v177, v97 :: v_dual_mul_f32 v57, v179, v99
	v_dual_fmac_f32 v11, v171, v94 :: v_dual_fma_f32 v53, v170, v94, -v53
	s_wait_loadcnt_dscnt 0xc06
	s_delay_alu instid0(VALU_DEP_3) | instskip(SKIP_1) | instid1(VALU_DEP_2)
	v_dual_add_f32 v7, 0, v7 :: v_dual_mul_f32 v67, v189, v109
	v_dual_add_f32 v51, 0, v51 :: v_dual_fmac_f32 v13, v177, v96
	v_dual_fma_f32 v55, v176, v96, -v55 :: v_dual_add_f32 v7, v7, v11
	v_dual_mul_f32 v59, v181, v101 :: v_dual_mul_f32 v61, v183, v103
	s_delay_alu instid0(VALU_DEP_3) | instskip(SKIP_2) | instid1(VALU_DEP_3)
	v_dual_add_f32 v11, v51, v53 :: v_dual_fma_f32 v53, v178, v98, -v57
	v_dual_mul_f32 v15, v178, v99 :: v_dual_mul_f32 v17, v180, v101
	v_dual_mul_f32 v19, v182, v103 :: v_dual_mul_f32 v21, v184, v105
	v_add_f32_e32 v11, v11, v55
	v_dual_add_f32 v7, v7, v13 :: v_dual_fma_f32 v55, v180, v100, -v59
	v_dual_mul_f32 v23, v186, v107 :: v_dual_mul_f32 v25, v188, v109
	s_delay_alu instid0(VALU_DEP_3) | instskip(SKIP_1) | instid1(VALU_DEP_2)
	v_dual_add_f32 v11, v11, v53 :: v_dual_fmac_f32 v21, v185, v104
	v_dual_fmac_f32 v15, v179, v98 :: v_dual_fmac_f32 v17, v181, v100
	v_dual_fma_f32 v53, v182, v102, -v61 :: v_dual_add_f32 v11, v11, v55
	s_delay_alu instid0(VALU_DEP_4) | instskip(SKIP_1) | instid1(VALU_DEP_3)
	v_dual_fmac_f32 v25, v189, v108 :: v_dual_mul_f32 v51, v191, v111
	s_wait_loadcnt_dscnt 0xb05
	v_dual_mul_f32 v13, v193, v113 :: v_dual_add_f32 v7, v7, v15
	v_dual_mul_f32 v15, v195, v115 :: v_dual_fma_f32 v55, v184, v104, -v63
	s_delay_alu instid0(VALU_DEP_3) | instskip(SKIP_1) | instid1(VALU_DEP_4)
	v_dual_add_f32 v11, v11, v53 :: v_dual_fma_f32 v51, v190, v110, -v51
	v_fmac_f32_e32 v19, v183, v102
	v_dual_add_f32 v7, v7, v17 :: v_dual_fma_f32 v53, v186, v106, -v65
	s_delay_alu instid0(VALU_DEP_3) | instskip(SKIP_2) | instid1(VALU_DEP_3)
	v_dual_add_f32 v11, v11, v55 :: v_dual_fma_f32 v15, v194, v114, -v15
	s_wait_loadcnt_dscnt 0xa04
	v_dual_mul_f32 v31, v194, v115 :: v_dual_mul_f32 v33, v196, v117
	v_dual_add_f32 v7, v7, v19 :: v_dual_fma_f32 v55, v188, v108, -v67
	s_delay_alu instid0(VALU_DEP_3) | instskip(SKIP_4) | instid1(VALU_DEP_3)
	v_dual_add_f32 v11, v11, v53 :: v_dual_mul_f32 v27, v190, v111
	v_dual_mul_f32 v29, v192, v113 :: v_dual_mul_f32 v35, v198, v119
	s_wait_loadcnt_dscnt 0x903
	v_mul_f32_e32 v37, v200, v121
	v_dual_mul_f32 v17, v197, v117 :: v_dual_fmac_f32 v23, v187, v106
	v_dual_fmac_f32 v29, v193, v112 :: v_dual_add_f32 v7, v7, v21
	v_fma_f32 v13, v192, v112, -v13
	v_dual_fmac_f32 v33, v197, v116 :: v_dual_add_f32 v11, v11, v55
	s_delay_alu instid0(VALU_DEP_3) | instskip(SKIP_1) | instid1(VALU_DEP_3)
	v_dual_fmac_f32 v37, v201, v120 :: v_dual_add_f32 v7, v7, v23
	v_dual_mul_f32 v23, v203, v123 :: v_dual_fma_f32 v17, v196, v116, -v17
	v_add_f32_e32 v11, v11, v51
	v_mul_f32_e32 v19, v199, v119
	v_fmac_f32_e32 v27, v191, v110
	s_delay_alu instid0(VALU_DEP_4) | instskip(NEXT) | instid1(VALU_DEP_4)
	v_dual_fma_f32 v23, v202, v122, -v23 :: v_dual_mul_f32 v21, v201, v121
	v_add_f32_e32 v11, v11, v13
	s_wait_loadcnt_dscnt 0x701
	v_mul_f32_e32 v13, v209, v129
	v_add_f32_e32 v7, v7, v25
	v_dual_mul_f32 v25, v205, v125 :: v_dual_fma_f32 v19, v198, v118, -v19
	s_delay_alu instid0(VALU_DEP_3) | instskip(SKIP_2) | instid1(VALU_DEP_3)
	v_dual_add_f32 v11, v11, v15 :: v_dual_fma_f32 v13, v208, v128, -v13
	v_dual_mul_f32 v39, v202, v123 :: v_dual_mul_f32 v41, v204, v125
	v_fmac_f32_e32 v31, v195, v114
	v_add_f32_e32 v11, v11, v17
	s_wait_loadcnt 0x6
	v_dual_mul_f32 v17, v173, v133 :: v_dual_add_f32 v7, v7, v27
	v_dual_fma_f32 v21, v200, v120, -v21 :: v_dual_mul_f32 v43, v206, v127
	v_dual_mul_f32 v45, v208, v129 :: v_dual_mul_f32 v47, v210, v131
	v_mul_f32_e32 v49, v172, v133
	s_delay_alu instid0(VALU_DEP_4) | instskip(SKIP_2) | instid1(VALU_DEP_2)
	v_dual_add_f32 v7, v7, v29 :: v_dual_fma_f32 v25, v204, v124, -v25
	v_dual_fmac_f32 v41, v205, v124 :: v_dual_mul_f32 v227, v174, v135
	s_wait_loadcnt 0x5
	v_dual_mul_f32 v229, v152, v137 :: v_dual_add_f32 v7, v7, v31
	v_dual_fmac_f32 v45, v209, v128 :: v_dual_mul_f32 v15, v211, v131
	v_fmac_f32_e32 v47, v211, v130
	v_dual_fmac_f32 v35, v199, v118 :: v_dual_fmac_f32 v49, v173, v132
	s_delay_alu instid0(VALU_DEP_3)
	v_dual_add_f32 v7, v7, v33 :: v_dual_fma_f32 v15, v210, v130, -v15
	s_wait_loadcnt 0x4
	v_dual_mov_b32 v92, v139 :: v_dual_mov_b32 v96, v143
	v_dual_add_f32 v11, v11, v19 :: v_dual_fmac_f32 v229, v153, v136
	v_dual_mul_f32 v19, v175, v135 :: v_dual_fmac_f32 v227, v175, v134
	v_add_f32_e32 v7, v7, v35
	s_delay_alu instid0(VALU_DEP_4)
	v_pk_mul_f32 v[92:93], v[218:219], v[92:93] op_sel_hi:[1,0]
	v_mul_f32_e32 v27, v207, v127
	v_add_f32_e32 v11, v11, v21
	v_dual_mul_f32 v21, v153, v137 :: v_dual_fmac_f32 v39, v203, v122
	v_fma_f32 v226, v174, v134, -v19
	v_pk_fma_f32 v[104:105], v[154:155], v[138:139], v[92:93] op_sel_hi:[1,0,1]
	v_add_f32_e32 v7, v7, v37
	v_pk_fma_f32 v[92:93], v[154:155], v[138:139], v[92:93] neg_lo:[0,0,1] neg_hi:[0,0,1]
	v_dual_add_f32 v11, v11, v23 :: v_dual_fma_f32 v228, v152, v136, -v21
	s_delay_alu instid0(VALU_DEP_3) | instskip(SKIP_1) | instid1(VALU_DEP_3)
	v_dual_mov_b32 v93, v105 :: v_dual_add_f32 v7, v7, v39
	v_fmac_f32_e32 v43, v207, v126
	v_dual_fma_f32 v23, v206, v126, -v27 :: v_dual_add_f32 v11, v11, v25
	v_pk_mul_f32 v[94:95], v[156:157], v[140:141] op_sel:[1,1] op_sel_hi:[0,1]
	s_delay_alu instid0(VALU_DEP_4)
	v_add_f32_e32 v7, v7, v41
	v_pk_mul_f32 v[96:97], v[220:221], v[96:97] op_sel_hi:[1,0]
	s_wait_loadcnt 0x3
	v_pk_mul_f32 v[98:99], v[160:161], v[144:145] op_sel:[1,1] op_sel_hi:[0,1]
	v_add_f32_e32 v11, v11, v23
	v_pk_fma_f32 v[106:107], v[156:157], v[140:141], v[94:95] op_sel_hi:[1,0,1]
	v_add_f32_e32 v7, v7, v43
	v_pk_fma_f32 v[94:95], v[156:157], v[140:141], v[94:95] neg_lo:[0,0,1] neg_hi:[0,0,1]
	v_mov_b32_e32 v102, v147
	v_dual_add_f32 v11, v11, v13 :: v_dual_fma_f32 v13, v172, v132, -v17
	s_delay_alu instid0(VALU_DEP_4) | instskip(SKIP_2) | instid1(VALU_DEP_4)
	v_add_f32_e32 v7, v7, v45
	v_mov_b32_e32 v95, v107
	v_pk_fma_f32 v[106:107], v[158:159], v[142:143], v[96:97] op_sel_hi:[1,0,1]
	v_add_f32_e32 v11, v11, v15
	v_pk_fma_f32 v[96:97], v[158:159], v[142:143], v[96:97] neg_lo:[0,0,1] neg_hi:[0,0,1]
	v_add_f32_e32 v7, v7, v47
	v_pk_mul_f32 v[102:103], v[222:223], v[102:103] op_sel_hi:[1,0]
	v_mov_b32_e32 v97, v107
	v_add_f32_e32 v100, v11, v13
	s_wait_loadcnt 0x2
	v_pk_mul_f32 v[104:105], v[164:165], v[148:149] op_sel:[1,1] op_sel_hi:[0,1]
	v_add_f32_e32 v101, v7, v49
	s_delay_alu instid0(VALU_DEP_1) | instskip(NEXT) | instid1(VALU_DEP_1)
	v_pk_add_f32 v[100:101], v[100:101], v[226:227]
	v_pk_add_f32 v[100:101], v[100:101], v[228:229]
	s_delay_alu instid0(VALU_DEP_1) | instskip(SKIP_2) | instid1(VALU_DEP_3)
	v_pk_add_f32 v[92:93], v[100:101], v[92:93]
	v_pk_fma_f32 v[100:101], v[160:161], v[144:145], v[98:99] op_sel_hi:[1,0,1]
	v_pk_fma_f32 v[98:99], v[160:161], v[144:145], v[98:99] neg_lo:[0,0,1] neg_hi:[0,0,1]
	v_pk_add_f32 v[92:93], v[92:93], v[94:95]
	s_delay_alu instid0(VALU_DEP_3) | instskip(SKIP_2) | instid1(VALU_DEP_4)
	v_dual_mov_b32 v94, v151 :: v_dual_mov_b32 v99, v101
	v_pk_fma_f32 v[100:101], v[162:163], v[146:147], v[102:103] op_sel_hi:[1,0,1]
	v_pk_fma_f32 v[102:103], v[162:163], v[146:147], v[102:103] neg_lo:[0,0,1] neg_hi:[0,0,1]
	v_pk_add_f32 v[92:93], v[92:93], v[96:97]
	v_pk_fma_f32 v[96:97], v[164:165], v[148:149], v[104:105] op_sel_hi:[1,0,1]
	v_pk_mul_f32 v[94:95], v[224:225], v[94:95] op_sel_hi:[1,0]
	v_mov_b32_e32 v103, v101
	s_wait_loadcnt_dscnt 0x100
	v_pk_mul_f32 v[100:101], v[216:217], v[212:213] op_sel:[1,1] op_sel_hi:[0,1]
	v_pk_add_f32 v[92:93], v[92:93], v[98:99]
	v_pk_fma_f32 v[98:99], v[164:165], v[148:149], v[104:105] neg_lo:[0,0,1] neg_hi:[0,0,1]
	v_mov_b32_e32 v99, v97
	v_pk_fma_f32 v[96:97], v[166:167], v[150:151], v[94:95] op_sel_hi:[1,0,1]
	v_pk_fma_f32 v[94:95], v[166:167], v[150:151], v[94:95] neg_lo:[0,0,1] neg_hi:[0,0,1]
	v_pk_add_f32 v[92:93], v[92:93], v[102:103]
	s_delay_alu instid0(VALU_DEP_3) | instskip(SKIP_1) | instid1(VALU_DEP_3)
	v_mov_b32_e32 v95, v97
	v_pk_fma_f32 v[96:97], v[216:217], v[212:213], v[100:101] op_sel_hi:[1,0,1]
	v_pk_add_f32 v[92:93], v[92:93], v[98:99]
	v_pk_fma_f32 v[98:99], v[216:217], v[212:213], v[100:101] neg_lo:[0,0,1] neg_hi:[0,0,1]
	s_delay_alu instid0(VALU_DEP_3) | instskip(NEXT) | instid1(VALU_DEP_3)
	v_mov_b32_e32 v99, v97
	v_pk_add_f32 v[92:93], v[92:93], v[94:95]
	s_delay_alu instid0(VALU_DEP_1) | instskip(SKIP_1) | instid1(VALU_DEP_1)
	v_pk_add_f32 v[92:93], v[92:93], v[98:99]
	s_wait_loadcnt 0x0
	v_pk_add_f32 v[92:93], v[214:215], v[92:93] neg_lo:[0,1] neg_hi:[0,1]
	scratch_store_b64 off, v[92:93], off offset:104
	s_wait_xcnt 0x0
	v_cmpx_lt_u32_e32 12, v0
	s_cbranch_execz .LBB44_259
; %bb.258:
	scratch_load_b64 v[92:93], off, off offset:96
	v_mov_b64_e32 v[94:95], 0
	scratch_store_b64 off, v[94:95], off offset:96
	s_wait_loadcnt 0x0
	ds_store_b64 v1, v[92:93]
.LBB44_259:
	s_wait_xcnt 0x0
	s_or_b32 exec_lo, exec_lo, s0
	s_wait_storecnt_dscnt 0x0
	s_barrier_signal -1
	s_barrier_wait -1
	s_clause 0x10
	scratch_load_b128 v[92:95], off, off offset:104
	scratch_load_b128 v[96:99], off, off offset:120
	;; [unrolled: 1-line block ×16, first 2 shown]
	scratch_load_b64 v[220:221], off, off offset:96
	ds_load_2addr_b64 v[156:159], v5 offset0:83 offset1:84
	ds_load_2addr_b64 v[160:163], v5 offset0:85 offset1:86
	;; [unrolled: 1-line block ×16, first 2 shown]
	s_mov_b32 s0, exec_lo
	s_wait_dscnt 0xf
	v_dual_mov_b32 v222, v159 :: v_dual_mov_b32 v223, v158
	s_wait_dscnt 0xe
	v_dual_mov_b32 v224, v163 :: v_dual_mov_b32 v225, v162
	;; [unrolled: 2-line block ×4, first 2 shown]
	s_wait_loadcnt_dscnt 0x100b
	v_dual_mul_f32 v5, v172, v93 :: v_dual_mul_f32 v7, v174, v95
	v_dual_mul_f32 v51, v173, v93 :: v_dual_mul_f32 v53, v175, v95
	s_wait_loadcnt_dscnt 0xf0a
	v_dual_mul_f32 v11, v176, v97 :: v_dual_mul_f32 v13, v178, v99
	s_delay_alu instid0(VALU_DEP_2) | instskip(SKIP_3) | instid1(VALU_DEP_3)
	v_dual_fmac_f32 v5, v173, v92 :: v_dual_fma_f32 v51, v172, v92, -v51
	v_dual_mul_f32 v55, v177, v97 :: v_dual_mul_f32 v57, v179, v99
	s_wait_loadcnt_dscnt 0xd08
	v_dual_mul_f32 v63, v185, v105 :: v_dual_fmac_f32 v7, v175, v94
	v_dual_fma_f32 v53, v174, v94, -v53 :: v_dual_add_f32 v5, 0, v5
	v_dual_add_f32 v51, 0, v51 :: v_dual_fmac_f32 v11, v177, v96
	v_dual_mul_f32 v65, v187, v107 :: v_dual_fma_f32 v55, v176, v96, -v55
	s_delay_alu instid0(VALU_DEP_2)
	v_dual_add_f32 v5, v5, v7 :: v_dual_add_f32 v7, v51, v53
	v_dual_mul_f32 v15, v180, v101 :: v_dual_mul_f32 v17, v182, v103
	v_dual_mul_f32 v59, v181, v101 :: v_dual_mul_f32 v61, v183, v103
	s_wait_loadcnt_dscnt 0xc07
	v_dual_mul_f32 v51, v189, v109 :: v_dual_fmac_f32 v13, v179, v98
	v_dual_fma_f32 v53, v178, v98, -v57 :: v_dual_add_f32 v5, v5, v11
	v_dual_add_f32 v7, v7, v55 :: v_dual_fmac_f32 v15, v181, v100
	v_dual_mul_f32 v11, v191, v111 :: v_dual_fma_f32 v55, v180, v100, -v59
	s_delay_alu instid0(VALU_DEP_3) | instskip(NEXT) | instid1(VALU_DEP_3)
	v_dual_add_f32 v5, v5, v13 :: v_dual_fmac_f32 v17, v183, v102
	v_dual_add_f32 v7, v7, v53 :: v_dual_fma_f32 v53, v182, v102, -v61
	v_dual_mul_f32 v19, v184, v105 :: v_dual_mul_f32 v21, v186, v107
	s_wait_loadcnt_dscnt 0xb06
	s_delay_alu instid0(VALU_DEP_2) | instskip(SKIP_1) | instid1(VALU_DEP_3)
	v_dual_mul_f32 v13, v193, v113 :: v_dual_add_f32 v7, v7, v55
	v_dual_add_f32 v5, v5, v15 :: v_dual_fma_f32 v55, v184, v104, -v63
	v_dual_mul_f32 v15, v195, v115 :: v_dual_fmac_f32 v19, v185, v104
	s_delay_alu instid0(VALU_DEP_3) | instskip(NEXT) | instid1(VALU_DEP_3)
	v_dual_add_f32 v7, v7, v53 :: v_dual_fma_f32 v53, v186, v106, -v65
	v_dual_add_f32 v5, v5, v17 :: v_dual_fmac_f32 v21, v187, v106
	v_dual_mul_f32 v23, v188, v109 :: v_dual_mul_f32 v25, v190, v111
	s_wait_loadcnt_dscnt 0xa05
	s_delay_alu instid0(VALU_DEP_3) | instskip(NEXT) | instid1(VALU_DEP_3)
	v_dual_mul_f32 v17, v197, v117 :: v_dual_add_f32 v7, v7, v55
	v_dual_add_f32 v5, v5, v19 :: v_dual_fma_f32 v51, v188, v108, -v51
	s_delay_alu instid0(VALU_DEP_3) | instskip(NEXT) | instid1(VALU_DEP_3)
	v_dual_mul_f32 v19, v199, v119 :: v_dual_fmac_f32 v23, v189, v108
	v_dual_add_f32 v7, v7, v53 :: v_dual_fma_f32 v11, v190, v110, -v11
	s_delay_alu instid0(VALU_DEP_3) | instskip(SKIP_2) | instid1(VALU_DEP_3)
	v_dual_add_f32 v5, v5, v21 :: v_dual_fmac_f32 v25, v191, v110
	v_dual_mul_f32 v27, v192, v113 :: v_dual_mul_f32 v29, v194, v115
	s_wait_loadcnt_dscnt 0x904
	v_dual_mul_f32 v21, v201, v121 :: v_dual_add_f32 v7, v7, v51
	s_delay_alu instid0(VALU_DEP_3) | instskip(NEXT) | instid1(VALU_DEP_3)
	v_dual_add_f32 v5, v5, v23 :: v_dual_fma_f32 v13, v192, v112, -v13
	v_dual_mul_f32 v23, v203, v123 :: v_dual_fmac_f32 v27, v193, v112
	s_delay_alu instid0(VALU_DEP_2) | instskip(SKIP_3) | instid1(VALU_DEP_3)
	v_dual_add_f32 v7, v7, v11 :: v_dual_add_f32 v5, v5, v25
	v_dual_mul_f32 v31, v196, v117 :: v_dual_mul_f32 v33, v198, v119
	s_wait_loadcnt_dscnt 0x803
	v_dual_mul_f32 v11, v205, v125 :: v_dual_fmac_f32 v29, v195, v114
	v_dual_fma_f32 v15, v194, v114, -v15 :: v_dual_add_f32 v5, v5, v27
	s_delay_alu instid0(VALU_DEP_3) | instskip(SKIP_1) | instid1(VALU_DEP_2)
	v_dual_add_f32 v7, v7, v13 :: v_dual_fmac_f32 v31, v197, v116
	v_dual_mul_f32 v13, v207, v127 :: v_dual_fma_f32 v17, v196, v116, -v17
	v_dual_add_f32 v5, v5, v29 :: v_dual_add_f32 v7, v7, v15
	v_dual_mul_f32 v35, v200, v121 :: v_dual_mul_f32 v37, v202, v123
	s_wait_loadcnt_dscnt 0x702
	v_dual_mul_f32 v15, v209, v129 :: v_dual_fmac_f32 v33, v199, v118
	s_delay_alu instid0(VALU_DEP_3) | instskip(NEXT) | instid1(VALU_DEP_3)
	v_dual_fma_f32 v19, v198, v118, -v19 :: v_dual_add_f32 v5, v5, v31
	v_dual_add_f32 v7, v7, v17 :: v_dual_fmac_f32 v35, v201, v120
	v_dual_mul_f32 v17, v211, v131 :: v_dual_fma_f32 v21, v200, v120, -v21
	s_delay_alu instid0(VALU_DEP_2) | instskip(SKIP_3) | instid1(VALU_DEP_3)
	v_dual_add_f32 v5, v5, v33 :: v_dual_add_f32 v7, v7, v19
	v_dual_mul_f32 v39, v204, v125 :: v_dual_mul_f32 v41, v206, v127
	s_wait_loadcnt_dscnt 0x601
	v_dual_mul_f32 v19, v213, v133 :: v_dual_fmac_f32 v37, v203, v122
	v_dual_fma_f32 v23, v202, v122, -v23 :: v_dual_add_f32 v5, v5, v35
	s_delay_alu instid0(VALU_DEP_3) | instskip(SKIP_1) | instid1(VALU_DEP_2)
	v_dual_add_f32 v7, v7, v21 :: v_dual_fmac_f32 v39, v205, v124
	v_dual_mul_f32 v21, v215, v135 :: v_dual_fma_f32 v11, v204, v124, -v11
	v_dual_add_f32 v5, v5, v37 :: v_dual_add_f32 v7, v7, v23
	v_dual_mul_f32 v43, v208, v129 :: v_dual_mul_f32 v45, v210, v131
	s_wait_loadcnt_dscnt 0x500
	v_dual_mul_f32 v23, v217, v137 :: v_dual_fmac_f32 v41, v207, v126
	s_delay_alu instid0(VALU_DEP_3) | instskip(NEXT) | instid1(VALU_DEP_3)
	v_dual_fma_f32 v13, v206, v126, -v13 :: v_dual_add_f32 v5, v5, v39
	v_dual_add_f32 v7, v7, v11 :: v_dual_fmac_f32 v43, v209, v128
	v_dual_mul_f32 v11, v219, v139 :: v_dual_fma_f32 v15, v208, v128, -v15
	s_delay_alu instid0(VALU_DEP_3) | instskip(NEXT) | instid1(VALU_DEP_3)
	v_dual_add_f32 v5, v5, v41 :: v_dual_fmac_f32 v45, v211, v130
	v_dual_add_f32 v7, v7, v13 :: v_dual_fma_f32 v13, v210, v130, -v17
	v_dual_mul_f32 v47, v212, v133 :: v_dual_mul_f32 v49, v214, v135
	s_wait_loadcnt 0x4
	s_delay_alu instid0(VALU_DEP_3) | instskip(NEXT) | instid1(VALU_DEP_2)
	v_dual_add_f32 v5, v5, v43 :: v_dual_mov_b32 v94, v143
	v_dual_add_f32 v7, v7, v15 :: v_dual_fmac_f32 v47, v213, v132
	s_delay_alu instid0(VALU_DEP_2) | instskip(SKIP_1) | instid1(VALU_DEP_3)
	v_dual_fma_f32 v15, v212, v132, -v19 :: v_dual_add_f32 v5, v5, v45
	v_dual_mul_f32 v231, v216, v137 :: v_dual_mul_f32 v233, v218, v139
	v_dual_add_f32 v7, v7, v13 :: v_dual_fma_f32 v13, v214, v134, -v21
	s_delay_alu instid0(VALU_DEP_3) | instskip(SKIP_1) | instid1(VALU_DEP_3)
	v_dual_fmac_f32 v49, v215, v134 :: v_dual_add_f32 v5, v5, v47
	v_pk_mul_f32 v[92:93], v[156:157], v[140:141] op_sel:[1,1] op_sel_hi:[0,1]
	v_dual_add_f32 v7, v7, v15 :: v_dual_fmac_f32 v231, v217, v136
	s_wait_loadcnt 0x3
	v_dual_mov_b32 v98, v147 :: v_dual_fma_f32 v230, v216, v136, -v23
	v_dual_add_f32 v101, v5, v49 :: v_dual_fmac_f32 v233, v219, v138
	s_delay_alu instid0(VALU_DEP_3) | instskip(SKIP_3) | instid1(VALU_DEP_4)
	v_dual_add_f32 v100, v7, v13 :: v_dual_fma_f32 v232, v218, v138, -v11
	v_pk_fma_f32 v[102:103], v[156:157], v[140:141], v[92:93] op_sel_hi:[1,0,1]
	v_pk_mul_f32 v[94:95], v[222:223], v[94:95] op_sel_hi:[1,0]
	v_pk_fma_f32 v[92:93], v[156:157], v[140:141], v[92:93] neg_lo:[0,0,1] neg_hi:[0,0,1]
	v_pk_add_f32 v[100:101], v[100:101], v[230:231]
	v_pk_mul_f32 v[96:97], v[160:161], v[144:145] op_sel:[1,1] op_sel_hi:[0,1]
	v_mov_b32_e32 v93, v103
	v_pk_fma_f32 v[102:103], v[158:159], v[142:143], v[94:95] op_sel_hi:[1,0,1]
	v_pk_fma_f32 v[94:95], v[158:159], v[142:143], v[94:95] neg_lo:[0,0,1] neg_hi:[0,0,1]
	v_pk_add_f32 v[100:101], v[100:101], v[232:233]
	v_pk_fma_f32 v[106:107], v[160:161], v[144:145], v[96:97] op_sel_hi:[1,0,1]
	v_pk_mul_f32 v[98:99], v[224:225], v[98:99] op_sel_hi:[1,0]
	v_mov_b32_e32 v95, v103
	s_wait_loadcnt 0x2
	v_pk_mul_f32 v[104:105], v[164:165], v[148:149] op_sel:[1,1] op_sel_hi:[0,1]
	v_pk_add_f32 v[92:93], v[100:101], v[92:93]
	v_mov_b32_e32 v100, v151
	v_pk_fma_f32 v[96:97], v[160:161], v[144:145], v[96:97] neg_lo:[0,0,1] neg_hi:[0,0,1]
	v_mov_b32_e32 v97, v107
	v_pk_fma_f32 v[102:103], v[162:163], v[146:147], v[98:99] op_sel_hi:[1,0,1]
	v_pk_add_f32 v[92:93], v[92:93], v[94:95]
	v_pk_fma_f32 v[94:95], v[164:165], v[148:149], v[104:105] op_sel_hi:[1,0,1]
	v_pk_mul_f32 v[100:101], v[226:227], v[100:101] op_sel_hi:[1,0]
	v_pk_fma_f32 v[98:99], v[162:163], v[146:147], v[98:99] neg_lo:[0,0,1] neg_hi:[0,0,1]
	v_mov_b32_e32 v99, v103
	v_pk_add_f32 v[92:93], v[92:93], v[96:97]
	v_pk_fma_f32 v[102:103], v[164:165], v[148:149], v[104:105] neg_lo:[0,0,1] neg_hi:[0,0,1]
	v_mov_b32_e32 v103, v95
	v_pk_fma_f32 v[94:95], v[166:167], v[150:151], v[100:101] op_sel_hi:[1,0,1]
	s_wait_loadcnt 0x1
	v_pk_mul_f32 v[96:97], v[168:169], v[152:153] op_sel:[1,1] op_sel_hi:[0,1]
	v_pk_add_f32 v[92:93], v[92:93], v[98:99]
	v_mov_b32_e32 v94, v155
	v_pk_fma_f32 v[100:101], v[166:167], v[150:151], v[100:101] neg_lo:[0,0,1] neg_hi:[0,0,1]
	v_mov_b32_e32 v101, v95
	v_pk_fma_f32 v[98:99], v[168:169], v[152:153], v[96:97] op_sel_hi:[1,0,1]
	v_pk_add_f32 v[92:93], v[92:93], v[102:103]
	v_pk_mul_f32 v[94:95], v[228:229], v[94:95] op_sel_hi:[1,0]
	v_pk_fma_f32 v[96:97], v[168:169], v[152:153], v[96:97] neg_lo:[0,0,1] neg_hi:[0,0,1]
	s_delay_alu instid0(VALU_DEP_4) | instskip(NEXT) | instid1(VALU_DEP_4)
	v_mov_b32_e32 v97, v99
	v_pk_add_f32 v[92:93], v[92:93], v[100:101]
	s_delay_alu instid0(VALU_DEP_4) | instskip(SKIP_1) | instid1(VALU_DEP_2)
	v_pk_fma_f32 v[98:99], v[170:171], v[154:155], v[94:95] op_sel_hi:[1,0,1]
	v_pk_fma_f32 v[94:95], v[170:171], v[154:155], v[94:95] neg_lo:[0,0,1] neg_hi:[0,0,1]
	v_mov_b32_e32 v95, v99
	s_delay_alu instid0(VALU_DEP_4) | instskip(NEXT) | instid1(VALU_DEP_1)
	v_pk_add_f32 v[92:93], v[92:93], v[96:97]
	v_pk_add_f32 v[92:93], v[92:93], v[94:95]
	s_wait_loadcnt 0x0
	s_delay_alu instid0(VALU_DEP_1)
	v_pk_add_f32 v[92:93], v[220:221], v[92:93] neg_lo:[0,1] neg_hi:[0,1]
	scratch_store_b64 off, v[92:93], off offset:96
	s_wait_xcnt 0x0
	v_cmpx_lt_u32_e32 11, v0
	s_cbranch_execz .LBB44_261
; %bb.260:
	scratch_load_b64 v[92:93], off, off offset:88
	v_mov_b64_e32 v[94:95], 0
	scratch_store_b64 off, v[94:95], off offset:88
	s_wait_loadcnt 0x0
	ds_store_b64 v1, v[92:93]
.LBB44_261:
	s_wait_xcnt 0x0
	s_or_b32 exec_lo, exec_lo, s0
	s_wait_storecnt_dscnt 0x0
	s_barrier_signal -1
	s_barrier_wait -1
	s_clause 0x11
	scratch_load_b128 v[92:95], off, off offset:96
	scratch_load_b128 v[96:99], off, off offset:112
	;; [unrolled: 1-line block ×16, first 2 shown]
	scratch_load_b64 v[220:221], off, off offset:352
	scratch_load_b64 v[222:223], off, off offset:88
	v_mov_b32_e32 v5, 0
	ds_load_b128 v[156:159], v5 offset:656
	ds_load_b128 v[160:163], v5 offset:672
	;; [unrolled: 1-line block ×16, first 2 shown]
	ds_load_b64 v[224:225], v5 offset:720
	s_mov_b32 s0, exec_lo
	s_wait_dscnt 0x10
	v_dual_mov_b32 v226, v159 :: v_dual_mov_b32 v227, v158
	s_wait_dscnt 0xd
	v_dual_mov_b32 v228, v163 :: v_dual_mov_b32 v233, v170
	v_dual_mov_b32 v229, v162 :: v_dual_mov_b32 v230, v167
	;; [unrolled: 1-line block ×3, first 2 shown]
	s_wait_loadcnt_dscnt 0x110c
	v_dual_mul_f32 v7, v172, v93 :: v_dual_mul_f32 v55, v173, v93
	v_dual_mul_f32 v57, v175, v95 :: v_dual_mul_f32 v11, v174, v95
	s_wait_loadcnt_dscnt 0x100b
	v_mul_f32_e32 v13, v176, v97
	s_wait_loadcnt_dscnt 0xe09
	v_dual_mul_f32 v67, v185, v105 :: v_dual_fma_f32 v55, v172, v92, -v55
	v_dual_fmac_f32 v7, v173, v92 :: v_dual_mul_f32 v69, v187, v107
	v_dual_mul_f32 v59, v177, v97 :: v_dual_mul_f32 v61, v179, v99
	v_dual_fmac_f32 v11, v175, v94 :: v_dual_fma_f32 v57, v174, v94, -v57
	s_wait_loadcnt_dscnt 0xd08
	s_delay_alu instid0(VALU_DEP_3) | instskip(SKIP_1) | instid1(VALU_DEP_2)
	v_dual_add_f32 v7, 0, v7 :: v_dual_mul_f32 v71, v189, v109
	v_dual_add_f32 v55, 0, v55 :: v_dual_fmac_f32 v13, v177, v96
	v_dual_fma_f32 v59, v176, v96, -v59 :: v_dual_add_f32 v7, v7, v11
	v_dual_mul_f32 v63, v181, v101 :: v_dual_mul_f32 v65, v183, v103
	s_delay_alu instid0(VALU_DEP_3) | instskip(SKIP_2) | instid1(VALU_DEP_3)
	v_dual_add_f32 v11, v55, v57 :: v_dual_fma_f32 v57, v178, v98, -v61
	v_dual_mul_f32 v15, v178, v99 :: v_dual_mul_f32 v17, v180, v101
	v_dual_mul_f32 v19, v182, v103 :: v_dual_mul_f32 v21, v184, v105
	v_add_f32_e32 v11, v11, v59
	v_dual_add_f32 v7, v7, v13 :: v_dual_fma_f32 v59, v180, v100, -v63
	v_dual_mul_f32 v23, v186, v107 :: v_dual_mul_f32 v25, v188, v109
	s_delay_alu instid0(VALU_DEP_3) | instskip(SKIP_1) | instid1(VALU_DEP_2)
	v_dual_add_f32 v11, v11, v57 :: v_dual_fmac_f32 v21, v185, v104
	v_dual_fmac_f32 v15, v179, v98 :: v_dual_fmac_f32 v17, v181, v100
	v_dual_fma_f32 v57, v182, v102, -v65 :: v_dual_add_f32 v11, v11, v59
	s_delay_alu instid0(VALU_DEP_4) | instskip(SKIP_1) | instid1(VALU_DEP_3)
	v_dual_fmac_f32 v25, v189, v108 :: v_dual_mul_f32 v55, v191, v111
	s_wait_loadcnt_dscnt 0xc07
	v_dual_mul_f32 v13, v193, v113 :: v_dual_add_f32 v7, v7, v15
	v_dual_mul_f32 v15, v195, v115 :: v_dual_fma_f32 v59, v184, v104, -v67
	s_delay_alu instid0(VALU_DEP_3) | instskip(SKIP_1) | instid1(VALU_DEP_4)
	v_dual_add_f32 v11, v11, v57 :: v_dual_fma_f32 v55, v190, v110, -v55
	v_fmac_f32_e32 v19, v183, v102
	v_dual_add_f32 v7, v7, v17 :: v_dual_fma_f32 v57, v186, v106, -v69
	s_delay_alu instid0(VALU_DEP_3) | instskip(SKIP_2) | instid1(VALU_DEP_3)
	v_dual_add_f32 v11, v11, v59 :: v_dual_fma_f32 v15, v194, v114, -v15
	s_wait_loadcnt_dscnt 0xb06
	v_dual_mul_f32 v31, v194, v115 :: v_dual_mul_f32 v33, v196, v117
	v_dual_add_f32 v7, v7, v19 :: v_dual_fma_f32 v59, v188, v108, -v71
	s_delay_alu instid0(VALU_DEP_3) | instskip(SKIP_4) | instid1(VALU_DEP_3)
	v_dual_add_f32 v11, v11, v57 :: v_dual_mul_f32 v27, v190, v111
	v_dual_mul_f32 v29, v192, v113 :: v_dual_mul_f32 v35, v198, v119
	s_wait_loadcnt_dscnt 0xa05
	v_mul_f32_e32 v37, v200, v121
	v_dual_mul_f32 v17, v197, v117 :: v_dual_fmac_f32 v23, v187, v106
	v_dual_fmac_f32 v29, v193, v112 :: v_dual_add_f32 v7, v7, v21
	v_fma_f32 v13, v192, v112, -v13
	v_dual_fmac_f32 v33, v197, v116 :: v_dual_add_f32 v11, v11, v59
	s_delay_alu instid0(VALU_DEP_3) | instskip(SKIP_1) | instid1(VALU_DEP_3)
	v_dual_fmac_f32 v37, v201, v120 :: v_dual_add_f32 v7, v7, v23
	v_dual_mul_f32 v23, v203, v123 :: v_dual_fma_f32 v17, v196, v116, -v17
	v_add_f32_e32 v11, v11, v55
	s_wait_loadcnt_dscnt 0x803
	v_dual_mul_f32 v43, v206, v127 :: v_dual_mul_f32 v45, v208, v129
	s_delay_alu instid0(VALU_DEP_3) | instskip(NEXT) | instid1(VALU_DEP_3)
	v_dual_fma_f32 v23, v202, v122, -v23 :: v_dual_mul_f32 v19, v199, v119
	v_add_f32_e32 v11, v11, v13
	v_dual_mul_f32 v21, v201, v121 :: v_dual_fmac_f32 v27, v191, v110
	v_mul_f32_e32 v13, v209, v129
	v_add_f32_e32 v7, v7, v25
	s_delay_alu instid0(VALU_DEP_4) | instskip(SKIP_3) | instid1(VALU_DEP_3)
	v_dual_add_f32 v11, v11, v15 :: v_dual_fmac_f32 v45, v209, v128
	v_dual_mul_f32 v25, v205, v125 :: v_dual_fma_f32 v19, v198, v118, -v19
	s_wait_loadcnt_dscnt 0x601
	v_dual_mul_f32 v51, v214, v135 :: v_dual_mul_f32 v53, v216, v137
	v_add_f32_e32 v11, v11, v17
	v_dual_mul_f32 v17, v213, v133 :: v_dual_add_f32 v7, v7, v27
	s_wait_loadcnt 0x5
	v_dual_fma_f32 v21, v200, v120, -v21 :: v_dual_mov_b32 v92, v143
	s_wait_loadcnt 0x4
	v_mov_b32_e32 v96, v147
	v_dual_add_f32 v11, v11, v19 :: v_dual_fmac_f32 v53, v217, v136
	v_dual_mul_f32 v235, v218, v139 :: v_dual_mul_f32 v237, v156, v141
	v_pk_mul_f32 v[92:93], v[226:227], v[92:93] op_sel_hi:[1,0]
	s_delay_alu instid0(VALU_DEP_3)
	v_dual_add_f32 v11, v11, v21 :: v_dual_mul_f32 v39, v202, v123
	v_dual_mul_f32 v41, v204, v125 :: v_dual_mul_f32 v27, v207, v127
	v_dual_mul_f32 v21, v217, v137 :: v_dual_fmac_f32 v31, v195, v114
	v_dual_add_f32 v7, v7, v29 :: v_dual_fma_f32 v25, v204, v124, -v25
	v_fmac_f32_e32 v237, v157, v140
	v_pk_fma_f32 v[104:105], v[158:159], v[142:143], v[92:93] op_sel_hi:[1,0,1]
	v_add_f32_e32 v11, v11, v23
	v_pk_fma_f32 v[92:93], v[158:159], v[142:143], v[92:93] neg_lo:[0,0,1] neg_hi:[0,0,1]
	v_dual_fmac_f32 v41, v205, v124 :: v_dual_add_f32 v7, v7, v31
	s_delay_alu instid0(VALU_DEP_4) | instskip(NEXT) | instid1(VALU_DEP_4)
	v_dual_fma_f32 v27, v206, v126, -v27 :: v_dual_mov_b32 v93, v105
	v_dual_add_f32 v11, v11, v25 :: v_dual_mul_f32 v47, v210, v131
	v_dual_mul_f32 v49, v212, v133 :: v_dual_mul_f32 v15, v211, v131
	v_dual_fma_f32 v13, v208, v128, -v13 :: v_dual_fmac_f32 v35, v199, v118
	v_mul_f32_e32 v25, v157, v141
	s_delay_alu instid0(VALU_DEP_3) | instskip(SKIP_2) | instid1(VALU_DEP_3)
	v_dual_add_f32 v7, v7, v33 :: v_dual_fma_f32 v15, v210, v130, -v15
	v_add_f32_e32 v11, v11, v27
	v_dual_mul_f32 v19, v215, v135 :: v_dual_fmac_f32 v51, v215, v134
	v_dual_fmac_f32 v49, v213, v132 :: v_dual_add_f32 v7, v7, v35
	s_delay_alu instid0(VALU_DEP_3) | instskip(SKIP_2) | instid1(VALU_DEP_3)
	v_add_f32_e32 v11, v11, v13
	v_fmac_f32_e32 v39, v203, v122
	v_dual_mul_f32 v23, v219, v139 :: v_dual_fmac_f32 v235, v219, v138
	v_dual_fma_f32 v13, v212, v132, -v17 :: v_dual_add_f32 v11, v11, v15
	v_dual_fma_f32 v15, v214, v134, -v19 :: v_dual_add_f32 v7, v7, v37
	s_delay_alu instid0(VALU_DEP_3) | instskip(SKIP_1) | instid1(VALU_DEP_4)
	v_fma_f32 v234, v218, v138, -v23
	v_fmac_f32_e32 v43, v207, v126
	v_dual_add_f32 v11, v11, v13 :: v_dual_fma_f32 v13, v216, v136, -v21
	s_delay_alu instid0(VALU_DEP_4) | instskip(SKIP_1) | instid1(VALU_DEP_3)
	v_dual_add_f32 v7, v7, v39 :: v_dual_fma_f32 v236, v156, v140, -v25
	v_fmac_f32_e32 v47, v211, v130
	v_add_f32_e32 v11, v11, v15
	v_pk_mul_f32 v[94:95], v[160:161], v[144:145] op_sel:[1,1] op_sel_hi:[0,1]
	s_delay_alu instid0(VALU_DEP_4)
	v_add_f32_e32 v7, v7, v41
	v_pk_mul_f32 v[96:97], v[228:229], v[96:97] op_sel_hi:[1,0]
	s_wait_loadcnt 0x3
	v_pk_mul_f32 v[98:99], v[164:165], v[148:149] op_sel:[1,1] op_sel_hi:[0,1]
	v_add_f32_e32 v100, v11, v13
	v_pk_fma_f32 v[106:107], v[160:161], v[144:145], v[94:95] op_sel_hi:[1,0,1]
	v_add_f32_e32 v7, v7, v43
	v_pk_fma_f32 v[94:95], v[160:161], v[144:145], v[94:95] neg_lo:[0,0,1] neg_hi:[0,0,1]
	v_mov_b32_e32 v102, v151
	s_wait_loadcnt 0x2
	v_pk_mul_f32 v[104:105], v[168:169], v[152:153] op_sel:[1,1] op_sel_hi:[0,1]
	v_mov_b32_e32 v95, v107
	v_add_f32_e32 v7, v7, v45
	v_pk_fma_f32 v[106:107], v[162:163], v[146:147], v[96:97] op_sel_hi:[1,0,1]
	v_pk_fma_f32 v[96:97], v[162:163], v[146:147], v[96:97] neg_lo:[0,0,1] neg_hi:[0,0,1]
	v_pk_mul_f32 v[102:103], v[230:231], v[102:103] op_sel_hi:[1,0]
	s_delay_alu instid0(VALU_DEP_4) | instskip(NEXT) | instid1(VALU_DEP_4)
	v_add_f32_e32 v7, v7, v47
	v_mov_b32_e32 v97, v107
	s_delay_alu instid0(VALU_DEP_2) | instskip(NEXT) | instid1(VALU_DEP_1)
	v_add_f32_e32 v7, v7, v49
	v_add_f32_e32 v7, v7, v51
	s_delay_alu instid0(VALU_DEP_1) | instskip(NEXT) | instid1(VALU_DEP_1)
	v_add_f32_e32 v101, v7, v53
	v_pk_add_f32 v[100:101], v[100:101], v[234:235]
	s_delay_alu instid0(VALU_DEP_1) | instskip(NEXT) | instid1(VALU_DEP_1)
	v_pk_add_f32 v[100:101], v[100:101], v[236:237]
	v_pk_add_f32 v[92:93], v[100:101], v[92:93]
	v_pk_fma_f32 v[100:101], v[164:165], v[148:149], v[98:99] op_sel_hi:[1,0,1]
	v_pk_fma_f32 v[98:99], v[164:165], v[148:149], v[98:99] neg_lo:[0,0,1] neg_hi:[0,0,1]
	s_delay_alu instid0(VALU_DEP_3) | instskip(NEXT) | instid1(VALU_DEP_3)
	v_pk_add_f32 v[92:93], v[92:93], v[94:95]
	v_dual_mov_b32 v94, v155 :: v_dual_mov_b32 v99, v101
	v_pk_fma_f32 v[100:101], v[166:167], v[150:151], v[102:103] op_sel_hi:[1,0,1]
	v_pk_fma_f32 v[102:103], v[166:167], v[150:151], v[102:103] neg_lo:[0,0,1] neg_hi:[0,0,1]
	s_delay_alu instid0(VALU_DEP_4)
	v_pk_add_f32 v[92:93], v[92:93], v[96:97]
	v_pk_fma_f32 v[96:97], v[168:169], v[152:153], v[104:105] op_sel_hi:[1,0,1]
	v_pk_mul_f32 v[94:95], v[232:233], v[94:95] op_sel_hi:[1,0]
	v_mov_b32_e32 v103, v101
	s_wait_loadcnt_dscnt 0x100
	v_pk_mul_f32 v[100:101], v[224:225], v[220:221] op_sel:[1,1] op_sel_hi:[0,1]
	v_pk_add_f32 v[92:93], v[92:93], v[98:99]
	v_pk_fma_f32 v[98:99], v[168:169], v[152:153], v[104:105] neg_lo:[0,0,1] neg_hi:[0,0,1]
	v_mov_b32_e32 v99, v97
	v_pk_fma_f32 v[96:97], v[170:171], v[154:155], v[94:95] op_sel_hi:[1,0,1]
	v_pk_fma_f32 v[94:95], v[170:171], v[154:155], v[94:95] neg_lo:[0,0,1] neg_hi:[0,0,1]
	v_pk_add_f32 v[92:93], v[92:93], v[102:103]
	s_delay_alu instid0(VALU_DEP_3) | instskip(SKIP_1) | instid1(VALU_DEP_3)
	v_mov_b32_e32 v95, v97
	v_pk_fma_f32 v[96:97], v[224:225], v[220:221], v[100:101] op_sel_hi:[1,0,1]
	v_pk_add_f32 v[92:93], v[92:93], v[98:99]
	v_pk_fma_f32 v[98:99], v[224:225], v[220:221], v[100:101] neg_lo:[0,0,1] neg_hi:[0,0,1]
	s_delay_alu instid0(VALU_DEP_3) | instskip(NEXT) | instid1(VALU_DEP_3)
	v_mov_b32_e32 v99, v97
	v_pk_add_f32 v[92:93], v[92:93], v[94:95]
	s_delay_alu instid0(VALU_DEP_1) | instskip(SKIP_1) | instid1(VALU_DEP_1)
	v_pk_add_f32 v[92:93], v[92:93], v[98:99]
	s_wait_loadcnt 0x0
	v_pk_add_f32 v[92:93], v[222:223], v[92:93] neg_lo:[0,1] neg_hi:[0,1]
	scratch_store_b64 off, v[92:93], off offset:88
	s_wait_xcnt 0x0
	v_cmpx_lt_u32_e32 10, v0
	s_cbranch_execz .LBB44_263
; %bb.262:
	scratch_load_b64 v[92:93], off, off offset:80
	v_mov_b64_e32 v[94:95], 0
	scratch_store_b64 off, v[94:95], off offset:80
	s_wait_loadcnt 0x0
	ds_store_b64 v1, v[92:93]
.LBB44_263:
	s_wait_xcnt 0x0
	s_or_b32 exec_lo, exec_lo, s0
	s_wait_storecnt_dscnt 0x0
	s_barrier_signal -1
	s_barrier_wait -1
	s_clause 0x11
	scratch_load_b128 v[92:95], off, off offset:88
	scratch_load_b128 v[96:99], off, off offset:104
	;; [unrolled: 1-line block ×17, first 2 shown]
	scratch_load_b64 v[228:229], off, off offset:80
	ds_load_2addr_b64 v[160:163], v5 offset0:83 offset1:84
	ds_load_2addr_b64 v[164:167], v5 offset0:85 offset1:86
	;; [unrolled: 1-line block ×17, first 2 shown]
	s_mov_b32 s0, exec_lo
	s_wait_dscnt 0x10
	v_dual_mov_b32 v230, v163 :: v_dual_mov_b32 v231, v162
	s_wait_dscnt 0xf
	v_dual_mov_b32 v232, v167 :: v_dual_mov_b32 v233, v166
	s_wait_dscnt 0xe
	v_dual_mov_b32 v234, v171 :: v_dual_mov_b32 v235, v170
	s_wait_dscnt 0xd
	v_dual_mov_b32 v236, v175 :: v_dual_mov_b32 v237, v174
	s_wait_loadcnt_dscnt 0x110b
	v_dual_mul_f32 v5, v180, v93 :: v_dual_mul_f32 v7, v182, v95
	v_dual_mul_f32 v55, v181, v93 :: v_dual_mul_f32 v57, v183, v95
	s_wait_loadcnt_dscnt 0x100a
	v_dual_mul_f32 v11, v184, v97 :: v_dual_mul_f32 v13, v186, v99
	s_delay_alu instid0(VALU_DEP_2) | instskip(SKIP_3) | instid1(VALU_DEP_3)
	v_dual_fmac_f32 v5, v181, v92 :: v_dual_fma_f32 v55, v180, v92, -v55
	v_dual_mul_f32 v59, v185, v97 :: v_dual_mul_f32 v61, v187, v99
	s_wait_loadcnt_dscnt 0xe08
	v_dual_mul_f32 v67, v193, v105 :: v_dual_fmac_f32 v7, v183, v94
	v_dual_fma_f32 v57, v182, v94, -v57 :: v_dual_add_f32 v5, 0, v5
	v_dual_add_f32 v55, 0, v55 :: v_dual_fmac_f32 v11, v185, v96
	v_dual_mul_f32 v69, v195, v107 :: v_dual_fma_f32 v59, v184, v96, -v59
	s_delay_alu instid0(VALU_DEP_2)
	v_dual_add_f32 v5, v5, v7 :: v_dual_add_f32 v7, v55, v57
	v_dual_mul_f32 v15, v188, v101 :: v_dual_mul_f32 v17, v190, v103
	v_dual_mul_f32 v63, v189, v101 :: v_dual_mul_f32 v65, v191, v103
	s_wait_loadcnt_dscnt 0xd07
	v_dual_mul_f32 v55, v197, v109 :: v_dual_fmac_f32 v13, v187, v98
	v_dual_fma_f32 v57, v186, v98, -v61 :: v_dual_add_f32 v5, v5, v11
	v_dual_add_f32 v7, v7, v59 :: v_dual_fmac_f32 v15, v189, v100
	v_dual_mul_f32 v11, v199, v111 :: v_dual_fma_f32 v59, v188, v100, -v63
	s_delay_alu instid0(VALU_DEP_3) | instskip(NEXT) | instid1(VALU_DEP_3)
	v_dual_add_f32 v5, v5, v13 :: v_dual_fmac_f32 v17, v191, v102
	v_dual_add_f32 v7, v7, v57 :: v_dual_fma_f32 v57, v190, v102, -v65
	v_dual_mul_f32 v19, v192, v105 :: v_dual_mul_f32 v21, v194, v107
	s_wait_loadcnt_dscnt 0xc06
	s_delay_alu instid0(VALU_DEP_2) | instskip(SKIP_1) | instid1(VALU_DEP_3)
	v_dual_mul_f32 v13, v201, v113 :: v_dual_add_f32 v7, v7, v59
	v_dual_add_f32 v5, v5, v15 :: v_dual_fma_f32 v59, v192, v104, -v67
	v_dual_mul_f32 v15, v203, v115 :: v_dual_fmac_f32 v19, v193, v104
	s_delay_alu instid0(VALU_DEP_3) | instskip(NEXT) | instid1(VALU_DEP_3)
	v_dual_add_f32 v7, v7, v57 :: v_dual_fma_f32 v57, v194, v106, -v69
	v_dual_add_f32 v5, v5, v17 :: v_dual_fmac_f32 v21, v195, v106
	v_dual_mul_f32 v23, v196, v109 :: v_dual_mul_f32 v25, v198, v111
	s_wait_loadcnt_dscnt 0xb05
	s_delay_alu instid0(VALU_DEP_3) | instskip(NEXT) | instid1(VALU_DEP_3)
	v_dual_mul_f32 v17, v205, v117 :: v_dual_add_f32 v7, v7, v59
	v_dual_add_f32 v5, v5, v19 :: v_dual_fma_f32 v55, v196, v108, -v55
	s_delay_alu instid0(VALU_DEP_3) | instskip(NEXT) | instid1(VALU_DEP_3)
	v_dual_mul_f32 v19, v207, v119 :: v_dual_fmac_f32 v23, v197, v108
	v_dual_add_f32 v7, v7, v57 :: v_dual_fma_f32 v11, v198, v110, -v11
	s_delay_alu instid0(VALU_DEP_3) | instskip(SKIP_2) | instid1(VALU_DEP_3)
	v_dual_add_f32 v5, v5, v21 :: v_dual_fmac_f32 v25, v199, v110
	v_dual_mul_f32 v27, v200, v113 :: v_dual_mul_f32 v29, v202, v115
	s_wait_loadcnt_dscnt 0xa04
	v_dual_mul_f32 v21, v209, v121 :: v_dual_add_f32 v7, v7, v55
	s_delay_alu instid0(VALU_DEP_3) | instskip(NEXT) | instid1(VALU_DEP_3)
	v_dual_add_f32 v5, v5, v23 :: v_dual_fma_f32 v13, v200, v112, -v13
	v_dual_mul_f32 v23, v211, v123 :: v_dual_fmac_f32 v27, v201, v112
	s_delay_alu instid0(VALU_DEP_2) | instskip(SKIP_3) | instid1(VALU_DEP_3)
	v_dual_add_f32 v7, v7, v11 :: v_dual_add_f32 v5, v5, v25
	v_dual_mul_f32 v31, v204, v117 :: v_dual_mul_f32 v33, v206, v119
	s_wait_loadcnt_dscnt 0x903
	v_dual_mul_f32 v11, v213, v125 :: v_dual_fmac_f32 v29, v203, v114
	v_dual_fma_f32 v15, v202, v114, -v15 :: v_dual_add_f32 v5, v5, v27
	s_delay_alu instid0(VALU_DEP_3) | instskip(SKIP_1) | instid1(VALU_DEP_2)
	v_dual_add_f32 v7, v7, v13 :: v_dual_fmac_f32 v31, v205, v116
	v_dual_mul_f32 v13, v215, v127 :: v_dual_fma_f32 v17, v204, v116, -v17
	v_dual_add_f32 v5, v5, v29 :: v_dual_add_f32 v7, v7, v15
	v_dual_mul_f32 v35, v208, v121 :: v_dual_mul_f32 v37, v210, v123
	s_wait_loadcnt_dscnt 0x802
	v_dual_mul_f32 v15, v217, v129 :: v_dual_fmac_f32 v33, v207, v118
	s_delay_alu instid0(VALU_DEP_3) | instskip(NEXT) | instid1(VALU_DEP_3)
	v_dual_fma_f32 v19, v206, v118, -v19 :: v_dual_add_f32 v5, v5, v31
	v_dual_add_f32 v7, v7, v17 :: v_dual_fmac_f32 v35, v209, v120
	v_dual_mul_f32 v17, v219, v131 :: v_dual_fma_f32 v21, v208, v120, -v21
	s_delay_alu instid0(VALU_DEP_2) | instskip(SKIP_3) | instid1(VALU_DEP_3)
	v_dual_add_f32 v5, v5, v33 :: v_dual_add_f32 v7, v7, v19
	v_dual_mul_f32 v39, v212, v125 :: v_dual_mul_f32 v41, v214, v127
	s_wait_loadcnt_dscnt 0x701
	v_dual_mul_f32 v19, v221, v133 :: v_dual_fmac_f32 v37, v211, v122
	v_dual_fma_f32 v23, v210, v122, -v23 :: v_dual_add_f32 v5, v5, v35
	s_delay_alu instid0(VALU_DEP_3) | instskip(SKIP_1) | instid1(VALU_DEP_2)
	v_dual_add_f32 v7, v7, v21 :: v_dual_fmac_f32 v39, v213, v124
	v_dual_mul_f32 v21, v223, v135 :: v_dual_fma_f32 v11, v212, v124, -v11
	v_dual_add_f32 v5, v5, v37 :: v_dual_add_f32 v7, v7, v23
	v_dual_mul_f32 v43, v216, v129 :: v_dual_mul_f32 v45, v218, v131
	s_wait_loadcnt_dscnt 0x600
	v_dual_mul_f32 v23, v225, v137 :: v_dual_fmac_f32 v41, v215, v126
	s_delay_alu instid0(VALU_DEP_3) | instskip(NEXT) | instid1(VALU_DEP_3)
	v_dual_fma_f32 v13, v214, v126, -v13 :: v_dual_add_f32 v5, v5, v39
	v_dual_add_f32 v7, v7, v11 :: v_dual_fmac_f32 v43, v217, v128
	v_dual_mul_f32 v11, v227, v139 :: v_dual_fma_f32 v15, v216, v128, -v15
	s_delay_alu instid0(VALU_DEP_3) | instskip(NEXT) | instid1(VALU_DEP_3)
	v_dual_add_f32 v5, v5, v41 :: v_dual_fmac_f32 v45, v219, v130
	v_dual_add_f32 v7, v7, v13 :: v_dual_fma_f32 v17, v218, v130, -v17
	v_dual_mul_f32 v47, v220, v133 :: v_dual_mul_f32 v49, v222, v135
	s_wait_loadcnt 0x5
	s_delay_alu instid0(VALU_DEP_2) | instskip(SKIP_1) | instid1(VALU_DEP_3)
	v_dual_mul_f32 v13, v177, v141 :: v_dual_add_f32 v7, v7, v15
	v_dual_add_f32 v5, v5, v43 :: v_dual_fma_f32 v19, v220, v132, -v19
	v_dual_mul_f32 v15, v179, v143 :: v_dual_fmac_f32 v47, v221, v132
	s_delay_alu instid0(VALU_DEP_3) | instskip(NEXT) | instid1(VALU_DEP_3)
	v_dual_add_f32 v7, v7, v17 :: v_dual_fma_f32 v17, v222, v134, -v21
	v_dual_add_f32 v5, v5, v45 :: v_dual_fmac_f32 v49, v223, v134
	v_dual_mul_f32 v51, v224, v137 :: v_dual_mul_f32 v53, v226, v139
	s_delay_alu instid0(VALU_DEP_3) | instskip(SKIP_1) | instid1(VALU_DEP_3)
	v_add_f32_e32 v7, v7, v19
	s_wait_loadcnt 0x4
	v_dual_add_f32 v5, v5, v47 :: v_dual_mov_b32 v94, v147
	s_delay_alu instid0(VALU_DEP_3) | instskip(NEXT) | instid1(VALU_DEP_3)
	v_fmac_f32_e32 v51, v225, v136
	v_dual_fma_f32 v19, v224, v136, -v23 :: v_dual_add_f32 v7, v7, v17
	s_delay_alu instid0(VALU_DEP_3) | instskip(SKIP_2) | instid1(VALU_DEP_4)
	v_dual_fma_f32 v11, v226, v138, -v11 :: v_dual_add_f32 v5, v5, v49
	v_dual_mul_f32 v239, v176, v141 :: v_dual_mul_f32 v241, v178, v143
	v_fmac_f32_e32 v53, v227, v138
	v_add_f32_e32 v7, v7, v19
	s_delay_alu instid0(VALU_DEP_4)
	v_add_f32_e32 v5, v5, v51
	v_pk_mul_f32 v[92:93], v[160:161], v[144:145] op_sel:[1,1] op_sel_hi:[0,1]
	s_wait_loadcnt 0x3
	v_dual_mov_b32 v98, v151 :: v_dual_fma_f32 v238, v176, v140, -v13
	v_fmac_f32_e32 v239, v177, v140
	v_dual_add_f32 v101, v5, v53 :: v_dual_add_f32 v100, v7, v11
	v_dual_fmac_f32 v241, v179, v142 :: v_dual_fma_f32 v240, v178, v142, -v15
	v_pk_fma_f32 v[102:103], v[160:161], v[144:145], v[92:93] op_sel_hi:[1,0,1]
	v_pk_mul_f32 v[94:95], v[230:231], v[94:95] op_sel_hi:[1,0]
	s_delay_alu instid0(VALU_DEP_4)
	v_pk_add_f32 v[100:101], v[100:101], v[238:239]
	v_pk_fma_f32 v[92:93], v[160:161], v[144:145], v[92:93] neg_lo:[0,0,1] neg_hi:[0,0,1]
	v_pk_mul_f32 v[96:97], v[164:165], v[148:149] op_sel:[1,1] op_sel_hi:[0,1]
	v_mov_b32_e32 v93, v103
	v_pk_fma_f32 v[102:103], v[162:163], v[146:147], v[94:95] op_sel_hi:[1,0,1]
	v_pk_add_f32 v[100:101], v[100:101], v[240:241]
	v_pk_fma_f32 v[94:95], v[162:163], v[146:147], v[94:95] neg_lo:[0,0,1] neg_hi:[0,0,1]
	v_pk_fma_f32 v[106:107], v[164:165], v[148:149], v[96:97] op_sel_hi:[1,0,1]
	v_pk_mul_f32 v[98:99], v[232:233], v[98:99] op_sel_hi:[1,0]
	v_mov_b32_e32 v95, v103
	v_pk_add_f32 v[92:93], v[100:101], v[92:93]
	s_wait_loadcnt 0x2
	v_pk_mul_f32 v[104:105], v[168:169], v[152:153] op_sel:[1,1] op_sel_hi:[0,1]
	v_mov_b32_e32 v100, v155
	v_pk_fma_f32 v[96:97], v[164:165], v[148:149], v[96:97] neg_lo:[0,0,1] neg_hi:[0,0,1]
	v_mov_b32_e32 v97, v107
	v_pk_fma_f32 v[102:103], v[166:167], v[150:151], v[98:99] op_sel_hi:[1,0,1]
	v_pk_add_f32 v[92:93], v[92:93], v[94:95]
	v_pk_fma_f32 v[94:95], v[168:169], v[152:153], v[104:105] op_sel_hi:[1,0,1]
	v_pk_mul_f32 v[100:101], v[234:235], v[100:101] op_sel_hi:[1,0]
	v_pk_fma_f32 v[98:99], v[166:167], v[150:151], v[98:99] neg_lo:[0,0,1] neg_hi:[0,0,1]
	v_mov_b32_e32 v99, v103
	v_pk_add_f32 v[92:93], v[92:93], v[96:97]
	v_pk_fma_f32 v[102:103], v[168:169], v[152:153], v[104:105] neg_lo:[0,0,1] neg_hi:[0,0,1]
	v_mov_b32_e32 v103, v95
	v_pk_fma_f32 v[94:95], v[170:171], v[154:155], v[100:101] op_sel_hi:[1,0,1]
	s_wait_loadcnt 0x1
	v_pk_mul_f32 v[96:97], v[172:173], v[156:157] op_sel:[1,1] op_sel_hi:[0,1]
	v_pk_add_f32 v[92:93], v[92:93], v[98:99]
	v_mov_b32_e32 v94, v159
	v_pk_fma_f32 v[100:101], v[170:171], v[154:155], v[100:101] neg_lo:[0,0,1] neg_hi:[0,0,1]
	v_mov_b32_e32 v101, v95
	v_pk_fma_f32 v[98:99], v[172:173], v[156:157], v[96:97] op_sel_hi:[1,0,1]
	v_pk_add_f32 v[92:93], v[92:93], v[102:103]
	v_pk_mul_f32 v[94:95], v[236:237], v[94:95] op_sel_hi:[1,0]
	v_pk_fma_f32 v[96:97], v[172:173], v[156:157], v[96:97] neg_lo:[0,0,1] neg_hi:[0,0,1]
	s_delay_alu instid0(VALU_DEP_4) | instskip(NEXT) | instid1(VALU_DEP_4)
	v_mov_b32_e32 v97, v99
	v_pk_add_f32 v[92:93], v[92:93], v[100:101]
	s_delay_alu instid0(VALU_DEP_4) | instskip(SKIP_1) | instid1(VALU_DEP_2)
	v_pk_fma_f32 v[98:99], v[174:175], v[158:159], v[94:95] op_sel_hi:[1,0,1]
	v_pk_fma_f32 v[94:95], v[174:175], v[158:159], v[94:95] neg_lo:[0,0,1] neg_hi:[0,0,1]
	v_mov_b32_e32 v95, v99
	s_delay_alu instid0(VALU_DEP_4) | instskip(NEXT) | instid1(VALU_DEP_1)
	v_pk_add_f32 v[92:93], v[92:93], v[96:97]
	v_pk_add_f32 v[92:93], v[92:93], v[94:95]
	s_wait_loadcnt 0x0
	s_delay_alu instid0(VALU_DEP_1)
	v_pk_add_f32 v[92:93], v[228:229], v[92:93] neg_lo:[0,1] neg_hi:[0,1]
	scratch_store_b64 off, v[92:93], off offset:80
	s_wait_xcnt 0x0
	v_cmpx_lt_u32_e32 9, v0
	s_cbranch_execz .LBB44_265
; %bb.264:
	scratch_load_b64 v[92:93], off, off offset:72
	v_mov_b64_e32 v[94:95], 0
	scratch_store_b64 off, v[94:95], off offset:72
	s_wait_loadcnt 0x0
	ds_store_b64 v1, v[92:93]
.LBB44_265:
	s_wait_xcnt 0x0
	s_or_b32 exec_lo, exec_lo, s0
	s_wait_storecnt_dscnt 0x0
	s_barrier_signal -1
	s_barrier_wait -1
	s_clause 0x12
	scratch_load_b128 v[92:95], off, off offset:80
	scratch_load_b128 v[96:99], off, off offset:96
	;; [unrolled: 1-line block ×17, first 2 shown]
	scratch_load_b64 v[228:229], off, off offset:352
	scratch_load_b64 v[230:231], off, off offset:72
	v_mov_b32_e32 v5, 0
	ds_load_b128 v[160:163], v5 offset:656
	ds_load_b128 v[164:167], v5 offset:672
	;; [unrolled: 1-line block ×17, first 2 shown]
	ds_load_b64 v[232:233], v5 offset:720
	s_mov_b32 s0, exec_lo
	s_wait_dscnt 0x11
	v_dual_mov_b32 v234, v163 :: v_dual_mov_b32 v235, v162
	s_wait_dscnt 0x10
	v_dual_mov_b32 v236, v167 :: v_dual_mov_b32 v237, v166
	;; [unrolled: 2-line block ×3, first 2 shown]
	v_dual_mov_b32 v239, v170 :: v_dual_mov_b32 v240, v179
	s_wait_loadcnt_dscnt 0x120c
	v_dual_mul_f32 v7, v180, v93 :: v_dual_mul_f32 v59, v181, v93
	v_dual_mul_f32 v61, v183, v95 :: v_dual_mul_f32 v11, v182, v95
	s_wait_loadcnt_dscnt 0x110b
	v_mul_f32_e32 v13, v184, v97
	s_wait_loadcnt_dscnt 0xf09
	v_dual_mul_f32 v71, v193, v105 :: v_dual_fma_f32 v59, v180, v92, -v59
	v_dual_fmac_f32 v7, v181, v92 :: v_dual_mul_f32 v73, v195, v107
	v_dual_mul_f32 v63, v185, v97 :: v_dual_mul_f32 v65, v187, v99
	v_dual_fmac_f32 v11, v183, v94 :: v_dual_fma_f32 v61, v182, v94, -v61
	s_wait_loadcnt_dscnt 0xe08
	s_delay_alu instid0(VALU_DEP_3) | instskip(SKIP_1) | instid1(VALU_DEP_2)
	v_dual_add_f32 v7, 0, v7 :: v_dual_mul_f32 v75, v197, v109
	v_dual_add_f32 v59, 0, v59 :: v_dual_fmac_f32 v13, v185, v96
	v_dual_fma_f32 v63, v184, v96, -v63 :: v_dual_add_f32 v7, v7, v11
	v_dual_mul_f32 v67, v189, v101 :: v_dual_mul_f32 v69, v191, v103
	s_delay_alu instid0(VALU_DEP_3) | instskip(SKIP_2) | instid1(VALU_DEP_3)
	v_dual_add_f32 v11, v59, v61 :: v_dual_fma_f32 v61, v186, v98, -v65
	v_dual_mul_f32 v15, v186, v99 :: v_dual_mul_f32 v17, v188, v101
	v_dual_mul_f32 v19, v190, v103 :: v_dual_mul_f32 v21, v192, v105
	v_add_f32_e32 v11, v11, v63
	v_dual_add_f32 v7, v7, v13 :: v_dual_fma_f32 v63, v188, v100, -v67
	v_dual_mul_f32 v23, v194, v107 :: v_dual_mul_f32 v25, v196, v109
	s_delay_alu instid0(VALU_DEP_3) | instskip(SKIP_1) | instid1(VALU_DEP_2)
	v_dual_add_f32 v11, v11, v61 :: v_dual_fmac_f32 v21, v193, v104
	v_dual_fmac_f32 v15, v187, v98 :: v_dual_fmac_f32 v17, v189, v100
	v_dual_fma_f32 v61, v190, v102, -v69 :: v_dual_add_f32 v11, v11, v63
	s_delay_alu instid0(VALU_DEP_4) | instskip(SKIP_1) | instid1(VALU_DEP_3)
	v_dual_fmac_f32 v25, v197, v108 :: v_dual_mul_f32 v59, v199, v111
	s_wait_loadcnt_dscnt 0xd07
	v_dual_mul_f32 v13, v201, v113 :: v_dual_add_f32 v7, v7, v15
	v_dual_mul_f32 v15, v203, v115 :: v_dual_fma_f32 v63, v192, v104, -v71
	s_delay_alu instid0(VALU_DEP_3) | instskip(SKIP_1) | instid1(VALU_DEP_4)
	v_dual_add_f32 v11, v11, v61 :: v_dual_fma_f32 v59, v198, v110, -v59
	v_fmac_f32_e32 v19, v191, v102
	v_dual_add_f32 v7, v7, v17 :: v_dual_fma_f32 v61, v194, v106, -v73
	s_delay_alu instid0(VALU_DEP_3) | instskip(SKIP_2) | instid1(VALU_DEP_3)
	v_dual_add_f32 v11, v11, v63 :: v_dual_fma_f32 v15, v202, v114, -v15
	s_wait_loadcnt_dscnt 0xc06
	v_dual_mul_f32 v31, v202, v115 :: v_dual_mul_f32 v33, v204, v117
	v_dual_add_f32 v7, v7, v19 :: v_dual_fma_f32 v63, v196, v108, -v75
	s_delay_alu instid0(VALU_DEP_3) | instskip(SKIP_4) | instid1(VALU_DEP_3)
	v_dual_add_f32 v11, v11, v61 :: v_dual_mul_f32 v27, v198, v111
	v_dual_mul_f32 v29, v200, v113 :: v_dual_mul_f32 v35, v206, v119
	s_wait_loadcnt_dscnt 0xb05
	v_mul_f32_e32 v37, v208, v121
	v_dual_mul_f32 v17, v205, v117 :: v_dual_fmac_f32 v23, v195, v106
	v_dual_fmac_f32 v29, v201, v112 :: v_dual_add_f32 v7, v7, v21
	v_fma_f32 v13, v200, v112, -v13
	v_dual_fmac_f32 v33, v205, v116 :: v_dual_add_f32 v11, v11, v63
	s_delay_alu instid0(VALU_DEP_3) | instskip(SKIP_1) | instid1(VALU_DEP_3)
	v_dual_fmac_f32 v37, v209, v120 :: v_dual_add_f32 v7, v7, v23
	v_dual_mul_f32 v23, v211, v123 :: v_dual_fma_f32 v17, v204, v116, -v17
	v_add_f32_e32 v11, v11, v59
	s_wait_loadcnt_dscnt 0x903
	v_dual_mul_f32 v43, v214, v127 :: v_dual_mul_f32 v45, v216, v129
	s_delay_alu instid0(VALU_DEP_3) | instskip(NEXT) | instid1(VALU_DEP_3)
	v_dual_fma_f32 v23, v210, v122, -v23 :: v_dual_mul_f32 v19, v207, v119
	v_dual_add_f32 v11, v11, v13 :: v_dual_mul_f32 v47, v218, v131
	s_wait_loadcnt_dscnt 0x802
	v_mul_f32_e32 v49, v220, v133
	v_dual_mul_f32 v21, v209, v121 :: v_dual_fmac_f32 v27, v199, v110
	s_delay_alu instid0(VALU_DEP_3) | instskip(SKIP_3) | instid1(VALU_DEP_4)
	v_dual_add_f32 v11, v11, v15 :: v_dual_fmac_f32 v45, v217, v128
	v_mul_f32_e32 v13, v217, v129
	v_add_f32_e32 v7, v7, v25
	v_dual_mul_f32 v25, v213, v125 :: v_dual_fma_f32 v19, v206, v118, -v19
	v_dual_add_f32 v11, v11, v17 :: v_dual_fmac_f32 v49, v221, v132
	s_delay_alu instid0(VALU_DEP_3) | instskip(NEXT) | instid1(VALU_DEP_2)
	v_dual_mul_f32 v17, v221, v133 :: v_dual_add_f32 v7, v7, v27
	v_dual_fma_f32 v21, v208, v120, -v21 :: v_dual_add_f32 v11, v11, v19
	v_dual_mul_f32 v39, v210, v123 :: v_dual_mul_f32 v41, v212, v125
	v_mul_f32_e32 v27, v215, v127
	v_fmac_f32_e32 v31, v203, v114
	s_delay_alu instid0(VALU_DEP_4) | instskip(SKIP_3) | instid1(VALU_DEP_3)
	v_add_f32_e32 v11, v11, v21
	v_dual_add_f32 v7, v7, v29 :: v_dual_fma_f32 v25, v212, v124, -v25
	s_wait_loadcnt_dscnt 0x701
	v_mul_f32_e32 v21, v225, v137
	v_dual_fmac_f32 v41, v213, v124 :: v_dual_add_f32 v11, v11, v23
	s_delay_alu instid0(VALU_DEP_3) | instskip(SKIP_1) | instid1(VALU_DEP_3)
	v_dual_add_f32 v7, v7, v31 :: v_dual_fma_f32 v27, v214, v126, -v27
	v_dual_mul_f32 v15, v219, v131 :: v_dual_fma_f32 v13, v216, v128, -v13
	v_add_f32_e32 v11, v11, v25
	s_wait_loadcnt 0x6
	v_dual_fmac_f32 v35, v207, v118 :: v_dual_mul_f32 v25, v173, v141
	s_delay_alu instid0(VALU_DEP_3) | instskip(NEXT) | instid1(VALU_DEP_3)
	v_dual_add_f32 v7, v7, v33 :: v_dual_fma_f32 v15, v218, v130, -v15
	v_add_f32_e32 v11, v11, v27
	v_dual_mul_f32 v51, v222, v135 :: v_dual_mul_f32 v53, v224, v137
	v_dual_fmac_f32 v39, v211, v122 :: v_dual_fma_f32 v17, v220, v132, -v17
	s_delay_alu instid0(VALU_DEP_3) | instskip(SKIP_3) | instid1(VALU_DEP_3)
	v_add_f32_e32 v11, v11, v13
	s_wait_loadcnt 0x5
	v_dual_mul_f32 v13, v161, v145 :: v_dual_add_f32 v7, v7, v35
	v_dual_mul_f32 v55, v226, v139 :: v_dual_mul_f32 v57, v172, v141
	v_add_f32_e32 v11, v11, v15
	v_dual_mul_f32 v243, v174, v143 :: v_dual_mul_f32 v245, v160, v145
	s_delay_alu instid0(VALU_DEP_4) | instskip(SKIP_3) | instid1(VALU_DEP_3)
	v_add_f32_e32 v7, v7, v37
	s_wait_loadcnt 0x4
	v_dual_mov_b32 v92, v147 :: v_dual_mov_b32 v96, v151
	v_dual_add_f32 v11, v11, v17 :: v_dual_fmac_f32 v53, v225, v136
	v_dual_fma_f32 v17, v224, v136, -v21 :: v_dual_add_f32 v7, v7, v39
	v_dual_fmac_f32 v57, v173, v140 :: v_dual_fmac_f32 v43, v215, v126
	v_dual_fmac_f32 v245, v161, v144 :: v_dual_mul_f32 v27, v175, v143
	v_fmac_f32_e32 v243, v175, v142
	s_delay_alu instid0(VALU_DEP_4) | instskip(SKIP_4) | instid1(VALU_DEP_4)
	v_add_f32_e32 v7, v7, v41
	v_pk_mul_f32 v[92:93], v[234:235], v[92:93] op_sel_hi:[1,0]
	v_fmac_f32_e32 v47, v219, v130
	v_dual_fma_f32 v242, v174, v142, -v27 :: v_dual_mul_f32 v19, v223, v135
	v_fmac_f32_e32 v51, v223, v134
	v_pk_fma_f32 v[104:105], v[162:163], v[146:147], v[92:93] op_sel_hi:[1,0,1]
	v_add_f32_e32 v7, v7, v43
	v_pk_fma_f32 v[92:93], v[162:163], v[146:147], v[92:93] neg_lo:[0,0,1] neg_hi:[0,0,1]
	v_dual_fma_f32 v15, v222, v134, -v19 :: v_dual_mul_f32 v23, v227, v139
	s_delay_alu instid0(VALU_DEP_4) | instskip(NEXT) | instid1(VALU_DEP_4)
	v_dual_fmac_f32 v55, v227, v138 :: v_dual_mov_b32 v93, v105
	v_add_f32_e32 v7, v7, v45
	s_delay_alu instid0(VALU_DEP_3) | instskip(SKIP_1) | instid1(VALU_DEP_3)
	v_dual_add_f32 v11, v11, v15 :: v_dual_fma_f32 v15, v226, v138, -v23
	v_pk_mul_f32 v[94:95], v[164:165], v[148:149] op_sel:[1,1] op_sel_hi:[0,1]
	v_dual_fma_f32 v244, v160, v144, -v13 :: v_dual_add_f32 v7, v7, v47
	s_delay_alu instid0(VALU_DEP_3) | instskip(NEXT) | instid1(VALU_DEP_3)
	v_dual_add_f32 v11, v11, v17 :: v_dual_fma_f32 v17, v172, v140, -v25
	v_pk_fma_f32 v[106:107], v[164:165], v[148:149], v[94:95] op_sel_hi:[1,0,1]
	v_pk_mul_f32 v[96:97], v[236:237], v[96:97] op_sel_hi:[1,0]
	s_delay_alu instid0(VALU_DEP_4) | instskip(NEXT) | instid1(VALU_DEP_4)
	v_add_f32_e32 v7, v7, v49
	v_add_f32_e32 v11, v11, v15
	v_pk_fma_f32 v[94:95], v[164:165], v[148:149], v[94:95] neg_lo:[0,0,1] neg_hi:[0,0,1]
	s_wait_loadcnt 0x3
	v_pk_mul_f32 v[98:99], v[168:169], v[152:153] op_sel:[1,1] op_sel_hi:[0,1]
	v_dual_mov_b32 v102, v155 :: v_dual_mov_b32 v95, v107
	v_add_f32_e32 v7, v7, v51
	v_add_f32_e32 v100, v11, v17
	v_pk_fma_f32 v[106:107], v[166:167], v[150:151], v[96:97] op_sel_hi:[1,0,1]
	v_pk_fma_f32 v[96:97], v[166:167], v[150:151], v[96:97] neg_lo:[0,0,1] neg_hi:[0,0,1]
	v_pk_mul_f32 v[102:103], v[238:239], v[102:103] op_sel_hi:[1,0]
	v_add_f32_e32 v7, v7, v53
	s_wait_loadcnt 0x2
	v_pk_mul_f32 v[104:105], v[176:177], v[156:157] op_sel:[1,1] op_sel_hi:[0,1]
	v_mov_b32_e32 v97, v107
	s_delay_alu instid0(VALU_DEP_3) | instskip(NEXT) | instid1(VALU_DEP_1)
	v_add_f32_e32 v7, v7, v55
	v_add_f32_e32 v101, v7, v57
	s_delay_alu instid0(VALU_DEP_1) | instskip(NEXT) | instid1(VALU_DEP_1)
	v_pk_add_f32 v[100:101], v[100:101], v[242:243]
	v_pk_add_f32 v[100:101], v[100:101], v[244:245]
	s_delay_alu instid0(VALU_DEP_1) | instskip(SKIP_2) | instid1(VALU_DEP_3)
	v_pk_add_f32 v[92:93], v[100:101], v[92:93]
	v_pk_fma_f32 v[100:101], v[168:169], v[152:153], v[98:99] op_sel_hi:[1,0,1]
	v_pk_fma_f32 v[98:99], v[168:169], v[152:153], v[98:99] neg_lo:[0,0,1] neg_hi:[0,0,1]
	v_pk_add_f32 v[92:93], v[92:93], v[94:95]
	s_delay_alu instid0(VALU_DEP_3) | instskip(SKIP_2) | instid1(VALU_DEP_4)
	v_dual_mov_b32 v94, v159 :: v_dual_mov_b32 v99, v101
	v_pk_fma_f32 v[100:101], v[170:171], v[154:155], v[102:103] op_sel_hi:[1,0,1]
	v_pk_fma_f32 v[102:103], v[170:171], v[154:155], v[102:103] neg_lo:[0,0,1] neg_hi:[0,0,1]
	v_pk_add_f32 v[92:93], v[92:93], v[96:97]
	v_pk_fma_f32 v[96:97], v[176:177], v[156:157], v[104:105] op_sel_hi:[1,0,1]
	v_pk_mul_f32 v[94:95], v[240:241], v[94:95] op_sel_hi:[1,0]
	v_mov_b32_e32 v103, v101
	s_wait_loadcnt_dscnt 0x100
	v_pk_mul_f32 v[100:101], v[232:233], v[228:229] op_sel:[1,1] op_sel_hi:[0,1]
	v_pk_add_f32 v[92:93], v[92:93], v[98:99]
	v_pk_fma_f32 v[98:99], v[176:177], v[156:157], v[104:105] neg_lo:[0,0,1] neg_hi:[0,0,1]
	v_mov_b32_e32 v99, v97
	v_pk_fma_f32 v[96:97], v[178:179], v[158:159], v[94:95] op_sel_hi:[1,0,1]
	v_pk_fma_f32 v[94:95], v[178:179], v[158:159], v[94:95] neg_lo:[0,0,1] neg_hi:[0,0,1]
	v_pk_add_f32 v[92:93], v[92:93], v[102:103]
	s_delay_alu instid0(VALU_DEP_3) | instskip(SKIP_1) | instid1(VALU_DEP_3)
	v_mov_b32_e32 v95, v97
	v_pk_fma_f32 v[96:97], v[232:233], v[228:229], v[100:101] op_sel_hi:[1,0,1]
	v_pk_add_f32 v[92:93], v[92:93], v[98:99]
	v_pk_fma_f32 v[98:99], v[232:233], v[228:229], v[100:101] neg_lo:[0,0,1] neg_hi:[0,0,1]
	s_delay_alu instid0(VALU_DEP_3) | instskip(NEXT) | instid1(VALU_DEP_3)
	v_mov_b32_e32 v99, v97
	v_pk_add_f32 v[92:93], v[92:93], v[94:95]
	s_delay_alu instid0(VALU_DEP_1) | instskip(SKIP_1) | instid1(VALU_DEP_1)
	v_pk_add_f32 v[92:93], v[92:93], v[98:99]
	s_wait_loadcnt 0x0
	v_pk_add_f32 v[92:93], v[230:231], v[92:93] neg_lo:[0,1] neg_hi:[0,1]
	scratch_store_b64 off, v[92:93], off offset:72
	s_wait_xcnt 0x0
	v_cmpx_lt_u32_e32 8, v0
	s_cbranch_execz .LBB44_267
; %bb.266:
	scratch_load_b64 v[92:93], off, off offset:64
	v_mov_b64_e32 v[94:95], 0
	scratch_store_b64 off, v[94:95], off offset:64
	s_wait_loadcnt 0x0
	ds_store_b64 v1, v[92:93]
.LBB44_267:
	s_wait_xcnt 0x0
	s_or_b32 exec_lo, exec_lo, s0
	s_wait_storecnt_dscnt 0x0
	s_barrier_signal -1
	s_barrier_wait -1
	s_clause 0x12
	scratch_load_b128 v[92:95], off, off offset:72
	scratch_load_b128 v[96:99], off, off offset:88
	;; [unrolled: 1-line block ×18, first 2 shown]
	scratch_load_b64 v[236:237], off, off offset:64
	ds_load_2addr_b64 v[164:167], v5 offset0:83 offset1:84
	ds_load_2addr_b64 v[168:171], v5 offset0:85 offset1:86
	;; [unrolled: 1-line block ×18, first 2 shown]
	s_mov_b32 s0, exec_lo
	s_wait_dscnt 0x11
	v_dual_mov_b32 v238, v167 :: v_dual_mov_b32 v239, v166
	s_wait_dscnt 0x10
	v_dual_mov_b32 v240, v171 :: v_dual_mov_b32 v241, v170
	s_wait_dscnt 0xf
	v_dual_mov_b32 v242, v175 :: v_dual_mov_b32 v243, v174
	s_wait_dscnt 0xe
	v_dual_mov_b32 v244, v179 :: v_dual_mov_b32 v245, v178
	s_wait_loadcnt_dscnt 0x120d
	v_dual_mul_f32 v5, v180, v93 :: v_dual_mul_f32 v7, v182, v95
	v_dual_mul_f32 v59, v181, v93 :: v_dual_mul_f32 v61, v183, v95
	s_wait_loadcnt_dscnt 0x110c
	v_dual_mul_f32 v11, v184, v97 :: v_dual_mul_f32 v13, v186, v99
	s_delay_alu instid0(VALU_DEP_2) | instskip(SKIP_3) | instid1(VALU_DEP_3)
	v_dual_fmac_f32 v5, v181, v92 :: v_dual_fma_f32 v59, v180, v92, -v59
	v_dual_mul_f32 v63, v185, v97 :: v_dual_mul_f32 v65, v187, v99
	s_wait_loadcnt_dscnt 0xf0a
	v_dual_mul_f32 v71, v193, v105 :: v_dual_fmac_f32 v7, v183, v94
	v_dual_fma_f32 v61, v182, v94, -v61 :: v_dual_add_f32 v5, 0, v5
	v_dual_add_f32 v59, 0, v59 :: v_dual_fmac_f32 v11, v185, v96
	v_dual_mul_f32 v73, v195, v107 :: v_dual_fma_f32 v63, v184, v96, -v63
	s_delay_alu instid0(VALU_DEP_2)
	v_dual_add_f32 v5, v5, v7 :: v_dual_add_f32 v7, v59, v61
	v_dual_mul_f32 v15, v188, v101 :: v_dual_mul_f32 v17, v190, v103
	v_dual_mul_f32 v67, v189, v101 :: v_dual_mul_f32 v69, v191, v103
	s_wait_loadcnt_dscnt 0xe09
	v_dual_mul_f32 v59, v197, v109 :: v_dual_fmac_f32 v13, v187, v98
	v_dual_fma_f32 v61, v186, v98, -v65 :: v_dual_add_f32 v5, v5, v11
	v_dual_add_f32 v7, v7, v63 :: v_dual_fmac_f32 v15, v189, v100
	v_dual_mul_f32 v11, v199, v111 :: v_dual_fma_f32 v63, v188, v100, -v67
	s_delay_alu instid0(VALU_DEP_3) | instskip(NEXT) | instid1(VALU_DEP_3)
	v_dual_add_f32 v5, v5, v13 :: v_dual_fmac_f32 v17, v191, v102
	v_dual_add_f32 v7, v7, v61 :: v_dual_fma_f32 v61, v190, v102, -v69
	v_dual_mul_f32 v19, v192, v105 :: v_dual_mul_f32 v21, v194, v107
	s_wait_loadcnt_dscnt 0xd08
	s_delay_alu instid0(VALU_DEP_2) | instskip(SKIP_1) | instid1(VALU_DEP_3)
	v_dual_mul_f32 v13, v201, v113 :: v_dual_add_f32 v7, v7, v63
	v_dual_add_f32 v5, v5, v15 :: v_dual_fma_f32 v63, v192, v104, -v71
	v_dual_mul_f32 v15, v203, v115 :: v_dual_fmac_f32 v19, v193, v104
	s_delay_alu instid0(VALU_DEP_3) | instskip(NEXT) | instid1(VALU_DEP_3)
	v_dual_add_f32 v7, v7, v61 :: v_dual_fma_f32 v61, v194, v106, -v73
	v_dual_add_f32 v5, v5, v17 :: v_dual_fmac_f32 v21, v195, v106
	v_dual_mul_f32 v23, v196, v109 :: v_dual_mul_f32 v25, v198, v111
	s_wait_loadcnt_dscnt 0xc07
	s_delay_alu instid0(VALU_DEP_3) | instskip(NEXT) | instid1(VALU_DEP_3)
	v_dual_mul_f32 v17, v205, v117 :: v_dual_add_f32 v7, v7, v63
	v_dual_add_f32 v5, v5, v19 :: v_dual_fma_f32 v59, v196, v108, -v59
	s_delay_alu instid0(VALU_DEP_3) | instskip(NEXT) | instid1(VALU_DEP_3)
	v_dual_mul_f32 v19, v207, v119 :: v_dual_fmac_f32 v23, v197, v108
	v_dual_add_f32 v7, v7, v61 :: v_dual_fma_f32 v11, v198, v110, -v11
	s_delay_alu instid0(VALU_DEP_3) | instskip(SKIP_2) | instid1(VALU_DEP_3)
	v_dual_add_f32 v5, v5, v21 :: v_dual_fmac_f32 v25, v199, v110
	v_dual_mul_f32 v27, v200, v113 :: v_dual_mul_f32 v29, v202, v115
	s_wait_loadcnt_dscnt 0xb06
	v_dual_mul_f32 v21, v209, v121 :: v_dual_add_f32 v7, v7, v59
	s_delay_alu instid0(VALU_DEP_3) | instskip(NEXT) | instid1(VALU_DEP_3)
	v_dual_add_f32 v5, v5, v23 :: v_dual_fma_f32 v13, v200, v112, -v13
	v_dual_mul_f32 v23, v211, v123 :: v_dual_fmac_f32 v27, v201, v112
	s_delay_alu instid0(VALU_DEP_2) | instskip(SKIP_3) | instid1(VALU_DEP_3)
	v_dual_add_f32 v7, v7, v11 :: v_dual_add_f32 v5, v5, v25
	v_dual_mul_f32 v31, v204, v117 :: v_dual_mul_f32 v33, v206, v119
	s_wait_loadcnt_dscnt 0xa05
	v_dual_mul_f32 v11, v213, v125 :: v_dual_fmac_f32 v29, v203, v114
	v_dual_fma_f32 v15, v202, v114, -v15 :: v_dual_add_f32 v5, v5, v27
	s_delay_alu instid0(VALU_DEP_3) | instskip(SKIP_1) | instid1(VALU_DEP_2)
	v_dual_add_f32 v7, v7, v13 :: v_dual_fmac_f32 v31, v205, v116
	v_dual_mul_f32 v13, v215, v127 :: v_dual_fma_f32 v17, v204, v116, -v17
	v_dual_add_f32 v5, v5, v29 :: v_dual_add_f32 v7, v7, v15
	v_dual_mul_f32 v35, v208, v121 :: v_dual_mul_f32 v37, v210, v123
	s_wait_loadcnt_dscnt 0x904
	v_dual_mul_f32 v15, v217, v129 :: v_dual_fmac_f32 v33, v207, v118
	s_delay_alu instid0(VALU_DEP_3) | instskip(NEXT) | instid1(VALU_DEP_3)
	v_dual_fma_f32 v19, v206, v118, -v19 :: v_dual_add_f32 v5, v5, v31
	v_dual_add_f32 v7, v7, v17 :: v_dual_fmac_f32 v35, v209, v120
	v_dual_mul_f32 v17, v219, v131 :: v_dual_fma_f32 v21, v208, v120, -v21
	s_delay_alu instid0(VALU_DEP_2) | instskip(SKIP_3) | instid1(VALU_DEP_3)
	v_dual_add_f32 v5, v5, v33 :: v_dual_add_f32 v7, v7, v19
	v_dual_mul_f32 v39, v212, v125 :: v_dual_mul_f32 v41, v214, v127
	s_wait_loadcnt_dscnt 0x803
	v_dual_mul_f32 v19, v221, v133 :: v_dual_fmac_f32 v37, v211, v122
	v_dual_fma_f32 v23, v210, v122, -v23 :: v_dual_add_f32 v5, v5, v35
	s_delay_alu instid0(VALU_DEP_3) | instskip(SKIP_1) | instid1(VALU_DEP_2)
	v_dual_add_f32 v7, v7, v21 :: v_dual_fmac_f32 v39, v213, v124
	v_dual_mul_f32 v21, v223, v135 :: v_dual_fma_f32 v11, v212, v124, -v11
	v_dual_add_f32 v5, v5, v37 :: v_dual_add_f32 v7, v7, v23
	v_dual_mul_f32 v43, v216, v129 :: v_dual_mul_f32 v45, v218, v131
	s_wait_loadcnt_dscnt 0x702
	v_dual_mul_f32 v23, v225, v137 :: v_dual_fmac_f32 v41, v215, v126
	s_delay_alu instid0(VALU_DEP_3) | instskip(NEXT) | instid1(VALU_DEP_3)
	v_dual_fma_f32 v13, v214, v126, -v13 :: v_dual_add_f32 v5, v5, v39
	v_dual_add_f32 v7, v7, v11 :: v_dual_fmac_f32 v43, v217, v128
	v_dual_mul_f32 v11, v227, v139 :: v_dual_fma_f32 v15, v216, v128, -v15
	s_delay_alu instid0(VALU_DEP_3) | instskip(NEXT) | instid1(VALU_DEP_3)
	v_dual_add_f32 v5, v5, v41 :: v_dual_fmac_f32 v45, v219, v130
	v_dual_add_f32 v7, v7, v13 :: v_dual_fma_f32 v17, v218, v130, -v17
	v_dual_mul_f32 v47, v220, v133 :: v_dual_mul_f32 v49, v222, v135
	s_wait_loadcnt_dscnt 0x601
	s_delay_alu instid0(VALU_DEP_2) | instskip(SKIP_1) | instid1(VALU_DEP_3)
	v_dual_mul_f32 v13, v229, v141 :: v_dual_add_f32 v7, v7, v15
	v_dual_add_f32 v5, v5, v43 :: v_dual_fma_f32 v19, v220, v132, -v19
	v_dual_mul_f32 v15, v231, v143 :: v_dual_fmac_f32 v47, v221, v132
	s_delay_alu instid0(VALU_DEP_3) | instskip(NEXT) | instid1(VALU_DEP_3)
	v_dual_add_f32 v7, v7, v17 :: v_dual_fma_f32 v21, v222, v134, -v21
	v_dual_add_f32 v5, v5, v45 :: v_dual_fmac_f32 v49, v223, v134
	v_dual_mul_f32 v51, v224, v137 :: v_dual_mul_f32 v53, v226, v139
	s_wait_loadcnt_dscnt 0x500
	s_delay_alu instid0(VALU_DEP_3) | instskip(NEXT) | instid1(VALU_DEP_3)
	v_dual_mul_f32 v17, v233, v145 :: v_dual_add_f32 v7, v7, v19
	v_dual_add_f32 v5, v5, v47 :: v_dual_fma_f32 v23, v224, v136, -v23
	s_delay_alu instid0(VALU_DEP_3) | instskip(NEXT) | instid1(VALU_DEP_3)
	v_dual_mul_f32 v19, v235, v147 :: v_dual_fmac_f32 v51, v225, v136
	v_dual_add_f32 v7, v7, v21 :: v_dual_fma_f32 v11, v226, v138, -v11
	s_delay_alu instid0(VALU_DEP_3) | instskip(SKIP_1) | instid1(VALU_DEP_3)
	v_dual_add_f32 v5, v5, v49 :: v_dual_fmac_f32 v53, v227, v138
	v_dual_mul_f32 v55, v228, v141 :: v_dual_mul_f32 v57, v230, v143
	v_add_f32_e32 v7, v7, v23
	s_wait_loadcnt 0x4
	s_delay_alu instid0(VALU_DEP_3) | instskip(NEXT) | instid1(VALU_DEP_3)
	v_dual_add_f32 v5, v5, v51 :: v_dual_mov_b32 v94, v151
	v_dual_fmac_f32 v55, v229, v140 :: v_dual_fma_f32 v13, v228, v140, -v13
	s_delay_alu instid0(VALU_DEP_3) | instskip(NEXT) | instid1(VALU_DEP_3)
	v_dual_add_f32 v7, v7, v11 :: v_dual_fma_f32 v11, v230, v142, -v15
	v_add_f32_e32 v5, v5, v53
	v_dual_mul_f32 v247, v232, v145 :: v_dual_mul_f32 v249, v234, v147
	v_fmac_f32_e32 v57, v231, v142
	s_delay_alu instid0(VALU_DEP_3)
	v_dual_add_f32 v7, v7, v13 :: v_dual_add_f32 v5, v5, v55
	v_pk_mul_f32 v[92:93], v[164:165], v[148:149] op_sel:[1,1] op_sel_hi:[0,1]
	s_wait_loadcnt 0x3
	v_dual_mov_b32 v98, v155 :: v_dual_fma_f32 v246, v232, v144, -v17
	v_fmac_f32_e32 v247, v233, v144
	v_dual_add_f32 v101, v5, v57 :: v_dual_add_f32 v100, v7, v11
	v_dual_fmac_f32 v249, v235, v146 :: v_dual_fma_f32 v248, v234, v146, -v19
	v_pk_fma_f32 v[102:103], v[164:165], v[148:149], v[92:93] op_sel_hi:[1,0,1]
	v_pk_mul_f32 v[94:95], v[238:239], v[94:95] op_sel_hi:[1,0]
	s_delay_alu instid0(VALU_DEP_4)
	v_pk_add_f32 v[100:101], v[100:101], v[246:247]
	v_pk_fma_f32 v[92:93], v[164:165], v[148:149], v[92:93] neg_lo:[0,0,1] neg_hi:[0,0,1]
	v_pk_mul_f32 v[96:97], v[168:169], v[152:153] op_sel:[1,1] op_sel_hi:[0,1]
	v_mov_b32_e32 v93, v103
	v_pk_fma_f32 v[102:103], v[166:167], v[150:151], v[94:95] op_sel_hi:[1,0,1]
	v_pk_add_f32 v[100:101], v[100:101], v[248:249]
	v_pk_fma_f32 v[94:95], v[166:167], v[150:151], v[94:95] neg_lo:[0,0,1] neg_hi:[0,0,1]
	v_pk_fma_f32 v[106:107], v[168:169], v[152:153], v[96:97] op_sel_hi:[1,0,1]
	v_pk_mul_f32 v[98:99], v[240:241], v[98:99] op_sel_hi:[1,0]
	v_mov_b32_e32 v95, v103
	v_pk_add_f32 v[92:93], v[100:101], v[92:93]
	s_wait_loadcnt 0x2
	v_pk_mul_f32 v[104:105], v[172:173], v[156:157] op_sel:[1,1] op_sel_hi:[0,1]
	v_mov_b32_e32 v100, v159
	v_pk_fma_f32 v[96:97], v[168:169], v[152:153], v[96:97] neg_lo:[0,0,1] neg_hi:[0,0,1]
	v_mov_b32_e32 v97, v107
	v_pk_fma_f32 v[102:103], v[170:171], v[154:155], v[98:99] op_sel_hi:[1,0,1]
	v_pk_add_f32 v[92:93], v[92:93], v[94:95]
	v_pk_fma_f32 v[94:95], v[172:173], v[156:157], v[104:105] op_sel_hi:[1,0,1]
	v_pk_mul_f32 v[100:101], v[242:243], v[100:101] op_sel_hi:[1,0]
	v_pk_fma_f32 v[98:99], v[170:171], v[154:155], v[98:99] neg_lo:[0,0,1] neg_hi:[0,0,1]
	v_mov_b32_e32 v99, v103
	v_pk_add_f32 v[92:93], v[92:93], v[96:97]
	v_pk_fma_f32 v[102:103], v[172:173], v[156:157], v[104:105] neg_lo:[0,0,1] neg_hi:[0,0,1]
	v_mov_b32_e32 v103, v95
	v_pk_fma_f32 v[94:95], v[174:175], v[158:159], v[100:101] op_sel_hi:[1,0,1]
	s_wait_loadcnt 0x1
	v_pk_mul_f32 v[96:97], v[176:177], v[160:161] op_sel:[1,1] op_sel_hi:[0,1]
	v_pk_add_f32 v[92:93], v[92:93], v[98:99]
	v_mov_b32_e32 v94, v163
	v_pk_fma_f32 v[100:101], v[174:175], v[158:159], v[100:101] neg_lo:[0,0,1] neg_hi:[0,0,1]
	v_mov_b32_e32 v101, v95
	v_pk_fma_f32 v[98:99], v[176:177], v[160:161], v[96:97] op_sel_hi:[1,0,1]
	v_pk_add_f32 v[92:93], v[92:93], v[102:103]
	v_pk_mul_f32 v[94:95], v[244:245], v[94:95] op_sel_hi:[1,0]
	v_pk_fma_f32 v[96:97], v[176:177], v[160:161], v[96:97] neg_lo:[0,0,1] neg_hi:[0,0,1]
	s_delay_alu instid0(VALU_DEP_4) | instskip(NEXT) | instid1(VALU_DEP_4)
	v_mov_b32_e32 v97, v99
	v_pk_add_f32 v[92:93], v[92:93], v[100:101]
	s_delay_alu instid0(VALU_DEP_4) | instskip(SKIP_1) | instid1(VALU_DEP_2)
	v_pk_fma_f32 v[98:99], v[178:179], v[162:163], v[94:95] op_sel_hi:[1,0,1]
	v_pk_fma_f32 v[94:95], v[178:179], v[162:163], v[94:95] neg_lo:[0,0,1] neg_hi:[0,0,1]
	v_mov_b32_e32 v95, v99
	s_delay_alu instid0(VALU_DEP_4) | instskip(NEXT) | instid1(VALU_DEP_1)
	v_pk_add_f32 v[92:93], v[92:93], v[96:97]
	v_pk_add_f32 v[92:93], v[92:93], v[94:95]
	s_wait_loadcnt 0x0
	s_delay_alu instid0(VALU_DEP_1)
	v_pk_add_f32 v[92:93], v[236:237], v[92:93] neg_lo:[0,1] neg_hi:[0,1]
	scratch_store_b64 off, v[92:93], off offset:64
	s_wait_xcnt 0x0
	v_cmpx_lt_u32_e32 7, v0
	s_cbranch_execz .LBB44_269
; %bb.268:
	scratch_load_b64 v[92:93], off, off offset:56
	v_mov_b64_e32 v[94:95], 0
	scratch_store_b64 off, v[94:95], off offset:56
	s_wait_loadcnt 0x0
	ds_store_b64 v1, v[92:93]
.LBB44_269:
	s_wait_xcnt 0x0
	s_or_b32 exec_lo, exec_lo, s0
	s_wait_storecnt_dscnt 0x0
	s_barrier_signal -1
	s_barrier_wait -1
	s_clause 0x13
	scratch_load_b128 v[92:95], off, off offset:64
	scratch_load_b128 v[96:99], off, off offset:80
	;; [unrolled: 1-line block ×18, first 2 shown]
	scratch_load_b64 v[236:237], off, off offset:352
	scratch_load_b64 v[238:239], off, off offset:56
	v_mov_b32_e32 v5, 0
	ds_load_b128 v[164:167], v5 offset:656
	ds_load_b128 v[168:171], v5 offset:672
	;; [unrolled: 1-line block ×18, first 2 shown]
	ds_load_b64 v[240:241], v5 offset:720
	s_mov_b32 s0, exec_lo
	s_wait_dscnt 0x12
	v_dual_mov_b32 v242, v167 :: v_dual_mov_b32 v243, v166
	s_wait_dscnt 0x11
	v_dual_mov_b32 v244, v171 :: v_dual_mov_b32 v245, v170
	;; [unrolled: 2-line block ×3, first 2 shown]
	v_dual_mov_b32 v247, v174 :: v_dual_mov_b32 v248, v187
	s_wait_loadcnt 0x13
	v_dual_mul_f32 v7, v176, v93 :: v_dual_mul_f32 v63, v177, v93
	v_dual_mul_f32 v65, v179, v95 :: v_dual_mul_f32 v11, v178, v95
	s_wait_loadcnt 0x12
	v_mul_f32_e32 v13, v180, v97
	s_wait_loadcnt_dscnt 0x100b
	v_dual_mul_f32 v75, v193, v105 :: v_dual_fma_f32 v63, v176, v92, -v63
	v_dual_fmac_f32 v7, v177, v92 :: v_dual_mul_f32 v77, v195, v107
	v_dual_mul_f32 v67, v181, v97 :: v_dual_mul_f32 v69, v183, v99
	v_dual_fmac_f32 v11, v179, v94 :: v_dual_fma_f32 v65, v178, v94, -v65
	s_wait_loadcnt_dscnt 0xf0a
	s_delay_alu instid0(VALU_DEP_3) | instskip(SKIP_1) | instid1(VALU_DEP_2)
	v_dual_add_f32 v7, 0, v7 :: v_dual_mul_f32 v79, v197, v109
	v_dual_add_f32 v63, 0, v63 :: v_dual_fmac_f32 v13, v181, v96
	v_dual_fma_f32 v67, v180, v96, -v67 :: v_dual_add_f32 v7, v7, v11
	v_dual_mul_f32 v71, v189, v101 :: v_dual_mul_f32 v73, v191, v103
	s_delay_alu instid0(VALU_DEP_3) | instskip(SKIP_2) | instid1(VALU_DEP_3)
	v_dual_add_f32 v11, v63, v65 :: v_dual_fma_f32 v65, v182, v98, -v69
	v_dual_mul_f32 v15, v182, v99 :: v_dual_mul_f32 v17, v188, v101
	v_dual_mul_f32 v19, v190, v103 :: v_dual_mul_f32 v21, v192, v105
	v_add_f32_e32 v11, v11, v67
	v_dual_add_f32 v7, v7, v13 :: v_dual_fma_f32 v67, v188, v100, -v71
	v_dual_mul_f32 v23, v194, v107 :: v_dual_mul_f32 v25, v196, v109
	s_delay_alu instid0(VALU_DEP_3) | instskip(SKIP_1) | instid1(VALU_DEP_2)
	v_dual_add_f32 v11, v11, v65 :: v_dual_fmac_f32 v21, v193, v104
	v_dual_fmac_f32 v15, v183, v98 :: v_dual_fmac_f32 v17, v189, v100
	v_dual_fma_f32 v65, v190, v102, -v73 :: v_dual_add_f32 v11, v11, v67
	s_delay_alu instid0(VALU_DEP_4) | instskip(SKIP_1) | instid1(VALU_DEP_3)
	v_dual_fmac_f32 v25, v197, v108 :: v_dual_mul_f32 v63, v199, v111
	s_wait_loadcnt_dscnt 0xe09
	v_dual_mul_f32 v13, v201, v113 :: v_dual_add_f32 v7, v7, v15
	v_dual_mul_f32 v15, v203, v115 :: v_dual_fma_f32 v67, v192, v104, -v75
	s_delay_alu instid0(VALU_DEP_3) | instskip(SKIP_1) | instid1(VALU_DEP_4)
	v_dual_add_f32 v11, v11, v65 :: v_dual_fma_f32 v63, v198, v110, -v63
	v_fmac_f32_e32 v19, v191, v102
	v_dual_add_f32 v7, v7, v17 :: v_dual_fma_f32 v65, v194, v106, -v77
	s_delay_alu instid0(VALU_DEP_3) | instskip(SKIP_2) | instid1(VALU_DEP_3)
	v_dual_add_f32 v11, v11, v67 :: v_dual_fma_f32 v15, v202, v114, -v15
	s_wait_loadcnt_dscnt 0xd08
	v_dual_mul_f32 v31, v202, v115 :: v_dual_mul_f32 v33, v204, v117
	v_dual_add_f32 v7, v7, v19 :: v_dual_fma_f32 v67, v196, v108, -v79
	s_delay_alu instid0(VALU_DEP_3) | instskip(SKIP_4) | instid1(VALU_DEP_3)
	v_dual_add_f32 v11, v11, v65 :: v_dual_mul_f32 v27, v198, v111
	v_dual_mul_f32 v29, v200, v113 :: v_dual_mul_f32 v35, v206, v119
	s_wait_loadcnt_dscnt 0xc07
	v_mul_f32_e32 v37, v208, v121
	v_dual_mul_f32 v17, v205, v117 :: v_dual_fmac_f32 v23, v195, v106
	v_dual_fmac_f32 v29, v201, v112 :: v_dual_add_f32 v7, v7, v21
	v_fma_f32 v13, v200, v112, -v13
	v_dual_fmac_f32 v33, v205, v116 :: v_dual_add_f32 v11, v11, v67
	s_delay_alu instid0(VALU_DEP_3) | instskip(SKIP_1) | instid1(VALU_DEP_3)
	v_dual_fmac_f32 v37, v209, v120 :: v_dual_add_f32 v7, v7, v23
	v_dual_mul_f32 v23, v211, v123 :: v_dual_fma_f32 v17, v204, v116, -v17
	v_add_f32_e32 v11, v11, v63
	s_wait_loadcnt_dscnt 0xa05
	v_dual_mul_f32 v43, v214, v127 :: v_dual_mul_f32 v45, v216, v129
	s_delay_alu instid0(VALU_DEP_3) | instskip(NEXT) | instid1(VALU_DEP_3)
	v_dual_fma_f32 v23, v210, v122, -v23 :: v_dual_mul_f32 v19, v207, v119
	v_dual_add_f32 v11, v11, v13 :: v_dual_mul_f32 v47, v218, v131
	s_wait_loadcnt_dscnt 0x904
	v_mul_f32_e32 v49, v220, v133
	v_dual_mul_f32 v21, v209, v121 :: v_dual_fmac_f32 v27, v199, v110
	s_delay_alu instid0(VALU_DEP_3) | instskip(SKIP_3) | instid1(VALU_DEP_4)
	v_dual_add_f32 v11, v11, v15 :: v_dual_fmac_f32 v45, v217, v128
	v_mul_f32_e32 v13, v217, v129
	v_add_f32_e32 v7, v7, v25
	v_dual_mul_f32 v25, v213, v125 :: v_dual_fma_f32 v19, v206, v118, -v19
	v_dual_add_f32 v11, v11, v17 :: v_dual_fmac_f32 v49, v221, v132
	s_wait_loadcnt_dscnt 0x803
	v_dual_mul_f32 v51, v222, v135 :: v_dual_mul_f32 v53, v224, v137
	v_dual_mul_f32 v17, v221, v133 :: v_dual_add_f32 v7, v7, v27
	s_delay_alu instid0(VALU_DEP_3) | instskip(NEXT) | instid1(VALU_DEP_3)
	v_dual_fma_f32 v21, v208, v120, -v21 :: v_dual_add_f32 v11, v11, v19
	v_dual_mul_f32 v19, v223, v135 :: v_dual_fmac_f32 v51, v223, v134
	v_mul_f32_e32 v27, v215, v127
	s_wait_loadcnt_dscnt 0x702
	v_dual_mul_f32 v55, v226, v139 :: v_dual_mul_f32 v57, v228, v141
	s_delay_alu instid0(VALU_DEP_3) | instskip(SKIP_3) | instid1(VALU_DEP_3)
	v_dual_fma_f32 v19, v222, v134, -v19 :: v_dual_add_f32 v11, v11, v21
	v_mul_f32_e32 v21, v225, v137
	v_dual_add_f32 v7, v7, v29 :: v_dual_fma_f32 v25, v212, v124, -v25
	v_dual_mul_f32 v39, v210, v123 :: v_dual_mul_f32 v41, v212, v125
	v_dual_fma_f32 v21, v224, v136, -v21 :: v_dual_add_f32 v11, v11, v23
	v_dual_fmac_f32 v57, v229, v140 :: v_dual_mul_f32 v59, v230, v143
	s_wait_loadcnt_dscnt 0x601
	v_dual_mul_f32 v61, v232, v145 :: v_dual_fmac_f32 v31, v203, v114
	v_dual_fmac_f32 v41, v213, v124 :: v_dual_fma_f32 v27, v214, v126, -v27
	s_delay_alu instid0(VALU_DEP_2)
	v_dual_add_f32 v11, v11, v25 :: v_dual_fmac_f32 v61, v233, v144
	s_wait_loadcnt 0x4
	v_dual_mov_b32 v92, v151 :: v_dual_mov_b32 v96, v155
	v_dual_add_f32 v7, v7, v31 :: v_dual_mul_f32 v25, v229, v141
	v_dual_mul_f32 v15, v219, v131 :: v_dual_fma_f32 v13, v216, v128, -v13
	v_add_f32_e32 v11, v11, v27
	s_delay_alu instid0(VALU_DEP_4) | instskip(SKIP_1) | instid1(VALU_DEP_4)
	v_pk_mul_f32 v[92:93], v[242:243], v[92:93] op_sel_hi:[1,0]
	v_fmac_f32_e32 v35, v207, v118
	v_dual_add_f32 v7, v7, v33 :: v_dual_fma_f32 v15, v218, v130, -v15
	v_fma_f32 v17, v220, v132, -v17
	s_delay_alu instid0(VALU_DEP_4) | instskip(SKIP_3) | instid1(VALU_DEP_3)
	v_pk_fma_f32 v[104:105], v[166:167], v[150:151], v[92:93] op_sel_hi:[1,0,1]
	v_add_f32_e32 v11, v11, v13
	v_pk_fma_f32 v[92:93], v[166:167], v[150:151], v[92:93] neg_lo:[0,0,1] neg_hi:[0,0,1]
	v_dual_mul_f32 v13, v233, v145 :: v_dual_add_f32 v7, v7, v35
	v_dual_mov_b32 v93, v105 :: v_dual_add_f32 v11, v11, v15
	v_fmac_f32_e32 v39, v211, v122
	v_dual_mul_f32 v23, v227, v139 :: v_dual_fmac_f32 v55, v227, v138
	s_delay_alu instid0(VALU_DEP_4) | instskip(NEXT) | instid1(VALU_DEP_4)
	v_dual_add_f32 v7, v7, v37 :: v_dual_fmac_f32 v53, v225, v136
	v_add_f32_e32 v11, v11, v17
	v_dual_mul_f32 v17, v165, v149 :: v_dual_fmac_f32 v43, v215, v126
	s_delay_alu instid0(VALU_DEP_3) | instskip(SKIP_1) | instid1(VALU_DEP_4)
	v_add_f32_e32 v7, v7, v39
	v_dual_mul_f32 v27, v231, v143 :: v_dual_fmac_f32 v59, v231, v142
	v_dual_add_f32 v11, v11, v19 :: v_dual_fma_f32 v19, v226, v138, -v23
	s_delay_alu instid0(VALU_DEP_3) | instskip(SKIP_1) | instid1(VALU_DEP_3)
	v_dual_add_f32 v7, v7, v41 :: v_dual_mul_f32 v251, v234, v147
	v_mul_f32_e32 v253, v164, v149
	v_dual_add_f32 v11, v11, v21 :: v_dual_fma_f32 v21, v228, v140, -v25
	v_dual_fmac_f32 v47, v219, v130 :: v_dual_fma_f32 v13, v232, v144, -v13
	s_delay_alu instid0(VALU_DEP_2) | instskip(SKIP_3) | instid1(VALU_DEP_4)
	v_dual_fmac_f32 v253, v165, v148 :: v_dual_add_f32 v11, v11, v19
	v_dual_fma_f32 v19, v230, v142, -v27 :: v_dual_add_f32 v7, v7, v43
	v_dual_fma_f32 v252, v164, v148, -v17 :: v_dual_mul_f32 v15, v235, v147
	v_fmac_f32_e32 v251, v235, v146
	v_add_f32_e32 v11, v11, v21
	s_delay_alu instid0(VALU_DEP_4)
	v_add_f32_e32 v7, v7, v45
	v_pk_mul_f32 v[94:95], v[168:169], v[152:153] op_sel:[1,1] op_sel_hi:[0,1]
	v_fma_f32 v250, v234, v146, -v15
	v_pk_mul_f32 v[96:97], v[244:245], v[96:97] op_sel_hi:[1,0]
	v_add_f32_e32 v11, v11, v19
	v_add_f32_e32 v7, v7, v47
	v_pk_fma_f32 v[106:107], v[168:169], v[152:153], v[94:95] op_sel_hi:[1,0,1]
	v_pk_fma_f32 v[94:95], v[168:169], v[152:153], v[94:95] neg_lo:[0,0,1] neg_hi:[0,0,1]
	s_wait_loadcnt 0x3
	v_pk_mul_f32 v[98:99], v[172:173], v[156:157] op_sel:[1,1] op_sel_hi:[0,1]
	v_add_f32_e32 v100, v11, v13
	v_add_f32_e32 v7, v7, v49
	v_dual_mov_b32 v102, v159 :: v_dual_mov_b32 v95, v107
	v_pk_fma_f32 v[106:107], v[170:171], v[154:155], v[96:97] op_sel_hi:[1,0,1]
	v_pk_fma_f32 v[96:97], v[170:171], v[154:155], v[96:97] neg_lo:[0,0,1] neg_hi:[0,0,1]
	s_delay_alu instid0(VALU_DEP_4) | instskip(NEXT) | instid1(VALU_DEP_4)
	v_add_f32_e32 v7, v7, v51
	v_pk_mul_f32 v[102:103], v[246:247], v[102:103] op_sel_hi:[1,0]
	s_wait_loadcnt 0x2
	v_pk_mul_f32 v[104:105], v[184:185], v[160:161] op_sel:[1,1] op_sel_hi:[0,1]
	v_mov_b32_e32 v97, v107
	v_add_f32_e32 v7, v7, v53
	s_delay_alu instid0(VALU_DEP_1) | instskip(NEXT) | instid1(VALU_DEP_1)
	v_add_f32_e32 v7, v7, v55
	v_add_f32_e32 v7, v7, v57
	s_delay_alu instid0(VALU_DEP_1) | instskip(NEXT) | instid1(VALU_DEP_1)
	v_add_f32_e32 v7, v7, v59
	v_add_f32_e32 v101, v7, v61
	s_delay_alu instid0(VALU_DEP_1) | instskip(NEXT) | instid1(VALU_DEP_1)
	v_pk_add_f32 v[100:101], v[100:101], v[250:251]
	v_pk_add_f32 v[100:101], v[100:101], v[252:253]
	s_delay_alu instid0(VALU_DEP_1) | instskip(SKIP_2) | instid1(VALU_DEP_3)
	v_pk_add_f32 v[92:93], v[100:101], v[92:93]
	v_pk_fma_f32 v[100:101], v[172:173], v[156:157], v[98:99] op_sel_hi:[1,0,1]
	v_pk_fma_f32 v[98:99], v[172:173], v[156:157], v[98:99] neg_lo:[0,0,1] neg_hi:[0,0,1]
	v_pk_add_f32 v[92:93], v[92:93], v[94:95]
	s_delay_alu instid0(VALU_DEP_3) | instskip(SKIP_2) | instid1(VALU_DEP_4)
	v_dual_mov_b32 v94, v163 :: v_dual_mov_b32 v99, v101
	v_pk_fma_f32 v[100:101], v[174:175], v[158:159], v[102:103] op_sel_hi:[1,0,1]
	v_pk_fma_f32 v[102:103], v[174:175], v[158:159], v[102:103] neg_lo:[0,0,1] neg_hi:[0,0,1]
	v_pk_add_f32 v[92:93], v[92:93], v[96:97]
	v_pk_fma_f32 v[96:97], v[184:185], v[160:161], v[104:105] op_sel_hi:[1,0,1]
	v_pk_mul_f32 v[94:95], v[248:249], v[94:95] op_sel_hi:[1,0]
	v_mov_b32_e32 v103, v101
	s_wait_loadcnt_dscnt 0x100
	v_pk_mul_f32 v[100:101], v[240:241], v[236:237] op_sel:[1,1] op_sel_hi:[0,1]
	v_pk_add_f32 v[92:93], v[92:93], v[98:99]
	v_pk_fma_f32 v[98:99], v[184:185], v[160:161], v[104:105] neg_lo:[0,0,1] neg_hi:[0,0,1]
	v_mov_b32_e32 v99, v97
	v_pk_fma_f32 v[96:97], v[186:187], v[162:163], v[94:95] op_sel_hi:[1,0,1]
	v_pk_fma_f32 v[94:95], v[186:187], v[162:163], v[94:95] neg_lo:[0,0,1] neg_hi:[0,0,1]
	v_pk_add_f32 v[92:93], v[92:93], v[102:103]
	s_delay_alu instid0(VALU_DEP_3) | instskip(SKIP_1) | instid1(VALU_DEP_3)
	v_mov_b32_e32 v95, v97
	v_pk_fma_f32 v[96:97], v[240:241], v[236:237], v[100:101] op_sel_hi:[1,0,1]
	v_pk_add_f32 v[92:93], v[92:93], v[98:99]
	v_pk_fma_f32 v[98:99], v[240:241], v[236:237], v[100:101] neg_lo:[0,0,1] neg_hi:[0,0,1]
	s_delay_alu instid0(VALU_DEP_3) | instskip(NEXT) | instid1(VALU_DEP_3)
	v_mov_b32_e32 v99, v97
	v_pk_add_f32 v[92:93], v[92:93], v[94:95]
	s_delay_alu instid0(VALU_DEP_1) | instskip(SKIP_1) | instid1(VALU_DEP_1)
	v_pk_add_f32 v[92:93], v[92:93], v[98:99]
	s_wait_loadcnt 0x0
	v_pk_add_f32 v[92:93], v[238:239], v[92:93] neg_lo:[0,1] neg_hi:[0,1]
	scratch_store_b64 off, v[92:93], off offset:56
	s_wait_xcnt 0x0
	v_cmpx_lt_u32_e32 6, v0
	s_cbranch_execz .LBB44_271
; %bb.270:
	scratch_load_b64 v[92:93], off, off offset:48
	v_mov_b64_e32 v[94:95], 0
	scratch_store_b64 off, v[94:95], off offset:48
	s_wait_loadcnt 0x0
	ds_store_b64 v1, v[92:93]
.LBB44_271:
	s_wait_xcnt 0x0
	s_or_b32 exec_lo, exec_lo, s0
	s_wait_storecnt_dscnt 0x0
	s_barrier_signal -1
	s_barrier_wait -1
	s_clause 0x13
	scratch_load_b128 v[92:95], off, off offset:56
	scratch_load_b128 v[96:99], off, off offset:72
	scratch_load_b128 v[100:103], off, off offset:88
	scratch_load_b128 v[104:107], off, off offset:104
	scratch_load_b128 v[108:111], off, off offset:120
	scratch_load_b128 v[112:115], off, off offset:136
	scratch_load_b128 v[116:119], off, off offset:152
	scratch_load_b128 v[120:123], off, off offset:168
	scratch_load_b128 v[124:127], off, off offset:184
	scratch_load_b128 v[128:131], off, off offset:200
	scratch_load_b128 v[132:135], off, off offset:216
	scratch_load_b128 v[136:139], off, off offset:232
	scratch_load_b128 v[140:143], off, off offset:248
	scratch_load_b128 v[144:147], off, off offset:264
	scratch_load_b128 v[148:151], off, off offset:280
	scratch_load_b128 v[152:155], off, off offset:296
	scratch_load_b128 v[156:159], off, off offset:312
	scratch_load_b128 v[160:163], off, off offset:328
	scratch_load_b128 v[164:167], off, off offset:344
	scratch_load_b64 v[244:245], off, off offset:48
	ds_load_2addr_b64 v[168:171], v5 offset0:83 offset1:84
	ds_load_2addr_b64 v[172:175], v5 offset0:85 offset1:86
	;; [unrolled: 1-line block ×19, first 2 shown]
	s_mov_b32 s0, exec_lo
	s_wait_dscnt 0x12
	v_dual_mov_b32 v246, v171 :: v_dual_mov_b32 v247, v170
	s_wait_dscnt 0x11
	v_dual_mov_b32 v248, v175 :: v_dual_mov_b32 v249, v174
	;; [unrolled: 2-line block ×4, first 2 shown]
	s_wait_loadcnt_dscnt 0x130d
	v_dual_mul_f32 v5, v188, v93 :: v_dual_mul_f32 v7, v190, v95
	s_wait_loadcnt_dscnt 0x120c
	v_dual_mul_f32 v63, v189, v93 :: v_dual_mul_f32 v69, v195, v99
	s_wait_loadcnt_dscnt 0x110b
	v_mul_f32_e32 v71, v197, v101
	v_dual_fmac_f32 v5, v189, v92 :: v_dual_fmac_f32 v7, v191, v94
	s_delay_alu instid0(VALU_DEP_3)
	v_fma_f32 v63, v188, v92, -v63
	v_dual_mul_f32 v11, v192, v97 :: v_dual_mul_f32 v13, v194, v99
	v_dual_mul_f32 v65, v191, v95 :: v_dual_mul_f32 v67, v193, v97
	s_wait_loadcnt_dscnt 0x100a
	v_dual_mul_f32 v73, v199, v103 :: v_dual_mul_f32 v75, v201, v105
	s_wait_loadcnt 0x5
	s_delay_alu instid0(VALU_DEP_2) | instskip(SKIP_2) | instid1(VALU_DEP_2)
	v_dual_mul_f32 v255, v176, v149 :: v_dual_fma_f32 v65, v190, v94, -v65
	v_dual_add_f32 v5, 0, v5 :: v_dual_add_f32 v63, 0, v63
	v_dual_mul_f32 v77, v203, v107 :: v_dual_fmac_f32 v11, v193, v96
	v_dual_fma_f32 v67, v192, v96, -v67 :: v_dual_add_f32 v5, v5, v7
	s_delay_alu instid0(VALU_DEP_3) | instskip(SKIP_4) | instid1(VALU_DEP_3)
	v_dual_add_f32 v7, v63, v65 :: v_dual_fma_f32 v65, v194, v98, -v69
	v_dual_mul_f32 v15, v196, v101 :: v_dual_mul_f32 v17, v198, v103
	s_wait_dscnt 0x9
	v_dual_mul_f32 v63, v205, v109 :: v_dual_fmac_f32 v13, v195, v98
	v_add_f32_e32 v5, v5, v11
	v_dual_add_f32 v7, v7, v67 :: v_dual_fmac_f32 v15, v197, v100
	v_dual_fma_f32 v67, v196, v100, -v71 :: v_dual_mul_f32 v11, v207, v111
	s_delay_alu instid0(VALU_DEP_3) | instskip(NEXT) | instid1(VALU_DEP_3)
	v_add_f32_e32 v5, v5, v13
	v_dual_add_f32 v7, v7, v65 :: v_dual_fma_f32 v65, v198, v102, -v73
	v_dual_mul_f32 v19, v200, v105 :: v_dual_mul_f32 v21, v202, v107
	s_wait_dscnt 0x8
	v_dual_mul_f32 v13, v209, v113 :: v_dual_fmac_f32 v17, v199, v102
	v_add_f32_e32 v5, v5, v15
	s_delay_alu instid0(VALU_DEP_3) | instskip(SKIP_1) | instid1(VALU_DEP_3)
	v_dual_add_f32 v7, v7, v67 :: v_dual_fmac_f32 v19, v201, v104
	v_dual_fma_f32 v67, v200, v104, -v75 :: v_dual_mul_f32 v15, v211, v115
	v_add_f32_e32 v5, v5, v17
	s_delay_alu instid0(VALU_DEP_3) | instskip(SKIP_4) | instid1(VALU_DEP_3)
	v_dual_add_f32 v7, v7, v65 :: v_dual_fma_f32 v65, v202, v106, -v77
	v_dual_mul_f32 v23, v204, v109 :: v_dual_mul_f32 v25, v206, v111
	s_wait_dscnt 0x7
	v_dual_mul_f32 v17, v213, v117 :: v_dual_fmac_f32 v21, v203, v106
	v_dual_add_f32 v5, v5, v19 :: v_dual_fma_f32 v63, v204, v108, -v63
	v_dual_add_f32 v7, v7, v67 :: v_dual_fmac_f32 v23, v205, v108
	s_delay_alu instid0(VALU_DEP_2) | instskip(SKIP_1) | instid1(VALU_DEP_3)
	v_dual_mul_f32 v19, v215, v119 :: v_dual_add_f32 v5, v5, v21
	v_dual_mul_f32 v27, v208, v113 :: v_dual_mul_f32 v29, v210, v115
	v_dual_add_f32 v7, v7, v65 :: v_dual_fma_f32 v11, v206, v110, -v11
	s_wait_dscnt 0x6
	v_dual_mul_f32 v21, v217, v121 :: v_dual_fmac_f32 v25, v207, v110
	v_dual_add_f32 v5, v5, v23 :: v_dual_fma_f32 v13, v208, v112, -v13
	s_delay_alu instid0(VALU_DEP_3) | instskip(NEXT) | instid1(VALU_DEP_2)
	v_dual_add_f32 v7, v7, v63 :: v_dual_fmac_f32 v27, v209, v112
	v_dual_mul_f32 v23, v219, v123 :: v_dual_add_f32 v5, v5, v25
	v_dual_mul_f32 v31, v212, v117 :: v_dual_mul_f32 v33, v214, v119
	s_wait_dscnt 0x5
	s_delay_alu instid0(VALU_DEP_3) | instskip(SKIP_1) | instid1(VALU_DEP_2)
	v_dual_add_f32 v7, v7, v11 :: v_dual_mul_f32 v11, v221, v125
	v_dual_fmac_f32 v29, v211, v114 :: v_dual_fma_f32 v15, v210, v114, -v15
	v_dual_add_f32 v5, v5, v27 :: v_dual_add_f32 v7, v7, v13
	v_dual_mul_f32 v13, v223, v127 :: v_dual_fmac_f32 v31, v213, v116
	s_delay_alu instid0(VALU_DEP_2) | instskip(SKIP_1) | instid1(VALU_DEP_3)
	v_dual_fma_f32 v17, v212, v116, -v17 :: v_dual_add_f32 v5, v5, v29
	s_wait_dscnt 0x4
	v_dual_add_f32 v7, v7, v15 :: v_dual_mul_f32 v15, v225, v129
	v_dual_mul_f32 v35, v216, v121 :: v_dual_mul_f32 v37, v218, v123
	v_dual_fmac_f32 v33, v215, v118 :: v_dual_fma_f32 v19, v214, v118, -v19
	s_delay_alu instid0(VALU_DEP_3) | instskip(NEXT) | instid1(VALU_DEP_3)
	v_dual_add_f32 v5, v5, v31 :: v_dual_add_f32 v7, v7, v17
	v_dual_mul_f32 v17, v227, v131 :: v_dual_fmac_f32 v35, v217, v120
	s_delay_alu instid0(VALU_DEP_2) | instskip(SKIP_1) | instid1(VALU_DEP_3)
	v_dual_fma_f32 v21, v216, v120, -v21 :: v_dual_add_f32 v5, v5, v33
	s_wait_dscnt 0x3
	v_dual_add_f32 v7, v7, v19 :: v_dual_mul_f32 v19, v229, v133
	v_dual_mul_f32 v39, v220, v125 :: v_dual_mul_f32 v41, v222, v127
	v_dual_fmac_f32 v37, v219, v122 :: v_dual_fma_f32 v23, v218, v122, -v23
	s_delay_alu instid0(VALU_DEP_3) | instskip(NEXT) | instid1(VALU_DEP_3)
	v_dual_add_f32 v5, v5, v35 :: v_dual_add_f32 v7, v7, v21
	v_dual_mul_f32 v21, v231, v135 :: v_dual_fmac_f32 v39, v221, v124
	s_delay_alu instid0(VALU_DEP_2) | instskip(SKIP_1) | instid1(VALU_DEP_3)
	v_dual_fma_f32 v11, v220, v124, -v11 :: v_dual_add_f32 v5, v5, v37
	s_wait_dscnt 0x2
	v_dual_add_f32 v7, v7, v23 :: v_dual_mul_f32 v23, v233, v137
	v_dual_mul_f32 v43, v224, v129 :: v_dual_mul_f32 v45, v226, v131
	s_delay_alu instid0(VALU_DEP_3) | instskip(NEXT) | instid1(VALU_DEP_3)
	v_dual_fmac_f32 v41, v223, v126 :: v_dual_add_f32 v5, v5, v39
	v_dual_fma_f32 v13, v222, v126, -v13 :: v_dual_add_f32 v7, v7, v11
	s_delay_alu instid0(VALU_DEP_3) | instskip(NEXT) | instid1(VALU_DEP_3)
	v_dual_mul_f32 v11, v235, v139 :: v_dual_fmac_f32 v43, v225, v128
	v_dual_fma_f32 v15, v224, v128, -v15 :: v_dual_add_f32 v5, v5, v41
	s_delay_alu instid0(VALU_DEP_3) | instskip(SKIP_4) | instid1(VALU_DEP_3)
	v_dual_add_f32 v7, v7, v13 :: v_dual_fma_f32 v17, v226, v130, -v17
	v_dual_mul_f32 v47, v228, v133 :: v_dual_mul_f32 v49, v230, v135
	s_wait_dscnt 0x1
	v_dual_mul_f32 v13, v237, v141 :: v_dual_fmac_f32 v45, v227, v130
	v_dual_add_f32 v5, v5, v43 :: v_dual_fma_f32 v19, v228, v132, -v19
	v_dual_add_f32 v7, v7, v15 :: v_dual_fmac_f32 v47, v229, v132
	s_delay_alu instid0(VALU_DEP_2) | instskip(SKIP_1) | instid1(VALU_DEP_3)
	v_dual_mul_f32 v15, v239, v143 :: v_dual_add_f32 v5, v5, v45
	v_dual_mul_f32 v51, v232, v137 :: v_dual_mul_f32 v53, v234, v139
	v_dual_add_f32 v7, v7, v17 :: v_dual_fma_f32 v21, v230, v134, -v21
	s_wait_dscnt 0x0
	v_dual_mul_f32 v17, v241, v145 :: v_dual_fmac_f32 v49, v231, v134
	v_dual_add_f32 v5, v5, v47 :: v_dual_fma_f32 v23, v232, v136, -v23
	s_delay_alu instid0(VALU_DEP_3) | instskip(NEXT) | instid1(VALU_DEP_2)
	v_dual_add_f32 v7, v7, v19 :: v_dual_fmac_f32 v51, v233, v136
	v_dual_mul_f32 v19, v243, v147 :: v_dual_add_f32 v5, v5, v49
	v_dual_mul_f32 v55, v236, v141 :: v_dual_mul_f32 v57, v238, v143
	s_delay_alu instid0(VALU_DEP_3) | instskip(SKIP_1) | instid1(VALU_DEP_4)
	v_dual_add_f32 v7, v7, v21 :: v_dual_fma_f32 v11, v234, v138, -v11
	v_dual_mul_f32 v21, v177, v149 :: v_dual_fmac_f32 v53, v235, v138
	v_dual_add_f32 v5, v5, v51 :: v_dual_fma_f32 v13, v236, v140, -v13
	s_delay_alu instid0(VALU_DEP_3) | instskip(NEXT) | instid1(VALU_DEP_2)
	v_dual_add_f32 v7, v7, v23 :: v_dual_fmac_f32 v55, v237, v140
	v_dual_mul_f32 v23, v179, v151 :: v_dual_add_f32 v5, v5, v53
	v_dual_mul_f32 v59, v240, v145 :: v_dual_mul_f32 v61, v242, v147
	s_delay_alu instid0(VALU_DEP_3) | instskip(NEXT) | instid1(VALU_DEP_3)
	v_dual_add_f32 v7, v7, v11 :: v_dual_fma_f32 v11, v238, v142, -v15
	v_dual_fmac_f32 v57, v239, v142 :: v_dual_add_f32 v5, v5, v55
	s_wait_loadcnt 0x4
	v_mov_b32_e32 v94, v155
	s_delay_alu instid0(VALU_DEP_3) | instskip(NEXT) | instid1(VALU_DEP_3)
	v_dual_add_f32 v7, v7, v13 :: v_dual_fmac_f32 v59, v241, v144
	v_dual_fma_f32 v13, v240, v144, -v17 :: v_dual_add_f32 v5, v5, v57
	v_fmac_f32_e32 v61, v243, v146
	s_delay_alu instid0(VALU_DEP_3) | instskip(SKIP_3) | instid1(VALU_DEP_2)
	v_dual_add_f32 v7, v7, v11 :: v_dual_fma_f32 v11, v242, v146, -v19
	s_set_vgpr_msb 64                       ;  msbs: dst=1 src0=0 src1=0 src2=0
	v_dual_mul_f32 v1 /*v257*/, v178, v151 :: v_dual_fma_f32 v0 /*v256*/, v178, v150, -v23
	s_set_vgpr_msb 0                        ;  msbs: dst=0 src0=0 src1=0 src2=0
	v_dual_add_f32 v5, v5, v59 :: v_dual_add_f32 v7, v7, v13
	v_pk_mul_f32 v[92:93], v[168:169], v[152:153] op_sel:[1,1] op_sel_hi:[0,1]
	s_wait_loadcnt 0x3
	v_dual_mov_b32 v98, v159 :: v_dual_fmac_f32 v255, v177, v148
	s_delay_alu instid0(VALU_DEP_3)
	v_dual_fma_f32 v254, v176, v148, -v21 :: v_dual_add_f32 v101, v5, v61
	v_add_f32_e32 v100, v7, v11
	s_set_vgpr_msb 64                       ;  msbs: dst=1 src0=0 src1=0 src2=0
	v_fmac_f32_e32 v1 /*v257*/, v179, v150
	s_set_vgpr_msb 0                        ;  msbs: dst=0 src0=0 src1=0 src2=0
	v_pk_fma_f32 v[102:103], v[168:169], v[152:153], v[92:93] op_sel_hi:[1,0,1]
	v_pk_mul_f32 v[94:95], v[246:247], v[94:95] op_sel_hi:[1,0]
	v_pk_fma_f32 v[92:93], v[168:169], v[152:153], v[92:93] neg_lo:[0,0,1] neg_hi:[0,0,1]
	v_pk_add_f32 v[100:101], v[100:101], v[254:255]
	v_pk_mul_f32 v[96:97], v[172:173], v[156:157] op_sel:[1,1] op_sel_hi:[0,1]
	v_mov_b32_e32 v93, v103
	v_pk_fma_f32 v[102:103], v[170:171], v[154:155], v[94:95] op_sel_hi:[1,0,1]
	v_pk_fma_f32 v[94:95], v[170:171], v[154:155], v[94:95] neg_lo:[0,0,1] neg_hi:[0,0,1]
	s_set_vgpr_msb 4                        ;  msbs: dst=0 src0=0 src1=1 src2=0
	v_pk_add_f32 v[100:101], v[100:101], v[0:1] /*v[256:257]*/
	s_set_vgpr_msb 0                        ;  msbs: dst=0 src0=0 src1=0 src2=0
	v_pk_fma_f32 v[106:107], v[172:173], v[156:157], v[96:97] op_sel_hi:[1,0,1]
	v_pk_mul_f32 v[98:99], v[248:249], v[98:99] op_sel_hi:[1,0]
	v_mov_b32_e32 v95, v103
	s_wait_loadcnt 0x2
	v_pk_mul_f32 v[104:105], v[180:181], v[160:161] op_sel:[1,1] op_sel_hi:[0,1]
	v_pk_add_f32 v[92:93], v[100:101], v[92:93]
	v_mov_b32_e32 v100, v163
	v_pk_fma_f32 v[96:97], v[172:173], v[156:157], v[96:97] neg_lo:[0,0,1] neg_hi:[0,0,1]
	v_mov_b32_e32 v97, v107
	v_pk_fma_f32 v[102:103], v[174:175], v[158:159], v[98:99] op_sel_hi:[1,0,1]
	v_pk_add_f32 v[92:93], v[92:93], v[94:95]
	v_pk_fma_f32 v[94:95], v[180:181], v[160:161], v[104:105] op_sel_hi:[1,0,1]
	v_pk_mul_f32 v[100:101], v[250:251], v[100:101] op_sel_hi:[1,0]
	v_pk_fma_f32 v[98:99], v[174:175], v[158:159], v[98:99] neg_lo:[0,0,1] neg_hi:[0,0,1]
	v_mov_b32_e32 v99, v103
	v_pk_add_f32 v[92:93], v[92:93], v[96:97]
	v_pk_fma_f32 v[102:103], v[180:181], v[160:161], v[104:105] neg_lo:[0,0,1] neg_hi:[0,0,1]
	v_mov_b32_e32 v103, v95
	v_pk_fma_f32 v[94:95], v[182:183], v[162:163], v[100:101] op_sel_hi:[1,0,1]
	s_wait_loadcnt 0x1
	v_pk_mul_f32 v[96:97], v[184:185], v[164:165] op_sel:[1,1] op_sel_hi:[0,1]
	v_pk_add_f32 v[92:93], v[92:93], v[98:99]
	v_mov_b32_e32 v94, v167
	v_pk_fma_f32 v[100:101], v[182:183], v[162:163], v[100:101] neg_lo:[0,0,1] neg_hi:[0,0,1]
	v_mov_b32_e32 v101, v95
	v_pk_fma_f32 v[98:99], v[184:185], v[164:165], v[96:97] op_sel_hi:[1,0,1]
	v_pk_add_f32 v[92:93], v[92:93], v[102:103]
	v_pk_mul_f32 v[94:95], v[252:253], v[94:95] op_sel_hi:[1,0]
	v_pk_fma_f32 v[96:97], v[184:185], v[164:165], v[96:97] neg_lo:[0,0,1] neg_hi:[0,0,1]
	s_delay_alu instid0(VALU_DEP_4) | instskip(NEXT) | instid1(VALU_DEP_4)
	v_mov_b32_e32 v97, v99
	v_pk_add_f32 v[92:93], v[92:93], v[100:101]
	s_delay_alu instid0(VALU_DEP_4) | instskip(SKIP_1) | instid1(VALU_DEP_2)
	v_pk_fma_f32 v[98:99], v[186:187], v[166:167], v[94:95] op_sel_hi:[1,0,1]
	v_pk_fma_f32 v[94:95], v[186:187], v[166:167], v[94:95] neg_lo:[0,0,1] neg_hi:[0,0,1]
	v_mov_b32_e32 v95, v99
	s_delay_alu instid0(VALU_DEP_4) | instskip(NEXT) | instid1(VALU_DEP_1)
	v_pk_add_f32 v[92:93], v[92:93], v[96:97]
	v_pk_add_f32 v[92:93], v[92:93], v[94:95]
	s_wait_loadcnt 0x0
	s_delay_alu instid0(VALU_DEP_1)
	v_pk_add_f32 v[92:93], v[244:245], v[92:93] neg_lo:[0,1] neg_hi:[0,1]
	scratch_store_b64 off, v[92:93], off offset:48
	s_wait_xcnt 0x0
	v_cmpx_lt_u32_e32 5, v0
	s_cbranch_execz .LBB44_273
; %bb.272:
	scratch_load_b64 v[92:93], off, off offset:40
	v_mov_b64_e32 v[94:95], 0
	scratch_store_b64 off, v[94:95], off offset:40
	s_wait_loadcnt 0x0
	ds_store_b64 v1, v[92:93]
.LBB44_273:
	s_wait_xcnt 0x0
	s_or_b32 exec_lo, exec_lo, s0
	s_wait_storecnt_dscnt 0x0
	s_barrier_signal -1
	s_barrier_wait -1
	s_clause 0x14
	scratch_load_b128 v[92:95], off, off offset:48
	scratch_load_b128 v[96:99], off, off offset:64
	;; [unrolled: 1-line block ×19, first 2 shown]
	scratch_load_b64 v[244:245], off, off offset:352
	scratch_load_b64 v[246:247], off, off offset:40
	v_mov_b32_e32 v5, 0
	ds_load_b128 v[168:171], v5 offset:656
	ds_load_b128 v[172:175], v5 offset:640
	;; [unrolled: 1-line block ×19, first 2 shown]
	ds_load_b64 v[248:249], v5 offset:720
	s_wait_dscnt 0x13
	v_dual_mov_b32 v250, v171 :: v_dual_mov_b32 v251, v170
	s_wait_dscnt 0x10
	v_dual_mov_b32 v252, v179 :: v_dual_mov_b32 v255, v182
	v_dual_mov_b32 v253, v178 :: v_dual_mov_b32 v254, v183
	s_wait_dscnt 0xd
	s_set_vgpr_msb 64                       ;  msbs: dst=1 src0=0 src1=0 src2=0
	v_dual_mov_b32 v0 /*v256*/, v195 :: v_dual_mov_b32 v1 /*v257*/, v194
	s_mov_b32 s0, exec_lo
	s_wait_loadcnt 0x14
	s_set_vgpr_msb 0                        ;  msbs: dst=0 src0=0 src1=0 src2=0
	v_dual_mul_f32 v7, v184, v93 :: v_dual_mul_f32 v67, v185, v93
	v_dual_mul_f32 v69, v187, v95 :: v_dual_mul_f32 v11, v186, v95
	s_wait_loadcnt 0x13
	v_mul_f32_e32 v13, v188, v97
	s_wait_loadcnt_dscnt 0x110b
	v_dual_mul_f32 v79, v201, v105 :: v_dual_fma_f32 v67, v184, v92, -v67
	v_dual_fmac_f32 v7, v185, v92 :: v_dual_mul_f32 v81, v203, v107
	v_dual_mul_f32 v71, v189, v97 :: v_dual_mul_f32 v73, v191, v99
	v_dual_fmac_f32 v11, v187, v94 :: v_dual_fma_f32 v69, v186, v94, -v69
	s_wait_loadcnt_dscnt 0x100a
	s_delay_alu instid0(VALU_DEP_3) | instskip(SKIP_1) | instid1(VALU_DEP_2)
	v_dual_add_f32 v7, 0, v7 :: v_dual_mul_f32 v83, v205, v109
	v_dual_add_f32 v67, 0, v67 :: v_dual_fmac_f32 v13, v189, v96
	v_dual_fma_f32 v71, v188, v96, -v71 :: v_dual_add_f32 v7, v7, v11
	v_dual_mul_f32 v75, v197, v101 :: v_dual_mul_f32 v77, v199, v103
	s_delay_alu instid0(VALU_DEP_3) | instskip(SKIP_2) | instid1(VALU_DEP_3)
	v_dual_add_f32 v11, v67, v69 :: v_dual_fma_f32 v69, v190, v98, -v73
	v_dual_mul_f32 v15, v190, v99 :: v_dual_mul_f32 v17, v196, v101
	v_dual_mul_f32 v19, v198, v103 :: v_dual_mul_f32 v21, v200, v105
	v_add_f32_e32 v11, v11, v71
	v_dual_add_f32 v7, v7, v13 :: v_dual_fma_f32 v71, v196, v100, -v75
	v_dual_mul_f32 v23, v202, v107 :: v_dual_mul_f32 v25, v204, v109
	s_delay_alu instid0(VALU_DEP_3) | instskip(SKIP_1) | instid1(VALU_DEP_2)
	v_dual_add_f32 v11, v11, v69 :: v_dual_fmac_f32 v21, v201, v104
	v_dual_fmac_f32 v15, v191, v98 :: v_dual_fmac_f32 v17, v197, v100
	v_dual_fma_f32 v69, v198, v102, -v77 :: v_dual_add_f32 v11, v11, v71
	s_delay_alu instid0(VALU_DEP_4) | instskip(SKIP_1) | instid1(VALU_DEP_3)
	v_dual_fmac_f32 v25, v205, v108 :: v_dual_mul_f32 v67, v207, v111
	s_wait_loadcnt_dscnt 0xf09
	v_dual_mul_f32 v13, v209, v113 :: v_dual_add_f32 v7, v7, v15
	v_dual_mul_f32 v15, v211, v115 :: v_dual_fma_f32 v71, v200, v104, -v79
	s_delay_alu instid0(VALU_DEP_3) | instskip(SKIP_1) | instid1(VALU_DEP_4)
	v_dual_add_f32 v11, v11, v69 :: v_dual_fma_f32 v67, v206, v110, -v67
	v_fmac_f32_e32 v19, v199, v102
	v_dual_add_f32 v7, v7, v17 :: v_dual_fma_f32 v69, v202, v106, -v81
	s_delay_alu instid0(VALU_DEP_3) | instskip(SKIP_2) | instid1(VALU_DEP_3)
	v_dual_add_f32 v11, v11, v71 :: v_dual_fma_f32 v15, v210, v114, -v15
	s_wait_loadcnt_dscnt 0xe08
	v_dual_mul_f32 v31, v210, v115 :: v_dual_mul_f32 v33, v212, v117
	v_dual_add_f32 v7, v7, v19 :: v_dual_fma_f32 v71, v204, v108, -v83
	s_delay_alu instid0(VALU_DEP_3) | instskip(SKIP_4) | instid1(VALU_DEP_3)
	v_dual_add_f32 v11, v11, v69 :: v_dual_mul_f32 v27, v206, v111
	v_dual_mul_f32 v29, v208, v113 :: v_dual_mul_f32 v35, v214, v119
	s_wait_loadcnt_dscnt 0xd07
	v_mul_f32_e32 v37, v216, v121
	v_dual_mul_f32 v17, v213, v117 :: v_dual_fmac_f32 v23, v203, v106
	v_dual_fmac_f32 v29, v209, v112 :: v_dual_add_f32 v7, v7, v21
	v_fma_f32 v13, v208, v112, -v13
	v_dual_fmac_f32 v33, v213, v116 :: v_dual_add_f32 v11, v11, v71
	s_delay_alu instid0(VALU_DEP_3) | instskip(SKIP_1) | instid1(VALU_DEP_3)
	v_dual_fmac_f32 v37, v217, v120 :: v_dual_add_f32 v7, v7, v23
	v_dual_mul_f32 v23, v219, v123 :: v_dual_fma_f32 v17, v212, v116, -v17
	v_add_f32_e32 v11, v11, v67
	s_wait_loadcnt_dscnt 0xb05
	v_dual_mul_f32 v43, v222, v127 :: v_dual_mul_f32 v45, v224, v129
	s_delay_alu instid0(VALU_DEP_3) | instskip(NEXT) | instid1(VALU_DEP_3)
	v_dual_fma_f32 v23, v218, v122, -v23 :: v_dual_mul_f32 v19, v215, v119
	v_dual_add_f32 v11, v11, v13 :: v_dual_mul_f32 v47, v226, v131
	s_wait_loadcnt_dscnt 0xa04
	v_mul_f32_e32 v49, v228, v133
	v_dual_mul_f32 v21, v217, v121 :: v_dual_fmac_f32 v27, v207, v110
	s_delay_alu instid0(VALU_DEP_3) | instskip(SKIP_3) | instid1(VALU_DEP_4)
	v_dual_add_f32 v11, v11, v15 :: v_dual_fmac_f32 v45, v225, v128
	v_mul_f32_e32 v13, v225, v129
	v_add_f32_e32 v7, v7, v25
	v_dual_mul_f32 v25, v221, v125 :: v_dual_fma_f32 v19, v214, v118, -v19
	v_dual_add_f32 v11, v11, v17 :: v_dual_fmac_f32 v49, v229, v132
	s_wait_loadcnt_dscnt 0x903
	v_dual_mul_f32 v51, v230, v135 :: v_dual_mul_f32 v53, v232, v137
	v_dual_mul_f32 v17, v229, v133 :: v_dual_add_f32 v7, v7, v27
	s_delay_alu instid0(VALU_DEP_3) | instskip(NEXT) | instid1(VALU_DEP_3)
	v_dual_fma_f32 v21, v216, v120, -v21 :: v_dual_add_f32 v11, v11, v19
	v_dual_mul_f32 v19, v231, v135 :: v_dual_fmac_f32 v51, v231, v134
	v_mul_f32_e32 v27, v223, v127
	v_dual_mul_f32 v39, v218, v123 :: v_dual_mul_f32 v41, v220, v125
	s_delay_alu instid0(VALU_DEP_3) | instskip(SKIP_1) | instid1(VALU_DEP_3)
	v_dual_fma_f32 v19, v230, v134, -v19 :: v_dual_add_f32 v11, v11, v21
	v_dual_mul_f32 v21, v233, v137 :: v_dual_fmac_f32 v31, v211, v114
	v_dual_fmac_f32 v41, v221, v124 :: v_dual_add_f32 v7, v7, v29
	v_fma_f32 v25, v220, v124, -v25
	s_delay_alu instid0(VALU_DEP_3) | instskip(NEXT) | instid1(VALU_DEP_3)
	v_dual_fma_f32 v21, v232, v136, -v21 :: v_dual_add_f32 v11, v11, v23
	v_dual_fma_f32 v27, v222, v126, -v27 :: v_dual_add_f32 v7, v7, v31
	v_dual_mul_f32 v15, v227, v131 :: v_dual_fma_f32 v13, v224, v128, -v13
	s_delay_alu instid0(VALU_DEP_3) | instskip(SKIP_2) | instid1(VALU_DEP_3)
	v_add_f32_e32 v11, v11, v25
	s_wait_loadcnt_dscnt 0x802
	v_dual_fmac_f32 v35, v215, v118 :: v_dual_mul_f32 v25, v237, v141
	v_dual_add_f32 v7, v7, v33 :: v_dual_fma_f32 v15, v226, v130, -v15
	s_delay_alu instid0(VALU_DEP_3) | instskip(SKIP_2) | instid1(VALU_DEP_3)
	v_add_f32_e32 v11, v11, v27
	v_dual_mul_f32 v55, v234, v139 :: v_dual_mul_f32 v57, v236, v141
	v_dual_fmac_f32 v39, v219, v122 :: v_dual_fma_f32 v17, v228, v132, -v17
	v_add_f32_e32 v11, v11, v13
	s_wait_loadcnt_dscnt 0x701
	v_dual_mul_f32 v13, v241, v145 :: v_dual_add_f32 v7, v7, v35
	v_dual_mul_f32 v23, v235, v139 :: v_dual_fmac_f32 v55, v235, v138
	s_delay_alu instid0(VALU_DEP_3) | instskip(NEXT) | instid1(VALU_DEP_3)
	v_dual_add_f32 v11, v11, v15 :: v_dual_fmac_f32 v53, v233, v136
	v_add_f32_e32 v7, v7, v37
	v_dual_fmac_f32 v43, v223, v126 :: v_dual_fmac_f32 v57, v237, v140
	s_delay_alu instid0(VALU_DEP_3) | instskip(SKIP_1) | instid1(VALU_DEP_3)
	v_add_f32_e32 v11, v11, v17
	s_wait_loadcnt 0x6
	v_dual_mul_f32 v17, v173, v149 :: v_dual_add_f32 v7, v7, v39
	v_fma_f32 v23, v234, v138, -v23
	v_dual_mul_f32 v59, v238, v143 :: v_dual_mul_f32 v61, v240, v145
	v_dual_mul_f32 v63, v242, v147 :: v_dual_mul_f32 v65, v172, v149
	s_delay_alu instid0(VALU_DEP_4) | instskip(SKIP_2) | instid1(VALU_DEP_3)
	v_dual_add_f32 v7, v7, v41 :: v_dual_fma_f32 v25, v236, v140, -v25
	s_wait_loadcnt 0x4
	v_dual_mov_b32 v92, v155 :: v_dual_mov_b32 v96, v159
	v_dual_fmac_f32 v47, v227, v130 :: v_dual_fmac_f32 v65, v173, v148
	s_delay_alu instid0(VALU_DEP_3) | instskip(SKIP_1) | instid1(VALU_DEP_4)
	v_dual_add_f32 v7, v7, v43 :: v_dual_fmac_f32 v61, v241, v144
	v_dual_mul_f32 v15, v243, v147 :: v_dual_fmac_f32 v63, v243, v146
	v_pk_mul_f32 v[92:93], v[250:251], v[92:93] op_sel_hi:[1,0]
	s_delay_alu instid0(VALU_DEP_3) | instskip(NEXT) | instid1(VALU_DEP_3)
	v_add_f32_e32 v7, v7, v45
	v_dual_add_f32 v11, v11, v19 :: v_dual_fma_f32 v15, v242, v146, -v15
	v_dual_mul_f32 v27, v239, v143 :: v_dual_fmac_f32 v59, v239, v142
	s_delay_alu instid0(VALU_DEP_4) | instskip(NEXT) | instid1(VALU_DEP_4)
	v_pk_fma_f32 v[104:105], v[170:171], v[154:155], v[92:93] op_sel_hi:[1,0,1]
	v_add_f32_e32 v7, v7, v47
	v_pk_fma_f32 v[92:93], v[170:171], v[154:155], v[92:93] neg_lo:[0,0,1] neg_hi:[0,0,1]
	v_dual_add_f32 v11, v11, v21 :: v_dual_fma_f32 v13, v240, v144, -v13
	s_delay_alu instid0(VALU_DEP_3)
	v_dual_mov_b32 v93, v105 :: v_dual_add_f32 v7, v7, v49
	s_set_vgpr_msb 64                       ;  msbs: dst=1 src0=0 src1=0 src2=0
	v_dual_mul_f32 v3 /*v259*/, v174, v151 :: v_dual_mul_f32 v5 /*v261*/, v168, v153
	s_set_vgpr_msb 0                        ;  msbs: dst=0 src0=0 src1=0 src2=0
	v_dual_add_f32 v11, v11, v23 :: v_dual_fma_f32 v23, v238, v142, -v27
	v_add_f32_e32 v7, v7, v51
	v_dual_mul_f32 v19, v175, v151 :: v_dual_mul_f32 v21, v169, v153
	s_delay_alu instid0(VALU_DEP_3)
	v_add_f32_e32 v11, v11, v25
	s_set_vgpr_msb 64                       ;  msbs: dst=1 src0=0 src1=0 src2=0
	v_dual_fmac_f32 v3 /*v259*/, v175, v150 :: v_dual_fmac_f32 v5 /*v261*/, v169, v152
	s_set_vgpr_msb 0                        ;  msbs: dst=0 src0=0 src1=0 src2=0
	v_add_f32_e32 v7, v7, v53
	s_set_vgpr_msb 64                       ;  msbs: dst=1 src0=0 src1=0 src2=0
	v_dual_fma_f32 v2 /*v258*/, v174, v150, -v19 :: v_dual_fma_f32 v4 /*v260*/, v168, v152, -v21
	s_set_vgpr_msb 0                        ;  msbs: dst=0 src0=0 src1=0 src2=0
	v_add_f32_e32 v11, v11, v23
	v_pk_mul_f32 v[94:95], v[176:177], v[156:157] op_sel:[1,1] op_sel_hi:[0,1]
	v_add_f32_e32 v7, v7, v55
	v_pk_mul_f32 v[96:97], v[252:253], v[96:97] op_sel_hi:[1,0]
	s_wait_loadcnt 0x3
	v_pk_mul_f32 v[98:99], v[180:181], v[160:161] op_sel:[1,1] op_sel_hi:[0,1]
	v_dual_add_f32 v11, v11, v13 :: v_dual_fma_f32 v13, v172, v148, -v17
	v_add_f32_e32 v7, v7, v57
	v_pk_fma_f32 v[106:107], v[176:177], v[156:157], v[94:95] op_sel_hi:[1,0,1]
	v_pk_fma_f32 v[94:95], v[176:177], v[156:157], v[94:95] neg_lo:[0,0,1] neg_hi:[0,0,1]
	s_delay_alu instid0(VALU_DEP_4)
	v_add_f32_e32 v11, v11, v15
	v_mov_b32_e32 v102, v163
	v_add_f32_e32 v7, v7, v59
	v_mov_b32_e32 v95, v107
	v_pk_fma_f32 v[106:107], v[178:179], v[158:159], v[96:97] op_sel_hi:[1,0,1]
	v_add_f32_e32 v100, v11, v13
	v_pk_fma_f32 v[96:97], v[178:179], v[158:159], v[96:97] neg_lo:[0,0,1] neg_hi:[0,0,1]
	v_add_f32_e32 v7, v7, v61
	v_pk_mul_f32 v[102:103], v[254:255], v[102:103] op_sel_hi:[1,0]
	v_mov_b32_e32 v97, v107
	s_wait_loadcnt 0x2
	v_pk_mul_f32 v[104:105], v[192:193], v[164:165] op_sel:[1,1] op_sel_hi:[0,1]
	v_add_f32_e32 v7, v7, v63
	s_delay_alu instid0(VALU_DEP_1) | instskip(SKIP_1) | instid1(VALU_DEP_1)
	v_add_f32_e32 v101, v7, v65
	s_set_vgpr_msb 4                        ;  msbs: dst=0 src0=0 src1=1 src2=0
	v_pk_add_f32 v[100:101], v[100:101], v[2:3] /*v[258:259]*/
	s_delay_alu instid0(VALU_DEP_1) | instskip(SKIP_1) | instid1(VALU_DEP_1)
	v_pk_add_f32 v[100:101], v[100:101], v[4:5] /*v[260:261]*/
	s_set_vgpr_msb 0                        ;  msbs: dst=0 src0=0 src1=0 src2=0
	v_pk_add_f32 v[92:93], v[100:101], v[92:93]
	v_pk_fma_f32 v[100:101], v[180:181], v[160:161], v[98:99] op_sel_hi:[1,0,1]
	v_pk_fma_f32 v[98:99], v[180:181], v[160:161], v[98:99] neg_lo:[0,0,1] neg_hi:[0,0,1]
	s_delay_alu instid0(VALU_DEP_3) | instskip(NEXT) | instid1(VALU_DEP_3)
	v_pk_add_f32 v[92:93], v[92:93], v[94:95]
	v_dual_mov_b32 v94, v167 :: v_dual_mov_b32 v99, v101
	v_pk_fma_f32 v[100:101], v[182:183], v[162:163], v[102:103] op_sel_hi:[1,0,1]
	v_pk_fma_f32 v[102:103], v[182:183], v[162:163], v[102:103] neg_lo:[0,0,1] neg_hi:[0,0,1]
	s_delay_alu instid0(VALU_DEP_4)
	v_pk_add_f32 v[92:93], v[92:93], v[96:97]
	v_pk_fma_f32 v[96:97], v[192:193], v[164:165], v[104:105] op_sel_hi:[1,0,1]
	s_set_vgpr_msb 1                        ;  msbs: dst=0 src0=1 src1=0 src2=0
	v_pk_mul_f32 v[94:95], v[0:1] /*v[256:257]*/, v[94:95] op_sel_hi:[1,0]
	s_set_vgpr_msb 0                        ;  msbs: dst=0 src0=0 src1=0 src2=0
	v_mov_b32_e32 v103, v101
	s_wait_loadcnt_dscnt 0x100
	v_pk_mul_f32 v[100:101], v[248:249], v[244:245] op_sel:[1,1] op_sel_hi:[0,1]
	v_pk_add_f32 v[92:93], v[92:93], v[98:99]
	v_pk_fma_f32 v[98:99], v[192:193], v[164:165], v[104:105] neg_lo:[0,0,1] neg_hi:[0,0,1]
	v_mov_b32_e32 v99, v97
	v_pk_fma_f32 v[96:97], v[194:195], v[166:167], v[94:95] op_sel_hi:[1,0,1]
	v_pk_fma_f32 v[94:95], v[194:195], v[166:167], v[94:95] neg_lo:[0,0,1] neg_hi:[0,0,1]
	v_pk_add_f32 v[92:93], v[92:93], v[102:103]
	s_delay_alu instid0(VALU_DEP_3) | instskip(SKIP_1) | instid1(VALU_DEP_3)
	v_mov_b32_e32 v95, v97
	v_pk_fma_f32 v[96:97], v[248:249], v[244:245], v[100:101] op_sel_hi:[1,0,1]
	v_pk_add_f32 v[92:93], v[92:93], v[98:99]
	v_pk_fma_f32 v[98:99], v[248:249], v[244:245], v[100:101] neg_lo:[0,0,1] neg_hi:[0,0,1]
	s_delay_alu instid0(VALU_DEP_3) | instskip(NEXT) | instid1(VALU_DEP_3)
	v_mov_b32_e32 v99, v97
	v_pk_add_f32 v[92:93], v[92:93], v[94:95]
	s_delay_alu instid0(VALU_DEP_1) | instskip(SKIP_1) | instid1(VALU_DEP_1)
	v_pk_add_f32 v[92:93], v[92:93], v[98:99]
	s_wait_loadcnt 0x0
	v_pk_add_f32 v[92:93], v[246:247], v[92:93] neg_lo:[0,1] neg_hi:[0,1]
	scratch_store_b64 off, v[92:93], off offset:40
	s_wait_xcnt 0x0
	v_cmpx_lt_u32_e32 4, v0
	s_cbranch_execz .LBB44_275
; %bb.274:
	scratch_load_b64 v[92:93], off, off offset:32
	v_mov_b64_e32 v[94:95], 0
	scratch_store_b64 off, v[94:95], off offset:32
	s_wait_loadcnt 0x0
	ds_store_b64 v1, v[92:93]
.LBB44_275:
	s_wait_xcnt 0x0
	s_or_b32 exec_lo, exec_lo, s0
	s_wait_storecnt_dscnt 0x0
	s_barrier_signal -1
	s_barrier_wait -1
	s_clause 0x14
	scratch_load_b128 v[92:95], off, off offset:40
	scratch_load_b128 v[96:99], off, off offset:56
	;; [unrolled: 1-line block ×20, first 2 shown]
	scratch_load_b64 v[252:253], off, off offset:32
	ds_load_2addr_b64 v[172:175], v5 offset0:83 offset1:84
	ds_load_2addr_b64 v[176:179], v5 offset0:85 offset1:86
	;; [unrolled: 1-line block ×20, first 2 shown]
	s_wait_dscnt 0x13
	v_dual_mov_b32 v254, v175 :: v_dual_mov_b32 v255, v174
	s_wait_dscnt 0x12
	s_set_vgpr_msb 64                       ;  msbs: dst=1 src0=0 src1=0 src2=0
	v_dual_mov_b32 v0 /*v256*/, v179 :: v_dual_mov_b32 v1 /*v257*/, v178
	s_wait_dscnt 0xf
	v_dual_mov_b32 v2 /*v258*/, v191 :: v_dual_mov_b32 v3 /*v259*/, v190
	s_wait_dscnt 0xe
	v_dual_mov_b32 v4 /*v260*/, v195 :: v_dual_mov_b32 v5 /*v261*/, v194
	s_mov_b32 s0, exec_lo
	s_wait_loadcnt 0x14
	s_set_vgpr_msb 0                        ;  msbs: dst=0 src0=0 src1=0 src2=0
	v_dual_mul_f32 v5, v180, v93 :: v_dual_mul_f32 v7, v182, v95
	v_dual_mul_f32 v67, v181, v93 :: v_dual_mul_f32 v69, v183, v95
	s_wait_loadcnt 0x13
	v_dual_mul_f32 v11, v184, v97 :: v_dual_mul_f32 v13, v186, v99
	s_delay_alu instid0(VALU_DEP_2) | instskip(SKIP_3) | instid1(VALU_DEP_3)
	v_dual_fmac_f32 v5, v181, v92 :: v_dual_fma_f32 v67, v180, v92, -v67
	v_dual_mul_f32 v71, v185, v97 :: v_dual_mul_f32 v73, v187, v99
	s_wait_loadcnt_dscnt 0x110c
	v_dual_mul_f32 v79, v201, v105 :: v_dual_fmac_f32 v7, v183, v94
	v_dual_fma_f32 v69, v182, v94, -v69 :: v_dual_add_f32 v5, 0, v5
	v_dual_add_f32 v67, 0, v67 :: v_dual_fmac_f32 v11, v185, v96
	v_dual_mul_f32 v81, v203, v107 :: v_dual_fma_f32 v71, v184, v96, -v71
	s_delay_alu instid0(VALU_DEP_2)
	v_dual_add_f32 v5, v5, v7 :: v_dual_add_f32 v7, v67, v69
	v_dual_mul_f32 v15, v196, v101 :: v_dual_mul_f32 v17, v198, v103
	v_dual_mul_f32 v75, v197, v101 :: v_dual_mul_f32 v77, v199, v103
	s_wait_loadcnt_dscnt 0x100b
	v_dual_mul_f32 v67, v205, v109 :: v_dual_fmac_f32 v13, v187, v98
	v_dual_fma_f32 v69, v186, v98, -v73 :: v_dual_add_f32 v5, v5, v11
	v_dual_add_f32 v7, v7, v71 :: v_dual_fmac_f32 v15, v197, v100
	v_dual_mul_f32 v11, v207, v111 :: v_dual_fma_f32 v71, v196, v100, -v75
	s_delay_alu instid0(VALU_DEP_3) | instskip(NEXT) | instid1(VALU_DEP_3)
	v_dual_add_f32 v5, v5, v13 :: v_dual_fmac_f32 v17, v199, v102
	v_dual_add_f32 v7, v7, v69 :: v_dual_fma_f32 v69, v198, v102, -v77
	v_dual_mul_f32 v19, v200, v105 :: v_dual_mul_f32 v21, v202, v107
	s_wait_loadcnt_dscnt 0xf0a
	s_delay_alu instid0(VALU_DEP_2) | instskip(SKIP_1) | instid1(VALU_DEP_3)
	v_dual_mul_f32 v13, v209, v113 :: v_dual_add_f32 v7, v7, v71
	v_dual_add_f32 v5, v5, v15 :: v_dual_fma_f32 v71, v200, v104, -v79
	v_dual_mul_f32 v15, v211, v115 :: v_dual_fmac_f32 v19, v201, v104
	s_delay_alu instid0(VALU_DEP_3) | instskip(NEXT) | instid1(VALU_DEP_3)
	v_dual_add_f32 v7, v7, v69 :: v_dual_fma_f32 v69, v202, v106, -v81
	v_dual_add_f32 v5, v5, v17 :: v_dual_fmac_f32 v21, v203, v106
	v_dual_mul_f32 v23, v204, v109 :: v_dual_mul_f32 v25, v206, v111
	s_wait_loadcnt_dscnt 0xe09
	s_delay_alu instid0(VALU_DEP_3) | instskip(NEXT) | instid1(VALU_DEP_3)
	v_dual_mul_f32 v17, v213, v117 :: v_dual_add_f32 v7, v7, v71
	v_dual_add_f32 v5, v5, v19 :: v_dual_fma_f32 v67, v204, v108, -v67
	s_delay_alu instid0(VALU_DEP_3) | instskip(NEXT) | instid1(VALU_DEP_3)
	v_dual_mul_f32 v19, v215, v119 :: v_dual_fmac_f32 v23, v205, v108
	v_dual_add_f32 v7, v7, v69 :: v_dual_fma_f32 v11, v206, v110, -v11
	s_delay_alu instid0(VALU_DEP_3) | instskip(SKIP_2) | instid1(VALU_DEP_3)
	v_dual_add_f32 v5, v5, v21 :: v_dual_fmac_f32 v25, v207, v110
	v_dual_mul_f32 v27, v208, v113 :: v_dual_mul_f32 v29, v210, v115
	s_wait_loadcnt_dscnt 0xd08
	v_dual_mul_f32 v21, v217, v121 :: v_dual_add_f32 v7, v7, v67
	s_delay_alu instid0(VALU_DEP_3) | instskip(NEXT) | instid1(VALU_DEP_3)
	v_dual_add_f32 v5, v5, v23 :: v_dual_fma_f32 v13, v208, v112, -v13
	v_dual_mul_f32 v23, v219, v123 :: v_dual_fmac_f32 v27, v209, v112
	s_delay_alu instid0(VALU_DEP_2) | instskip(SKIP_3) | instid1(VALU_DEP_3)
	v_dual_add_f32 v7, v7, v11 :: v_dual_add_f32 v5, v5, v25
	v_dual_mul_f32 v31, v212, v117 :: v_dual_mul_f32 v33, v214, v119
	s_wait_loadcnt_dscnt 0xc07
	v_dual_mul_f32 v11, v221, v125 :: v_dual_fmac_f32 v29, v211, v114
	v_dual_fma_f32 v15, v210, v114, -v15 :: v_dual_add_f32 v5, v5, v27
	s_delay_alu instid0(VALU_DEP_3) | instskip(SKIP_1) | instid1(VALU_DEP_2)
	v_dual_add_f32 v7, v7, v13 :: v_dual_fmac_f32 v31, v213, v116
	v_dual_mul_f32 v13, v223, v127 :: v_dual_fma_f32 v17, v212, v116, -v17
	v_dual_add_f32 v5, v5, v29 :: v_dual_add_f32 v7, v7, v15
	v_dual_mul_f32 v35, v216, v121 :: v_dual_mul_f32 v37, v218, v123
	s_wait_loadcnt_dscnt 0xb06
	v_dual_mul_f32 v15, v225, v129 :: v_dual_fmac_f32 v33, v215, v118
	s_delay_alu instid0(VALU_DEP_3) | instskip(NEXT) | instid1(VALU_DEP_3)
	v_dual_fma_f32 v19, v214, v118, -v19 :: v_dual_add_f32 v5, v5, v31
	v_dual_add_f32 v7, v7, v17 :: v_dual_fmac_f32 v35, v217, v120
	v_dual_mul_f32 v17, v227, v131 :: v_dual_fma_f32 v21, v216, v120, -v21
	s_delay_alu instid0(VALU_DEP_2) | instskip(SKIP_3) | instid1(VALU_DEP_3)
	v_dual_add_f32 v5, v5, v33 :: v_dual_add_f32 v7, v7, v19
	v_dual_mul_f32 v39, v220, v125 :: v_dual_mul_f32 v41, v222, v127
	s_wait_loadcnt_dscnt 0xa05
	v_dual_mul_f32 v19, v229, v133 :: v_dual_fmac_f32 v37, v219, v122
	v_dual_fma_f32 v23, v218, v122, -v23 :: v_dual_add_f32 v5, v5, v35
	s_delay_alu instid0(VALU_DEP_3) | instskip(SKIP_1) | instid1(VALU_DEP_2)
	v_dual_add_f32 v7, v7, v21 :: v_dual_fmac_f32 v39, v221, v124
	v_dual_mul_f32 v21, v231, v135 :: v_dual_fma_f32 v11, v220, v124, -v11
	v_dual_add_f32 v5, v5, v37 :: v_dual_add_f32 v7, v7, v23
	v_dual_mul_f32 v43, v224, v129 :: v_dual_mul_f32 v45, v226, v131
	s_wait_loadcnt_dscnt 0x904
	v_dual_mul_f32 v23, v233, v137 :: v_dual_fmac_f32 v41, v223, v126
	s_delay_alu instid0(VALU_DEP_3) | instskip(NEXT) | instid1(VALU_DEP_3)
	v_dual_fma_f32 v13, v222, v126, -v13 :: v_dual_add_f32 v5, v5, v39
	v_dual_add_f32 v7, v7, v11 :: v_dual_fmac_f32 v43, v225, v128
	v_dual_mul_f32 v11, v235, v139 :: v_dual_fma_f32 v15, v224, v128, -v15
	s_delay_alu instid0(VALU_DEP_3) | instskip(NEXT) | instid1(VALU_DEP_3)
	v_dual_add_f32 v5, v5, v41 :: v_dual_fmac_f32 v45, v227, v130
	v_dual_add_f32 v7, v7, v13 :: v_dual_fma_f32 v17, v226, v130, -v17
	v_dual_mul_f32 v47, v228, v133 :: v_dual_mul_f32 v49, v230, v135
	s_wait_loadcnt_dscnt 0x803
	s_delay_alu instid0(VALU_DEP_2) | instskip(SKIP_1) | instid1(VALU_DEP_3)
	v_dual_mul_f32 v13, v237, v141 :: v_dual_add_f32 v7, v7, v15
	v_dual_add_f32 v5, v5, v43 :: v_dual_fma_f32 v19, v228, v132, -v19
	v_dual_mul_f32 v15, v239, v143 :: v_dual_fmac_f32 v47, v229, v132
	s_delay_alu instid0(VALU_DEP_3) | instskip(NEXT) | instid1(VALU_DEP_3)
	v_dual_add_f32 v7, v7, v17 :: v_dual_fma_f32 v21, v230, v134, -v21
	v_dual_add_f32 v5, v5, v45 :: v_dual_fmac_f32 v49, v231, v134
	v_dual_mul_f32 v51, v232, v137 :: v_dual_mul_f32 v53, v234, v139
	s_wait_loadcnt_dscnt 0x702
	s_delay_alu instid0(VALU_DEP_3) | instskip(NEXT) | instid1(VALU_DEP_3)
	v_dual_mul_f32 v17, v241, v145 :: v_dual_add_f32 v7, v7, v19
	v_dual_add_f32 v5, v5, v47 :: v_dual_fma_f32 v23, v232, v136, -v23
	s_delay_alu instid0(VALU_DEP_3) | instskip(NEXT) | instid1(VALU_DEP_3)
	v_dual_mul_f32 v19, v243, v147 :: v_dual_fmac_f32 v51, v233, v136
	v_dual_add_f32 v7, v7, v21 :: v_dual_fma_f32 v11, v234, v138, -v11
	s_delay_alu instid0(VALU_DEP_3) | instskip(SKIP_2) | instid1(VALU_DEP_3)
	v_dual_add_f32 v5, v5, v49 :: v_dual_fmac_f32 v53, v235, v138
	v_dual_mul_f32 v55, v236, v141 :: v_dual_mul_f32 v57, v238, v143
	s_wait_loadcnt_dscnt 0x601
	v_dual_mul_f32 v21, v245, v149 :: v_dual_add_f32 v7, v7, v23
	s_delay_alu instid0(VALU_DEP_3) | instskip(NEXT) | instid1(VALU_DEP_3)
	v_dual_add_f32 v5, v5, v51 :: v_dual_fma_f32 v13, v236, v140, -v13
	v_dual_mul_f32 v23, v247, v151 :: v_dual_fmac_f32 v55, v237, v140
	s_delay_alu instid0(VALU_DEP_2) | instskip(SKIP_3) | instid1(VALU_DEP_3)
	v_dual_add_f32 v7, v7, v11 :: v_dual_add_f32 v5, v5, v53
	v_dual_mul_f32 v59, v240, v145 :: v_dual_mul_f32 v61, v242, v147
	s_wait_loadcnt_dscnt 0x500
	v_dual_mul_f32 v11, v249, v153 :: v_dual_fmac_f32 v57, v239, v142
	v_dual_fma_f32 v15, v238, v142, -v15 :: v_dual_add_f32 v5, v5, v55
	s_delay_alu instid0(VALU_DEP_3) | instskip(SKIP_1) | instid1(VALU_DEP_2)
	v_dual_add_f32 v7, v7, v13 :: v_dual_fmac_f32 v59, v241, v144
	v_dual_mul_f32 v13, v251, v155 :: v_dual_fma_f32 v17, v240, v144, -v17
	v_dual_add_f32 v5, v5, v57 :: v_dual_add_f32 v7, v7, v15
	v_dual_mul_f32 v63, v244, v149 :: v_dual_mul_f32 v65, v246, v151
	v_dual_fmac_f32 v61, v243, v146 :: v_dual_fma_f32 v15, v242, v146, -v19
	s_delay_alu instid0(VALU_DEP_3) | instskip(SKIP_1) | instid1(VALU_DEP_3)
	v_dual_add_f32 v5, v5, v59 :: v_dual_add_f32 v7, v7, v17
	s_wait_loadcnt 0x4
	v_dual_mov_b32 v94, v159 :: v_dual_fmac_f32 v63, v245, v148
	s_delay_alu instid0(VALU_DEP_2) | instskip(NEXT) | instid1(VALU_DEP_3)
	v_dual_fma_f32 v17, v244, v148, -v21 :: v_dual_add_f32 v5, v5, v61
	v_dual_add_f32 v7, v7, v15 :: v_dual_fma_f32 v15, v246, v150, -v23
	s_set_vgpr_msb 64                       ;  msbs: dst=1 src0=0 src1=0 src2=0
	v_dual_mul_f32 v7 /*v263*/, v248, v153 :: v_dual_mul_f32 v9 /*v265*/, v250, v155
	s_set_vgpr_msb 0                        ;  msbs: dst=0 src0=0 src1=0 src2=0
	v_dual_fmac_f32 v65, v247, v150 :: v_dual_add_f32 v5, v5, v63
	v_add_f32_e32 v7, v7, v17
	v_pk_mul_f32 v[92:93], v[172:173], v[156:157] op_sel:[1,1] op_sel_hi:[0,1]
	s_wait_loadcnt 0x3
	v_mov_b32_e32 v98, v163
	s_set_vgpr_msb 64                       ;  msbs: dst=1 src0=0 src1=0 src2=0
	v_dual_fmac_f32 v7 /*v263*/, v249, v152 :: v_dual_fmac_f32 v9 /*v265*/, v251, v154
	v_dual_fma_f32 v6 /*v262*/, v248, v152, -v11 :: v_dual_fma_f32 v8 /*v264*/, v250, v154, -v13
	s_set_vgpr_msb 0                        ;  msbs: dst=0 src0=0 src1=0 src2=0
	v_dual_add_f32 v101, v5, v65 :: v_dual_add_f32 v100, v7, v15
	v_pk_fma_f32 v[102:103], v[172:173], v[156:157], v[92:93] op_sel_hi:[1,0,1]
	v_pk_mul_f32 v[94:95], v[254:255], v[94:95] op_sel_hi:[1,0]
	v_pk_fma_f32 v[92:93], v[172:173], v[156:157], v[92:93] neg_lo:[0,0,1] neg_hi:[0,0,1]
	v_pk_mul_f32 v[96:97], v[176:177], v[160:161] op_sel:[1,1] op_sel_hi:[0,1]
	s_set_vgpr_msb 4                        ;  msbs: dst=0 src0=0 src1=1 src2=0
	v_pk_add_f32 v[100:101], v[100:101], v[6:7] /*v[262:263]*/
	v_mov_b32_e32 v93, v103
	s_set_vgpr_msb 0                        ;  msbs: dst=0 src0=0 src1=0 src2=0
	v_pk_fma_f32 v[102:103], v[174:175], v[158:159], v[94:95] op_sel_hi:[1,0,1]
	v_pk_fma_f32 v[94:95], v[174:175], v[158:159], v[94:95] neg_lo:[0,0,1] neg_hi:[0,0,1]
	v_pk_fma_f32 v[106:107], v[176:177], v[160:161], v[96:97] op_sel_hi:[1,0,1]
	s_set_vgpr_msb 4                        ;  msbs: dst=0 src0=0 src1=1 src2=0
	v_pk_add_f32 v[100:101], v[100:101], v[8:9] /*v[264:265]*/
	s_set_vgpr_msb 1                        ;  msbs: dst=0 src0=1 src1=0 src2=0
	v_pk_mul_f32 v[98:99], v[0:1] /*v[256:257]*/, v[98:99] op_sel_hi:[1,0]
	s_set_vgpr_msb 0                        ;  msbs: dst=0 src0=0 src1=0 src2=0
	v_mov_b32_e32 v95, v103
	s_wait_loadcnt 0x2
	v_pk_mul_f32 v[104:105], v[188:189], v[164:165] op_sel:[1,1] op_sel_hi:[0,1]
	v_pk_fma_f32 v[96:97], v[176:177], v[160:161], v[96:97] neg_lo:[0,0,1] neg_hi:[0,0,1]
	v_pk_add_f32 v[92:93], v[100:101], v[92:93]
	v_dual_mov_b32 v100, v167 :: v_dual_mov_b32 v97, v107
	v_pk_fma_f32 v[102:103], v[178:179], v[162:163], v[98:99] op_sel_hi:[1,0,1]
	v_pk_fma_f32 v[98:99], v[178:179], v[162:163], v[98:99] neg_lo:[0,0,1] neg_hi:[0,0,1]
	s_delay_alu instid0(VALU_DEP_4)
	v_pk_add_f32 v[92:93], v[92:93], v[94:95]
	v_pk_fma_f32 v[94:95], v[188:189], v[164:165], v[104:105] op_sel_hi:[1,0,1]
	s_set_vgpr_msb 1                        ;  msbs: dst=0 src0=1 src1=0 src2=0
	v_pk_mul_f32 v[100:101], v[2:3] /*v[258:259]*/, v[100:101] op_sel_hi:[1,0]
	s_set_vgpr_msb 0                        ;  msbs: dst=0 src0=0 src1=0 src2=0
	v_mov_b32_e32 v99, v103
	v_pk_fma_f32 v[102:103], v[188:189], v[164:165], v[104:105] neg_lo:[0,0,1] neg_hi:[0,0,1]
	v_pk_add_f32 v[92:93], v[92:93], v[96:97]
	v_mov_b32_e32 v103, v95
	v_pk_fma_f32 v[94:95], v[190:191], v[166:167], v[100:101] op_sel_hi:[1,0,1]
	s_wait_loadcnt 0x1
	v_pk_mul_f32 v[96:97], v[192:193], v[168:169] op_sel:[1,1] op_sel_hi:[0,1]
	v_mov_b32_e32 v94, v171
	v_pk_add_f32 v[92:93], v[92:93], v[98:99]
	v_pk_fma_f32 v[100:101], v[190:191], v[166:167], v[100:101] neg_lo:[0,0,1] neg_hi:[0,0,1]
	v_mov_b32_e32 v101, v95
	v_pk_fma_f32 v[98:99], v[192:193], v[168:169], v[96:97] op_sel_hi:[1,0,1]
	s_set_vgpr_msb 1                        ;  msbs: dst=0 src0=1 src1=0 src2=0
	v_pk_mul_f32 v[94:95], v[4:5] /*v[260:261]*/, v[94:95] op_sel_hi:[1,0]
	s_set_vgpr_msb 0                        ;  msbs: dst=0 src0=0 src1=0 src2=0
	v_pk_add_f32 v[92:93], v[92:93], v[102:103]
	v_pk_fma_f32 v[96:97], v[192:193], v[168:169], v[96:97] neg_lo:[0,0,1] neg_hi:[0,0,1]
	v_mov_b32_e32 v97, v99
	v_pk_fma_f32 v[98:99], v[194:195], v[170:171], v[94:95] op_sel_hi:[1,0,1]
	s_delay_alu instid0(VALU_DEP_4) | instskip(SKIP_1) | instid1(VALU_DEP_3)
	v_pk_add_f32 v[92:93], v[92:93], v[100:101]
	v_pk_fma_f32 v[94:95], v[194:195], v[170:171], v[94:95] neg_lo:[0,0,1] neg_hi:[0,0,1]
	v_mov_b32_e32 v95, v99
	s_delay_alu instid0(VALU_DEP_3) | instskip(NEXT) | instid1(VALU_DEP_1)
	v_pk_add_f32 v[92:93], v[92:93], v[96:97]
	v_pk_add_f32 v[92:93], v[92:93], v[94:95]
	s_wait_loadcnt 0x0
	s_delay_alu instid0(VALU_DEP_1)
	v_pk_add_f32 v[92:93], v[252:253], v[92:93] neg_lo:[0,1] neg_hi:[0,1]
	scratch_store_b64 off, v[92:93], off offset:32
	s_wait_xcnt 0x0
	v_cmpx_lt_u32_e32 3, v0
	s_cbranch_execz .LBB44_277
; %bb.276:
	scratch_load_b64 v[92:93], off, off offset:24
	v_mov_b64_e32 v[94:95], 0
	scratch_store_b64 off, v[94:95], off offset:24
	s_wait_loadcnt 0x0
	ds_store_b64 v1, v[92:93]
.LBB44_277:
	s_wait_xcnt 0x0
	s_or_b32 exec_lo, exec_lo, s0
	v_mov_b32_e32 v5, 0
	s_wait_storecnt_dscnt 0x0
	s_barrier_signal -1
	s_barrier_wait -1
	ds_load_b128 v[92:95], v5 offset:400
	ds_load_b128 v[96:99], v5 offset:416
	;; [unrolled: 1-line block ×4, first 2 shown]
	s_clause 0x10
	scratch_load_b128 v[108:111], off, off offset:32
	scratch_load_b128 v[112:115], off, off offset:48
	;; [unrolled: 1-line block ×17, first 2 shown]
	s_mov_b32 s0, exec_lo
	s_wait_loadcnt_dscnt 0x1003
	v_mul_f32_e32 v7, v92, v109
	ds_load_b128 v[204:207], v5 offset:624
	ds_load_b128 v[212:215], v5 offset:640
	ds_load_b128 v[220:223], v5 offset:656
	v_dual_mul_f32 v11, v94, v111 :: v_dual_fmac_f32 v7, v93, v108
	ds_load_b128 v[124:127], v5 offset:464
	ds_load_b128 v[132:135], v5 offset:480
	;; [unrolled: 1-line block ×4, first 2 shown]
	v_dual_add_f32 v7, 0, v7 :: v_dual_fmac_f32 v11, v95, v110
	ds_load_b128 v[156:159], v5 offset:528
	ds_load_b128 v[164:167], v5 offset:544
	;; [unrolled: 1-line block ×4, first 2 shown]
	s_wait_loadcnt_dscnt 0xf0d
	v_dual_add_f32 v7, v7, v11 :: v_dual_mul_f32 v11, v96, v113
	ds_load_b128 v[188:191], v5 offset:592
	ds_load_b128 v[196:199], v5 offset:608
	s_clause 0x3
	scratch_load_b128 v[228:231], off, off offset:304
	scratch_load_b128 v[232:235], off, off offset:320
	scratch_load_b128 v[236:239], off, off offset:336
	scratch_load_b64 v[246:247], off, off offset:352
	s_wait_loadcnt_dscnt 0x110b
	v_dual_fmac_f32 v11, v97, v112 :: v_dual_mul_f32 v243, v214, v219
	s_wait_loadcnt_dscnt 0xe0a
	s_delay_alu instid0(VALU_DEP_1) | instskip(NEXT) | instid1(VALU_DEP_2)
	v_dual_mul_f32 v245, v220, v225 :: v_dual_add_f32 v7, v7, v11
	v_dual_mul_f32 v11, v98, v115 :: v_dual_fmac_f32 v243, v215, v218
	s_delay_alu instid0(VALU_DEP_1) | instskip(NEXT) | instid1(VALU_DEP_1)
	v_dual_fmac_f32 v245, v221, v224 :: v_dual_fmac_f32 v11, v99, v114
	v_dual_add_f32 v7, v7, v11 :: v_dual_mul_f32 v11, v100, v117
	s_delay_alu instid0(VALU_DEP_1) | instskip(NEXT) | instid1(VALU_DEP_1)
	v_fmac_f32_e32 v11, v101, v116
	v_add_f32_e32 v7, v7, v11
	v_mul_f32_e32 v11, v102, v119
	s_delay_alu instid0(VALU_DEP_1) | instskip(NEXT) | instid1(VALU_DEP_1)
	v_fmac_f32_e32 v11, v103, v118
	v_dual_add_f32 v7, v7, v11 :: v_dual_mul_f32 v11, v104, v121
	s_delay_alu instid0(VALU_DEP_1) | instskip(NEXT) | instid1(VALU_DEP_1)
	v_fmac_f32_e32 v11, v105, v120
	v_add_f32_e32 v7, v7, v11
	v_mul_f32_e32 v11, v106, v123
	s_delay_alu instid0(VALU_DEP_1) | instskip(SKIP_1) | instid1(VALU_DEP_1)
	v_fmac_f32_e32 v11, v107, v122
	s_wait_loadcnt_dscnt 0xd09
	v_dual_add_f32 v7, v7, v11 :: v_dual_mul_f32 v11, v124, v129
	s_delay_alu instid0(VALU_DEP_1) | instskip(NEXT) | instid1(VALU_DEP_1)
	v_fmac_f32_e32 v11, v125, v128
	v_add_f32_e32 v7, v7, v11
	v_mul_f32_e32 v11, v126, v131
	s_delay_alu instid0(VALU_DEP_1) | instskip(SKIP_1) | instid1(VALU_DEP_1)
	v_fmac_f32_e32 v11, v127, v130
	s_wait_loadcnt_dscnt 0xc08
	;; [unrolled: 8-line block ×10, first 2 shown]
	v_dual_add_f32 v7, v7, v11 :: v_dual_mul_f32 v11, v196, v201
	s_delay_alu instid0(VALU_DEP_1) | instskip(NEXT) | instid1(VALU_DEP_1)
	v_fmac_f32_e32 v11, v197, v200
	v_add_f32_e32 v7, v7, v11
	v_mul_f32_e32 v11, v198, v203
	s_delay_alu instid0(VALU_DEP_1) | instskip(NEXT) | instid1(VALU_DEP_1)
	v_fmac_f32_e32 v11, v199, v202
	v_dual_add_f32 v7, v7, v11 :: v_dual_mul_f32 v11, v204, v209
	s_delay_alu instid0(VALU_DEP_1) | instskip(NEXT) | instid1(VALU_DEP_1)
	v_fmac_f32_e32 v11, v205, v208
	v_add_f32_e32 v7, v7, v11
	v_mul_f32_e32 v11, v206, v211
	s_delay_alu instid0(VALU_DEP_1) | instskip(NEXT) | instid1(VALU_DEP_1)
	v_fmac_f32_e32 v11, v207, v210
	v_dual_add_f32 v7, v7, v11 :: v_dual_mul_f32 v11, v212, v217
	s_delay_alu instid0(VALU_DEP_1) | instskip(NEXT) | instid1(VALU_DEP_1)
	v_fmac_f32_e32 v11, v213, v216
	v_dual_add_f32 v241, v7, v11 :: v_dual_mul_f32 v7, v93, v109
	v_dual_mul_f32 v11, v95, v111 :: v_dual_mov_b32 v109, v222
	s_delay_alu instid0(VALU_DEP_2) | instskip(NEXT) | instid1(VALU_DEP_2)
	v_fma_f32 v7, v92, v108, -v7
	v_dual_fma_f32 v11, v94, v110, -v11 :: v_dual_mov_b32 v108, v223
	s_delay_alu instid0(VALU_DEP_2) | instskip(NEXT) | instid1(VALU_DEP_1)
	v_dual_mov_b32 v110, v227 :: v_dual_add_f32 v7, 0, v7
	v_pk_mul_f32 v[108:109], v[108:109], v[110:111] op_sel_hi:[1,0]
	s_delay_alu instid0(VALU_DEP_2) | instskip(NEXT) | instid1(VALU_DEP_2)
	v_dual_add_f32 v7, v7, v11 :: v_dual_mul_f32 v11, v97, v113
	v_pk_fma_f32 v[110:111], v[222:223], v[226:227], v[108:109] neg_lo:[0,0,1] neg_hi:[0,0,1]
	v_pk_fma_f32 v[108:109], v[222:223], v[226:227], v[108:109] op_sel_hi:[1,0,1]
	s_delay_alu instid0(VALU_DEP_1) | instskip(NEXT) | instid1(VALU_DEP_1)
	v_dual_fma_f32 v11, v96, v112, -v11 :: v_dual_mov_b32 v111, v109
	v_add_f32_e32 v7, v7, v11
	v_mul_f32_e32 v11, v99, v115
	s_delay_alu instid0(VALU_DEP_1) | instskip(NEXT) | instid1(VALU_DEP_1)
	v_fma_f32 v11, v98, v114, -v11
	v_dual_add_f32 v7, v7, v11 :: v_dual_mul_f32 v11, v101, v117
	s_delay_alu instid0(VALU_DEP_1) | instskip(NEXT) | instid1(VALU_DEP_1)
	v_fma_f32 v11, v100, v116, -v11
	v_add_f32_e32 v7, v7, v11
	v_mul_f32_e32 v11, v103, v119
	s_delay_alu instid0(VALU_DEP_1) | instskip(NEXT) | instid1(VALU_DEP_1)
	v_fma_f32 v11, v102, v118, -v11
	v_dual_add_f32 v7, v7, v11 :: v_dual_mul_f32 v11, v105, v121
	s_delay_alu instid0(VALU_DEP_1)
	v_fma_f32 v11, v104, v120, -v11
	ds_load_b128 v[92:95], v5 offset:672
	ds_load_b128 v[96:99], v5 offset:688
	;; [unrolled: 1-line block ×3, first 2 shown]
	ds_load_b64 v[104:105], v5 offset:720
	v_add_f32_e32 v7, v7, v11
	v_mul_f32_e32 v11, v107, v123
	s_delay_alu instid0(VALU_DEP_1) | instskip(NEXT) | instid1(VALU_DEP_1)
	v_fma_f32 v11, v106, v122, -v11
	v_dual_add_f32 v7, v7, v11 :: v_dual_mul_f32 v11, v125, v129
	s_wait_loadcnt_dscnt 0x303
	v_pk_mul_f32 v[108:109], v[92:93], v[228:229] op_sel:[1,1] op_sel_hi:[0,1]
	s_delay_alu instid0(VALU_DEP_2) | instskip(NEXT) | instid1(VALU_DEP_1)
	v_fma_f32 v11, v124, v128, -v11
	v_add_f32_e32 v7, v7, v11
	v_mul_f32_e32 v11, v127, v131
	s_delay_alu instid0(VALU_DEP_1) | instskip(NEXT) | instid1(VALU_DEP_1)
	v_fma_f32 v11, v126, v130, -v11
	v_dual_add_f32 v7, v7, v11 :: v_dual_mul_f32 v11, v133, v137
	s_delay_alu instid0(VALU_DEP_1) | instskip(NEXT) | instid1(VALU_DEP_1)
	v_fma_f32 v11, v132, v136, -v11
	v_add_f32_e32 v7, v7, v11
	v_mul_f32_e32 v11, v135, v139
	s_delay_alu instid0(VALU_DEP_1) | instskip(NEXT) | instid1(VALU_DEP_1)
	v_fma_f32 v11, v134, v138, -v11
	v_dual_add_f32 v7, v7, v11 :: v_dual_mul_f32 v11, v141, v145
	s_delay_alu instid0(VALU_DEP_1) | instskip(NEXT) | instid1(VALU_DEP_1)
	;; [unrolled: 7-line block ×11, first 2 shown]
	v_fma_f32 v11, v212, v216, -v11
	v_add_f32_e32 v240, v7, v11
	v_mul_f32_e32 v7, v215, v219
	s_delay_alu instid0(VALU_DEP_1) | instskip(NEXT) | instid1(VALU_DEP_1)
	v_dual_fma_f32 v242, v214, v218, -v7 :: v_dual_mul_f32 v7, v221, v225
	v_pk_add_f32 v[106:107], v[240:241], v[242:243]
	s_delay_alu instid0(VALU_DEP_2) | instskip(NEXT) | instid1(VALU_DEP_1)
	v_fma_f32 v244, v220, v224, -v7
	v_pk_add_f32 v[106:107], v[106:107], v[244:245]
	s_delay_alu instid0(VALU_DEP_1) | instskip(SKIP_2) | instid1(VALU_DEP_1)
	v_pk_add_f32 v[106:107], v[106:107], v[110:111]
	v_pk_fma_f32 v[110:111], v[92:93], v[228:229], v[108:109] neg_lo:[0,0,1] neg_hi:[0,0,1]
	v_pk_fma_f32 v[92:93], v[92:93], v[228:229], v[108:109] op_sel_hi:[1,0,1]
	v_dual_mov_b32 v108, v231 :: v_dual_mov_b32 v111, v93
	s_delay_alu instid0(VALU_DEP_1) | instskip(SKIP_1) | instid1(VALU_DEP_1)
	v_pk_add_f32 v[92:93], v[106:107], v[110:111]
	v_dual_mov_b32 v106, v95 :: v_dual_mov_b32 v107, v94
	v_pk_mul_f32 v[106:107], v[106:107], v[108:109] op_sel_hi:[1,0]
	s_delay_alu instid0(VALU_DEP_1) | instskip(SKIP_1) | instid1(VALU_DEP_1)
	v_pk_fma_f32 v[108:109], v[94:95], v[230:231], v[106:107] neg_lo:[0,0,1] neg_hi:[0,0,1]
	v_pk_fma_f32 v[94:95], v[94:95], v[230:231], v[106:107] op_sel_hi:[1,0,1]
	v_mov_b32_e32 v109, v95
	s_wait_loadcnt_dscnt 0x202
	v_pk_mul_f32 v[94:95], v[96:97], v[232:233] op_sel:[1,1] op_sel_hi:[0,1]
	s_delay_alu instid0(VALU_DEP_2) | instskip(NEXT) | instid1(VALU_DEP_2)
	v_pk_add_f32 v[92:93], v[92:93], v[108:109]
	v_pk_fma_f32 v[106:107], v[96:97], v[232:233], v[94:95] neg_lo:[0,0,1] neg_hi:[0,0,1]
	v_pk_fma_f32 v[94:95], v[96:97], v[232:233], v[94:95] op_sel_hi:[1,0,1]
	v_dual_mov_b32 v94, v99 :: v_dual_mov_b32 v96, v235
	s_delay_alu instid0(VALU_DEP_2) | instskip(NEXT) | instid1(VALU_DEP_1)
	v_dual_mov_b32 v107, v95 :: v_dual_mov_b32 v95, v98
	v_pk_add_f32 v[92:93], v[92:93], v[106:107]
	s_delay_alu instid0(VALU_DEP_2) | instskip(NEXT) | instid1(VALU_DEP_1)
	v_pk_mul_f32 v[94:95], v[94:95], v[96:97] op_sel_hi:[1,0]
	v_pk_fma_f32 v[96:97], v[98:99], v[234:235], v[94:95] neg_lo:[0,0,1] neg_hi:[0,0,1]
	v_pk_fma_f32 v[94:95], v[98:99], v[234:235], v[94:95] op_sel_hi:[1,0,1]
	s_delay_alu instid0(VALU_DEP_1) | instskip(SKIP_2) | instid1(VALU_DEP_2)
	v_mov_b32_e32 v97, v95
	s_wait_loadcnt_dscnt 0x101
	v_pk_mul_f32 v[94:95], v[100:101], v[236:237] op_sel:[1,1] op_sel_hi:[0,1]
	v_pk_add_f32 v[92:93], v[92:93], v[96:97]
	s_delay_alu instid0(VALU_DEP_2) | instskip(SKIP_1) | instid1(VALU_DEP_1)
	v_pk_fma_f32 v[96:97], v[100:101], v[236:237], v[94:95] neg_lo:[0,0,1] neg_hi:[0,0,1]
	v_pk_fma_f32 v[94:95], v[100:101], v[236:237], v[94:95] op_sel_hi:[1,0,1]
	v_dual_mov_b32 v94, v103 :: v_dual_mov_b32 v97, v95
	v_mov_b32_e32 v95, v102
	s_delay_alu instid0(VALU_DEP_2) | instskip(SKIP_1) | instid1(VALU_DEP_1)
	v_pk_add_f32 v[92:93], v[92:93], v[96:97]
	v_mov_b32_e32 v96, v239
	v_pk_mul_f32 v[94:95], v[94:95], v[96:97] op_sel_hi:[1,0]
	s_delay_alu instid0(VALU_DEP_1) | instskip(SKIP_1) | instid1(VALU_DEP_1)
	v_pk_fma_f32 v[96:97], v[102:103], v[238:239], v[94:95] neg_lo:[0,0,1] neg_hi:[0,0,1]
	v_pk_fma_f32 v[94:95], v[102:103], v[238:239], v[94:95] op_sel_hi:[1,0,1]
	v_mov_b32_e32 v97, v95
	s_wait_loadcnt_dscnt 0x0
	v_pk_mul_f32 v[94:95], v[104:105], v[246:247] op_sel:[1,1] op_sel_hi:[0,1]
	s_delay_alu instid0(VALU_DEP_2) | instskip(NEXT) | instid1(VALU_DEP_2)
	v_pk_add_f32 v[92:93], v[92:93], v[96:97]
	v_pk_fma_f32 v[96:97], v[104:105], v[246:247], v[94:95] neg_lo:[0,0,1] neg_hi:[0,0,1]
	v_pk_fma_f32 v[94:95], v[104:105], v[246:247], v[94:95] op_sel_hi:[1,0,1]
	s_delay_alu instid0(VALU_DEP_1) | instskip(SKIP_3) | instid1(VALU_DEP_1)
	v_mov_b32_e32 v97, v95
	scratch_load_b64 v[94:95], off, off offset:24
	v_pk_add_f32 v[92:93], v[92:93], v[96:97]
	s_wait_loadcnt 0x0
	v_pk_add_f32 v[92:93], v[94:95], v[92:93] neg_lo:[0,1] neg_hi:[0,1]
	scratch_store_b64 off, v[92:93], off offset:24
	s_wait_xcnt 0x0
	v_cmpx_lt_u32_e32 2, v0
	s_cbranch_execz .LBB44_279
; %bb.278:
	scratch_load_b64 v[92:93], off, off offset:16
	v_mov_b64_e32 v[94:95], 0
	scratch_store_b64 off, v[94:95], off offset:16
	s_wait_loadcnt 0x0
	ds_store_b64 v1, v[92:93]
.LBB44_279:
	s_wait_xcnt 0x0
	s_or_b32 exec_lo, exec_lo, s0
	s_wait_storecnt_dscnt 0x0
	s_barrier_signal -1
	s_barrier_wait -1
	s_clause 0x10
	scratch_load_b128 v[96:99], off, off offset:24
	scratch_load_b128 v[104:107], off, off offset:40
	;; [unrolled: 1-line block ×17, first 2 shown]
	ds_load_2addr_b64 v[92:95], v5 offset0:49 offset1:50
	ds_load_2addr_b64 v[100:103], v5 offset0:51 offset1:52
	;; [unrolled: 1-line block ×17, first 2 shown]
	s_clause 0x3
	scratch_load_b128 v[228:231], off, off offset:296
	scratch_load_b128 v[232:235], off, off offset:312
	;; [unrolled: 1-line block ×4, first 2 shown]
	s_mov_b32 s0, exec_lo
	s_wait_loadcnt_dscnt 0x1410
	v_dual_mul_f32 v7, v92, v97 :: v_dual_mul_f32 v11, v94, v99
	s_wait_loadcnt_dscnt 0x120e
	v_dual_mul_f32 v247, v220, v225 :: v_dual_mul_f32 v249, v222, v227
	s_delay_alu instid0(VALU_DEP_2) | instskip(NEXT) | instid1(VALU_DEP_3)
	v_fmac_f32_e32 v7, v93, v96
	v_fmac_f32_e32 v11, v95, v98
	s_delay_alu instid0(VALU_DEP_3) | instskip(NEXT) | instid1(VALU_DEP_3)
	v_dual_fmac_f32 v247, v221, v224 :: v_dual_fmac_f32 v249, v223, v226
	v_add_f32_e32 v7, 0, v7
	s_delay_alu instid0(VALU_DEP_1) | instskip(NEXT) | instid1(VALU_DEP_1)
	v_dual_add_f32 v7, v7, v11 :: v_dual_mul_f32 v11, v100, v105
	v_fmac_f32_e32 v11, v101, v104
	s_delay_alu instid0(VALU_DEP_1) | instskip(SKIP_1) | instid1(VALU_DEP_1)
	v_add_f32_e32 v7, v7, v11
	v_mul_f32_e32 v11, v102, v107
	v_fmac_f32_e32 v11, v103, v106
	s_wait_loadcnt_dscnt 0x110d
	s_delay_alu instid0(VALU_DEP_1) | instskip(NEXT) | instid1(VALU_DEP_1)
	v_dual_add_f32 v7, v7, v11 :: v_dual_mul_f32 v11, v108, v113
	v_fmac_f32_e32 v11, v109, v112
	s_delay_alu instid0(VALU_DEP_1) | instskip(SKIP_1) | instid1(VALU_DEP_1)
	v_add_f32_e32 v7, v7, v11
	v_mul_f32_e32 v11, v110, v115
	v_fmac_f32_e32 v11, v111, v114
	s_wait_loadcnt_dscnt 0x100c
	;; [unrolled: 8-line block ×14, first 2 shown]
	s_delay_alu instid0(VALU_DEP_1) | instskip(NEXT) | instid1(VALU_DEP_1)
	v_dual_add_f32 v7, v7, v11 :: v_dual_mul_f32 v11, v212, v217
	v_fmac_f32_e32 v11, v213, v216
	s_delay_alu instid0(VALU_DEP_1) | instskip(SKIP_1) | instid1(VALU_DEP_1)
	v_add_f32_e32 v7, v7, v11
	v_mul_f32_e32 v11, v214, v219
	v_fmac_f32_e32 v11, v215, v218
	s_delay_alu instid0(VALU_DEP_1) | instskip(NEXT) | instid1(VALU_DEP_1)
	v_dual_add_f32 v245, v7, v11 :: v_dual_mul_f32 v7, v93, v97
	v_dual_mul_f32 v11, v95, v99 :: v_dual_fma_f32 v7, v92, v96, -v7
	s_delay_alu instid0(VALU_DEP_1) | instskip(NEXT) | instid1(VALU_DEP_1)
	v_dual_fma_f32 v11, v94, v98, -v11 :: v_dual_add_f32 v7, 0, v7
	v_dual_add_f32 v7, v7, v11 :: v_dual_mul_f32 v11, v101, v105
	s_delay_alu instid0(VALU_DEP_1) | instskip(NEXT) | instid1(VALU_DEP_1)
	v_fma_f32 v11, v100, v104, -v11
	v_add_f32_e32 v7, v7, v11
	v_mul_f32_e32 v11, v103, v107
	s_delay_alu instid0(VALU_DEP_1)
	v_fma_f32 v11, v102, v106, -v11
	ds_load_2addr_b64 v[92:95], v5 offset0:83 offset1:84
	ds_load_2addr_b64 v[96:99], v5 offset0:85 offset1:86
	;; [unrolled: 1-line block ×4, first 2 shown]
	v_dual_add_f32 v7, v7, v11 :: v_dual_mul_f32 v11, v109, v113
	s_delay_alu instid0(VALU_DEP_1) | instskip(NEXT) | instid1(VALU_DEP_1)
	v_fma_f32 v11, v108, v112, -v11
	v_add_f32_e32 v7, v7, v11
	v_mul_f32_e32 v11, v111, v115
	s_delay_alu instid0(VALU_DEP_1) | instskip(SKIP_2) | instid1(VALU_DEP_2)
	v_fma_f32 v11, v110, v114, -v11
	s_wait_loadcnt_dscnt 0x303
	v_pk_mul_f32 v[110:111], v[92:93], v[228:229] op_sel:[1,1] op_sel_hi:[0,1]
	v_dual_add_f32 v7, v7, v11 :: v_dual_mul_f32 v11, v117, v121
	s_delay_alu instid0(VALU_DEP_2) | instskip(SKIP_1) | instid1(VALU_DEP_3)
	v_pk_fma_f32 v[112:113], v[92:93], v[228:229], v[110:111] neg_lo:[0,0,1] neg_hi:[0,0,1]
	v_pk_fma_f32 v[92:93], v[92:93], v[228:229], v[110:111] op_sel_hi:[1,0,1]
	v_dual_mov_b32 v110, v231 :: v_dual_fma_f32 v11, v116, v120, -v11
	s_delay_alu instid0(VALU_DEP_1) | instskip(SKIP_1) | instid1(VALU_DEP_1)
	v_dual_mov_b32 v113, v93 :: v_dual_add_f32 v7, v7, v11
	v_mul_f32_e32 v11, v119, v123
	v_fma_f32 v11, v118, v122, -v11
	s_delay_alu instid0(VALU_DEP_1) | instskip(NEXT) | instid1(VALU_DEP_1)
	v_dual_add_f32 v7, v7, v11 :: v_dual_mul_f32 v11, v125, v129
	v_fma_f32 v11, v124, v128, -v11
	s_delay_alu instid0(VALU_DEP_1) | instskip(SKIP_1) | instid1(VALU_DEP_1)
	v_add_f32_e32 v7, v7, v11
	v_mul_f32_e32 v11, v127, v131
	v_fma_f32 v11, v126, v130, -v11
	s_delay_alu instid0(VALU_DEP_1) | instskip(NEXT) | instid1(VALU_DEP_1)
	v_dual_add_f32 v7, v7, v11 :: v_dual_mul_f32 v11, v133, v137
	v_fma_f32 v11, v132, v136, -v11
	s_delay_alu instid0(VALU_DEP_1) | instskip(SKIP_1) | instid1(VALU_DEP_1)
	v_add_f32_e32 v7, v7, v11
	;; [unrolled: 7-line block ×12, first 2 shown]
	v_mul_f32_e32 v11, v215, v219
	v_fma_f32 v11, v214, v218, -v11
	s_delay_alu instid0(VALU_DEP_1) | instskip(NEXT) | instid1(VALU_DEP_1)
	v_dual_add_f32 v244, v7, v11 :: v_dual_mul_f32 v7, v221, v225
	v_dual_fma_f32 v246, v220, v224, -v7 :: v_dual_mul_f32 v7, v223, v227
	s_delay_alu instid0(VALU_DEP_1) | instskip(NEXT) | instid1(VALU_DEP_2)
	v_pk_add_f32 v[108:109], v[244:245], v[246:247]
	v_fma_f32 v248, v222, v226, -v7
	s_delay_alu instid0(VALU_DEP_1) | instskip(NEXT) | instid1(VALU_DEP_1)
	v_pk_add_f32 v[108:109], v[108:109], v[248:249]
	v_pk_add_f32 v[92:93], v[108:109], v[112:113]
	v_dual_mov_b32 v108, v95 :: v_dual_mov_b32 v109, v94
	s_delay_alu instid0(VALU_DEP_1) | instskip(NEXT) | instid1(VALU_DEP_1)
	v_pk_mul_f32 v[108:109], v[108:109], v[110:111] op_sel_hi:[1,0]
	v_pk_fma_f32 v[110:111], v[94:95], v[230:231], v[108:109] neg_lo:[0,0,1] neg_hi:[0,0,1]
	v_pk_fma_f32 v[94:95], v[94:95], v[230:231], v[108:109] op_sel_hi:[1,0,1]
	s_delay_alu instid0(VALU_DEP_1) | instskip(SKIP_2) | instid1(VALU_DEP_2)
	v_mov_b32_e32 v111, v95
	s_wait_loadcnt_dscnt 0x202
	v_pk_mul_f32 v[94:95], v[96:97], v[232:233] op_sel:[1,1] op_sel_hi:[0,1]
	v_pk_add_f32 v[92:93], v[92:93], v[110:111]
	s_delay_alu instid0(VALU_DEP_2) | instskip(SKIP_2) | instid1(VALU_DEP_2)
	v_pk_fma_f32 v[108:109], v[96:97], v[232:233], v[94:95] neg_lo:[0,0,1] neg_hi:[0,0,1]
	v_pk_fma_f32 v[94:95], v[96:97], v[232:233], v[94:95] op_sel_hi:[1,0,1]
	v_dual_mov_b32 v94, v99 :: v_dual_mov_b32 v96, v235
	v_dual_mov_b32 v109, v95 :: v_dual_mov_b32 v95, v98
	s_delay_alu instid0(VALU_DEP_1) | instskip(NEXT) | instid1(VALU_DEP_2)
	v_pk_add_f32 v[92:93], v[92:93], v[108:109]
	v_pk_mul_f32 v[94:95], v[94:95], v[96:97] op_sel_hi:[1,0]
	s_delay_alu instid0(VALU_DEP_1) | instskip(SKIP_1) | instid1(VALU_DEP_1)
	v_pk_fma_f32 v[96:97], v[98:99], v[234:235], v[94:95] neg_lo:[0,0,1] neg_hi:[0,0,1]
	v_pk_fma_f32 v[94:95], v[98:99], v[234:235], v[94:95] op_sel_hi:[1,0,1]
	v_mov_b32_e32 v97, v95
	s_wait_loadcnt_dscnt 0x101
	v_pk_mul_f32 v[94:95], v[100:101], v[236:237] op_sel:[1,1] op_sel_hi:[0,1]
	s_delay_alu instid0(VALU_DEP_2) | instskip(NEXT) | instid1(VALU_DEP_2)
	v_pk_add_f32 v[92:93], v[92:93], v[96:97]
	v_pk_fma_f32 v[96:97], v[100:101], v[236:237], v[94:95] neg_lo:[0,0,1] neg_hi:[0,0,1]
	v_pk_fma_f32 v[94:95], v[100:101], v[236:237], v[94:95] op_sel_hi:[1,0,1]
	s_delay_alu instid0(VALU_DEP_1) | instskip(SKIP_1) | instid1(VALU_DEP_2)
	v_dual_mov_b32 v94, v103 :: v_dual_mov_b32 v97, v95
	v_mov_b32_e32 v95, v102
	v_pk_add_f32 v[92:93], v[92:93], v[96:97]
	v_mov_b32_e32 v96, v239
	s_delay_alu instid0(VALU_DEP_1) | instskip(NEXT) | instid1(VALU_DEP_1)
	v_pk_mul_f32 v[94:95], v[94:95], v[96:97] op_sel_hi:[1,0]
	v_pk_fma_f32 v[96:97], v[102:103], v[238:239], v[94:95] neg_lo:[0,0,1] neg_hi:[0,0,1]
	v_pk_fma_f32 v[94:95], v[102:103], v[238:239], v[94:95] op_sel_hi:[1,0,1]
	s_delay_alu instid0(VALU_DEP_1) | instskip(SKIP_2) | instid1(VALU_DEP_2)
	v_mov_b32_e32 v97, v95
	s_wait_loadcnt_dscnt 0x0
	v_pk_mul_f32 v[94:95], v[104:105], v[240:241] op_sel:[1,1] op_sel_hi:[0,1]
	v_pk_add_f32 v[92:93], v[92:93], v[96:97]
	s_delay_alu instid0(VALU_DEP_2) | instskip(SKIP_1) | instid1(VALU_DEP_1)
	v_pk_fma_f32 v[96:97], v[104:105], v[240:241], v[94:95] neg_lo:[0,0,1] neg_hi:[0,0,1]
	v_pk_fma_f32 v[94:95], v[104:105], v[240:241], v[94:95] op_sel_hi:[1,0,1]
	v_dual_mov_b32 v94, v107 :: v_dual_mov_b32 v97, v95
	v_mov_b32_e32 v95, v106
	s_delay_alu instid0(VALU_DEP_2) | instskip(SKIP_1) | instid1(VALU_DEP_1)
	v_pk_add_f32 v[92:93], v[92:93], v[96:97]
	v_mov_b32_e32 v96, v243
	v_pk_mul_f32 v[94:95], v[94:95], v[96:97] op_sel_hi:[1,0]
	s_delay_alu instid0(VALU_DEP_1) | instskip(SKIP_1) | instid1(VALU_DEP_1)
	v_pk_fma_f32 v[96:97], v[106:107], v[242:243], v[94:95] neg_lo:[0,0,1] neg_hi:[0,0,1]
	v_pk_fma_f32 v[94:95], v[106:107], v[242:243], v[94:95] op_sel_hi:[1,0,1]
	v_mov_b32_e32 v97, v95
	scratch_load_b64 v[94:95], off, off offset:16
	v_pk_add_f32 v[92:93], v[92:93], v[96:97]
	s_wait_loadcnt 0x0
	s_delay_alu instid0(VALU_DEP_1)
	v_pk_add_f32 v[92:93], v[94:95], v[92:93] neg_lo:[0,1] neg_hi:[0,1]
	scratch_store_b64 off, v[92:93], off offset:16
	s_wait_xcnt 0x0
	v_cmpx_lt_u32_e32 1, v0
	s_cbranch_execz .LBB44_281
; %bb.280:
	scratch_load_b64 v[92:93], off, off offset:8
	v_mov_b64_e32 v[94:95], 0
	scratch_store_b64 off, v[94:95], off offset:8
	s_wait_loadcnt 0x0
	ds_store_b64 v1, v[92:93]
.LBB44_281:
	s_wait_xcnt 0x0
	s_or_b32 exec_lo, exec_lo, s0
	s_wait_storecnt_dscnt 0x0
	s_barrier_signal -1
	s_barrier_wait -1
	s_clause 0x16
	scratch_load_b128 v[94:97], off, off offset:16
	scratch_load_b128 v[98:101], off, off offset:32
	;; [unrolled: 1-line block ×21, first 2 shown]
	scratch_load_b64 v[250:251], off, off offset:352
	scratch_load_b64 v[252:253], off, off offset:8
	v_dual_mov_b32 v92, 0 :: v_dual_ashrrev_i32 v51, 31, v50
	v_dual_ashrrev_i32 v5, 31, v4 :: v_dual_ashrrev_i32 v7, 31, v6
	v_dual_ashrrev_i32 v11, 31, v10 :: v_dual_ashrrev_i32 v13, 31, v12
	ds_load_b128 v[178:181], v92 offset:384
	ds_load_b128 v[182:185], v92 offset:400
	;; [unrolled: 1-line block ×18, first 2 shown]
	v_dual_ashrrev_i32 v15, 31, v14 :: v_dual_ashrrev_i32 v17, 31, v16
	v_dual_ashrrev_i32 v19, 31, v18 :: v_dual_ashrrev_i32 v21, 31, v20
	;; [unrolled: 1-line block ×13, first 2 shown]
	s_mov_b32 s0, exec_lo
	s_wait_loadcnt_dscnt 0x1611
	v_dual_mul_f32 v69, v178, v95 :: v_dual_mul_f32 v71, v180, v97
	v_dual_mul_f32 v73, v179, v95 :: v_dual_mul_f32 v75, v181, v97
	s_wait_loadcnt_dscnt 0x140f
	v_dual_mul_f32 v81, v186, v103 :: v_dual_mul_f32 v83, v188, v105
	s_delay_alu instid0(VALU_DEP_3) | instskip(NEXT) | instid1(VALU_DEP_3)
	v_dual_fmac_f32 v69, v179, v94 :: v_dual_fmac_f32 v71, v181, v96
	v_dual_fma_f32 v73, v178, v94, -v73 :: v_dual_fma_f32 v75, v180, v96, -v75
	s_wait_loadcnt_dscnt 0x130e
	v_dual_mul_f32 v85, v190, v107 :: v_dual_mul_f32 v89, v185, v101
	v_dual_mul_f32 v87, v183, v99 :: v_dual_mul_f32 v91, v192, v109
	;; [unrolled: 1-line block ×5, first 2 shown]
	s_delay_alu instid0(VALU_DEP_4) | instskip(SKIP_1) | instid1(VALU_DEP_4)
	v_dual_fma_f32 v87, v182, v98, -v87 :: v_dual_fma_f32 v89, v184, v100, -v89
	v_dual_fmac_f32 v85, v191, v106 :: v_dual_fmac_f32 v91, v193, v108
	v_dual_fma_f32 v179, v190, v106, -v103 :: v_dual_fma_f32 v180, v192, v108, -v105
	s_wait_loadcnt_dscnt 0x1202
	v_dual_mov_b32 v108, v241 :: v_dual_mul_f32 v181, v194, v111
	v_dual_mul_f32 v182, v196, v113 :: v_dual_mul_f32 v111, v195, v111
	v_dual_mul_f32 v113, v197, v113 :: v_dual_mov_b32 v109, v240
	v_dual_fmac_f32 v77, v183, v98 :: v_dual_fmac_f32 v79, v185, v100
	v_dual_fmac_f32 v81, v187, v102 :: v_dual_fmac_f32 v83, v189, v104
	v_dual_fma_f32 v93, v186, v102, -v93 :: v_dual_fma_f32 v178, v188, v104, -v94
	ds_load_b128 v[94:97], v92 offset:608
	ds_load_b128 v[98:101], v92 offset:624
	;; [unrolled: 1-line block ×3, first 2 shown]
	ds_load_b64 v[106:107], v92 offset:720
	v_dual_fmac_f32 v181, v195, v110 :: v_dual_fmac_f32 v182, v197, v112
	v_dual_fma_f32 v183, v194, v110, -v111 :: v_dual_fma_f32 v184, v196, v112, -v113
	s_wait_loadcnt_dscnt 0x1104
	v_dual_mov_b32 v112, v249 :: v_dual_mul_f32 v185, v198, v115
	v_dual_mul_f32 v186, v200, v117 :: v_dual_mul_f32 v117, v201, v117
	v_add_f32_e32 v69, 0, v69
	s_delay_alu instid0(VALU_DEP_3) | instskip(SKIP_1) | instid1(VALU_DEP_4)
	v_dual_add_f32 v73, 0, v73 :: v_dual_fmac_f32 v185, v199, v114
	v_dual_mov_b32 v113, v248 :: v_dual_mul_f32 v115, v199, v115
	v_dual_fmac_f32 v186, v201, v116 :: v_dual_fma_f32 v116, v200, v116, -v117
	s_delay_alu instid0(VALU_DEP_4)
	v_add_f32_e32 v69, v69, v71
	s_wait_loadcnt 0x10
	v_dual_add_f32 v71, v73, v75 :: v_dual_mul_f32 v75, v204, v121
	s_wait_dscnt 0x1
	v_dual_fma_f32 v187, v198, v114, -v115 :: v_dual_mov_b32 v115, v104
	s_wait_loadcnt 0xf
	v_dual_add_f32 v69, v69, v77 :: v_dual_mul_f32 v77, v206, v123
	v_dual_add_f32 v71, v71, v87 :: v_dual_mul_f32 v87, v208, v125
	s_wait_loadcnt 0xe
	s_delay_alu instid0(VALU_DEP_2) | instskip(NEXT) | instid1(VALU_DEP_2)
	v_dual_mul_f32 v188, v212, v129 :: v_dual_add_f32 v69, v69, v79
	v_dual_mul_f32 v79, v210, v127 :: v_dual_add_f32 v71, v71, v89
	s_wait_loadcnt 0xd
	v_dual_mul_f32 v89, v214, v131 :: v_dual_mov_b32 v114, v105
	s_delay_alu instid0(VALU_DEP_3) | instskip(NEXT) | instid1(VALU_DEP_3)
	v_dual_mul_f32 v73, v202, v119 :: v_dual_add_f32 v69, v69, v81
	v_add_f32_e32 v71, v71, v93
	s_wait_loadcnt 0x8
	v_dual_mul_f32 v192, v96, v153 :: v_dual_mul_f32 v117, v203, v119
	v_mul_f32_e32 v119, v205, v121
	v_dual_add_f32 v69, v69, v83 :: v_dual_mul_f32 v190, v224, v141
	v_dual_add_f32 v71, v71, v178 :: v_dual_mul_f32 v178, v226, v143
	v_dual_fmac_f32 v73, v203, v118 :: v_dual_fmac_f32 v75, v205, v120
	s_delay_alu instid0(VALU_DEP_2) | instskip(SKIP_3) | instid1(VALU_DEP_3)
	v_dual_add_f32 v69, v69, v85 :: v_dual_add_f32 v71, v71, v179
	v_dual_mul_f32 v179, v232, v149 :: v_dual_mul_f32 v121, v207, v123
	s_wait_loadcnt 0x5
	v_dual_fma_f32 v120, v204, v120, -v119 :: v_dual_mul_f32 v119, v238, v163
	v_add_f32_e32 v69, v69, v91
	v_dual_mul_f32 v91, v94, v151 :: v_dual_add_f32 v71, v71, v180
	v_dual_mul_f32 v180, v98, v155 :: v_dual_mul_f32 v123, v209, v125
	s_delay_alu instid0(VALU_DEP_3) | instskip(NEXT) | instid1(VALU_DEP_3)
	v_dual_mul_f32 v125, v211, v127 :: v_dual_add_f32 v69, v69, v181
	v_add_f32_e32 v71, v71, v183
	v_fmac_f32_e32 v79, v211, v126
	v_dual_mul_f32 v127, v215, v131 :: v_dual_mul_f32 v81, v216, v133
	s_delay_alu instid0(VALU_DEP_4) | instskip(NEXT) | instid1(VALU_DEP_4)
	v_dual_mul_f32 v189, v218, v135 :: v_dual_add_f32 v69, v69, v182
	v_dual_fma_f32 v118, v202, v118, -v117 :: v_dual_add_f32 v71, v71, v184
	v_dual_mul_f32 v117, v236, v161 :: v_dual_fmac_f32 v89, v215, v130
	s_delay_alu instid0(VALU_DEP_3) | instskip(NEXT) | instid1(VALU_DEP_3)
	v_add_f32_e32 v69, v69, v185
	v_dual_fmac_f32 v81, v217, v132 :: v_dual_add_f32 v71, v71, v187
	v_dual_mul_f32 v93, v220, v137 :: v_dual_mul_f32 v83, v222, v139
	s_delay_alu instid0(VALU_DEP_3) | instskip(NEXT) | instid1(VALU_DEP_3)
	v_dual_add_f32 v69, v69, v186 :: v_dual_mul_f32 v85, v228, v145
	v_dual_mul_f32 v191, v230, v147 :: v_dual_add_f32 v71, v71, v116
	v_mul_f32_e32 v116, v213, v129
	v_mul_f32_e32 v129, v217, v133
	s_delay_alu instid0(VALU_DEP_4) | instskip(NEXT) | instid1(VALU_DEP_4)
	v_dual_add_f32 v69, v69, v73 :: v_dual_mul_f32 v73, v219, v135
	v_add_f32_e32 v71, v71, v118
	v_fmac_f32_e32 v77, v207, v122
	s_delay_alu instid0(VALU_DEP_3) | instskip(NEXT) | instid1(VALU_DEP_3)
	v_dual_fma_f32 v118, v206, v122, -v121 :: v_dual_add_f32 v69, v69, v75
	v_dual_mul_f32 v75, v221, v137 :: v_dual_add_f32 v71, v71, v120
	v_fmac_f32_e32 v87, v209, v124
	s_delay_alu instid0(VALU_DEP_3) | instskip(SKIP_1) | instid1(VALU_DEP_4)
	v_dual_fma_f32 v120, v208, v124, -v123 :: v_dual_add_f32 v69, v69, v77
	v_mul_f32_e32 v77, v223, v139
	v_add_f32_e32 v71, v71, v118
	v_dual_fma_f32 v118, v210, v126, -v125 :: v_dual_fma_f32 v116, v212, v128, -v116
	s_delay_alu instid0(VALU_DEP_4) | instskip(NEXT) | instid1(VALU_DEP_3)
	v_add_f32_e32 v69, v69, v87
	v_dual_mul_f32 v87, v225, v141 :: v_dual_add_f32 v71, v71, v120
	v_fmac_f32_e32 v188, v213, v128
	s_delay_alu instid0(VALU_DEP_3) | instskip(SKIP_1) | instid1(VALU_DEP_4)
	v_dual_fma_f32 v75, v220, v136, -v75 :: v_dual_add_f32 v69, v69, v79
	v_mul_f32_e32 v79, v227, v143
	v_add_f32_e32 v71, v71, v118
	v_fma_f32 v118, v214, v130, -v127
	v_dual_fmac_f32 v83, v223, v138 :: v_dual_fma_f32 v77, v222, v138, -v77
	v_fma_f32 v87, v224, v140, -v87
	s_delay_alu instid0(VALU_DEP_4) | instskip(SKIP_2) | instid1(VALU_DEP_3)
	v_dual_add_f32 v71, v71, v116 :: v_dual_mul_f32 v116, v229, v145
	v_dual_add_f32 v69, v69, v188 :: v_dual_fmac_f32 v178, v227, v142
	v_fma_f32 v79, v226, v142, -v79
	v_dual_add_f32 v71, v71, v118 :: v_dual_fma_f32 v120, v216, v132, -v129
	s_delay_alu instid0(VALU_DEP_3) | instskip(SKIP_1) | instid1(VALU_DEP_3)
	v_dual_add_f32 v69, v69, v89 :: v_dual_mul_f32 v89, v231, v147
	v_fmac_f32_e32 v189, v219, v134
	v_dual_fma_f32 v73, v218, v134, -v73 :: v_dual_add_f32 v71, v71, v120
	s_delay_alu instid0(VALU_DEP_3) | instskip(SKIP_2) | instid1(VALU_DEP_3)
	v_add_f32_e32 v69, v69, v81
	v_mul_f32_e32 v81, v233, v149
	v_dual_fmac_f32 v93, v221, v136 :: v_dual_fmac_f32 v191, v231, v146
	v_dual_fma_f32 v89, v230, v146, -v89 :: v_dual_add_f32 v69, v69, v189
	v_add_f32_e32 v71, v71, v73
	s_delay_alu instid0(VALU_DEP_4) | instskip(NEXT) | instid1(VALU_DEP_3)
	v_dual_mul_f32 v73, v95, v151 :: v_dual_fma_f32 v81, v232, v148, -v81
	v_dual_fmac_f32 v91, v95, v150 :: v_dual_add_f32 v69, v69, v93
	s_delay_alu instid0(VALU_DEP_3) | instskip(NEXT) | instid1(VALU_DEP_3)
	v_dual_add_f32 v71, v71, v75 :: v_dual_mul_f32 v75, v97, v153
	v_dual_fmac_f32 v190, v225, v140 :: v_dual_fma_f32 v73, v94, v150, -v73
	s_delay_alu instid0(VALU_DEP_2) | instskip(SKIP_1) | instid1(VALU_DEP_4)
	v_dual_add_f32 v69, v69, v83 :: v_dual_add_f32 v71, v71, v77
	v_dual_mul_f32 v77, v99, v155 :: v_dual_mul_f32 v83, v101, v157
	v_dual_mov_b32 v94, v165 :: v_dual_fma_f32 v75, v96, v152, -v75
	s_delay_alu instid0(VALU_DEP_3) | instskip(SKIP_2) | instid1(VALU_DEP_3)
	v_dual_add_f32 v69, v69, v190 :: v_dual_add_f32 v71, v71, v87
	v_dual_fmac_f32 v85, v229, v144 :: v_dual_fma_f32 v87, v228, v144, -v116
	v_dual_mul_f32 v181, v100, v157 :: v_dual_mul_f32 v193, v234, v159
	v_dual_add_f32 v69, v69, v178 :: v_dual_add_f32 v71, v71, v79
	v_mul_f32_e32 v79, v235, v159
	s_delay_alu instid0(VALU_DEP_3) | instskip(NEXT) | instid1(VALU_DEP_3)
	v_dual_fmac_f32 v180, v99, v154 :: v_dual_fmac_f32 v181, v101, v156
	v_dual_add_f32 v69, v69, v85 :: v_dual_add_f32 v71, v71, v87
	v_mul_f32_e32 v85, v237, v161
	v_dual_fmac_f32 v179, v233, v148 :: v_dual_mul_f32 v87, v239, v163
	s_delay_alu instid0(VALU_DEP_3) | instskip(SKIP_3) | instid1(VALU_DEP_4)
	v_dual_add_f32 v69, v69, v191 :: v_dual_add_f32 v71, v71, v89
	v_fmac_f32_e32 v193, v235, v158
	v_pk_mul_f32 v[94:95], v[108:109], v[94:95] op_sel_hi:[1,0]
	v_dual_mov_b32 v110, v245 :: v_dual_mov_b32 v111, v244
	v_dual_add_f32 v69, v69, v179 :: v_dual_add_f32 v71, v71, v81
	v_fmac_f32_e32 v192, v97, v152
	s_wait_loadcnt 0x4
	v_pk_mul_f32 v[96:97], v[242:243], v[166:167] op_sel:[1,1] op_sel_hi:[0,1]
	s_wait_loadcnt 0x3
	v_dual_mov_b32 v120, v173 :: v_dual_fmac_f32 v119, v239, v162
	v_dual_add_f32 v69, v69, v91 :: v_dual_add_f32 v71, v71, v73
	v_dual_fma_f32 v73, v98, v154, -v77 :: v_dual_mov_b32 v98, v169
	v_pk_fma_f32 v[122:123], v[240:241], v[164:165], v[94:95] op_sel_hi:[1,0,1]
	s_delay_alu instid0(VALU_DEP_3) | instskip(SKIP_3) | instid1(VALU_DEP_4)
	v_dual_add_f32 v69, v69, v192 :: v_dual_add_f32 v71, v71, v75
	v_fma_f32 v75, v100, v156, -v83
	v_fma_f32 v118, v238, v162, -v87
	v_pk_fma_f32 v[94:95], v[240:241], v[164:165], v[94:95] neg_lo:[0,0,1] neg_hi:[0,0,1]
	v_dual_add_f32 v69, v69, v180 :: v_dual_add_f32 v71, v71, v73
	v_fma_f32 v73, v234, v158, -v79
	v_pk_mul_f32 v[98:99], v[110:111], v[98:99] op_sel_hi:[1,0]
	s_delay_alu instid0(VALU_DEP_3) | instskip(NEXT) | instid1(VALU_DEP_4)
	v_dual_mov_b32 v95, v123 :: v_dual_add_f32 v69, v69, v181
	v_dual_add_f32 v71, v71, v75 :: v_dual_fmac_f32 v117, v237, v160
	v_fma_f32 v116, v236, v160, -v85
	v_pk_mul_f32 v[100:101], v[246:247], v[170:171] op_sel:[1,1] op_sel_hi:[0,1]
	s_delay_alu instid0(VALU_DEP_4) | instskip(NEXT) | instid1(VALU_DEP_4)
	v_add_f32_e32 v109, v69, v193
	v_add_f32_e32 v108, v71, v73
	v_pk_mul_f32 v[112:113], v[112:113], v[120:121] op_sel_hi:[1,0]
	s_wait_loadcnt 0x2
	v_pk_mul_f32 v[110:111], v[102:103], v[174:175] op_sel:[1,1] op_sel_hi:[0,1]
	v_dual_ashrrev_i32 v69, 31, v68 :: v_dual_ashrrev_i32 v71, 31, v70
	v_pk_add_f32 v[108:109], v[108:109], v[116:117]
	v_pk_fma_f32 v[116:117], v[242:243], v[166:167], v[96:97] op_sel_hi:[1,0,1]
	v_pk_fma_f32 v[96:97], v[242:243], v[166:167], v[96:97] neg_lo:[0,0,1] neg_hi:[0,0,1]
	v_ashrrev_i32_e32 v73, 31, v72
	v_dual_ashrrev_i32 v77, 31, v76 :: v_dual_ashrrev_i32 v79, 31, v78
	v_pk_add_f32 v[108:109], v[108:109], v[118:119]
	v_mov_b32_e32 v97, v117
	v_pk_fma_f32 v[116:117], v[244:245], v[168:169], v[98:99] op_sel_hi:[1,0,1]
	v_pk_fma_f32 v[98:99], v[244:245], v[168:169], v[98:99] neg_lo:[0,0,1] neg_hi:[0,0,1]
	v_dual_ashrrev_i32 v81, 31, v80 :: v_dual_ashrrev_i32 v83, 31, v82
	v_pk_add_f32 v[94:95], v[108:109], v[94:95]
	v_pk_fma_f32 v[108:109], v[246:247], v[170:171], v[100:101] op_sel_hi:[1,0,1]
	v_mov_b32_e32 v99, v117
	v_pk_fma_f32 v[100:101], v[246:247], v[170:171], v[100:101] neg_lo:[0,0,1] neg_hi:[0,0,1]
	v_dual_ashrrev_i32 v85, 31, v84 :: v_dual_ashrrev_i32 v87, 31, v86
	v_pk_add_f32 v[94:95], v[94:95], v[96:97]
	v_dual_mov_b32 v96, v177 :: v_dual_mov_b32 v101, v109
	v_pk_fma_f32 v[108:109], v[248:249], v[172:173], v[112:113] op_sel_hi:[1,0,1]
	v_pk_fma_f32 v[112:113], v[248:249], v[172:173], v[112:113] neg_lo:[0,0,1] neg_hi:[0,0,1]
	s_delay_alu instid0(VALU_DEP_4)
	v_pk_add_f32 v[94:95], v[94:95], v[98:99]
	v_pk_fma_f32 v[98:99], v[102:103], v[174:175], v[110:111] op_sel_hi:[1,0,1]
	v_pk_mul_f32 v[96:97], v[114:115], v[96:97] op_sel_hi:[1,0]
	v_dual_mov_b32 v113, v109 :: v_dual_ashrrev_i32 v89, 31, v88
	v_ashrrev_i32_e32 v91, 31, v90
	v_pk_add_f32 v[94:95], v[94:95], v[100:101]
	v_pk_fma_f32 v[100:101], v[102:103], v[174:175], v[110:111] neg_lo:[0,0,1] neg_hi:[0,0,1]
	v_mov_b32_e32 v101, v99
	v_pk_fma_f32 v[98:99], v[104:105], v[176:177], v[96:97] op_sel_hi:[1,0,1]
	s_wait_loadcnt_dscnt 0x100
	v_pk_mul_f32 v[102:103], v[106:107], v[250:251] op_sel:[1,1] op_sel_hi:[0,1]
	v_pk_add_f32 v[94:95], v[94:95], v[112:113]
	v_pk_fma_f32 v[96:97], v[104:105], v[176:177], v[96:97] neg_lo:[0,0,1] neg_hi:[0,0,1]
	v_mov_b32_e32 v97, v99
	s_delay_alu instid0(VALU_DEP_4) | instskip(NEXT) | instid1(VALU_DEP_4)
	v_pk_fma_f32 v[98:99], v[106:107], v[250:251], v[102:103] op_sel_hi:[1,0,1]
	v_pk_add_f32 v[94:95], v[94:95], v[100:101]
	v_pk_fma_f32 v[100:101], v[106:107], v[250:251], v[102:103] neg_lo:[0,0,1] neg_hi:[0,0,1]
	s_delay_alu instid0(VALU_DEP_3) | instskip(NEXT) | instid1(VALU_DEP_3)
	v_dual_ashrrev_i32 v75, 31, v74 :: v_dual_mov_b32 v101, v99
	v_pk_add_f32 v[94:95], v[94:95], v[96:97]
	s_delay_alu instid0(VALU_DEP_1) | instskip(SKIP_1) | instid1(VALU_DEP_1)
	v_pk_add_f32 v[94:95], v[94:95], v[100:101]
	s_wait_loadcnt 0x0
	v_pk_add_f32 v[94:95], v[252:253], v[94:95] neg_lo:[0,1] neg_hi:[0,1]
	scratch_store_b64 off, v[94:95], off offset:8
	s_wait_xcnt 0x0
	v_cmpx_ne_u32_e32 0, v0
	s_cbranch_execz .LBB44_283
; %bb.282:
	scratch_load_b64 v[94:95], off, off
	v_mov_b64_e32 v[96:97], 0
	scratch_store_b64 off, v[96:97], off
	s_wait_loadcnt 0x0
	ds_store_b64 v1, v[94:95]
.LBB44_283:
	s_wait_xcnt 0x0
	s_or_b32 exec_lo, exec_lo, s0
	s_wait_storecnt_dscnt 0x0
	s_barrier_signal -1
	s_barrier_wait -1
	s_clause 0x11
	scratch_load_b128 v[98:101], off, off offset:8
	scratch_load_b128 v[106:109], off, off offset:24
	;; [unrolled: 1-line block ×18, first 2 shown]
	ds_load_2addr_b64 v[94:97], v92 offset0:47 offset1:48
	ds_load_2addr_b64 v[102:105], v92 offset0:49 offset1:50
	;; [unrolled: 1-line block ×18, first 2 shown]
	s_clause 0x3
	scratch_load_b128 v[238:241], off, off offset:296
	scratch_load_b128 v[242:245], off, off offset:312
	;; [unrolled: 1-line block ×4, first 2 shown]
	s_and_b32 vcc_lo, exec_lo, s18
	s_wait_loadcnt_dscnt 0x1511
	v_dual_mul_f32 v0, v94, v99 :: v_dual_mul_f32 v1, v96, v101
	s_wait_loadcnt_dscnt 0x120e
	v_dual_mul_f32 v93, v97, v101 :: v_dual_mul_f32 v255, v230, v235
	s_delay_alu instid0(VALU_DEP_2) | instskip(NEXT) | instid1(VALU_DEP_2)
	v_dual_fmac_f32 v0, v95, v98 :: v_dual_fmac_f32 v1, v97, v100
	v_dual_fma_f32 v93, v96, v100, -v93 :: v_dual_fmac_f32 v255, v231, v234
	s_delay_alu instid0(VALU_DEP_2) | instskip(NEXT) | instid1(VALU_DEP_1)
	v_add_f32_e32 v0, 0, v0
	v_dual_add_f32 v0, v0, v1 :: v_dual_mul_f32 v1, v102, v107
	s_delay_alu instid0(VALU_DEP_1) | instskip(NEXT) | instid1(VALU_DEP_1)
	v_fmac_f32_e32 v1, v103, v106
	v_add_f32_e32 v0, v0, v1
	v_mul_f32_e32 v1, v104, v109
	s_delay_alu instid0(VALU_DEP_1) | instskip(SKIP_1) | instid1(VALU_DEP_1)
	v_fmac_f32_e32 v1, v105, v108
	s_wait_loadcnt_dscnt 0x110d
	v_dual_add_f32 v0, v0, v1 :: v_dual_mul_f32 v1, v110, v115
	s_delay_alu instid0(VALU_DEP_1) | instskip(NEXT) | instid1(VALU_DEP_1)
	v_fmac_f32_e32 v1, v111, v114
	v_add_f32_e32 v0, v0, v1
	v_mul_f32_e32 v1, v112, v117
	s_delay_alu instid0(VALU_DEP_1) | instskip(SKIP_1) | instid1(VALU_DEP_1)
	v_fmac_f32_e32 v1, v113, v116
	s_wait_loadcnt_dscnt 0x100c
	;; [unrolled: 8-line block ×14, first 2 shown]
	v_dual_add_f32 v0, v0, v1 :: v_dual_mul_f32 v1, v214, v219
	s_delay_alu instid0(VALU_DEP_1) | instskip(NEXT) | instid1(VALU_DEP_1)
	v_fmac_f32_e32 v1, v215, v218
	v_add_f32_e32 v0, v0, v1
	v_mul_f32_e32 v1, v216, v221
	s_delay_alu instid0(VALU_DEP_1) | instskip(NEXT) | instid1(VALU_DEP_1)
	v_fmac_f32_e32 v1, v217, v220
	v_dual_add_f32 v0, v0, v1 :: v_dual_mul_f32 v1, v222, v227
	s_delay_alu instid0(VALU_DEP_1) | instskip(NEXT) | instid1(VALU_DEP_1)
	v_fmac_f32_e32 v1, v223, v226
	v_add_f32_e32 v0, v0, v1
	v_mul_f32_e32 v1, v224, v229
	s_delay_alu instid0(VALU_DEP_1) | instskip(NEXT) | instid1(VALU_DEP_1)
	v_fmac_f32_e32 v1, v225, v228
	v_dual_add_f32 v1, v0, v1 :: v_dual_mul_f32 v0, v95, v99
	s_delay_alu instid0(VALU_DEP_1) | instskip(NEXT) | instid1(VALU_DEP_1)
	v_fma_f32 v0, v94, v98, -v0
	v_add_f32_e32 v0, 0, v0
	s_delay_alu instid0(VALU_DEP_1) | instskip(NEXT) | instid1(VALU_DEP_1)
	v_dual_add_f32 v0, v0, v93 :: v_dual_mul_f32 v93, v103, v107
	v_fma_f32 v93, v102, v106, -v93
	s_delay_alu instid0(VALU_DEP_1) | instskip(SKIP_1) | instid1(VALU_DEP_1)
	v_add_f32_e32 v0, v0, v93
	v_mul_f32_e32 v93, v105, v109
	v_fma_f32 v93, v104, v108, -v93
	ds_load_2addr_b64 v[94:97], v92 offset0:83 offset1:84
	ds_load_2addr_b64 v[98:101], v92 offset0:85 offset1:86
	;; [unrolled: 1-line block ×4, first 2 shown]
	v_dual_add_f32 v0, v0, v93 :: v_dual_mul_f32 v93, v111, v115
	s_delay_alu instid0(VALU_DEP_1) | instskip(NEXT) | instid1(VALU_DEP_1)
	v_fma_f32 v93, v110, v114, -v93
	v_add_f32_e32 v0, v0, v93
	v_mul_f32_e32 v93, v113, v117
	s_delay_alu instid0(VALU_DEP_1) | instskip(NEXT) | instid1(VALU_DEP_1)
	v_fma_f32 v93, v112, v116, -v93
	v_dual_add_f32 v0, v0, v93 :: v_dual_mul_f32 v93, v119, v123
	s_delay_alu instid0(VALU_DEP_1) | instskip(NEXT) | instid1(VALU_DEP_1)
	v_fma_f32 v93, v118, v122, -v93
	v_add_f32_e32 v0, v0, v93
	v_mul_f32_e32 v93, v121, v125
	s_delay_alu instid0(VALU_DEP_1) | instskip(NEXT) | instid1(VALU_DEP_1)
	v_fma_f32 v93, v120, v124, -v93
	;; [unrolled: 7-line block ×15, first 2 shown]
	v_dual_add_f32 v0, v0, v93 :: v_dual_mul_f32 v93, v231, v235
	s_delay_alu instid0(VALU_DEP_1) | instskip(SKIP_3) | instid1(VALU_DEP_2)
	v_dual_fma_f32 v254, v230, v234, -v93 :: v_dual_mul_f32 v93, v233, v237
	s_set_vgpr_msb 64                       ;  msbs: dst=1 src0=0 src1=0 src2=0
	v_mul_f32_e32 v1 /*v257*/, v232, v237
	s_set_vgpr_msb 0                        ;  msbs: dst=0 src0=0 src1=0 src2=0
	v_pk_add_f32 v[0:1], v[0:1], v[254:255]
	s_set_vgpr_msb 64                       ;  msbs: dst=1 src0=0 src1=0 src2=0
	v_fma_f32 v0 /*v256*/, v232, v236, -v93
	s_wait_loadcnt_dscnt 0x303
	s_set_vgpr_msb 0                        ;  msbs: dst=0 src0=0 src1=0 src2=0
	v_pk_mul_f32 v[92:93], v[94:95], v[238:239] op_sel:[1,1] op_sel_hi:[0,1]
	s_set_vgpr_msb 64                       ;  msbs: dst=1 src0=0 src1=0 src2=0
	v_fmac_f32_e32 v1 /*v257*/, v233, v236
	s_set_vgpr_msb 0                        ;  msbs: dst=0 src0=0 src1=0 src2=0
	s_delay_alu instid0(VALU_DEP_2) | instskip(SKIP_4) | instid1(VALU_DEP_3)
	v_pk_fma_f32 v[110:111], v[94:95], v[238:239], v[92:93] neg_lo:[0,0,1] neg_hi:[0,0,1]
	v_pk_fma_f32 v[92:93], v[94:95], v[238:239], v[92:93] op_sel_hi:[1,0,1]
	v_dual_mov_b32 v92, v97 :: v_dual_mov_b32 v94, v241
	s_set_vgpr_msb 4                        ;  msbs: dst=0 src0=0 src1=1 src2=0
	v_pk_add_f32 v[0:1], v[0:1], v[0:1] /*v[256:257]*/
	v_dual_mov_b32 v111, v93 :: v_dual_mov_b32 v93, v96
	s_set_vgpr_msb 0                        ;  msbs: dst=0 src0=0 src1=0 src2=0
	s_delay_alu instid0(VALU_DEP_1) | instskip(NEXT) | instid1(VALU_DEP_2)
	v_pk_add_f32 v[0:1], v[0:1], v[110:111]
	v_pk_mul_f32 v[92:93], v[92:93], v[94:95] op_sel_hi:[1,0]
	s_delay_alu instid0(VALU_DEP_1) | instskip(SKIP_1) | instid1(VALU_DEP_1)
	v_pk_fma_f32 v[94:95], v[96:97], v[240:241], v[92:93] neg_lo:[0,0,1] neg_hi:[0,0,1]
	v_pk_fma_f32 v[92:93], v[96:97], v[240:241], v[92:93] op_sel_hi:[1,0,1]
	v_mov_b32_e32 v95, v93
	s_wait_loadcnt_dscnt 0x202
	v_pk_mul_f32 v[92:93], v[98:99], v[242:243] op_sel:[1,1] op_sel_hi:[0,1]
	s_delay_alu instid0(VALU_DEP_2) | instskip(NEXT) | instid1(VALU_DEP_2)
	v_pk_add_f32 v[0:1], v[0:1], v[94:95]
	v_pk_fma_f32 v[94:95], v[98:99], v[242:243], v[92:93] neg_lo:[0,0,1] neg_hi:[0,0,1]
	v_pk_fma_f32 v[92:93], v[98:99], v[242:243], v[92:93] op_sel_hi:[1,0,1]
	s_delay_alu instid0(VALU_DEP_1) | instskip(SKIP_1) | instid1(VALU_DEP_2)
	v_dual_mov_b32 v92, v101 :: v_dual_mov_b32 v95, v93
	v_mov_b32_e32 v93, v100
	v_pk_add_f32 v[0:1], v[0:1], v[94:95]
	v_mov_b32_e32 v94, v245
	s_delay_alu instid0(VALU_DEP_1) | instskip(NEXT) | instid1(VALU_DEP_1)
	v_pk_mul_f32 v[92:93], v[92:93], v[94:95] op_sel_hi:[1,0]
	v_pk_fma_f32 v[94:95], v[100:101], v[244:245], v[92:93] neg_lo:[0,0,1] neg_hi:[0,0,1]
	v_pk_fma_f32 v[92:93], v[100:101], v[244:245], v[92:93] op_sel_hi:[1,0,1]
	s_delay_alu instid0(VALU_DEP_1) | instskip(SKIP_2) | instid1(VALU_DEP_2)
	v_mov_b32_e32 v95, v93
	s_wait_loadcnt_dscnt 0x101
	v_pk_mul_f32 v[92:93], v[102:103], v[246:247] op_sel:[1,1] op_sel_hi:[0,1]
	v_pk_add_f32 v[0:1], v[0:1], v[94:95]
	s_delay_alu instid0(VALU_DEP_2) | instskip(SKIP_1) | instid1(VALU_DEP_1)
	v_pk_fma_f32 v[94:95], v[102:103], v[246:247], v[92:93] neg_lo:[0,0,1] neg_hi:[0,0,1]
	v_pk_fma_f32 v[92:93], v[102:103], v[246:247], v[92:93] op_sel_hi:[1,0,1]
	v_dual_mov_b32 v92, v105 :: v_dual_mov_b32 v95, v93
	v_mov_b32_e32 v93, v104
	s_delay_alu instid0(VALU_DEP_2) | instskip(SKIP_1) | instid1(VALU_DEP_1)
	v_pk_add_f32 v[0:1], v[0:1], v[94:95]
	v_mov_b32_e32 v94, v249
	v_pk_mul_f32 v[92:93], v[92:93], v[94:95] op_sel_hi:[1,0]
	s_delay_alu instid0(VALU_DEP_1) | instskip(SKIP_1) | instid1(VALU_DEP_1)
	v_pk_fma_f32 v[94:95], v[104:105], v[248:249], v[92:93] neg_lo:[0,0,1] neg_hi:[0,0,1]
	v_pk_fma_f32 v[92:93], v[104:105], v[248:249], v[92:93] op_sel_hi:[1,0,1]
	v_mov_b32_e32 v95, v93
	s_wait_loadcnt_dscnt 0x0
	v_pk_mul_f32 v[92:93], v[106:107], v[250:251] op_sel:[1,1] op_sel_hi:[0,1]
	s_delay_alu instid0(VALU_DEP_2) | instskip(NEXT) | instid1(VALU_DEP_2)
	v_pk_add_f32 v[0:1], v[0:1], v[94:95]
	v_pk_fma_f32 v[94:95], v[106:107], v[250:251], v[92:93] neg_lo:[0,0,1] neg_hi:[0,0,1]
	v_pk_fma_f32 v[92:93], v[106:107], v[250:251], v[92:93] op_sel_hi:[1,0,1]
	s_delay_alu instid0(VALU_DEP_1) | instskip(SKIP_1) | instid1(VALU_DEP_2)
	v_dual_mov_b32 v92, v109 :: v_dual_mov_b32 v95, v93
	v_mov_b32_e32 v93, v108
	v_pk_add_f32 v[0:1], v[0:1], v[94:95]
	v_mov_b32_e32 v94, v253
	s_delay_alu instid0(VALU_DEP_1) | instskip(NEXT) | instid1(VALU_DEP_1)
	v_pk_mul_f32 v[92:93], v[92:93], v[94:95] op_sel_hi:[1,0]
	v_pk_fma_f32 v[94:95], v[108:109], v[252:253], v[92:93] neg_lo:[0,0,1] neg_hi:[0,0,1]
	v_pk_fma_f32 v[92:93], v[108:109], v[252:253], v[92:93] op_sel_hi:[1,0,1]
	s_delay_alu instid0(VALU_DEP_1) | instskip(SKIP_3) | instid1(VALU_DEP_1)
	v_mov_b32_e32 v95, v93
	scratch_load_b64 v[92:93], off, off
	v_pk_add_f32 v[0:1], v[0:1], v[94:95]
	s_wait_loadcnt 0x0
	v_pk_add_f32 v[0:1], v[92:93], v[0:1] neg_lo:[0,1] neg_hi:[0,1]
	scratch_store_b64 off, v[0:1], off
	s_cbranch_vccz .LBB44_372
; %bb.284:
	s_wait_xcnt 0x0
	v_mov_b32_e32 v0, 0
	global_load_b32 v1, v0, s[2:3] offset:172
	s_wait_loadcnt 0x0
	v_cmp_ne_u32_e32 vcc_lo, 44, v1
	s_cbranch_vccz .LBB44_286
; %bb.285:
	v_lshlrev_b32_e32 v1, 3, v1
	scratch_load_b64 v[92:93], v1, off offset:-8
	scratch_load_b64 v[94:95], off, off offset:344
	s_wait_loadcnt 0x1
	scratch_store_b64 off, v[92:93], off offset:344
	s_wait_loadcnt 0x0
	scratch_store_b64 v1, v[94:95], off offset:-8
.LBB44_286:
	global_load_b32 v0, v0, s[2:3] offset:168
	s_wait_loadcnt 0x0
	v_cmp_eq_u32_e32 vcc_lo, 43, v0
	s_cbranch_vccnz .LBB44_288
; %bb.287:
	s_wait_xcnt 0x0
	v_lshlrev_b32_e32 v0, 3, v0
	s_delay_alu instid0(VALU_DEP_1)
	v_mov_b32_e32 v94, v0
	scratch_load_b64 v[0:1], v94, off offset:-8
	scratch_load_b64 v[92:93], off, off offset:336
	s_wait_loadcnt 0x1
	scratch_store_b64 off, v[0:1], off offset:336
	s_wait_loadcnt 0x0
	scratch_store_b64 v94, v[92:93], off offset:-8
.LBB44_288:
	s_wait_xcnt 0x0
	v_mov_b32_e32 v0, 0
	global_load_b32 v1, v0, s[2:3] offset:164
	s_wait_loadcnt 0x0
	v_cmp_eq_u32_e32 vcc_lo, 42, v1
	s_cbranch_vccnz .LBB44_290
; %bb.289:
	v_lshlrev_b32_e32 v1, 3, v1
	scratch_load_b64 v[92:93], v1, off offset:-8
	scratch_load_b64 v[94:95], off, off offset:328
	s_wait_loadcnt 0x1
	scratch_store_b64 off, v[92:93], off offset:328
	s_wait_loadcnt 0x0
	scratch_store_b64 v1, v[94:95], off offset:-8
.LBB44_290:
	global_load_b32 v0, v0, s[2:3] offset:160
	s_wait_loadcnt 0x0
	v_cmp_eq_u32_e32 vcc_lo, 41, v0
	s_cbranch_vccnz .LBB44_292
; %bb.291:
	s_wait_xcnt 0x0
	v_lshlrev_b32_e32 v0, 3, v0
	s_delay_alu instid0(VALU_DEP_1)
	v_mov_b32_e32 v94, v0
	scratch_load_b64 v[0:1], v94, off offset:-8
	scratch_load_b64 v[92:93], off, off offset:320
	s_wait_loadcnt 0x1
	scratch_store_b64 off, v[0:1], off offset:320
	s_wait_loadcnt 0x0
	scratch_store_b64 v94, v[92:93], off offset:-8
.LBB44_292:
	s_wait_xcnt 0x0
	v_mov_b32_e32 v0, 0
	global_load_b32 v1, v0, s[2:3] offset:156
	s_wait_loadcnt 0x0
	v_cmp_eq_u32_e32 vcc_lo, 40, v1
	s_cbranch_vccnz .LBB44_294
; %bb.293:
	v_lshlrev_b32_e32 v1, 3, v1
	scratch_load_b64 v[92:93], v1, off offset:-8
	scratch_load_b64 v[94:95], off, off offset:312
	s_wait_loadcnt 0x1
	scratch_store_b64 off, v[92:93], off offset:312
	s_wait_loadcnt 0x0
	scratch_store_b64 v1, v[94:95], off offset:-8
.LBB44_294:
	;; [unrolled: 31-line block ×21, first 2 shown]
	global_load_b32 v92, v0, s[2:3]
	scratch_load_b64 v[0:1], off, off
	s_wait_loadcnt 0x1
	v_cmp_eq_u32_e32 vcc_lo, 1, v92
	s_cbranch_vccnz .LBB44_372
; %bb.371:
	v_lshlrev_b32_e32 v92, 3, v92
	s_delay_alu instid0(VALU_DEP_1)
	v_mov_b32_e32 v94, v92
	scratch_load_b64 v[92:93], v94, off offset:-8
	s_wait_loadcnt 0x0
	scratch_store_b64 off, v[92:93], off
	scratch_store_b64 v94, v[0:1], off offset:-8
	scratch_load_b64 v[0:1], off, off
.LBB44_372:
	v_lshl_add_u64 v[92:93], v[4:5], 3, s[4:5]
	v_lshl_add_u64 v[94:95], v[6:7], 3, s[4:5]
	;; [unrolled: 1-line block ×4, first 2 shown]
	s_clause 0x15
	scratch_load_b128 v[88:91], off, off offset:8
	scratch_load_b128 v[96:99], off, off offset:24
	;; [unrolled: 1-line block ×22, first 2 shown]
	v_lshl_add_u64 v[10:11], v[10:11], 3, s[4:5]
	v_lshl_add_u64 v[12:13], v[12:13], 3, s[4:5]
	;; [unrolled: 1-line block ×39, first 2 shown]
	s_wait_loadcnt 0x16
	global_store_b64 v[2:3], v[0:1], off
	s_wait_loadcnt 0x15
	s_clause 0x1
	global_store_b64 v[8:9], v[88:89], off
	global_store_b64 v[92:93], v[90:91], off
	s_wait_loadcnt 0x14
	s_clause 0x1
	global_store_b64 v[94:95], v[96:97], off
	;; [unrolled: 4-line block ×22, first 2 shown]
	global_store_b64 v[6:7], v[178:179], off
	s_sendmsg sendmsg(MSG_DEALLOC_VGPRS)
	s_endpgm
	.section	.rodata,"a",@progbits
	.p2align	6, 0x0
	.amdhsa_kernel _ZN9rocsolver6v33100L18getri_kernel_smallILi45E19rocblas_complex_numIfEPS3_EEvT1_iilPiilS6_bb
		.amdhsa_group_segment_fixed_size 728
		.amdhsa_private_segment_fixed_size 368
		.amdhsa_kernarg_size 60
		.amdhsa_user_sgpr_count 2
		.amdhsa_user_sgpr_dispatch_ptr 0
		.amdhsa_user_sgpr_queue_ptr 0
		.amdhsa_user_sgpr_kernarg_segment_ptr 1
		.amdhsa_user_sgpr_dispatch_id 0
		.amdhsa_user_sgpr_kernarg_preload_length 0
		.amdhsa_user_sgpr_kernarg_preload_offset 0
		.amdhsa_user_sgpr_private_segment_size 0
		.amdhsa_wavefront_size32 1
		.amdhsa_uses_dynamic_stack 0
		.amdhsa_enable_private_segment 1
		.amdhsa_system_sgpr_workgroup_id_x 1
		.amdhsa_system_sgpr_workgroup_id_y 0
		.amdhsa_system_sgpr_workgroup_id_z 0
		.amdhsa_system_sgpr_workgroup_info 0
		.amdhsa_system_vgpr_workitem_id 0
		.amdhsa_next_free_vgpr 266
		.amdhsa_next_free_sgpr 19
		.amdhsa_named_barrier_count 0
		.amdhsa_reserve_vcc 1
		.amdhsa_float_round_mode_32 0
		.amdhsa_float_round_mode_16_64 0
		.amdhsa_float_denorm_mode_32 3
		.amdhsa_float_denorm_mode_16_64 3
		.amdhsa_fp16_overflow 0
		.amdhsa_memory_ordered 1
		.amdhsa_forward_progress 1
		.amdhsa_inst_pref_size 255
		.amdhsa_round_robin_scheduling 0
		.amdhsa_exception_fp_ieee_invalid_op 0
		.amdhsa_exception_fp_denorm_src 0
		.amdhsa_exception_fp_ieee_div_zero 0
		.amdhsa_exception_fp_ieee_overflow 0
		.amdhsa_exception_fp_ieee_underflow 0
		.amdhsa_exception_fp_ieee_inexact 0
		.amdhsa_exception_int_div_zero 0
	.end_amdhsa_kernel
	.section	.text._ZN9rocsolver6v33100L18getri_kernel_smallILi45E19rocblas_complex_numIfEPS3_EEvT1_iilPiilS6_bb,"axG",@progbits,_ZN9rocsolver6v33100L18getri_kernel_smallILi45E19rocblas_complex_numIfEPS3_EEvT1_iilPiilS6_bb,comdat
.Lfunc_end44:
	.size	_ZN9rocsolver6v33100L18getri_kernel_smallILi45E19rocblas_complex_numIfEPS3_EEvT1_iilPiilS6_bb, .Lfunc_end44-_ZN9rocsolver6v33100L18getri_kernel_smallILi45E19rocblas_complex_numIfEPS3_EEvT1_iilPiilS6_bb
                                        ; -- End function
	.set _ZN9rocsolver6v33100L18getri_kernel_smallILi45E19rocblas_complex_numIfEPS3_EEvT1_iilPiilS6_bb.num_vgpr, 266
	.set _ZN9rocsolver6v33100L18getri_kernel_smallILi45E19rocblas_complex_numIfEPS3_EEvT1_iilPiilS6_bb.num_agpr, 0
	.set _ZN9rocsolver6v33100L18getri_kernel_smallILi45E19rocblas_complex_numIfEPS3_EEvT1_iilPiilS6_bb.numbered_sgpr, 19
	.set _ZN9rocsolver6v33100L18getri_kernel_smallILi45E19rocblas_complex_numIfEPS3_EEvT1_iilPiilS6_bb.num_named_barrier, 0
	.set _ZN9rocsolver6v33100L18getri_kernel_smallILi45E19rocblas_complex_numIfEPS3_EEvT1_iilPiilS6_bb.private_seg_size, 368
	.set _ZN9rocsolver6v33100L18getri_kernel_smallILi45E19rocblas_complex_numIfEPS3_EEvT1_iilPiilS6_bb.uses_vcc, 1
	.set _ZN9rocsolver6v33100L18getri_kernel_smallILi45E19rocblas_complex_numIfEPS3_EEvT1_iilPiilS6_bb.uses_flat_scratch, 1
	.set _ZN9rocsolver6v33100L18getri_kernel_smallILi45E19rocblas_complex_numIfEPS3_EEvT1_iilPiilS6_bb.has_dyn_sized_stack, 0
	.set _ZN9rocsolver6v33100L18getri_kernel_smallILi45E19rocblas_complex_numIfEPS3_EEvT1_iilPiilS6_bb.has_recursion, 0
	.set _ZN9rocsolver6v33100L18getri_kernel_smallILi45E19rocblas_complex_numIfEPS3_EEvT1_iilPiilS6_bb.has_indirect_call, 0
	.section	.AMDGPU.csdata,"",@progbits
; Kernel info:
; codeLenInByte = 77460
; TotalNumSgprs: 21
; NumVgprs: 266
; ScratchSize: 368
; MemoryBound: 0
; FloatMode: 240
; IeeeMode: 1
; LDSByteSize: 728 bytes/workgroup (compile time only)
; SGPRBlocks: 0
; VGPRBlocks: 16
; NumSGPRsForWavesPerEU: 21
; NumVGPRsForWavesPerEU: 266
; NamedBarCnt: 0
; Occupancy: 3
; WaveLimiterHint : 1
; COMPUTE_PGM_RSRC2:SCRATCH_EN: 1
; COMPUTE_PGM_RSRC2:USER_SGPR: 2
; COMPUTE_PGM_RSRC2:TRAP_HANDLER: 0
; COMPUTE_PGM_RSRC2:TGID_X_EN: 1
; COMPUTE_PGM_RSRC2:TGID_Y_EN: 0
; COMPUTE_PGM_RSRC2:TGID_Z_EN: 0
; COMPUTE_PGM_RSRC2:TIDIG_COMP_CNT: 0
	.section	.text._ZN9rocsolver6v33100L18getri_kernel_smallILi46E19rocblas_complex_numIfEPS3_EEvT1_iilPiilS6_bb,"axG",@progbits,_ZN9rocsolver6v33100L18getri_kernel_smallILi46E19rocblas_complex_numIfEPS3_EEvT1_iilPiilS6_bb,comdat
	.globl	_ZN9rocsolver6v33100L18getri_kernel_smallILi46E19rocblas_complex_numIfEPS3_EEvT1_iilPiilS6_bb ; -- Begin function _ZN9rocsolver6v33100L18getri_kernel_smallILi46E19rocblas_complex_numIfEPS3_EEvT1_iilPiilS6_bb
	.p2align	8
	.type	_ZN9rocsolver6v33100L18getri_kernel_smallILi46E19rocblas_complex_numIfEPS3_EEvT1_iilPiilS6_bb,@function
_ZN9rocsolver6v33100L18getri_kernel_smallILi46E19rocblas_complex_numIfEPS3_EEvT1_iilPiilS6_bb: ; @_ZN9rocsolver6v33100L18getri_kernel_smallILi46E19rocblas_complex_numIfEPS3_EEvT1_iilPiilS6_bb
; %bb.0:
	s_mov_b32 s2, exec_lo
	v_cmpx_gt_u32_e32 46, v0
	s_cbranch_execz .LBB45_198
; %bb.1:
	s_clause 0x2
	s_load_b32 s2, s[0:1], 0x38
	s_load_b128 s[12:15], s[0:1], 0x10
	s_load_b128 s[4:7], s[0:1], 0x28
	s_getreg_b32 s9, hwreg(HW_REG_IB_STS2, 6, 4)
	s_wait_kmcnt 0x0
	s_bitcmp1_b32 s2, 8
	s_cselect_b32 s18, -1, 0
	s_bfe_u32 s3, ttmp6, 0x4000c
	s_and_b32 s8, ttmp6, 15
	s_add_co_i32 s3, s3, 1
	s_delay_alu instid0(SALU_CYCLE_1) | instskip(NEXT) | instid1(SALU_CYCLE_1)
	s_mul_i32 s3, ttmp9, s3
	s_add_co_i32 s8, s8, s3
	s_cmp_eq_u32 s9, 0
	s_cselect_b32 s16, ttmp9, s8
	s_bfe_u32 s2, s2, 0x10008
	s_ashr_i32 s17, s16, 31
	s_cmp_eq_u32 s2, 0
                                        ; implicit-def: $sgpr2_sgpr3
	s_cbranch_scc1 .LBB45_3
; %bb.2:
	s_load_b32 s2, s[0:1], 0x20
	s_mul_u64 s[4:5], s[4:5], s[16:17]
	s_delay_alu instid0(SALU_CYCLE_1) | instskip(NEXT) | instid1(SALU_CYCLE_1)
	s_lshl_b64 s[4:5], s[4:5], 2
	s_add_nc_u64 s[4:5], s[14:15], s[4:5]
	s_wait_kmcnt 0x0
	s_ashr_i32 s3, s2, 31
	s_delay_alu instid0(SALU_CYCLE_1) | instskip(NEXT) | instid1(SALU_CYCLE_1)
	s_lshl_b64 s[2:3], s[2:3], 2
	s_add_nc_u64 s[2:3], s[4:5], s[2:3]
.LBB45_3:
	s_clause 0x1
	s_load_b128 s[8:11], s[0:1], 0x0
	s_load_b32 s14, s[0:1], 0x38
	s_wait_xcnt 0x0
	s_mul_u64 s[0:1], s[12:13], s[16:17]
	v_lshlrev_b32_e32 v94, 3, v0
	s_lshl_b64 s[0:1], s[0:1], 3
	v_mov_b32_e32 v95, 0
	s_wait_kmcnt 0x0
	v_add3_u32 v6, s11, s11, v0
	s_ashr_i32 s5, s10, 31
	s_mov_b32 s4, s10
	s_add_nc_u64 s[0:1], s[8:9], s[0:1]
	s_lshl_b64 s[4:5], s[4:5], 3
	v_add_nc_u32_e32 v8, s11, v6
	s_add_nc_u64 s[4:5], s[0:1], s[4:5]
	s_ashr_i32 s1, s11, 31
	s_mov_b32 s0, s11
	s_bitcmp0_b32 s14, 0
	v_add_nc_u32_e32 v10, s11, v8
	v_add_nc_u64_e32 v[2:3], s[4:5], v[94:95]
	s_delay_alu instid0(VALU_DEP_2) | instskip(NEXT) | instid1(VALU_DEP_2)
	v_add_nc_u32_e32 v12, s11, v10
	v_lshl_add_u64 v[4:5], s[0:1], 3, v[2:3]
	s_mov_b32 s1, -1
	s_delay_alu instid0(VALU_DEP_2) | instskip(SKIP_4) | instid1(VALU_DEP_1)
	v_add_nc_u32_e32 v14, s11, v12
	s_clause 0x1
	global_load_b64 v[96:97], v0, s[4:5] scale_offset
	global_load_b64 v[98:99], v[4:5], off
	v_add_nc_u32_e32 v16, s11, v14
	v_add_nc_u32_e32 v18, s11, v16
	s_clause 0x3
	global_load_b64 v[100:101], v6, s[4:5] scale_offset
	global_load_b64 v[102:103], v8, s[4:5] scale_offset
	;; [unrolled: 1-line block ×4, first 2 shown]
	v_add_nc_u32_e32 v20, s11, v18
	s_delay_alu instid0(VALU_DEP_1) | instskip(NEXT) | instid1(VALU_DEP_1)
	v_add_nc_u32_e32 v22, s11, v20
	v_add_nc_u32_e32 v24, s11, v22
	s_delay_alu instid0(VALU_DEP_1)
	v_add_nc_u32_e32 v26, s11, v24
	s_clause 0x3
	global_load_b64 v[108:109], v14, s[4:5] scale_offset
	global_load_b64 v[110:111], v16, s[4:5] scale_offset
	;; [unrolled: 1-line block ×4, first 2 shown]
	v_add_nc_u32_e32 v28, s11, v26
	s_delay_alu instid0(VALU_DEP_1)
	v_add_nc_u32_e32 v30, s11, v28
	s_clause 0x3
	global_load_b64 v[116:117], v22, s[4:5] scale_offset
	global_load_b64 v[118:119], v24, s[4:5] scale_offset
	;; [unrolled: 1-line block ×4, first 2 shown]
	v_add_nc_u32_e32 v32, s11, v30
	s_delay_alu instid0(VALU_DEP_1) | instskip(NEXT) | instid1(VALU_DEP_1)
	v_add_nc_u32_e32 v34, s11, v32
	v_add_nc_u32_e32 v36, s11, v34
	s_delay_alu instid0(VALU_DEP_1) | instskip(NEXT) | instid1(VALU_DEP_1)
	v_add_nc_u32_e32 v38, s11, v36
	v_add_nc_u32_e32 v40, s11, v38
	s_delay_alu instid0(VALU_DEP_1)
	v_add_nc_u32_e32 v42, s11, v40
	s_clause 0x3
	global_load_b64 v[124:125], v30, s[4:5] scale_offset
	global_load_b64 v[126:127], v32, s[4:5] scale_offset
	;; [unrolled: 1-line block ×4, first 2 shown]
	v_add_nc_u32_e32 v44, s11, v42
	s_delay_alu instid0(VALU_DEP_1) | instskip(NEXT) | instid1(VALU_DEP_1)
	v_add_nc_u32_e32 v46, s11, v44
	v_add_nc_u32_e32 v48, s11, v46
	s_delay_alu instid0(VALU_DEP_1)
	v_add_nc_u32_e32 v50, s11, v48
	s_clause 0x3
	global_load_b64 v[132:133], v38, s[4:5] scale_offset
	global_load_b64 v[134:135], v40, s[4:5] scale_offset
	;; [unrolled: 1-line block ×4, first 2 shown]
	v_add_nc_u32_e32 v52, s11, v50
	s_delay_alu instid0(VALU_DEP_1)
	v_add_nc_u32_e32 v54, s11, v52
	s_clause 0x3
	global_load_b64 v[140:141], v46, s[4:5] scale_offset
	global_load_b64 v[142:143], v48, s[4:5] scale_offset
	;; [unrolled: 1-line block ×4, first 2 shown]
	v_add_nc_u32_e32 v56, s11, v54
	s_delay_alu instid0(VALU_DEP_1) | instskip(NEXT) | instid1(VALU_DEP_1)
	v_add_nc_u32_e32 v58, s11, v56
	v_add_nc_u32_e32 v60, s11, v58
	s_delay_alu instid0(VALU_DEP_1) | instskip(NEXT) | instid1(VALU_DEP_1)
	v_add_nc_u32_e32 v62, s11, v60
	v_add_nc_u32_e32 v64, s11, v62
	s_delay_alu instid0(VALU_DEP_1)
	v_add_nc_u32_e32 v66, s11, v64
	s_clause 0x3
	global_load_b64 v[148:149], v54, s[4:5] scale_offset
	global_load_b64 v[150:151], v56, s[4:5] scale_offset
	;; [unrolled: 1-line block ×4, first 2 shown]
	v_add_nc_u32_e32 v68, s11, v66
	s_delay_alu instid0(VALU_DEP_1)
	v_add_nc_u32_e32 v70, s11, v68
	s_clause 0x3
	global_load_b64 v[156:157], v62, s[4:5] scale_offset
	global_load_b64 v[158:159], v64, s[4:5] scale_offset
	;; [unrolled: 1-line block ×4, first 2 shown]
	v_add_nc_u32_e32 v72, s11, v70
	s_delay_alu instid0(VALU_DEP_1) | instskip(NEXT) | instid1(VALU_DEP_1)
	v_add_nc_u32_e32 v74, s11, v72
	v_add_nc_u32_e32 v76, s11, v74
	s_delay_alu instid0(VALU_DEP_1) | instskip(NEXT) | instid1(VALU_DEP_1)
	v_add_nc_u32_e32 v78, s11, v76
	v_add_nc_u32_e32 v80, s11, v78
	s_delay_alu instid0(VALU_DEP_1)
	v_add_nc_u32_e32 v82, s11, v80
	s_clause 0x3
	global_load_b64 v[164:165], v70, s[4:5] scale_offset
	global_load_b64 v[166:167], v72, s[4:5] scale_offset
	;; [unrolled: 1-line block ×4, first 2 shown]
	v_add_nc_u32_e32 v84, s11, v82
	s_delay_alu instid0(VALU_DEP_1) | instskip(NEXT) | instid1(VALU_DEP_1)
	v_add_nc_u32_e32 v86, s11, v84
	v_add_nc_u32_e32 v88, s11, v86
	s_delay_alu instid0(VALU_DEP_1)
	v_add_nc_u32_e32 v90, s11, v88
	s_clause 0x3
	global_load_b64 v[172:173], v78, s[4:5] scale_offset
	global_load_b64 v[174:175], v80, s[4:5] scale_offset
	;; [unrolled: 1-line block ×4, first 2 shown]
	v_add_nc_u32_e32 v92, s11, v90
	s_clause 0x3
	global_load_b64 v[180:181], v86, s[4:5] scale_offset
	global_load_b64 v[182:183], v88, s[4:5] scale_offset
	;; [unrolled: 1-line block ×4, first 2 shown]
	s_wait_loadcnt 0x2c
	scratch_store_b128 off, v[96:99], off
	s_wait_loadcnt 0x2a
	scratch_store_b128 off, v[100:103], off offset:16
	s_wait_loadcnt 0x28
	scratch_store_b128 off, v[104:107], off offset:32
	;; [unrolled: 2-line block ×22, first 2 shown]
	s_cbranch_scc1 .LBB45_196
; %bb.4:
	v_cmp_eq_u32_e64 s0, 0, v0
	s_wait_xcnt 0x0
	s_and_saveexec_b32 s1, s0
; %bb.5:
	v_mov_b32_e32 v1, 0
	ds_store_b32 v1, v1 offset:736
; %bb.6:
	s_or_b32 exec_lo, exec_lo, s1
	s_wait_storecnt_dscnt 0x0
	s_barrier_signal -1
	s_barrier_wait -1
	scratch_load_b64 v[96:97], v0, off scale_offset
	s_wait_loadcnt 0x0
	v_cmp_eq_f32_e32 vcc_lo, 0, v96
	v_cmp_eq_f32_e64 s1, 0, v97
	s_and_b32 s1, vcc_lo, s1
	s_delay_alu instid0(SALU_CYCLE_1)
	s_and_saveexec_b32 s8, s1
	s_cbranch_execz .LBB45_10
; %bb.7:
	v_mov_b32_e32 v1, 0
	s_mov_b32 s9, 0
	ds_load_b32 v7, v1 offset:736
	s_wait_dscnt 0x0
	v_readfirstlane_b32 s1, v7
	v_add_nc_u32_e32 v7, 1, v0
	s_cmp_eq_u32 s1, 0
	s_delay_alu instid0(VALU_DEP_1) | instskip(SKIP_1) | instid1(SALU_CYCLE_1)
	v_cmp_gt_i32_e32 vcc_lo, s1, v7
	s_cselect_b32 s10, -1, 0
	s_or_b32 s10, s10, vcc_lo
	s_delay_alu instid0(SALU_CYCLE_1)
	s_and_b32 exec_lo, exec_lo, s10
	s_cbranch_execz .LBB45_10
; %bb.8:
	v_mov_b32_e32 v9, s1
.LBB45_9:                               ; =>This Inner Loop Header: Depth=1
	ds_cmpstore_rtn_b32 v9, v1, v7, v9 offset:736
	s_wait_dscnt 0x0
	v_cmp_ne_u32_e32 vcc_lo, 0, v9
	v_cmp_le_i32_e64 s1, v9, v7
	s_and_b32 s1, vcc_lo, s1
	s_delay_alu instid0(SALU_CYCLE_1) | instskip(NEXT) | instid1(SALU_CYCLE_1)
	s_and_b32 s1, exec_lo, s1
	s_or_b32 s9, s1, s9
	s_delay_alu instid0(SALU_CYCLE_1)
	s_and_not1_b32 exec_lo, exec_lo, s9
	s_cbranch_execnz .LBB45_9
.LBB45_10:
	s_or_b32 exec_lo, exec_lo, s8
	v_mov_b32_e32 v1, 0
	s_barrier_signal -1
	s_barrier_wait -1
	ds_load_b32 v7, v1 offset:736
	s_and_saveexec_b32 s1, s0
	s_cbranch_execz .LBB45_12
; %bb.11:
	s_lshl_b64 s[8:9], s[16:17], 2
	s_delay_alu instid0(SALU_CYCLE_1)
	s_add_nc_u64 s[8:9], s[6:7], s[8:9]
	s_wait_dscnt 0x0
	global_store_b32 v1, v7, s[8:9]
.LBB45_12:
	s_wait_xcnt 0x0
	s_or_b32 exec_lo, exec_lo, s1
	s_wait_dscnt 0x0
	v_cmp_ne_u32_e32 vcc_lo, 0, v7
	s_mov_b32 s1, 0
	s_cbranch_vccnz .LBB45_196
; %bb.13:
	v_lshl_add_u32 v7, v0, 3, 0
                                        ; implicit-def: $vgpr99
                                        ; implicit-def: $vgpr100
	scratch_load_b64 v[96:97], v7, off
	s_wait_loadcnt 0x0
	v_cmp_ngt_f32_e64 s1, |v96|, |v97|
	s_wait_xcnt 0x0
	s_and_saveexec_b32 s8, s1
	s_delay_alu instid0(SALU_CYCLE_1)
	s_xor_b32 s1, exec_lo, s8
	s_cbranch_execz .LBB45_15
; %bb.14:
	v_div_scale_f32 v1, null, v97, v97, v96
	v_div_scale_f32 v13, vcc_lo, v96, v97, v96
	s_delay_alu instid0(VALU_DEP_2) | instskip(SKIP_1) | instid1(TRANS32_DEP_1)
	v_rcp_f32_e32 v9, v1
	v_nop
	v_fma_f32 v11, -v1, v9, 1.0
	s_delay_alu instid0(VALU_DEP_1) | instskip(NEXT) | instid1(VALU_DEP_1)
	v_fmac_f32_e32 v9, v11, v9
	v_mul_f32_e32 v11, v13, v9
	s_delay_alu instid0(VALU_DEP_1) | instskip(NEXT) | instid1(VALU_DEP_1)
	v_fma_f32 v15, -v1, v11, v13
	v_fmac_f32_e32 v11, v15, v9
	s_delay_alu instid0(VALU_DEP_1) | instskip(NEXT) | instid1(VALU_DEP_1)
	v_fma_f32 v1, -v1, v11, v13
	v_div_fmas_f32 v1, v1, v9, v11
	s_delay_alu instid0(VALU_DEP_1) | instskip(NEXT) | instid1(VALU_DEP_1)
	v_div_fixup_f32 v1, v1, v97, v96
	v_fmac_f32_e32 v97, v96, v1
	s_delay_alu instid0(VALU_DEP_1) | instskip(NEXT) | instid1(VALU_DEP_1)
	v_div_scale_f32 v9, null, v97, v97, -1.0
	v_rcp_f32_e32 v11, v9
	v_nop
	s_delay_alu instid0(TRANS32_DEP_1) | instskip(NEXT) | instid1(VALU_DEP_1)
	v_fma_f32 v13, -v9, v11, 1.0
	v_fmac_f32_e32 v11, v13, v11
	v_div_scale_f32 v13, vcc_lo, -1.0, v97, -1.0
	s_delay_alu instid0(VALU_DEP_1) | instskip(NEXT) | instid1(VALU_DEP_1)
	v_mul_f32_e32 v15, v13, v11
	v_fma_f32 v17, -v9, v15, v13
	s_delay_alu instid0(VALU_DEP_1) | instskip(NEXT) | instid1(VALU_DEP_1)
	v_fmac_f32_e32 v15, v17, v11
	v_fma_f32 v9, -v9, v15, v13
	s_delay_alu instid0(VALU_DEP_1) | instskip(NEXT) | instid1(VALU_DEP_1)
	v_div_fmas_f32 v9, v9, v11, v15
	v_div_fixup_f32 v99, v9, v97, -1.0
                                        ; implicit-def: $vgpr96_vgpr97
	s_delay_alu instid0(VALU_DEP_1) | instskip(NEXT) | instid1(VALU_DEP_1)
	v_mul_f32_e32 v100, v1, v99
	v_xor_b32_e32 v98, 0x80000000, v100
.LBB45_15:
	s_and_not1_saveexec_b32 s1, s1
	s_cbranch_execz .LBB45_17
; %bb.16:
	v_div_scale_f32 v1, null, v96, v96, v97
	v_div_scale_f32 v13, vcc_lo, v97, v96, v97
	s_delay_alu instid0(VALU_DEP_2) | instskip(SKIP_1) | instid1(TRANS32_DEP_1)
	v_rcp_f32_e32 v9, v1
	v_nop
	v_fma_f32 v11, -v1, v9, 1.0
	s_delay_alu instid0(VALU_DEP_1) | instskip(NEXT) | instid1(VALU_DEP_1)
	v_fmac_f32_e32 v9, v11, v9
	v_mul_f32_e32 v11, v13, v9
	s_delay_alu instid0(VALU_DEP_1) | instskip(NEXT) | instid1(VALU_DEP_1)
	v_fma_f32 v15, -v1, v11, v13
	v_fmac_f32_e32 v11, v15, v9
	s_delay_alu instid0(VALU_DEP_1) | instskip(NEXT) | instid1(VALU_DEP_1)
	v_fma_f32 v1, -v1, v11, v13
	v_div_fmas_f32 v1, v1, v9, v11
	s_delay_alu instid0(VALU_DEP_1) | instskip(NEXT) | instid1(VALU_DEP_1)
	v_div_fixup_f32 v1, v1, v96, v97
	v_fmac_f32_e32 v96, v97, v1
	s_delay_alu instid0(VALU_DEP_1) | instskip(SKIP_1) | instid1(VALU_DEP_2)
	v_div_scale_f32 v9, null, v96, v96, 1.0
	v_div_scale_f32 v15, vcc_lo, 1.0, v96, 1.0
	v_rcp_f32_e32 v11, v9
	v_nop
	s_delay_alu instid0(TRANS32_DEP_1) | instskip(NEXT) | instid1(VALU_DEP_1)
	v_fma_f32 v13, -v9, v11, 1.0
	v_fmac_f32_e32 v11, v13, v11
	s_delay_alu instid0(VALU_DEP_1) | instskip(NEXT) | instid1(VALU_DEP_1)
	v_mul_f32_e32 v13, v15, v11
	v_fma_f32 v17, -v9, v13, v15
	s_delay_alu instid0(VALU_DEP_1) | instskip(NEXT) | instid1(VALU_DEP_1)
	v_fmac_f32_e32 v13, v17, v11
	v_fma_f32 v9, -v9, v13, v15
	s_delay_alu instid0(VALU_DEP_1) | instskip(NEXT) | instid1(VALU_DEP_1)
	v_div_fmas_f32 v9, v9, v11, v13
	v_div_fixup_f32 v98, v9, v96, 1.0
	s_delay_alu instid0(VALU_DEP_1)
	v_xor_b32_e32 v100, 0x80000000, v98
	v_mul_f32_e64 v99, v1, -v98
.LBB45_17:
	s_or_b32 exec_lo, exec_lo, s1
	scratch_store_b64 v7, v[98:99], off
	scratch_load_b64 v[96:97], off, off offset:8
	v_xor_b32_e32 v101, 0x80000000, v99
	v_add_nc_u32_e32 v1, 0x170, v94
	s_wait_loadcnt 0x0
	ds_store_2addr_b64 v94, v[100:101], v[96:97] offset1:46
	s_wait_storecnt_dscnt 0x0
	s_barrier_signal -1
	s_barrier_wait -1
	s_wait_xcnt 0x0
	s_and_saveexec_b32 s1, s0
	s_cbranch_execz .LBB45_19
; %bb.18:
	scratch_load_b64 v[96:97], v7, off
	ds_load_b64 v[98:99], v1
	s_wait_loadcnt_dscnt 0x0
	v_pk_mul_f32 v[102:103], v[98:99], v[96:97] op_sel:[1,1] op_sel_hi:[0,1]
	s_delay_alu instid0(VALU_DEP_1) | instskip(SKIP_2) | instid1(VALU_DEP_3)
	v_pk_fma_f32 v[104:105], v[98:99], v[96:97], v[102:103] op_sel_hi:[1,0,1]
	v_mov_b32_e32 v9, 0
	v_pk_fma_f32 v[96:97], v[98:99], v[96:97], v[102:103] neg_lo:[0,0,1] neg_hi:[0,0,1]
	v_mov_b32_e32 v97, v105
	ds_load_b64 v[100:101], v9 offset:8
	v_pk_add_f32 v[96:97], v[96:97], 0 op_sel_hi:[1,0]
	s_wait_dscnt 0x0
	s_delay_alu instid0(VALU_DEP_1) | instskip(NEXT) | instid1(VALU_DEP_1)
	v_pk_mul_f32 v[98:99], v[96:97], v[100:101] op_sel:[1,1] op_sel_hi:[0,1]
	v_pk_fma_f32 v[102:103], v[96:97], v[100:101], v[98:99] op_sel_hi:[1,0,1]
	v_pk_fma_f32 v[96:97], v[96:97], v[100:101], v[98:99] neg_lo:[0,0,1] neg_hi:[0,0,1]
	s_delay_alu instid0(VALU_DEP_2)
	v_mov_b32_e32 v97, v103
	scratch_store_b64 off, v[96:97], off offset:8
.LBB45_19:
	s_wait_xcnt 0x0
	s_or_b32 exec_lo, exec_lo, s1
	s_wait_storecnt 0x0
	s_barrier_signal -1
	s_barrier_wait -1
	scratch_load_b64 v[96:97], off, off offset:16
	s_mov_b32 s1, exec_lo
	s_wait_loadcnt 0x0
	ds_store_b64 v1, v[96:97]
	s_wait_dscnt 0x0
	s_barrier_signal -1
	s_barrier_wait -1
	v_cmpx_gt_u32_e32 2, v0
	s_cbranch_execz .LBB45_23
; %bb.20:
	scratch_load_b64 v[96:97], v7, off
	ds_load_b64 v[98:99], v1
	s_wait_loadcnt_dscnt 0x0
	v_pk_mul_f32 v[100:101], v[98:99], v[96:97] op_sel:[1,1] op_sel_hi:[0,1]
	s_delay_alu instid0(VALU_DEP_1) | instskip(SKIP_1) | instid1(VALU_DEP_2)
	v_pk_fma_f32 v[102:103], v[98:99], v[96:97], v[100:101] op_sel_hi:[1,0,1]
	v_pk_fma_f32 v[96:97], v[98:99], v[96:97], v[100:101] neg_lo:[0,0,1] neg_hi:[0,0,1]
	v_mov_b32_e32 v97, v103
	s_delay_alu instid0(VALU_DEP_1)
	v_pk_add_f32 v[96:97], v[96:97], 0 op_sel_hi:[1,0]
	s_and_saveexec_b32 s8, s0
	s_cbranch_execz .LBB45_22
; %bb.21:
	scratch_load_b64 v[98:99], off, off offset:8
	v_mov_b32_e32 v7, 0
	ds_load_b64 v[100:101], v7 offset:376
	s_wait_loadcnt_dscnt 0x0
	v_pk_mul_f32 v[102:103], v[100:101], v[98:99] op_sel:[1,1] op_sel_hi:[0,1]
	s_delay_alu instid0(VALU_DEP_1) | instskip(SKIP_1) | instid1(VALU_DEP_2)
	v_pk_fma_f32 v[104:105], v[100:101], v[98:99], v[102:103] op_sel_hi:[1,0,1]
	v_pk_fma_f32 v[98:99], v[100:101], v[98:99], v[102:103] neg_lo:[0,0,1] neg_hi:[0,0,1]
	v_mov_b32_e32 v99, v105
	s_delay_alu instid0(VALU_DEP_1)
	v_pk_add_f32 v[96:97], v[96:97], v[98:99]
.LBB45_22:
	s_or_b32 exec_lo, exec_lo, s8
	v_mov_b32_e32 v7, 0
	ds_load_b64 v[98:99], v7 offset:16
	s_wait_dscnt 0x0
	v_pk_mul_f32 v[100:101], v[96:97], v[98:99] op_sel:[1,1] op_sel_hi:[0,1]
	s_delay_alu instid0(VALU_DEP_1) | instskip(SKIP_1) | instid1(VALU_DEP_2)
	v_pk_fma_f32 v[102:103], v[96:97], v[98:99], v[100:101] op_sel_hi:[1,0,1]
	v_pk_fma_f32 v[96:97], v[96:97], v[98:99], v[100:101] neg_lo:[0,0,1] neg_hi:[0,0,1]
	v_mov_b32_e32 v97, v103
	scratch_store_b64 off, v[96:97], off offset:16
.LBB45_23:
	s_wait_xcnt 0x0
	s_or_b32 exec_lo, exec_lo, s1
	s_wait_storecnt 0x0
	s_barrier_signal -1
	s_barrier_wait -1
	scratch_load_b64 v[96:97], off, off offset:24
	v_add_nc_u32_e32 v7, -1, v0
	s_mov_b32 s0, exec_lo
	s_wait_loadcnt 0x0
	ds_store_b64 v1, v[96:97]
	s_wait_dscnt 0x0
	s_barrier_signal -1
	s_barrier_wait -1
	v_cmpx_gt_u32_e32 3, v0
	s_cbranch_execz .LBB45_27
; %bb.24:
	v_dual_mov_b32 v96, 0 :: v_dual_add_nc_u32 v9, -1, v0
	v_add_nc_u32_e32 v11, 0x170, v94
	v_mov_b32_e32 v13, v94
	s_mov_b32 s1, 0
	s_delay_alu instid0(VALU_DEP_3)
	v_mov_b32_e32 v97, v96
.LBB45_25:                              ; =>This Inner Loop Header: Depth=1
	scratch_load_b64 v[98:99], v13, off
	ds_load_b64 v[100:101], v11
	s_wait_xcnt 0x0
	v_dual_add_nc_u32 v11, 8, v11 :: v_dual_add_nc_u32 v13, 8, v13
	s_wait_loadcnt_dscnt 0x0
	v_pk_mul_f32 v[102:103], v[100:101], v[98:99] op_sel:[1,1] op_sel_hi:[0,1]
	s_delay_alu instid0(VALU_DEP_1) | instskip(SKIP_2) | instid1(VALU_DEP_3)
	v_pk_fma_f32 v[104:105], v[100:101], v[98:99], v[102:103] op_sel_hi:[1,0,1]
	v_add_nc_u32_e32 v9, 1, v9
	v_pk_fma_f32 v[98:99], v[100:101], v[98:99], v[102:103] neg_lo:[0,0,1] neg_hi:[0,0,1]
	v_mov_b32_e32 v99, v105
	s_delay_alu instid0(VALU_DEP_3) | instskip(NEXT) | instid1(VALU_DEP_2)
	v_cmp_lt_u32_e32 vcc_lo, 1, v9
	v_pk_add_f32 v[96:97], v[96:97], v[98:99]
	s_or_b32 s1, vcc_lo, s1
	s_delay_alu instid0(SALU_CYCLE_1)
	s_and_not1_b32 exec_lo, exec_lo, s1
	s_cbranch_execnz .LBB45_25
; %bb.26:
	s_or_b32 exec_lo, exec_lo, s1
	v_mov_b32_e32 v9, 0
	ds_load_b64 v[98:99], v9 offset:24
	s_wait_dscnt 0x0
	v_pk_mul_f32 v[100:101], v[96:97], v[98:99] op_sel:[1,1] op_sel_hi:[0,1]
	s_delay_alu instid0(VALU_DEP_1) | instskip(SKIP_1) | instid1(VALU_DEP_2)
	v_pk_fma_f32 v[102:103], v[96:97], v[98:99], v[100:101] op_sel_hi:[1,0,1]
	v_pk_fma_f32 v[96:97], v[96:97], v[98:99], v[100:101] neg_lo:[0,0,1] neg_hi:[0,0,1]
	v_mov_b32_e32 v97, v103
	scratch_store_b64 off, v[96:97], off offset:24
.LBB45_27:
	s_wait_xcnt 0x0
	s_or_b32 exec_lo, exec_lo, s0
	s_wait_storecnt 0x0
	s_barrier_signal -1
	s_barrier_wait -1
	scratch_load_b64 v[96:97], off, off offset:32
	s_mov_b32 s0, exec_lo
	s_wait_loadcnt 0x0
	ds_store_b64 v1, v[96:97]
	s_wait_dscnt 0x0
	s_barrier_signal -1
	s_barrier_wait -1
	v_cmpx_gt_u32_e32 4, v0
	s_cbranch_execz .LBB45_31
; %bb.28:
	v_dual_mov_b32 v96, 0 :: v_dual_add_nc_u32 v9, -1, v0
	v_add_nc_u32_e32 v11, 0x170, v94
	v_mov_b32_e32 v13, v94
	s_mov_b32 s1, 0
	s_delay_alu instid0(VALU_DEP_3)
	v_mov_b32_e32 v97, v96
.LBB45_29:                              ; =>This Inner Loop Header: Depth=1
	scratch_load_b64 v[98:99], v13, off
	ds_load_b64 v[100:101], v11
	s_wait_xcnt 0x0
	v_dual_add_nc_u32 v11, 8, v11 :: v_dual_add_nc_u32 v13, 8, v13
	s_wait_loadcnt_dscnt 0x0
	v_pk_mul_f32 v[102:103], v[100:101], v[98:99] op_sel:[1,1] op_sel_hi:[0,1]
	s_delay_alu instid0(VALU_DEP_1) | instskip(SKIP_2) | instid1(VALU_DEP_3)
	v_pk_fma_f32 v[104:105], v[100:101], v[98:99], v[102:103] op_sel_hi:[1,0,1]
	v_add_nc_u32_e32 v9, 1, v9
	v_pk_fma_f32 v[98:99], v[100:101], v[98:99], v[102:103] neg_lo:[0,0,1] neg_hi:[0,0,1]
	v_mov_b32_e32 v99, v105
	s_delay_alu instid0(VALU_DEP_3) | instskip(NEXT) | instid1(VALU_DEP_2)
	v_cmp_lt_u32_e32 vcc_lo, 2, v9
	v_pk_add_f32 v[96:97], v[96:97], v[98:99]
	s_or_b32 s1, vcc_lo, s1
	s_delay_alu instid0(SALU_CYCLE_1)
	s_and_not1_b32 exec_lo, exec_lo, s1
	s_cbranch_execnz .LBB45_29
; %bb.30:
	s_or_b32 exec_lo, exec_lo, s1
	v_mov_b32_e32 v9, 0
	ds_load_b64 v[98:99], v9 offset:32
	s_wait_dscnt 0x0
	v_pk_mul_f32 v[100:101], v[96:97], v[98:99] op_sel:[1,1] op_sel_hi:[0,1]
	s_delay_alu instid0(VALU_DEP_1) | instskip(SKIP_1) | instid1(VALU_DEP_2)
	v_pk_fma_f32 v[102:103], v[96:97], v[98:99], v[100:101] op_sel_hi:[1,0,1]
	v_pk_fma_f32 v[96:97], v[96:97], v[98:99], v[100:101] neg_lo:[0,0,1] neg_hi:[0,0,1]
	v_mov_b32_e32 v97, v103
	scratch_store_b64 off, v[96:97], off offset:32
.LBB45_31:
	s_wait_xcnt 0x0
	s_or_b32 exec_lo, exec_lo, s0
	s_wait_storecnt 0x0
	s_barrier_signal -1
	s_barrier_wait -1
	scratch_load_b64 v[96:97], off, off offset:40
	;; [unrolled: 52-line block ×19, first 2 shown]
	s_mov_b32 s0, exec_lo
	s_wait_loadcnt 0x0
	ds_store_b64 v1, v[96:97]
	s_wait_dscnt 0x0
	s_barrier_signal -1
	s_barrier_wait -1
	v_cmpx_gt_u32_e32 22, v0
	s_cbranch_execz .LBB45_103
; %bb.100:
	v_dual_mov_b32 v96, 0 :: v_dual_add_nc_u32 v9, -1, v0
	v_add_nc_u32_e32 v11, 0x170, v94
	v_mov_b32_e32 v13, v94
	s_mov_b32 s1, 0
	s_delay_alu instid0(VALU_DEP_3)
	v_mov_b32_e32 v97, v96
.LBB45_101:                             ; =>This Inner Loop Header: Depth=1
	scratch_load_b64 v[98:99], v13, off
	ds_load_b64 v[100:101], v11
	s_wait_xcnt 0x0
	v_dual_add_nc_u32 v11, 8, v11 :: v_dual_add_nc_u32 v13, 8, v13
	s_wait_loadcnt_dscnt 0x0
	v_pk_mul_f32 v[102:103], v[100:101], v[98:99] op_sel:[1,1] op_sel_hi:[0,1]
	s_delay_alu instid0(VALU_DEP_1) | instskip(SKIP_2) | instid1(VALU_DEP_3)
	v_pk_fma_f32 v[104:105], v[100:101], v[98:99], v[102:103] op_sel_hi:[1,0,1]
	v_add_nc_u32_e32 v9, 1, v9
	v_pk_fma_f32 v[98:99], v[100:101], v[98:99], v[102:103] neg_lo:[0,0,1] neg_hi:[0,0,1]
	v_mov_b32_e32 v99, v105
	s_delay_alu instid0(VALU_DEP_3) | instskip(NEXT) | instid1(VALU_DEP_2)
	v_cmp_lt_u32_e32 vcc_lo, 20, v9
	v_pk_add_f32 v[96:97], v[96:97], v[98:99]
	s_or_b32 s1, vcc_lo, s1
	s_delay_alu instid0(SALU_CYCLE_1)
	s_and_not1_b32 exec_lo, exec_lo, s1
	s_cbranch_execnz .LBB45_101
; %bb.102:
	s_or_b32 exec_lo, exec_lo, s1
	v_mov_b32_e32 v9, 0
	ds_load_b64 v[98:99], v9 offset:176
	s_wait_dscnt 0x0
	v_pk_mul_f32 v[100:101], v[96:97], v[98:99] op_sel:[1,1] op_sel_hi:[0,1]
	s_delay_alu instid0(VALU_DEP_1) | instskip(SKIP_1) | instid1(VALU_DEP_2)
	v_pk_fma_f32 v[102:103], v[96:97], v[98:99], v[100:101] op_sel_hi:[1,0,1]
	v_pk_fma_f32 v[96:97], v[96:97], v[98:99], v[100:101] neg_lo:[0,0,1] neg_hi:[0,0,1]
	v_mov_b32_e32 v97, v103
	scratch_store_b64 off, v[96:97], off offset:176
.LBB45_103:
	s_wait_xcnt 0x0
	s_or_b32 exec_lo, exec_lo, s0
	s_wait_storecnt 0x0
	s_barrier_signal -1
	s_barrier_wait -1
	scratch_load_b64 v[96:97], off, off offset:184
	s_mov_b32 s0, exec_lo
	s_wait_loadcnt 0x0
	ds_store_b64 v1, v[96:97]
	s_wait_dscnt 0x0
	s_barrier_signal -1
	s_barrier_wait -1
	v_cmpx_gt_u32_e32 23, v0
	s_cbranch_execz .LBB45_107
; %bb.104:
	v_dual_mov_b32 v96, 0 :: v_dual_add_nc_u32 v9, -1, v0
	v_add_nc_u32_e32 v11, 0x170, v94
	v_mov_b32_e32 v13, v94
	s_mov_b32 s1, 0
	s_delay_alu instid0(VALU_DEP_3)
	v_mov_b32_e32 v97, v96
.LBB45_105:                             ; =>This Inner Loop Header: Depth=1
	scratch_load_b64 v[98:99], v13, off
	ds_load_b64 v[100:101], v11
	s_wait_xcnt 0x0
	v_dual_add_nc_u32 v11, 8, v11 :: v_dual_add_nc_u32 v13, 8, v13
	s_wait_loadcnt_dscnt 0x0
	v_pk_mul_f32 v[102:103], v[100:101], v[98:99] op_sel:[1,1] op_sel_hi:[0,1]
	s_delay_alu instid0(VALU_DEP_1) | instskip(SKIP_2) | instid1(VALU_DEP_3)
	v_pk_fma_f32 v[104:105], v[100:101], v[98:99], v[102:103] op_sel_hi:[1,0,1]
	v_add_nc_u32_e32 v9, 1, v9
	v_pk_fma_f32 v[98:99], v[100:101], v[98:99], v[102:103] neg_lo:[0,0,1] neg_hi:[0,0,1]
	v_mov_b32_e32 v99, v105
	s_delay_alu instid0(VALU_DEP_3) | instskip(NEXT) | instid1(VALU_DEP_2)
	v_cmp_lt_u32_e32 vcc_lo, 21, v9
	v_pk_add_f32 v[96:97], v[96:97], v[98:99]
	s_or_b32 s1, vcc_lo, s1
	s_delay_alu instid0(SALU_CYCLE_1)
	s_and_not1_b32 exec_lo, exec_lo, s1
	s_cbranch_execnz .LBB45_105
; %bb.106:
	s_or_b32 exec_lo, exec_lo, s1
	v_mov_b32_e32 v9, 0
	ds_load_b64 v[98:99], v9 offset:184
	s_wait_dscnt 0x0
	v_pk_mul_f32 v[100:101], v[96:97], v[98:99] op_sel:[1,1] op_sel_hi:[0,1]
	s_delay_alu instid0(VALU_DEP_1) | instskip(SKIP_1) | instid1(VALU_DEP_2)
	v_pk_fma_f32 v[102:103], v[96:97], v[98:99], v[100:101] op_sel_hi:[1,0,1]
	v_pk_fma_f32 v[96:97], v[96:97], v[98:99], v[100:101] neg_lo:[0,0,1] neg_hi:[0,0,1]
	v_mov_b32_e32 v97, v103
	scratch_store_b64 off, v[96:97], off offset:184
.LBB45_107:
	s_wait_xcnt 0x0
	s_or_b32 exec_lo, exec_lo, s0
	s_wait_storecnt 0x0
	s_barrier_signal -1
	s_barrier_wait -1
	scratch_load_b64 v[96:97], off, off offset:192
	;; [unrolled: 52-line block ×23, first 2 shown]
	s_mov_b32 s0, exec_lo
	s_wait_loadcnt 0x0
	ds_store_b64 v1, v[96:97]
	s_wait_dscnt 0x0
	s_barrier_signal -1
	s_barrier_wait -1
	v_cmpx_ne_u32_e32 45, v0
	s_cbranch_execz .LBB45_195
; %bb.192:
	v_dual_mov_b32 v96, 0 :: v_dual_mov_b32 v9, v94
	s_mov_b32 s1, 0
	s_delay_alu instid0(VALU_DEP_1)
	v_mov_b32_e32 v97, v96
.LBB45_193:                             ; =>This Inner Loop Header: Depth=1
	scratch_load_b64 v[94:95], v9, off
	ds_load_b64 v[98:99], v1
	v_add_nc_u32_e32 v1, 8, v1
	s_wait_xcnt 0x0
	v_add_nc_u32_e32 v9, 8, v9
	s_wait_loadcnt_dscnt 0x0
	v_pk_mul_f32 v[100:101], v[98:99], v[94:95] op_sel:[1,1] op_sel_hi:[0,1]
	s_delay_alu instid0(VALU_DEP_1) | instskip(SKIP_2) | instid1(VALU_DEP_3)
	v_pk_fma_f32 v[102:103], v[98:99], v[94:95], v[100:101] op_sel_hi:[1,0,1]
	v_add_nc_u32_e32 v7, 1, v7
	v_pk_fma_f32 v[94:95], v[98:99], v[94:95], v[100:101] neg_lo:[0,0,1] neg_hi:[0,0,1]
	v_mov_b32_e32 v95, v103
	s_delay_alu instid0(VALU_DEP_3) | instskip(NEXT) | instid1(VALU_DEP_2)
	v_cmp_lt_u32_e32 vcc_lo, 43, v7
	v_pk_add_f32 v[96:97], v[96:97], v[94:95]
	s_or_b32 s1, vcc_lo, s1
	s_delay_alu instid0(SALU_CYCLE_1)
	s_and_not1_b32 exec_lo, exec_lo, s1
	s_cbranch_execnz .LBB45_193
; %bb.194:
	s_or_b32 exec_lo, exec_lo, s1
	v_mov_b32_e32 v1, 0
	ds_load_b64 v[94:95], v1 offset:360
	s_wait_dscnt 0x0
	v_pk_mul_f32 v[98:99], v[96:97], v[94:95] op_sel:[1,1] op_sel_hi:[0,1]
	s_delay_alu instid0(VALU_DEP_1) | instskip(SKIP_1) | instid1(VALU_DEP_2)
	v_pk_fma_f32 v[100:101], v[96:97], v[94:95], v[98:99] op_sel_hi:[1,0,1]
	v_pk_fma_f32 v[94:95], v[96:97], v[94:95], v[98:99] neg_lo:[0,0,1] neg_hi:[0,0,1]
	v_mov_b32_e32 v95, v101
	scratch_store_b64 off, v[94:95], off offset:360
.LBB45_195:
	s_wait_xcnt 0x0
	s_or_b32 exec_lo, exec_lo, s0
	s_mov_b32 s1, -1
	s_wait_storecnt 0x0
	s_barrier_signal -1
	s_barrier_wait -1
.LBB45_196:
	s_and_b32 vcc_lo, exec_lo, s1
	s_cbranch_vccz .LBB45_198
; %bb.197:
	v_mov_b32_e32 v1, 0
	s_lshl_b64 s[0:1], s[16:17], 2
	s_delay_alu instid0(SALU_CYCLE_1)
	s_add_nc_u64 s[0:1], s[6:7], s[0:1]
	global_load_b32 v1, v1, s[0:1]
	s_wait_loadcnt 0x0
	v_cmp_ne_u32_e32 vcc_lo, 0, v1
	s_cbranch_vccz .LBB45_199
.LBB45_198:
	s_sendmsg sendmsg(MSG_DEALLOC_VGPRS)
	s_endpgm
.LBB45_199:
	s_wait_xcnt 0x0
	v_lshl_add_u32 v1, v0, 3, 0x170
	s_mov_b32 s0, exec_lo
	v_cmpx_eq_u32_e32 45, v0
	s_cbranch_execz .LBB45_201
; %bb.200:
	scratch_load_b64 v[94:95], off, off offset:352
	v_mov_b64_e32 v[96:97], 0
	scratch_store_b64 off, v[96:97], off offset:352
	s_wait_loadcnt 0x0
	ds_store_b64 v1, v[94:95]
.LBB45_201:
	s_wait_xcnt 0x0
	s_or_b32 exec_lo, exec_lo, s0
	s_wait_storecnt_dscnt 0x0
	s_barrier_signal -1
	s_barrier_wait -1
	s_clause 0x1
	scratch_load_b64 v[94:95], off, off offset:360
	scratch_load_b64 v[96:97], off, off offset:352
	v_mov_b32_e32 v7, 0
	s_mov_b32 s0, exec_lo
	ds_load_b64 v[98:99], v7 offset:728
	s_wait_loadcnt_dscnt 0x100
	v_pk_mul_f32 v[100:101], v[98:99], v[94:95] op_sel:[1,1] op_sel_hi:[0,1]
	s_delay_alu instid0(VALU_DEP_1) | instskip(SKIP_1) | instid1(VALU_DEP_2)
	v_pk_fma_f32 v[102:103], v[98:99], v[94:95], v[100:101] op_sel_hi:[1,0,1]
	v_pk_fma_f32 v[94:95], v[98:99], v[94:95], v[100:101] neg_lo:[0,0,1] neg_hi:[0,0,1]
	v_mov_b32_e32 v95, v103
	s_delay_alu instid0(VALU_DEP_1) | instskip(SKIP_1) | instid1(VALU_DEP_1)
	v_pk_add_f32 v[94:95], v[94:95], 0 op_sel_hi:[1,0]
	s_wait_loadcnt 0x0
	v_pk_add_f32 v[94:95], v[96:97], v[94:95] neg_lo:[0,1] neg_hi:[0,1]
	scratch_store_b64 off, v[94:95], off offset:352
	s_wait_xcnt 0x0
	v_cmpx_lt_u32_e32 43, v0
	s_cbranch_execz .LBB45_203
; %bb.202:
	scratch_load_b64 v[94:95], off, off offset:344
	v_mov_b64_e32 v[96:97], 0
	scratch_store_b64 off, v[96:97], off offset:344
	s_wait_loadcnt 0x0
	ds_store_b64 v1, v[94:95]
.LBB45_203:
	s_wait_xcnt 0x0
	s_or_b32 exec_lo, exec_lo, s0
	s_wait_storecnt_dscnt 0x0
	s_barrier_signal -1
	s_barrier_wait -1
	s_clause 0x1
	scratch_load_b128 v[94:97], off, off offset:352
	scratch_load_b64 v[102:103], off, off offset:344
	ds_load_b128 v[98:101], v7 offset:720
	s_mov_b32 s0, exec_lo
	s_wait_dscnt 0x0
	v_dual_mov_b32 v104, v101 :: v_dual_mov_b32 v105, v100
	s_wait_loadcnt 0x1
	v_pk_mul_f32 v[106:107], v[98:99], v[94:95] op_sel:[1,1] op_sel_hi:[0,1]
	s_delay_alu instid0(VALU_DEP_1) | instskip(SKIP_2) | instid1(VALU_DEP_3)
	v_pk_fma_f32 v[110:111], v[98:99], v[94:95], v[106:107] op_sel_hi:[1,0,1]
	v_mov_b32_e32 v108, v97
	v_pk_fma_f32 v[94:95], v[98:99], v[94:95], v[106:107] neg_lo:[0,0,1] neg_hi:[0,0,1]
	v_mov_b32_e32 v95, v111
	s_delay_alu instid0(VALU_DEP_3) | instskip(NEXT) | instid1(VALU_DEP_2)
	v_pk_mul_f32 v[104:105], v[104:105], v[108:109] op_sel_hi:[1,0]
	v_pk_add_f32 v[94:95], v[94:95], 0 op_sel_hi:[1,0]
	s_delay_alu instid0(VALU_DEP_2) | instskip(SKIP_1) | instid1(VALU_DEP_2)
	v_pk_fma_f32 v[98:99], v[100:101], v[96:97], v[104:105] op_sel_hi:[1,0,1]
	v_pk_fma_f32 v[96:97], v[100:101], v[96:97], v[104:105] neg_lo:[0,0,1] neg_hi:[0,0,1]
	v_mov_b32_e32 v97, v99
	s_delay_alu instid0(VALU_DEP_1) | instskip(SKIP_1) | instid1(VALU_DEP_1)
	v_pk_add_f32 v[94:95], v[94:95], v[96:97]
	s_wait_loadcnt 0x0
	v_pk_add_f32 v[94:95], v[102:103], v[94:95] neg_lo:[0,1] neg_hi:[0,1]
	scratch_store_b64 off, v[94:95], off offset:344
	s_wait_xcnt 0x0
	v_cmpx_lt_u32_e32 42, v0
	s_cbranch_execz .LBB45_205
; %bb.204:
	scratch_load_b64 v[94:95], off, off offset:336
	v_mov_b64_e32 v[96:97], 0
	scratch_store_b64 off, v[96:97], off offset:336
	s_wait_loadcnt 0x0
	ds_store_b64 v1, v[94:95]
.LBB45_205:
	s_wait_xcnt 0x0
	s_or_b32 exec_lo, exec_lo, s0
	s_wait_storecnt_dscnt 0x0
	s_barrier_signal -1
	s_barrier_wait -1
	s_clause 0x2
	scratch_load_b128 v[94:97], off, off offset:344
	scratch_load_b64 v[102:103], off, off offset:360
	scratch_load_b64 v[104:105], off, off offset:336
	v_mov_b32_e32 v7, 0
	ds_load_2addr_b64 v[98:101], v7 offset0:89 offset1:90
	ds_load_b64 v[106:107], v7 offset:728
	s_mov_b32 s0, exec_lo
	s_wait_dscnt 0x1
	v_dual_mov_b32 v108, v101 :: v_dual_mov_b32 v109, v100
	s_wait_loadcnt 0x2
	v_mov_b32_e32 v112, v97
	v_pk_mul_f32 v[110:111], v[98:99], v[94:95] op_sel:[1,1] op_sel_hi:[0,1]
	s_delay_alu instid0(VALU_DEP_2) | instskip(NEXT) | instid1(VALU_DEP_2)
	v_pk_mul_f32 v[108:109], v[108:109], v[112:113] op_sel_hi:[1,0]
	v_pk_fma_f32 v[114:115], v[98:99], v[94:95], v[110:111] op_sel_hi:[1,0,1]
	v_pk_fma_f32 v[94:95], v[98:99], v[94:95], v[110:111] neg_lo:[0,0,1] neg_hi:[0,0,1]
	s_wait_loadcnt_dscnt 0x100
	v_pk_mul_f32 v[110:111], v[106:107], v[102:103] op_sel:[1,1] op_sel_hi:[0,1]
	v_pk_fma_f32 v[98:99], v[100:101], v[96:97], v[108:109] op_sel_hi:[1,0,1]
	v_mov_b32_e32 v95, v115
	v_pk_fma_f32 v[96:97], v[100:101], v[96:97], v[108:109] neg_lo:[0,0,1] neg_hi:[0,0,1]
	s_delay_alu instid0(VALU_DEP_4) | instskip(NEXT) | instid1(VALU_DEP_4)
	v_pk_fma_f32 v[100:101], v[106:107], v[102:103], v[110:111] neg_lo:[0,0,1] neg_hi:[0,0,1]
	v_mov_b32_e32 v97, v99
	s_delay_alu instid0(VALU_DEP_4) | instskip(SKIP_1) | instid1(VALU_DEP_2)
	v_pk_add_f32 v[94:95], v[94:95], 0 op_sel_hi:[1,0]
	v_pk_fma_f32 v[98:99], v[106:107], v[102:103], v[110:111] op_sel_hi:[1,0,1]
	v_pk_add_f32 v[94:95], v[94:95], v[96:97]
	s_delay_alu instid0(VALU_DEP_2) | instskip(NEXT) | instid1(VALU_DEP_1)
	v_mov_b32_e32 v101, v99
	v_pk_add_f32 v[94:95], v[94:95], v[100:101]
	s_wait_loadcnt 0x0
	s_delay_alu instid0(VALU_DEP_1)
	v_pk_add_f32 v[94:95], v[104:105], v[94:95] neg_lo:[0,1] neg_hi:[0,1]
	scratch_store_b64 off, v[94:95], off offset:336
	s_wait_xcnt 0x0
	v_cmpx_lt_u32_e32 41, v0
	s_cbranch_execz .LBB45_207
; %bb.206:
	scratch_load_b64 v[94:95], off, off offset:328
	v_mov_b64_e32 v[96:97], 0
	scratch_store_b64 off, v[96:97], off offset:328
	s_wait_loadcnt 0x0
	ds_store_b64 v1, v[94:95]
.LBB45_207:
	s_wait_xcnt 0x0
	s_or_b32 exec_lo, exec_lo, s0
	s_wait_storecnt_dscnt 0x0
	s_barrier_signal -1
	s_barrier_wait -1
	s_clause 0x2
	scratch_load_b128 v[94:97], off, off offset:336
	scratch_load_b128 v[98:101], off, off offset:352
	scratch_load_b64 v[110:111], off, off offset:328
	ds_load_b128 v[102:105], v7 offset:704
	ds_load_b128 v[106:109], v7 offset:720
	s_mov_b32 s0, exec_lo
	s_wait_dscnt 0x1
	v_dual_mov_b32 v112, v105 :: v_dual_mov_b32 v113, v104
	s_wait_loadcnt_dscnt 0x200
	v_dual_mov_b32 v118, v109 :: v_dual_mov_b32 v116, v97
	v_pk_mul_f32 v[114:115], v[102:103], v[94:95] op_sel:[1,1] op_sel_hi:[0,1]
	s_delay_alu instid0(VALU_DEP_2) | instskip(NEXT) | instid1(VALU_DEP_2)
	v_pk_mul_f32 v[112:113], v[112:113], v[116:117] op_sel_hi:[1,0]
	v_pk_fma_f32 v[120:121], v[102:103], v[94:95], v[114:115] op_sel_hi:[1,0,1]
	v_pk_fma_f32 v[94:95], v[102:103], v[94:95], v[114:115] neg_lo:[0,0,1] neg_hi:[0,0,1]
	v_mov_b32_e32 v119, v108
	s_wait_loadcnt 0x1
	v_pk_mul_f32 v[116:117], v[106:107], v[98:99] op_sel:[1,1] op_sel_hi:[0,1]
	v_pk_fma_f32 v[102:103], v[104:105], v[96:97], v[112:113] op_sel_hi:[1,0,1]
	v_dual_mov_b32 v95, v121 :: v_dual_mov_b32 v102, v101
	v_pk_fma_f32 v[96:97], v[104:105], v[96:97], v[112:113] neg_lo:[0,0,1] neg_hi:[0,0,1]
	s_delay_alu instid0(VALU_DEP_4) | instskip(NEXT) | instid1(VALU_DEP_4)
	v_pk_fma_f32 v[114:115], v[106:107], v[98:99], v[116:117] op_sel_hi:[1,0,1]
	v_mov_b32_e32 v97, v103
	s_delay_alu instid0(VALU_DEP_4) | instskip(SKIP_2) | instid1(VALU_DEP_3)
	v_pk_add_f32 v[94:95], v[94:95], 0 op_sel_hi:[1,0]
	v_pk_mul_f32 v[102:103], v[118:119], v[102:103] op_sel_hi:[1,0]
	v_pk_fma_f32 v[98:99], v[106:107], v[98:99], v[116:117] neg_lo:[0,0,1] neg_hi:[0,0,1]
	v_pk_add_f32 v[94:95], v[94:95], v[96:97]
	s_delay_alu instid0(VALU_DEP_3) | instskip(SKIP_2) | instid1(VALU_DEP_3)
	v_pk_fma_f32 v[96:97], v[108:109], v[100:101], v[102:103] op_sel_hi:[1,0,1]
	v_mov_b32_e32 v99, v115
	v_pk_fma_f32 v[100:101], v[108:109], v[100:101], v[102:103] neg_lo:[0,0,1] neg_hi:[0,0,1]
	v_mov_b32_e32 v101, v97
	s_delay_alu instid0(VALU_DEP_3) | instskip(NEXT) | instid1(VALU_DEP_1)
	v_pk_add_f32 v[94:95], v[94:95], v[98:99]
	v_pk_add_f32 v[94:95], v[94:95], v[100:101]
	s_wait_loadcnt 0x0
	s_delay_alu instid0(VALU_DEP_1)
	v_pk_add_f32 v[94:95], v[110:111], v[94:95] neg_lo:[0,1] neg_hi:[0,1]
	scratch_store_b64 off, v[94:95], off offset:328
	s_wait_xcnt 0x0
	v_cmpx_lt_u32_e32 40, v0
	s_cbranch_execz .LBB45_209
; %bb.208:
	scratch_load_b64 v[94:95], off, off offset:320
	v_mov_b64_e32 v[96:97], 0
	scratch_store_b64 off, v[96:97], off offset:320
	s_wait_loadcnt 0x0
	ds_store_b64 v1, v[94:95]
.LBB45_209:
	s_wait_xcnt 0x0
	s_or_b32 exec_lo, exec_lo, s0
	s_wait_storecnt_dscnt 0x0
	s_barrier_signal -1
	s_barrier_wait -1
	s_clause 0x3
	scratch_load_b128 v[94:97], off, off offset:328
	scratch_load_b128 v[98:101], off, off offset:344
	scratch_load_b64 v[110:111], off, off offset:360
	scratch_load_b64 v[112:113], off, off offset:320
	v_mov_b32_e32 v7, 0
	ds_load_2addr_b64 v[102:105], v7 offset0:87 offset1:88
	ds_load_2addr_b64 v[106:109], v7 offset0:89 offset1:90
	s_mov_b32 s0, exec_lo
	s_wait_dscnt 0x1
	v_dual_mov_b32 v114, v105 :: v_dual_mov_b32 v115, v104
	ds_load_b64 v[120:121], v7 offset:728
	s_wait_dscnt 0x1
	v_dual_mov_b32 v122, v109 :: v_dual_mov_b32 v123, v108
	s_wait_loadcnt 0x3
	v_pk_mul_f32 v[116:117], v[102:103], v[94:95] op_sel:[1,1] op_sel_hi:[0,1]
	v_mov_b32_e32 v118, v97
	s_delay_alu instid0(VALU_DEP_2) | instskip(NEXT) | instid1(VALU_DEP_2)
	v_pk_fma_f32 v[124:125], v[102:103], v[94:95], v[116:117] op_sel_hi:[1,0,1]
	v_pk_mul_f32 v[114:115], v[114:115], v[118:119] op_sel_hi:[1,0]
	v_pk_fma_f32 v[94:95], v[102:103], v[94:95], v[116:117] neg_lo:[0,0,1] neg_hi:[0,0,1]
	s_wait_loadcnt 0x2
	v_pk_mul_f32 v[118:119], v[106:107], v[98:99] op_sel:[1,1] op_sel_hi:[0,1]
	v_dual_mov_b32 v124, v101 :: v_dual_mov_b32 v95, v125
	v_pk_fma_f32 v[102:103], v[104:105], v[96:97], v[114:115] op_sel_hi:[1,0,1]
	v_pk_fma_f32 v[96:97], v[104:105], v[96:97], v[114:115] neg_lo:[0,0,1] neg_hi:[0,0,1]
	s_delay_alu instid0(VALU_DEP_4) | instskip(NEXT) | instid1(VALU_DEP_4)
	v_pk_fma_f32 v[116:117], v[106:107], v[98:99], v[118:119] op_sel_hi:[1,0,1]
	v_pk_mul_f32 v[122:123], v[122:123], v[124:125] op_sel_hi:[1,0]
	v_pk_add_f32 v[94:95], v[94:95], 0 op_sel_hi:[1,0]
	v_mov_b32_e32 v97, v103
	v_pk_fma_f32 v[98:99], v[106:107], v[98:99], v[118:119] neg_lo:[0,0,1] neg_hi:[0,0,1]
	v_mov_b32_e32 v99, v117
	v_pk_fma_f32 v[102:103], v[108:109], v[100:101], v[122:123] op_sel_hi:[1,0,1]
	v_pk_fma_f32 v[100:101], v[108:109], v[100:101], v[122:123] neg_lo:[0,0,1] neg_hi:[0,0,1]
	v_pk_add_f32 v[94:95], v[94:95], v[96:97]
	s_wait_loadcnt_dscnt 0x100
	v_pk_mul_f32 v[96:97], v[120:121], v[110:111] op_sel:[1,1] op_sel_hi:[0,1]
	s_delay_alu instid0(VALU_DEP_2) | instskip(NEXT) | instid1(VALU_DEP_2)
	v_pk_add_f32 v[94:95], v[94:95], v[98:99]
	v_pk_fma_f32 v[98:99], v[120:121], v[110:111], v[96:97] op_sel_hi:[1,0,1]
	v_mov_b32_e32 v101, v103
	v_pk_fma_f32 v[96:97], v[120:121], v[110:111], v[96:97] neg_lo:[0,0,1] neg_hi:[0,0,1]
	s_delay_alu instid0(VALU_DEP_3) | instskip(NEXT) | instid1(VALU_DEP_3)
	v_mov_b32_e32 v97, v99
	v_pk_add_f32 v[94:95], v[94:95], v[100:101]
	s_delay_alu instid0(VALU_DEP_1) | instskip(SKIP_1) | instid1(VALU_DEP_1)
	v_pk_add_f32 v[94:95], v[94:95], v[96:97]
	s_wait_loadcnt 0x0
	v_pk_add_f32 v[94:95], v[112:113], v[94:95] neg_lo:[0,1] neg_hi:[0,1]
	scratch_store_b64 off, v[94:95], off offset:320
	s_wait_xcnt 0x0
	v_cmpx_lt_u32_e32 39, v0
	s_cbranch_execz .LBB45_211
; %bb.210:
	scratch_load_b64 v[94:95], off, off offset:312
	v_mov_b64_e32 v[96:97], 0
	scratch_store_b64 off, v[96:97], off offset:312
	s_wait_loadcnt 0x0
	ds_store_b64 v1, v[94:95]
.LBB45_211:
	s_wait_xcnt 0x0
	s_or_b32 exec_lo, exec_lo, s0
	s_wait_storecnt_dscnt 0x0
	s_barrier_signal -1
	s_barrier_wait -1
	s_clause 0x3
	scratch_load_b128 v[94:97], off, off offset:320
	scratch_load_b128 v[98:101], off, off offset:336
	;; [unrolled: 1-line block ×3, first 2 shown]
	scratch_load_b64 v[118:119], off, off offset:312
	ds_load_b128 v[106:109], v7 offset:688
	ds_load_b128 v[110:113], v7 offset:704
	;; [unrolled: 1-line block ×3, first 2 shown]
	s_mov_b32 s0, exec_lo
	s_wait_dscnt 0x2
	v_dual_mov_b32 v120, v109 :: v_dual_mov_b32 v121, v108
	s_wait_dscnt 0x1
	v_dual_mov_b32 v122, v113 :: v_dual_mov_b32 v123, v112
	;; [unrolled: 2-line block ×3, first 2 shown]
	s_wait_loadcnt 0x3
	v_pk_mul_f32 v[124:125], v[106:107], v[94:95] op_sel:[1,1] op_sel_hi:[0,1]
	v_mov_b32_e32 v126, v97
	s_delay_alu instid0(VALU_DEP_2) | instskip(NEXT) | instid1(VALU_DEP_2)
	v_pk_fma_f32 v[130:131], v[106:107], v[94:95], v[124:125] op_sel_hi:[1,0,1]
	v_pk_mul_f32 v[120:121], v[120:121], v[126:127] op_sel_hi:[1,0]
	v_pk_fma_f32 v[94:95], v[106:107], v[94:95], v[124:125] neg_lo:[0,0,1] neg_hi:[0,0,1]
	s_wait_loadcnt 0x2
	v_pk_mul_f32 v[126:127], v[110:111], v[98:99] op_sel:[1,1] op_sel_hi:[0,1]
	v_mov_b32_e32 v130, v101
	v_pk_fma_f32 v[106:107], v[108:109], v[96:97], v[120:121] op_sel_hi:[1,0,1]
	v_mov_b32_e32 v95, v131
	v_pk_fma_f32 v[96:97], v[108:109], v[96:97], v[120:121] neg_lo:[0,0,1] neg_hi:[0,0,1]
	v_pk_fma_f32 v[124:125], v[110:111], v[98:99], v[126:127] op_sel_hi:[1,0,1]
	v_pk_mul_f32 v[122:123], v[122:123], v[130:131] op_sel_hi:[1,0]
	v_mov_b32_e32 v97, v107
	v_pk_add_f32 v[94:95], v[94:95], 0 op_sel_hi:[1,0]
	v_pk_fma_f32 v[98:99], v[110:111], v[98:99], v[126:127] neg_lo:[0,0,1] neg_hi:[0,0,1]
	s_wait_loadcnt 0x1
	v_pk_mul_f32 v[106:107], v[114:115], v[102:103] op_sel:[1,1] op_sel_hi:[0,1]
	v_mov_b32_e32 v99, v125
	v_pk_fma_f32 v[108:109], v[112:113], v[100:101], v[122:123] op_sel_hi:[1,0,1]
	v_pk_add_f32 v[94:95], v[94:95], v[96:97]
	v_mov_b32_e32 v96, v105
	v_pk_fma_f32 v[100:101], v[112:113], v[100:101], v[122:123] neg_lo:[0,0,1] neg_hi:[0,0,1]
	v_pk_fma_f32 v[110:111], v[114:115], v[102:103], v[106:107] op_sel_hi:[1,0,1]
	v_mov_b32_e32 v101, v109
	v_pk_add_f32 v[94:95], v[94:95], v[98:99]
	v_pk_mul_f32 v[96:97], v[128:129], v[96:97] op_sel_hi:[1,0]
	v_pk_fma_f32 v[98:99], v[114:115], v[102:103], v[106:107] neg_lo:[0,0,1] neg_hi:[0,0,1]
	v_mov_b32_e32 v99, v111
	s_delay_alu instid0(VALU_DEP_4) | instskip(NEXT) | instid1(VALU_DEP_4)
	v_pk_add_f32 v[94:95], v[94:95], v[100:101]
	v_pk_fma_f32 v[100:101], v[116:117], v[104:105], v[96:97] op_sel_hi:[1,0,1]
	v_pk_fma_f32 v[96:97], v[116:117], v[104:105], v[96:97] neg_lo:[0,0,1] neg_hi:[0,0,1]
	s_delay_alu instid0(VALU_DEP_3) | instskip(NEXT) | instid1(VALU_DEP_3)
	v_pk_add_f32 v[94:95], v[94:95], v[98:99]
	v_mov_b32_e32 v97, v101
	s_delay_alu instid0(VALU_DEP_1) | instskip(SKIP_1) | instid1(VALU_DEP_1)
	v_pk_add_f32 v[94:95], v[94:95], v[96:97]
	s_wait_loadcnt 0x0
	v_pk_add_f32 v[94:95], v[118:119], v[94:95] neg_lo:[0,1] neg_hi:[0,1]
	scratch_store_b64 off, v[94:95], off offset:312
	s_wait_xcnt 0x0
	v_cmpx_lt_u32_e32 38, v0
	s_cbranch_execz .LBB45_213
; %bb.212:
	scratch_load_b64 v[94:95], off, off offset:304
	v_mov_b64_e32 v[96:97], 0
	scratch_store_b64 off, v[96:97], off offset:304
	s_wait_loadcnt 0x0
	ds_store_b64 v1, v[94:95]
.LBB45_213:
	s_wait_xcnt 0x0
	s_or_b32 exec_lo, exec_lo, s0
	s_wait_storecnt_dscnt 0x0
	s_barrier_signal -1
	s_barrier_wait -1
	s_clause 0x4
	scratch_load_b128 v[94:97], off, off offset:312
	scratch_load_b128 v[98:101], off, off offset:328
	;; [unrolled: 1-line block ×3, first 2 shown]
	scratch_load_b64 v[118:119], off, off offset:360
	scratch_load_b64 v[120:121], off, off offset:304
	v_mov_b32_e32 v7, 0
	ds_load_2addr_b64 v[106:109], v7 offset0:85 offset1:86
	ds_load_2addr_b64 v[110:113], v7 offset0:87 offset1:88
	;; [unrolled: 1-line block ×3, first 2 shown]
	ds_load_b64 v[122:123], v7 offset:728
	s_mov_b32 s0, exec_lo
	s_wait_dscnt 0x3
	v_dual_mov_b32 v124, v109 :: v_dual_mov_b32 v125, v108
	s_wait_dscnt 0x2
	v_dual_mov_b32 v126, v113 :: v_dual_mov_b32 v127, v112
	;; [unrolled: 2-line block ×3, first 2 shown]
	s_wait_loadcnt 0x4
	v_pk_mul_f32 v[128:129], v[106:107], v[94:95] op_sel:[1,1] op_sel_hi:[0,1]
	v_mov_b32_e32 v130, v97
	s_wait_loadcnt 0x3
	v_pk_mul_f32 v[134:135], v[110:111], v[98:99] op_sel:[1,1] op_sel_hi:[0,1]
	s_wait_loadcnt 0x2
	v_pk_mul_f32 v[138:139], v[114:115], v[102:103] op_sel:[1,1] op_sel_hi:[0,1]
	v_pk_fma_f32 v[136:137], v[106:107], v[94:95], v[128:129] op_sel_hi:[1,0,1]
	v_pk_mul_f32 v[124:125], v[124:125], v[130:131] op_sel_hi:[1,0]
	v_pk_fma_f32 v[94:95], v[106:107], v[94:95], v[128:129] neg_lo:[0,0,1] neg_hi:[0,0,1]
	v_mov_b32_e32 v130, v101
	v_pk_fma_f32 v[128:129], v[110:111], v[98:99], v[134:135] op_sel_hi:[1,0,1]
	v_mov_b32_e32 v95, v137
	v_pk_fma_f32 v[106:107], v[108:109], v[96:97], v[124:125] op_sel_hi:[1,0,1]
	v_pk_fma_f32 v[96:97], v[108:109], v[96:97], v[124:125] neg_lo:[0,0,1] neg_hi:[0,0,1]
	v_pk_mul_f32 v[126:127], v[126:127], v[130:131] op_sel_hi:[1,0]
	v_pk_fma_f32 v[98:99], v[110:111], v[98:99], v[134:135] neg_lo:[0,0,1] neg_hi:[0,0,1]
	v_pk_add_f32 v[94:95], v[94:95], 0 op_sel_hi:[1,0]
	v_dual_mov_b32 v97, v107 :: v_dual_mov_b32 v106, v105
	s_delay_alu instid0(VALU_DEP_4) | instskip(SKIP_2) | instid1(VALU_DEP_4)
	v_pk_fma_f32 v[108:109], v[112:113], v[100:101], v[126:127] op_sel_hi:[1,0,1]
	v_mov_b32_e32 v99, v129
	v_pk_fma_f32 v[100:101], v[112:113], v[100:101], v[126:127] neg_lo:[0,0,1] neg_hi:[0,0,1]
	v_pk_add_f32 v[94:95], v[94:95], v[96:97]
	v_pk_fma_f32 v[96:97], v[114:115], v[102:103], v[138:139] op_sel_hi:[1,0,1]
	v_pk_mul_f32 v[106:107], v[132:133], v[106:107] op_sel_hi:[1,0]
	v_mov_b32_e32 v101, v109
	s_delay_alu instid0(VALU_DEP_4)
	v_pk_add_f32 v[94:95], v[94:95], v[98:99]
	v_pk_fma_f32 v[98:99], v[114:115], v[102:103], v[138:139] neg_lo:[0,0,1] neg_hi:[0,0,1]
	v_mov_b32_e32 v99, v97
	v_pk_fma_f32 v[96:97], v[116:117], v[104:105], v[106:107] op_sel_hi:[1,0,1]
	v_pk_fma_f32 v[102:103], v[116:117], v[104:105], v[106:107] neg_lo:[0,0,1] neg_hi:[0,0,1]
	v_pk_add_f32 v[94:95], v[94:95], v[100:101]
	s_wait_loadcnt_dscnt 0x100
	v_pk_mul_f32 v[100:101], v[122:123], v[118:119] op_sel:[1,1] op_sel_hi:[0,1]
	v_mov_b32_e32 v103, v97
	s_delay_alu instid0(VALU_DEP_3) | instskip(NEXT) | instid1(VALU_DEP_3)
	v_pk_add_f32 v[94:95], v[94:95], v[98:99]
	v_pk_fma_f32 v[96:97], v[122:123], v[118:119], v[100:101] op_sel_hi:[1,0,1]
	v_pk_fma_f32 v[98:99], v[122:123], v[118:119], v[100:101] neg_lo:[0,0,1] neg_hi:[0,0,1]
	s_delay_alu instid0(VALU_DEP_3) | instskip(NEXT) | instid1(VALU_DEP_3)
	v_pk_add_f32 v[94:95], v[94:95], v[102:103]
	v_mov_b32_e32 v99, v97
	s_delay_alu instid0(VALU_DEP_1) | instskip(SKIP_1) | instid1(VALU_DEP_1)
	v_pk_add_f32 v[94:95], v[94:95], v[98:99]
	s_wait_loadcnt 0x0
	v_pk_add_f32 v[94:95], v[120:121], v[94:95] neg_lo:[0,1] neg_hi:[0,1]
	scratch_store_b64 off, v[94:95], off offset:304
	s_wait_xcnt 0x0
	v_cmpx_lt_u32_e32 37, v0
	s_cbranch_execz .LBB45_215
; %bb.214:
	scratch_load_b64 v[94:95], off, off offset:296
	v_mov_b64_e32 v[96:97], 0
	scratch_store_b64 off, v[96:97], off offset:296
	s_wait_loadcnt 0x0
	ds_store_b64 v1, v[94:95]
.LBB45_215:
	s_wait_xcnt 0x0
	s_or_b32 exec_lo, exec_lo, s0
	s_wait_storecnt_dscnt 0x0
	s_barrier_signal -1
	s_barrier_wait -1
	s_clause 0x4
	scratch_load_b128 v[94:97], off, off offset:304
	scratch_load_b128 v[98:101], off, off offset:320
	;; [unrolled: 1-line block ×4, first 2 shown]
	scratch_load_b64 v[126:127], off, off offset:296
	ds_load_b128 v[110:113], v7 offset:672
	ds_load_b128 v[114:117], v7 offset:688
	;; [unrolled: 1-line block ×4, first 2 shown]
	s_mov_b32 s0, exec_lo
	s_wait_dscnt 0x3
	v_dual_mov_b32 v128, v113 :: v_dual_mov_b32 v129, v112
	s_wait_dscnt 0x2
	v_dual_mov_b32 v130, v117 :: v_dual_mov_b32 v131, v116
	s_wait_dscnt 0x0
	v_dual_mov_b32 v139, v124 :: v_dual_mov_b32 v132, v121
	v_dual_mov_b32 v133, v120 :: v_dual_mov_b32 v138, v125
	s_wait_loadcnt 0x4
	v_mov_b32_e32 v136, v97
	v_pk_mul_f32 v[134:135], v[110:111], v[94:95] op_sel:[1,1] op_sel_hi:[0,1]
	s_wait_loadcnt 0x3
	v_pk_mul_f32 v[140:141], v[114:115], v[98:99] op_sel:[1,1] op_sel_hi:[0,1]
	s_wait_loadcnt 0x2
	v_pk_mul_f32 v[144:145], v[118:119], v[102:103] op_sel:[1,1] op_sel_hi:[0,1]
	v_pk_mul_f32 v[128:129], v[128:129], v[136:137] op_sel_hi:[1,0]
	v_pk_fma_f32 v[142:143], v[110:111], v[94:95], v[134:135] op_sel_hi:[1,0,1]
	v_pk_fma_f32 v[94:95], v[110:111], v[94:95], v[134:135] neg_lo:[0,0,1] neg_hi:[0,0,1]
	v_mov_b32_e32 v136, v101
	v_pk_fma_f32 v[134:135], v[114:115], v[98:99], v[140:141] op_sel_hi:[1,0,1]
	v_pk_fma_f32 v[110:111], v[112:113], v[96:97], v[128:129] op_sel_hi:[1,0,1]
	v_mov_b32_e32 v95, v143
	v_pk_fma_f32 v[96:97], v[112:113], v[96:97], v[128:129] neg_lo:[0,0,1] neg_hi:[0,0,1]
	v_pk_mul_f32 v[130:131], v[130:131], v[136:137] op_sel_hi:[1,0]
	s_delay_alu instid0(VALU_DEP_4) | instskip(NEXT) | instid1(VALU_DEP_4)
	v_dual_mov_b32 v110, v105 :: v_dual_mov_b32 v97, v111
	v_pk_add_f32 v[94:95], v[94:95], 0 op_sel_hi:[1,0]
	v_pk_fma_f32 v[98:99], v[114:115], v[98:99], v[140:141] neg_lo:[0,0,1] neg_hi:[0,0,1]
	v_mov_b32_e32 v99, v135
	v_pk_fma_f32 v[112:113], v[116:117], v[100:101], v[130:131] op_sel_hi:[1,0,1]
	v_pk_mul_f32 v[110:111], v[132:133], v[110:111] op_sel_hi:[1,0]
	v_pk_add_f32 v[94:95], v[94:95], v[96:97]
	v_pk_fma_f32 v[96:97], v[118:119], v[102:103], v[144:145] op_sel_hi:[1,0,1]
	v_pk_fma_f32 v[100:101], v[116:117], v[100:101], v[130:131] neg_lo:[0,0,1] neg_hi:[0,0,1]
	v_mov_b32_e32 v101, v113
	v_pk_fma_f32 v[102:103], v[118:119], v[102:103], v[144:145] neg_lo:[0,0,1] neg_hi:[0,0,1]
	v_pk_add_f32 v[94:95], v[94:95], v[98:99]
	v_mov_b32_e32 v103, v97
	v_pk_fma_f32 v[96:97], v[120:121], v[104:105], v[110:111] op_sel_hi:[1,0,1]
	s_wait_loadcnt 0x1
	v_pk_mul_f32 v[98:99], v[122:123], v[106:107] op_sel:[1,1] op_sel_hi:[0,1]
	v_mov_b32_e32 v96, v109
	v_pk_add_f32 v[94:95], v[94:95], v[100:101]
	v_pk_fma_f32 v[104:105], v[120:121], v[104:105], v[110:111] neg_lo:[0,0,1] neg_hi:[0,0,1]
	v_mov_b32_e32 v105, v97
	v_pk_fma_f32 v[100:101], v[122:123], v[106:107], v[98:99] op_sel_hi:[1,0,1]
	v_pk_mul_f32 v[96:97], v[138:139], v[96:97] op_sel_hi:[1,0]
	v_pk_add_f32 v[94:95], v[94:95], v[102:103]
	v_pk_fma_f32 v[98:99], v[122:123], v[106:107], v[98:99] neg_lo:[0,0,1] neg_hi:[0,0,1]
	s_delay_alu instid0(VALU_DEP_4) | instskip(NEXT) | instid1(VALU_DEP_4)
	v_mov_b32_e32 v99, v101
	v_pk_fma_f32 v[100:101], v[124:125], v[108:109], v[96:97] op_sel_hi:[1,0,1]
	s_delay_alu instid0(VALU_DEP_4) | instskip(SKIP_1) | instid1(VALU_DEP_3)
	v_pk_add_f32 v[94:95], v[94:95], v[104:105]
	v_pk_fma_f32 v[96:97], v[124:125], v[108:109], v[96:97] neg_lo:[0,0,1] neg_hi:[0,0,1]
	v_mov_b32_e32 v97, v101
	s_delay_alu instid0(VALU_DEP_3) | instskip(NEXT) | instid1(VALU_DEP_1)
	v_pk_add_f32 v[94:95], v[94:95], v[98:99]
	v_pk_add_f32 v[94:95], v[94:95], v[96:97]
	s_wait_loadcnt 0x0
	s_delay_alu instid0(VALU_DEP_1)
	v_pk_add_f32 v[94:95], v[126:127], v[94:95] neg_lo:[0,1] neg_hi:[0,1]
	scratch_store_b64 off, v[94:95], off offset:296
	s_wait_xcnt 0x0
	v_cmpx_lt_u32_e32 36, v0
	s_cbranch_execz .LBB45_217
; %bb.216:
	scratch_load_b64 v[94:95], off, off offset:288
	v_mov_b64_e32 v[96:97], 0
	scratch_store_b64 off, v[96:97], off offset:288
	s_wait_loadcnt 0x0
	ds_store_b64 v1, v[94:95]
.LBB45_217:
	s_wait_xcnt 0x0
	s_or_b32 exec_lo, exec_lo, s0
	s_wait_storecnt_dscnt 0x0
	s_barrier_signal -1
	s_barrier_wait -1
	s_clause 0x5
	scratch_load_b128 v[94:97], off, off offset:296
	scratch_load_b128 v[98:101], off, off offset:312
	;; [unrolled: 1-line block ×4, first 2 shown]
	scratch_load_b64 v[126:127], off, off offset:360
	scratch_load_b64 v[128:129], off, off offset:288
	v_mov_b32_e32 v7, 0
	ds_load_2addr_b64 v[110:113], v7 offset0:83 offset1:84
	ds_load_2addr_b64 v[114:117], v7 offset0:85 offset1:86
	ds_load_2addr_b64 v[118:121], v7 offset0:87 offset1:88
	ds_load_2addr_b64 v[122:125], v7 offset0:89 offset1:90
	ds_load_b64 v[130:131], v7 offset:728
	s_mov_b32 s0, exec_lo
	s_wait_dscnt 0x4
	v_dual_mov_b32 v132, v113 :: v_dual_mov_b32 v133, v112
	s_wait_dscnt 0x1
	v_dual_mov_b32 v134, v117 :: v_dual_mov_b32 v139, v124
	v_dual_mov_b32 v135, v116 :: v_dual_mov_b32 v136, v121
	;; [unrolled: 1-line block ×3, first 2 shown]
	s_wait_loadcnt 0x5
	v_dual_mov_b32 v140, v97 :: v_dual_mul_f32 v141, v110, v95
	v_mul_f32_e32 v9, v111, v95
	s_wait_loadcnt 0x4
	v_pk_mul_f32 v[142:143], v[114:115], v[98:99] op_sel:[1,1] op_sel_hi:[0,1]
	v_mov_b32_e32 v144, v101
	s_wait_loadcnt 0x3
	v_pk_mul_f32 v[146:147], v[118:119], v[102:103] op_sel:[1,1] op_sel_hi:[0,1]
	v_pk_mul_f32 v[132:133], v[132:133], v[140:141] op_sel_hi:[1,0]
	v_fmac_f32_e32 v141, v111, v94
	v_dual_fma_f32 v140, v110, v94, -v9 :: v_dual_mov_b32 v94, v105
	v_pk_fma_f32 v[148:149], v[114:115], v[98:99], v[142:143] op_sel_hi:[1,0,1]
	s_delay_alu instid0(VALU_DEP_4)
	v_pk_fma_f32 v[110:111], v[112:113], v[96:97], v[132:133] op_sel_hi:[1,0,1]
	v_pk_fma_f32 v[96:97], v[112:113], v[96:97], v[132:133] neg_lo:[0,0,1] neg_hi:[0,0,1]
	v_pk_mul_f32 v[134:135], v[134:135], v[144:145] op_sel_hi:[1,0]
	v_pk_add_f32 v[140:141], v[140:141], 0 op_sel_hi:[1,0]
	v_pk_fma_f32 v[98:99], v[114:115], v[98:99], v[142:143] neg_lo:[0,0,1] neg_hi:[0,0,1]
	v_dual_mov_b32 v97, v111 :: v_dual_mov_b32 v99, v149
	s_delay_alu instid0(VALU_DEP_4) | instskip(SKIP_2) | instid1(VALU_DEP_4)
	v_pk_fma_f32 v[112:113], v[116:117], v[100:101], v[134:135] op_sel_hi:[1,0,1]
	v_pk_fma_f32 v[100:101], v[116:117], v[100:101], v[134:135] neg_lo:[0,0,1] neg_hi:[0,0,1]
	v_pk_fma_f32 v[114:115], v[118:119], v[102:103], v[146:147] op_sel_hi:[1,0,1]
	v_pk_add_f32 v[96:97], v[140:141], v[96:97]
	v_pk_mul_f32 v[94:95], v[136:137], v[94:95] op_sel_hi:[1,0]
	v_mov_b32_e32 v101, v113
	v_pk_fma_f32 v[102:103], v[118:119], v[102:103], v[146:147] neg_lo:[0,0,1] neg_hi:[0,0,1]
	s_wait_loadcnt 0x2
	v_pk_mul_f32 v[110:111], v[122:123], v[106:107] op_sel:[1,1] op_sel_hi:[0,1]
	v_pk_add_f32 v[96:97], v[96:97], v[98:99]
	v_mov_b32_e32 v98, v109
	v_pk_fma_f32 v[112:113], v[120:121], v[104:105], v[94:95] op_sel_hi:[1,0,1]
	v_mov_b32_e32 v103, v115
	v_pk_fma_f32 v[94:95], v[120:121], v[104:105], v[94:95] neg_lo:[0,0,1] neg_hi:[0,0,1]
	v_pk_add_f32 v[96:97], v[96:97], v[100:101]
	v_pk_fma_f32 v[100:101], v[122:123], v[106:107], v[110:111] op_sel_hi:[1,0,1]
	v_pk_mul_f32 v[98:99], v[138:139], v[98:99] op_sel_hi:[1,0]
	v_mov_b32_e32 v95, v113
	s_delay_alu instid0(VALU_DEP_4)
	v_pk_add_f32 v[96:97], v[96:97], v[102:103]
	v_pk_fma_f32 v[102:103], v[122:123], v[106:107], v[110:111] neg_lo:[0,0,1] neg_hi:[0,0,1]
	v_mov_b32_e32 v103, v101
	v_pk_fma_f32 v[100:101], v[124:125], v[108:109], v[98:99] op_sel_hi:[1,0,1]
	v_pk_fma_f32 v[98:99], v[124:125], v[108:109], v[98:99] neg_lo:[0,0,1] neg_hi:[0,0,1]
	v_pk_add_f32 v[94:95], v[96:97], v[94:95]
	s_wait_loadcnt_dscnt 0x100
	v_pk_mul_f32 v[96:97], v[130:131], v[126:127] op_sel:[1,1] op_sel_hi:[0,1]
	v_mov_b32_e32 v99, v101
	s_delay_alu instid0(VALU_DEP_3) | instskip(NEXT) | instid1(VALU_DEP_3)
	v_pk_add_f32 v[94:95], v[94:95], v[102:103]
	v_pk_fma_f32 v[100:101], v[130:131], v[126:127], v[96:97] op_sel_hi:[1,0,1]
	v_pk_fma_f32 v[96:97], v[130:131], v[126:127], v[96:97] neg_lo:[0,0,1] neg_hi:[0,0,1]
	s_delay_alu instid0(VALU_DEP_3) | instskip(NEXT) | instid1(VALU_DEP_3)
	v_pk_add_f32 v[94:95], v[94:95], v[98:99]
	v_mov_b32_e32 v97, v101
	s_delay_alu instid0(VALU_DEP_1) | instskip(SKIP_1) | instid1(VALU_DEP_1)
	v_pk_add_f32 v[94:95], v[94:95], v[96:97]
	s_wait_loadcnt 0x0
	v_pk_add_f32 v[94:95], v[128:129], v[94:95] neg_lo:[0,1] neg_hi:[0,1]
	scratch_store_b64 off, v[94:95], off offset:288
	s_wait_xcnt 0x0
	v_cmpx_lt_u32_e32 35, v0
	s_cbranch_execz .LBB45_219
; %bb.218:
	scratch_load_b64 v[94:95], off, off offset:280
	v_mov_b64_e32 v[96:97], 0
	scratch_store_b64 off, v[96:97], off offset:280
	s_wait_loadcnt 0x0
	ds_store_b64 v1, v[94:95]
.LBB45_219:
	s_wait_xcnt 0x0
	s_or_b32 exec_lo, exec_lo, s0
	s_wait_storecnt_dscnt 0x0
	s_barrier_signal -1
	s_barrier_wait -1
	s_clause 0x5
	scratch_load_b128 v[94:97], off, off offset:288
	scratch_load_b128 v[98:101], off, off offset:304
	;; [unrolled: 1-line block ×5, first 2 shown]
	scratch_load_b64 v[134:135], off, off offset:280
	ds_load_b128 v[114:117], v7 offset:672
	ds_load_b128 v[118:121], v7 offset:688
	;; [unrolled: 1-line block ×5, first 2 shown]
	s_mov_b32 s0, exec_lo
	s_wait_dscnt 0x4
	v_dual_mov_b32 v136, v117 :: v_dual_mov_b32 v137, v116
	s_wait_dscnt 0x3
	v_dual_mov_b32 v138, v121 :: v_dual_mov_b32 v139, v120
	;; [unrolled: 2-line block ×4, first 2 shown]
	s_wait_loadcnt_dscnt 0x500
	v_dual_mul_f32 v145, v130, v95 :: v_dual_mul_f32 v147, v132, v97
	v_dual_mul_f32 v7, v131, v95 :: v_dual_mul_f32 v9, v133, v97
	s_wait_loadcnt 0x4
	v_pk_mul_f32 v[148:149], v[114:115], v[98:99] op_sel:[1,1] op_sel_hi:[0,1]
	s_wait_loadcnt 0x3
	v_dual_mov_b32 v150, v101 :: v_dual_mov_b32 v154, v105
	v_dual_fmac_f32 v145, v131, v94 :: v_dual_fma_f32 v144, v130, v94, -v7
	v_dual_fmac_f32 v147, v133, v96 :: v_dual_fma_f32 v146, v132, v96, -v9
	v_pk_fma_f32 v[94:95], v[114:115], v[98:99], v[148:149] op_sel_hi:[1,0,1]
	s_delay_alu instid0(VALU_DEP_4) | instskip(NEXT) | instid1(VALU_DEP_4)
	v_pk_mul_f32 v[96:97], v[136:137], v[150:151] op_sel_hi:[1,0]
	v_pk_add_f32 v[130:131], v[144:145], 0 op_sel_hi:[1,0]
	v_pk_fma_f32 v[98:99], v[114:115], v[98:99], v[148:149] neg_lo:[0,0,1] neg_hi:[0,0,1]
	v_pk_mul_f32 v[152:153], v[118:119], v[102:103] op_sel:[1,1] op_sel_hi:[0,1]
	v_mov_b32_e32 v99, v95
	v_pk_fma_f32 v[94:95], v[116:117], v[100:101], v[96:97] op_sel_hi:[1,0,1]
	v_pk_add_f32 v[114:115], v[130:131], v[146:147]
	v_pk_fma_f32 v[96:97], v[116:117], v[100:101], v[96:97] neg_lo:[0,0,1] neg_hi:[0,0,1]
	v_pk_fma_f32 v[130:131], v[118:119], v[102:103], v[152:153] op_sel_hi:[1,0,1]
	v_pk_mul_f32 v[136:137], v[138:139], v[154:155] op_sel_hi:[1,0]
	v_mov_b32_e32 v97, v95
	v_pk_add_f32 v[94:95], v[114:115], v[98:99]
	s_wait_loadcnt 0x2
	v_pk_mul_f32 v[132:133], v[122:123], v[106:107] op_sel:[1,1] op_sel_hi:[0,1]
	v_mov_b32_e32 v98, v109
	v_pk_fma_f32 v[100:101], v[118:119], v[102:103], v[152:153] neg_lo:[0,0,1] neg_hi:[0,0,1]
	v_mov_b32_e32 v101, v131
	v_pk_fma_f32 v[102:103], v[120:121], v[104:105], v[136:137] op_sel_hi:[1,0,1]
	v_pk_add_f32 v[94:95], v[94:95], v[96:97]
	v_pk_fma_f32 v[96:97], v[122:123], v[106:107], v[132:133] op_sel_hi:[1,0,1]
	v_pk_mul_f32 v[98:99], v[140:141], v[98:99] op_sel_hi:[1,0]
	v_pk_fma_f32 v[104:105], v[120:121], v[104:105], v[136:137] neg_lo:[0,0,1] neg_hi:[0,0,1]
	v_mov_b32_e32 v105, v103
	v_pk_add_f32 v[94:95], v[94:95], v[100:101]
	v_pk_fma_f32 v[102:103], v[122:123], v[106:107], v[132:133] neg_lo:[0,0,1] neg_hi:[0,0,1]
	v_mov_b32_e32 v103, v97
	v_pk_fma_f32 v[96:97], v[124:125], v[108:109], v[98:99] op_sel_hi:[1,0,1]
	s_wait_loadcnt 0x1
	v_pk_mul_f32 v[100:101], v[126:127], v[110:111] op_sel:[1,1] op_sel_hi:[0,1]
	v_pk_add_f32 v[94:95], v[94:95], v[104:105]
	v_mov_b32_e32 v96, v113
	v_pk_fma_f32 v[98:99], v[124:125], v[108:109], v[98:99] neg_lo:[0,0,1] neg_hi:[0,0,1]
	v_mov_b32_e32 v99, v97
	v_pk_fma_f32 v[104:105], v[126:127], v[110:111], v[100:101] op_sel_hi:[1,0,1]
	v_pk_add_f32 v[94:95], v[94:95], v[102:103]
	v_pk_mul_f32 v[96:97], v[142:143], v[96:97] op_sel_hi:[1,0]
	v_pk_fma_f32 v[100:101], v[126:127], v[110:111], v[100:101] neg_lo:[0,0,1] neg_hi:[0,0,1]
	s_delay_alu instid0(VALU_DEP_3) | instskip(NEXT) | instid1(VALU_DEP_3)
	v_pk_add_f32 v[94:95], v[94:95], v[98:99]
	v_pk_fma_f32 v[98:99], v[128:129], v[112:113], v[96:97] op_sel_hi:[1,0,1]
	v_mov_b32_e32 v101, v105
	v_pk_fma_f32 v[96:97], v[128:129], v[112:113], v[96:97] neg_lo:[0,0,1] neg_hi:[0,0,1]
	s_delay_alu instid0(VALU_DEP_3) | instskip(NEXT) | instid1(VALU_DEP_3)
	v_mov_b32_e32 v97, v99
	v_pk_add_f32 v[94:95], v[94:95], v[100:101]
	s_delay_alu instid0(VALU_DEP_1) | instskip(SKIP_1) | instid1(VALU_DEP_1)
	v_pk_add_f32 v[94:95], v[94:95], v[96:97]
	s_wait_loadcnt 0x0
	v_pk_add_f32 v[94:95], v[134:135], v[94:95] neg_lo:[0,1] neg_hi:[0,1]
	scratch_store_b64 off, v[94:95], off offset:280
	s_wait_xcnt 0x0
	v_cmpx_lt_u32_e32 34, v0
	s_cbranch_execz .LBB45_221
; %bb.220:
	scratch_load_b64 v[94:95], off, off offset:272
	v_mov_b64_e32 v[96:97], 0
	scratch_store_b64 off, v[96:97], off offset:272
	s_wait_loadcnt 0x0
	ds_store_b64 v1, v[94:95]
.LBB45_221:
	s_wait_xcnt 0x0
	s_or_b32 exec_lo, exec_lo, s0
	s_wait_storecnt_dscnt 0x0
	s_barrier_signal -1
	s_barrier_wait -1
	s_clause 0x6
	scratch_load_b128 v[94:97], off, off offset:280
	scratch_load_b128 v[98:101], off, off offset:296
	;; [unrolled: 1-line block ×5, first 2 shown]
	scratch_load_b64 v[134:135], off, off offset:360
	scratch_load_b64 v[136:137], off, off offset:272
	v_mov_b32_e32 v7, 0
	ds_load_2addr_b64 v[114:117], v7 offset0:83 offset1:84
	ds_load_2addr_b64 v[118:121], v7 offset0:85 offset1:86
	ds_load_2addr_b64 v[122:125], v7 offset0:87 offset1:88
	ds_load_2addr_b64 v[126:129], v7 offset0:89 offset1:90
	ds_load_2addr_b64 v[130:133], v7 offset0:81 offset1:82
	ds_load_b64 v[138:139], v7 offset:728
	s_mov_b32 s0, exec_lo
	s_wait_dscnt 0x5
	v_dual_mov_b32 v140, v117 :: v_dual_mov_b32 v141, v116
	s_wait_dscnt 0x2
	v_dual_mov_b32 v142, v121 :: v_dual_mov_b32 v147, v128
	v_dual_mov_b32 v143, v120 :: v_dual_mov_b32 v144, v125
	;; [unrolled: 1-line block ×3, first 2 shown]
	s_wait_loadcnt_dscnt 0x601
	v_dual_mul_f32 v9, v130, v95 :: v_dual_mul_f32 v11, v131, v95
	v_dual_mul_f32 v13, v133, v97 :: v_dual_mul_f32 v149, v132, v97
	s_wait_loadcnt 0x5
	v_dual_mul_f32 v151, v114, v99 :: v_dual_mul_f32 v15, v115, v99
	s_wait_loadcnt 0x4
	v_dual_mov_b32 v150, v101 :: v_dual_mov_b32 v154, v105
	v_dual_fmac_f32 v9, v131, v94 :: v_dual_fma_f32 v11, v130, v94, -v11
	v_fmac_f32_e32 v149, v133, v96
	v_pk_mul_f32 v[152:153], v[118:119], v[102:103] op_sel:[1,1] op_sel_hi:[0,1]
	s_delay_alu instid0(VALU_DEP_3)
	v_dual_fma_f32 v148, v132, v96, -v13 :: v_dual_add_f32 v97, 0, v9
	v_pk_mul_f32 v[94:95], v[140:141], v[150:151] op_sel_hi:[1,0]
	s_wait_loadcnt 0x3
	v_dual_add_f32 v96, 0, v11 :: v_dual_mov_b32 v130, v109
	v_fmac_f32_e32 v151, v115, v98
	v_fma_f32 v150, v114, v98, -v15
	v_pk_fma_f32 v[98:99], v[116:117], v[100:101], v[94:95] op_sel_hi:[1,0,1]
	s_delay_alu instid0(VALU_DEP_4) | instskip(SKIP_4) | instid1(VALU_DEP_4)
	v_pk_add_f32 v[96:97], v[96:97], v[148:149]
	v_pk_fma_f32 v[114:115], v[118:119], v[102:103], v[152:153] op_sel_hi:[1,0,1]
	v_pk_fma_f32 v[94:95], v[116:117], v[100:101], v[94:95] neg_lo:[0,0,1] neg_hi:[0,0,1]
	v_pk_fma_f32 v[100:101], v[118:119], v[102:103], v[152:153] neg_lo:[0,0,1] neg_hi:[0,0,1]
	v_pk_mul_f32 v[132:133], v[142:143], v[154:155] op_sel_hi:[1,0]
	v_dual_mov_b32 v95, v99 :: v_dual_mov_b32 v101, v115
	v_pk_add_f32 v[96:97], v[96:97], v[150:151]
	v_pk_mul_f32 v[156:157], v[122:123], v[106:107] op_sel:[1,1] op_sel_hi:[0,1]
	s_delay_alu instid0(VALU_DEP_4)
	v_pk_fma_f32 v[102:103], v[120:121], v[104:105], v[132:133] op_sel_hi:[1,0,1]
	v_pk_fma_f32 v[104:105], v[120:121], v[104:105], v[132:133] neg_lo:[0,0,1] neg_hi:[0,0,1]
	v_pk_mul_f32 v[114:115], v[144:145], v[130:131] op_sel_hi:[1,0]
	v_pk_add_f32 v[94:95], v[96:97], v[94:95]
	v_pk_fma_f32 v[96:97], v[122:123], v[106:107], v[156:157] op_sel_hi:[1,0,1]
	s_wait_loadcnt 0x2
	v_dual_mov_b32 v105, v103 :: v_dual_mov_b32 v96, v113
	v_pk_mul_f32 v[98:99], v[126:127], v[110:111] op_sel:[1,1] op_sel_hi:[0,1]
	v_pk_add_f32 v[94:95], v[94:95], v[100:101]
	v_pk_fma_f32 v[100:101], v[122:123], v[106:107], v[156:157] neg_lo:[0,0,1] neg_hi:[0,0,1]
	v_pk_fma_f32 v[102:103], v[124:125], v[108:109], v[114:115] op_sel_hi:[1,0,1]
	v_mov_b32_e32 v101, v97
	v_pk_fma_f32 v[106:107], v[124:125], v[108:109], v[114:115] neg_lo:[0,0,1] neg_hi:[0,0,1]
	v_pk_add_f32 v[94:95], v[94:95], v[104:105]
	v_pk_fma_f32 v[104:105], v[126:127], v[110:111], v[98:99] op_sel_hi:[1,0,1]
	v_pk_mul_f32 v[96:97], v[146:147], v[96:97] op_sel_hi:[1,0]
	v_mov_b32_e32 v107, v103
	v_pk_fma_f32 v[98:99], v[126:127], v[110:111], v[98:99] neg_lo:[0,0,1] neg_hi:[0,0,1]
	v_pk_add_f32 v[94:95], v[94:95], v[100:101]
	s_wait_loadcnt_dscnt 0x100
	v_pk_mul_f32 v[102:103], v[138:139], v[134:135] op_sel:[1,1] op_sel_hi:[0,1]
	v_pk_fma_f32 v[100:101], v[128:129], v[112:113], v[96:97] op_sel_hi:[1,0,1]
	v_mov_b32_e32 v99, v105
	v_pk_fma_f32 v[96:97], v[128:129], v[112:113], v[96:97] neg_lo:[0,0,1] neg_hi:[0,0,1]
	v_pk_add_f32 v[94:95], v[94:95], v[106:107]
	s_delay_alu instid0(VALU_DEP_4) | instskip(SKIP_1) | instid1(VALU_DEP_3)
	v_mov_b32_e32 v97, v101
	v_pk_fma_f32 v[100:101], v[138:139], v[134:135], v[102:103] neg_lo:[0,0,1] neg_hi:[0,0,1]
	v_pk_add_f32 v[94:95], v[94:95], v[98:99]
	v_pk_fma_f32 v[98:99], v[138:139], v[134:135], v[102:103] op_sel_hi:[1,0,1]
	s_delay_alu instid0(VALU_DEP_2) | instskip(NEXT) | instid1(VALU_DEP_2)
	v_pk_add_f32 v[94:95], v[94:95], v[96:97]
	v_mov_b32_e32 v101, v99
	s_delay_alu instid0(VALU_DEP_1) | instskip(SKIP_1) | instid1(VALU_DEP_1)
	v_pk_add_f32 v[94:95], v[94:95], v[100:101]
	s_wait_loadcnt 0x0
	v_pk_add_f32 v[94:95], v[136:137], v[94:95] neg_lo:[0,1] neg_hi:[0,1]
	scratch_store_b64 off, v[94:95], off offset:272
	s_wait_xcnt 0x0
	v_cmpx_lt_u32_e32 33, v0
	s_cbranch_execz .LBB45_223
; %bb.222:
	scratch_load_b64 v[94:95], off, off offset:264
	v_mov_b64_e32 v[96:97], 0
	scratch_store_b64 off, v[96:97], off offset:264
	s_wait_loadcnt 0x0
	ds_store_b64 v1, v[94:95]
.LBB45_223:
	s_wait_xcnt 0x0
	s_or_b32 exec_lo, exec_lo, s0
	s_wait_storecnt_dscnt 0x0
	s_barrier_signal -1
	s_barrier_wait -1
	s_clause 0x6
	scratch_load_b128 v[94:97], off, off offset:272
	scratch_load_b128 v[98:101], off, off offset:288
	;; [unrolled: 1-line block ×6, first 2 shown]
	scratch_load_b64 v[142:143], off, off offset:264
	ds_load_b128 v[118:121], v7 offset:672
	ds_load_b128 v[122:125], v7 offset:688
	ds_load_b128 v[126:129], v7 offset:704
	ds_load_b128 v[130:133], v7 offset:720
	ds_load_b128 v[134:137], v7 offset:640
	ds_load_b128 v[138:141], v7 offset:656
	s_mov_b32 s0, exec_lo
	s_wait_dscnt 0x5
	v_dual_mov_b32 v144, v121 :: v_dual_mov_b32 v145, v120
	s_wait_dscnt 0x4
	v_dual_mov_b32 v146, v125 :: v_dual_mov_b32 v147, v124
	s_wait_dscnt 0x3
	v_dual_mov_b32 v148, v129 :: v_dual_mov_b32 v149, v128
	s_wait_dscnt 0x2
	v_dual_mov_b32 v150, v133 :: v_dual_mov_b32 v151, v132
	s_wait_loadcnt_dscnt 0x601
	v_dual_mul_f32 v7, v134, v95 :: v_dual_mul_f32 v9, v136, v97
	v_dual_mul_f32 v11, v135, v95 :: v_dual_mul_f32 v13, v137, v97
	s_wait_loadcnt 0x4
	s_delay_alu instid0(VALU_DEP_2)
	v_dual_mov_b32 v158, v105 :: v_dual_fmac_f32 v7, v135, v94
	s_wait_dscnt 0x0
	v_dual_mul_f32 v153, v138, v99 :: v_dual_mul_f32 v155, v140, v101
	v_dual_fma_f32 v11, v134, v94, -v11 :: v_dual_fmac_f32 v9, v137, v96
	v_dual_mul_f32 v15, v139, v99 :: v_dual_mul_f32 v17, v141, v101
	v_dual_fma_f32 v13, v136, v96, -v13 :: v_dual_add_f32 v7, 0, v7
	s_wait_loadcnt 0x3
	s_delay_alu instid0(VALU_DEP_3) | instskip(SKIP_3) | instid1(VALU_DEP_4)
	v_dual_add_f32 v11, 0, v11 :: v_dual_mov_b32 v96, v109
	v_pk_mul_f32 v[156:157], v[118:119], v[102:103] op_sel:[1,1] op_sel_hi:[0,1]
	v_dual_fmac_f32 v153, v139, v98 :: v_dual_fma_f32 v152, v138, v98, -v15
	v_dual_add_f32 v99, v7, v9 :: v_dual_fmac_f32 v155, v141, v100
	v_dual_add_f32 v98, v11, v13 :: v_dual_fma_f32 v154, v140, v100, -v17
	s_delay_alu instid0(VALU_DEP_4) | instskip(SKIP_2) | instid1(VALU_DEP_4)
	v_pk_fma_f32 v[100:101], v[118:119], v[102:103], v[156:157] op_sel_hi:[1,0,1]
	v_pk_mul_f32 v[134:135], v[144:145], v[158:159] op_sel_hi:[1,0]
	v_pk_fma_f32 v[102:103], v[118:119], v[102:103], v[156:157] neg_lo:[0,0,1] neg_hi:[0,0,1]
	v_pk_add_f32 v[98:99], v[98:99], v[152:153]
	v_pk_mul_f32 v[94:95], v[122:123], v[106:107] op_sel:[1,1] op_sel_hi:[0,1]
	v_mov_b32_e32 v103, v101
	v_pk_fma_f32 v[100:101], v[120:121], v[104:105], v[134:135] op_sel_hi:[1,0,1]
	v_pk_fma_f32 v[104:105], v[120:121], v[104:105], v[134:135] neg_lo:[0,0,1] neg_hi:[0,0,1]
	v_pk_add_f32 v[98:99], v[98:99], v[154:155]
	v_pk_fma_f32 v[118:119], v[122:123], v[106:107], v[94:95] op_sel_hi:[1,0,1]
	v_pk_mul_f32 v[96:97], v[146:147], v[96:97] op_sel_hi:[1,0]
	v_mov_b32_e32 v105, v101
	v_pk_fma_f32 v[94:95], v[122:123], v[106:107], v[94:95] neg_lo:[0,0,1] neg_hi:[0,0,1]
	v_pk_add_f32 v[98:99], v[98:99], v[102:103]
	s_wait_loadcnt 0x2
	v_pk_mul_f32 v[136:137], v[126:127], v[110:111] op_sel:[1,1] op_sel_hi:[0,1]
	v_dual_mov_b32 v100, v113 :: v_dual_mov_b32 v95, v119
	v_pk_fma_f32 v[102:103], v[124:125], v[108:109], v[96:97] op_sel_hi:[1,0,1]
	v_pk_add_f32 v[98:99], v[98:99], v[104:105]
	v_pk_fma_f32 v[96:97], v[124:125], v[108:109], v[96:97] neg_lo:[0,0,1] neg_hi:[0,0,1]
	v_pk_fma_f32 v[104:105], v[126:127], v[110:111], v[136:137] op_sel_hi:[1,0,1]
	v_pk_mul_f32 v[100:101], v[148:149], v[100:101] op_sel_hi:[1,0]
	v_mov_b32_e32 v97, v103
	v_pk_add_f32 v[94:95], v[98:99], v[94:95]
	v_pk_fma_f32 v[102:103], v[126:127], v[110:111], v[136:137] neg_lo:[0,0,1] neg_hi:[0,0,1]
	s_wait_loadcnt 0x1
	v_pk_mul_f32 v[98:99], v[130:131], v[114:115] op_sel:[1,1] op_sel_hi:[0,1]
	v_mov_b32_e32 v103, v105
	v_pk_fma_f32 v[104:105], v[128:129], v[112:113], v[100:101] op_sel_hi:[1,0,1]
	v_pk_add_f32 v[94:95], v[94:95], v[96:97]
	v_mov_b32_e32 v96, v117
	v_pk_fma_f32 v[100:101], v[128:129], v[112:113], v[100:101] neg_lo:[0,0,1] neg_hi:[0,0,1]
	v_pk_fma_f32 v[106:107], v[130:131], v[114:115], v[98:99] op_sel_hi:[1,0,1]
	v_mov_b32_e32 v101, v105
	v_pk_add_f32 v[94:95], v[94:95], v[102:103]
	v_pk_mul_f32 v[96:97], v[150:151], v[96:97] op_sel_hi:[1,0]
	v_pk_fma_f32 v[98:99], v[130:131], v[114:115], v[98:99] neg_lo:[0,0,1] neg_hi:[0,0,1]
	s_delay_alu instid0(VALU_DEP_3) | instskip(NEXT) | instid1(VALU_DEP_3)
	v_pk_add_f32 v[94:95], v[94:95], v[100:101]
	v_pk_fma_f32 v[100:101], v[132:133], v[116:117], v[96:97] op_sel_hi:[1,0,1]
	v_mov_b32_e32 v99, v107
	v_pk_fma_f32 v[96:97], v[132:133], v[116:117], v[96:97] neg_lo:[0,0,1] neg_hi:[0,0,1]
	s_delay_alu instid0(VALU_DEP_3) | instskip(NEXT) | instid1(VALU_DEP_3)
	v_mov_b32_e32 v97, v101
	v_pk_add_f32 v[94:95], v[94:95], v[98:99]
	s_delay_alu instid0(VALU_DEP_1) | instskip(SKIP_1) | instid1(VALU_DEP_1)
	v_pk_add_f32 v[94:95], v[94:95], v[96:97]
	s_wait_loadcnt 0x0
	v_pk_add_f32 v[94:95], v[142:143], v[94:95] neg_lo:[0,1] neg_hi:[0,1]
	scratch_store_b64 off, v[94:95], off offset:264
	s_wait_xcnt 0x0
	v_cmpx_lt_u32_e32 32, v0
	s_cbranch_execz .LBB45_225
; %bb.224:
	scratch_load_b64 v[94:95], off, off offset:256
	v_mov_b64_e32 v[96:97], 0
	scratch_store_b64 off, v[96:97], off offset:256
	s_wait_loadcnt 0x0
	ds_store_b64 v1, v[94:95]
.LBB45_225:
	s_wait_xcnt 0x0
	s_or_b32 exec_lo, exec_lo, s0
	s_wait_storecnt_dscnt 0x0
	s_barrier_signal -1
	s_barrier_wait -1
	s_clause 0x7
	scratch_load_b128 v[94:97], off, off offset:264
	scratch_load_b128 v[98:101], off, off offset:280
	scratch_load_b128 v[102:105], off, off offset:296
	scratch_load_b128 v[106:109], off, off offset:312
	scratch_load_b128 v[110:113], off, off offset:328
	scratch_load_b128 v[114:117], off, off offset:344
	scratch_load_b64 v[142:143], off, off offset:360
	scratch_load_b64 v[144:145], off, off offset:256
	v_mov_b32_e32 v7, 0
	ds_load_2addr_b64 v[118:121], v7 offset0:83 offset1:84
	ds_load_2addr_b64 v[122:125], v7 offset0:85 offset1:86
	;; [unrolled: 1-line block ×6, first 2 shown]
	ds_load_b64 v[146:147], v7 offset:728
	s_mov_b32 s0, exec_lo
	s_wait_dscnt 0x6
	v_dual_mov_b32 v148, v121 :: v_dual_mov_b32 v149, v120
	s_wait_dscnt 0x3
	v_dual_mov_b32 v150, v125 :: v_dual_mov_b32 v155, v132
	v_dual_mov_b32 v151, v124 :: v_dual_mov_b32 v152, v129
	;; [unrolled: 1-line block ×3, first 2 shown]
	s_wait_loadcnt_dscnt 0x702
	v_dual_mul_f32 v9, v134, v95 :: v_dual_mul_f32 v15, v135, v95
	v_dual_mul_f32 v17, v137, v97 :: v_dual_mul_f32 v11, v136, v97
	s_wait_loadcnt_dscnt 0x601
	s_delay_alu instid0(VALU_DEP_2) | instskip(NEXT) | instid1(VALU_DEP_3)
	v_dual_mul_f32 v13, v138, v99 :: v_dual_fmac_f32 v9, v135, v94
	v_dual_fma_f32 v15, v134, v94, -v15 :: v_dual_mul_f32 v19, v139, v99
	v_mul_f32_e32 v21, v141, v101
	s_wait_loadcnt 0x4
	v_dual_mov_b32 v94, v109 :: v_dual_fma_f32 v17, v136, v96, -v17
	v_dual_fmac_f32 v11, v137, v96 :: v_dual_add_f32 v9, 0, v9
	v_dual_add_f32 v15, 0, v15 :: v_dual_fmac_f32 v13, v139, v98
	v_dual_mul_f32 v157, v140, v101 :: v_dual_mul_f32 v159, v118, v103
	v_dual_mul_f32 v23, v119, v103 :: v_dual_mov_b32 v158, v105
	s_delay_alu instid0(VALU_DEP_4) | instskip(NEXT) | instid1(VALU_DEP_3)
	v_dual_fma_f32 v19, v138, v98, -v19 :: v_dual_add_f32 v9, v9, v11
	v_dual_add_f32 v11, v15, v17 :: v_dual_fmac_f32 v157, v141, v100
	v_pk_mul_f32 v[160:161], v[122:123], v[106:107] op_sel:[1,1] op_sel_hi:[0,1]
	s_delay_alu instid0(VALU_DEP_3)
	v_dual_fma_f32 v156, v140, v100, -v21 :: v_dual_add_f32 v101, v9, v13
	v_pk_mul_f32 v[98:99], v[148:149], v[158:159] op_sel_hi:[1,0]
	s_wait_loadcnt 0x3
	v_dual_add_f32 v100, v11, v19 :: v_dual_mov_b32 v134, v113
	v_fmac_f32_e32 v159, v119, v102
	v_fma_f32 v158, v118, v102, -v23
	v_pk_fma_f32 v[102:103], v[120:121], v[104:105], v[98:99] op_sel_hi:[1,0,1]
	s_delay_alu instid0(VALU_DEP_4) | instskip(SKIP_4) | instid1(VALU_DEP_4)
	v_pk_add_f32 v[100:101], v[100:101], v[156:157]
	v_pk_fma_f32 v[118:119], v[122:123], v[106:107], v[160:161] op_sel_hi:[1,0,1]
	v_pk_fma_f32 v[98:99], v[120:121], v[104:105], v[98:99] neg_lo:[0,0,1] neg_hi:[0,0,1]
	v_pk_fma_f32 v[104:105], v[122:123], v[106:107], v[160:161] neg_lo:[0,0,1] neg_hi:[0,0,1]
	v_pk_mul_f32 v[94:95], v[150:151], v[94:95] op_sel_hi:[1,0]
	v_dual_mov_b32 v99, v103 :: v_dual_mov_b32 v105, v119
	v_pk_add_f32 v[100:101], v[100:101], v[158:159]
	v_pk_mul_f32 v[96:97], v[126:127], v[110:111] op_sel:[1,1] op_sel_hi:[0,1]
	s_delay_alu instid0(VALU_DEP_4)
	v_pk_fma_f32 v[106:107], v[124:125], v[108:109], v[94:95] op_sel_hi:[1,0,1]
	v_pk_fma_f32 v[94:95], v[124:125], v[108:109], v[94:95] neg_lo:[0,0,1] neg_hi:[0,0,1]
	v_pk_mul_f32 v[118:119], v[152:153], v[134:135] op_sel_hi:[1,0]
	v_pk_add_f32 v[98:99], v[100:101], v[98:99]
	v_pk_fma_f32 v[100:101], v[126:127], v[110:111], v[96:97] op_sel_hi:[1,0,1]
	s_wait_loadcnt 0x2
	v_dual_mov_b32 v95, v107 :: v_dual_mov_b32 v100, v117
	v_pk_fma_f32 v[96:97], v[126:127], v[110:111], v[96:97] neg_lo:[0,0,1] neg_hi:[0,0,1]
	v_pk_add_f32 v[98:99], v[98:99], v[104:105]
	v_pk_mul_f32 v[102:103], v[130:131], v[114:115] op_sel:[1,1] op_sel_hi:[0,1]
	v_pk_fma_f32 v[104:105], v[128:129], v[112:113], v[118:119] op_sel_hi:[1,0,1]
	v_mov_b32_e32 v97, v101
	v_pk_fma_f32 v[106:107], v[128:129], v[112:113], v[118:119] neg_lo:[0,0,1] neg_hi:[0,0,1]
	v_pk_add_f32 v[94:95], v[98:99], v[94:95]
	v_pk_fma_f32 v[98:99], v[130:131], v[114:115], v[102:103] op_sel_hi:[1,0,1]
	v_pk_mul_f32 v[100:101], v[154:155], v[100:101] op_sel_hi:[1,0]
	v_mov_b32_e32 v107, v105
	s_delay_alu instid0(VALU_DEP_4)
	v_pk_add_f32 v[94:95], v[94:95], v[96:97]
	v_pk_fma_f32 v[96:97], v[130:131], v[114:115], v[102:103] neg_lo:[0,0,1] neg_hi:[0,0,1]
	v_mov_b32_e32 v97, v99
	v_pk_fma_f32 v[98:99], v[132:133], v[116:117], v[100:101] op_sel_hi:[1,0,1]
	s_wait_loadcnt_dscnt 0x100
	v_pk_mul_f32 v[102:103], v[146:147], v[142:143] op_sel:[1,1] op_sel_hi:[0,1]
	v_pk_add_f32 v[94:95], v[94:95], v[106:107]
	v_pk_fma_f32 v[100:101], v[132:133], v[116:117], v[100:101] neg_lo:[0,0,1] neg_hi:[0,0,1]
	v_mov_b32_e32 v101, v99
	s_delay_alu instid0(VALU_DEP_4) | instskip(NEXT) | instid1(VALU_DEP_4)
	v_pk_fma_f32 v[98:99], v[146:147], v[142:143], v[102:103] neg_lo:[0,0,1] neg_hi:[0,0,1]
	v_pk_add_f32 v[94:95], v[94:95], v[96:97]
	v_pk_fma_f32 v[96:97], v[146:147], v[142:143], v[102:103] op_sel_hi:[1,0,1]
	s_delay_alu instid0(VALU_DEP_2) | instskip(NEXT) | instid1(VALU_DEP_2)
	v_pk_add_f32 v[94:95], v[94:95], v[100:101]
	v_mov_b32_e32 v99, v97
	s_delay_alu instid0(VALU_DEP_1) | instskip(SKIP_1) | instid1(VALU_DEP_1)
	v_pk_add_f32 v[94:95], v[94:95], v[98:99]
	s_wait_loadcnt 0x0
	v_pk_add_f32 v[94:95], v[144:145], v[94:95] neg_lo:[0,1] neg_hi:[0,1]
	scratch_store_b64 off, v[94:95], off offset:256
	s_wait_xcnt 0x0
	v_cmpx_lt_u32_e32 31, v0
	s_cbranch_execz .LBB45_227
; %bb.226:
	scratch_load_b64 v[94:95], off, off offset:248
	v_mov_b64_e32 v[96:97], 0
	scratch_store_b64 off, v[96:97], off offset:248
	s_wait_loadcnt 0x0
	ds_store_b64 v1, v[94:95]
.LBB45_227:
	s_wait_xcnt 0x0
	s_or_b32 exec_lo, exec_lo, s0
	s_wait_storecnt_dscnt 0x0
	s_barrier_signal -1
	s_barrier_wait -1
	s_clause 0x7
	scratch_load_b128 v[94:97], off, off offset:256
	scratch_load_b128 v[98:101], off, off offset:272
	scratch_load_b128 v[102:105], off, off offset:288
	scratch_load_b128 v[106:109], off, off offset:304
	scratch_load_b128 v[110:113], off, off offset:320
	scratch_load_b128 v[114:117], off, off offset:336
	scratch_load_b128 v[118:121], off, off offset:352
	scratch_load_b64 v[150:151], off, off offset:248
	ds_load_b128 v[122:125], v7 offset:672
	ds_load_b128 v[126:129], v7 offset:688
	;; [unrolled: 1-line block ×7, first 2 shown]
	s_mov_b32 s0, exec_lo
	s_wait_dscnt 0x6
	v_dual_mov_b32 v152, v125 :: v_dual_mov_b32 v153, v124
	s_wait_dscnt 0x5
	v_dual_mov_b32 v154, v129 :: v_dual_mov_b32 v155, v128
	;; [unrolled: 2-line block ×4, first 2 shown]
	s_wait_loadcnt_dscnt 0x702
	v_dual_mul_f32 v7, v138, v95 :: v_dual_mul_f32 v9, v140, v97
	v_dual_mul_f32 v15, v139, v95 :: v_dual_mul_f32 v17, v141, v97
	s_wait_loadcnt_dscnt 0x601
	v_dual_mul_f32 v11, v142, v99 :: v_dual_mul_f32 v13, v144, v101
	s_delay_alu instid0(VALU_DEP_3) | instskip(NEXT) | instid1(VALU_DEP_3)
	v_dual_fmac_f32 v7, v139, v94 :: v_dual_fmac_f32 v9, v141, v96
	v_dual_fma_f32 v15, v138, v94, -v15 :: v_dual_fma_f32 v17, v140, v96, -v17
	v_dual_mul_f32 v19, v143, v99 :: v_dual_mul_f32 v21, v145, v101
	s_wait_loadcnt 0x4
	s_delay_alu instid0(VALU_DEP_3) | instskip(NEXT) | instid1(VALU_DEP_3)
	v_dual_add_f32 v7, 0, v7 :: v_dual_mov_b32 v96, v109
	v_dual_add_f32 v15, 0, v15 :: v_dual_fmac_f32 v11, v143, v98
	s_delay_alu instid0(VALU_DEP_2) | instskip(SKIP_2) | instid1(VALU_DEP_3)
	v_dual_fma_f32 v19, v142, v98, -v19 :: v_dual_add_f32 v7, v7, v9
	s_wait_dscnt 0x0
	v_dual_mul_f32 v161, v146, v103 :: v_dual_mul_f32 v163, v148, v105
	v_dual_add_f32 v9, v15, v17 :: v_dual_fmac_f32 v13, v145, v100
	v_dual_mul_f32 v23, v147, v103 :: v_dual_mul_f32 v25, v149, v105
	v_dual_fma_f32 v15, v144, v100, -v21 :: v_dual_add_f32 v7, v7, v11
	s_delay_alu instid0(VALU_DEP_3) | instskip(SKIP_3) | instid1(VALU_DEP_3)
	v_dual_add_f32 v9, v9, v19 :: v_dual_fmac_f32 v161, v147, v102
	v_pk_mul_f32 v[94:95], v[122:123], v[106:107] op_sel:[1,1] op_sel_hi:[0,1]
	s_wait_loadcnt 0x3
	v_dual_mov_b32 v100, v113 :: v_dual_fma_f32 v160, v146, v102, -v23
	v_dual_add_f32 v103, v7, v13 :: v_dual_add_f32 v102, v9, v15
	v_dual_fmac_f32 v163, v149, v104 :: v_dual_fma_f32 v162, v148, v104, -v25
	v_pk_fma_f32 v[104:105], v[122:123], v[106:107], v[94:95] op_sel_hi:[1,0,1]
	v_pk_mul_f32 v[96:97], v[152:153], v[96:97] op_sel_hi:[1,0]
	s_delay_alu instid0(VALU_DEP_4)
	v_pk_add_f32 v[102:103], v[102:103], v[160:161]
	v_pk_fma_f32 v[94:95], v[122:123], v[106:107], v[94:95] neg_lo:[0,0,1] neg_hi:[0,0,1]
	v_pk_mul_f32 v[98:99], v[126:127], v[110:111] op_sel:[1,1] op_sel_hi:[0,1]
	v_mov_b32_e32 v95, v105
	v_pk_fma_f32 v[104:105], v[124:125], v[108:109], v[96:97] op_sel_hi:[1,0,1]
	v_pk_add_f32 v[102:103], v[102:103], v[162:163]
	v_pk_fma_f32 v[96:97], v[124:125], v[108:109], v[96:97] neg_lo:[0,0,1] neg_hi:[0,0,1]
	v_pk_fma_f32 v[106:107], v[126:127], v[110:111], v[98:99] op_sel_hi:[1,0,1]
	v_pk_mul_f32 v[100:101], v[154:155], v[100:101] op_sel_hi:[1,0]
	v_mov_b32_e32 v97, v105
	v_pk_add_f32 v[94:95], v[102:103], v[94:95]
	s_wait_loadcnt 0x2
	v_pk_mul_f32 v[138:139], v[130:131], v[114:115] op_sel:[1,1] op_sel_hi:[0,1]
	v_mov_b32_e32 v102, v117
	v_pk_fma_f32 v[98:99], v[126:127], v[110:111], v[98:99] neg_lo:[0,0,1] neg_hi:[0,0,1]
	v_mov_b32_e32 v99, v107
	v_pk_fma_f32 v[104:105], v[128:129], v[112:113], v[100:101] op_sel_hi:[1,0,1]
	v_pk_add_f32 v[94:95], v[94:95], v[96:97]
	v_pk_fma_f32 v[96:97], v[130:131], v[114:115], v[138:139] op_sel_hi:[1,0,1]
	v_pk_mul_f32 v[102:103], v[156:157], v[102:103] op_sel_hi:[1,0]
	v_pk_fma_f32 v[100:101], v[128:129], v[112:113], v[100:101] neg_lo:[0,0,1] neg_hi:[0,0,1]
	v_mov_b32_e32 v101, v105
	v_pk_add_f32 v[94:95], v[94:95], v[98:99]
	v_pk_fma_f32 v[104:105], v[130:131], v[114:115], v[138:139] neg_lo:[0,0,1] neg_hi:[0,0,1]
	v_mov_b32_e32 v105, v97
	v_pk_fma_f32 v[96:97], v[132:133], v[116:117], v[102:103] op_sel_hi:[1,0,1]
	s_wait_loadcnt 0x1
	v_pk_mul_f32 v[98:99], v[134:135], v[118:119] op_sel:[1,1] op_sel_hi:[0,1]
	v_pk_add_f32 v[94:95], v[94:95], v[100:101]
	v_mov_b32_e32 v96, v121
	v_pk_fma_f32 v[102:103], v[132:133], v[116:117], v[102:103] neg_lo:[0,0,1] neg_hi:[0,0,1]
	v_mov_b32_e32 v103, v97
	v_pk_fma_f32 v[100:101], v[134:135], v[118:119], v[98:99] op_sel_hi:[1,0,1]
	v_pk_add_f32 v[94:95], v[94:95], v[104:105]
	v_pk_mul_f32 v[96:97], v[158:159], v[96:97] op_sel_hi:[1,0]
	v_pk_fma_f32 v[98:99], v[134:135], v[118:119], v[98:99] neg_lo:[0,0,1] neg_hi:[0,0,1]
	s_delay_alu instid0(VALU_DEP_4) | instskip(NEXT) | instid1(VALU_DEP_4)
	v_mov_b32_e32 v99, v101
	v_pk_add_f32 v[94:95], v[94:95], v[102:103]
	s_delay_alu instid0(VALU_DEP_4) | instskip(SKIP_1) | instid1(VALU_DEP_2)
	v_pk_fma_f32 v[100:101], v[136:137], v[120:121], v[96:97] op_sel_hi:[1,0,1]
	v_pk_fma_f32 v[96:97], v[136:137], v[120:121], v[96:97] neg_lo:[0,0,1] neg_hi:[0,0,1]
	v_mov_b32_e32 v97, v101
	s_delay_alu instid0(VALU_DEP_4) | instskip(NEXT) | instid1(VALU_DEP_1)
	v_pk_add_f32 v[94:95], v[94:95], v[98:99]
	v_pk_add_f32 v[94:95], v[94:95], v[96:97]
	s_wait_loadcnt 0x0
	s_delay_alu instid0(VALU_DEP_1)
	v_pk_add_f32 v[94:95], v[150:151], v[94:95] neg_lo:[0,1] neg_hi:[0,1]
	scratch_store_b64 off, v[94:95], off offset:248
	s_wait_xcnt 0x0
	v_cmpx_lt_u32_e32 30, v0
	s_cbranch_execz .LBB45_229
; %bb.228:
	scratch_load_b64 v[94:95], off, off offset:240
	v_mov_b64_e32 v[96:97], 0
	scratch_store_b64 off, v[96:97], off offset:240
	s_wait_loadcnt 0x0
	ds_store_b64 v1, v[94:95]
.LBB45_229:
	s_wait_xcnt 0x0
	s_or_b32 exec_lo, exec_lo, s0
	s_wait_storecnt_dscnt 0x0
	s_barrier_signal -1
	s_barrier_wait -1
	s_clause 0x8
	scratch_load_b128 v[94:97], off, off offset:248
	scratch_load_b128 v[98:101], off, off offset:264
	;; [unrolled: 1-line block ×7, first 2 shown]
	scratch_load_b64 v[150:151], off, off offset:360
	scratch_load_b64 v[152:153], off, off offset:240
	v_mov_b32_e32 v7, 0
	ds_load_2addr_b64 v[122:125], v7 offset0:83 offset1:84
	ds_load_2addr_b64 v[126:129], v7 offset0:85 offset1:86
	;; [unrolled: 1-line block ×7, first 2 shown]
	ds_load_b64 v[154:155], v7 offset:728
	s_mov_b32 s0, exec_lo
	s_wait_dscnt 0x7
	v_dual_mov_b32 v156, v125 :: v_dual_mov_b32 v157, v124
	s_wait_dscnt 0x4
	v_dual_mov_b32 v158, v129 :: v_dual_mov_b32 v163, v136
	v_dual_mov_b32 v159, v128 :: v_dual_mov_b32 v160, v133
	;; [unrolled: 1-line block ×3, first 2 shown]
	s_wait_loadcnt_dscnt 0x803
	v_dual_mul_f32 v9, v138, v95 :: v_dual_mul_f32 v19, v139, v95
	v_dual_mul_f32 v21, v141, v97 :: v_dual_mul_f32 v11, v140, v97
	s_wait_loadcnt_dscnt 0x702
	v_mul_f32_e32 v13, v142, v99
	s_wait_loadcnt 0x5
	v_dual_mul_f32 v31, v123, v107 :: v_dual_fma_f32 v19, v138, v94, -v19
	v_dual_fmac_f32 v9, v139, v94 :: v_dual_mov_b32 v94, v109
	v_dual_mul_f32 v23, v143, v99 :: v_dual_mul_f32 v25, v145, v101
	v_dual_fmac_f32 v11, v141, v96 :: v_dual_fma_f32 v21, v140, v96, -v21
	s_delay_alu instid0(VALU_DEP_3) | instskip(SKIP_3) | instid1(VALU_DEP_3)
	v_dual_add_f32 v9, 0, v9 :: v_dual_add_f32 v19, 0, v19
	s_wait_dscnt 0x1
	v_dual_mul_f32 v15, v144, v101 :: v_dual_mul_f32 v17, v146, v103
	v_dual_fmac_f32 v13, v143, v98 :: v_dual_fma_f32 v23, v142, v98, -v23
	v_dual_add_f32 v9, v9, v11 :: v_dual_add_f32 v11, v19, v21
	v_dual_mul_f32 v27, v147, v103 :: v_dual_mul_f32 v29, v149, v105
	s_wait_loadcnt 0x4
	v_dual_mov_b32 v98, v113 :: v_dual_fma_f32 v19, v144, v100, -v25
	s_delay_alu instid0(VALU_DEP_3) | instskip(SKIP_2) | instid1(VALU_DEP_2)
	v_dual_fmac_f32 v15, v145, v100 :: v_dual_add_f32 v11, v11, v23
	v_dual_add_f32 v9, v9, v13 :: v_dual_fmac_f32 v17, v147, v102
	v_dual_mul_f32 v165, v148, v105 :: v_dual_mul_f32 v167, v122, v107
	v_dual_fma_f32 v13, v146, v102, -v27 :: v_dual_add_f32 v9, v9, v15
	s_delay_alu instid0(VALU_DEP_2) | instskip(SKIP_1) | instid1(VALU_DEP_3)
	v_dual_add_f32 v11, v11, v19 :: v_dual_fmac_f32 v165, v149, v104
	v_pk_mul_f32 v[96:97], v[126:127], v[110:111] op_sel:[1,1] op_sel_hi:[0,1]
	v_dual_fma_f32 v164, v148, v104, -v29 :: v_dual_add_f32 v103, v9, v17
	v_pk_mul_f32 v[94:95], v[156:157], v[94:95] op_sel_hi:[1,0]
	s_wait_loadcnt 0x3
	v_dual_add_f32 v102, v11, v13 :: v_dual_mov_b32 v104, v117
	v_fmac_f32_e32 v167, v123, v106
	v_fma_f32 v166, v122, v106, -v31
	v_pk_fma_f32 v[106:107], v[124:125], v[108:109], v[94:95] op_sel_hi:[1,0,1]
	s_delay_alu instid0(VALU_DEP_4) | instskip(SKIP_4) | instid1(VALU_DEP_4)
	v_pk_add_f32 v[102:103], v[102:103], v[164:165]
	v_pk_fma_f32 v[122:123], v[126:127], v[110:111], v[96:97] op_sel_hi:[1,0,1]
	v_pk_fma_f32 v[94:95], v[124:125], v[108:109], v[94:95] neg_lo:[0,0,1] neg_hi:[0,0,1]
	v_pk_fma_f32 v[96:97], v[126:127], v[110:111], v[96:97] neg_lo:[0,0,1] neg_hi:[0,0,1]
	v_pk_mul_f32 v[98:99], v[158:159], v[98:99] op_sel_hi:[1,0]
	v_dual_mov_b32 v95, v107 :: v_dual_mov_b32 v97, v123
	v_pk_add_f32 v[102:103], v[102:103], v[166:167]
	v_pk_mul_f32 v[100:101], v[130:131], v[114:115] op_sel:[1,1] op_sel_hi:[0,1]
	s_delay_alu instid0(VALU_DEP_4)
	v_pk_fma_f32 v[108:109], v[128:129], v[112:113], v[98:99] op_sel_hi:[1,0,1]
	v_pk_fma_f32 v[98:99], v[128:129], v[112:113], v[98:99] neg_lo:[0,0,1] neg_hi:[0,0,1]
	v_pk_mul_f32 v[104:105], v[160:161], v[104:105] op_sel_hi:[1,0]
	v_pk_add_f32 v[94:95], v[102:103], v[94:95]
	v_pk_fma_f32 v[102:103], v[130:131], v[114:115], v[100:101] op_sel_hi:[1,0,1]
	v_mov_b32_e32 v99, v109
	v_pk_fma_f32 v[100:101], v[130:131], v[114:115], v[100:101] neg_lo:[0,0,1] neg_hi:[0,0,1]
	s_wait_loadcnt 0x2
	v_pk_mul_f32 v[106:107], v[134:135], v[118:119] op_sel:[1,1] op_sel_hi:[0,1]
	v_pk_add_f32 v[94:95], v[94:95], v[96:97]
	v_dual_mov_b32 v96, v121 :: v_dual_mov_b32 v101, v103
	v_pk_fma_f32 v[102:103], v[132:133], v[116:117], v[104:105] op_sel_hi:[1,0,1]
	v_pk_fma_f32 v[104:105], v[132:133], v[116:117], v[104:105] neg_lo:[0,0,1] neg_hi:[0,0,1]
	s_delay_alu instid0(VALU_DEP_4)
	v_pk_add_f32 v[94:95], v[94:95], v[98:99]
	v_pk_fma_f32 v[98:99], v[134:135], v[118:119], v[106:107] op_sel_hi:[1,0,1]
	v_pk_mul_f32 v[96:97], v[162:163], v[96:97] op_sel_hi:[1,0]
	v_mov_b32_e32 v105, v103
	s_wait_loadcnt_dscnt 0x100
	v_pk_mul_f32 v[102:103], v[154:155], v[150:151] op_sel:[1,1] op_sel_hi:[0,1]
	v_pk_add_f32 v[94:95], v[94:95], v[100:101]
	v_pk_fma_f32 v[100:101], v[134:135], v[118:119], v[106:107] neg_lo:[0,0,1] neg_hi:[0,0,1]
	v_mov_b32_e32 v101, v99
	v_pk_fma_f32 v[98:99], v[136:137], v[120:121], v[96:97] op_sel_hi:[1,0,1]
	v_pk_fma_f32 v[96:97], v[136:137], v[120:121], v[96:97] neg_lo:[0,0,1] neg_hi:[0,0,1]
	v_pk_add_f32 v[94:95], v[94:95], v[104:105]
	s_delay_alu instid0(VALU_DEP_3) | instskip(SKIP_1) | instid1(VALU_DEP_3)
	v_mov_b32_e32 v97, v99
	v_pk_fma_f32 v[98:99], v[154:155], v[150:151], v[102:103] op_sel_hi:[1,0,1]
	v_pk_add_f32 v[94:95], v[94:95], v[100:101]
	v_pk_fma_f32 v[100:101], v[154:155], v[150:151], v[102:103] neg_lo:[0,0,1] neg_hi:[0,0,1]
	s_delay_alu instid0(VALU_DEP_3) | instskip(NEXT) | instid1(VALU_DEP_3)
	v_mov_b32_e32 v101, v99
	v_pk_add_f32 v[94:95], v[94:95], v[96:97]
	s_delay_alu instid0(VALU_DEP_1) | instskip(SKIP_1) | instid1(VALU_DEP_1)
	v_pk_add_f32 v[94:95], v[94:95], v[100:101]
	s_wait_loadcnt 0x0
	v_pk_add_f32 v[94:95], v[152:153], v[94:95] neg_lo:[0,1] neg_hi:[0,1]
	scratch_store_b64 off, v[94:95], off offset:240
	s_wait_xcnt 0x0
	v_cmpx_lt_u32_e32 29, v0
	s_cbranch_execz .LBB45_231
; %bb.230:
	scratch_load_b64 v[94:95], off, off offset:232
	v_mov_b64_e32 v[96:97], 0
	scratch_store_b64 off, v[96:97], off offset:232
	s_wait_loadcnt 0x0
	ds_store_b64 v1, v[94:95]
.LBB45_231:
	s_wait_xcnt 0x0
	s_or_b32 exec_lo, exec_lo, s0
	s_wait_storecnt_dscnt 0x0
	s_barrier_signal -1
	s_barrier_wait -1
	s_clause 0x8
	scratch_load_b128 v[94:97], off, off offset:240
	scratch_load_b128 v[98:101], off, off offset:256
	;; [unrolled: 1-line block ×8, first 2 shown]
	scratch_load_b64 v[158:159], off, off offset:232
	ds_load_b128 v[126:129], v7 offset:672
	ds_load_b128 v[130:133], v7 offset:688
	;; [unrolled: 1-line block ×8, first 2 shown]
	s_mov_b32 s0, exec_lo
	s_wait_dscnt 0x7
	v_dual_mov_b32 v160, v129 :: v_dual_mov_b32 v161, v128
	s_wait_dscnt 0x6
	v_dual_mov_b32 v162, v133 :: v_dual_mov_b32 v163, v132
	;; [unrolled: 2-line block ×4, first 2 shown]
	s_wait_loadcnt_dscnt 0x803
	v_dual_mul_f32 v7, v142, v95 :: v_dual_mul_f32 v9, v144, v97
	v_dual_mul_f32 v19, v143, v95 :: v_dual_mul_f32 v21, v145, v97
	s_wait_loadcnt_dscnt 0x702
	v_dual_mul_f32 v11, v146, v99 :: v_dual_mul_f32 v13, v148, v101
	s_delay_alu instid0(VALU_DEP_3) | instskip(SKIP_3) | instid1(VALU_DEP_3)
	v_dual_fmac_f32 v7, v143, v94 :: v_dual_fmac_f32 v9, v145, v96
	s_wait_loadcnt_dscnt 0x500
	v_dual_fma_f32 v19, v142, v94, -v19 :: v_dual_mul_f32 v31, v155, v107
	v_dual_mul_f32 v23, v147, v99 :: v_dual_mul_f32 v25, v149, v101
	v_dual_fma_f32 v21, v144, v96, -v21 :: v_dual_add_f32 v7, 0, v7
	s_delay_alu instid0(VALU_DEP_3) | instskip(SKIP_1) | instid1(VALU_DEP_3)
	v_dual_add_f32 v19, 0, v19 :: v_dual_mul_f32 v33, v157, v109
	v_dual_fmac_f32 v11, v147, v98 :: v_dual_fmac_f32 v13, v149, v100
	v_dual_fma_f32 v23, v146, v98, -v23 :: v_dual_add_f32 v7, v7, v9
	s_delay_alu instid0(VALU_DEP_3) | instskip(SKIP_4) | instid1(VALU_DEP_3)
	v_dual_add_f32 v9, v19, v21 :: v_dual_fma_f32 v19, v148, v100, -v25
	v_dual_mul_f32 v15, v150, v103 :: v_dual_mul_f32 v17, v152, v105
	v_dual_mul_f32 v27, v151, v103 :: v_dual_mul_f32 v29, v153, v105
	s_wait_loadcnt 0x4
	v_dual_add_f32 v7, v7, v11 :: v_dual_mov_b32 v96, v113
	v_dual_add_f32 v9, v9, v23 :: v_dual_fmac_f32 v15, v151, v102
	s_delay_alu instid0(VALU_DEP_2) | instskip(SKIP_1) | instid1(VALU_DEP_3)
	v_dual_fma_f32 v11, v150, v102, -v27 :: v_dual_add_f32 v7, v7, v13
	v_dual_mul_f32 v169, v154, v107 :: v_dual_mul_f32 v171, v156, v109
	v_dual_add_f32 v9, v9, v19 :: v_dual_fma_f32 v13, v152, v104, -v29
	s_delay_alu instid0(VALU_DEP_3) | instskip(SKIP_1) | instid1(VALU_DEP_3)
	v_dual_fmac_f32 v17, v153, v104 :: v_dual_add_f32 v7, v7, v15
	v_pk_mul_f32 v[94:95], v[126:127], v[110:111] op_sel:[1,1] op_sel_hi:[0,1]
	v_dual_add_f32 v9, v9, v11 :: v_dual_fmac_f32 v169, v155, v106
	s_wait_loadcnt 0x3
	v_dual_mov_b32 v100, v117 :: v_dual_fma_f32 v168, v154, v106, -v31
	v_dual_add_f32 v103, v7, v17 :: v_dual_fmac_f32 v171, v157, v108
	s_delay_alu instid0(VALU_DEP_3) | instskip(SKIP_3) | instid1(VALU_DEP_4)
	v_dual_add_f32 v102, v9, v13 :: v_dual_fma_f32 v170, v156, v108, -v33
	v_pk_fma_f32 v[104:105], v[126:127], v[110:111], v[94:95] op_sel_hi:[1,0,1]
	v_pk_mul_f32 v[96:97], v[160:161], v[96:97] op_sel_hi:[1,0]
	v_pk_fma_f32 v[94:95], v[126:127], v[110:111], v[94:95] neg_lo:[0,0,1] neg_hi:[0,0,1]
	v_pk_add_f32 v[102:103], v[102:103], v[168:169]
	v_pk_mul_f32 v[98:99], v[130:131], v[114:115] op_sel:[1,1] op_sel_hi:[0,1]
	v_mov_b32_e32 v95, v105
	v_pk_fma_f32 v[104:105], v[128:129], v[112:113], v[96:97] op_sel_hi:[1,0,1]
	v_pk_fma_f32 v[96:97], v[128:129], v[112:113], v[96:97] neg_lo:[0,0,1] neg_hi:[0,0,1]
	v_pk_add_f32 v[102:103], v[102:103], v[170:171]
	v_pk_fma_f32 v[108:109], v[130:131], v[114:115], v[98:99] op_sel_hi:[1,0,1]
	v_pk_mul_f32 v[100:101], v[162:163], v[100:101] op_sel_hi:[1,0]
	v_mov_b32_e32 v97, v105
	s_wait_loadcnt 0x2
	v_pk_mul_f32 v[106:107], v[134:135], v[118:119] op_sel:[1,1] op_sel_hi:[0,1]
	v_pk_add_f32 v[94:95], v[102:103], v[94:95]
	v_mov_b32_e32 v102, v121
	v_pk_fma_f32 v[98:99], v[130:131], v[114:115], v[98:99] neg_lo:[0,0,1] neg_hi:[0,0,1]
	v_mov_b32_e32 v99, v109
	v_pk_fma_f32 v[104:105], v[132:133], v[116:117], v[100:101] op_sel_hi:[1,0,1]
	v_pk_add_f32 v[94:95], v[94:95], v[96:97]
	v_pk_fma_f32 v[96:97], v[134:135], v[118:119], v[106:107] op_sel_hi:[1,0,1]
	v_pk_mul_f32 v[102:103], v[164:165], v[102:103] op_sel_hi:[1,0]
	v_pk_fma_f32 v[100:101], v[132:133], v[116:117], v[100:101] neg_lo:[0,0,1] neg_hi:[0,0,1]
	v_mov_b32_e32 v101, v105
	v_pk_add_f32 v[94:95], v[94:95], v[98:99]
	v_pk_fma_f32 v[104:105], v[134:135], v[118:119], v[106:107] neg_lo:[0,0,1] neg_hi:[0,0,1]
	v_mov_b32_e32 v105, v97
	v_pk_fma_f32 v[96:97], v[136:137], v[120:121], v[102:103] op_sel_hi:[1,0,1]
	s_wait_loadcnt 0x1
	v_pk_mul_f32 v[98:99], v[138:139], v[122:123] op_sel:[1,1] op_sel_hi:[0,1]
	v_pk_add_f32 v[94:95], v[94:95], v[100:101]
	v_mov_b32_e32 v96, v125
	v_pk_fma_f32 v[102:103], v[136:137], v[120:121], v[102:103] neg_lo:[0,0,1] neg_hi:[0,0,1]
	v_mov_b32_e32 v103, v97
	v_pk_fma_f32 v[100:101], v[138:139], v[122:123], v[98:99] op_sel_hi:[1,0,1]
	v_pk_add_f32 v[94:95], v[94:95], v[104:105]
	v_pk_mul_f32 v[96:97], v[166:167], v[96:97] op_sel_hi:[1,0]
	v_pk_fma_f32 v[98:99], v[138:139], v[122:123], v[98:99] neg_lo:[0,0,1] neg_hi:[0,0,1]
	s_delay_alu instid0(VALU_DEP_4) | instskip(NEXT) | instid1(VALU_DEP_4)
	v_mov_b32_e32 v99, v101
	v_pk_add_f32 v[94:95], v[94:95], v[102:103]
	s_delay_alu instid0(VALU_DEP_4) | instskip(SKIP_1) | instid1(VALU_DEP_2)
	v_pk_fma_f32 v[100:101], v[140:141], v[124:125], v[96:97] op_sel_hi:[1,0,1]
	v_pk_fma_f32 v[96:97], v[140:141], v[124:125], v[96:97] neg_lo:[0,0,1] neg_hi:[0,0,1]
	v_mov_b32_e32 v97, v101
	s_delay_alu instid0(VALU_DEP_4) | instskip(NEXT) | instid1(VALU_DEP_1)
	v_pk_add_f32 v[94:95], v[94:95], v[98:99]
	v_pk_add_f32 v[94:95], v[94:95], v[96:97]
	s_wait_loadcnt 0x0
	s_delay_alu instid0(VALU_DEP_1)
	v_pk_add_f32 v[94:95], v[158:159], v[94:95] neg_lo:[0,1] neg_hi:[0,1]
	scratch_store_b64 off, v[94:95], off offset:232
	s_wait_xcnt 0x0
	v_cmpx_lt_u32_e32 28, v0
	s_cbranch_execz .LBB45_233
; %bb.232:
	scratch_load_b64 v[94:95], off, off offset:224
	v_mov_b64_e32 v[96:97], 0
	scratch_store_b64 off, v[96:97], off offset:224
	s_wait_loadcnt 0x0
	ds_store_b64 v1, v[94:95]
.LBB45_233:
	s_wait_xcnt 0x0
	s_or_b32 exec_lo, exec_lo, s0
	s_wait_storecnt_dscnt 0x0
	s_barrier_signal -1
	s_barrier_wait -1
	s_clause 0x9
	scratch_load_b128 v[94:97], off, off offset:232
	scratch_load_b128 v[98:101], off, off offset:248
	;; [unrolled: 1-line block ×8, first 2 shown]
	scratch_load_b64 v[158:159], off, off offset:360
	scratch_load_b64 v[160:161], off, off offset:224
	v_mov_b32_e32 v7, 0
	ds_load_2addr_b64 v[126:129], v7 offset0:83 offset1:84
	ds_load_2addr_b64 v[130:133], v7 offset0:85 offset1:86
	ds_load_2addr_b64 v[134:137], v7 offset0:87 offset1:88
	ds_load_2addr_b64 v[138:141], v7 offset0:89 offset1:90
	ds_load_2addr_b64 v[142:145], v7 offset0:75 offset1:76
	ds_load_2addr_b64 v[146:149], v7 offset0:77 offset1:78
	ds_load_2addr_b64 v[150:153], v7 offset0:79 offset1:80
	ds_load_2addr_b64 v[154:157], v7 offset0:81 offset1:82
	ds_load_b64 v[162:163], v7 offset:728
	s_mov_b32 s0, exec_lo
	s_wait_dscnt 0x8
	v_dual_mov_b32 v164, v129 :: v_dual_mov_b32 v165, v128
	s_wait_dscnt 0x5
	v_dual_mov_b32 v166, v133 :: v_dual_mov_b32 v171, v140
	v_dual_mov_b32 v167, v132 :: v_dual_mov_b32 v168, v137
	;; [unrolled: 1-line block ×3, first 2 shown]
	s_wait_loadcnt_dscnt 0x904
	v_dual_mul_f32 v9, v142, v95 :: v_dual_mul_f32 v23, v143, v95
	v_dual_mul_f32 v25, v145, v97 :: v_dual_mul_f32 v11, v144, v97
	s_wait_loadcnt_dscnt 0x803
	v_mul_f32_e32 v13, v146, v99
	s_wait_loadcnt_dscnt 0x601
	v_dual_mul_f32 v35, v155, v107 :: v_dual_fma_f32 v23, v142, v94, -v23
	v_dual_fmac_f32 v9, v143, v94 :: v_dual_mul_f32 v37, v157, v109
	v_dual_mul_f32 v27, v147, v99 :: v_dual_mul_f32 v29, v149, v101
	v_dual_fmac_f32 v11, v145, v96 :: v_dual_fma_f32 v25, v144, v96, -v25
	s_delay_alu instid0(VALU_DEP_3) | instskip(SKIP_3) | instid1(VALU_DEP_3)
	v_dual_add_f32 v9, 0, v9 :: v_dual_add_f32 v23, 0, v23
	v_dual_mul_f32 v15, v148, v101 :: v_dual_mul_f32 v17, v150, v103
	s_wait_loadcnt 0x5
	v_dual_mul_f32 v39, v127, v111 :: v_dual_fma_f32 v27, v146, v98, -v27
	v_dual_fmac_f32 v13, v147, v98 :: v_dual_add_f32 v9, v9, v11
	v_dual_add_f32 v11, v23, v25 :: v_dual_mov_b32 v94, v113
	v_dual_mul_f32 v31, v151, v103 :: v_dual_mul_f32 v33, v153, v105
	v_dual_fmac_f32 v15, v149, v100 :: v_dual_fma_f32 v23, v148, v100, -v29
	s_delay_alu instid0(VALU_DEP_3) | instskip(SKIP_1) | instid1(VALU_DEP_4)
	v_dual_add_f32 v9, v9, v13 :: v_dual_add_f32 v11, v11, v27
	v_dual_mul_f32 v19, v152, v105 :: v_dual_mul_f32 v21, v154, v107
	v_dual_fmac_f32 v17, v151, v102 :: v_dual_fma_f32 v13, v150, v102, -v31
	s_delay_alu instid0(VALU_DEP_3) | instskip(SKIP_3) | instid1(VALU_DEP_3)
	v_dual_add_f32 v9, v9, v15 :: v_dual_fma_f32 v15, v152, v104, -v33
	s_wait_loadcnt 0x4
	v_dual_add_f32 v11, v11, v23 :: v_dual_mov_b32 v98, v117
	v_fmac_f32_e32 v19, v153, v104
	v_dual_add_f32 v9, v9, v17 :: v_dual_fmac_f32 v21, v155, v106
	s_delay_alu instid0(VALU_DEP_3) | instskip(SKIP_1) | instid1(VALU_DEP_3)
	v_add_f32_e32 v11, v11, v13
	v_dual_mul_f32 v173, v156, v109 :: v_dual_mul_f32 v175, v126, v111
	v_dual_fma_f32 v13, v154, v106, -v35 :: v_dual_add_f32 v9, v9, v19
	s_delay_alu instid0(VALU_DEP_2) | instskip(SKIP_1) | instid1(VALU_DEP_3)
	v_dual_add_f32 v11, v11, v15 :: v_dual_fmac_f32 v173, v157, v108
	v_pk_mul_f32 v[96:97], v[130:131], v[114:115] op_sel:[1,1] op_sel_hi:[0,1]
	v_dual_fma_f32 v172, v156, v108, -v37 :: v_dual_add_f32 v103, v9, v21
	v_pk_mul_f32 v[94:95], v[164:165], v[94:95] op_sel_hi:[1,0]
	s_wait_loadcnt 0x3
	v_dual_add_f32 v102, v11, v13 :: v_dual_mov_b32 v104, v121
	v_pk_fma_f32 v[108:109], v[130:131], v[114:115], v[96:97] op_sel_hi:[1,0,1]
	v_fmac_f32_e32 v175, v127, v110
	v_pk_fma_f32 v[106:107], v[128:129], v[112:113], v[94:95] op_sel_hi:[1,0,1]
	v_fma_f32 v174, v126, v110, -v39
	v_pk_add_f32 v[102:103], v[102:103], v[172:173]
	v_pk_fma_f32 v[94:95], v[128:129], v[112:113], v[94:95] neg_lo:[0,0,1] neg_hi:[0,0,1]
	v_pk_fma_f32 v[96:97], v[130:131], v[114:115], v[96:97] neg_lo:[0,0,1] neg_hi:[0,0,1]
	v_pk_mul_f32 v[98:99], v[166:167], v[98:99] op_sel_hi:[1,0]
	v_dual_mov_b32 v95, v107 :: v_dual_mov_b32 v97, v109
	v_pk_add_f32 v[102:103], v[102:103], v[174:175]
	v_pk_mul_f32 v[100:101], v[134:135], v[118:119] op_sel:[1,1] op_sel_hi:[0,1]
	s_delay_alu instid0(VALU_DEP_4)
	v_pk_fma_f32 v[108:109], v[132:133], v[116:117], v[98:99] op_sel_hi:[1,0,1]
	v_pk_fma_f32 v[98:99], v[132:133], v[116:117], v[98:99] neg_lo:[0,0,1] neg_hi:[0,0,1]
	v_pk_mul_f32 v[104:105], v[168:169], v[104:105] op_sel_hi:[1,0]
	v_pk_add_f32 v[94:95], v[102:103], v[94:95]
	v_pk_fma_f32 v[102:103], v[134:135], v[118:119], v[100:101] op_sel_hi:[1,0,1]
	v_mov_b32_e32 v99, v109
	v_pk_fma_f32 v[100:101], v[134:135], v[118:119], v[100:101] neg_lo:[0,0,1] neg_hi:[0,0,1]
	s_wait_loadcnt 0x2
	v_pk_mul_f32 v[106:107], v[138:139], v[122:123] op_sel:[1,1] op_sel_hi:[0,1]
	v_pk_add_f32 v[94:95], v[94:95], v[96:97]
	v_dual_mov_b32 v96, v125 :: v_dual_mov_b32 v101, v103
	v_pk_fma_f32 v[102:103], v[136:137], v[120:121], v[104:105] op_sel_hi:[1,0,1]
	v_pk_fma_f32 v[104:105], v[136:137], v[120:121], v[104:105] neg_lo:[0,0,1] neg_hi:[0,0,1]
	s_delay_alu instid0(VALU_DEP_4)
	v_pk_add_f32 v[94:95], v[94:95], v[98:99]
	v_pk_fma_f32 v[98:99], v[138:139], v[122:123], v[106:107] op_sel_hi:[1,0,1]
	v_pk_mul_f32 v[96:97], v[170:171], v[96:97] op_sel_hi:[1,0]
	v_mov_b32_e32 v105, v103
	s_wait_loadcnt_dscnt 0x100
	v_pk_mul_f32 v[102:103], v[162:163], v[158:159] op_sel:[1,1] op_sel_hi:[0,1]
	v_pk_add_f32 v[94:95], v[94:95], v[100:101]
	v_pk_fma_f32 v[100:101], v[138:139], v[122:123], v[106:107] neg_lo:[0,0,1] neg_hi:[0,0,1]
	v_mov_b32_e32 v101, v99
	v_pk_fma_f32 v[98:99], v[140:141], v[124:125], v[96:97] op_sel_hi:[1,0,1]
	v_pk_fma_f32 v[96:97], v[140:141], v[124:125], v[96:97] neg_lo:[0,0,1] neg_hi:[0,0,1]
	v_pk_add_f32 v[94:95], v[94:95], v[104:105]
	s_delay_alu instid0(VALU_DEP_3) | instskip(SKIP_1) | instid1(VALU_DEP_3)
	v_mov_b32_e32 v97, v99
	v_pk_fma_f32 v[98:99], v[162:163], v[158:159], v[102:103] op_sel_hi:[1,0,1]
	v_pk_add_f32 v[94:95], v[94:95], v[100:101]
	v_pk_fma_f32 v[100:101], v[162:163], v[158:159], v[102:103] neg_lo:[0,0,1] neg_hi:[0,0,1]
	s_delay_alu instid0(VALU_DEP_3) | instskip(NEXT) | instid1(VALU_DEP_3)
	v_mov_b32_e32 v101, v99
	v_pk_add_f32 v[94:95], v[94:95], v[96:97]
	s_delay_alu instid0(VALU_DEP_1) | instskip(SKIP_1) | instid1(VALU_DEP_1)
	v_pk_add_f32 v[94:95], v[94:95], v[100:101]
	s_wait_loadcnt 0x0
	v_pk_add_f32 v[94:95], v[160:161], v[94:95] neg_lo:[0,1] neg_hi:[0,1]
	scratch_store_b64 off, v[94:95], off offset:224
	s_wait_xcnt 0x0
	v_cmpx_lt_u32_e32 27, v0
	s_cbranch_execz .LBB45_235
; %bb.234:
	scratch_load_b64 v[94:95], off, off offset:216
	v_mov_b64_e32 v[96:97], 0
	scratch_store_b64 off, v[96:97], off offset:216
	s_wait_loadcnt 0x0
	ds_store_b64 v1, v[94:95]
.LBB45_235:
	s_wait_xcnt 0x0
	s_or_b32 exec_lo, exec_lo, s0
	s_wait_storecnt_dscnt 0x0
	s_barrier_signal -1
	s_barrier_wait -1
	s_clause 0x9
	scratch_load_b128 v[94:97], off, off offset:224
	scratch_load_b128 v[98:101], off, off offset:240
	;; [unrolled: 1-line block ×9, first 2 shown]
	scratch_load_b64 v[166:167], off, off offset:216
	ds_load_b128 v[130:133], v7 offset:672
	ds_load_b128 v[134:137], v7 offset:688
	;; [unrolled: 1-line block ×9, first 2 shown]
	s_mov_b32 s0, exec_lo
	s_wait_dscnt 0x8
	v_dual_mov_b32 v168, v133 :: v_dual_mov_b32 v169, v132
	s_wait_dscnt 0x7
	v_dual_mov_b32 v170, v137 :: v_dual_mov_b32 v171, v136
	;; [unrolled: 2-line block ×4, first 2 shown]
	s_wait_loadcnt_dscnt 0x904
	v_dual_mul_f32 v7, v146, v95 :: v_dual_mul_f32 v9, v148, v97
	v_dual_mul_f32 v23, v147, v95 :: v_dual_mul_f32 v25, v149, v97
	s_wait_loadcnt_dscnt 0x803
	v_dual_mul_f32 v11, v150, v99 :: v_dual_mul_f32 v13, v152, v101
	s_delay_alu instid0(VALU_DEP_3) | instskip(SKIP_3) | instid1(VALU_DEP_3)
	v_dual_fmac_f32 v7, v147, v94 :: v_dual_fmac_f32 v9, v149, v96
	s_wait_loadcnt_dscnt 0x601
	v_dual_fma_f32 v23, v146, v94, -v23 :: v_dual_mul_f32 v35, v159, v107
	v_dual_mul_f32 v27, v151, v99 :: v_dual_mul_f32 v29, v153, v101
	v_dual_fma_f32 v25, v148, v96, -v25 :: v_dual_add_f32 v7, 0, v7
	s_delay_alu instid0(VALU_DEP_3) | instskip(SKIP_1) | instid1(VALU_DEP_3)
	v_dual_add_f32 v23, 0, v23 :: v_dual_mul_f32 v37, v161, v109
	v_dual_fmac_f32 v11, v151, v98 :: v_dual_fmac_f32 v13, v153, v100
	v_dual_fma_f32 v27, v150, v98, -v27 :: v_dual_add_f32 v7, v7, v9
	s_delay_alu instid0(VALU_DEP_3) | instskip(SKIP_2) | instid1(VALU_DEP_4)
	v_dual_add_f32 v9, v23, v25 :: v_dual_fma_f32 v25, v152, v100, -v29
	v_dual_mul_f32 v15, v154, v103 :: v_dual_mul_f32 v17, v156, v105
	v_dual_mul_f32 v31, v155, v103 :: v_dual_mul_f32 v33, v157, v105
	v_add_f32_e32 v7, v7, v11
	s_delay_alu instid0(VALU_DEP_3) | instskip(NEXT) | instid1(VALU_DEP_3)
	v_dual_add_f32 v9, v9, v27 :: v_dual_fmac_f32 v15, v155, v102
	v_fma_f32 v27, v154, v102, -v31
	v_dual_mul_f32 v19, v158, v107 :: v_dual_mul_f32 v21, v160, v109
	s_delay_alu instid0(VALU_DEP_4) | instskip(NEXT) | instid1(VALU_DEP_4)
	v_dual_add_f32 v7, v7, v13 :: v_dual_fmac_f32 v17, v157, v104
	v_dual_add_f32 v9, v9, v25 :: v_dual_fma_f32 v13, v156, v104, -v33
	s_wait_loadcnt 0x4
	s_delay_alu instid0(VALU_DEP_2) | instskip(NEXT) | instid1(VALU_DEP_2)
	v_dual_mov_b32 v96, v117 :: v_dual_add_f32 v7, v7, v15
	v_dual_fmac_f32 v19, v159, v106 :: v_dual_add_f32 v9, v9, v27
	v_fma_f32 v15, v158, v106, -v35
	s_wait_dscnt 0x0
	v_dual_mul_f32 v177, v162, v111 :: v_dual_mul_f32 v179, v164, v113
	v_add_f32_e32 v7, v7, v17
	v_dual_add_f32 v9, v9, v13 :: v_dual_fma_f32 v13, v160, v108, -v37
	v_dual_mul_f32 v23, v163, v111 :: v_dual_mul_f32 v11, v165, v113
	s_delay_alu instid0(VALU_DEP_3) | instskip(NEXT) | instid1(VALU_DEP_3)
	v_dual_fmac_f32 v21, v161, v108 :: v_dual_add_f32 v7, v7, v19
	v_dual_add_f32 v9, v9, v15 :: v_dual_fmac_f32 v177, v163, v110
	v_pk_mul_f32 v[94:95], v[130:131], v[114:115] op_sel:[1,1] op_sel_hi:[0,1]
	s_wait_loadcnt 0x3
	v_dual_mov_b32 v100, v121 :: v_dual_fma_f32 v176, v162, v110, -v23
	v_dual_add_f32 v103, v7, v21 :: v_dual_fmac_f32 v179, v165, v112
	v_dual_add_f32 v102, v9, v13 :: v_dual_fma_f32 v178, v164, v112, -v11
	v_pk_fma_f32 v[104:105], v[130:131], v[114:115], v[94:95] op_sel_hi:[1,0,1]
	v_pk_mul_f32 v[96:97], v[168:169], v[96:97] op_sel_hi:[1,0]
	v_pk_fma_f32 v[94:95], v[130:131], v[114:115], v[94:95] neg_lo:[0,0,1] neg_hi:[0,0,1]
	s_delay_alu instid0(VALU_DEP_4)
	v_pk_add_f32 v[102:103], v[102:103], v[176:177]
	v_pk_mul_f32 v[98:99], v[134:135], v[118:119] op_sel:[1,1] op_sel_hi:[0,1]
	v_mov_b32_e32 v95, v105
	v_pk_fma_f32 v[104:105], v[132:133], v[116:117], v[96:97] op_sel_hi:[1,0,1]
	v_pk_fma_f32 v[96:97], v[132:133], v[116:117], v[96:97] neg_lo:[0,0,1] neg_hi:[0,0,1]
	v_pk_add_f32 v[102:103], v[102:103], v[178:179]
	v_pk_fma_f32 v[108:109], v[134:135], v[118:119], v[98:99] op_sel_hi:[1,0,1]
	v_pk_mul_f32 v[100:101], v[170:171], v[100:101] op_sel_hi:[1,0]
	v_mov_b32_e32 v97, v105
	s_wait_loadcnt 0x2
	v_pk_mul_f32 v[106:107], v[138:139], v[122:123] op_sel:[1,1] op_sel_hi:[0,1]
	v_pk_add_f32 v[94:95], v[102:103], v[94:95]
	v_mov_b32_e32 v102, v125
	v_pk_fma_f32 v[98:99], v[134:135], v[118:119], v[98:99] neg_lo:[0,0,1] neg_hi:[0,0,1]
	v_mov_b32_e32 v99, v109
	v_pk_fma_f32 v[104:105], v[136:137], v[120:121], v[100:101] op_sel_hi:[1,0,1]
	v_pk_add_f32 v[94:95], v[94:95], v[96:97]
	v_pk_fma_f32 v[96:97], v[138:139], v[122:123], v[106:107] op_sel_hi:[1,0,1]
	v_pk_mul_f32 v[102:103], v[172:173], v[102:103] op_sel_hi:[1,0]
	v_pk_fma_f32 v[100:101], v[136:137], v[120:121], v[100:101] neg_lo:[0,0,1] neg_hi:[0,0,1]
	v_mov_b32_e32 v101, v105
	v_pk_add_f32 v[94:95], v[94:95], v[98:99]
	v_pk_fma_f32 v[104:105], v[138:139], v[122:123], v[106:107] neg_lo:[0,0,1] neg_hi:[0,0,1]
	v_mov_b32_e32 v105, v97
	v_pk_fma_f32 v[96:97], v[140:141], v[124:125], v[102:103] op_sel_hi:[1,0,1]
	s_wait_loadcnt 0x1
	v_pk_mul_f32 v[98:99], v[142:143], v[126:127] op_sel:[1,1] op_sel_hi:[0,1]
	v_pk_add_f32 v[94:95], v[94:95], v[100:101]
	v_mov_b32_e32 v96, v129
	v_pk_fma_f32 v[102:103], v[140:141], v[124:125], v[102:103] neg_lo:[0,0,1] neg_hi:[0,0,1]
	v_mov_b32_e32 v103, v97
	v_pk_fma_f32 v[100:101], v[142:143], v[126:127], v[98:99] op_sel_hi:[1,0,1]
	v_pk_add_f32 v[94:95], v[94:95], v[104:105]
	v_pk_mul_f32 v[96:97], v[174:175], v[96:97] op_sel_hi:[1,0]
	v_pk_fma_f32 v[98:99], v[142:143], v[126:127], v[98:99] neg_lo:[0,0,1] neg_hi:[0,0,1]
	s_delay_alu instid0(VALU_DEP_4) | instskip(NEXT) | instid1(VALU_DEP_4)
	v_mov_b32_e32 v99, v101
	v_pk_add_f32 v[94:95], v[94:95], v[102:103]
	s_delay_alu instid0(VALU_DEP_4) | instskip(SKIP_1) | instid1(VALU_DEP_2)
	v_pk_fma_f32 v[100:101], v[144:145], v[128:129], v[96:97] op_sel_hi:[1,0,1]
	v_pk_fma_f32 v[96:97], v[144:145], v[128:129], v[96:97] neg_lo:[0,0,1] neg_hi:[0,0,1]
	v_mov_b32_e32 v97, v101
	s_delay_alu instid0(VALU_DEP_4) | instskip(NEXT) | instid1(VALU_DEP_1)
	v_pk_add_f32 v[94:95], v[94:95], v[98:99]
	v_pk_add_f32 v[94:95], v[94:95], v[96:97]
	s_wait_loadcnt 0x0
	s_delay_alu instid0(VALU_DEP_1)
	v_pk_add_f32 v[94:95], v[166:167], v[94:95] neg_lo:[0,1] neg_hi:[0,1]
	scratch_store_b64 off, v[94:95], off offset:216
	s_wait_xcnt 0x0
	v_cmpx_lt_u32_e32 26, v0
	s_cbranch_execz .LBB45_237
; %bb.236:
	scratch_load_b64 v[94:95], off, off offset:208
	v_mov_b64_e32 v[96:97], 0
	scratch_store_b64 off, v[96:97], off offset:208
	s_wait_loadcnt 0x0
	ds_store_b64 v1, v[94:95]
.LBB45_237:
	s_wait_xcnt 0x0
	s_or_b32 exec_lo, exec_lo, s0
	s_wait_storecnt_dscnt 0x0
	s_barrier_signal -1
	s_barrier_wait -1
	s_clause 0xa
	scratch_load_b128 v[94:97], off, off offset:216
	scratch_load_b128 v[98:101], off, off offset:232
	;; [unrolled: 1-line block ×9, first 2 shown]
	scratch_load_b64 v[166:167], off, off offset:360
	scratch_load_b64 v[168:169], off, off offset:208
	v_mov_b32_e32 v7, 0
	ds_load_2addr_b64 v[130:133], v7 offset0:83 offset1:84
	ds_load_2addr_b64 v[134:137], v7 offset0:85 offset1:86
	;; [unrolled: 1-line block ×9, first 2 shown]
	ds_load_b64 v[170:171], v7 offset:728
	s_mov_b32 s0, exec_lo
	s_wait_dscnt 0x9
	v_dual_mov_b32 v172, v133 :: v_dual_mov_b32 v173, v132
	s_wait_dscnt 0x6
	v_dual_mov_b32 v174, v137 :: v_dual_mov_b32 v179, v144
	v_dual_mov_b32 v175, v136 :: v_dual_mov_b32 v176, v141
	;; [unrolled: 1-line block ×3, first 2 shown]
	s_wait_loadcnt_dscnt 0xa05
	v_dual_mul_f32 v9, v146, v95 :: v_dual_mul_f32 v27, v147, v95
	v_dual_mul_f32 v29, v149, v97 :: v_dual_mul_f32 v11, v148, v97
	s_wait_loadcnt_dscnt 0x904
	v_mul_f32_e32 v13, v150, v99
	s_wait_loadcnt_dscnt 0x702
	v_dual_mul_f32 v39, v159, v107 :: v_dual_fma_f32 v27, v146, v94, -v27
	v_dual_fmac_f32 v9, v147, v94 :: v_dual_mul_f32 v41, v161, v109
	v_dual_mul_f32 v31, v151, v99 :: v_dual_mul_f32 v33, v153, v101
	v_dual_fmac_f32 v11, v149, v96 :: v_dual_fma_f32 v29, v148, v96, -v29
	s_delay_alu instid0(VALU_DEP_3) | instskip(SKIP_3) | instid1(VALU_DEP_3)
	v_dual_add_f32 v9, 0, v9 :: v_dual_add_f32 v27, 0, v27
	v_dual_mul_f32 v15, v152, v101 :: v_dual_mul_f32 v17, v154, v103
	s_wait_loadcnt_dscnt 0x601
	v_dual_mul_f32 v43, v163, v111 :: v_dual_fma_f32 v31, v150, v98, -v31
	v_dual_fmac_f32 v13, v151, v98 :: v_dual_add_f32 v9, v9, v11
	s_delay_alu instid0(VALU_DEP_3) | instskip(SKIP_2) | instid1(VALU_DEP_3)
	v_dual_add_f32 v11, v27, v29 :: v_dual_fmac_f32 v15, v153, v100
	v_dual_mul_f32 v35, v155, v103 :: v_dual_mul_f32 v37, v157, v105
	v_dual_mul_f32 v27, v165, v113 :: v_dual_fma_f32 v29, v152, v100, -v33
	v_dual_add_f32 v9, v9, v13 :: v_dual_add_f32 v11, v11, v31
	v_dual_mul_f32 v19, v156, v105 :: v_dual_mul_f32 v21, v158, v107
	s_wait_loadcnt 0x5
	v_dual_mul_f32 v13, v131, v115 :: v_dual_fma_f32 v31, v154, v102, -v35
	s_delay_alu instid0(VALU_DEP_3) | instskip(SKIP_2) | instid1(VALU_DEP_2)
	v_dual_fmac_f32 v17, v155, v102 :: v_dual_add_f32 v9, v9, v15
	v_dual_add_f32 v11, v11, v29 :: v_dual_mov_b32 v94, v117
	v_dual_fmac_f32 v19, v157, v104 :: v_dual_fma_f32 v15, v156, v104, -v37
	v_dual_add_f32 v9, v9, v17 :: v_dual_add_f32 v11, v11, v31
	v_dual_mul_f32 v23, v160, v109 :: v_dual_mul_f32 v25, v162, v111
	v_dual_fmac_f32 v21, v159, v106 :: v_dual_fma_f32 v17, v158, v106, -v39
	s_delay_alu instid0(VALU_DEP_3) | instskip(SKIP_3) | instid1(VALU_DEP_3)
	v_add_f32_e32 v9, v9, v19
	s_wait_loadcnt 0x4
	v_dual_add_f32 v11, v11, v15 :: v_dual_mov_b32 v98, v121
	v_dual_fmac_f32 v23, v161, v108 :: v_dual_fma_f32 v15, v160, v108, -v41
	v_dual_add_f32 v9, v9, v21 :: v_dual_fmac_f32 v25, v163, v110
	s_delay_alu instid0(VALU_DEP_3) | instskip(SKIP_1) | instid1(VALU_DEP_3)
	v_add_f32_e32 v11, v11, v17
	v_dual_mul_f32 v181, v164, v113 :: v_dual_mul_f32 v183, v130, v115
	v_dual_fma_f32 v17, v162, v110, -v43 :: v_dual_add_f32 v9, v9, v23
	s_delay_alu instid0(VALU_DEP_2) | instskip(SKIP_2) | instid1(VALU_DEP_4)
	v_dual_add_f32 v11, v11, v15 :: v_dual_fmac_f32 v181, v165, v112
	v_fma_f32 v180, v164, v112, -v27
	v_pk_mul_f32 v[94:95], v[172:173], v[94:95] op_sel_hi:[1,0]
	v_add_f32_e32 v103, v9, v25
	s_wait_loadcnt 0x3
	v_dual_add_f32 v102, v11, v17 :: v_dual_mov_b32 v104, v125
	v_pk_mul_f32 v[96:97], v[134:135], v[118:119] op_sel:[1,1] op_sel_hi:[0,1]
	v_dual_fmac_f32 v183, v131, v114 :: v_dual_fma_f32 v182, v130, v114, -v13
	v_pk_fma_f32 v[106:107], v[132:133], v[116:117], v[94:95] op_sel_hi:[1,0,1]
	s_delay_alu instid0(VALU_DEP_4)
	v_pk_add_f32 v[102:103], v[102:103], v[180:181]
	v_pk_fma_f32 v[94:95], v[132:133], v[116:117], v[94:95] neg_lo:[0,0,1] neg_hi:[0,0,1]
	v_pk_fma_f32 v[108:109], v[134:135], v[118:119], v[96:97] op_sel_hi:[1,0,1]
	v_pk_mul_f32 v[98:99], v[174:175], v[98:99] op_sel_hi:[1,0]
	v_mov_b32_e32 v95, v107
	v_pk_add_f32 v[102:103], v[102:103], v[182:183]
	v_pk_fma_f32 v[96:97], v[134:135], v[118:119], v[96:97] neg_lo:[0,0,1] neg_hi:[0,0,1]
	v_pk_mul_f32 v[100:101], v[138:139], v[122:123] op_sel:[1,1] op_sel_hi:[0,1]
	v_mov_b32_e32 v97, v109
	v_pk_fma_f32 v[108:109], v[136:137], v[120:121], v[98:99] op_sel_hi:[1,0,1]
	v_pk_add_f32 v[94:95], v[102:103], v[94:95]
	v_pk_fma_f32 v[98:99], v[136:137], v[120:121], v[98:99] neg_lo:[0,0,1] neg_hi:[0,0,1]
	v_pk_fma_f32 v[102:103], v[138:139], v[122:123], v[100:101] op_sel_hi:[1,0,1]
	v_pk_mul_f32 v[104:105], v[176:177], v[104:105] op_sel_hi:[1,0]
	v_mov_b32_e32 v99, v109
	v_pk_add_f32 v[94:95], v[94:95], v[96:97]
	v_pk_fma_f32 v[100:101], v[138:139], v[122:123], v[100:101] neg_lo:[0,0,1] neg_hi:[0,0,1]
	s_wait_loadcnt 0x2
	v_pk_mul_f32 v[106:107], v[142:143], v[126:127] op_sel:[1,1] op_sel_hi:[0,1]
	v_dual_mov_b32 v96, v129 :: v_dual_mov_b32 v101, v103
	v_pk_fma_f32 v[102:103], v[140:141], v[124:125], v[104:105] op_sel_hi:[1,0,1]
	v_pk_add_f32 v[94:95], v[94:95], v[98:99]
	v_pk_fma_f32 v[104:105], v[140:141], v[124:125], v[104:105] neg_lo:[0,0,1] neg_hi:[0,0,1]
	v_pk_fma_f32 v[98:99], v[142:143], v[126:127], v[106:107] op_sel_hi:[1,0,1]
	v_pk_mul_f32 v[96:97], v[178:179], v[96:97] op_sel_hi:[1,0]
	v_mov_b32_e32 v105, v103
	v_pk_add_f32 v[94:95], v[94:95], v[100:101]
	v_pk_fma_f32 v[100:101], v[142:143], v[126:127], v[106:107] neg_lo:[0,0,1] neg_hi:[0,0,1]
	v_mov_b32_e32 v101, v99
	v_pk_fma_f32 v[98:99], v[144:145], v[128:129], v[96:97] op_sel_hi:[1,0,1]
	s_wait_loadcnt_dscnt 0x100
	v_pk_mul_f32 v[102:103], v[170:171], v[166:167] op_sel:[1,1] op_sel_hi:[0,1]
	v_pk_add_f32 v[94:95], v[94:95], v[104:105]
	v_pk_fma_f32 v[96:97], v[144:145], v[128:129], v[96:97] neg_lo:[0,0,1] neg_hi:[0,0,1]
	v_mov_b32_e32 v97, v99
	s_delay_alu instid0(VALU_DEP_4) | instskip(NEXT) | instid1(VALU_DEP_4)
	v_pk_fma_f32 v[98:99], v[170:171], v[166:167], v[102:103] op_sel_hi:[1,0,1]
	v_pk_add_f32 v[94:95], v[94:95], v[100:101]
	v_pk_fma_f32 v[100:101], v[170:171], v[166:167], v[102:103] neg_lo:[0,0,1] neg_hi:[0,0,1]
	s_delay_alu instid0(VALU_DEP_3) | instskip(NEXT) | instid1(VALU_DEP_3)
	v_mov_b32_e32 v101, v99
	v_pk_add_f32 v[94:95], v[94:95], v[96:97]
	s_delay_alu instid0(VALU_DEP_1) | instskip(SKIP_1) | instid1(VALU_DEP_1)
	v_pk_add_f32 v[94:95], v[94:95], v[100:101]
	s_wait_loadcnt 0x0
	v_pk_add_f32 v[94:95], v[168:169], v[94:95] neg_lo:[0,1] neg_hi:[0,1]
	scratch_store_b64 off, v[94:95], off offset:208
	s_wait_xcnt 0x0
	v_cmpx_lt_u32_e32 25, v0
	s_cbranch_execz .LBB45_239
; %bb.238:
	scratch_load_b64 v[94:95], off, off offset:200
	v_mov_b64_e32 v[96:97], 0
	scratch_store_b64 off, v[96:97], off offset:200
	s_wait_loadcnt 0x0
	ds_store_b64 v1, v[94:95]
.LBB45_239:
	s_wait_xcnt 0x0
	s_or_b32 exec_lo, exec_lo, s0
	s_wait_storecnt_dscnt 0x0
	s_barrier_signal -1
	s_barrier_wait -1
	s_clause 0xa
	scratch_load_b128 v[94:97], off, off offset:208
	scratch_load_b128 v[98:101], off, off offset:224
	;; [unrolled: 1-line block ×10, first 2 shown]
	scratch_load_b64 v[174:175], off, off offset:200
	ds_load_b128 v[134:137], v7 offset:672
	ds_load_b128 v[138:141], v7 offset:688
	;; [unrolled: 1-line block ×10, first 2 shown]
	s_mov_b32 s0, exec_lo
	s_wait_dscnt 0x9
	v_dual_mov_b32 v176, v137 :: v_dual_mov_b32 v177, v136
	s_wait_dscnt 0x8
	v_dual_mov_b32 v178, v141 :: v_dual_mov_b32 v179, v140
	;; [unrolled: 2-line block ×4, first 2 shown]
	s_wait_loadcnt_dscnt 0xa05
	v_dual_mul_f32 v7, v150, v95 :: v_dual_mul_f32 v9, v152, v97
	v_dual_mul_f32 v27, v151, v95 :: v_dual_mul_f32 v29, v153, v97
	s_wait_loadcnt_dscnt 0x904
	v_dual_mul_f32 v11, v154, v99 :: v_dual_mul_f32 v13, v156, v101
	s_delay_alu instid0(VALU_DEP_3) | instskip(SKIP_3) | instid1(VALU_DEP_3)
	v_dual_fmac_f32 v7, v151, v94 :: v_dual_fmac_f32 v9, v153, v96
	s_wait_loadcnt_dscnt 0x702
	v_dual_fma_f32 v27, v150, v94, -v27 :: v_dual_mul_f32 v39, v163, v107
	v_dual_mul_f32 v31, v155, v99 :: v_dual_mul_f32 v33, v157, v101
	v_dual_fma_f32 v29, v152, v96, -v29 :: v_dual_add_f32 v7, 0, v7
	s_delay_alu instid0(VALU_DEP_3) | instskip(SKIP_1) | instid1(VALU_DEP_3)
	v_dual_add_f32 v27, 0, v27 :: v_dual_mul_f32 v41, v165, v109
	v_dual_fmac_f32 v11, v155, v98 :: v_dual_fmac_f32 v13, v157, v100
	v_dual_fma_f32 v31, v154, v98, -v31 :: v_dual_add_f32 v7, v7, v9
	s_delay_alu instid0(VALU_DEP_3) | instskip(SKIP_2) | instid1(VALU_DEP_4)
	v_dual_add_f32 v9, v27, v29 :: v_dual_fma_f32 v29, v156, v100, -v33
	v_dual_mul_f32 v15, v158, v103 :: v_dual_mul_f32 v17, v160, v105
	v_dual_mul_f32 v35, v159, v103 :: v_dual_mul_f32 v37, v161, v105
	v_add_f32_e32 v7, v7, v11
	s_delay_alu instid0(VALU_DEP_3) | instskip(NEXT) | instid1(VALU_DEP_3)
	v_dual_add_f32 v9, v9, v31 :: v_dual_fmac_f32 v15, v159, v102
	v_fma_f32 v31, v158, v102, -v35
	v_dual_mul_f32 v19, v162, v107 :: v_dual_mul_f32 v21, v164, v109
	s_delay_alu instid0(VALU_DEP_4) | instskip(SKIP_2) | instid1(VALU_DEP_2)
	v_dual_add_f32 v7, v7, v13 :: v_dual_fmac_f32 v17, v161, v104
	s_wait_loadcnt_dscnt 0x500
	v_dual_add_f32 v9, v9, v29 :: v_dual_mul_f32 v13, v171, v115
	v_dual_fma_f32 v29, v160, v104, -v37 :: v_dual_add_f32 v7, v7, v15
	v_mul_f32_e32 v15, v173, v117
	s_delay_alu instid0(VALU_DEP_3) | instskip(NEXT) | instid1(VALU_DEP_3)
	v_dual_add_f32 v9, v9, v31 :: v_dual_fmac_f32 v19, v163, v106
	v_dual_fma_f32 v31, v162, v106, -v39 :: v_dual_add_f32 v7, v7, v17
	v_fmac_f32_e32 v21, v165, v108
	s_delay_alu instid0(VALU_DEP_3) | instskip(SKIP_4) | instid1(VALU_DEP_3)
	v_dual_add_f32 v9, v9, v29 :: v_dual_fma_f32 v17, v164, v108, -v41
	v_dual_mul_f32 v23, v166, v111 :: v_dual_mul_f32 v25, v168, v113
	v_dual_mul_f32 v27, v167, v111 :: v_dual_mul_f32 v11, v169, v113
	s_wait_loadcnt 0x4
	v_dual_add_f32 v7, v7, v19 :: v_dual_mov_b32 v96, v121
	v_dual_add_f32 v9, v9, v31 :: v_dual_fmac_f32 v23, v167, v110
	s_delay_alu instid0(VALU_DEP_2) | instskip(SKIP_1) | instid1(VALU_DEP_3)
	v_dual_fma_f32 v19, v166, v110, -v27 :: v_dual_add_f32 v7, v7, v21
	v_dual_mul_f32 v185, v170, v115 :: v_dual_mul_f32 v187, v172, v117
	v_dual_add_f32 v9, v9, v17 :: v_dual_fma_f32 v11, v168, v112, -v11
	s_delay_alu instid0(VALU_DEP_3) | instskip(SKIP_1) | instid1(VALU_DEP_3)
	v_dual_fmac_f32 v25, v169, v112 :: v_dual_add_f32 v7, v7, v23
	v_pk_mul_f32 v[94:95], v[134:135], v[118:119] op_sel:[1,1] op_sel_hi:[0,1]
	v_dual_add_f32 v9, v9, v19 :: v_dual_fmac_f32 v185, v171, v114
	s_wait_loadcnt 0x3
	v_dual_mov_b32 v100, v125 :: v_dual_fma_f32 v184, v170, v114, -v13
	s_delay_alu instid0(VALU_DEP_2)
	v_dual_add_f32 v103, v7, v25 :: v_dual_add_f32 v102, v9, v11
	v_fmac_f32_e32 v187, v173, v116
	v_pk_fma_f32 v[104:105], v[134:135], v[118:119], v[94:95] op_sel_hi:[1,0,1]
	v_fma_f32 v186, v172, v116, -v15
	v_pk_mul_f32 v[96:97], v[176:177], v[96:97] op_sel_hi:[1,0]
	v_pk_add_f32 v[102:103], v[102:103], v[184:185]
	v_pk_fma_f32 v[94:95], v[134:135], v[118:119], v[94:95] neg_lo:[0,0,1] neg_hi:[0,0,1]
	v_pk_mul_f32 v[98:99], v[138:139], v[122:123] op_sel:[1,1] op_sel_hi:[0,1]
	v_mov_b32_e32 v95, v105
	v_pk_fma_f32 v[104:105], v[136:137], v[120:121], v[96:97] op_sel_hi:[1,0,1]
	v_pk_add_f32 v[102:103], v[102:103], v[186:187]
	v_pk_fma_f32 v[96:97], v[136:137], v[120:121], v[96:97] neg_lo:[0,0,1] neg_hi:[0,0,1]
	v_pk_fma_f32 v[108:109], v[138:139], v[122:123], v[98:99] op_sel_hi:[1,0,1]
	v_pk_mul_f32 v[100:101], v[178:179], v[100:101] op_sel_hi:[1,0]
	v_mov_b32_e32 v97, v105
	v_pk_add_f32 v[94:95], v[102:103], v[94:95]
	s_wait_loadcnt 0x2
	v_pk_mul_f32 v[106:107], v[142:143], v[126:127] op_sel:[1,1] op_sel_hi:[0,1]
	v_mov_b32_e32 v102, v129
	v_pk_fma_f32 v[98:99], v[138:139], v[122:123], v[98:99] neg_lo:[0,0,1] neg_hi:[0,0,1]
	v_pk_fma_f32 v[104:105], v[140:141], v[124:125], v[100:101] op_sel_hi:[1,0,1]
	v_mov_b32_e32 v99, v109
	v_pk_add_f32 v[94:95], v[94:95], v[96:97]
	v_pk_fma_f32 v[96:97], v[142:143], v[126:127], v[106:107] op_sel_hi:[1,0,1]
	v_pk_mul_f32 v[102:103], v[180:181], v[102:103] op_sel_hi:[1,0]
	v_pk_fma_f32 v[100:101], v[140:141], v[124:125], v[100:101] neg_lo:[0,0,1] neg_hi:[0,0,1]
	v_mov_b32_e32 v101, v105
	v_pk_add_f32 v[94:95], v[94:95], v[98:99]
	v_pk_fma_f32 v[104:105], v[142:143], v[126:127], v[106:107] neg_lo:[0,0,1] neg_hi:[0,0,1]
	v_mov_b32_e32 v105, v97
	v_pk_fma_f32 v[96:97], v[144:145], v[128:129], v[102:103] op_sel_hi:[1,0,1]
	s_wait_loadcnt 0x1
	v_pk_mul_f32 v[98:99], v[146:147], v[130:131] op_sel:[1,1] op_sel_hi:[0,1]
	v_pk_add_f32 v[94:95], v[94:95], v[100:101]
	v_mov_b32_e32 v96, v133
	v_pk_fma_f32 v[102:103], v[144:145], v[128:129], v[102:103] neg_lo:[0,0,1] neg_hi:[0,0,1]
	s_delay_alu instid0(VALU_DEP_4)
	v_pk_fma_f32 v[100:101], v[146:147], v[130:131], v[98:99] op_sel_hi:[1,0,1]
	v_mov_b32_e32 v103, v97
	v_pk_add_f32 v[94:95], v[94:95], v[104:105]
	v_pk_mul_f32 v[96:97], v[182:183], v[96:97] op_sel_hi:[1,0]
	v_pk_fma_f32 v[98:99], v[146:147], v[130:131], v[98:99] neg_lo:[0,0,1] neg_hi:[0,0,1]
	v_mov_b32_e32 v99, v101
	s_delay_alu instid0(VALU_DEP_4) | instskip(NEXT) | instid1(VALU_DEP_4)
	v_pk_add_f32 v[94:95], v[94:95], v[102:103]
	v_pk_fma_f32 v[100:101], v[148:149], v[132:133], v[96:97] op_sel_hi:[1,0,1]
	v_pk_fma_f32 v[96:97], v[148:149], v[132:133], v[96:97] neg_lo:[0,0,1] neg_hi:[0,0,1]
	s_delay_alu instid0(VALU_DEP_3) | instskip(NEXT) | instid1(VALU_DEP_3)
	v_pk_add_f32 v[94:95], v[94:95], v[98:99]
	v_mov_b32_e32 v97, v101
	s_delay_alu instid0(VALU_DEP_1) | instskip(SKIP_1) | instid1(VALU_DEP_1)
	v_pk_add_f32 v[94:95], v[94:95], v[96:97]
	s_wait_loadcnt 0x0
	v_pk_add_f32 v[94:95], v[174:175], v[94:95] neg_lo:[0,1] neg_hi:[0,1]
	scratch_store_b64 off, v[94:95], off offset:200
	s_wait_xcnt 0x0
	v_cmpx_lt_u32_e32 24, v0
	s_cbranch_execz .LBB45_241
; %bb.240:
	scratch_load_b64 v[94:95], off, off offset:192
	v_mov_b64_e32 v[96:97], 0
	scratch_store_b64 off, v[96:97], off offset:192
	s_wait_loadcnt 0x0
	ds_store_b64 v1, v[94:95]
.LBB45_241:
	s_wait_xcnt 0x0
	s_or_b32 exec_lo, exec_lo, s0
	s_wait_storecnt_dscnt 0x0
	s_barrier_signal -1
	s_barrier_wait -1
	s_clause 0xb
	scratch_load_b128 v[94:97], off, off offset:200
	scratch_load_b128 v[98:101], off, off offset:216
	;; [unrolled: 1-line block ×10, first 2 shown]
	scratch_load_b64 v[174:175], off, off offset:360
	scratch_load_b64 v[176:177], off, off offset:192
	v_mov_b32_e32 v7, 0
	ds_load_2addr_b64 v[134:137], v7 offset0:83 offset1:84
	ds_load_2addr_b64 v[138:141], v7 offset0:85 offset1:86
	ds_load_2addr_b64 v[142:145], v7 offset0:87 offset1:88
	ds_load_2addr_b64 v[146:149], v7 offset0:89 offset1:90
	ds_load_2addr_b64 v[150:153], v7 offset0:71 offset1:72
	ds_load_2addr_b64 v[154:157], v7 offset0:73 offset1:74
	ds_load_2addr_b64 v[158:161], v7 offset0:75 offset1:76
	ds_load_2addr_b64 v[162:165], v7 offset0:77 offset1:78
	ds_load_2addr_b64 v[166:169], v7 offset0:79 offset1:80
	ds_load_2addr_b64 v[170:173], v7 offset0:81 offset1:82
	ds_load_b64 v[178:179], v7 offset:728
	s_mov_b32 s0, exec_lo
	s_wait_dscnt 0xa
	v_dual_mov_b32 v180, v137 :: v_dual_mov_b32 v181, v136
	s_wait_dscnt 0x7
	v_dual_mov_b32 v182, v141 :: v_dual_mov_b32 v187, v148
	v_dual_mov_b32 v183, v140 :: v_dual_mov_b32 v184, v145
	;; [unrolled: 1-line block ×3, first 2 shown]
	s_wait_loadcnt_dscnt 0xb06
	v_dual_mul_f32 v9, v150, v95 :: v_dual_mul_f32 v31, v151, v95
	v_dual_mul_f32 v33, v153, v97 :: v_dual_mul_f32 v11, v152, v97
	s_wait_loadcnt_dscnt 0xa05
	v_mul_f32_e32 v13, v154, v99
	s_wait_loadcnt_dscnt 0x803
	v_dual_mul_f32 v43, v163, v107 :: v_dual_fma_f32 v31, v150, v94, -v31
	v_dual_fmac_f32 v9, v151, v94 :: v_dual_mul_f32 v45, v165, v109
	v_dual_mul_f32 v35, v155, v99 :: v_dual_mul_f32 v37, v157, v101
	v_dual_fmac_f32 v11, v153, v96 :: v_dual_fma_f32 v33, v152, v96, -v33
	s_delay_alu instid0(VALU_DEP_3) | instskip(SKIP_3) | instid1(VALU_DEP_3)
	v_dual_add_f32 v9, 0, v9 :: v_dual_add_f32 v31, 0, v31
	v_dual_mul_f32 v15, v156, v101 :: v_dual_mul_f32 v17, v158, v103
	s_wait_loadcnt_dscnt 0x702
	v_dual_mul_f32 v47, v167, v111 :: v_dual_fma_f32 v35, v154, v98, -v35
	v_dual_fmac_f32 v13, v155, v98 :: v_dual_add_f32 v9, v9, v11
	s_delay_alu instid0(VALU_DEP_3) | instskip(SKIP_2) | instid1(VALU_DEP_3)
	v_dual_add_f32 v11, v31, v33 :: v_dual_fmac_f32 v15, v157, v100
	v_dual_mul_f32 v39, v159, v103 :: v_dual_mul_f32 v41, v161, v105
	v_dual_mul_f32 v31, v169, v113 :: v_dual_fma_f32 v33, v156, v100, -v37
	v_dual_add_f32 v9, v9, v13 :: v_dual_add_f32 v11, v11, v35
	v_dual_mul_f32 v19, v160, v105 :: v_dual_mul_f32 v21, v162, v107
	s_wait_loadcnt_dscnt 0x601
	v_dual_mul_f32 v13, v171, v115 :: v_dual_fma_f32 v35, v158, v102, -v39
	s_delay_alu instid0(VALU_DEP_3) | instskip(NEXT) | instid1(VALU_DEP_3)
	v_dual_fmac_f32 v17, v159, v102 :: v_dual_add_f32 v9, v9, v15
	v_dual_add_f32 v11, v11, v33 :: v_dual_fmac_f32 v19, v161, v104
	v_dual_mul_f32 v15, v173, v117 :: v_dual_fma_f32 v33, v160, v104, -v41
	s_delay_alu instid0(VALU_DEP_2) | instskip(SKIP_3) | instid1(VALU_DEP_3)
	v_dual_add_f32 v9, v9, v17 :: v_dual_add_f32 v11, v11, v35
	v_dual_mul_f32 v23, v164, v109 :: v_dual_mul_f32 v25, v166, v111
	s_wait_loadcnt 0x5
	v_dual_mul_f32 v17, v135, v119 :: v_dual_fma_f32 v35, v162, v106, -v43
	v_dual_fmac_f32 v21, v163, v106 :: v_dual_add_f32 v9, v9, v19
	v_dual_add_f32 v11, v11, v33 :: v_dual_mov_b32 v94, v121
	v_dual_fmac_f32 v23, v165, v108 :: v_dual_fma_f32 v19, v164, v108, -v45
	s_delay_alu instid0(VALU_DEP_2) | instskip(SKIP_2) | instid1(VALU_DEP_3)
	v_dual_add_f32 v9, v9, v21 :: v_dual_add_f32 v11, v11, v35
	v_dual_mul_f32 v27, v168, v113 :: v_dual_mul_f32 v29, v170, v115
	v_dual_fmac_f32 v25, v167, v110 :: v_dual_fma_f32 v21, v166, v110, -v47
	v_add_f32_e32 v9, v9, v23
	s_wait_loadcnt 0x4
	v_dual_add_f32 v11, v11, v19 :: v_dual_mov_b32 v98, v125
	v_fmac_f32_e32 v27, v169, v112
	s_delay_alu instid0(VALU_DEP_3) | instskip(SKIP_1) | instid1(VALU_DEP_4)
	v_dual_fma_f32 v19, v168, v112, -v31 :: v_dual_add_f32 v9, v9, v25
	v_fmac_f32_e32 v29, v171, v114
	v_add_f32_e32 v11, v11, v21
	v_dual_mul_f32 v189, v172, v117 :: v_dual_mul_f32 v191, v134, v119
	s_delay_alu instid0(VALU_DEP_4) | instskip(NEXT) | instid1(VALU_DEP_2)
	v_dual_fma_f32 v13, v170, v114, -v13 :: v_dual_add_f32 v9, v9, v27
	v_dual_add_f32 v11, v11, v19 :: v_dual_fmac_f32 v189, v173, v116
	v_fma_f32 v188, v172, v116, -v15
	v_pk_mul_f32 v[94:95], v[180:181], v[94:95] op_sel_hi:[1,0]
	s_delay_alu instid0(VALU_DEP_4)
	v_add_f32_e32 v103, v9, v29
	s_wait_loadcnt 0x3
	v_dual_add_f32 v102, v11, v13 :: v_dual_mov_b32 v104, v129
	v_pk_mul_f32 v[96:97], v[138:139], v[122:123] op_sel:[1,1] op_sel_hi:[0,1]
	v_dual_fmac_f32 v191, v135, v118 :: v_dual_fma_f32 v190, v134, v118, -v17
	v_pk_fma_f32 v[106:107], v[136:137], v[120:121], v[94:95] op_sel_hi:[1,0,1]
	s_delay_alu instid0(VALU_DEP_4)
	v_pk_add_f32 v[102:103], v[102:103], v[188:189]
	v_pk_fma_f32 v[94:95], v[136:137], v[120:121], v[94:95] neg_lo:[0,0,1] neg_hi:[0,0,1]
	v_pk_fma_f32 v[108:109], v[138:139], v[122:123], v[96:97] op_sel_hi:[1,0,1]
	v_pk_mul_f32 v[98:99], v[182:183], v[98:99] op_sel_hi:[1,0]
	v_mov_b32_e32 v95, v107
	v_pk_add_f32 v[102:103], v[102:103], v[190:191]
	v_pk_fma_f32 v[96:97], v[138:139], v[122:123], v[96:97] neg_lo:[0,0,1] neg_hi:[0,0,1]
	v_pk_mul_f32 v[100:101], v[142:143], v[126:127] op_sel:[1,1] op_sel_hi:[0,1]
	v_mov_b32_e32 v97, v109
	v_pk_fma_f32 v[108:109], v[140:141], v[124:125], v[98:99] op_sel_hi:[1,0,1]
	v_pk_add_f32 v[94:95], v[102:103], v[94:95]
	v_pk_fma_f32 v[98:99], v[140:141], v[124:125], v[98:99] neg_lo:[0,0,1] neg_hi:[0,0,1]
	v_pk_fma_f32 v[102:103], v[142:143], v[126:127], v[100:101] op_sel_hi:[1,0,1]
	v_pk_mul_f32 v[104:105], v[184:185], v[104:105] op_sel_hi:[1,0]
	v_mov_b32_e32 v99, v109
	v_pk_add_f32 v[94:95], v[94:95], v[96:97]
	v_pk_fma_f32 v[100:101], v[142:143], v[126:127], v[100:101] neg_lo:[0,0,1] neg_hi:[0,0,1]
	s_wait_loadcnt 0x2
	v_pk_mul_f32 v[106:107], v[146:147], v[130:131] op_sel:[1,1] op_sel_hi:[0,1]
	v_dual_mov_b32 v96, v133 :: v_dual_mov_b32 v101, v103
	v_pk_fma_f32 v[102:103], v[144:145], v[128:129], v[104:105] op_sel_hi:[1,0,1]
	v_pk_add_f32 v[94:95], v[94:95], v[98:99]
	v_pk_fma_f32 v[104:105], v[144:145], v[128:129], v[104:105] neg_lo:[0,0,1] neg_hi:[0,0,1]
	v_pk_fma_f32 v[98:99], v[146:147], v[130:131], v[106:107] op_sel_hi:[1,0,1]
	v_pk_mul_f32 v[96:97], v[186:187], v[96:97] op_sel_hi:[1,0]
	v_mov_b32_e32 v105, v103
	v_pk_add_f32 v[94:95], v[94:95], v[100:101]
	v_pk_fma_f32 v[100:101], v[146:147], v[130:131], v[106:107] neg_lo:[0,0,1] neg_hi:[0,0,1]
	v_mov_b32_e32 v101, v99
	v_pk_fma_f32 v[98:99], v[148:149], v[132:133], v[96:97] op_sel_hi:[1,0,1]
	s_wait_loadcnt_dscnt 0x100
	v_pk_mul_f32 v[102:103], v[178:179], v[174:175] op_sel:[1,1] op_sel_hi:[0,1]
	v_pk_add_f32 v[94:95], v[94:95], v[104:105]
	v_pk_fma_f32 v[96:97], v[148:149], v[132:133], v[96:97] neg_lo:[0,0,1] neg_hi:[0,0,1]
	v_mov_b32_e32 v97, v99
	s_delay_alu instid0(VALU_DEP_4) | instskip(NEXT) | instid1(VALU_DEP_4)
	v_pk_fma_f32 v[98:99], v[178:179], v[174:175], v[102:103] op_sel_hi:[1,0,1]
	v_pk_add_f32 v[94:95], v[94:95], v[100:101]
	v_pk_fma_f32 v[100:101], v[178:179], v[174:175], v[102:103] neg_lo:[0,0,1] neg_hi:[0,0,1]
	s_delay_alu instid0(VALU_DEP_3) | instskip(NEXT) | instid1(VALU_DEP_3)
	v_mov_b32_e32 v101, v99
	v_pk_add_f32 v[94:95], v[94:95], v[96:97]
	s_delay_alu instid0(VALU_DEP_1) | instskip(SKIP_1) | instid1(VALU_DEP_1)
	v_pk_add_f32 v[94:95], v[94:95], v[100:101]
	s_wait_loadcnt 0x0
	v_pk_add_f32 v[94:95], v[176:177], v[94:95] neg_lo:[0,1] neg_hi:[0,1]
	scratch_store_b64 off, v[94:95], off offset:192
	s_wait_xcnt 0x0
	v_cmpx_lt_u32_e32 23, v0
	s_cbranch_execz .LBB45_243
; %bb.242:
	scratch_load_b64 v[94:95], off, off offset:184
	v_mov_b64_e32 v[96:97], 0
	scratch_store_b64 off, v[96:97], off offset:184
	s_wait_loadcnt 0x0
	ds_store_b64 v1, v[94:95]
.LBB45_243:
	s_wait_xcnt 0x0
	s_or_b32 exec_lo, exec_lo, s0
	s_wait_storecnt_dscnt 0x0
	s_barrier_signal -1
	s_barrier_wait -1
	s_clause 0xb
	scratch_load_b128 v[94:97], off, off offset:192
	scratch_load_b128 v[98:101], off, off offset:208
	;; [unrolled: 1-line block ×11, first 2 shown]
	scratch_load_b64 v[182:183], off, off offset:184
	ds_load_b128 v[138:141], v7 offset:672
	ds_load_b128 v[142:145], v7 offset:688
	;; [unrolled: 1-line block ×11, first 2 shown]
	s_mov_b32 s0, exec_lo
	s_wait_dscnt 0xa
	v_dual_mov_b32 v184, v141 :: v_dual_mov_b32 v185, v140
	s_wait_dscnt 0x9
	v_dual_mov_b32 v186, v145 :: v_dual_mov_b32 v187, v144
	;; [unrolled: 2-line block ×4, first 2 shown]
	s_wait_loadcnt_dscnt 0xb06
	v_dual_mul_f32 v7, v154, v95 :: v_dual_mul_f32 v9, v156, v97
	v_dual_mul_f32 v31, v155, v95 :: v_dual_mul_f32 v33, v157, v97
	s_wait_loadcnt_dscnt 0xa05
	v_dual_mul_f32 v11, v158, v99 :: v_dual_mul_f32 v13, v160, v101
	s_delay_alu instid0(VALU_DEP_3) | instskip(SKIP_3) | instid1(VALU_DEP_3)
	v_dual_fmac_f32 v7, v155, v94 :: v_dual_fmac_f32 v9, v157, v96
	s_wait_loadcnt_dscnt 0x803
	v_dual_fma_f32 v31, v154, v94, -v31 :: v_dual_mul_f32 v43, v167, v107
	v_dual_mul_f32 v35, v159, v99 :: v_dual_mul_f32 v37, v161, v101
	v_dual_fma_f32 v33, v156, v96, -v33 :: v_dual_add_f32 v7, 0, v7
	s_delay_alu instid0(VALU_DEP_3) | instskip(SKIP_1) | instid1(VALU_DEP_3)
	v_dual_add_f32 v31, 0, v31 :: v_dual_mul_f32 v45, v169, v109
	v_dual_fmac_f32 v11, v159, v98 :: v_dual_fmac_f32 v13, v161, v100
	v_dual_fma_f32 v35, v158, v98, -v35 :: v_dual_add_f32 v7, v7, v9
	s_delay_alu instid0(VALU_DEP_3) | instskip(SKIP_2) | instid1(VALU_DEP_4)
	v_dual_add_f32 v9, v31, v33 :: v_dual_fma_f32 v33, v160, v100, -v37
	v_dual_mul_f32 v15, v162, v103 :: v_dual_mul_f32 v17, v164, v105
	v_dual_mul_f32 v39, v163, v103 :: v_dual_mul_f32 v41, v165, v105
	v_add_f32_e32 v7, v7, v11
	s_delay_alu instid0(VALU_DEP_3) | instskip(NEXT) | instid1(VALU_DEP_3)
	v_dual_add_f32 v9, v9, v35 :: v_dual_fmac_f32 v15, v163, v102
	v_fma_f32 v35, v162, v102, -v39
	v_dual_mul_f32 v19, v166, v107 :: v_dual_mul_f32 v21, v168, v109
	s_delay_alu instid0(VALU_DEP_4) | instskip(SKIP_2) | instid1(VALU_DEP_2)
	v_dual_add_f32 v7, v7, v13 :: v_dual_fmac_f32 v17, v165, v104
	s_wait_loadcnt_dscnt 0x601
	v_dual_add_f32 v9, v9, v33 :: v_dual_mul_f32 v13, v175, v115
	v_dual_fma_f32 v33, v164, v104, -v41 :: v_dual_add_f32 v7, v7, v15
	v_mul_f32_e32 v15, v177, v117
	s_delay_alu instid0(VALU_DEP_3) | instskip(NEXT) | instid1(VALU_DEP_3)
	v_dual_add_f32 v9, v9, v35 :: v_dual_fmac_f32 v19, v167, v106
	v_dual_fma_f32 v35, v166, v106, -v43 :: v_dual_add_f32 v7, v7, v17
	v_fmac_f32_e32 v21, v169, v108
	s_wait_loadcnt_dscnt 0x500
	s_delay_alu instid0(VALU_DEP_3) | instskip(SKIP_3) | instid1(VALU_DEP_3)
	v_dual_add_f32 v9, v9, v33 :: v_dual_mul_f32 v17, v179, v119
	v_dual_mul_f32 v23, v170, v111 :: v_dual_mul_f32 v25, v172, v113
	v_dual_mul_f32 v31, v171, v111 :: v_dual_mul_f32 v11, v173, v113
	v_dual_fma_f32 v33, v168, v108, -v45 :: v_dual_add_f32 v7, v7, v19
	v_dual_add_f32 v9, v9, v35 :: v_dual_fmac_f32 v23, v171, v110
	s_delay_alu instid0(VALU_DEP_3) | instskip(NEXT) | instid1(VALU_DEP_3)
	v_dual_mul_f32 v19, v181, v121 :: v_dual_fma_f32 v31, v170, v110, -v31
	v_dual_add_f32 v7, v7, v21 :: v_dual_fmac_f32 v25, v173, v112
	s_delay_alu instid0(VALU_DEP_3) | instskip(SKIP_2) | instid1(VALU_DEP_3)
	v_dual_add_f32 v9, v9, v33 :: v_dual_fma_f32 v11, v172, v112, -v11
	v_dual_mul_f32 v27, v174, v115 :: v_dual_mul_f32 v29, v176, v117
	s_wait_loadcnt 0x4
	v_dual_add_f32 v7, v7, v23 :: v_dual_mov_b32 v96, v125
	s_delay_alu instid0(VALU_DEP_2) | instskip(NEXT) | instid1(VALU_DEP_2)
	v_dual_add_f32 v9, v9, v31 :: v_dual_fmac_f32 v27, v175, v114
	v_dual_fma_f32 v13, v174, v114, -v13 :: v_dual_add_f32 v7, v7, v25
	v_dual_mul_f32 v193, v178, v119 :: v_dual_mul_f32 v195, v180, v121
	s_delay_alu instid0(VALU_DEP_3) | instskip(NEXT) | instid1(VALU_DEP_3)
	v_dual_add_f32 v9, v9, v11 :: v_dual_fma_f32 v11, v176, v116, -v15
	v_dual_fmac_f32 v29, v177, v116 :: v_dual_add_f32 v7, v7, v27
	v_pk_mul_f32 v[94:95], v[138:139], v[122:123] op_sel:[1,1] op_sel_hi:[0,1]
	s_delay_alu instid0(VALU_DEP_3) | instskip(SKIP_2) | instid1(VALU_DEP_2)
	v_dual_add_f32 v9, v9, v13 :: v_dual_fmac_f32 v193, v179, v118
	s_wait_loadcnt 0x3
	v_dual_mov_b32 v100, v129 :: v_dual_fma_f32 v192, v178, v118, -v17
	v_dual_add_f32 v103, v7, v29 :: v_dual_add_f32 v102, v9, v11
	v_fmac_f32_e32 v195, v181, v120
	v_pk_fma_f32 v[104:105], v[138:139], v[122:123], v[94:95] op_sel_hi:[1,0,1]
	v_fma_f32 v194, v180, v120, -v19
	v_pk_mul_f32 v[96:97], v[184:185], v[96:97] op_sel_hi:[1,0]
	v_pk_add_f32 v[102:103], v[102:103], v[192:193]
	v_pk_fma_f32 v[94:95], v[138:139], v[122:123], v[94:95] neg_lo:[0,0,1] neg_hi:[0,0,1]
	v_pk_mul_f32 v[98:99], v[142:143], v[126:127] op_sel:[1,1] op_sel_hi:[0,1]
	v_mov_b32_e32 v95, v105
	v_pk_fma_f32 v[104:105], v[140:141], v[124:125], v[96:97] op_sel_hi:[1,0,1]
	v_pk_add_f32 v[102:103], v[102:103], v[194:195]
	v_pk_fma_f32 v[96:97], v[140:141], v[124:125], v[96:97] neg_lo:[0,0,1] neg_hi:[0,0,1]
	v_pk_fma_f32 v[108:109], v[142:143], v[126:127], v[98:99] op_sel_hi:[1,0,1]
	v_pk_mul_f32 v[100:101], v[186:187], v[100:101] op_sel_hi:[1,0]
	v_mov_b32_e32 v97, v105
	v_pk_add_f32 v[94:95], v[102:103], v[94:95]
	s_wait_loadcnt 0x2
	v_pk_mul_f32 v[106:107], v[146:147], v[130:131] op_sel:[1,1] op_sel_hi:[0,1]
	v_mov_b32_e32 v102, v133
	v_pk_fma_f32 v[98:99], v[142:143], v[126:127], v[98:99] neg_lo:[0,0,1] neg_hi:[0,0,1]
	v_pk_fma_f32 v[104:105], v[144:145], v[128:129], v[100:101] op_sel_hi:[1,0,1]
	v_mov_b32_e32 v99, v109
	v_pk_add_f32 v[94:95], v[94:95], v[96:97]
	v_pk_fma_f32 v[96:97], v[146:147], v[130:131], v[106:107] op_sel_hi:[1,0,1]
	v_pk_mul_f32 v[102:103], v[188:189], v[102:103] op_sel_hi:[1,0]
	v_pk_fma_f32 v[100:101], v[144:145], v[128:129], v[100:101] neg_lo:[0,0,1] neg_hi:[0,0,1]
	v_mov_b32_e32 v101, v105
	v_pk_add_f32 v[94:95], v[94:95], v[98:99]
	v_pk_fma_f32 v[104:105], v[146:147], v[130:131], v[106:107] neg_lo:[0,0,1] neg_hi:[0,0,1]
	v_mov_b32_e32 v105, v97
	v_pk_fma_f32 v[96:97], v[148:149], v[132:133], v[102:103] op_sel_hi:[1,0,1]
	s_wait_loadcnt 0x1
	v_pk_mul_f32 v[98:99], v[150:151], v[134:135] op_sel:[1,1] op_sel_hi:[0,1]
	v_pk_add_f32 v[94:95], v[94:95], v[100:101]
	v_mov_b32_e32 v96, v137
	v_pk_fma_f32 v[102:103], v[148:149], v[132:133], v[102:103] neg_lo:[0,0,1] neg_hi:[0,0,1]
	s_delay_alu instid0(VALU_DEP_4)
	v_pk_fma_f32 v[100:101], v[150:151], v[134:135], v[98:99] op_sel_hi:[1,0,1]
	v_mov_b32_e32 v103, v97
	v_pk_add_f32 v[94:95], v[94:95], v[104:105]
	v_pk_mul_f32 v[96:97], v[190:191], v[96:97] op_sel_hi:[1,0]
	v_pk_fma_f32 v[98:99], v[150:151], v[134:135], v[98:99] neg_lo:[0,0,1] neg_hi:[0,0,1]
	v_mov_b32_e32 v99, v101
	s_delay_alu instid0(VALU_DEP_4) | instskip(NEXT) | instid1(VALU_DEP_4)
	v_pk_add_f32 v[94:95], v[94:95], v[102:103]
	v_pk_fma_f32 v[100:101], v[152:153], v[136:137], v[96:97] op_sel_hi:[1,0,1]
	v_pk_fma_f32 v[96:97], v[152:153], v[136:137], v[96:97] neg_lo:[0,0,1] neg_hi:[0,0,1]
	s_delay_alu instid0(VALU_DEP_3) | instskip(NEXT) | instid1(VALU_DEP_3)
	v_pk_add_f32 v[94:95], v[94:95], v[98:99]
	v_mov_b32_e32 v97, v101
	s_delay_alu instid0(VALU_DEP_1) | instskip(SKIP_1) | instid1(VALU_DEP_1)
	v_pk_add_f32 v[94:95], v[94:95], v[96:97]
	s_wait_loadcnt 0x0
	v_pk_add_f32 v[94:95], v[182:183], v[94:95] neg_lo:[0,1] neg_hi:[0,1]
	scratch_store_b64 off, v[94:95], off offset:184
	s_wait_xcnt 0x0
	v_cmpx_lt_u32_e32 22, v0
	s_cbranch_execz .LBB45_245
; %bb.244:
	scratch_load_b64 v[94:95], off, off offset:176
	v_mov_b64_e32 v[96:97], 0
	scratch_store_b64 off, v[96:97], off offset:176
	s_wait_loadcnt 0x0
	ds_store_b64 v1, v[94:95]
.LBB45_245:
	s_wait_xcnt 0x0
	s_or_b32 exec_lo, exec_lo, s0
	s_wait_storecnt_dscnt 0x0
	s_barrier_signal -1
	s_barrier_wait -1
	s_clause 0xc
	scratch_load_b128 v[94:97], off, off offset:184
	scratch_load_b128 v[98:101], off, off offset:200
	;; [unrolled: 1-line block ×11, first 2 shown]
	scratch_load_b64 v[182:183], off, off offset:360
	scratch_load_b64 v[184:185], off, off offset:176
	v_mov_b32_e32 v7, 0
	ds_load_2addr_b64 v[138:141], v7 offset0:83 offset1:84
	ds_load_2addr_b64 v[142:145], v7 offset0:85 offset1:86
	;; [unrolled: 1-line block ×11, first 2 shown]
	ds_load_b64 v[186:187], v7 offset:728
	s_mov_b32 s0, exec_lo
	s_wait_dscnt 0xb
	v_dual_mov_b32 v188, v141 :: v_dual_mov_b32 v189, v140
	s_wait_dscnt 0x8
	v_dual_mov_b32 v190, v145 :: v_dual_mov_b32 v195, v152
	v_dual_mov_b32 v191, v144 :: v_dual_mov_b32 v192, v149
	;; [unrolled: 1-line block ×3, first 2 shown]
	s_wait_loadcnt_dscnt 0xc07
	v_dual_mul_f32 v9, v154, v95 :: v_dual_mul_f32 v35, v155, v95
	v_dual_mul_f32 v37, v157, v97 :: v_dual_mul_f32 v11, v156, v97
	s_wait_loadcnt_dscnt 0xb06
	v_mul_f32_e32 v13, v158, v99
	s_wait_loadcnt_dscnt 0x904
	v_dual_mul_f32 v47, v167, v107 :: v_dual_fma_f32 v35, v154, v94, -v35
	v_dual_fmac_f32 v9, v155, v94 :: v_dual_mul_f32 v49, v169, v109
	v_dual_mul_f32 v39, v159, v99 :: v_dual_mul_f32 v41, v161, v101
	v_dual_fmac_f32 v11, v157, v96 :: v_dual_fma_f32 v37, v156, v96, -v37
	s_delay_alu instid0(VALU_DEP_3) | instskip(SKIP_3) | instid1(VALU_DEP_3)
	v_dual_add_f32 v9, 0, v9 :: v_dual_add_f32 v35, 0, v35
	v_dual_mul_f32 v15, v160, v101 :: v_dual_mul_f32 v17, v162, v103
	s_wait_loadcnt_dscnt 0x803
	v_dual_mul_f32 v51, v171, v111 :: v_dual_fma_f32 v39, v158, v98, -v39
	v_dual_fmac_f32 v13, v159, v98 :: v_dual_add_f32 v9, v9, v11
	s_delay_alu instid0(VALU_DEP_3) | instskip(SKIP_2) | instid1(VALU_DEP_3)
	v_dual_add_f32 v11, v35, v37 :: v_dual_fmac_f32 v15, v161, v100
	v_dual_mul_f32 v43, v163, v103 :: v_dual_mul_f32 v45, v165, v105
	v_dual_mul_f32 v35, v173, v113 :: v_dual_fma_f32 v37, v160, v100, -v41
	v_dual_add_f32 v9, v9, v13 :: v_dual_add_f32 v11, v11, v39
	v_dual_mul_f32 v19, v164, v105 :: v_dual_mul_f32 v21, v166, v107
	s_wait_loadcnt_dscnt 0x701
	v_dual_mul_f32 v13, v179, v115 :: v_dual_fma_f32 v39, v162, v102, -v43
	s_delay_alu instid0(VALU_DEP_3) | instskip(NEXT) | instid1(VALU_DEP_3)
	v_dual_fmac_f32 v17, v163, v102 :: v_dual_add_f32 v9, v9, v15
	v_dual_add_f32 v11, v11, v37 :: v_dual_fmac_f32 v19, v165, v104
	v_dual_mul_f32 v15, v181, v117 :: v_dual_fma_f32 v37, v164, v104, -v45
	s_delay_alu instid0(VALU_DEP_2) | instskip(SKIP_3) | instid1(VALU_DEP_3)
	v_dual_add_f32 v9, v9, v17 :: v_dual_add_f32 v11, v11, v39
	v_dual_mul_f32 v23, v168, v109 :: v_dual_mul_f32 v25, v170, v111
	s_wait_loadcnt 0x6
	v_dual_mul_f32 v17, v175, v119 :: v_dual_fma_f32 v39, v166, v106, -v47
	v_dual_fmac_f32 v21, v167, v106 :: v_dual_add_f32 v9, v9, v19
	s_delay_alu instid0(VALU_DEP_3) | instskip(SKIP_1) | instid1(VALU_DEP_2)
	v_dual_add_f32 v11, v11, v37 :: v_dual_fmac_f32 v23, v169, v108
	v_dual_mul_f32 v19, v177, v121 :: v_dual_fma_f32 v37, v168, v108, -v49
	v_dual_add_f32 v9, v9, v21 :: v_dual_add_f32 v11, v11, v39
	v_dual_mul_f32 v27, v172, v113 :: v_dual_mul_f32 v29, v178, v115
	s_wait_loadcnt 0x5
	v_dual_mul_f32 v21, v139, v123 :: v_dual_fma_f32 v39, v170, v110, -v51
	s_delay_alu instid0(VALU_DEP_3) | instskip(SKIP_2) | instid1(VALU_DEP_3)
	v_dual_fmac_f32 v25, v171, v110 :: v_dual_add_f32 v9, v9, v23
	v_dual_add_f32 v11, v11, v37 :: v_dual_mov_b32 v94, v125
	v_fmac_f32_e32 v27, v173, v112
	v_dual_fma_f32 v23, v172, v112, -v35 :: v_dual_add_f32 v9, v9, v25
	s_delay_alu instid0(VALU_DEP_3) | instskip(SKIP_1) | instid1(VALU_DEP_3)
	v_dual_add_f32 v11, v11, v39 :: v_dual_mul_f32 v31, v180, v117
	v_dual_mul_f32 v33, v174, v119 :: v_dual_fmac_f32 v29, v179, v114
	v_dual_add_f32 v9, v9, v27 :: v_dual_fma_f32 v13, v178, v114, -v13
	s_wait_loadcnt 0x4
	s_delay_alu instid0(VALU_DEP_3) | instskip(SKIP_3) | instid1(VALU_DEP_4)
	v_dual_add_f32 v11, v11, v23 :: v_dual_mov_b32 v98, v129
	v_fma_f32 v15, v180, v116, -v15
	v_fmac_f32_e32 v31, v181, v116
	v_dual_add_f32 v9, v9, v29 :: v_dual_fmac_f32 v33, v175, v118
	v_add_f32_e32 v11, v11, v13
	v_dual_mul_f32 v197, v176, v121 :: v_dual_mul_f32 v199, v138, v123
	s_delay_alu instid0(VALU_DEP_3) | instskip(NEXT) | instid1(VALU_DEP_2)
	v_dual_fma_f32 v13, v174, v118, -v17 :: v_dual_add_f32 v9, v9, v31
	v_dual_add_f32 v11, v11, v15 :: v_dual_fmac_f32 v197, v177, v120
	v_fma_f32 v196, v176, v120, -v19
	v_pk_mul_f32 v[94:95], v[188:189], v[94:95] op_sel_hi:[1,0]
	s_delay_alu instid0(VALU_DEP_4)
	v_add_f32_e32 v103, v9, v33
	s_wait_loadcnt 0x3
	v_dual_add_f32 v102, v11, v13 :: v_dual_mov_b32 v104, v133
	v_pk_mul_f32 v[96:97], v[142:143], v[126:127] op_sel:[1,1] op_sel_hi:[0,1]
	v_dual_fmac_f32 v199, v139, v122 :: v_dual_fma_f32 v198, v138, v122, -v21
	v_pk_fma_f32 v[106:107], v[140:141], v[124:125], v[94:95] op_sel_hi:[1,0,1]
	s_delay_alu instid0(VALU_DEP_4)
	v_pk_add_f32 v[102:103], v[102:103], v[196:197]
	v_pk_fma_f32 v[94:95], v[140:141], v[124:125], v[94:95] neg_lo:[0,0,1] neg_hi:[0,0,1]
	v_pk_fma_f32 v[108:109], v[142:143], v[126:127], v[96:97] op_sel_hi:[1,0,1]
	v_pk_mul_f32 v[98:99], v[190:191], v[98:99] op_sel_hi:[1,0]
	v_mov_b32_e32 v95, v107
	v_pk_add_f32 v[102:103], v[102:103], v[198:199]
	v_pk_fma_f32 v[96:97], v[142:143], v[126:127], v[96:97] neg_lo:[0,0,1] neg_hi:[0,0,1]
	v_pk_mul_f32 v[100:101], v[146:147], v[130:131] op_sel:[1,1] op_sel_hi:[0,1]
	v_mov_b32_e32 v97, v109
	v_pk_fma_f32 v[108:109], v[144:145], v[128:129], v[98:99] op_sel_hi:[1,0,1]
	v_pk_add_f32 v[94:95], v[102:103], v[94:95]
	v_pk_fma_f32 v[98:99], v[144:145], v[128:129], v[98:99] neg_lo:[0,0,1] neg_hi:[0,0,1]
	v_pk_fma_f32 v[102:103], v[146:147], v[130:131], v[100:101] op_sel_hi:[1,0,1]
	v_pk_mul_f32 v[104:105], v[192:193], v[104:105] op_sel_hi:[1,0]
	v_mov_b32_e32 v99, v109
	v_pk_add_f32 v[94:95], v[94:95], v[96:97]
	v_pk_fma_f32 v[100:101], v[146:147], v[130:131], v[100:101] neg_lo:[0,0,1] neg_hi:[0,0,1]
	s_wait_loadcnt 0x2
	v_pk_mul_f32 v[106:107], v[150:151], v[134:135] op_sel:[1,1] op_sel_hi:[0,1]
	v_dual_mov_b32 v96, v137 :: v_dual_mov_b32 v101, v103
	v_pk_fma_f32 v[102:103], v[148:149], v[132:133], v[104:105] op_sel_hi:[1,0,1]
	v_pk_add_f32 v[94:95], v[94:95], v[98:99]
	v_pk_fma_f32 v[104:105], v[148:149], v[132:133], v[104:105] neg_lo:[0,0,1] neg_hi:[0,0,1]
	v_pk_fma_f32 v[98:99], v[150:151], v[134:135], v[106:107] op_sel_hi:[1,0,1]
	v_pk_mul_f32 v[96:97], v[194:195], v[96:97] op_sel_hi:[1,0]
	v_mov_b32_e32 v105, v103
	v_pk_add_f32 v[94:95], v[94:95], v[100:101]
	v_pk_fma_f32 v[100:101], v[150:151], v[134:135], v[106:107] neg_lo:[0,0,1] neg_hi:[0,0,1]
	v_mov_b32_e32 v101, v99
	v_pk_fma_f32 v[98:99], v[152:153], v[136:137], v[96:97] op_sel_hi:[1,0,1]
	s_wait_loadcnt_dscnt 0x100
	v_pk_mul_f32 v[102:103], v[186:187], v[182:183] op_sel:[1,1] op_sel_hi:[0,1]
	v_pk_add_f32 v[94:95], v[94:95], v[104:105]
	v_pk_fma_f32 v[96:97], v[152:153], v[136:137], v[96:97] neg_lo:[0,0,1] neg_hi:[0,0,1]
	v_mov_b32_e32 v97, v99
	s_delay_alu instid0(VALU_DEP_4) | instskip(NEXT) | instid1(VALU_DEP_4)
	v_pk_fma_f32 v[98:99], v[186:187], v[182:183], v[102:103] op_sel_hi:[1,0,1]
	v_pk_add_f32 v[94:95], v[94:95], v[100:101]
	v_pk_fma_f32 v[100:101], v[186:187], v[182:183], v[102:103] neg_lo:[0,0,1] neg_hi:[0,0,1]
	s_delay_alu instid0(VALU_DEP_3) | instskip(NEXT) | instid1(VALU_DEP_3)
	v_mov_b32_e32 v101, v99
	v_pk_add_f32 v[94:95], v[94:95], v[96:97]
	s_delay_alu instid0(VALU_DEP_1) | instskip(SKIP_1) | instid1(VALU_DEP_1)
	v_pk_add_f32 v[94:95], v[94:95], v[100:101]
	s_wait_loadcnt 0x0
	v_pk_add_f32 v[94:95], v[184:185], v[94:95] neg_lo:[0,1] neg_hi:[0,1]
	scratch_store_b64 off, v[94:95], off offset:176
	s_wait_xcnt 0x0
	v_cmpx_lt_u32_e32 21, v0
	s_cbranch_execz .LBB45_247
; %bb.246:
	scratch_load_b64 v[94:95], off, off offset:168
	v_mov_b64_e32 v[96:97], 0
	scratch_store_b64 off, v[96:97], off offset:168
	s_wait_loadcnt 0x0
	ds_store_b64 v1, v[94:95]
.LBB45_247:
	s_wait_xcnt 0x0
	s_or_b32 exec_lo, exec_lo, s0
	s_wait_storecnt_dscnt 0x0
	s_barrier_signal -1
	s_barrier_wait -1
	s_clause 0xc
	scratch_load_b128 v[94:97], off, off offset:176
	scratch_load_b128 v[98:101], off, off offset:192
	;; [unrolled: 1-line block ×12, first 2 shown]
	scratch_load_b64 v[190:191], off, off offset:168
	ds_load_b128 v[142:145], v7 offset:672
	ds_load_b128 v[146:149], v7 offset:688
	;; [unrolled: 1-line block ×12, first 2 shown]
	s_mov_b32 s0, exec_lo
	s_wait_dscnt 0xb
	v_dual_mov_b32 v192, v145 :: v_dual_mov_b32 v193, v144
	s_wait_dscnt 0xa
	v_dual_mov_b32 v194, v149 :: v_dual_mov_b32 v195, v148
	;; [unrolled: 2-line block ×4, first 2 shown]
	s_wait_loadcnt_dscnt 0xc07
	v_dual_mul_f32 v7, v158, v95 :: v_dual_mul_f32 v9, v160, v97
	v_dual_mul_f32 v35, v159, v95 :: v_dual_mul_f32 v37, v161, v97
	s_wait_loadcnt_dscnt 0xb06
	v_dual_mul_f32 v11, v162, v99 :: v_dual_mul_f32 v13, v164, v101
	s_delay_alu instid0(VALU_DEP_3) | instskip(SKIP_3) | instid1(VALU_DEP_3)
	v_dual_fmac_f32 v7, v159, v94 :: v_dual_fmac_f32 v9, v161, v96
	s_wait_loadcnt_dscnt 0x904
	v_dual_fma_f32 v35, v158, v94, -v35 :: v_dual_mul_f32 v47, v171, v107
	v_dual_mul_f32 v39, v163, v99 :: v_dual_mul_f32 v41, v165, v101
	v_dual_fma_f32 v37, v160, v96, -v37 :: v_dual_add_f32 v7, 0, v7
	s_delay_alu instid0(VALU_DEP_3) | instskip(SKIP_1) | instid1(VALU_DEP_3)
	v_dual_add_f32 v35, 0, v35 :: v_dual_mul_f32 v49, v173, v109
	v_dual_fmac_f32 v11, v163, v98 :: v_dual_fmac_f32 v13, v165, v100
	v_dual_fma_f32 v39, v162, v98, -v39 :: v_dual_add_f32 v7, v7, v9
	s_delay_alu instid0(VALU_DEP_3) | instskip(SKIP_2) | instid1(VALU_DEP_4)
	v_dual_add_f32 v9, v35, v37 :: v_dual_fma_f32 v37, v164, v100, -v41
	v_dual_mul_f32 v15, v166, v103 :: v_dual_mul_f32 v17, v168, v105
	v_dual_mul_f32 v43, v167, v103 :: v_dual_mul_f32 v45, v169, v105
	v_add_f32_e32 v7, v7, v11
	s_delay_alu instid0(VALU_DEP_3) | instskip(NEXT) | instid1(VALU_DEP_3)
	v_dual_add_f32 v9, v9, v39 :: v_dual_fmac_f32 v15, v167, v102
	v_fma_f32 v39, v166, v102, -v43
	v_dual_mul_f32 v19, v170, v107 :: v_dual_mul_f32 v21, v172, v109
	s_delay_alu instid0(VALU_DEP_4) | instskip(SKIP_2) | instid1(VALU_DEP_2)
	v_dual_add_f32 v7, v7, v13 :: v_dual_fmac_f32 v17, v169, v104
	s_wait_loadcnt_dscnt 0x702
	v_dual_add_f32 v9, v9, v37 :: v_dual_mul_f32 v13, v179, v115
	v_dual_fma_f32 v37, v168, v104, -v45 :: v_dual_add_f32 v7, v7, v15
	v_mul_f32_e32 v15, v181, v117
	s_delay_alu instid0(VALU_DEP_3) | instskip(NEXT) | instid1(VALU_DEP_3)
	v_dual_add_f32 v9, v9, v39 :: v_dual_fmac_f32 v19, v171, v106
	v_dual_fma_f32 v39, v170, v106, -v47 :: v_dual_add_f32 v7, v7, v17
	v_fmac_f32_e32 v21, v173, v108
	s_wait_loadcnt_dscnt 0x601
	s_delay_alu instid0(VALU_DEP_3) | instskip(SKIP_3) | instid1(VALU_DEP_3)
	v_dual_add_f32 v9, v9, v37 :: v_dual_mul_f32 v17, v183, v119
	v_dual_mul_f32 v23, v174, v111 :: v_dual_mul_f32 v25, v176, v113
	v_dual_mul_f32 v35, v175, v111 :: v_dual_mul_f32 v11, v177, v113
	v_dual_fma_f32 v37, v172, v108, -v49 :: v_dual_add_f32 v7, v7, v19
	v_dual_add_f32 v9, v9, v39 :: v_dual_fmac_f32 v23, v175, v110
	s_delay_alu instid0(VALU_DEP_3) | instskip(NEXT) | instid1(VALU_DEP_3)
	v_dual_mul_f32 v19, v185, v121 :: v_dual_fma_f32 v35, v174, v110, -v35
	v_dual_add_f32 v7, v7, v21 :: v_dual_fmac_f32 v25, v177, v112
	s_wait_loadcnt_dscnt 0x500
	s_delay_alu instid0(VALU_DEP_3) | instskip(SKIP_1) | instid1(VALU_DEP_3)
	v_dual_add_f32 v9, v9, v37 :: v_dual_mul_f32 v21, v187, v123
	v_dual_mul_f32 v27, v178, v115 :: v_dual_mul_f32 v29, v180, v117
	v_dual_fma_f32 v11, v176, v112, -v11 :: v_dual_add_f32 v7, v7, v23
	s_delay_alu instid0(VALU_DEP_2) | instskip(SKIP_1) | instid1(VALU_DEP_2)
	v_dual_add_f32 v9, v9, v35 :: v_dual_fmac_f32 v27, v179, v114
	v_dual_mul_f32 v23, v189, v125 :: v_dual_fma_f32 v13, v178, v114, -v13
	v_dual_add_f32 v7, v7, v25 :: v_dual_add_f32 v9, v9, v11
	v_dual_mul_f32 v31, v182, v119 :: v_dual_mul_f32 v33, v184, v121
	v_dual_fmac_f32 v29, v181, v116 :: v_dual_fma_f32 v11, v180, v116, -v15
	s_delay_alu instid0(VALU_DEP_3) | instskip(SKIP_1) | instid1(VALU_DEP_3)
	v_dual_add_f32 v7, v7, v27 :: v_dual_add_f32 v9, v9, v13
	s_wait_loadcnt 0x4
	v_dual_mov_b32 v96, v129 :: v_dual_fmac_f32 v31, v183, v118
	s_delay_alu instid0(VALU_DEP_2) | instskip(NEXT) | instid1(VALU_DEP_3)
	v_dual_fma_f32 v13, v182, v118, -v17 :: v_dual_add_f32 v7, v7, v29
	v_dual_add_f32 v9, v9, v11 :: v_dual_fma_f32 v11, v184, v120, -v19
	v_dual_mul_f32 v201, v186, v123 :: v_dual_mul_f32 v203, v188, v125
	s_delay_alu instid0(VALU_DEP_3) | instskip(NEXT) | instid1(VALU_DEP_2)
	v_dual_fmac_f32 v33, v185, v120 :: v_dual_add_f32 v7, v7, v31
	v_dual_add_f32 v9, v9, v13 :: v_dual_fmac_f32 v201, v187, v122
	v_pk_mul_f32 v[94:95], v[142:143], v[126:127] op_sel:[1,1] op_sel_hi:[0,1]
	s_wait_loadcnt 0x3
	v_dual_mov_b32 v100, v133 :: v_dual_fma_f32 v200, v186, v122, -v21
	s_delay_alu instid0(VALU_DEP_3)
	v_dual_add_f32 v103, v7, v33 :: v_dual_add_f32 v102, v9, v11
	v_fmac_f32_e32 v203, v189, v124
	v_pk_fma_f32 v[104:105], v[142:143], v[126:127], v[94:95] op_sel_hi:[1,0,1]
	v_fma_f32 v202, v188, v124, -v23
	v_pk_mul_f32 v[96:97], v[192:193], v[96:97] op_sel_hi:[1,0]
	v_pk_add_f32 v[102:103], v[102:103], v[200:201]
	v_pk_fma_f32 v[94:95], v[142:143], v[126:127], v[94:95] neg_lo:[0,0,1] neg_hi:[0,0,1]
	v_pk_mul_f32 v[98:99], v[146:147], v[130:131] op_sel:[1,1] op_sel_hi:[0,1]
	v_mov_b32_e32 v95, v105
	v_pk_fma_f32 v[104:105], v[144:145], v[128:129], v[96:97] op_sel_hi:[1,0,1]
	v_pk_add_f32 v[102:103], v[102:103], v[202:203]
	v_pk_fma_f32 v[96:97], v[144:145], v[128:129], v[96:97] neg_lo:[0,0,1] neg_hi:[0,0,1]
	v_pk_fma_f32 v[108:109], v[146:147], v[130:131], v[98:99] op_sel_hi:[1,0,1]
	v_pk_mul_f32 v[100:101], v[194:195], v[100:101] op_sel_hi:[1,0]
	v_mov_b32_e32 v97, v105
	v_pk_add_f32 v[94:95], v[102:103], v[94:95]
	s_wait_loadcnt 0x2
	v_pk_mul_f32 v[106:107], v[150:151], v[134:135] op_sel:[1,1] op_sel_hi:[0,1]
	v_mov_b32_e32 v102, v137
	v_pk_fma_f32 v[98:99], v[146:147], v[130:131], v[98:99] neg_lo:[0,0,1] neg_hi:[0,0,1]
	v_pk_fma_f32 v[104:105], v[148:149], v[132:133], v[100:101] op_sel_hi:[1,0,1]
	v_mov_b32_e32 v99, v109
	v_pk_add_f32 v[94:95], v[94:95], v[96:97]
	v_pk_fma_f32 v[96:97], v[150:151], v[134:135], v[106:107] op_sel_hi:[1,0,1]
	v_pk_mul_f32 v[102:103], v[196:197], v[102:103] op_sel_hi:[1,0]
	v_pk_fma_f32 v[100:101], v[148:149], v[132:133], v[100:101] neg_lo:[0,0,1] neg_hi:[0,0,1]
	v_mov_b32_e32 v101, v105
	v_pk_add_f32 v[94:95], v[94:95], v[98:99]
	v_pk_fma_f32 v[104:105], v[150:151], v[134:135], v[106:107] neg_lo:[0,0,1] neg_hi:[0,0,1]
	v_mov_b32_e32 v105, v97
	v_pk_fma_f32 v[96:97], v[152:153], v[136:137], v[102:103] op_sel_hi:[1,0,1]
	s_wait_loadcnt 0x1
	v_pk_mul_f32 v[98:99], v[154:155], v[138:139] op_sel:[1,1] op_sel_hi:[0,1]
	v_pk_add_f32 v[94:95], v[94:95], v[100:101]
	v_mov_b32_e32 v96, v141
	v_pk_fma_f32 v[102:103], v[152:153], v[136:137], v[102:103] neg_lo:[0,0,1] neg_hi:[0,0,1]
	s_delay_alu instid0(VALU_DEP_4)
	v_pk_fma_f32 v[100:101], v[154:155], v[138:139], v[98:99] op_sel_hi:[1,0,1]
	v_mov_b32_e32 v103, v97
	v_pk_add_f32 v[94:95], v[94:95], v[104:105]
	v_pk_mul_f32 v[96:97], v[198:199], v[96:97] op_sel_hi:[1,0]
	v_pk_fma_f32 v[98:99], v[154:155], v[138:139], v[98:99] neg_lo:[0,0,1] neg_hi:[0,0,1]
	v_mov_b32_e32 v99, v101
	s_delay_alu instid0(VALU_DEP_4) | instskip(NEXT) | instid1(VALU_DEP_4)
	v_pk_add_f32 v[94:95], v[94:95], v[102:103]
	v_pk_fma_f32 v[100:101], v[156:157], v[140:141], v[96:97] op_sel_hi:[1,0,1]
	v_pk_fma_f32 v[96:97], v[156:157], v[140:141], v[96:97] neg_lo:[0,0,1] neg_hi:[0,0,1]
	s_delay_alu instid0(VALU_DEP_3) | instskip(NEXT) | instid1(VALU_DEP_3)
	v_pk_add_f32 v[94:95], v[94:95], v[98:99]
	v_mov_b32_e32 v97, v101
	s_delay_alu instid0(VALU_DEP_1) | instskip(SKIP_1) | instid1(VALU_DEP_1)
	v_pk_add_f32 v[94:95], v[94:95], v[96:97]
	s_wait_loadcnt 0x0
	v_pk_add_f32 v[94:95], v[190:191], v[94:95] neg_lo:[0,1] neg_hi:[0,1]
	scratch_store_b64 off, v[94:95], off offset:168
	s_wait_xcnt 0x0
	v_cmpx_lt_u32_e32 20, v0
	s_cbranch_execz .LBB45_249
; %bb.248:
	scratch_load_b64 v[94:95], off, off offset:160
	v_mov_b64_e32 v[96:97], 0
	scratch_store_b64 off, v[96:97], off offset:160
	s_wait_loadcnt 0x0
	ds_store_b64 v1, v[94:95]
.LBB45_249:
	s_wait_xcnt 0x0
	s_or_b32 exec_lo, exec_lo, s0
	s_wait_storecnt_dscnt 0x0
	s_barrier_signal -1
	s_barrier_wait -1
	s_clause 0xd
	scratch_load_b128 v[94:97], off, off offset:168
	scratch_load_b128 v[98:101], off, off offset:184
	;; [unrolled: 1-line block ×12, first 2 shown]
	scratch_load_b64 v[190:191], off, off offset:360
	scratch_load_b64 v[192:193], off, off offset:160
	v_mov_b32_e32 v7, 0
	ds_load_2addr_b64 v[142:145], v7 offset0:83 offset1:84
	ds_load_2addr_b64 v[146:149], v7 offset0:85 offset1:86
	ds_load_2addr_b64 v[150:153], v7 offset0:87 offset1:88
	ds_load_2addr_b64 v[154:157], v7 offset0:89 offset1:90
	ds_load_2addr_b64 v[158:161], v7 offset0:67 offset1:68
	ds_load_2addr_b64 v[162:165], v7 offset0:69 offset1:70
	ds_load_2addr_b64 v[166:169], v7 offset0:71 offset1:72
	ds_load_2addr_b64 v[170:173], v7 offset0:73 offset1:74
	ds_load_2addr_b64 v[174:177], v7 offset0:75 offset1:76
	ds_load_2addr_b64 v[178:181], v7 offset0:77 offset1:78
	ds_load_2addr_b64 v[182:185], v7 offset0:79 offset1:80
	ds_load_2addr_b64 v[186:189], v7 offset0:81 offset1:82
	ds_load_b64 v[194:195], v7 offset:728
	s_mov_b32 s0, exec_lo
	s_wait_dscnt 0xc
	v_dual_mov_b32 v196, v145 :: v_dual_mov_b32 v197, v144
	s_wait_dscnt 0x9
	v_dual_mov_b32 v198, v149 :: v_dual_mov_b32 v203, v156
	v_dual_mov_b32 v199, v148 :: v_dual_mov_b32 v200, v153
	;; [unrolled: 1-line block ×3, first 2 shown]
	s_wait_loadcnt_dscnt 0xd08
	v_dual_mul_f32 v9, v158, v95 :: v_dual_mul_f32 v39, v159, v95
	v_dual_mul_f32 v41, v161, v97 :: v_dual_mul_f32 v11, v160, v97
	s_wait_loadcnt_dscnt 0xc07
	v_mul_f32_e32 v13, v162, v99
	s_wait_loadcnt_dscnt 0xa05
	v_dual_mul_f32 v51, v171, v107 :: v_dual_fma_f32 v39, v158, v94, -v39
	v_dual_fmac_f32 v9, v159, v94 :: v_dual_mul_f32 v53, v173, v109
	v_dual_mul_f32 v43, v163, v99 :: v_dual_mul_f32 v45, v165, v101
	v_dual_fmac_f32 v11, v161, v96 :: v_dual_fma_f32 v41, v160, v96, -v41
	s_delay_alu instid0(VALU_DEP_3) | instskip(SKIP_3) | instid1(VALU_DEP_3)
	v_dual_add_f32 v9, 0, v9 :: v_dual_add_f32 v39, 0, v39
	v_dual_mul_f32 v15, v164, v101 :: v_dual_mul_f32 v17, v166, v103
	s_wait_loadcnt_dscnt 0x904
	v_dual_mul_f32 v55, v175, v111 :: v_dual_fma_f32 v43, v162, v98, -v43
	v_dual_fmac_f32 v13, v163, v98 :: v_dual_add_f32 v9, v9, v11
	s_delay_alu instid0(VALU_DEP_3) | instskip(SKIP_2) | instid1(VALU_DEP_3)
	v_dual_add_f32 v11, v39, v41 :: v_dual_fmac_f32 v15, v165, v100
	v_dual_mul_f32 v47, v167, v103 :: v_dual_mul_f32 v49, v169, v105
	v_dual_mul_f32 v39, v177, v113 :: v_dual_fma_f32 v41, v164, v100, -v45
	v_dual_add_f32 v9, v9, v13 :: v_dual_add_f32 v11, v11, v43
	v_dual_mul_f32 v19, v168, v105 :: v_dual_mul_f32 v21, v170, v107
	s_wait_loadcnt_dscnt 0x803
	v_dual_mul_f32 v13, v179, v115 :: v_dual_fma_f32 v43, v166, v102, -v47
	s_delay_alu instid0(VALU_DEP_3) | instskip(NEXT) | instid1(VALU_DEP_3)
	v_dual_fmac_f32 v17, v167, v102 :: v_dual_add_f32 v9, v9, v15
	v_dual_add_f32 v11, v11, v41 :: v_dual_fmac_f32 v19, v169, v104
	v_dual_mul_f32 v15, v181, v117 :: v_dual_fma_f32 v41, v168, v104, -v49
	s_delay_alu instid0(VALU_DEP_2) | instskip(SKIP_3) | instid1(VALU_DEP_3)
	v_dual_add_f32 v9, v9, v17 :: v_dual_add_f32 v11, v11, v43
	v_dual_mul_f32 v23, v172, v109 :: v_dual_mul_f32 v25, v174, v111
	s_wait_loadcnt_dscnt 0x702
	v_dual_mul_f32 v17, v183, v119 :: v_dual_fma_f32 v43, v170, v106, -v51
	v_dual_fmac_f32 v21, v171, v106 :: v_dual_add_f32 v9, v9, v19
	s_delay_alu instid0(VALU_DEP_3) | instskip(SKIP_1) | instid1(VALU_DEP_2)
	v_dual_add_f32 v11, v11, v41 :: v_dual_fmac_f32 v23, v173, v108
	v_dual_mul_f32 v19, v185, v121 :: v_dual_fma_f32 v41, v172, v108, -v53
	v_dual_add_f32 v9, v9, v21 :: v_dual_add_f32 v11, v11, v43
	v_dual_mul_f32 v27, v176, v113 :: v_dual_mul_f32 v29, v178, v115
	s_wait_loadcnt_dscnt 0x601
	v_dual_mul_f32 v21, v187, v123 :: v_dual_fma_f32 v43, v174, v110, -v55
	s_delay_alu instid0(VALU_DEP_3) | instskip(NEXT) | instid1(VALU_DEP_3)
	v_dual_fmac_f32 v25, v175, v110 :: v_dual_add_f32 v9, v9, v23
	v_dual_add_f32 v11, v11, v41 :: v_dual_fmac_f32 v27, v177, v112
	v_dual_mul_f32 v23, v189, v125 :: v_dual_fma_f32 v39, v176, v112, -v39
	s_delay_alu instid0(VALU_DEP_2) | instskip(SKIP_3) | instid1(VALU_DEP_3)
	v_dual_add_f32 v9, v9, v25 :: v_dual_add_f32 v11, v11, v43
	v_dual_mul_f32 v31, v180, v117 :: v_dual_mul_f32 v33, v182, v119
	s_wait_loadcnt 0x5
	v_dual_mul_f32 v25, v143, v127 :: v_dual_fma_f32 v13, v178, v114, -v13
	v_dual_fmac_f32 v29, v179, v114 :: v_dual_add_f32 v9, v9, v27
	v_dual_add_f32 v11, v11, v39 :: v_dual_mov_b32 v94, v129
	v_fmac_f32_e32 v31, v181, v116
	s_delay_alu instid0(VALU_DEP_3) | instskip(NEXT) | instid1(VALU_DEP_3)
	v_dual_fma_f32 v15, v180, v116, -v15 :: v_dual_add_f32 v9, v9, v29
	v_add_f32_e32 v11, v11, v13
	v_dual_mul_f32 v35, v184, v121 :: v_dual_mul_f32 v37, v186, v123
	s_delay_alu instid0(VALU_DEP_3) | instskip(NEXT) | instid1(VALU_DEP_3)
	v_dual_fmac_f32 v33, v183, v118 :: v_dual_add_f32 v9, v9, v31
	v_dual_fma_f32 v13, v182, v118, -v17 :: v_dual_add_f32 v11, v11, v15
	s_wait_loadcnt 0x4
	v_dual_mov_b32 v98, v133 :: v_dual_fma_f32 v15, v184, v120, -v19
	v_fmac_f32_e32 v35, v185, v120
	v_dual_add_f32 v9, v9, v33 :: v_dual_fmac_f32 v37, v187, v122
	v_add_f32_e32 v11, v11, v13
	v_dual_mul_f32 v205, v188, v125 :: v_dual_mul_f32 v207, v142, v127
	s_delay_alu instid0(VALU_DEP_3) | instskip(NEXT) | instid1(VALU_DEP_2)
	v_dual_fma_f32 v13, v186, v122, -v21 :: v_dual_add_f32 v9, v9, v35
	v_dual_add_f32 v11, v11, v15 :: v_dual_fmac_f32 v205, v189, v124
	v_fma_f32 v204, v188, v124, -v23
	v_pk_mul_f32 v[94:95], v[196:197], v[94:95] op_sel_hi:[1,0]
	s_delay_alu instid0(VALU_DEP_4)
	v_add_f32_e32 v103, v9, v37
	s_wait_loadcnt 0x3
	v_dual_add_f32 v102, v11, v13 :: v_dual_mov_b32 v104, v137
	v_pk_mul_f32 v[96:97], v[146:147], v[130:131] op_sel:[1,1] op_sel_hi:[0,1]
	v_dual_fmac_f32 v207, v143, v126 :: v_dual_fma_f32 v206, v142, v126, -v25
	v_pk_fma_f32 v[106:107], v[144:145], v[128:129], v[94:95] op_sel_hi:[1,0,1]
	s_delay_alu instid0(VALU_DEP_4)
	v_pk_add_f32 v[102:103], v[102:103], v[204:205]
	v_pk_fma_f32 v[94:95], v[144:145], v[128:129], v[94:95] neg_lo:[0,0,1] neg_hi:[0,0,1]
	v_pk_fma_f32 v[108:109], v[146:147], v[130:131], v[96:97] op_sel_hi:[1,0,1]
	v_pk_mul_f32 v[98:99], v[198:199], v[98:99] op_sel_hi:[1,0]
	v_mov_b32_e32 v95, v107
	v_pk_add_f32 v[102:103], v[102:103], v[206:207]
	v_pk_fma_f32 v[96:97], v[146:147], v[130:131], v[96:97] neg_lo:[0,0,1] neg_hi:[0,0,1]
	v_pk_mul_f32 v[100:101], v[150:151], v[134:135] op_sel:[1,1] op_sel_hi:[0,1]
	v_mov_b32_e32 v97, v109
	v_pk_fma_f32 v[108:109], v[148:149], v[132:133], v[98:99] op_sel_hi:[1,0,1]
	v_pk_add_f32 v[94:95], v[102:103], v[94:95]
	v_pk_fma_f32 v[98:99], v[148:149], v[132:133], v[98:99] neg_lo:[0,0,1] neg_hi:[0,0,1]
	v_pk_fma_f32 v[102:103], v[150:151], v[134:135], v[100:101] op_sel_hi:[1,0,1]
	v_pk_mul_f32 v[104:105], v[200:201], v[104:105] op_sel_hi:[1,0]
	v_mov_b32_e32 v99, v109
	v_pk_add_f32 v[94:95], v[94:95], v[96:97]
	v_pk_fma_f32 v[100:101], v[150:151], v[134:135], v[100:101] neg_lo:[0,0,1] neg_hi:[0,0,1]
	s_wait_loadcnt 0x2
	v_pk_mul_f32 v[106:107], v[154:155], v[138:139] op_sel:[1,1] op_sel_hi:[0,1]
	v_dual_mov_b32 v96, v141 :: v_dual_mov_b32 v101, v103
	v_pk_fma_f32 v[102:103], v[152:153], v[136:137], v[104:105] op_sel_hi:[1,0,1]
	v_pk_add_f32 v[94:95], v[94:95], v[98:99]
	v_pk_fma_f32 v[104:105], v[152:153], v[136:137], v[104:105] neg_lo:[0,0,1] neg_hi:[0,0,1]
	v_pk_fma_f32 v[98:99], v[154:155], v[138:139], v[106:107] op_sel_hi:[1,0,1]
	v_pk_mul_f32 v[96:97], v[202:203], v[96:97] op_sel_hi:[1,0]
	v_mov_b32_e32 v105, v103
	v_pk_add_f32 v[94:95], v[94:95], v[100:101]
	v_pk_fma_f32 v[100:101], v[154:155], v[138:139], v[106:107] neg_lo:[0,0,1] neg_hi:[0,0,1]
	v_mov_b32_e32 v101, v99
	v_pk_fma_f32 v[98:99], v[156:157], v[140:141], v[96:97] op_sel_hi:[1,0,1]
	s_wait_loadcnt_dscnt 0x100
	v_pk_mul_f32 v[102:103], v[194:195], v[190:191] op_sel:[1,1] op_sel_hi:[0,1]
	v_pk_add_f32 v[94:95], v[94:95], v[104:105]
	v_pk_fma_f32 v[96:97], v[156:157], v[140:141], v[96:97] neg_lo:[0,0,1] neg_hi:[0,0,1]
	v_mov_b32_e32 v97, v99
	s_delay_alu instid0(VALU_DEP_4) | instskip(NEXT) | instid1(VALU_DEP_4)
	v_pk_fma_f32 v[98:99], v[194:195], v[190:191], v[102:103] op_sel_hi:[1,0,1]
	v_pk_add_f32 v[94:95], v[94:95], v[100:101]
	v_pk_fma_f32 v[100:101], v[194:195], v[190:191], v[102:103] neg_lo:[0,0,1] neg_hi:[0,0,1]
	s_delay_alu instid0(VALU_DEP_3) | instskip(NEXT) | instid1(VALU_DEP_3)
	v_mov_b32_e32 v101, v99
	v_pk_add_f32 v[94:95], v[94:95], v[96:97]
	s_delay_alu instid0(VALU_DEP_1) | instskip(SKIP_1) | instid1(VALU_DEP_1)
	v_pk_add_f32 v[94:95], v[94:95], v[100:101]
	s_wait_loadcnt 0x0
	v_pk_add_f32 v[94:95], v[192:193], v[94:95] neg_lo:[0,1] neg_hi:[0,1]
	scratch_store_b64 off, v[94:95], off offset:160
	s_wait_xcnt 0x0
	v_cmpx_lt_u32_e32 19, v0
	s_cbranch_execz .LBB45_251
; %bb.250:
	scratch_load_b64 v[94:95], off, off offset:152
	v_mov_b64_e32 v[96:97], 0
	scratch_store_b64 off, v[96:97], off offset:152
	s_wait_loadcnt 0x0
	ds_store_b64 v1, v[94:95]
.LBB45_251:
	s_wait_xcnt 0x0
	s_or_b32 exec_lo, exec_lo, s0
	s_wait_storecnt_dscnt 0x0
	s_barrier_signal -1
	s_barrier_wait -1
	s_clause 0xd
	scratch_load_b128 v[94:97], off, off offset:160
	scratch_load_b128 v[98:101], off, off offset:176
	;; [unrolled: 1-line block ×13, first 2 shown]
	scratch_load_b64 v[198:199], off, off offset:152
	ds_load_b128 v[146:149], v7 offset:672
	ds_load_b128 v[150:153], v7 offset:688
	;; [unrolled: 1-line block ×13, first 2 shown]
	s_mov_b32 s0, exec_lo
	s_wait_dscnt 0xc
	v_dual_mov_b32 v200, v149 :: v_dual_mov_b32 v201, v148
	s_wait_dscnt 0xb
	v_dual_mov_b32 v202, v153 :: v_dual_mov_b32 v203, v152
	;; [unrolled: 2-line block ×4, first 2 shown]
	s_wait_loadcnt_dscnt 0xd08
	v_dual_mul_f32 v7, v162, v95 :: v_dual_mul_f32 v9, v164, v97
	v_dual_mul_f32 v39, v163, v95 :: v_dual_mul_f32 v41, v165, v97
	s_wait_loadcnt_dscnt 0xc07
	v_dual_mul_f32 v11, v166, v99 :: v_dual_mul_f32 v13, v168, v101
	s_delay_alu instid0(VALU_DEP_3) | instskip(SKIP_3) | instid1(VALU_DEP_3)
	v_dual_fmac_f32 v7, v163, v94 :: v_dual_fmac_f32 v9, v165, v96
	s_wait_loadcnt_dscnt 0xa05
	v_dual_fma_f32 v39, v162, v94, -v39 :: v_dual_mul_f32 v51, v175, v107
	v_dual_mul_f32 v43, v167, v99 :: v_dual_mul_f32 v45, v169, v101
	v_dual_fma_f32 v41, v164, v96, -v41 :: v_dual_add_f32 v7, 0, v7
	s_delay_alu instid0(VALU_DEP_3) | instskip(SKIP_1) | instid1(VALU_DEP_3)
	v_dual_add_f32 v39, 0, v39 :: v_dual_mul_f32 v53, v177, v109
	v_dual_fmac_f32 v11, v167, v98 :: v_dual_fmac_f32 v13, v169, v100
	v_dual_fma_f32 v43, v166, v98, -v43 :: v_dual_add_f32 v7, v7, v9
	s_delay_alu instid0(VALU_DEP_3) | instskip(SKIP_2) | instid1(VALU_DEP_4)
	v_dual_add_f32 v9, v39, v41 :: v_dual_fma_f32 v41, v168, v100, -v45
	v_dual_mul_f32 v15, v170, v103 :: v_dual_mul_f32 v17, v172, v105
	v_dual_mul_f32 v47, v171, v103 :: v_dual_mul_f32 v49, v173, v105
	v_add_f32_e32 v7, v7, v11
	s_delay_alu instid0(VALU_DEP_3) | instskip(NEXT) | instid1(VALU_DEP_3)
	v_dual_add_f32 v9, v9, v43 :: v_dual_fmac_f32 v15, v171, v102
	v_fma_f32 v43, v170, v102, -v47
	v_dual_mul_f32 v19, v174, v107 :: v_dual_mul_f32 v21, v176, v109
	s_delay_alu instid0(VALU_DEP_4) | instskip(SKIP_2) | instid1(VALU_DEP_2)
	v_dual_add_f32 v7, v7, v13 :: v_dual_fmac_f32 v17, v173, v104
	s_wait_loadcnt_dscnt 0x802
	v_dual_add_f32 v9, v9, v41 :: v_dual_mul_f32 v13, v187, v115
	v_dual_fma_f32 v41, v172, v104, -v49 :: v_dual_add_f32 v7, v7, v15
	v_mul_f32_e32 v15, v189, v117
	s_delay_alu instid0(VALU_DEP_3) | instskip(NEXT) | instid1(VALU_DEP_3)
	v_dual_add_f32 v9, v9, v43 :: v_dual_fmac_f32 v19, v175, v106
	v_dual_fma_f32 v43, v174, v106, -v51 :: v_dual_add_f32 v7, v7, v17
	v_fmac_f32_e32 v21, v177, v108
	s_wait_loadcnt_dscnt 0x701
	s_delay_alu instid0(VALU_DEP_3) | instskip(SKIP_3) | instid1(VALU_DEP_3)
	v_dual_add_f32 v9, v9, v41 :: v_dual_mul_f32 v17, v191, v119
	v_dual_mul_f32 v23, v182, v111 :: v_dual_mul_f32 v25, v184, v113
	v_dual_mul_f32 v39, v183, v111 :: v_dual_mul_f32 v11, v185, v113
	v_dual_fma_f32 v41, v176, v108, -v53 :: v_dual_add_f32 v7, v7, v19
	v_dual_add_f32 v9, v9, v43 :: v_dual_fmac_f32 v23, v183, v110
	s_delay_alu instid0(VALU_DEP_3) | instskip(NEXT) | instid1(VALU_DEP_3)
	v_dual_mul_f32 v19, v193, v121 :: v_dual_fma_f32 v39, v182, v110, -v39
	v_dual_add_f32 v7, v7, v21 :: v_dual_fmac_f32 v25, v185, v112
	s_wait_loadcnt_dscnt 0x600
	s_delay_alu instid0(VALU_DEP_3) | instskip(SKIP_1) | instid1(VALU_DEP_3)
	v_dual_add_f32 v9, v9, v41 :: v_dual_mul_f32 v21, v195, v123
	v_dual_mul_f32 v27, v186, v115 :: v_dual_mul_f32 v29, v188, v117
	v_dual_fma_f32 v11, v184, v112, -v11 :: v_dual_add_f32 v7, v7, v23
	s_delay_alu instid0(VALU_DEP_2) | instskip(SKIP_1) | instid1(VALU_DEP_2)
	v_dual_add_f32 v9, v9, v39 :: v_dual_fmac_f32 v27, v187, v114
	v_dual_mul_f32 v23, v197, v125 :: v_dual_fma_f32 v13, v186, v114, -v13
	v_dual_add_f32 v7, v7, v25 :: v_dual_add_f32 v9, v9, v11
	v_dual_mul_f32 v31, v190, v119 :: v_dual_mul_f32 v33, v192, v121
	s_wait_loadcnt 0x5
	v_dual_mul_f32 v11, v179, v127 :: v_dual_fmac_f32 v29, v189, v116
	s_delay_alu instid0(VALU_DEP_3) | instskip(NEXT) | instid1(VALU_DEP_3)
	v_dual_fma_f32 v15, v188, v116, -v15 :: v_dual_add_f32 v7, v7, v27
	v_dual_add_f32 v9, v9, v13 :: v_dual_fmac_f32 v31, v191, v118
	v_dual_mul_f32 v13, v181, v129 :: v_dual_fma_f32 v17, v190, v118, -v17
	s_delay_alu instid0(VALU_DEP_2) | instskip(SKIP_2) | instid1(VALU_DEP_3)
	v_dual_add_f32 v7, v7, v29 :: v_dual_add_f32 v9, v9, v15
	v_dual_mul_f32 v35, v194, v123 :: v_dual_mul_f32 v37, v196, v125
	v_dual_fmac_f32 v33, v193, v120 :: v_dual_fma_f32 v15, v192, v120, -v19
	v_dual_add_f32 v7, v7, v31 :: v_dual_add_f32 v9, v9, v17
	s_wait_loadcnt 0x4
	s_delay_alu instid0(VALU_DEP_3) | instskip(NEXT) | instid1(VALU_DEP_2)
	v_dual_mov_b32 v96, v133 :: v_dual_fmac_f32 v35, v195, v122
	v_dual_fma_f32 v17, v194, v122, -v21 :: v_dual_add_f32 v7, v7, v33
	s_delay_alu instid0(VALU_DEP_3) | instskip(SKIP_1) | instid1(VALU_DEP_3)
	v_dual_add_f32 v9, v9, v15 :: v_dual_fma_f32 v15, v196, v124, -v23
	v_dual_mul_f32 v209, v178, v127 :: v_dual_mul_f32 v211, v180, v129
	v_dual_fmac_f32 v37, v197, v124 :: v_dual_add_f32 v7, v7, v35
	s_delay_alu instid0(VALU_DEP_2) | instskip(SKIP_3) | instid1(VALU_DEP_3)
	v_dual_add_f32 v9, v9, v17 :: v_dual_fmac_f32 v209, v179, v126
	v_pk_mul_f32 v[94:95], v[146:147], v[130:131] op_sel:[1,1] op_sel_hi:[0,1]
	s_wait_loadcnt 0x3
	v_dual_mov_b32 v100, v137 :: v_dual_fma_f32 v208, v178, v126, -v11
	v_dual_add_f32 v103, v7, v37 :: v_dual_add_f32 v102, v9, v15
	v_dual_fmac_f32 v211, v181, v128 :: v_dual_fma_f32 v210, v180, v128, -v13
	v_pk_fma_f32 v[104:105], v[146:147], v[130:131], v[94:95] op_sel_hi:[1,0,1]
	v_pk_mul_f32 v[96:97], v[200:201], v[96:97] op_sel_hi:[1,0]
	s_delay_alu instid0(VALU_DEP_4)
	v_pk_add_f32 v[102:103], v[102:103], v[208:209]
	v_pk_fma_f32 v[94:95], v[146:147], v[130:131], v[94:95] neg_lo:[0,0,1] neg_hi:[0,0,1]
	v_pk_mul_f32 v[98:99], v[150:151], v[134:135] op_sel:[1,1] op_sel_hi:[0,1]
	v_mov_b32_e32 v95, v105
	v_pk_fma_f32 v[104:105], v[148:149], v[132:133], v[96:97] op_sel_hi:[1,0,1]
	v_pk_add_f32 v[102:103], v[102:103], v[210:211]
	v_pk_fma_f32 v[96:97], v[148:149], v[132:133], v[96:97] neg_lo:[0,0,1] neg_hi:[0,0,1]
	v_pk_fma_f32 v[108:109], v[150:151], v[134:135], v[98:99] op_sel_hi:[1,0,1]
	v_pk_mul_f32 v[100:101], v[202:203], v[100:101] op_sel_hi:[1,0]
	v_mov_b32_e32 v97, v105
	v_pk_add_f32 v[94:95], v[102:103], v[94:95]
	s_wait_loadcnt 0x2
	v_pk_mul_f32 v[106:107], v[154:155], v[138:139] op_sel:[1,1] op_sel_hi:[0,1]
	v_mov_b32_e32 v102, v141
	v_pk_fma_f32 v[98:99], v[150:151], v[134:135], v[98:99] neg_lo:[0,0,1] neg_hi:[0,0,1]
	v_mov_b32_e32 v99, v109
	v_pk_fma_f32 v[104:105], v[152:153], v[136:137], v[100:101] op_sel_hi:[1,0,1]
	v_pk_add_f32 v[94:95], v[94:95], v[96:97]
	v_pk_fma_f32 v[96:97], v[154:155], v[138:139], v[106:107] op_sel_hi:[1,0,1]
	v_pk_mul_f32 v[102:103], v[204:205], v[102:103] op_sel_hi:[1,0]
	v_pk_fma_f32 v[100:101], v[152:153], v[136:137], v[100:101] neg_lo:[0,0,1] neg_hi:[0,0,1]
	v_mov_b32_e32 v101, v105
	v_pk_add_f32 v[94:95], v[94:95], v[98:99]
	v_pk_fma_f32 v[104:105], v[154:155], v[138:139], v[106:107] neg_lo:[0,0,1] neg_hi:[0,0,1]
	v_mov_b32_e32 v105, v97
	v_pk_fma_f32 v[96:97], v[156:157], v[140:141], v[102:103] op_sel_hi:[1,0,1]
	s_wait_loadcnt 0x1
	v_pk_mul_f32 v[98:99], v[158:159], v[142:143] op_sel:[1,1] op_sel_hi:[0,1]
	v_pk_add_f32 v[94:95], v[94:95], v[100:101]
	v_mov_b32_e32 v96, v145
	v_pk_fma_f32 v[102:103], v[156:157], v[140:141], v[102:103] neg_lo:[0,0,1] neg_hi:[0,0,1]
	v_mov_b32_e32 v103, v97
	v_pk_fma_f32 v[100:101], v[158:159], v[142:143], v[98:99] op_sel_hi:[1,0,1]
	v_pk_add_f32 v[94:95], v[94:95], v[104:105]
	v_pk_mul_f32 v[96:97], v[206:207], v[96:97] op_sel_hi:[1,0]
	v_pk_fma_f32 v[98:99], v[158:159], v[142:143], v[98:99] neg_lo:[0,0,1] neg_hi:[0,0,1]
	s_delay_alu instid0(VALU_DEP_4) | instskip(NEXT) | instid1(VALU_DEP_4)
	v_mov_b32_e32 v99, v101
	v_pk_add_f32 v[94:95], v[94:95], v[102:103]
	s_delay_alu instid0(VALU_DEP_4) | instskip(SKIP_1) | instid1(VALU_DEP_2)
	v_pk_fma_f32 v[100:101], v[160:161], v[144:145], v[96:97] op_sel_hi:[1,0,1]
	v_pk_fma_f32 v[96:97], v[160:161], v[144:145], v[96:97] neg_lo:[0,0,1] neg_hi:[0,0,1]
	v_mov_b32_e32 v97, v101
	s_delay_alu instid0(VALU_DEP_4) | instskip(NEXT) | instid1(VALU_DEP_1)
	v_pk_add_f32 v[94:95], v[94:95], v[98:99]
	v_pk_add_f32 v[94:95], v[94:95], v[96:97]
	s_wait_loadcnt 0x0
	s_delay_alu instid0(VALU_DEP_1)
	v_pk_add_f32 v[94:95], v[198:199], v[94:95] neg_lo:[0,1] neg_hi:[0,1]
	scratch_store_b64 off, v[94:95], off offset:152
	s_wait_xcnt 0x0
	v_cmpx_lt_u32_e32 18, v0
	s_cbranch_execz .LBB45_253
; %bb.252:
	scratch_load_b64 v[94:95], off, off offset:144
	v_mov_b64_e32 v[96:97], 0
	scratch_store_b64 off, v[96:97], off offset:144
	s_wait_loadcnt 0x0
	ds_store_b64 v1, v[94:95]
.LBB45_253:
	s_wait_xcnt 0x0
	s_or_b32 exec_lo, exec_lo, s0
	s_wait_storecnt_dscnt 0x0
	s_barrier_signal -1
	s_barrier_wait -1
	s_clause 0xe
	scratch_load_b128 v[94:97], off, off offset:152
	scratch_load_b128 v[98:101], off, off offset:168
	;; [unrolled: 1-line block ×13, first 2 shown]
	scratch_load_b64 v[198:199], off, off offset:360
	scratch_load_b64 v[200:201], off, off offset:144
	v_mov_b32_e32 v7, 0
	ds_load_2addr_b64 v[146:149], v7 offset0:83 offset1:84
	ds_load_2addr_b64 v[150:153], v7 offset0:85 offset1:86
	;; [unrolled: 1-line block ×13, first 2 shown]
	ds_load_b64 v[202:203], v7 offset:728
	s_mov_b32 s0, exec_lo
	s_wait_dscnt 0xd
	v_dual_mov_b32 v204, v149 :: v_dual_mov_b32 v205, v148
	s_wait_dscnt 0xa
	v_dual_mov_b32 v206, v153 :: v_dual_mov_b32 v211, v160
	v_dual_mov_b32 v207, v152 :: v_dual_mov_b32 v208, v157
	;; [unrolled: 1-line block ×3, first 2 shown]
	s_wait_loadcnt_dscnt 0xe09
	v_dual_mul_f32 v9, v162, v95 :: v_dual_mul_f32 v43, v163, v95
	v_dual_mul_f32 v45, v165, v97 :: v_dual_mul_f32 v11, v164, v97
	s_wait_loadcnt_dscnt 0xd08
	v_mul_f32_e32 v13, v166, v99
	s_wait_loadcnt_dscnt 0xb05
	v_dual_mul_f32 v55, v179, v107 :: v_dual_fma_f32 v43, v162, v94, -v43
	v_dual_fmac_f32 v9, v163, v94 :: v_dual_mul_f32 v57, v181, v109
	v_dual_mul_f32 v47, v167, v99 :: v_dual_mul_f32 v49, v169, v101
	v_dual_fmac_f32 v11, v165, v96 :: v_dual_fma_f32 v45, v164, v96, -v45
	s_delay_alu instid0(VALU_DEP_3) | instskip(SKIP_3) | instid1(VALU_DEP_3)
	v_dual_add_f32 v9, 0, v9 :: v_dual_add_f32 v43, 0, v43
	v_dual_mul_f32 v15, v168, v101 :: v_dual_mul_f32 v17, v170, v103
	s_wait_loadcnt_dscnt 0xa04
	v_dual_mul_f32 v59, v183, v111 :: v_dual_fma_f32 v47, v166, v98, -v47
	v_dual_fmac_f32 v13, v167, v98 :: v_dual_add_f32 v9, v9, v11
	s_delay_alu instid0(VALU_DEP_3) | instskip(SKIP_2) | instid1(VALU_DEP_3)
	v_dual_add_f32 v11, v43, v45 :: v_dual_fmac_f32 v15, v169, v100
	v_dual_mul_f32 v51, v171, v103 :: v_dual_mul_f32 v53, v173, v105
	v_dual_mul_f32 v43, v185, v113 :: v_dual_fma_f32 v45, v168, v100, -v49
	v_dual_add_f32 v9, v9, v13 :: v_dual_add_f32 v11, v11, v47
	v_dual_mul_f32 v19, v172, v105 :: v_dual_mul_f32 v21, v178, v107
	s_wait_loadcnt_dscnt 0x903
	v_dual_mul_f32 v13, v187, v115 :: v_dual_fma_f32 v47, v170, v102, -v51
	s_delay_alu instid0(VALU_DEP_3) | instskip(NEXT) | instid1(VALU_DEP_3)
	v_dual_fmac_f32 v17, v171, v102 :: v_dual_add_f32 v9, v9, v15
	v_dual_add_f32 v11, v11, v45 :: v_dual_fmac_f32 v19, v173, v104
	v_dual_mul_f32 v15, v189, v117 :: v_dual_fma_f32 v45, v172, v104, -v53
	s_delay_alu instid0(VALU_DEP_2) | instskip(SKIP_3) | instid1(VALU_DEP_3)
	v_dual_add_f32 v9, v9, v17 :: v_dual_add_f32 v11, v11, v47
	v_dual_mul_f32 v23, v180, v109 :: v_dual_mul_f32 v25, v182, v111
	s_wait_loadcnt_dscnt 0x802
	v_dual_mul_f32 v17, v191, v119 :: v_dual_fma_f32 v47, v178, v106, -v55
	v_dual_fmac_f32 v21, v179, v106 :: v_dual_add_f32 v9, v9, v19
	s_delay_alu instid0(VALU_DEP_3) | instskip(SKIP_1) | instid1(VALU_DEP_2)
	v_dual_add_f32 v11, v11, v45 :: v_dual_fmac_f32 v23, v181, v108
	v_dual_mul_f32 v19, v193, v121 :: v_dual_fma_f32 v45, v180, v108, -v57
	v_dual_add_f32 v9, v9, v21 :: v_dual_add_f32 v11, v11, v47
	v_dual_mul_f32 v27, v184, v113 :: v_dual_mul_f32 v29, v186, v115
	s_wait_loadcnt_dscnt 0x701
	v_dual_mul_f32 v21, v195, v123 :: v_dual_fma_f32 v47, v182, v110, -v59
	s_delay_alu instid0(VALU_DEP_3) | instskip(NEXT) | instid1(VALU_DEP_3)
	v_dual_fmac_f32 v25, v183, v110 :: v_dual_add_f32 v9, v9, v23
	v_dual_add_f32 v11, v11, v45 :: v_dual_fmac_f32 v27, v185, v112
	v_dual_mul_f32 v23, v197, v125 :: v_dual_fma_f32 v43, v184, v112, -v43
	s_delay_alu instid0(VALU_DEP_2) | instskip(SKIP_3) | instid1(VALU_DEP_3)
	v_dual_add_f32 v9, v9, v25 :: v_dual_add_f32 v11, v11, v47
	v_dual_mul_f32 v31, v188, v117 :: v_dual_mul_f32 v33, v190, v119
	s_wait_loadcnt 0x6
	v_dual_mul_f32 v25, v175, v127 :: v_dual_fma_f32 v13, v186, v114, -v13
	v_dual_fmac_f32 v29, v187, v114 :: v_dual_add_f32 v9, v9, v27
	v_dual_add_f32 v11, v11, v43 :: v_dual_mul_f32 v27, v177, v129
	v_fmac_f32_e32 v31, v189, v116
	s_delay_alu instid0(VALU_DEP_3) | instskip(NEXT) | instid1(VALU_DEP_3)
	v_dual_fma_f32 v15, v188, v116, -v15 :: v_dual_add_f32 v9, v9, v29
	v_add_f32_e32 v11, v11, v13
	v_dual_mul_f32 v35, v192, v121 :: v_dual_mul_f32 v37, v194, v123
	s_wait_loadcnt 0x5
	v_dual_mul_f32 v13, v147, v131 :: v_dual_fma_f32 v17, v190, v118, -v17
	v_dual_fmac_f32 v33, v191, v118 :: v_dual_add_f32 v9, v9, v31
	v_dual_add_f32 v11, v11, v15 :: v_dual_mov_b32 v94, v133
	v_fmac_f32_e32 v35, v193, v120
	s_delay_alu instid0(VALU_DEP_3) | instskip(NEXT) | instid1(VALU_DEP_3)
	v_dual_fma_f32 v15, v192, v120, -v19 :: v_dual_add_f32 v9, v9, v33
	v_add_f32_e32 v11, v11, v17
	v_dual_mul_f32 v39, v196, v125 :: v_dual_mul_f32 v41, v174, v127
	s_delay_alu instid0(VALU_DEP_3) | instskip(NEXT) | instid1(VALU_DEP_3)
	v_dual_fmac_f32 v37, v195, v122 :: v_dual_add_f32 v9, v9, v35
	v_dual_fma_f32 v17, v194, v122, -v21 :: v_dual_add_f32 v11, v11, v15
	s_wait_loadcnt 0x4
	v_dual_mov_b32 v98, v137 :: v_dual_fma_f32 v15, v196, v124, -v23
	v_fmac_f32_e32 v39, v197, v124
	v_dual_add_f32 v9, v9, v37 :: v_dual_fmac_f32 v41, v175, v126
	v_add_f32_e32 v11, v11, v17
	v_dual_mul_f32 v213, v176, v129 :: v_dual_mul_f32 v215, v146, v131
	s_delay_alu instid0(VALU_DEP_3) | instskip(NEXT) | instid1(VALU_DEP_2)
	v_dual_fma_f32 v17, v174, v126, -v25 :: v_dual_add_f32 v9, v9, v39
	v_dual_add_f32 v11, v11, v15 :: v_dual_fmac_f32 v213, v177, v128
	v_fma_f32 v212, v176, v128, -v27
	v_pk_mul_f32 v[94:95], v[204:205], v[94:95] op_sel_hi:[1,0]
	s_delay_alu instid0(VALU_DEP_4)
	v_add_f32_e32 v103, v9, v41
	s_wait_loadcnt 0x3
	v_dual_add_f32 v102, v11, v17 :: v_dual_mov_b32 v104, v141
	v_pk_mul_f32 v[96:97], v[150:151], v[134:135] op_sel:[1,1] op_sel_hi:[0,1]
	v_dual_fmac_f32 v215, v147, v130 :: v_dual_fma_f32 v214, v146, v130, -v13
	v_pk_fma_f32 v[106:107], v[148:149], v[132:133], v[94:95] op_sel_hi:[1,0,1]
	s_delay_alu instid0(VALU_DEP_4)
	v_pk_add_f32 v[102:103], v[102:103], v[212:213]
	v_pk_fma_f32 v[94:95], v[148:149], v[132:133], v[94:95] neg_lo:[0,0,1] neg_hi:[0,0,1]
	v_pk_fma_f32 v[108:109], v[150:151], v[134:135], v[96:97] op_sel_hi:[1,0,1]
	v_pk_mul_f32 v[98:99], v[206:207], v[98:99] op_sel_hi:[1,0]
	v_mov_b32_e32 v95, v107
	v_pk_add_f32 v[102:103], v[102:103], v[214:215]
	v_pk_fma_f32 v[96:97], v[150:151], v[134:135], v[96:97] neg_lo:[0,0,1] neg_hi:[0,0,1]
	v_pk_mul_f32 v[100:101], v[154:155], v[138:139] op_sel:[1,1] op_sel_hi:[0,1]
	v_mov_b32_e32 v97, v109
	v_pk_fma_f32 v[108:109], v[152:153], v[136:137], v[98:99] op_sel_hi:[1,0,1]
	v_pk_add_f32 v[94:95], v[102:103], v[94:95]
	v_pk_fma_f32 v[98:99], v[152:153], v[136:137], v[98:99] neg_lo:[0,0,1] neg_hi:[0,0,1]
	v_pk_fma_f32 v[102:103], v[154:155], v[138:139], v[100:101] op_sel_hi:[1,0,1]
	v_pk_mul_f32 v[104:105], v[208:209], v[104:105] op_sel_hi:[1,0]
	v_mov_b32_e32 v99, v109
	v_pk_add_f32 v[94:95], v[94:95], v[96:97]
	v_pk_fma_f32 v[100:101], v[154:155], v[138:139], v[100:101] neg_lo:[0,0,1] neg_hi:[0,0,1]
	s_wait_loadcnt 0x2
	v_pk_mul_f32 v[106:107], v[158:159], v[142:143] op_sel:[1,1] op_sel_hi:[0,1]
	v_dual_mov_b32 v96, v145 :: v_dual_mov_b32 v101, v103
	v_pk_fma_f32 v[102:103], v[156:157], v[140:141], v[104:105] op_sel_hi:[1,0,1]
	v_pk_add_f32 v[94:95], v[94:95], v[98:99]
	v_pk_fma_f32 v[104:105], v[156:157], v[140:141], v[104:105] neg_lo:[0,0,1] neg_hi:[0,0,1]
	v_pk_fma_f32 v[98:99], v[158:159], v[142:143], v[106:107] op_sel_hi:[1,0,1]
	v_pk_mul_f32 v[96:97], v[210:211], v[96:97] op_sel_hi:[1,0]
	v_mov_b32_e32 v105, v103
	v_pk_add_f32 v[94:95], v[94:95], v[100:101]
	v_pk_fma_f32 v[100:101], v[158:159], v[142:143], v[106:107] neg_lo:[0,0,1] neg_hi:[0,0,1]
	v_mov_b32_e32 v101, v99
	v_pk_fma_f32 v[98:99], v[160:161], v[144:145], v[96:97] op_sel_hi:[1,0,1]
	s_wait_loadcnt_dscnt 0x100
	v_pk_mul_f32 v[102:103], v[202:203], v[198:199] op_sel:[1,1] op_sel_hi:[0,1]
	v_pk_add_f32 v[94:95], v[94:95], v[104:105]
	v_pk_fma_f32 v[96:97], v[160:161], v[144:145], v[96:97] neg_lo:[0,0,1] neg_hi:[0,0,1]
	v_mov_b32_e32 v97, v99
	s_delay_alu instid0(VALU_DEP_4) | instskip(NEXT) | instid1(VALU_DEP_4)
	v_pk_fma_f32 v[98:99], v[202:203], v[198:199], v[102:103] op_sel_hi:[1,0,1]
	v_pk_add_f32 v[94:95], v[94:95], v[100:101]
	v_pk_fma_f32 v[100:101], v[202:203], v[198:199], v[102:103] neg_lo:[0,0,1] neg_hi:[0,0,1]
	s_delay_alu instid0(VALU_DEP_3) | instskip(NEXT) | instid1(VALU_DEP_3)
	v_mov_b32_e32 v101, v99
	v_pk_add_f32 v[94:95], v[94:95], v[96:97]
	s_delay_alu instid0(VALU_DEP_1) | instskip(SKIP_1) | instid1(VALU_DEP_1)
	v_pk_add_f32 v[94:95], v[94:95], v[100:101]
	s_wait_loadcnt 0x0
	v_pk_add_f32 v[94:95], v[200:201], v[94:95] neg_lo:[0,1] neg_hi:[0,1]
	scratch_store_b64 off, v[94:95], off offset:144
	s_wait_xcnt 0x0
	v_cmpx_lt_u32_e32 17, v0
	s_cbranch_execz .LBB45_255
; %bb.254:
	scratch_load_b64 v[94:95], off, off offset:136
	v_mov_b64_e32 v[96:97], 0
	scratch_store_b64 off, v[96:97], off offset:136
	s_wait_loadcnt 0x0
	ds_store_b64 v1, v[94:95]
.LBB45_255:
	s_wait_xcnt 0x0
	s_or_b32 exec_lo, exec_lo, s0
	s_wait_storecnt_dscnt 0x0
	s_barrier_signal -1
	s_barrier_wait -1
	s_clause 0xe
	scratch_load_b128 v[94:97], off, off offset:144
	scratch_load_b128 v[98:101], off, off offset:160
	scratch_load_b128 v[102:105], off, off offset:176
	scratch_load_b128 v[106:109], off, off offset:192
	scratch_load_b128 v[110:113], off, off offset:208
	scratch_load_b128 v[114:117], off, off offset:224
	scratch_load_b128 v[118:121], off, off offset:240
	scratch_load_b128 v[122:125], off, off offset:256
	scratch_load_b128 v[126:129], off, off offset:272
	scratch_load_b128 v[130:133], off, off offset:288
	scratch_load_b128 v[134:137], off, off offset:304
	scratch_load_b128 v[138:141], off, off offset:320
	scratch_load_b128 v[142:145], off, off offset:336
	scratch_load_b128 v[146:149], off, off offset:352
	scratch_load_b64 v[206:207], off, off offset:136
	ds_load_b128 v[150:153], v7 offset:672
	ds_load_b128 v[154:157], v7 offset:688
	;; [unrolled: 1-line block ×14, first 2 shown]
	s_mov_b32 s0, exec_lo
	s_wait_dscnt 0xd
	v_dual_mov_b32 v208, v153 :: v_dual_mov_b32 v209, v152
	s_wait_dscnt 0xc
	v_dual_mov_b32 v210, v157 :: v_dual_mov_b32 v211, v156
	;; [unrolled: 2-line block ×4, first 2 shown]
	s_wait_loadcnt_dscnt 0xe09
	v_dual_mul_f32 v7, v166, v95 :: v_dual_mul_f32 v9, v168, v97
	v_dual_mul_f32 v43, v167, v95 :: v_dual_mul_f32 v45, v169, v97
	s_wait_loadcnt_dscnt 0xd08
	v_dual_mul_f32 v11, v170, v99 :: v_dual_mul_f32 v13, v172, v101
	s_delay_alu instid0(VALU_DEP_3) | instskip(SKIP_3) | instid1(VALU_DEP_3)
	v_dual_fmac_f32 v7, v167, v94 :: v_dual_fmac_f32 v9, v169, v96
	s_wait_loadcnt_dscnt 0xb06
	v_dual_fma_f32 v43, v166, v94, -v43 :: v_dual_mul_f32 v55, v179, v107
	v_dual_mul_f32 v47, v171, v99 :: v_dual_mul_f32 v49, v173, v101
	v_dual_fma_f32 v45, v168, v96, -v45 :: v_dual_add_f32 v7, 0, v7
	s_delay_alu instid0(VALU_DEP_3) | instskip(SKIP_1) | instid1(VALU_DEP_3)
	v_dual_add_f32 v43, 0, v43 :: v_dual_mul_f32 v57, v181, v109
	v_dual_fmac_f32 v11, v171, v98 :: v_dual_fmac_f32 v13, v173, v100
	v_dual_fma_f32 v47, v170, v98, -v47 :: v_dual_add_f32 v7, v7, v9
	s_delay_alu instid0(VALU_DEP_3) | instskip(SKIP_2) | instid1(VALU_DEP_4)
	v_dual_add_f32 v9, v43, v45 :: v_dual_fma_f32 v45, v172, v100, -v49
	v_dual_mul_f32 v15, v174, v103 :: v_dual_mul_f32 v17, v176, v105
	v_dual_mul_f32 v51, v175, v103 :: v_dual_mul_f32 v53, v177, v105
	v_add_f32_e32 v7, v7, v11
	s_delay_alu instid0(VALU_DEP_3) | instskip(NEXT) | instid1(VALU_DEP_3)
	v_dual_add_f32 v9, v9, v47 :: v_dual_fmac_f32 v15, v175, v102
	v_fma_f32 v47, v174, v102, -v51
	v_dual_mul_f32 v19, v178, v107 :: v_dual_mul_f32 v21, v180, v109
	s_delay_alu instid0(VALU_DEP_4) | instskip(SKIP_2) | instid1(VALU_DEP_2)
	v_dual_add_f32 v7, v7, v13 :: v_dual_fmac_f32 v17, v177, v104
	s_wait_loadcnt_dscnt 0x904
	v_dual_add_f32 v9, v9, v45 :: v_dual_mul_f32 v13, v187, v115
	v_dual_fma_f32 v45, v176, v104, -v53 :: v_dual_add_f32 v7, v7, v15
	v_mul_f32_e32 v15, v189, v117
	s_delay_alu instid0(VALU_DEP_3) | instskip(NEXT) | instid1(VALU_DEP_3)
	v_dual_add_f32 v9, v9, v47 :: v_dual_fmac_f32 v19, v179, v106
	v_dual_fma_f32 v47, v178, v106, -v55 :: v_dual_add_f32 v7, v7, v17
	v_fmac_f32_e32 v21, v181, v108
	s_wait_loadcnt_dscnt 0x803
	s_delay_alu instid0(VALU_DEP_3) | instskip(SKIP_3) | instid1(VALU_DEP_3)
	v_dual_add_f32 v9, v9, v45 :: v_dual_mul_f32 v17, v191, v119
	v_dual_mul_f32 v23, v182, v111 :: v_dual_mul_f32 v25, v184, v113
	v_dual_mul_f32 v43, v183, v111 :: v_dual_mul_f32 v11, v185, v113
	v_dual_fma_f32 v45, v180, v108, -v57 :: v_dual_add_f32 v7, v7, v19
	v_dual_add_f32 v9, v9, v47 :: v_dual_fmac_f32 v23, v183, v110
	s_delay_alu instid0(VALU_DEP_3) | instskip(NEXT) | instid1(VALU_DEP_3)
	v_dual_mul_f32 v19, v193, v121 :: v_dual_fma_f32 v43, v182, v110, -v43
	v_dual_add_f32 v7, v7, v21 :: v_dual_fmac_f32 v25, v185, v112
	s_wait_loadcnt_dscnt 0x702
	s_delay_alu instid0(VALU_DEP_3) | instskip(SKIP_1) | instid1(VALU_DEP_3)
	v_dual_add_f32 v9, v9, v45 :: v_dual_mul_f32 v21, v195, v123
	v_dual_mul_f32 v27, v186, v115 :: v_dual_mul_f32 v29, v188, v117
	v_dual_fma_f32 v11, v184, v112, -v11 :: v_dual_add_f32 v7, v7, v23
	s_delay_alu instid0(VALU_DEP_2) | instskip(SKIP_1) | instid1(VALU_DEP_2)
	v_dual_add_f32 v9, v9, v43 :: v_dual_fmac_f32 v27, v187, v114
	v_dual_mul_f32 v23, v197, v125 :: v_dual_fma_f32 v13, v186, v114, -v13
	v_dual_add_f32 v7, v7, v25 :: v_dual_add_f32 v9, v9, v11
	v_dual_mul_f32 v31, v190, v119 :: v_dual_mul_f32 v33, v192, v121
	s_wait_loadcnt_dscnt 0x601
	v_dual_mul_f32 v11, v199, v127 :: v_dual_fmac_f32 v29, v189, v116
	s_delay_alu instid0(VALU_DEP_3) | instskip(NEXT) | instid1(VALU_DEP_3)
	v_dual_fma_f32 v15, v188, v116, -v15 :: v_dual_add_f32 v7, v7, v27
	v_dual_add_f32 v9, v9, v13 :: v_dual_fmac_f32 v31, v191, v118
	v_dual_mul_f32 v13, v201, v129 :: v_dual_fma_f32 v17, v190, v118, -v17
	s_delay_alu instid0(VALU_DEP_2) | instskip(SKIP_3) | instid1(VALU_DEP_3)
	v_dual_add_f32 v7, v7, v29 :: v_dual_add_f32 v9, v9, v15
	v_dual_mul_f32 v35, v194, v123 :: v_dual_mul_f32 v37, v196, v125
	s_wait_loadcnt_dscnt 0x500
	v_dual_mul_f32 v15, v203, v131 :: v_dual_fmac_f32 v33, v193, v120
	v_dual_fma_f32 v19, v192, v120, -v19 :: v_dual_add_f32 v7, v7, v31
	s_delay_alu instid0(VALU_DEP_3) | instskip(SKIP_1) | instid1(VALU_DEP_2)
	v_dual_add_f32 v9, v9, v17 :: v_dual_fmac_f32 v35, v195, v122
	v_dual_mul_f32 v17, v205, v133 :: v_dual_fma_f32 v21, v194, v122, -v21
	v_dual_add_f32 v7, v7, v33 :: v_dual_add_f32 v9, v9, v19
	v_dual_mul_f32 v39, v198, v127 :: v_dual_mul_f32 v41, v200, v129
	v_dual_fmac_f32 v37, v197, v124 :: v_dual_fma_f32 v19, v196, v124, -v23
	s_delay_alu instid0(VALU_DEP_3) | instskip(SKIP_1) | instid1(VALU_DEP_3)
	v_dual_add_f32 v7, v7, v35 :: v_dual_add_f32 v9, v9, v21
	s_wait_loadcnt 0x4
	v_dual_mov_b32 v96, v137 :: v_dual_fmac_f32 v39, v199, v126
	s_delay_alu instid0(VALU_DEP_2) | instskip(NEXT) | instid1(VALU_DEP_3)
	v_dual_fma_f32 v11, v198, v126, -v11 :: v_dual_add_f32 v7, v7, v37
	v_dual_add_f32 v9, v9, v19 :: v_dual_fma_f32 v13, v200, v128, -v13
	v_dual_mul_f32 v217, v202, v131 :: v_dual_mul_f32 v219, v204, v133
	s_delay_alu instid0(VALU_DEP_3) | instskip(NEXT) | instid1(VALU_DEP_2)
	v_dual_fmac_f32 v41, v201, v128 :: v_dual_add_f32 v7, v7, v39
	v_dual_add_f32 v9, v9, v11 :: v_dual_fmac_f32 v217, v203, v130
	v_pk_mul_f32 v[94:95], v[150:151], v[134:135] op_sel:[1,1] op_sel_hi:[0,1]
	s_wait_loadcnt 0x3
	v_dual_mov_b32 v100, v141 :: v_dual_fma_f32 v216, v202, v130, -v15
	v_dual_add_f32 v103, v7, v41 :: v_dual_fmac_f32 v219, v205, v132
	v_dual_add_f32 v102, v9, v13 :: v_dual_fma_f32 v218, v204, v132, -v17
	v_pk_fma_f32 v[104:105], v[150:151], v[134:135], v[94:95] op_sel_hi:[1,0,1]
	v_pk_mul_f32 v[96:97], v[208:209], v[96:97] op_sel_hi:[1,0]
	v_pk_fma_f32 v[94:95], v[150:151], v[134:135], v[94:95] neg_lo:[0,0,1] neg_hi:[0,0,1]
	s_delay_alu instid0(VALU_DEP_4)
	v_pk_add_f32 v[102:103], v[102:103], v[216:217]
	v_pk_mul_f32 v[98:99], v[154:155], v[138:139] op_sel:[1,1] op_sel_hi:[0,1]
	v_mov_b32_e32 v95, v105
	v_pk_fma_f32 v[104:105], v[152:153], v[136:137], v[96:97] op_sel_hi:[1,0,1]
	v_pk_fma_f32 v[96:97], v[152:153], v[136:137], v[96:97] neg_lo:[0,0,1] neg_hi:[0,0,1]
	v_pk_add_f32 v[102:103], v[102:103], v[218:219]
	v_pk_fma_f32 v[108:109], v[154:155], v[138:139], v[98:99] op_sel_hi:[1,0,1]
	v_pk_mul_f32 v[100:101], v[210:211], v[100:101] op_sel_hi:[1,0]
	v_mov_b32_e32 v97, v105
	s_wait_loadcnt 0x2
	v_pk_mul_f32 v[106:107], v[158:159], v[142:143] op_sel:[1,1] op_sel_hi:[0,1]
	v_pk_add_f32 v[94:95], v[102:103], v[94:95]
	v_mov_b32_e32 v102, v145
	v_pk_fma_f32 v[98:99], v[154:155], v[138:139], v[98:99] neg_lo:[0,0,1] neg_hi:[0,0,1]
	v_mov_b32_e32 v99, v109
	v_pk_fma_f32 v[104:105], v[156:157], v[140:141], v[100:101] op_sel_hi:[1,0,1]
	v_pk_add_f32 v[94:95], v[94:95], v[96:97]
	v_pk_fma_f32 v[96:97], v[158:159], v[142:143], v[106:107] op_sel_hi:[1,0,1]
	v_pk_mul_f32 v[102:103], v[212:213], v[102:103] op_sel_hi:[1,0]
	v_pk_fma_f32 v[100:101], v[156:157], v[140:141], v[100:101] neg_lo:[0,0,1] neg_hi:[0,0,1]
	v_mov_b32_e32 v101, v105
	v_pk_add_f32 v[94:95], v[94:95], v[98:99]
	v_pk_fma_f32 v[104:105], v[158:159], v[142:143], v[106:107] neg_lo:[0,0,1] neg_hi:[0,0,1]
	v_mov_b32_e32 v105, v97
	v_pk_fma_f32 v[96:97], v[160:161], v[144:145], v[102:103] op_sel_hi:[1,0,1]
	s_wait_loadcnt 0x1
	v_pk_mul_f32 v[98:99], v[162:163], v[146:147] op_sel:[1,1] op_sel_hi:[0,1]
	v_pk_add_f32 v[94:95], v[94:95], v[100:101]
	v_mov_b32_e32 v96, v149
	v_pk_fma_f32 v[102:103], v[160:161], v[144:145], v[102:103] neg_lo:[0,0,1] neg_hi:[0,0,1]
	v_mov_b32_e32 v103, v97
	v_pk_fma_f32 v[100:101], v[162:163], v[146:147], v[98:99] op_sel_hi:[1,0,1]
	v_pk_add_f32 v[94:95], v[94:95], v[104:105]
	v_pk_mul_f32 v[96:97], v[214:215], v[96:97] op_sel_hi:[1,0]
	v_pk_fma_f32 v[98:99], v[162:163], v[146:147], v[98:99] neg_lo:[0,0,1] neg_hi:[0,0,1]
	s_delay_alu instid0(VALU_DEP_4) | instskip(NEXT) | instid1(VALU_DEP_4)
	v_mov_b32_e32 v99, v101
	v_pk_add_f32 v[94:95], v[94:95], v[102:103]
	s_delay_alu instid0(VALU_DEP_4) | instskip(SKIP_1) | instid1(VALU_DEP_2)
	v_pk_fma_f32 v[100:101], v[164:165], v[148:149], v[96:97] op_sel_hi:[1,0,1]
	v_pk_fma_f32 v[96:97], v[164:165], v[148:149], v[96:97] neg_lo:[0,0,1] neg_hi:[0,0,1]
	v_mov_b32_e32 v97, v101
	s_delay_alu instid0(VALU_DEP_4) | instskip(NEXT) | instid1(VALU_DEP_1)
	v_pk_add_f32 v[94:95], v[94:95], v[98:99]
	v_pk_add_f32 v[94:95], v[94:95], v[96:97]
	s_wait_loadcnt 0x0
	s_delay_alu instid0(VALU_DEP_1)
	v_pk_add_f32 v[94:95], v[206:207], v[94:95] neg_lo:[0,1] neg_hi:[0,1]
	scratch_store_b64 off, v[94:95], off offset:136
	s_wait_xcnt 0x0
	v_cmpx_lt_u32_e32 16, v0
	s_cbranch_execz .LBB45_257
; %bb.256:
	scratch_load_b64 v[94:95], off, off offset:128
	v_mov_b64_e32 v[96:97], 0
	scratch_store_b64 off, v[96:97], off offset:128
	s_wait_loadcnt 0x0
	ds_store_b64 v1, v[94:95]
.LBB45_257:
	s_wait_xcnt 0x0
	s_or_b32 exec_lo, exec_lo, s0
	s_wait_storecnt_dscnt 0x0
	s_barrier_signal -1
	s_barrier_wait -1
	s_clause 0xf
	scratch_load_b128 v[94:97], off, off offset:136
	scratch_load_b128 v[98:101], off, off offset:152
	;; [unrolled: 1-line block ×14, first 2 shown]
	scratch_load_b64 v[206:207], off, off offset:360
	scratch_load_b64 v[208:209], off, off offset:128
	v_mov_b32_e32 v7, 0
	ds_load_2addr_b64 v[150:153], v7 offset0:83 offset1:84
	ds_load_2addr_b64 v[154:157], v7 offset0:85 offset1:86
	;; [unrolled: 1-line block ×14, first 2 shown]
	ds_load_b64 v[210:211], v7 offset:728
	s_mov_b32 s0, exec_lo
	s_wait_dscnt 0xe
	v_dual_mov_b32 v212, v153 :: v_dual_mov_b32 v213, v152
	s_wait_dscnt 0xb
	v_dual_mov_b32 v214, v157 :: v_dual_mov_b32 v219, v164
	v_dual_mov_b32 v215, v156 :: v_dual_mov_b32 v216, v161
	v_dual_mov_b32 v217, v160 :: v_dual_mov_b32 v218, v165
	s_wait_loadcnt_dscnt 0xf0a
	v_dual_mul_f32 v9, v166, v95 :: v_dual_mul_f32 v47, v167, v95
	v_dual_mul_f32 v49, v169, v97 :: v_dual_mul_f32 v11, v168, v97
	s_wait_loadcnt_dscnt 0xe09
	v_mul_f32_e32 v13, v170, v99
	s_wait_loadcnt_dscnt 0xc07
	v_dual_mul_f32 v59, v179, v107 :: v_dual_fma_f32 v47, v166, v94, -v47
	v_dual_fmac_f32 v9, v167, v94 :: v_dual_mul_f32 v61, v181, v109
	v_dual_mul_f32 v51, v171, v99 :: v_dual_mul_f32 v53, v173, v101
	v_dual_fmac_f32 v11, v169, v96 :: v_dual_fma_f32 v49, v168, v96, -v49
	s_delay_alu instid0(VALU_DEP_3) | instskip(SKIP_3) | instid1(VALU_DEP_3)
	v_dual_add_f32 v9, 0, v9 :: v_dual_add_f32 v47, 0, v47
	v_dual_mul_f32 v15, v172, v101 :: v_dual_mul_f32 v17, v174, v103
	s_wait_loadcnt_dscnt 0xb06
	v_dual_mul_f32 v63, v183, v111 :: v_dual_fma_f32 v51, v170, v98, -v51
	v_dual_fmac_f32 v13, v171, v98 :: v_dual_add_f32 v9, v9, v11
	s_delay_alu instid0(VALU_DEP_3) | instskip(SKIP_2) | instid1(VALU_DEP_3)
	v_dual_add_f32 v11, v47, v49 :: v_dual_fmac_f32 v15, v173, v100
	v_dual_mul_f32 v55, v175, v103 :: v_dual_mul_f32 v57, v177, v105
	v_dual_mul_f32 v47, v185, v113 :: v_dual_fma_f32 v49, v172, v100, -v53
	v_dual_add_f32 v9, v9, v13 :: v_dual_add_f32 v11, v11, v51
	v_dual_mul_f32 v19, v176, v105 :: v_dual_mul_f32 v21, v178, v107
	s_wait_loadcnt_dscnt 0xa05
	v_dual_mul_f32 v13, v187, v115 :: v_dual_fma_f32 v51, v174, v102, -v55
	s_delay_alu instid0(VALU_DEP_3) | instskip(NEXT) | instid1(VALU_DEP_3)
	v_dual_fmac_f32 v17, v175, v102 :: v_dual_add_f32 v9, v9, v15
	v_dual_add_f32 v11, v11, v49 :: v_dual_fmac_f32 v19, v177, v104
	v_dual_mul_f32 v15, v189, v117 :: v_dual_fma_f32 v49, v176, v104, -v57
	s_delay_alu instid0(VALU_DEP_2) | instskip(SKIP_3) | instid1(VALU_DEP_3)
	v_dual_add_f32 v9, v9, v17 :: v_dual_add_f32 v11, v11, v51
	v_dual_mul_f32 v23, v180, v109 :: v_dual_mul_f32 v25, v182, v111
	s_wait_loadcnt_dscnt 0x904
	v_dual_mul_f32 v17, v191, v119 :: v_dual_fma_f32 v51, v178, v106, -v59
	v_dual_fmac_f32 v21, v179, v106 :: v_dual_add_f32 v9, v9, v19
	s_delay_alu instid0(VALU_DEP_3) | instskip(SKIP_1) | instid1(VALU_DEP_2)
	v_dual_add_f32 v11, v11, v49 :: v_dual_fmac_f32 v23, v181, v108
	v_dual_mul_f32 v19, v193, v121 :: v_dual_fma_f32 v49, v180, v108, -v61
	v_dual_add_f32 v9, v9, v21 :: v_dual_add_f32 v11, v11, v51
	v_dual_mul_f32 v27, v184, v113 :: v_dual_mul_f32 v29, v186, v115
	s_wait_loadcnt_dscnt 0x803
	v_dual_mul_f32 v21, v195, v123 :: v_dual_fma_f32 v51, v182, v110, -v63
	s_delay_alu instid0(VALU_DEP_3) | instskip(NEXT) | instid1(VALU_DEP_3)
	v_dual_fmac_f32 v25, v183, v110 :: v_dual_add_f32 v9, v9, v23
	v_dual_add_f32 v11, v11, v49 :: v_dual_fmac_f32 v27, v185, v112
	v_dual_mul_f32 v23, v197, v125 :: v_dual_fma_f32 v47, v184, v112, -v47
	s_delay_alu instid0(VALU_DEP_2) | instskip(SKIP_3) | instid1(VALU_DEP_3)
	v_dual_add_f32 v9, v9, v25 :: v_dual_add_f32 v11, v11, v51
	v_dual_mul_f32 v31, v188, v117 :: v_dual_mul_f32 v33, v190, v119
	s_wait_loadcnt_dscnt 0x702
	v_dual_mul_f32 v25, v199, v127 :: v_dual_fma_f32 v13, v186, v114, -v13
	v_dual_fmac_f32 v29, v187, v114 :: v_dual_add_f32 v9, v9, v27
	v_dual_add_f32 v11, v11, v47 :: v_dual_mul_f32 v27, v201, v129
	v_fmac_f32_e32 v31, v189, v116
	s_delay_alu instid0(VALU_DEP_3) | instskip(NEXT) | instid1(VALU_DEP_3)
	v_dual_fma_f32 v15, v188, v116, -v15 :: v_dual_add_f32 v9, v9, v29
	v_add_f32_e32 v11, v11, v13
	v_dual_mul_f32 v35, v192, v121 :: v_dual_mul_f32 v37, v194, v123
	s_wait_loadcnt_dscnt 0x601
	v_dual_mul_f32 v13, v203, v131 :: v_dual_fma_f32 v17, v190, v118, -v17
	v_dual_fmac_f32 v33, v191, v118 :: v_dual_add_f32 v9, v9, v31
	v_dual_add_f32 v11, v11, v15 :: v_dual_mul_f32 v15, v205, v133
	v_fmac_f32_e32 v35, v193, v120
	s_delay_alu instid0(VALU_DEP_3) | instskip(NEXT) | instid1(VALU_DEP_3)
	v_dual_fma_f32 v19, v192, v120, -v19 :: v_dual_add_f32 v9, v9, v33
	v_add_f32_e32 v11, v11, v17
	v_dual_mul_f32 v39, v196, v125 :: v_dual_mul_f32 v41, v198, v127
	s_wait_loadcnt 0x5
	v_dual_mul_f32 v17, v151, v135 :: v_dual_fma_f32 v21, v194, v122, -v21
	v_dual_fmac_f32 v37, v195, v122 :: v_dual_add_f32 v9, v9, v35
	v_dual_add_f32 v11, v11, v19 :: v_dual_mov_b32 v94, v137
	v_fmac_f32_e32 v39, v197, v124
	s_delay_alu instid0(VALU_DEP_3) | instskip(NEXT) | instid1(VALU_DEP_3)
	v_dual_fma_f32 v19, v196, v124, -v23 :: v_dual_add_f32 v9, v9, v37
	v_add_f32_e32 v11, v11, v21
	v_dual_mul_f32 v43, v200, v129 :: v_dual_mul_f32 v45, v202, v131
	s_delay_alu instid0(VALU_DEP_3) | instskip(NEXT) | instid1(VALU_DEP_3)
	v_dual_fmac_f32 v41, v199, v126 :: v_dual_add_f32 v9, v9, v39
	v_dual_fma_f32 v21, v198, v126, -v25 :: v_dual_add_f32 v11, v11, v19
	s_wait_loadcnt 0x4
	v_dual_mov_b32 v98, v141 :: v_dual_fma_f32 v19, v200, v128, -v27
	v_fmac_f32_e32 v43, v201, v128
	v_dual_add_f32 v9, v9, v41 :: v_dual_fmac_f32 v45, v203, v130
	v_add_f32_e32 v11, v11, v21
	v_dual_mul_f32 v221, v204, v133 :: v_dual_mul_f32 v223, v150, v135
	s_delay_alu instid0(VALU_DEP_3) | instskip(NEXT) | instid1(VALU_DEP_2)
	v_dual_fma_f32 v13, v202, v130, -v13 :: v_dual_add_f32 v9, v9, v43
	v_dual_add_f32 v11, v11, v19 :: v_dual_fmac_f32 v221, v205, v132
	v_fma_f32 v220, v204, v132, -v15
	v_pk_mul_f32 v[94:95], v[212:213], v[94:95] op_sel_hi:[1,0]
	s_delay_alu instid0(VALU_DEP_4)
	v_add_f32_e32 v103, v9, v45
	s_wait_loadcnt 0x3
	v_dual_add_f32 v102, v11, v13 :: v_dual_mov_b32 v104, v145
	v_pk_mul_f32 v[96:97], v[154:155], v[138:139] op_sel:[1,1] op_sel_hi:[0,1]
	v_dual_fmac_f32 v223, v151, v134 :: v_dual_fma_f32 v222, v150, v134, -v17
	v_pk_fma_f32 v[106:107], v[152:153], v[136:137], v[94:95] op_sel_hi:[1,0,1]
	s_delay_alu instid0(VALU_DEP_4)
	v_pk_add_f32 v[102:103], v[102:103], v[220:221]
	v_pk_fma_f32 v[94:95], v[152:153], v[136:137], v[94:95] neg_lo:[0,0,1] neg_hi:[0,0,1]
	v_pk_fma_f32 v[108:109], v[154:155], v[138:139], v[96:97] op_sel_hi:[1,0,1]
	v_pk_mul_f32 v[98:99], v[214:215], v[98:99] op_sel_hi:[1,0]
	v_mov_b32_e32 v95, v107
	v_pk_add_f32 v[102:103], v[102:103], v[222:223]
	v_pk_fma_f32 v[96:97], v[154:155], v[138:139], v[96:97] neg_lo:[0,0,1] neg_hi:[0,0,1]
	v_pk_mul_f32 v[100:101], v[158:159], v[142:143] op_sel:[1,1] op_sel_hi:[0,1]
	v_mov_b32_e32 v97, v109
	v_pk_fma_f32 v[108:109], v[156:157], v[140:141], v[98:99] op_sel_hi:[1,0,1]
	v_pk_add_f32 v[94:95], v[102:103], v[94:95]
	v_pk_fma_f32 v[98:99], v[156:157], v[140:141], v[98:99] neg_lo:[0,0,1] neg_hi:[0,0,1]
	v_pk_fma_f32 v[102:103], v[158:159], v[142:143], v[100:101] op_sel_hi:[1,0,1]
	v_pk_mul_f32 v[104:105], v[216:217], v[104:105] op_sel_hi:[1,0]
	v_mov_b32_e32 v99, v109
	v_pk_add_f32 v[94:95], v[94:95], v[96:97]
	v_pk_fma_f32 v[100:101], v[158:159], v[142:143], v[100:101] neg_lo:[0,0,1] neg_hi:[0,0,1]
	s_wait_loadcnt 0x2
	v_pk_mul_f32 v[106:107], v[162:163], v[146:147] op_sel:[1,1] op_sel_hi:[0,1]
	v_dual_mov_b32 v96, v149 :: v_dual_mov_b32 v101, v103
	v_pk_fma_f32 v[102:103], v[160:161], v[144:145], v[104:105] op_sel_hi:[1,0,1]
	v_pk_add_f32 v[94:95], v[94:95], v[98:99]
	v_pk_fma_f32 v[104:105], v[160:161], v[144:145], v[104:105] neg_lo:[0,0,1] neg_hi:[0,0,1]
	v_pk_fma_f32 v[98:99], v[162:163], v[146:147], v[106:107] op_sel_hi:[1,0,1]
	v_pk_mul_f32 v[96:97], v[218:219], v[96:97] op_sel_hi:[1,0]
	v_mov_b32_e32 v105, v103
	v_pk_add_f32 v[94:95], v[94:95], v[100:101]
	v_pk_fma_f32 v[100:101], v[162:163], v[146:147], v[106:107] neg_lo:[0,0,1] neg_hi:[0,0,1]
	v_mov_b32_e32 v101, v99
	v_pk_fma_f32 v[98:99], v[164:165], v[148:149], v[96:97] op_sel_hi:[1,0,1]
	s_wait_loadcnt_dscnt 0x100
	v_pk_mul_f32 v[102:103], v[210:211], v[206:207] op_sel:[1,1] op_sel_hi:[0,1]
	v_pk_add_f32 v[94:95], v[94:95], v[104:105]
	v_pk_fma_f32 v[96:97], v[164:165], v[148:149], v[96:97] neg_lo:[0,0,1] neg_hi:[0,0,1]
	v_mov_b32_e32 v97, v99
	s_delay_alu instid0(VALU_DEP_4) | instskip(NEXT) | instid1(VALU_DEP_4)
	v_pk_fma_f32 v[98:99], v[210:211], v[206:207], v[102:103] op_sel_hi:[1,0,1]
	v_pk_add_f32 v[94:95], v[94:95], v[100:101]
	v_pk_fma_f32 v[100:101], v[210:211], v[206:207], v[102:103] neg_lo:[0,0,1] neg_hi:[0,0,1]
	s_delay_alu instid0(VALU_DEP_3) | instskip(NEXT) | instid1(VALU_DEP_3)
	v_mov_b32_e32 v101, v99
	v_pk_add_f32 v[94:95], v[94:95], v[96:97]
	s_delay_alu instid0(VALU_DEP_1) | instskip(SKIP_1) | instid1(VALU_DEP_1)
	v_pk_add_f32 v[94:95], v[94:95], v[100:101]
	s_wait_loadcnt 0x0
	v_pk_add_f32 v[94:95], v[208:209], v[94:95] neg_lo:[0,1] neg_hi:[0,1]
	scratch_store_b64 off, v[94:95], off offset:128
	s_wait_xcnt 0x0
	v_cmpx_lt_u32_e32 15, v0
	s_cbranch_execz .LBB45_259
; %bb.258:
	scratch_load_b64 v[94:95], off, off offset:120
	v_mov_b64_e32 v[96:97], 0
	scratch_store_b64 off, v[96:97], off offset:120
	s_wait_loadcnt 0x0
	ds_store_b64 v1, v[94:95]
.LBB45_259:
	s_wait_xcnt 0x0
	s_or_b32 exec_lo, exec_lo, s0
	s_wait_storecnt_dscnt 0x0
	s_barrier_signal -1
	s_barrier_wait -1
	s_clause 0xf
	scratch_load_b128 v[94:97], off, off offset:128
	scratch_load_b128 v[98:101], off, off offset:144
	;; [unrolled: 1-line block ×15, first 2 shown]
	scratch_load_b64 v[214:215], off, off offset:120
	ds_load_b128 v[154:157], v7 offset:672
	ds_load_b128 v[158:161], v7 offset:688
	;; [unrolled: 1-line block ×15, first 2 shown]
	s_mov_b32 s0, exec_lo
	s_wait_dscnt 0xe
	v_dual_mov_b32 v216, v157 :: v_dual_mov_b32 v217, v156
	s_wait_dscnt 0xd
	v_dual_mov_b32 v218, v161 :: v_dual_mov_b32 v219, v160
	;; [unrolled: 2-line block ×4, first 2 shown]
	s_wait_loadcnt_dscnt 0xf0a
	v_dual_mul_f32 v7, v170, v95 :: v_dual_mul_f32 v9, v172, v97
	v_dual_mul_f32 v47, v171, v95 :: v_dual_mul_f32 v49, v173, v97
	s_wait_loadcnt_dscnt 0xe09
	v_dual_mul_f32 v11, v174, v99 :: v_dual_mul_f32 v13, v176, v101
	s_delay_alu instid0(VALU_DEP_3) | instskip(SKIP_3) | instid1(VALU_DEP_3)
	v_dual_fmac_f32 v7, v171, v94 :: v_dual_fmac_f32 v9, v173, v96
	s_wait_loadcnt_dscnt 0xc06
	v_dual_fma_f32 v47, v170, v94, -v47 :: v_dual_mul_f32 v59, v187, v107
	v_dual_mul_f32 v51, v175, v99 :: v_dual_mul_f32 v53, v177, v101
	v_dual_fma_f32 v49, v172, v96, -v49 :: v_dual_add_f32 v7, 0, v7
	s_delay_alu instid0(VALU_DEP_3) | instskip(SKIP_1) | instid1(VALU_DEP_3)
	v_dual_add_f32 v47, 0, v47 :: v_dual_mul_f32 v61, v189, v109
	v_dual_fmac_f32 v11, v175, v98 :: v_dual_fmac_f32 v13, v177, v100
	v_dual_fma_f32 v51, v174, v98, -v51 :: v_dual_add_f32 v7, v7, v9
	s_delay_alu instid0(VALU_DEP_3) | instskip(SKIP_2) | instid1(VALU_DEP_4)
	v_dual_add_f32 v9, v47, v49 :: v_dual_fma_f32 v49, v176, v100, -v53
	v_dual_mul_f32 v15, v182, v103 :: v_dual_mul_f32 v17, v184, v105
	v_dual_mul_f32 v55, v183, v103 :: v_dual_mul_f32 v57, v185, v105
	v_add_f32_e32 v7, v7, v11
	s_delay_alu instid0(VALU_DEP_3) | instskip(NEXT) | instid1(VALU_DEP_3)
	v_dual_add_f32 v9, v9, v51 :: v_dual_fmac_f32 v15, v183, v102
	v_fma_f32 v51, v182, v102, -v55
	v_dual_mul_f32 v19, v186, v107 :: v_dual_mul_f32 v21, v188, v109
	s_delay_alu instid0(VALU_DEP_4) | instskip(SKIP_2) | instid1(VALU_DEP_2)
	v_dual_add_f32 v7, v7, v13 :: v_dual_fmac_f32 v17, v185, v104
	s_wait_loadcnt_dscnt 0xa04
	v_dual_add_f32 v9, v9, v49 :: v_dual_mul_f32 v13, v195, v115
	v_dual_fma_f32 v49, v184, v104, -v57 :: v_dual_add_f32 v7, v7, v15
	v_mul_f32_e32 v15, v197, v117
	s_delay_alu instid0(VALU_DEP_3) | instskip(NEXT) | instid1(VALU_DEP_3)
	v_dual_add_f32 v9, v9, v51 :: v_dual_fmac_f32 v19, v187, v106
	v_dual_fma_f32 v51, v186, v106, -v59 :: v_dual_add_f32 v7, v7, v17
	v_fmac_f32_e32 v21, v189, v108
	s_wait_loadcnt_dscnt 0x903
	s_delay_alu instid0(VALU_DEP_3) | instskip(SKIP_3) | instid1(VALU_DEP_3)
	v_dual_add_f32 v9, v9, v49 :: v_dual_mul_f32 v17, v199, v119
	v_dual_mul_f32 v23, v190, v111 :: v_dual_mul_f32 v25, v192, v113
	v_dual_mul_f32 v47, v191, v111 :: v_dual_mul_f32 v11, v193, v113
	v_dual_fma_f32 v49, v188, v108, -v61 :: v_dual_add_f32 v7, v7, v19
	v_dual_add_f32 v9, v9, v51 :: v_dual_fmac_f32 v23, v191, v110
	s_delay_alu instid0(VALU_DEP_3) | instskip(NEXT) | instid1(VALU_DEP_3)
	v_dual_mul_f32 v19, v201, v121 :: v_dual_fma_f32 v47, v190, v110, -v47
	v_dual_add_f32 v7, v7, v21 :: v_dual_fmac_f32 v25, v193, v112
	s_wait_loadcnt_dscnt 0x802
	s_delay_alu instid0(VALU_DEP_3) | instskip(SKIP_1) | instid1(VALU_DEP_3)
	v_dual_add_f32 v9, v9, v49 :: v_dual_mul_f32 v21, v203, v123
	v_dual_mul_f32 v27, v194, v115 :: v_dual_mul_f32 v29, v196, v117
	v_dual_fma_f32 v11, v192, v112, -v11 :: v_dual_add_f32 v7, v7, v23
	s_delay_alu instid0(VALU_DEP_2) | instskip(SKIP_1) | instid1(VALU_DEP_2)
	v_dual_add_f32 v9, v9, v47 :: v_dual_fmac_f32 v27, v195, v114
	v_dual_mul_f32 v23, v205, v125 :: v_dual_fma_f32 v13, v194, v114, -v13
	v_dual_add_f32 v7, v7, v25 :: v_dual_add_f32 v9, v9, v11
	v_dual_mul_f32 v31, v198, v119 :: v_dual_mul_f32 v33, v200, v121
	s_wait_loadcnt_dscnt 0x701
	v_dual_mul_f32 v11, v207, v127 :: v_dual_fmac_f32 v29, v197, v116
	s_delay_alu instid0(VALU_DEP_3) | instskip(NEXT) | instid1(VALU_DEP_3)
	v_dual_fma_f32 v15, v196, v116, -v15 :: v_dual_add_f32 v7, v7, v27
	v_dual_add_f32 v9, v9, v13 :: v_dual_fmac_f32 v31, v199, v118
	v_dual_mul_f32 v13, v209, v129 :: v_dual_fma_f32 v17, v198, v118, -v17
	s_delay_alu instid0(VALU_DEP_2) | instskip(SKIP_3) | instid1(VALU_DEP_3)
	v_dual_add_f32 v7, v7, v29 :: v_dual_add_f32 v9, v9, v15
	v_dual_mul_f32 v35, v202, v123 :: v_dual_mul_f32 v37, v204, v125
	s_wait_loadcnt_dscnt 0x600
	v_dual_mul_f32 v15, v211, v131 :: v_dual_fmac_f32 v33, v201, v120
	v_dual_fma_f32 v19, v200, v120, -v19 :: v_dual_add_f32 v7, v7, v31
	s_delay_alu instid0(VALU_DEP_3) | instskip(SKIP_1) | instid1(VALU_DEP_2)
	v_dual_add_f32 v9, v9, v17 :: v_dual_fmac_f32 v35, v203, v122
	v_dual_mul_f32 v17, v213, v133 :: v_dual_fma_f32 v21, v202, v122, -v21
	v_dual_add_f32 v7, v7, v33 :: v_dual_add_f32 v9, v9, v19
	v_dual_mul_f32 v39, v206, v127 :: v_dual_mul_f32 v41, v208, v129
	s_wait_loadcnt 0x5
	v_dual_mul_f32 v19, v179, v135 :: v_dual_fmac_f32 v37, v205, v124
	s_delay_alu instid0(VALU_DEP_3) | instskip(NEXT) | instid1(VALU_DEP_3)
	v_dual_fma_f32 v23, v204, v124, -v23 :: v_dual_add_f32 v7, v7, v35
	v_dual_add_f32 v9, v9, v21 :: v_dual_fmac_f32 v39, v207, v126
	v_dual_mul_f32 v21, v181, v137 :: v_dual_fma_f32 v11, v206, v126, -v11
	s_delay_alu instid0(VALU_DEP_2) | instskip(SKIP_1) | instid1(VALU_DEP_2)
	v_dual_add_f32 v7, v7, v37 :: v_dual_add_f32 v9, v9, v23
	v_dual_mul_f32 v43, v210, v131 :: v_dual_mul_f32 v45, v212, v133
	v_dual_fmac_f32 v41, v209, v128 :: v_dual_add_f32 v7, v7, v39
	s_delay_alu instid0(VALU_DEP_3) | instskip(SKIP_1) | instid1(VALU_DEP_3)
	v_dual_fma_f32 v13, v208, v128, -v13 :: v_dual_add_f32 v9, v9, v11
	s_wait_loadcnt 0x4
	v_dual_mov_b32 v96, v141 :: v_dual_fmac_f32 v43, v211, v130
	s_delay_alu instid0(VALU_DEP_3) | instskip(NEXT) | instid1(VALU_DEP_3)
	v_dual_fma_f32 v11, v210, v130, -v15 :: v_dual_add_f32 v7, v7, v41
	v_dual_add_f32 v9, v9, v13 :: v_dual_fma_f32 v13, v212, v132, -v17
	v_dual_mul_f32 v225, v178, v135 :: v_dual_mul_f32 v227, v180, v137
	s_delay_alu instid0(VALU_DEP_3) | instskip(NEXT) | instid1(VALU_DEP_2)
	v_dual_fmac_f32 v45, v213, v132 :: v_dual_add_f32 v7, v7, v43
	v_dual_add_f32 v9, v9, v11 :: v_dual_fmac_f32 v225, v179, v134
	v_pk_mul_f32 v[94:95], v[154:155], v[138:139] op_sel:[1,1] op_sel_hi:[0,1]
	s_wait_loadcnt 0x3
	v_dual_mov_b32 v100, v145 :: v_dual_fma_f32 v224, v178, v134, -v19
	v_dual_add_f32 v103, v7, v45 :: v_dual_fmac_f32 v227, v181, v136
	v_dual_add_f32 v102, v9, v13 :: v_dual_fma_f32 v226, v180, v136, -v21
	v_pk_fma_f32 v[104:105], v[154:155], v[138:139], v[94:95] op_sel_hi:[1,0,1]
	v_pk_mul_f32 v[96:97], v[216:217], v[96:97] op_sel_hi:[1,0]
	v_pk_fma_f32 v[94:95], v[154:155], v[138:139], v[94:95] neg_lo:[0,0,1] neg_hi:[0,0,1]
	s_delay_alu instid0(VALU_DEP_4)
	v_pk_add_f32 v[102:103], v[102:103], v[224:225]
	v_pk_mul_f32 v[98:99], v[158:159], v[142:143] op_sel:[1,1] op_sel_hi:[0,1]
	v_mov_b32_e32 v95, v105
	v_pk_fma_f32 v[104:105], v[156:157], v[140:141], v[96:97] op_sel_hi:[1,0,1]
	v_pk_fma_f32 v[96:97], v[156:157], v[140:141], v[96:97] neg_lo:[0,0,1] neg_hi:[0,0,1]
	v_pk_add_f32 v[102:103], v[102:103], v[226:227]
	v_pk_fma_f32 v[108:109], v[158:159], v[142:143], v[98:99] op_sel_hi:[1,0,1]
	v_pk_mul_f32 v[100:101], v[218:219], v[100:101] op_sel_hi:[1,0]
	v_mov_b32_e32 v97, v105
	s_wait_loadcnt 0x2
	v_pk_mul_f32 v[106:107], v[162:163], v[146:147] op_sel:[1,1] op_sel_hi:[0,1]
	v_pk_add_f32 v[94:95], v[102:103], v[94:95]
	v_mov_b32_e32 v102, v149
	v_pk_fma_f32 v[98:99], v[158:159], v[142:143], v[98:99] neg_lo:[0,0,1] neg_hi:[0,0,1]
	v_mov_b32_e32 v99, v109
	v_pk_fma_f32 v[104:105], v[160:161], v[144:145], v[100:101] op_sel_hi:[1,0,1]
	v_pk_add_f32 v[94:95], v[94:95], v[96:97]
	v_pk_fma_f32 v[96:97], v[162:163], v[146:147], v[106:107] op_sel_hi:[1,0,1]
	v_pk_mul_f32 v[102:103], v[220:221], v[102:103] op_sel_hi:[1,0]
	v_pk_fma_f32 v[100:101], v[160:161], v[144:145], v[100:101] neg_lo:[0,0,1] neg_hi:[0,0,1]
	v_mov_b32_e32 v101, v105
	v_pk_add_f32 v[94:95], v[94:95], v[98:99]
	v_pk_fma_f32 v[104:105], v[162:163], v[146:147], v[106:107] neg_lo:[0,0,1] neg_hi:[0,0,1]
	v_mov_b32_e32 v105, v97
	v_pk_fma_f32 v[96:97], v[164:165], v[148:149], v[102:103] op_sel_hi:[1,0,1]
	s_wait_loadcnt 0x1
	v_pk_mul_f32 v[98:99], v[166:167], v[150:151] op_sel:[1,1] op_sel_hi:[0,1]
	v_pk_add_f32 v[94:95], v[94:95], v[100:101]
	v_mov_b32_e32 v96, v153
	v_pk_fma_f32 v[102:103], v[164:165], v[148:149], v[102:103] neg_lo:[0,0,1] neg_hi:[0,0,1]
	v_mov_b32_e32 v103, v97
	v_pk_fma_f32 v[100:101], v[166:167], v[150:151], v[98:99] op_sel_hi:[1,0,1]
	v_pk_add_f32 v[94:95], v[94:95], v[104:105]
	v_pk_mul_f32 v[96:97], v[222:223], v[96:97] op_sel_hi:[1,0]
	v_pk_fma_f32 v[98:99], v[166:167], v[150:151], v[98:99] neg_lo:[0,0,1] neg_hi:[0,0,1]
	s_delay_alu instid0(VALU_DEP_4) | instskip(NEXT) | instid1(VALU_DEP_4)
	v_mov_b32_e32 v99, v101
	v_pk_add_f32 v[94:95], v[94:95], v[102:103]
	s_delay_alu instid0(VALU_DEP_4) | instskip(SKIP_1) | instid1(VALU_DEP_2)
	v_pk_fma_f32 v[100:101], v[168:169], v[152:153], v[96:97] op_sel_hi:[1,0,1]
	v_pk_fma_f32 v[96:97], v[168:169], v[152:153], v[96:97] neg_lo:[0,0,1] neg_hi:[0,0,1]
	v_mov_b32_e32 v97, v101
	s_delay_alu instid0(VALU_DEP_4) | instskip(NEXT) | instid1(VALU_DEP_1)
	v_pk_add_f32 v[94:95], v[94:95], v[98:99]
	v_pk_add_f32 v[94:95], v[94:95], v[96:97]
	s_wait_loadcnt 0x0
	s_delay_alu instid0(VALU_DEP_1)
	v_pk_add_f32 v[94:95], v[214:215], v[94:95] neg_lo:[0,1] neg_hi:[0,1]
	scratch_store_b64 off, v[94:95], off offset:120
	s_wait_xcnt 0x0
	v_cmpx_lt_u32_e32 14, v0
	s_cbranch_execz .LBB45_261
; %bb.260:
	scratch_load_b64 v[94:95], off, off offset:112
	v_mov_b64_e32 v[96:97], 0
	scratch_store_b64 off, v[96:97], off offset:112
	s_wait_loadcnt 0x0
	ds_store_b64 v1, v[94:95]
.LBB45_261:
	s_wait_xcnt 0x0
	s_or_b32 exec_lo, exec_lo, s0
	s_wait_storecnt_dscnt 0x0
	s_barrier_signal -1
	s_barrier_wait -1
	s_clause 0x10
	scratch_load_b128 v[94:97], off, off offset:120
	scratch_load_b128 v[98:101], off, off offset:136
	;; [unrolled: 1-line block ×15, first 2 shown]
	scratch_load_b64 v[214:215], off, off offset:360
	scratch_load_b64 v[216:217], off, off offset:112
	v_mov_b32_e32 v7, 0
	ds_load_2addr_b64 v[154:157], v7 offset0:83 offset1:84
	ds_load_2addr_b64 v[158:161], v7 offset0:85 offset1:86
	;; [unrolled: 1-line block ×15, first 2 shown]
	ds_load_b64 v[218:219], v7 offset:728
	s_mov_b32 s0, exec_lo
	s_wait_dscnt 0xf
	v_dual_mov_b32 v220, v157 :: v_dual_mov_b32 v221, v156
	s_wait_dscnt 0xc
	v_dual_mov_b32 v222, v161 :: v_dual_mov_b32 v227, v168
	v_dual_mov_b32 v223, v160 :: v_dual_mov_b32 v224, v165
	;; [unrolled: 1-line block ×3, first 2 shown]
	s_wait_loadcnt_dscnt 0x100b
	v_dual_mul_f32 v9, v170, v95 :: v_dual_mul_f32 v51, v171, v95
	v_dual_mul_f32 v53, v173, v97 :: v_dual_mul_f32 v11, v172, v97
	s_wait_loadcnt_dscnt 0xf09
	v_mul_f32_e32 v13, v178, v99
	s_wait_loadcnt_dscnt 0xd07
	v_dual_mul_f32 v63, v187, v107 :: v_dual_fma_f32 v51, v170, v94, -v51
	v_dual_fmac_f32 v9, v171, v94 :: v_dual_mul_f32 v65, v189, v109
	v_dual_mul_f32 v55, v179, v99 :: v_dual_mul_f32 v57, v181, v101
	v_dual_fmac_f32 v11, v173, v96 :: v_dual_fma_f32 v53, v172, v96, -v53
	s_delay_alu instid0(VALU_DEP_3) | instskip(SKIP_3) | instid1(VALU_DEP_3)
	v_dual_add_f32 v9, 0, v9 :: v_dual_add_f32 v51, 0, v51
	v_dual_mul_f32 v15, v180, v101 :: v_dual_mul_f32 v17, v182, v103
	s_wait_loadcnt_dscnt 0xc06
	v_dual_mul_f32 v67, v191, v111 :: v_dual_fma_f32 v55, v178, v98, -v55
	v_dual_fmac_f32 v13, v179, v98 :: v_dual_add_f32 v9, v9, v11
	s_delay_alu instid0(VALU_DEP_3) | instskip(SKIP_2) | instid1(VALU_DEP_3)
	v_dual_add_f32 v11, v51, v53 :: v_dual_fmac_f32 v15, v181, v100
	v_dual_mul_f32 v59, v183, v103 :: v_dual_mul_f32 v61, v185, v105
	v_dual_mul_f32 v51, v193, v113 :: v_dual_fma_f32 v53, v180, v100, -v57
	v_dual_add_f32 v9, v9, v13 :: v_dual_add_f32 v11, v11, v55
	v_dual_mul_f32 v19, v184, v105 :: v_dual_mul_f32 v21, v186, v107
	s_wait_loadcnt_dscnt 0xb05
	v_dual_mul_f32 v13, v195, v115 :: v_dual_fma_f32 v55, v182, v102, -v59
	s_delay_alu instid0(VALU_DEP_3) | instskip(NEXT) | instid1(VALU_DEP_3)
	v_dual_fmac_f32 v17, v183, v102 :: v_dual_add_f32 v9, v9, v15
	v_dual_add_f32 v11, v11, v53 :: v_dual_fmac_f32 v19, v185, v104
	v_dual_mul_f32 v15, v197, v117 :: v_dual_fma_f32 v53, v184, v104, -v61
	s_delay_alu instid0(VALU_DEP_2) | instskip(SKIP_3) | instid1(VALU_DEP_3)
	v_dual_add_f32 v9, v9, v17 :: v_dual_add_f32 v11, v11, v55
	v_dual_mul_f32 v23, v188, v109 :: v_dual_mul_f32 v25, v190, v111
	s_wait_loadcnt_dscnt 0xa04
	v_dual_mul_f32 v17, v199, v119 :: v_dual_fma_f32 v55, v186, v106, -v63
	v_dual_fmac_f32 v21, v187, v106 :: v_dual_add_f32 v9, v9, v19
	s_delay_alu instid0(VALU_DEP_3) | instskip(SKIP_1) | instid1(VALU_DEP_2)
	v_dual_add_f32 v11, v11, v53 :: v_dual_fmac_f32 v23, v189, v108
	v_dual_mul_f32 v19, v201, v121 :: v_dual_fma_f32 v53, v188, v108, -v65
	v_dual_add_f32 v9, v9, v21 :: v_dual_add_f32 v11, v11, v55
	v_dual_mul_f32 v27, v192, v113 :: v_dual_mul_f32 v29, v194, v115
	s_wait_loadcnt_dscnt 0x903
	v_dual_mul_f32 v21, v203, v123 :: v_dual_fma_f32 v55, v190, v110, -v67
	s_delay_alu instid0(VALU_DEP_3) | instskip(NEXT) | instid1(VALU_DEP_3)
	v_dual_fmac_f32 v25, v191, v110 :: v_dual_add_f32 v9, v9, v23
	v_dual_add_f32 v11, v11, v53 :: v_dual_fmac_f32 v27, v193, v112
	v_dual_mul_f32 v23, v205, v125 :: v_dual_fma_f32 v51, v192, v112, -v51
	s_delay_alu instid0(VALU_DEP_2) | instskip(SKIP_3) | instid1(VALU_DEP_3)
	v_dual_add_f32 v9, v9, v25 :: v_dual_add_f32 v11, v11, v55
	v_dual_mul_f32 v31, v196, v117 :: v_dual_mul_f32 v33, v198, v119
	s_wait_loadcnt_dscnt 0x802
	v_dual_mul_f32 v25, v207, v127 :: v_dual_fma_f32 v13, v194, v114, -v13
	v_dual_fmac_f32 v29, v195, v114 :: v_dual_add_f32 v9, v9, v27
	v_dual_add_f32 v11, v11, v51 :: v_dual_mul_f32 v27, v209, v129
	v_fmac_f32_e32 v31, v197, v116
	s_delay_alu instid0(VALU_DEP_3) | instskip(NEXT) | instid1(VALU_DEP_3)
	v_dual_fma_f32 v15, v196, v116, -v15 :: v_dual_add_f32 v9, v9, v29
	v_add_f32_e32 v11, v11, v13
	v_dual_mul_f32 v35, v200, v121 :: v_dual_mul_f32 v37, v202, v123
	s_wait_loadcnt_dscnt 0x701
	v_dual_mul_f32 v13, v211, v131 :: v_dual_fma_f32 v17, v198, v118, -v17
	v_dual_fmac_f32 v33, v199, v118 :: v_dual_add_f32 v9, v9, v31
	v_dual_add_f32 v11, v11, v15 :: v_dual_mul_f32 v15, v213, v133
	v_fmac_f32_e32 v35, v201, v120
	s_delay_alu instid0(VALU_DEP_3) | instskip(NEXT) | instid1(VALU_DEP_3)
	v_dual_fma_f32 v19, v200, v120, -v19 :: v_dual_add_f32 v9, v9, v33
	v_add_f32_e32 v11, v11, v17
	v_dual_mul_f32 v39, v204, v125 :: v_dual_mul_f32 v41, v206, v127
	s_wait_loadcnt 0x6
	v_dual_mul_f32 v17, v175, v135 :: v_dual_fma_f32 v21, v202, v122, -v21
	v_dual_fmac_f32 v37, v203, v122 :: v_dual_add_f32 v9, v9, v35
	v_dual_add_f32 v11, v11, v19 :: v_dual_mul_f32 v19, v177, v137
	v_fmac_f32_e32 v39, v205, v124
	s_delay_alu instid0(VALU_DEP_3) | instskip(NEXT) | instid1(VALU_DEP_3)
	v_dual_fma_f32 v23, v204, v124, -v23 :: v_dual_add_f32 v9, v9, v37
	v_add_f32_e32 v11, v11, v21
	v_dual_mul_f32 v43, v208, v129 :: v_dual_mul_f32 v45, v210, v131
	s_wait_loadcnt 0x5
	v_dual_mul_f32 v21, v155, v139 :: v_dual_fma_f32 v25, v206, v126, -v25
	v_dual_fmac_f32 v41, v207, v126 :: v_dual_add_f32 v9, v9, v39
	v_dual_add_f32 v11, v11, v23 :: v_dual_mov_b32 v94, v141
	v_fmac_f32_e32 v43, v209, v128
	s_delay_alu instid0(VALU_DEP_3) | instskip(NEXT) | instid1(VALU_DEP_3)
	v_dual_fma_f32 v23, v208, v128, -v27 :: v_dual_add_f32 v9, v9, v41
	v_add_f32_e32 v11, v11, v25
	v_dual_mul_f32 v47, v212, v133 :: v_dual_mul_f32 v49, v174, v135
	s_delay_alu instid0(VALU_DEP_3) | instskip(NEXT) | instid1(VALU_DEP_3)
	v_dual_fmac_f32 v45, v211, v130 :: v_dual_add_f32 v9, v9, v43
	v_dual_fma_f32 v13, v210, v130, -v13 :: v_dual_add_f32 v11, v11, v23
	s_wait_loadcnt 0x4
	v_dual_mov_b32 v98, v145 :: v_dual_fma_f32 v15, v212, v132, -v15
	v_fmac_f32_e32 v47, v213, v132
	v_dual_add_f32 v9, v9, v45 :: v_dual_fmac_f32 v49, v175, v134
	v_add_f32_e32 v11, v11, v13
	v_dual_mul_f32 v229, v176, v137 :: v_dual_mul_f32 v231, v154, v139
	s_delay_alu instid0(VALU_DEP_3) | instskip(NEXT) | instid1(VALU_DEP_2)
	v_dual_fma_f32 v13, v174, v134, -v17 :: v_dual_add_f32 v9, v9, v47
	v_dual_add_f32 v11, v11, v15 :: v_dual_fmac_f32 v229, v177, v136
	v_fma_f32 v228, v176, v136, -v19
	v_pk_mul_f32 v[94:95], v[220:221], v[94:95] op_sel_hi:[1,0]
	s_delay_alu instid0(VALU_DEP_4)
	v_add_f32_e32 v103, v9, v49
	s_wait_loadcnt 0x3
	v_dual_add_f32 v102, v11, v13 :: v_dual_mov_b32 v104, v149
	v_pk_mul_f32 v[96:97], v[158:159], v[142:143] op_sel:[1,1] op_sel_hi:[0,1]
	v_dual_fmac_f32 v231, v155, v138 :: v_dual_fma_f32 v230, v154, v138, -v21
	v_pk_fma_f32 v[106:107], v[156:157], v[140:141], v[94:95] op_sel_hi:[1,0,1]
	s_delay_alu instid0(VALU_DEP_4)
	v_pk_add_f32 v[102:103], v[102:103], v[228:229]
	v_pk_fma_f32 v[94:95], v[156:157], v[140:141], v[94:95] neg_lo:[0,0,1] neg_hi:[0,0,1]
	v_pk_fma_f32 v[108:109], v[158:159], v[142:143], v[96:97] op_sel_hi:[1,0,1]
	v_pk_mul_f32 v[98:99], v[222:223], v[98:99] op_sel_hi:[1,0]
	v_mov_b32_e32 v95, v107
	v_pk_add_f32 v[102:103], v[102:103], v[230:231]
	v_pk_fma_f32 v[96:97], v[158:159], v[142:143], v[96:97] neg_lo:[0,0,1] neg_hi:[0,0,1]
	v_pk_mul_f32 v[100:101], v[162:163], v[146:147] op_sel:[1,1] op_sel_hi:[0,1]
	v_mov_b32_e32 v97, v109
	v_pk_fma_f32 v[108:109], v[160:161], v[144:145], v[98:99] op_sel_hi:[1,0,1]
	v_pk_add_f32 v[94:95], v[102:103], v[94:95]
	v_pk_fma_f32 v[98:99], v[160:161], v[144:145], v[98:99] neg_lo:[0,0,1] neg_hi:[0,0,1]
	v_pk_fma_f32 v[102:103], v[162:163], v[146:147], v[100:101] op_sel_hi:[1,0,1]
	v_pk_mul_f32 v[104:105], v[224:225], v[104:105] op_sel_hi:[1,0]
	v_mov_b32_e32 v99, v109
	v_pk_add_f32 v[94:95], v[94:95], v[96:97]
	v_pk_fma_f32 v[100:101], v[162:163], v[146:147], v[100:101] neg_lo:[0,0,1] neg_hi:[0,0,1]
	s_wait_loadcnt 0x2
	v_pk_mul_f32 v[106:107], v[166:167], v[150:151] op_sel:[1,1] op_sel_hi:[0,1]
	v_dual_mov_b32 v96, v153 :: v_dual_mov_b32 v101, v103
	v_pk_fma_f32 v[102:103], v[164:165], v[148:149], v[104:105] op_sel_hi:[1,0,1]
	v_pk_add_f32 v[94:95], v[94:95], v[98:99]
	v_pk_fma_f32 v[104:105], v[164:165], v[148:149], v[104:105] neg_lo:[0,0,1] neg_hi:[0,0,1]
	v_pk_fma_f32 v[98:99], v[166:167], v[150:151], v[106:107] op_sel_hi:[1,0,1]
	v_pk_mul_f32 v[96:97], v[226:227], v[96:97] op_sel_hi:[1,0]
	v_mov_b32_e32 v105, v103
	v_pk_add_f32 v[94:95], v[94:95], v[100:101]
	v_pk_fma_f32 v[100:101], v[166:167], v[150:151], v[106:107] neg_lo:[0,0,1] neg_hi:[0,0,1]
	v_mov_b32_e32 v101, v99
	v_pk_fma_f32 v[98:99], v[168:169], v[152:153], v[96:97] op_sel_hi:[1,0,1]
	s_wait_loadcnt_dscnt 0x100
	v_pk_mul_f32 v[102:103], v[218:219], v[214:215] op_sel:[1,1] op_sel_hi:[0,1]
	v_pk_add_f32 v[94:95], v[94:95], v[104:105]
	v_pk_fma_f32 v[96:97], v[168:169], v[152:153], v[96:97] neg_lo:[0,0,1] neg_hi:[0,0,1]
	v_mov_b32_e32 v97, v99
	s_delay_alu instid0(VALU_DEP_4) | instskip(NEXT) | instid1(VALU_DEP_4)
	v_pk_fma_f32 v[98:99], v[218:219], v[214:215], v[102:103] op_sel_hi:[1,0,1]
	v_pk_add_f32 v[94:95], v[94:95], v[100:101]
	v_pk_fma_f32 v[100:101], v[218:219], v[214:215], v[102:103] neg_lo:[0,0,1] neg_hi:[0,0,1]
	s_delay_alu instid0(VALU_DEP_3) | instskip(NEXT) | instid1(VALU_DEP_3)
	v_mov_b32_e32 v101, v99
	v_pk_add_f32 v[94:95], v[94:95], v[96:97]
	s_delay_alu instid0(VALU_DEP_1) | instskip(SKIP_1) | instid1(VALU_DEP_1)
	v_pk_add_f32 v[94:95], v[94:95], v[100:101]
	s_wait_loadcnt 0x0
	v_pk_add_f32 v[94:95], v[216:217], v[94:95] neg_lo:[0,1] neg_hi:[0,1]
	scratch_store_b64 off, v[94:95], off offset:112
	s_wait_xcnt 0x0
	v_cmpx_lt_u32_e32 13, v0
	s_cbranch_execz .LBB45_263
; %bb.262:
	scratch_load_b64 v[94:95], off, off offset:104
	v_mov_b64_e32 v[96:97], 0
	scratch_store_b64 off, v[96:97], off offset:104
	s_wait_loadcnt 0x0
	ds_store_b64 v1, v[94:95]
.LBB45_263:
	s_wait_xcnt 0x0
	s_or_b32 exec_lo, exec_lo, s0
	s_wait_storecnt_dscnt 0x0
	s_barrier_signal -1
	s_barrier_wait -1
	s_clause 0x10
	scratch_load_b128 v[94:97], off, off offset:112
	scratch_load_b128 v[98:101], off, off offset:128
	;; [unrolled: 1-line block ×16, first 2 shown]
	scratch_load_b64 v[222:223], off, off offset:104
	ds_load_b128 v[158:161], v7 offset:672
	ds_load_b128 v[162:165], v7 offset:688
	;; [unrolled: 1-line block ×16, first 2 shown]
	s_mov_b32 s0, exec_lo
	s_wait_dscnt 0xf
	v_dual_mov_b32 v224, v161 :: v_dual_mov_b32 v225, v160
	s_wait_dscnt 0xe
	v_dual_mov_b32 v226, v165 :: v_dual_mov_b32 v227, v164
	;; [unrolled: 2-line block ×4, first 2 shown]
	s_wait_loadcnt_dscnt 0x100b
	v_dual_mul_f32 v7, v174, v95 :: v_dual_mul_f32 v9, v176, v97
	v_dual_mul_f32 v51, v175, v95 :: v_dual_mul_f32 v53, v177, v97
	s_wait_loadcnt_dscnt 0xf0a
	v_dual_mul_f32 v11, v178, v99 :: v_dual_mul_f32 v13, v180, v101
	s_delay_alu instid0(VALU_DEP_3) | instskip(SKIP_3) | instid1(VALU_DEP_3)
	v_dual_fmac_f32 v7, v175, v94 :: v_dual_fmac_f32 v9, v177, v96
	s_wait_loadcnt_dscnt 0xd08
	v_dual_fma_f32 v51, v174, v94, -v51 :: v_dual_mul_f32 v63, v187, v107
	v_dual_mul_f32 v55, v179, v99 :: v_dual_mul_f32 v57, v181, v101
	v_dual_fma_f32 v53, v176, v96, -v53 :: v_dual_add_f32 v7, 0, v7
	s_delay_alu instid0(VALU_DEP_3) | instskip(SKIP_1) | instid1(VALU_DEP_3)
	v_dual_add_f32 v51, 0, v51 :: v_dual_mul_f32 v65, v189, v109
	v_dual_fmac_f32 v11, v179, v98 :: v_dual_fmac_f32 v13, v181, v100
	v_dual_fma_f32 v55, v178, v98, -v55 :: v_dual_add_f32 v7, v7, v9
	s_delay_alu instid0(VALU_DEP_3) | instskip(SKIP_2) | instid1(VALU_DEP_4)
	v_dual_add_f32 v9, v51, v53 :: v_dual_fma_f32 v53, v180, v100, -v57
	v_dual_mul_f32 v15, v182, v103 :: v_dual_mul_f32 v17, v184, v105
	v_dual_mul_f32 v59, v183, v103 :: v_dual_mul_f32 v61, v185, v105
	v_add_f32_e32 v7, v7, v11
	s_delay_alu instid0(VALU_DEP_3) | instskip(NEXT) | instid1(VALU_DEP_3)
	v_dual_add_f32 v9, v9, v55 :: v_dual_fmac_f32 v15, v183, v102
	v_fma_f32 v55, v182, v102, -v59
	v_dual_mul_f32 v19, v186, v107 :: v_dual_mul_f32 v21, v188, v109
	s_delay_alu instid0(VALU_DEP_4) | instskip(SKIP_2) | instid1(VALU_DEP_2)
	v_dual_add_f32 v7, v7, v13 :: v_dual_fmac_f32 v17, v185, v104
	s_wait_loadcnt_dscnt 0xb06
	v_dual_add_f32 v9, v9, v53 :: v_dual_mul_f32 v13, v195, v115
	v_dual_fma_f32 v53, v184, v104, -v61 :: v_dual_add_f32 v7, v7, v15
	v_mul_f32_e32 v15, v197, v117
	s_delay_alu instid0(VALU_DEP_3) | instskip(NEXT) | instid1(VALU_DEP_3)
	v_dual_add_f32 v9, v9, v55 :: v_dual_fmac_f32 v19, v187, v106
	v_dual_fma_f32 v55, v186, v106, -v63 :: v_dual_add_f32 v7, v7, v17
	v_fmac_f32_e32 v21, v189, v108
	s_wait_loadcnt_dscnt 0xa05
	s_delay_alu instid0(VALU_DEP_3) | instskip(SKIP_3) | instid1(VALU_DEP_3)
	v_dual_add_f32 v9, v9, v53 :: v_dual_mul_f32 v17, v199, v119
	v_dual_mul_f32 v23, v190, v111 :: v_dual_mul_f32 v25, v192, v113
	v_dual_mul_f32 v51, v191, v111 :: v_dual_mul_f32 v11, v193, v113
	v_dual_fma_f32 v53, v188, v108, -v65 :: v_dual_add_f32 v7, v7, v19
	v_dual_add_f32 v9, v9, v55 :: v_dual_fmac_f32 v23, v191, v110
	s_delay_alu instid0(VALU_DEP_3) | instskip(NEXT) | instid1(VALU_DEP_3)
	v_dual_mul_f32 v19, v201, v121 :: v_dual_fma_f32 v51, v190, v110, -v51
	v_dual_add_f32 v7, v7, v21 :: v_dual_fmac_f32 v25, v193, v112
	s_wait_loadcnt_dscnt 0x904
	s_delay_alu instid0(VALU_DEP_3) | instskip(SKIP_1) | instid1(VALU_DEP_3)
	v_dual_add_f32 v9, v9, v53 :: v_dual_mul_f32 v21, v203, v123
	v_dual_mul_f32 v27, v194, v115 :: v_dual_mul_f32 v29, v196, v117
	v_dual_fma_f32 v11, v192, v112, -v11 :: v_dual_add_f32 v7, v7, v23
	s_delay_alu instid0(VALU_DEP_2) | instskip(SKIP_1) | instid1(VALU_DEP_2)
	v_dual_add_f32 v9, v9, v51 :: v_dual_fmac_f32 v27, v195, v114
	v_dual_mul_f32 v23, v205, v125 :: v_dual_fma_f32 v13, v194, v114, -v13
	v_dual_add_f32 v7, v7, v25 :: v_dual_add_f32 v9, v9, v11
	v_dual_mul_f32 v31, v198, v119 :: v_dual_mul_f32 v33, v200, v121
	s_wait_loadcnt_dscnt 0x803
	v_dual_mul_f32 v11, v207, v127 :: v_dual_fmac_f32 v29, v197, v116
	s_delay_alu instid0(VALU_DEP_3) | instskip(NEXT) | instid1(VALU_DEP_3)
	v_dual_fma_f32 v15, v196, v116, -v15 :: v_dual_add_f32 v7, v7, v27
	v_dual_add_f32 v9, v9, v13 :: v_dual_fmac_f32 v31, v199, v118
	v_dual_mul_f32 v13, v209, v129 :: v_dual_fma_f32 v17, v198, v118, -v17
	s_delay_alu instid0(VALU_DEP_2) | instskip(SKIP_3) | instid1(VALU_DEP_3)
	v_dual_add_f32 v7, v7, v29 :: v_dual_add_f32 v9, v9, v15
	v_dual_mul_f32 v35, v202, v123 :: v_dual_mul_f32 v37, v204, v125
	s_wait_loadcnt_dscnt 0x702
	v_dual_mul_f32 v15, v211, v131 :: v_dual_fmac_f32 v33, v201, v120
	v_dual_fma_f32 v19, v200, v120, -v19 :: v_dual_add_f32 v7, v7, v31
	s_delay_alu instid0(VALU_DEP_3) | instskip(SKIP_1) | instid1(VALU_DEP_2)
	v_dual_add_f32 v9, v9, v17 :: v_dual_fmac_f32 v35, v203, v122
	v_dual_mul_f32 v17, v213, v133 :: v_dual_fma_f32 v21, v202, v122, -v21
	v_dual_add_f32 v7, v7, v33 :: v_dual_add_f32 v9, v9, v19
	v_dual_mul_f32 v39, v206, v127 :: v_dual_mul_f32 v41, v208, v129
	s_wait_loadcnt_dscnt 0x601
	v_dual_mul_f32 v19, v215, v135 :: v_dual_fmac_f32 v37, v205, v124
	s_delay_alu instid0(VALU_DEP_3) | instskip(NEXT) | instid1(VALU_DEP_3)
	v_dual_fma_f32 v23, v204, v124, -v23 :: v_dual_add_f32 v7, v7, v35
	v_dual_add_f32 v9, v9, v21 :: v_dual_fmac_f32 v39, v207, v126
	v_dual_mul_f32 v21, v217, v137 :: v_dual_fma_f32 v11, v206, v126, -v11
	s_delay_alu instid0(VALU_DEP_2) | instskip(SKIP_3) | instid1(VALU_DEP_3)
	v_dual_add_f32 v7, v7, v37 :: v_dual_add_f32 v9, v9, v23
	v_dual_mul_f32 v43, v210, v131 :: v_dual_mul_f32 v45, v212, v133
	s_wait_loadcnt_dscnt 0x500
	v_dual_mul_f32 v23, v219, v139 :: v_dual_fmac_f32 v41, v209, v128
	v_dual_fma_f32 v13, v208, v128, -v13 :: v_dual_add_f32 v7, v7, v39
	s_delay_alu instid0(VALU_DEP_3) | instskip(SKIP_1) | instid1(VALU_DEP_3)
	v_dual_add_f32 v9, v9, v11 :: v_dual_fmac_f32 v43, v211, v130
	v_dual_mul_f32 v11, v221, v141 :: v_dual_fma_f32 v15, v210, v130, -v15
	v_dual_add_f32 v7, v7, v41 :: v_dual_fmac_f32 v45, v213, v132
	s_delay_alu instid0(VALU_DEP_3) | instskip(SKIP_2) | instid1(VALU_DEP_3)
	v_dual_add_f32 v9, v9, v13 :: v_dual_fma_f32 v13, v212, v132, -v17
	v_dual_mul_f32 v47, v214, v135 :: v_dual_mul_f32 v49, v216, v137
	s_wait_loadcnt 0x4
	v_dual_add_f32 v7, v7, v43 :: v_dual_mov_b32 v96, v145
	s_delay_alu instid0(VALU_DEP_2) | instskip(NEXT) | instid1(VALU_DEP_2)
	v_dual_add_f32 v9, v9, v15 :: v_dual_fmac_f32 v47, v215, v134
	v_dual_fma_f32 v15, v214, v134, -v19 :: v_dual_add_f32 v7, v7, v45
	v_dual_mul_f32 v233, v218, v139 :: v_dual_mul_f32 v235, v220, v141
	s_delay_alu instid0(VALU_DEP_3) | instskip(NEXT) | instid1(VALU_DEP_3)
	v_dual_add_f32 v9, v9, v13 :: v_dual_fma_f32 v13, v216, v136, -v21
	v_dual_fmac_f32 v49, v217, v136 :: v_dual_add_f32 v7, v7, v47
	v_pk_mul_f32 v[94:95], v[158:159], v[142:143] op_sel:[1,1] op_sel_hi:[0,1]
	s_delay_alu instid0(VALU_DEP_3) | instskip(SKIP_3) | instid1(VALU_DEP_3)
	v_dual_add_f32 v9, v9, v15 :: v_dual_fmac_f32 v233, v219, v138
	s_wait_loadcnt 0x3
	v_dual_mov_b32 v100, v149 :: v_dual_fma_f32 v232, v218, v138, -v23
	v_dual_add_f32 v103, v7, v49 :: v_dual_fmac_f32 v235, v221, v140
	v_dual_add_f32 v102, v9, v13 :: v_dual_fma_f32 v234, v220, v140, -v11
	v_pk_fma_f32 v[104:105], v[158:159], v[142:143], v[94:95] op_sel_hi:[1,0,1]
	v_pk_mul_f32 v[96:97], v[224:225], v[96:97] op_sel_hi:[1,0]
	v_pk_fma_f32 v[94:95], v[158:159], v[142:143], v[94:95] neg_lo:[0,0,1] neg_hi:[0,0,1]
	s_delay_alu instid0(VALU_DEP_4)
	v_pk_add_f32 v[102:103], v[102:103], v[232:233]
	v_pk_mul_f32 v[98:99], v[162:163], v[146:147] op_sel:[1,1] op_sel_hi:[0,1]
	v_mov_b32_e32 v95, v105
	v_pk_fma_f32 v[104:105], v[160:161], v[144:145], v[96:97] op_sel_hi:[1,0,1]
	v_pk_fma_f32 v[96:97], v[160:161], v[144:145], v[96:97] neg_lo:[0,0,1] neg_hi:[0,0,1]
	v_pk_add_f32 v[102:103], v[102:103], v[234:235]
	v_pk_fma_f32 v[108:109], v[162:163], v[146:147], v[98:99] op_sel_hi:[1,0,1]
	v_pk_mul_f32 v[100:101], v[226:227], v[100:101] op_sel_hi:[1,0]
	v_mov_b32_e32 v97, v105
	s_wait_loadcnt 0x2
	v_pk_mul_f32 v[106:107], v[166:167], v[150:151] op_sel:[1,1] op_sel_hi:[0,1]
	v_pk_add_f32 v[94:95], v[102:103], v[94:95]
	v_mov_b32_e32 v102, v153
	v_pk_fma_f32 v[98:99], v[162:163], v[146:147], v[98:99] neg_lo:[0,0,1] neg_hi:[0,0,1]
	v_mov_b32_e32 v99, v109
	v_pk_fma_f32 v[104:105], v[164:165], v[148:149], v[100:101] op_sel_hi:[1,0,1]
	v_pk_add_f32 v[94:95], v[94:95], v[96:97]
	v_pk_fma_f32 v[96:97], v[166:167], v[150:151], v[106:107] op_sel_hi:[1,0,1]
	v_pk_mul_f32 v[102:103], v[228:229], v[102:103] op_sel_hi:[1,0]
	v_pk_fma_f32 v[100:101], v[164:165], v[148:149], v[100:101] neg_lo:[0,0,1] neg_hi:[0,0,1]
	v_mov_b32_e32 v101, v105
	v_pk_add_f32 v[94:95], v[94:95], v[98:99]
	v_pk_fma_f32 v[104:105], v[166:167], v[150:151], v[106:107] neg_lo:[0,0,1] neg_hi:[0,0,1]
	v_mov_b32_e32 v105, v97
	v_pk_fma_f32 v[96:97], v[168:169], v[152:153], v[102:103] op_sel_hi:[1,0,1]
	s_wait_loadcnt 0x1
	v_pk_mul_f32 v[98:99], v[170:171], v[154:155] op_sel:[1,1] op_sel_hi:[0,1]
	v_pk_add_f32 v[94:95], v[94:95], v[100:101]
	v_mov_b32_e32 v96, v157
	v_pk_fma_f32 v[102:103], v[168:169], v[152:153], v[102:103] neg_lo:[0,0,1] neg_hi:[0,0,1]
	v_mov_b32_e32 v103, v97
	v_pk_fma_f32 v[100:101], v[170:171], v[154:155], v[98:99] op_sel_hi:[1,0,1]
	v_pk_add_f32 v[94:95], v[94:95], v[104:105]
	v_pk_mul_f32 v[96:97], v[230:231], v[96:97] op_sel_hi:[1,0]
	v_pk_fma_f32 v[98:99], v[170:171], v[154:155], v[98:99] neg_lo:[0,0,1] neg_hi:[0,0,1]
	s_delay_alu instid0(VALU_DEP_4) | instskip(NEXT) | instid1(VALU_DEP_4)
	v_mov_b32_e32 v99, v101
	v_pk_add_f32 v[94:95], v[94:95], v[102:103]
	s_delay_alu instid0(VALU_DEP_4) | instskip(SKIP_1) | instid1(VALU_DEP_2)
	v_pk_fma_f32 v[100:101], v[172:173], v[156:157], v[96:97] op_sel_hi:[1,0,1]
	v_pk_fma_f32 v[96:97], v[172:173], v[156:157], v[96:97] neg_lo:[0,0,1] neg_hi:[0,0,1]
	v_mov_b32_e32 v97, v101
	s_delay_alu instid0(VALU_DEP_4) | instskip(NEXT) | instid1(VALU_DEP_1)
	v_pk_add_f32 v[94:95], v[94:95], v[98:99]
	v_pk_add_f32 v[94:95], v[94:95], v[96:97]
	s_wait_loadcnt 0x0
	s_delay_alu instid0(VALU_DEP_1)
	v_pk_add_f32 v[94:95], v[222:223], v[94:95] neg_lo:[0,1] neg_hi:[0,1]
	scratch_store_b64 off, v[94:95], off offset:104
	s_wait_xcnt 0x0
	v_cmpx_lt_u32_e32 12, v0
	s_cbranch_execz .LBB45_265
; %bb.264:
	scratch_load_b64 v[94:95], off, off offset:96
	v_mov_b64_e32 v[96:97], 0
	scratch_store_b64 off, v[96:97], off offset:96
	s_wait_loadcnt 0x0
	ds_store_b64 v1, v[94:95]
.LBB45_265:
	s_wait_xcnt 0x0
	s_or_b32 exec_lo, exec_lo, s0
	s_wait_storecnt_dscnt 0x0
	s_barrier_signal -1
	s_barrier_wait -1
	s_clause 0x11
	scratch_load_b128 v[94:97], off, off offset:104
	scratch_load_b128 v[98:101], off, off offset:120
	;; [unrolled: 1-line block ×16, first 2 shown]
	scratch_load_b64 v[222:223], off, off offset:360
	scratch_load_b64 v[224:225], off, off offset:96
	v_mov_b32_e32 v7, 0
	ds_load_2addr_b64 v[158:161], v7 offset0:83 offset1:84
	ds_load_2addr_b64 v[162:165], v7 offset0:85 offset1:86
	;; [unrolled: 1-line block ×16, first 2 shown]
	ds_load_b64 v[226:227], v7 offset:728
	s_mov_b32 s0, exec_lo
	s_wait_dscnt 0x10
	v_dual_mov_b32 v228, v161 :: v_dual_mov_b32 v229, v160
	s_wait_dscnt 0xd
	v_dual_mov_b32 v230, v165 :: v_dual_mov_b32 v235, v172
	v_dual_mov_b32 v231, v164 :: v_dual_mov_b32 v232, v169
	;; [unrolled: 1-line block ×3, first 2 shown]
	s_wait_loadcnt_dscnt 0x110c
	v_dual_mul_f32 v9, v174, v95 :: v_dual_mul_f32 v55, v175, v95
	v_dual_mul_f32 v57, v177, v97 :: v_dual_mul_f32 v11, v176, v97
	s_wait_loadcnt_dscnt 0x100b
	v_mul_f32_e32 v13, v178, v99
	s_wait_loadcnt_dscnt 0xe09
	v_dual_mul_f32 v67, v187, v107 :: v_dual_fma_f32 v55, v174, v94, -v55
	v_dual_fmac_f32 v9, v175, v94 :: v_dual_mul_f32 v69, v189, v109
	v_dual_mul_f32 v59, v179, v99 :: v_dual_mul_f32 v61, v181, v101
	v_dual_fmac_f32 v11, v177, v96 :: v_dual_fma_f32 v57, v176, v96, -v57
	s_delay_alu instid0(VALU_DEP_3) | instskip(SKIP_3) | instid1(VALU_DEP_3)
	v_dual_add_f32 v9, 0, v9 :: v_dual_add_f32 v55, 0, v55
	v_dual_mul_f32 v15, v180, v101 :: v_dual_mul_f32 v17, v182, v103
	s_wait_loadcnt_dscnt 0xd08
	v_dual_mul_f32 v71, v191, v111 :: v_dual_fma_f32 v59, v178, v98, -v59
	v_dual_fmac_f32 v13, v179, v98 :: v_dual_add_f32 v9, v9, v11
	s_delay_alu instid0(VALU_DEP_3) | instskip(SKIP_2) | instid1(VALU_DEP_3)
	v_dual_add_f32 v11, v55, v57 :: v_dual_fmac_f32 v15, v181, v100
	v_dual_mul_f32 v63, v183, v103 :: v_dual_mul_f32 v65, v185, v105
	v_dual_mul_f32 v55, v193, v113 :: v_dual_fma_f32 v57, v180, v100, -v61
	v_dual_add_f32 v9, v9, v13 :: v_dual_add_f32 v11, v11, v59
	v_dual_mul_f32 v19, v184, v105 :: v_dual_mul_f32 v21, v186, v107
	s_wait_loadcnt_dscnt 0xc07
	v_dual_mul_f32 v13, v195, v115 :: v_dual_fma_f32 v59, v182, v102, -v63
	s_delay_alu instid0(VALU_DEP_3) | instskip(NEXT) | instid1(VALU_DEP_3)
	v_dual_fmac_f32 v17, v183, v102 :: v_dual_add_f32 v9, v9, v15
	v_dual_add_f32 v11, v11, v57 :: v_dual_fmac_f32 v19, v185, v104
	v_dual_mul_f32 v15, v197, v117 :: v_dual_fma_f32 v57, v184, v104, -v65
	s_delay_alu instid0(VALU_DEP_2) | instskip(SKIP_3) | instid1(VALU_DEP_3)
	v_dual_add_f32 v9, v9, v17 :: v_dual_add_f32 v11, v11, v59
	v_dual_mul_f32 v23, v188, v109 :: v_dual_mul_f32 v25, v190, v111
	s_wait_loadcnt_dscnt 0xb06
	v_dual_mul_f32 v17, v199, v119 :: v_dual_fma_f32 v59, v186, v106, -v67
	v_dual_fmac_f32 v21, v187, v106 :: v_dual_add_f32 v9, v9, v19
	s_delay_alu instid0(VALU_DEP_3) | instskip(SKIP_1) | instid1(VALU_DEP_2)
	v_dual_add_f32 v11, v11, v57 :: v_dual_fmac_f32 v23, v189, v108
	v_dual_mul_f32 v19, v201, v121 :: v_dual_fma_f32 v57, v188, v108, -v69
	v_dual_add_f32 v9, v9, v21 :: v_dual_add_f32 v11, v11, v59
	v_dual_mul_f32 v27, v192, v113 :: v_dual_mul_f32 v29, v194, v115
	s_wait_loadcnt_dscnt 0xa05
	v_dual_mul_f32 v21, v203, v123 :: v_dual_fma_f32 v59, v190, v110, -v71
	s_delay_alu instid0(VALU_DEP_3) | instskip(NEXT) | instid1(VALU_DEP_3)
	v_dual_fmac_f32 v25, v191, v110 :: v_dual_add_f32 v9, v9, v23
	v_dual_add_f32 v11, v11, v57 :: v_dual_fmac_f32 v27, v193, v112
	v_dual_mul_f32 v23, v205, v125 :: v_dual_fma_f32 v55, v192, v112, -v55
	s_delay_alu instid0(VALU_DEP_2) | instskip(SKIP_3) | instid1(VALU_DEP_3)
	v_dual_add_f32 v9, v9, v25 :: v_dual_add_f32 v11, v11, v59
	v_dual_mul_f32 v31, v196, v117 :: v_dual_mul_f32 v33, v198, v119
	s_wait_loadcnt_dscnt 0x904
	v_dual_mul_f32 v25, v207, v127 :: v_dual_fma_f32 v13, v194, v114, -v13
	v_dual_fmac_f32 v29, v195, v114 :: v_dual_add_f32 v9, v9, v27
	v_dual_add_f32 v11, v11, v55 :: v_dual_mul_f32 v27, v209, v129
	v_fmac_f32_e32 v31, v197, v116
	s_delay_alu instid0(VALU_DEP_3) | instskip(NEXT) | instid1(VALU_DEP_3)
	v_dual_fma_f32 v15, v196, v116, -v15 :: v_dual_add_f32 v9, v9, v29
	v_add_f32_e32 v11, v11, v13
	v_dual_mul_f32 v35, v200, v121 :: v_dual_mul_f32 v37, v202, v123
	s_wait_loadcnt_dscnt 0x803
	v_dual_mul_f32 v13, v211, v131 :: v_dual_fma_f32 v17, v198, v118, -v17
	v_dual_fmac_f32 v33, v199, v118 :: v_dual_add_f32 v9, v9, v31
	v_dual_add_f32 v11, v11, v15 :: v_dual_mul_f32 v15, v213, v133
	v_fmac_f32_e32 v35, v201, v120
	s_delay_alu instid0(VALU_DEP_3) | instskip(NEXT) | instid1(VALU_DEP_3)
	v_dual_fma_f32 v19, v200, v120, -v19 :: v_dual_add_f32 v9, v9, v33
	v_add_f32_e32 v11, v11, v17
	;; [unrolled: 9-line block ×4, first 2 shown]
	v_dual_mul_f32 v47, v212, v133 :: v_dual_mul_f32 v49, v214, v135
	s_wait_loadcnt 0x5
	v_dual_mul_f32 v25, v159, v143 :: v_dual_fma_f32 v13, v210, v130, -v13
	v_dual_fmac_f32 v45, v211, v130 :: v_dual_add_f32 v9, v9, v43
	v_dual_add_f32 v11, v11, v27 :: v_dual_mov_b32 v94, v145
	v_fmac_f32_e32 v47, v213, v132
	s_delay_alu instid0(VALU_DEP_3) | instskip(NEXT) | instid1(VALU_DEP_3)
	v_dual_fma_f32 v15, v212, v132, -v15 :: v_dual_add_f32 v9, v9, v45
	v_add_f32_e32 v11, v11, v13
	v_dual_mul_f32 v51, v216, v137 :: v_dual_mul_f32 v53, v218, v139
	s_delay_alu instid0(VALU_DEP_3) | instskip(NEXT) | instid1(VALU_DEP_3)
	v_dual_fmac_f32 v49, v215, v134 :: v_dual_add_f32 v9, v9, v47
	v_dual_fma_f32 v13, v214, v134, -v17 :: v_dual_add_f32 v11, v11, v15
	s_wait_loadcnt 0x4
	v_dual_mov_b32 v98, v149 :: v_dual_fma_f32 v15, v216, v136, -v19
	v_fmac_f32_e32 v51, v217, v136
	v_dual_add_f32 v9, v9, v49 :: v_dual_fmac_f32 v53, v219, v138
	v_add_f32_e32 v11, v11, v13
	v_dual_mul_f32 v237, v220, v141 :: v_dual_mul_f32 v239, v158, v143
	s_delay_alu instid0(VALU_DEP_3) | instskip(NEXT) | instid1(VALU_DEP_2)
	v_dual_fma_f32 v13, v218, v138, -v21 :: v_dual_add_f32 v9, v9, v51
	v_dual_add_f32 v11, v11, v15 :: v_dual_fmac_f32 v237, v221, v140
	v_fma_f32 v236, v220, v140, -v23
	v_pk_mul_f32 v[94:95], v[228:229], v[94:95] op_sel_hi:[1,0]
	s_delay_alu instid0(VALU_DEP_4)
	v_add_f32_e32 v103, v9, v53
	s_wait_loadcnt 0x3
	v_dual_add_f32 v102, v11, v13 :: v_dual_mov_b32 v104, v153
	v_pk_mul_f32 v[96:97], v[162:163], v[146:147] op_sel:[1,1] op_sel_hi:[0,1]
	v_dual_fmac_f32 v239, v159, v142 :: v_dual_fma_f32 v238, v158, v142, -v25
	v_pk_fma_f32 v[106:107], v[160:161], v[144:145], v[94:95] op_sel_hi:[1,0,1]
	s_delay_alu instid0(VALU_DEP_4)
	v_pk_add_f32 v[102:103], v[102:103], v[236:237]
	v_pk_fma_f32 v[94:95], v[160:161], v[144:145], v[94:95] neg_lo:[0,0,1] neg_hi:[0,0,1]
	v_pk_fma_f32 v[108:109], v[162:163], v[146:147], v[96:97] op_sel_hi:[1,0,1]
	v_pk_mul_f32 v[98:99], v[230:231], v[98:99] op_sel_hi:[1,0]
	v_mov_b32_e32 v95, v107
	v_pk_add_f32 v[102:103], v[102:103], v[238:239]
	v_pk_fma_f32 v[96:97], v[162:163], v[146:147], v[96:97] neg_lo:[0,0,1] neg_hi:[0,0,1]
	v_pk_mul_f32 v[100:101], v[166:167], v[150:151] op_sel:[1,1] op_sel_hi:[0,1]
	v_mov_b32_e32 v97, v109
	v_pk_fma_f32 v[108:109], v[164:165], v[148:149], v[98:99] op_sel_hi:[1,0,1]
	v_pk_add_f32 v[94:95], v[102:103], v[94:95]
	v_pk_fma_f32 v[98:99], v[164:165], v[148:149], v[98:99] neg_lo:[0,0,1] neg_hi:[0,0,1]
	v_pk_fma_f32 v[102:103], v[166:167], v[150:151], v[100:101] op_sel_hi:[1,0,1]
	v_pk_mul_f32 v[104:105], v[232:233], v[104:105] op_sel_hi:[1,0]
	v_mov_b32_e32 v99, v109
	v_pk_add_f32 v[94:95], v[94:95], v[96:97]
	v_pk_fma_f32 v[100:101], v[166:167], v[150:151], v[100:101] neg_lo:[0,0,1] neg_hi:[0,0,1]
	s_wait_loadcnt 0x2
	v_pk_mul_f32 v[106:107], v[170:171], v[154:155] op_sel:[1,1] op_sel_hi:[0,1]
	v_dual_mov_b32 v96, v157 :: v_dual_mov_b32 v101, v103
	v_pk_fma_f32 v[102:103], v[168:169], v[152:153], v[104:105] op_sel_hi:[1,0,1]
	v_pk_add_f32 v[94:95], v[94:95], v[98:99]
	v_pk_fma_f32 v[104:105], v[168:169], v[152:153], v[104:105] neg_lo:[0,0,1] neg_hi:[0,0,1]
	v_pk_fma_f32 v[98:99], v[170:171], v[154:155], v[106:107] op_sel_hi:[1,0,1]
	v_pk_mul_f32 v[96:97], v[234:235], v[96:97] op_sel_hi:[1,0]
	v_mov_b32_e32 v105, v103
	v_pk_add_f32 v[94:95], v[94:95], v[100:101]
	v_pk_fma_f32 v[100:101], v[170:171], v[154:155], v[106:107] neg_lo:[0,0,1] neg_hi:[0,0,1]
	v_mov_b32_e32 v101, v99
	v_pk_fma_f32 v[98:99], v[172:173], v[156:157], v[96:97] op_sel_hi:[1,0,1]
	s_wait_loadcnt_dscnt 0x100
	v_pk_mul_f32 v[102:103], v[226:227], v[222:223] op_sel:[1,1] op_sel_hi:[0,1]
	v_pk_add_f32 v[94:95], v[94:95], v[104:105]
	v_pk_fma_f32 v[96:97], v[172:173], v[156:157], v[96:97] neg_lo:[0,0,1] neg_hi:[0,0,1]
	v_mov_b32_e32 v97, v99
	s_delay_alu instid0(VALU_DEP_4) | instskip(NEXT) | instid1(VALU_DEP_4)
	v_pk_fma_f32 v[98:99], v[226:227], v[222:223], v[102:103] op_sel_hi:[1,0,1]
	v_pk_add_f32 v[94:95], v[94:95], v[100:101]
	v_pk_fma_f32 v[100:101], v[226:227], v[222:223], v[102:103] neg_lo:[0,0,1] neg_hi:[0,0,1]
	s_delay_alu instid0(VALU_DEP_3) | instskip(NEXT) | instid1(VALU_DEP_3)
	v_mov_b32_e32 v101, v99
	v_pk_add_f32 v[94:95], v[94:95], v[96:97]
	s_delay_alu instid0(VALU_DEP_1) | instskip(SKIP_1) | instid1(VALU_DEP_1)
	v_pk_add_f32 v[94:95], v[94:95], v[100:101]
	s_wait_loadcnt 0x0
	v_pk_add_f32 v[94:95], v[224:225], v[94:95] neg_lo:[0,1] neg_hi:[0,1]
	scratch_store_b64 off, v[94:95], off offset:96
	s_wait_xcnt 0x0
	v_cmpx_lt_u32_e32 11, v0
	s_cbranch_execz .LBB45_267
; %bb.266:
	scratch_load_b64 v[94:95], off, off offset:88
	v_mov_b64_e32 v[96:97], 0
	scratch_store_b64 off, v[96:97], off offset:88
	s_wait_loadcnt 0x0
	ds_store_b64 v1, v[94:95]
.LBB45_267:
	s_wait_xcnt 0x0
	s_or_b32 exec_lo, exec_lo, s0
	s_wait_storecnt_dscnt 0x0
	s_barrier_signal -1
	s_barrier_wait -1
	s_clause 0x11
	scratch_load_b128 v[94:97], off, off offset:96
	scratch_load_b128 v[98:101], off, off offset:112
	;; [unrolled: 1-line block ×17, first 2 shown]
	scratch_load_b64 v[230:231], off, off offset:88
	ds_load_b128 v[162:165], v7 offset:672
	ds_load_b128 v[166:169], v7 offset:688
	;; [unrolled: 1-line block ×17, first 2 shown]
	s_mov_b32 s0, exec_lo
	s_wait_dscnt 0x10
	v_dual_mov_b32 v232, v165 :: v_dual_mov_b32 v233, v164
	s_wait_dscnt 0xf
	v_dual_mov_b32 v234, v169 :: v_dual_mov_b32 v235, v168
	;; [unrolled: 2-line block ×4, first 2 shown]
	s_wait_loadcnt_dscnt 0x110b
	v_dual_mul_f32 v7, v182, v95 :: v_dual_mul_f32 v9, v184, v97
	v_dual_mul_f32 v55, v183, v95 :: v_dual_mul_f32 v57, v185, v97
	s_wait_loadcnt_dscnt 0x100a
	v_dual_mul_f32 v11, v186, v99 :: v_dual_mul_f32 v13, v188, v101
	s_delay_alu instid0(VALU_DEP_3) | instskip(SKIP_3) | instid1(VALU_DEP_3)
	v_dual_fmac_f32 v7, v183, v94 :: v_dual_fmac_f32 v9, v185, v96
	s_wait_loadcnt_dscnt 0xe08
	v_dual_fma_f32 v55, v182, v94, -v55 :: v_dual_mul_f32 v67, v195, v107
	v_dual_mul_f32 v59, v187, v99 :: v_dual_mul_f32 v61, v189, v101
	v_dual_fma_f32 v57, v184, v96, -v57 :: v_dual_add_f32 v7, 0, v7
	s_delay_alu instid0(VALU_DEP_3) | instskip(SKIP_1) | instid1(VALU_DEP_3)
	v_dual_add_f32 v55, 0, v55 :: v_dual_mul_f32 v69, v197, v109
	v_dual_fmac_f32 v11, v187, v98 :: v_dual_fmac_f32 v13, v189, v100
	v_dual_fma_f32 v59, v186, v98, -v59 :: v_dual_add_f32 v7, v7, v9
	s_delay_alu instid0(VALU_DEP_3) | instskip(SKIP_2) | instid1(VALU_DEP_4)
	v_dual_add_f32 v9, v55, v57 :: v_dual_fma_f32 v57, v188, v100, -v61
	v_dual_mul_f32 v15, v190, v103 :: v_dual_mul_f32 v17, v192, v105
	v_dual_mul_f32 v63, v191, v103 :: v_dual_mul_f32 v65, v193, v105
	v_add_f32_e32 v7, v7, v11
	s_delay_alu instid0(VALU_DEP_3) | instskip(NEXT) | instid1(VALU_DEP_3)
	v_dual_add_f32 v9, v9, v59 :: v_dual_fmac_f32 v15, v191, v102
	v_fma_f32 v59, v190, v102, -v63
	v_dual_mul_f32 v19, v194, v107 :: v_dual_mul_f32 v21, v196, v109
	s_delay_alu instid0(VALU_DEP_4) | instskip(SKIP_2) | instid1(VALU_DEP_2)
	v_dual_add_f32 v7, v7, v13 :: v_dual_fmac_f32 v17, v193, v104
	s_wait_loadcnt_dscnt 0xc06
	v_dual_add_f32 v9, v9, v57 :: v_dual_mul_f32 v13, v203, v115
	v_dual_fma_f32 v57, v192, v104, -v65 :: v_dual_add_f32 v7, v7, v15
	v_mul_f32_e32 v15, v205, v117
	s_delay_alu instid0(VALU_DEP_3) | instskip(NEXT) | instid1(VALU_DEP_3)
	v_dual_add_f32 v9, v9, v59 :: v_dual_fmac_f32 v19, v195, v106
	v_dual_fma_f32 v59, v194, v106, -v67 :: v_dual_add_f32 v7, v7, v17
	v_fmac_f32_e32 v21, v197, v108
	s_wait_loadcnt_dscnt 0xb05
	s_delay_alu instid0(VALU_DEP_3) | instskip(SKIP_3) | instid1(VALU_DEP_3)
	v_dual_add_f32 v9, v9, v57 :: v_dual_mul_f32 v17, v207, v119
	v_dual_mul_f32 v23, v198, v111 :: v_dual_mul_f32 v25, v200, v113
	v_dual_mul_f32 v55, v199, v111 :: v_dual_mul_f32 v11, v201, v113
	v_dual_fma_f32 v57, v196, v108, -v69 :: v_dual_add_f32 v7, v7, v19
	v_dual_add_f32 v9, v9, v59 :: v_dual_fmac_f32 v23, v199, v110
	s_delay_alu instid0(VALU_DEP_3) | instskip(NEXT) | instid1(VALU_DEP_3)
	v_dual_mul_f32 v19, v209, v121 :: v_dual_fma_f32 v55, v198, v110, -v55
	v_dual_add_f32 v7, v7, v21 :: v_dual_fmac_f32 v25, v201, v112
	s_wait_loadcnt_dscnt 0xa04
	s_delay_alu instid0(VALU_DEP_3) | instskip(SKIP_1) | instid1(VALU_DEP_3)
	v_dual_add_f32 v9, v9, v57 :: v_dual_mul_f32 v21, v211, v123
	v_dual_mul_f32 v27, v202, v115 :: v_dual_mul_f32 v29, v204, v117
	v_dual_fma_f32 v11, v200, v112, -v11 :: v_dual_add_f32 v7, v7, v23
	s_delay_alu instid0(VALU_DEP_2) | instskip(SKIP_1) | instid1(VALU_DEP_2)
	v_dual_add_f32 v9, v9, v55 :: v_dual_fmac_f32 v27, v203, v114
	v_dual_mul_f32 v23, v213, v125 :: v_dual_fma_f32 v13, v202, v114, -v13
	v_dual_add_f32 v7, v7, v25 :: v_dual_add_f32 v9, v9, v11
	v_dual_mul_f32 v31, v206, v119 :: v_dual_mul_f32 v33, v208, v121
	s_wait_loadcnt_dscnt 0x903
	v_dual_mul_f32 v11, v215, v127 :: v_dual_fmac_f32 v29, v205, v116
	s_delay_alu instid0(VALU_DEP_3) | instskip(NEXT) | instid1(VALU_DEP_3)
	v_dual_fma_f32 v15, v204, v116, -v15 :: v_dual_add_f32 v7, v7, v27
	v_dual_add_f32 v9, v9, v13 :: v_dual_fmac_f32 v31, v207, v118
	v_dual_mul_f32 v13, v217, v129 :: v_dual_fma_f32 v17, v206, v118, -v17
	s_delay_alu instid0(VALU_DEP_2) | instskip(SKIP_3) | instid1(VALU_DEP_3)
	v_dual_add_f32 v7, v7, v29 :: v_dual_add_f32 v9, v9, v15
	v_dual_mul_f32 v35, v210, v123 :: v_dual_mul_f32 v37, v212, v125
	s_wait_loadcnt_dscnt 0x802
	v_dual_mul_f32 v15, v219, v131 :: v_dual_fmac_f32 v33, v209, v120
	v_dual_fma_f32 v19, v208, v120, -v19 :: v_dual_add_f32 v7, v7, v31
	s_delay_alu instid0(VALU_DEP_3) | instskip(SKIP_1) | instid1(VALU_DEP_2)
	v_dual_add_f32 v9, v9, v17 :: v_dual_fmac_f32 v35, v211, v122
	v_dual_mul_f32 v17, v221, v133 :: v_dual_fma_f32 v21, v210, v122, -v21
	v_dual_add_f32 v7, v7, v33 :: v_dual_add_f32 v9, v9, v19
	v_dual_mul_f32 v39, v214, v127 :: v_dual_mul_f32 v41, v216, v129
	s_wait_loadcnt_dscnt 0x701
	v_dual_mul_f32 v19, v223, v135 :: v_dual_fmac_f32 v37, v213, v124
	s_delay_alu instid0(VALU_DEP_3) | instskip(NEXT) | instid1(VALU_DEP_3)
	v_dual_fma_f32 v23, v212, v124, -v23 :: v_dual_add_f32 v7, v7, v35
	v_dual_add_f32 v9, v9, v21 :: v_dual_fmac_f32 v39, v215, v126
	v_dual_mul_f32 v21, v225, v137 :: v_dual_fma_f32 v11, v214, v126, -v11
	s_delay_alu instid0(VALU_DEP_2) | instskip(SKIP_3) | instid1(VALU_DEP_3)
	v_dual_add_f32 v7, v7, v37 :: v_dual_add_f32 v9, v9, v23
	v_dual_mul_f32 v43, v218, v131 :: v_dual_mul_f32 v45, v220, v133
	s_wait_loadcnt_dscnt 0x600
	v_dual_mul_f32 v23, v227, v139 :: v_dual_fmac_f32 v41, v217, v128
	v_dual_fma_f32 v13, v216, v128, -v13 :: v_dual_add_f32 v7, v7, v39
	s_delay_alu instid0(VALU_DEP_3) | instskip(SKIP_1) | instid1(VALU_DEP_3)
	v_dual_add_f32 v9, v9, v11 :: v_dual_fmac_f32 v43, v219, v130
	v_dual_mul_f32 v11, v229, v141 :: v_dual_fma_f32 v15, v218, v130, -v15
	v_dual_add_f32 v7, v7, v41 :: v_dual_fmac_f32 v45, v221, v132
	s_wait_loadcnt 0x5
	s_delay_alu instid0(VALU_DEP_3) | instskip(SKIP_1) | instid1(VALU_DEP_3)
	v_dual_add_f32 v9, v9, v13 :: v_dual_mul_f32 v13, v179, v143
	v_dual_mul_f32 v47, v222, v135 :: v_dual_mul_f32 v49, v224, v137
	v_dual_fma_f32 v17, v220, v132, -v17 :: v_dual_add_f32 v7, v7, v43
	s_delay_alu instid0(VALU_DEP_2) | instskip(SKIP_1) | instid1(VALU_DEP_3)
	v_dual_add_f32 v9, v9, v15 :: v_dual_fmac_f32 v47, v223, v134
	v_dual_mul_f32 v15, v181, v145 :: v_dual_fma_f32 v19, v222, v134, -v19
	v_dual_add_f32 v7, v7, v45 :: v_dual_fmac_f32 v49, v225, v136
	s_delay_alu instid0(VALU_DEP_3) | instskip(SKIP_2) | instid1(VALU_DEP_3)
	v_dual_add_f32 v9, v9, v17 :: v_dual_fma_f32 v17, v224, v136, -v21
	v_dual_mul_f32 v51, v226, v139 :: v_dual_mul_f32 v53, v228, v141
	s_wait_loadcnt 0x4
	v_dual_add_f32 v7, v7, v47 :: v_dual_mov_b32 v96, v149
	s_delay_alu instid0(VALU_DEP_2) | instskip(NEXT) | instid1(VALU_DEP_2)
	v_dual_add_f32 v9, v9, v19 :: v_dual_fmac_f32 v51, v227, v138
	v_dual_fma_f32 v19, v226, v138, -v23 :: v_dual_add_f32 v7, v7, v49
	v_dual_mul_f32 v241, v178, v143 :: v_dual_mul_f32 v243, v180, v145
	s_delay_alu instid0(VALU_DEP_3) | instskip(NEXT) | instid1(VALU_DEP_3)
	v_dual_add_f32 v9, v9, v17 :: v_dual_fma_f32 v11, v228, v140, -v11
	v_dual_fmac_f32 v53, v229, v140 :: v_dual_add_f32 v7, v7, v51
	v_pk_mul_f32 v[94:95], v[162:163], v[146:147] op_sel:[1,1] op_sel_hi:[0,1]
	s_delay_alu instid0(VALU_DEP_3) | instskip(SKIP_2) | instid1(VALU_DEP_2)
	v_dual_add_f32 v9, v9, v19 :: v_dual_fmac_f32 v241, v179, v142
	s_wait_loadcnt 0x3
	v_dual_mov_b32 v100, v153 :: v_dual_fma_f32 v240, v178, v142, -v13
	v_dual_add_f32 v103, v7, v53 :: v_dual_add_f32 v102, v9, v11
	v_fmac_f32_e32 v243, v181, v144
	v_pk_fma_f32 v[104:105], v[162:163], v[146:147], v[94:95] op_sel_hi:[1,0,1]
	v_fma_f32 v242, v180, v144, -v15
	v_pk_mul_f32 v[96:97], v[232:233], v[96:97] op_sel_hi:[1,0]
	v_pk_add_f32 v[102:103], v[102:103], v[240:241]
	v_pk_fma_f32 v[94:95], v[162:163], v[146:147], v[94:95] neg_lo:[0,0,1] neg_hi:[0,0,1]
	v_pk_mul_f32 v[98:99], v[166:167], v[150:151] op_sel:[1,1] op_sel_hi:[0,1]
	v_mov_b32_e32 v95, v105
	v_pk_fma_f32 v[104:105], v[164:165], v[148:149], v[96:97] op_sel_hi:[1,0,1]
	v_pk_add_f32 v[102:103], v[102:103], v[242:243]
	v_pk_fma_f32 v[96:97], v[164:165], v[148:149], v[96:97] neg_lo:[0,0,1] neg_hi:[0,0,1]
	v_pk_fma_f32 v[108:109], v[166:167], v[150:151], v[98:99] op_sel_hi:[1,0,1]
	v_pk_mul_f32 v[100:101], v[234:235], v[100:101] op_sel_hi:[1,0]
	v_mov_b32_e32 v97, v105
	v_pk_add_f32 v[94:95], v[102:103], v[94:95]
	s_wait_loadcnt 0x2
	v_pk_mul_f32 v[106:107], v[170:171], v[154:155] op_sel:[1,1] op_sel_hi:[0,1]
	v_mov_b32_e32 v102, v157
	v_pk_fma_f32 v[98:99], v[166:167], v[150:151], v[98:99] neg_lo:[0,0,1] neg_hi:[0,0,1]
	v_pk_fma_f32 v[104:105], v[168:169], v[152:153], v[100:101] op_sel_hi:[1,0,1]
	v_mov_b32_e32 v99, v109
	v_pk_add_f32 v[94:95], v[94:95], v[96:97]
	v_pk_fma_f32 v[96:97], v[170:171], v[154:155], v[106:107] op_sel_hi:[1,0,1]
	v_pk_mul_f32 v[102:103], v[236:237], v[102:103] op_sel_hi:[1,0]
	v_pk_fma_f32 v[100:101], v[168:169], v[152:153], v[100:101] neg_lo:[0,0,1] neg_hi:[0,0,1]
	v_mov_b32_e32 v101, v105
	v_pk_add_f32 v[94:95], v[94:95], v[98:99]
	v_pk_fma_f32 v[104:105], v[170:171], v[154:155], v[106:107] neg_lo:[0,0,1] neg_hi:[0,0,1]
	v_mov_b32_e32 v105, v97
	v_pk_fma_f32 v[96:97], v[172:173], v[156:157], v[102:103] op_sel_hi:[1,0,1]
	s_wait_loadcnt 0x1
	v_pk_mul_f32 v[98:99], v[174:175], v[158:159] op_sel:[1,1] op_sel_hi:[0,1]
	v_pk_add_f32 v[94:95], v[94:95], v[100:101]
	v_mov_b32_e32 v96, v161
	v_pk_fma_f32 v[102:103], v[172:173], v[156:157], v[102:103] neg_lo:[0,0,1] neg_hi:[0,0,1]
	s_delay_alu instid0(VALU_DEP_4)
	v_pk_fma_f32 v[100:101], v[174:175], v[158:159], v[98:99] op_sel_hi:[1,0,1]
	v_mov_b32_e32 v103, v97
	v_pk_add_f32 v[94:95], v[94:95], v[104:105]
	v_pk_mul_f32 v[96:97], v[238:239], v[96:97] op_sel_hi:[1,0]
	v_pk_fma_f32 v[98:99], v[174:175], v[158:159], v[98:99] neg_lo:[0,0,1] neg_hi:[0,0,1]
	v_mov_b32_e32 v99, v101
	s_delay_alu instid0(VALU_DEP_4) | instskip(NEXT) | instid1(VALU_DEP_4)
	v_pk_add_f32 v[94:95], v[94:95], v[102:103]
	v_pk_fma_f32 v[100:101], v[176:177], v[160:161], v[96:97] op_sel_hi:[1,0,1]
	v_pk_fma_f32 v[96:97], v[176:177], v[160:161], v[96:97] neg_lo:[0,0,1] neg_hi:[0,0,1]
	s_delay_alu instid0(VALU_DEP_3) | instskip(NEXT) | instid1(VALU_DEP_3)
	v_pk_add_f32 v[94:95], v[94:95], v[98:99]
	v_mov_b32_e32 v97, v101
	s_delay_alu instid0(VALU_DEP_1) | instskip(SKIP_1) | instid1(VALU_DEP_1)
	v_pk_add_f32 v[94:95], v[94:95], v[96:97]
	s_wait_loadcnt 0x0
	v_pk_add_f32 v[94:95], v[230:231], v[94:95] neg_lo:[0,1] neg_hi:[0,1]
	scratch_store_b64 off, v[94:95], off offset:88
	s_wait_xcnt 0x0
	v_cmpx_lt_u32_e32 10, v0
	s_cbranch_execz .LBB45_269
; %bb.268:
	scratch_load_b64 v[94:95], off, off offset:80
	v_mov_b64_e32 v[96:97], 0
	scratch_store_b64 off, v[96:97], off offset:80
	s_wait_loadcnt 0x0
	ds_store_b64 v1, v[94:95]
.LBB45_269:
	s_wait_xcnt 0x0
	s_or_b32 exec_lo, exec_lo, s0
	s_wait_storecnt_dscnt 0x0
	s_barrier_signal -1
	s_barrier_wait -1
	s_clause 0x12
	scratch_load_b128 v[94:97], off, off offset:88
	scratch_load_b128 v[98:101], off, off offset:104
	;; [unrolled: 1-line block ×17, first 2 shown]
	scratch_load_b64 v[230:231], off, off offset:360
	scratch_load_b64 v[232:233], off, off offset:80
	v_mov_b32_e32 v7, 0
	ds_load_2addr_b64 v[162:165], v7 offset0:83 offset1:84
	ds_load_2addr_b64 v[166:169], v7 offset0:85 offset1:86
	;; [unrolled: 1-line block ×17, first 2 shown]
	ds_load_b64 v[234:235], v7 offset:728
	s_mov_b32 s0, exec_lo
	s_wait_dscnt 0x11
	v_dual_mov_b32 v236, v165 :: v_dual_mov_b32 v237, v164
	s_wait_dscnt 0x10
	v_dual_mov_b32 v238, v169 :: v_dual_mov_b32 v239, v168
	;; [unrolled: 2-line block ×3, first 2 shown]
	v_dual_mov_b32 v241, v172 :: v_dual_mov_b32 v242, v181
	s_wait_loadcnt_dscnt 0x120c
	v_dual_mul_f32 v9, v182, v95 :: v_dual_mul_f32 v59, v183, v95
	v_dual_mul_f32 v61, v185, v97 :: v_dual_mul_f32 v11, v184, v97
	s_wait_loadcnt_dscnt 0x110b
	v_mul_f32_e32 v13, v186, v99
	s_wait_loadcnt_dscnt 0xf09
	v_dual_mul_f32 v71, v195, v107 :: v_dual_fma_f32 v59, v182, v94, -v59
	v_dual_fmac_f32 v9, v183, v94 :: v_dual_mul_f32 v73, v197, v109
	v_dual_mul_f32 v63, v187, v99 :: v_dual_mul_f32 v65, v189, v101
	v_dual_fmac_f32 v11, v185, v96 :: v_dual_fma_f32 v61, v184, v96, -v61
	s_delay_alu instid0(VALU_DEP_3) | instskip(SKIP_3) | instid1(VALU_DEP_3)
	v_dual_add_f32 v9, 0, v9 :: v_dual_add_f32 v59, 0, v59
	v_dual_mul_f32 v15, v188, v101 :: v_dual_mul_f32 v17, v190, v103
	s_wait_loadcnt_dscnt 0xe08
	v_dual_mul_f32 v75, v199, v111 :: v_dual_fma_f32 v63, v186, v98, -v63
	v_dual_fmac_f32 v13, v187, v98 :: v_dual_add_f32 v9, v9, v11
	s_delay_alu instid0(VALU_DEP_3) | instskip(SKIP_2) | instid1(VALU_DEP_3)
	v_dual_add_f32 v11, v59, v61 :: v_dual_fmac_f32 v15, v189, v100
	v_dual_mul_f32 v67, v191, v103 :: v_dual_mul_f32 v69, v193, v105
	v_dual_mul_f32 v59, v201, v113 :: v_dual_fma_f32 v61, v188, v100, -v65
	v_dual_add_f32 v9, v9, v13 :: v_dual_add_f32 v11, v11, v63
	v_dual_mul_f32 v19, v192, v105 :: v_dual_mul_f32 v21, v194, v107
	s_wait_loadcnt_dscnt 0xd07
	v_dual_mul_f32 v13, v203, v115 :: v_dual_fma_f32 v63, v190, v102, -v67
	s_delay_alu instid0(VALU_DEP_3) | instskip(NEXT) | instid1(VALU_DEP_3)
	v_dual_fmac_f32 v17, v191, v102 :: v_dual_add_f32 v9, v9, v15
	v_dual_add_f32 v11, v11, v61 :: v_dual_fmac_f32 v19, v193, v104
	v_dual_mul_f32 v15, v205, v117 :: v_dual_fma_f32 v61, v192, v104, -v69
	s_delay_alu instid0(VALU_DEP_2) | instskip(SKIP_3) | instid1(VALU_DEP_3)
	v_dual_add_f32 v9, v9, v17 :: v_dual_add_f32 v11, v11, v63
	v_dual_mul_f32 v23, v196, v109 :: v_dual_mul_f32 v25, v198, v111
	s_wait_loadcnt_dscnt 0xc06
	v_dual_mul_f32 v17, v207, v119 :: v_dual_fma_f32 v63, v194, v106, -v71
	v_dual_fmac_f32 v21, v195, v106 :: v_dual_add_f32 v9, v9, v19
	s_delay_alu instid0(VALU_DEP_3) | instskip(SKIP_1) | instid1(VALU_DEP_2)
	v_dual_add_f32 v11, v11, v61 :: v_dual_fmac_f32 v23, v197, v108
	v_dual_mul_f32 v19, v209, v121 :: v_dual_fma_f32 v61, v196, v108, -v73
	v_dual_add_f32 v9, v9, v21 :: v_dual_add_f32 v11, v11, v63
	v_dual_mul_f32 v27, v200, v113 :: v_dual_mul_f32 v29, v202, v115
	s_wait_loadcnt_dscnt 0xb05
	v_dual_mul_f32 v21, v211, v123 :: v_dual_fma_f32 v63, v198, v110, -v75
	s_delay_alu instid0(VALU_DEP_3) | instskip(NEXT) | instid1(VALU_DEP_3)
	v_dual_fmac_f32 v25, v199, v110 :: v_dual_add_f32 v9, v9, v23
	v_dual_add_f32 v11, v11, v61 :: v_dual_fmac_f32 v27, v201, v112
	v_dual_mul_f32 v23, v213, v125 :: v_dual_fma_f32 v59, v200, v112, -v59
	s_delay_alu instid0(VALU_DEP_2) | instskip(SKIP_3) | instid1(VALU_DEP_3)
	v_dual_add_f32 v9, v9, v25 :: v_dual_add_f32 v11, v11, v63
	v_dual_mul_f32 v31, v204, v117 :: v_dual_mul_f32 v33, v206, v119
	s_wait_loadcnt_dscnt 0xa04
	v_dual_mul_f32 v25, v215, v127 :: v_dual_fma_f32 v13, v202, v114, -v13
	v_dual_fmac_f32 v29, v203, v114 :: v_dual_add_f32 v9, v9, v27
	v_dual_add_f32 v11, v11, v59 :: v_dual_mul_f32 v27, v217, v129
	v_fmac_f32_e32 v31, v205, v116
	s_delay_alu instid0(VALU_DEP_3) | instskip(NEXT) | instid1(VALU_DEP_3)
	v_dual_fma_f32 v15, v204, v116, -v15 :: v_dual_add_f32 v9, v9, v29
	v_add_f32_e32 v11, v11, v13
	v_dual_mul_f32 v35, v208, v121 :: v_dual_mul_f32 v37, v210, v123
	s_wait_loadcnt_dscnt 0x903
	v_dual_mul_f32 v13, v219, v131 :: v_dual_fma_f32 v17, v206, v118, -v17
	v_dual_fmac_f32 v33, v207, v118 :: v_dual_add_f32 v9, v9, v31
	v_dual_add_f32 v11, v11, v15 :: v_dual_mul_f32 v15, v221, v133
	v_fmac_f32_e32 v35, v209, v120
	s_delay_alu instid0(VALU_DEP_3) | instskip(NEXT) | instid1(VALU_DEP_3)
	v_dual_fma_f32 v19, v208, v120, -v19 :: v_dual_add_f32 v9, v9, v33
	v_add_f32_e32 v11, v11, v17
	;; [unrolled: 9-line block ×4, first 2 shown]
	v_dual_mul_f32 v47, v220, v133 :: v_dual_mul_f32 v49, v222, v135
	s_wait_loadcnt 0x6
	v_dual_mul_f32 v25, v175, v143 :: v_dual_fma_f32 v13, v218, v130, -v13
	v_dual_fmac_f32 v45, v219, v130 :: v_dual_add_f32 v9, v9, v43
	v_dual_add_f32 v11, v11, v27 :: v_dual_mul_f32 v27, v177, v145
	v_fmac_f32_e32 v47, v221, v132
	s_delay_alu instid0(VALU_DEP_3) | instskip(NEXT) | instid1(VALU_DEP_3)
	v_dual_fma_f32 v15, v220, v132, -v15 :: v_dual_add_f32 v9, v9, v45
	v_add_f32_e32 v11, v11, v13
	v_dual_mul_f32 v51, v224, v137 :: v_dual_mul_f32 v53, v226, v139
	s_wait_loadcnt 0x5
	v_dual_mul_f32 v13, v163, v147 :: v_dual_fma_f32 v17, v222, v134, -v17
	v_dual_fmac_f32 v49, v223, v134 :: v_dual_add_f32 v9, v9, v47
	v_dual_add_f32 v11, v11, v15 :: v_dual_mov_b32 v94, v149
	v_fmac_f32_e32 v51, v225, v136
	s_delay_alu instid0(VALU_DEP_3) | instskip(NEXT) | instid1(VALU_DEP_3)
	v_dual_fma_f32 v15, v224, v136, -v19 :: v_dual_add_f32 v9, v9, v49
	v_add_f32_e32 v11, v11, v17
	v_dual_mul_f32 v55, v228, v141 :: v_dual_mul_f32 v57, v174, v143
	s_delay_alu instid0(VALU_DEP_3) | instskip(NEXT) | instid1(VALU_DEP_3)
	v_dual_fmac_f32 v53, v227, v138 :: v_dual_add_f32 v9, v9, v51
	v_dual_fma_f32 v17, v226, v138, -v21 :: v_dual_add_f32 v11, v11, v15
	s_wait_loadcnt 0x4
	v_dual_mov_b32 v98, v153 :: v_dual_fma_f32 v15, v228, v140, -v23
	v_fmac_f32_e32 v55, v229, v140
	v_dual_add_f32 v9, v9, v53 :: v_dual_fmac_f32 v57, v175, v142
	v_add_f32_e32 v11, v11, v17
	v_dual_mul_f32 v245, v176, v145 :: v_dual_mul_f32 v247, v162, v147
	s_delay_alu instid0(VALU_DEP_3) | instskip(NEXT) | instid1(VALU_DEP_2)
	v_dual_fma_f32 v17, v174, v142, -v25 :: v_dual_add_f32 v9, v9, v55
	v_dual_add_f32 v11, v11, v15 :: v_dual_fmac_f32 v245, v177, v144
	v_fma_f32 v244, v176, v144, -v27
	v_pk_mul_f32 v[94:95], v[236:237], v[94:95] op_sel_hi:[1,0]
	s_delay_alu instid0(VALU_DEP_4)
	v_add_f32_e32 v103, v9, v57
	s_wait_loadcnt 0x3
	v_dual_add_f32 v102, v11, v17 :: v_dual_mov_b32 v104, v157
	v_pk_mul_f32 v[96:97], v[166:167], v[150:151] op_sel:[1,1] op_sel_hi:[0,1]
	v_dual_fmac_f32 v247, v163, v146 :: v_dual_fma_f32 v246, v162, v146, -v13
	v_pk_fma_f32 v[106:107], v[164:165], v[148:149], v[94:95] op_sel_hi:[1,0,1]
	s_delay_alu instid0(VALU_DEP_4)
	v_pk_add_f32 v[102:103], v[102:103], v[244:245]
	v_pk_fma_f32 v[94:95], v[164:165], v[148:149], v[94:95] neg_lo:[0,0,1] neg_hi:[0,0,1]
	v_pk_fma_f32 v[108:109], v[166:167], v[150:151], v[96:97] op_sel_hi:[1,0,1]
	v_pk_mul_f32 v[98:99], v[238:239], v[98:99] op_sel_hi:[1,0]
	v_mov_b32_e32 v95, v107
	v_pk_add_f32 v[102:103], v[102:103], v[246:247]
	v_pk_fma_f32 v[96:97], v[166:167], v[150:151], v[96:97] neg_lo:[0,0,1] neg_hi:[0,0,1]
	v_pk_mul_f32 v[100:101], v[170:171], v[154:155] op_sel:[1,1] op_sel_hi:[0,1]
	v_mov_b32_e32 v97, v109
	v_pk_fma_f32 v[108:109], v[168:169], v[152:153], v[98:99] op_sel_hi:[1,0,1]
	v_pk_add_f32 v[94:95], v[102:103], v[94:95]
	v_pk_fma_f32 v[98:99], v[168:169], v[152:153], v[98:99] neg_lo:[0,0,1] neg_hi:[0,0,1]
	v_pk_fma_f32 v[102:103], v[170:171], v[154:155], v[100:101] op_sel_hi:[1,0,1]
	v_pk_mul_f32 v[104:105], v[240:241], v[104:105] op_sel_hi:[1,0]
	v_mov_b32_e32 v99, v109
	v_pk_add_f32 v[94:95], v[94:95], v[96:97]
	v_pk_fma_f32 v[100:101], v[170:171], v[154:155], v[100:101] neg_lo:[0,0,1] neg_hi:[0,0,1]
	s_wait_loadcnt 0x2
	v_pk_mul_f32 v[106:107], v[178:179], v[158:159] op_sel:[1,1] op_sel_hi:[0,1]
	v_dual_mov_b32 v96, v161 :: v_dual_mov_b32 v101, v103
	v_pk_fma_f32 v[102:103], v[172:173], v[156:157], v[104:105] op_sel_hi:[1,0,1]
	v_pk_add_f32 v[94:95], v[94:95], v[98:99]
	v_pk_fma_f32 v[104:105], v[172:173], v[156:157], v[104:105] neg_lo:[0,0,1] neg_hi:[0,0,1]
	v_pk_fma_f32 v[98:99], v[178:179], v[158:159], v[106:107] op_sel_hi:[1,0,1]
	v_pk_mul_f32 v[96:97], v[242:243], v[96:97] op_sel_hi:[1,0]
	v_mov_b32_e32 v105, v103
	v_pk_add_f32 v[94:95], v[94:95], v[100:101]
	v_pk_fma_f32 v[100:101], v[178:179], v[158:159], v[106:107] neg_lo:[0,0,1] neg_hi:[0,0,1]
	v_mov_b32_e32 v101, v99
	v_pk_fma_f32 v[98:99], v[180:181], v[160:161], v[96:97] op_sel_hi:[1,0,1]
	s_wait_loadcnt_dscnt 0x100
	v_pk_mul_f32 v[102:103], v[234:235], v[230:231] op_sel:[1,1] op_sel_hi:[0,1]
	v_pk_add_f32 v[94:95], v[94:95], v[104:105]
	v_pk_fma_f32 v[96:97], v[180:181], v[160:161], v[96:97] neg_lo:[0,0,1] neg_hi:[0,0,1]
	v_mov_b32_e32 v97, v99
	s_delay_alu instid0(VALU_DEP_4) | instskip(NEXT) | instid1(VALU_DEP_4)
	v_pk_fma_f32 v[98:99], v[234:235], v[230:231], v[102:103] op_sel_hi:[1,0,1]
	v_pk_add_f32 v[94:95], v[94:95], v[100:101]
	v_pk_fma_f32 v[100:101], v[234:235], v[230:231], v[102:103] neg_lo:[0,0,1] neg_hi:[0,0,1]
	s_delay_alu instid0(VALU_DEP_3) | instskip(NEXT) | instid1(VALU_DEP_3)
	v_mov_b32_e32 v101, v99
	v_pk_add_f32 v[94:95], v[94:95], v[96:97]
	s_delay_alu instid0(VALU_DEP_1) | instskip(SKIP_1) | instid1(VALU_DEP_1)
	v_pk_add_f32 v[94:95], v[94:95], v[100:101]
	s_wait_loadcnt 0x0
	v_pk_add_f32 v[94:95], v[232:233], v[94:95] neg_lo:[0,1] neg_hi:[0,1]
	scratch_store_b64 off, v[94:95], off offset:80
	s_wait_xcnt 0x0
	v_cmpx_lt_u32_e32 9, v0
	s_cbranch_execz .LBB45_271
; %bb.270:
	scratch_load_b64 v[94:95], off, off offset:72
	v_mov_b64_e32 v[96:97], 0
	scratch_store_b64 off, v[96:97], off offset:72
	s_wait_loadcnt 0x0
	ds_store_b64 v1, v[94:95]
.LBB45_271:
	s_wait_xcnt 0x0
	s_or_b32 exec_lo, exec_lo, s0
	s_wait_storecnt_dscnt 0x0
	s_barrier_signal -1
	s_barrier_wait -1
	s_clause 0x12
	scratch_load_b128 v[94:97], off, off offset:80
	scratch_load_b128 v[98:101], off, off offset:96
	;; [unrolled: 1-line block ×18, first 2 shown]
	scratch_load_b64 v[238:239], off, off offset:72
	ds_load_b128 v[166:169], v7 offset:672
	ds_load_b128 v[170:173], v7 offset:688
	;; [unrolled: 1-line block ×18, first 2 shown]
	s_mov_b32 s0, exec_lo
	s_wait_dscnt 0x11
	v_dual_mov_b32 v240, v169 :: v_dual_mov_b32 v241, v168
	s_wait_dscnt 0x10
	v_dual_mov_b32 v242, v173 :: v_dual_mov_b32 v243, v172
	;; [unrolled: 2-line block ×4, first 2 shown]
	s_wait_loadcnt_dscnt 0x120d
	v_dual_mul_f32 v7, v182, v95 :: v_dual_mul_f32 v9, v184, v97
	v_dual_mul_f32 v59, v183, v95 :: v_dual_mul_f32 v61, v185, v97
	s_wait_loadcnt_dscnt 0x110c
	v_dual_mul_f32 v11, v186, v99 :: v_dual_mul_f32 v13, v188, v101
	s_delay_alu instid0(VALU_DEP_3) | instskip(SKIP_3) | instid1(VALU_DEP_3)
	v_dual_fmac_f32 v7, v183, v94 :: v_dual_fmac_f32 v9, v185, v96
	s_wait_loadcnt_dscnt 0xf0a
	v_dual_fma_f32 v59, v182, v94, -v59 :: v_dual_mul_f32 v71, v195, v107
	v_dual_mul_f32 v63, v187, v99 :: v_dual_mul_f32 v65, v189, v101
	v_dual_fma_f32 v61, v184, v96, -v61 :: v_dual_add_f32 v7, 0, v7
	s_delay_alu instid0(VALU_DEP_3) | instskip(SKIP_1) | instid1(VALU_DEP_3)
	v_dual_add_f32 v59, 0, v59 :: v_dual_mul_f32 v73, v197, v109
	v_dual_fmac_f32 v11, v187, v98 :: v_dual_fmac_f32 v13, v189, v100
	v_dual_fma_f32 v63, v186, v98, -v63 :: v_dual_add_f32 v7, v7, v9
	s_delay_alu instid0(VALU_DEP_3) | instskip(SKIP_2) | instid1(VALU_DEP_4)
	v_dual_add_f32 v9, v59, v61 :: v_dual_fma_f32 v61, v188, v100, -v65
	v_dual_mul_f32 v15, v190, v103 :: v_dual_mul_f32 v17, v192, v105
	v_dual_mul_f32 v67, v191, v103 :: v_dual_mul_f32 v69, v193, v105
	v_add_f32_e32 v7, v7, v11
	s_delay_alu instid0(VALU_DEP_3) | instskip(NEXT) | instid1(VALU_DEP_3)
	v_dual_add_f32 v9, v9, v63 :: v_dual_fmac_f32 v15, v191, v102
	v_fma_f32 v63, v190, v102, -v67
	v_dual_mul_f32 v19, v194, v107 :: v_dual_mul_f32 v21, v196, v109
	s_delay_alu instid0(VALU_DEP_4) | instskip(SKIP_2) | instid1(VALU_DEP_2)
	v_dual_add_f32 v7, v7, v13 :: v_dual_fmac_f32 v17, v193, v104
	s_wait_loadcnt_dscnt 0xd08
	v_dual_add_f32 v9, v9, v61 :: v_dual_mul_f32 v13, v203, v115
	v_dual_fma_f32 v61, v192, v104, -v69 :: v_dual_add_f32 v7, v7, v15
	v_mul_f32_e32 v15, v205, v117
	s_delay_alu instid0(VALU_DEP_3) | instskip(NEXT) | instid1(VALU_DEP_3)
	v_dual_add_f32 v9, v9, v63 :: v_dual_fmac_f32 v19, v195, v106
	v_dual_fma_f32 v63, v194, v106, -v71 :: v_dual_add_f32 v7, v7, v17
	v_fmac_f32_e32 v21, v197, v108
	s_wait_loadcnt_dscnt 0xc07
	s_delay_alu instid0(VALU_DEP_3) | instskip(SKIP_3) | instid1(VALU_DEP_3)
	v_dual_add_f32 v9, v9, v61 :: v_dual_mul_f32 v17, v207, v119
	v_dual_mul_f32 v23, v198, v111 :: v_dual_mul_f32 v25, v200, v113
	v_dual_mul_f32 v59, v199, v111 :: v_dual_mul_f32 v11, v201, v113
	v_dual_fma_f32 v61, v196, v108, -v73 :: v_dual_add_f32 v7, v7, v19
	v_dual_add_f32 v9, v9, v63 :: v_dual_fmac_f32 v23, v199, v110
	s_delay_alu instid0(VALU_DEP_3) | instskip(NEXT) | instid1(VALU_DEP_3)
	v_dual_mul_f32 v19, v209, v121 :: v_dual_fma_f32 v59, v198, v110, -v59
	v_dual_add_f32 v7, v7, v21 :: v_dual_fmac_f32 v25, v201, v112
	s_wait_loadcnt_dscnt 0xb06
	s_delay_alu instid0(VALU_DEP_3) | instskip(SKIP_1) | instid1(VALU_DEP_3)
	v_dual_add_f32 v9, v9, v61 :: v_dual_mul_f32 v21, v211, v123
	v_dual_mul_f32 v27, v202, v115 :: v_dual_mul_f32 v29, v204, v117
	v_dual_fma_f32 v11, v200, v112, -v11 :: v_dual_add_f32 v7, v7, v23
	s_delay_alu instid0(VALU_DEP_2) | instskip(SKIP_1) | instid1(VALU_DEP_2)
	v_dual_add_f32 v9, v9, v59 :: v_dual_fmac_f32 v27, v203, v114
	v_dual_mul_f32 v23, v213, v125 :: v_dual_fma_f32 v13, v202, v114, -v13
	v_dual_add_f32 v7, v7, v25 :: v_dual_add_f32 v9, v9, v11
	v_dual_mul_f32 v31, v206, v119 :: v_dual_mul_f32 v33, v208, v121
	s_wait_loadcnt_dscnt 0xa05
	v_dual_mul_f32 v11, v215, v127 :: v_dual_fmac_f32 v29, v205, v116
	s_delay_alu instid0(VALU_DEP_3) | instskip(NEXT) | instid1(VALU_DEP_3)
	v_dual_fma_f32 v15, v204, v116, -v15 :: v_dual_add_f32 v7, v7, v27
	v_dual_add_f32 v9, v9, v13 :: v_dual_fmac_f32 v31, v207, v118
	v_dual_mul_f32 v13, v217, v129 :: v_dual_fma_f32 v17, v206, v118, -v17
	s_delay_alu instid0(VALU_DEP_2) | instskip(SKIP_3) | instid1(VALU_DEP_3)
	v_dual_add_f32 v7, v7, v29 :: v_dual_add_f32 v9, v9, v15
	v_dual_mul_f32 v35, v210, v123 :: v_dual_mul_f32 v37, v212, v125
	s_wait_loadcnt_dscnt 0x904
	v_dual_mul_f32 v15, v219, v131 :: v_dual_fmac_f32 v33, v209, v120
	v_dual_fma_f32 v19, v208, v120, -v19 :: v_dual_add_f32 v7, v7, v31
	s_delay_alu instid0(VALU_DEP_3) | instskip(SKIP_1) | instid1(VALU_DEP_2)
	v_dual_add_f32 v9, v9, v17 :: v_dual_fmac_f32 v35, v211, v122
	v_dual_mul_f32 v17, v221, v133 :: v_dual_fma_f32 v21, v210, v122, -v21
	v_dual_add_f32 v7, v7, v33 :: v_dual_add_f32 v9, v9, v19
	v_dual_mul_f32 v39, v214, v127 :: v_dual_mul_f32 v41, v216, v129
	s_wait_loadcnt_dscnt 0x803
	v_dual_mul_f32 v19, v223, v135 :: v_dual_fmac_f32 v37, v213, v124
	s_delay_alu instid0(VALU_DEP_3) | instskip(NEXT) | instid1(VALU_DEP_3)
	v_dual_fma_f32 v23, v212, v124, -v23 :: v_dual_add_f32 v7, v7, v35
	v_dual_add_f32 v9, v9, v21 :: v_dual_fmac_f32 v39, v215, v126
	v_dual_mul_f32 v21, v225, v137 :: v_dual_fma_f32 v11, v214, v126, -v11
	s_delay_alu instid0(VALU_DEP_2) | instskip(SKIP_3) | instid1(VALU_DEP_3)
	v_dual_add_f32 v7, v7, v37 :: v_dual_add_f32 v9, v9, v23
	v_dual_mul_f32 v43, v218, v131 :: v_dual_mul_f32 v45, v220, v133
	s_wait_loadcnt_dscnt 0x702
	v_dual_mul_f32 v23, v227, v139 :: v_dual_fmac_f32 v41, v217, v128
	v_dual_fma_f32 v13, v216, v128, -v13 :: v_dual_add_f32 v7, v7, v39
	s_delay_alu instid0(VALU_DEP_3) | instskip(SKIP_1) | instid1(VALU_DEP_3)
	v_dual_add_f32 v9, v9, v11 :: v_dual_fmac_f32 v43, v219, v130
	v_dual_mul_f32 v11, v229, v141 :: v_dual_fma_f32 v15, v218, v130, -v15
	v_dual_add_f32 v7, v7, v41 :: v_dual_fmac_f32 v45, v221, v132
	s_wait_loadcnt_dscnt 0x601
	s_delay_alu instid0(VALU_DEP_3) | instskip(SKIP_1) | instid1(VALU_DEP_3)
	v_dual_add_f32 v9, v9, v13 :: v_dual_mul_f32 v13, v231, v143
	v_dual_mul_f32 v47, v222, v135 :: v_dual_mul_f32 v49, v224, v137
	v_dual_fma_f32 v17, v220, v132, -v17 :: v_dual_add_f32 v7, v7, v43
	s_delay_alu instid0(VALU_DEP_2) | instskip(SKIP_1) | instid1(VALU_DEP_3)
	v_dual_add_f32 v9, v9, v15 :: v_dual_fmac_f32 v47, v223, v134
	v_dual_mul_f32 v15, v233, v145 :: v_dual_fma_f32 v19, v222, v134, -v19
	v_dual_add_f32 v7, v7, v45 :: v_dual_fmac_f32 v49, v225, v136
	s_wait_loadcnt_dscnt 0x500
	s_delay_alu instid0(VALU_DEP_3) | instskip(SKIP_1) | instid1(VALU_DEP_3)
	v_dual_add_f32 v9, v9, v17 :: v_dual_mul_f32 v17, v235, v147
	v_dual_mul_f32 v51, v226, v139 :: v_dual_mul_f32 v53, v228, v141
	v_dual_fma_f32 v21, v224, v136, -v21 :: v_dual_add_f32 v7, v7, v47
	s_delay_alu instid0(VALU_DEP_2) | instskip(SKIP_1) | instid1(VALU_DEP_3)
	v_dual_add_f32 v9, v9, v19 :: v_dual_fmac_f32 v51, v227, v138
	v_dual_mul_f32 v19, v237, v149 :: v_dual_fma_f32 v23, v226, v138, -v23
	v_dual_add_f32 v7, v7, v49 :: v_dual_fmac_f32 v53, v229, v140
	s_delay_alu instid0(VALU_DEP_3) | instskip(SKIP_2) | instid1(VALU_DEP_3)
	v_dual_add_f32 v9, v9, v21 :: v_dual_fma_f32 v11, v228, v140, -v11
	v_dual_mul_f32 v55, v230, v143 :: v_dual_mul_f32 v57, v232, v145
	s_wait_loadcnt 0x4
	v_dual_add_f32 v7, v7, v51 :: v_dual_mov_b32 v96, v153
	s_delay_alu instid0(VALU_DEP_2) | instskip(NEXT) | instid1(VALU_DEP_2)
	v_dual_add_f32 v9, v9, v23 :: v_dual_fmac_f32 v55, v231, v142
	v_dual_fma_f32 v13, v230, v142, -v13 :: v_dual_add_f32 v7, v7, v53
	v_dual_mul_f32 v249, v234, v147 :: v_dual_mul_f32 v251, v236, v149
	s_delay_alu instid0(VALU_DEP_3) | instskip(NEXT) | instid1(VALU_DEP_3)
	v_dual_add_f32 v9, v9, v11 :: v_dual_fma_f32 v11, v232, v144, -v15
	v_dual_fmac_f32 v57, v233, v144 :: v_dual_add_f32 v7, v7, v55
	v_pk_mul_f32 v[94:95], v[166:167], v[150:151] op_sel:[1,1] op_sel_hi:[0,1]
	s_delay_alu instid0(VALU_DEP_3) | instskip(SKIP_2) | instid1(VALU_DEP_2)
	v_dual_add_f32 v9, v9, v13 :: v_dual_fmac_f32 v249, v235, v146
	s_wait_loadcnt 0x3
	v_dual_mov_b32 v100, v157 :: v_dual_fma_f32 v248, v234, v146, -v17
	v_dual_add_f32 v103, v7, v57 :: v_dual_add_f32 v102, v9, v11
	v_fmac_f32_e32 v251, v237, v148
	v_pk_fma_f32 v[104:105], v[166:167], v[150:151], v[94:95] op_sel_hi:[1,0,1]
	v_fma_f32 v250, v236, v148, -v19
	v_pk_mul_f32 v[96:97], v[240:241], v[96:97] op_sel_hi:[1,0]
	v_pk_add_f32 v[102:103], v[102:103], v[248:249]
	v_pk_fma_f32 v[94:95], v[166:167], v[150:151], v[94:95] neg_lo:[0,0,1] neg_hi:[0,0,1]
	v_pk_mul_f32 v[98:99], v[170:171], v[154:155] op_sel:[1,1] op_sel_hi:[0,1]
	v_mov_b32_e32 v95, v105
	v_pk_fma_f32 v[104:105], v[168:169], v[152:153], v[96:97] op_sel_hi:[1,0,1]
	v_pk_add_f32 v[102:103], v[102:103], v[250:251]
	v_pk_fma_f32 v[96:97], v[168:169], v[152:153], v[96:97] neg_lo:[0,0,1] neg_hi:[0,0,1]
	v_pk_fma_f32 v[108:109], v[170:171], v[154:155], v[98:99] op_sel_hi:[1,0,1]
	v_pk_mul_f32 v[100:101], v[242:243], v[100:101] op_sel_hi:[1,0]
	v_mov_b32_e32 v97, v105
	v_pk_add_f32 v[94:95], v[102:103], v[94:95]
	s_wait_loadcnt 0x2
	v_pk_mul_f32 v[106:107], v[174:175], v[158:159] op_sel:[1,1] op_sel_hi:[0,1]
	v_mov_b32_e32 v102, v161
	v_pk_fma_f32 v[98:99], v[170:171], v[154:155], v[98:99] neg_lo:[0,0,1] neg_hi:[0,0,1]
	v_pk_fma_f32 v[104:105], v[172:173], v[156:157], v[100:101] op_sel_hi:[1,0,1]
	v_mov_b32_e32 v99, v109
	v_pk_add_f32 v[94:95], v[94:95], v[96:97]
	v_pk_fma_f32 v[96:97], v[174:175], v[158:159], v[106:107] op_sel_hi:[1,0,1]
	v_pk_mul_f32 v[102:103], v[244:245], v[102:103] op_sel_hi:[1,0]
	v_pk_fma_f32 v[100:101], v[172:173], v[156:157], v[100:101] neg_lo:[0,0,1] neg_hi:[0,0,1]
	v_mov_b32_e32 v101, v105
	v_pk_add_f32 v[94:95], v[94:95], v[98:99]
	v_pk_fma_f32 v[104:105], v[174:175], v[158:159], v[106:107] neg_lo:[0,0,1] neg_hi:[0,0,1]
	v_mov_b32_e32 v105, v97
	v_pk_fma_f32 v[96:97], v[176:177], v[160:161], v[102:103] op_sel_hi:[1,0,1]
	s_wait_loadcnt 0x1
	v_pk_mul_f32 v[98:99], v[178:179], v[162:163] op_sel:[1,1] op_sel_hi:[0,1]
	v_pk_add_f32 v[94:95], v[94:95], v[100:101]
	v_mov_b32_e32 v96, v165
	v_pk_fma_f32 v[102:103], v[176:177], v[160:161], v[102:103] neg_lo:[0,0,1] neg_hi:[0,0,1]
	s_delay_alu instid0(VALU_DEP_4)
	v_pk_fma_f32 v[100:101], v[178:179], v[162:163], v[98:99] op_sel_hi:[1,0,1]
	v_mov_b32_e32 v103, v97
	v_pk_add_f32 v[94:95], v[94:95], v[104:105]
	v_pk_mul_f32 v[96:97], v[246:247], v[96:97] op_sel_hi:[1,0]
	v_pk_fma_f32 v[98:99], v[178:179], v[162:163], v[98:99] neg_lo:[0,0,1] neg_hi:[0,0,1]
	v_mov_b32_e32 v99, v101
	s_delay_alu instid0(VALU_DEP_4) | instskip(NEXT) | instid1(VALU_DEP_4)
	v_pk_add_f32 v[94:95], v[94:95], v[102:103]
	v_pk_fma_f32 v[100:101], v[180:181], v[164:165], v[96:97] op_sel_hi:[1,0,1]
	v_pk_fma_f32 v[96:97], v[180:181], v[164:165], v[96:97] neg_lo:[0,0,1] neg_hi:[0,0,1]
	s_delay_alu instid0(VALU_DEP_3) | instskip(NEXT) | instid1(VALU_DEP_3)
	v_pk_add_f32 v[94:95], v[94:95], v[98:99]
	v_mov_b32_e32 v97, v101
	s_delay_alu instid0(VALU_DEP_1) | instskip(SKIP_1) | instid1(VALU_DEP_1)
	v_pk_add_f32 v[94:95], v[94:95], v[96:97]
	s_wait_loadcnt 0x0
	v_pk_add_f32 v[94:95], v[238:239], v[94:95] neg_lo:[0,1] neg_hi:[0,1]
	scratch_store_b64 off, v[94:95], off offset:72
	s_wait_xcnt 0x0
	v_cmpx_lt_u32_e32 8, v0
	s_cbranch_execz .LBB45_273
; %bb.272:
	scratch_load_b64 v[94:95], off, off offset:64
	v_mov_b64_e32 v[96:97], 0
	scratch_store_b64 off, v[96:97], off offset:64
	s_wait_loadcnt 0x0
	ds_store_b64 v1, v[94:95]
.LBB45_273:
	s_wait_xcnt 0x0
	s_or_b32 exec_lo, exec_lo, s0
	s_wait_storecnt_dscnt 0x0
	s_barrier_signal -1
	s_barrier_wait -1
	s_clause 0x13
	scratch_load_b128 v[94:97], off, off offset:72
	scratch_load_b128 v[98:101], off, off offset:88
	;; [unrolled: 1-line block ×18, first 2 shown]
	scratch_load_b64 v[238:239], off, off offset:360
	scratch_load_b64 v[240:241], off, off offset:64
	v_mov_b32_e32 v7, 0
	ds_load_2addr_b64 v[166:169], v7 offset0:83 offset1:84
	ds_load_2addr_b64 v[170:173], v7 offset0:85 offset1:86
	;; [unrolled: 1-line block ×18, first 2 shown]
	ds_load_b64 v[242:243], v7 offset:728
	s_mov_b32 s0, exec_lo
	s_wait_dscnt 0x12
	v_dual_mov_b32 v244, v169 :: v_dual_mov_b32 v245, v168
	s_wait_dscnt 0x11
	v_dual_mov_b32 v246, v173 :: v_dual_mov_b32 v247, v172
	;; [unrolled: 2-line block ×3, first 2 shown]
	v_dual_mov_b32 v249, v176 :: v_dual_mov_b32 v250, v189
	s_wait_loadcnt 0x13
	v_dual_mul_f32 v9, v178, v95 :: v_dual_mul_f32 v63, v179, v95
	v_dual_mul_f32 v65, v181, v97 :: v_dual_mul_f32 v11, v180, v97
	s_wait_loadcnt 0x12
	v_mul_f32_e32 v13, v182, v99
	s_wait_loadcnt_dscnt 0x100b
	v_dual_mul_f32 v75, v195, v107 :: v_dual_fma_f32 v63, v178, v94, -v63
	v_dual_fmac_f32 v9, v179, v94 :: v_dual_mul_f32 v77, v197, v109
	v_dual_mul_f32 v67, v183, v99 :: v_dual_mul_f32 v69, v185, v101
	v_dual_fmac_f32 v11, v181, v96 :: v_dual_fma_f32 v65, v180, v96, -v65
	s_delay_alu instid0(VALU_DEP_3) | instskip(SKIP_3) | instid1(VALU_DEP_3)
	v_dual_add_f32 v9, 0, v9 :: v_dual_add_f32 v63, 0, v63
	v_dual_mul_f32 v15, v184, v101 :: v_dual_mul_f32 v17, v190, v103
	s_wait_loadcnt_dscnt 0xf0a
	v_dual_mul_f32 v79, v199, v111 :: v_dual_fma_f32 v67, v182, v98, -v67
	v_dual_fmac_f32 v13, v183, v98 :: v_dual_add_f32 v9, v9, v11
	s_delay_alu instid0(VALU_DEP_3) | instskip(SKIP_2) | instid1(VALU_DEP_3)
	v_dual_add_f32 v11, v63, v65 :: v_dual_fmac_f32 v15, v185, v100
	v_dual_mul_f32 v71, v191, v103 :: v_dual_mul_f32 v73, v193, v105
	v_dual_mul_f32 v63, v201, v113 :: v_dual_fma_f32 v65, v184, v100, -v69
	v_dual_add_f32 v9, v9, v13 :: v_dual_add_f32 v11, v11, v67
	v_dual_mul_f32 v19, v192, v105 :: v_dual_mul_f32 v21, v194, v107
	s_wait_loadcnt_dscnt 0xe09
	v_dual_mul_f32 v13, v203, v115 :: v_dual_fma_f32 v67, v190, v102, -v71
	s_delay_alu instid0(VALU_DEP_3) | instskip(NEXT) | instid1(VALU_DEP_3)
	v_dual_fmac_f32 v17, v191, v102 :: v_dual_add_f32 v9, v9, v15
	v_dual_add_f32 v11, v11, v65 :: v_dual_fmac_f32 v19, v193, v104
	v_dual_mul_f32 v15, v205, v117 :: v_dual_fma_f32 v65, v192, v104, -v73
	s_delay_alu instid0(VALU_DEP_2) | instskip(SKIP_3) | instid1(VALU_DEP_3)
	v_dual_add_f32 v9, v9, v17 :: v_dual_add_f32 v11, v11, v67
	v_dual_mul_f32 v23, v196, v109 :: v_dual_mul_f32 v25, v198, v111
	s_wait_loadcnt_dscnt 0xd08
	v_dual_mul_f32 v17, v207, v119 :: v_dual_fma_f32 v67, v194, v106, -v75
	v_dual_fmac_f32 v21, v195, v106 :: v_dual_add_f32 v9, v9, v19
	s_delay_alu instid0(VALU_DEP_3) | instskip(SKIP_1) | instid1(VALU_DEP_2)
	v_dual_add_f32 v11, v11, v65 :: v_dual_fmac_f32 v23, v197, v108
	v_dual_mul_f32 v19, v209, v121 :: v_dual_fma_f32 v65, v196, v108, -v77
	v_dual_add_f32 v9, v9, v21 :: v_dual_add_f32 v11, v11, v67
	v_dual_mul_f32 v27, v200, v113 :: v_dual_mul_f32 v29, v202, v115
	s_wait_loadcnt_dscnt 0xc07
	v_dual_mul_f32 v21, v211, v123 :: v_dual_fma_f32 v67, v198, v110, -v79
	s_delay_alu instid0(VALU_DEP_3) | instskip(NEXT) | instid1(VALU_DEP_3)
	v_dual_fmac_f32 v25, v199, v110 :: v_dual_add_f32 v9, v9, v23
	v_dual_add_f32 v11, v11, v65 :: v_dual_fmac_f32 v27, v201, v112
	v_dual_mul_f32 v23, v213, v125 :: v_dual_fma_f32 v63, v200, v112, -v63
	s_delay_alu instid0(VALU_DEP_2) | instskip(SKIP_3) | instid1(VALU_DEP_3)
	v_dual_add_f32 v9, v9, v25 :: v_dual_add_f32 v11, v11, v67
	v_dual_mul_f32 v31, v204, v117 :: v_dual_mul_f32 v33, v206, v119
	s_wait_loadcnt_dscnt 0xb06
	v_dual_mul_f32 v25, v215, v127 :: v_dual_fma_f32 v13, v202, v114, -v13
	v_dual_fmac_f32 v29, v203, v114 :: v_dual_add_f32 v9, v9, v27
	v_dual_add_f32 v11, v11, v63 :: v_dual_mul_f32 v27, v217, v129
	v_fmac_f32_e32 v31, v205, v116
	s_delay_alu instid0(VALU_DEP_3) | instskip(NEXT) | instid1(VALU_DEP_3)
	v_dual_fma_f32 v15, v204, v116, -v15 :: v_dual_add_f32 v9, v9, v29
	v_add_f32_e32 v11, v11, v13
	v_dual_mul_f32 v35, v208, v121 :: v_dual_mul_f32 v37, v210, v123
	s_wait_loadcnt_dscnt 0xa05
	v_dual_mul_f32 v13, v219, v131 :: v_dual_fma_f32 v17, v206, v118, -v17
	v_dual_fmac_f32 v33, v207, v118 :: v_dual_add_f32 v9, v9, v31
	v_dual_add_f32 v11, v11, v15 :: v_dual_mul_f32 v15, v221, v133
	v_fmac_f32_e32 v35, v209, v120
	s_delay_alu instid0(VALU_DEP_3) | instskip(NEXT) | instid1(VALU_DEP_3)
	v_dual_fma_f32 v19, v208, v120, -v19 :: v_dual_add_f32 v9, v9, v33
	v_add_f32_e32 v11, v11, v17
	;; [unrolled: 9-line block ×6, first 2 shown]
	v_dual_mul_f32 v55, v228, v141 :: v_dual_mul_f32 v57, v230, v143
	s_wait_loadcnt 0x5
	v_dual_mul_f32 v17, v167, v151 :: v_dual_fma_f32 v21, v226, v138, -v21
	v_dual_fmac_f32 v53, v227, v138 :: v_dual_add_f32 v9, v9, v51
	v_dual_add_f32 v11, v11, v19 :: v_dual_mov_b32 v94, v153
	v_fmac_f32_e32 v55, v229, v140
	s_delay_alu instid0(VALU_DEP_3) | instskip(NEXT) | instid1(VALU_DEP_3)
	v_dual_fma_f32 v19, v228, v140, -v23 :: v_dual_add_f32 v9, v9, v53
	v_add_f32_e32 v11, v11, v21
	v_dual_mul_f32 v59, v232, v145 :: v_dual_mul_f32 v61, v234, v147
	s_delay_alu instid0(VALU_DEP_3) | instskip(NEXT) | instid1(VALU_DEP_3)
	v_dual_fmac_f32 v57, v231, v142 :: v_dual_add_f32 v9, v9, v55
	v_dual_fma_f32 v21, v230, v142, -v25 :: v_dual_add_f32 v11, v11, v19
	s_wait_loadcnt 0x4
	v_dual_mov_b32 v98, v157 :: v_dual_fma_f32 v19, v232, v144, -v27
	v_fmac_f32_e32 v59, v233, v144
	v_dual_add_f32 v9, v9, v57 :: v_dual_fmac_f32 v61, v235, v146
	v_add_f32_e32 v11, v11, v21
	v_dual_mul_f32 v253, v236, v149 :: v_dual_mul_f32 v255, v166, v151
	s_delay_alu instid0(VALU_DEP_3) | instskip(NEXT) | instid1(VALU_DEP_2)
	v_dual_fma_f32 v13, v234, v146, -v13 :: v_dual_add_f32 v9, v9, v59
	v_dual_add_f32 v11, v11, v19 :: v_dual_fmac_f32 v253, v237, v148
	v_fma_f32 v252, v236, v148, -v15
	v_pk_mul_f32 v[94:95], v[244:245], v[94:95] op_sel_hi:[1,0]
	s_delay_alu instid0(VALU_DEP_4)
	v_add_f32_e32 v103, v9, v61
	s_wait_loadcnt 0x3
	v_dual_add_f32 v102, v11, v13 :: v_dual_mov_b32 v104, v161
	v_pk_mul_f32 v[96:97], v[170:171], v[154:155] op_sel:[1,1] op_sel_hi:[0,1]
	v_dual_fmac_f32 v255, v167, v150 :: v_dual_fma_f32 v254, v166, v150, -v17
	v_pk_fma_f32 v[106:107], v[168:169], v[152:153], v[94:95] op_sel_hi:[1,0,1]
	s_delay_alu instid0(VALU_DEP_4)
	v_pk_add_f32 v[102:103], v[102:103], v[252:253]
	v_pk_fma_f32 v[94:95], v[168:169], v[152:153], v[94:95] neg_lo:[0,0,1] neg_hi:[0,0,1]
	v_pk_fma_f32 v[108:109], v[170:171], v[154:155], v[96:97] op_sel_hi:[1,0,1]
	v_pk_mul_f32 v[98:99], v[246:247], v[98:99] op_sel_hi:[1,0]
	v_mov_b32_e32 v95, v107
	v_pk_add_f32 v[102:103], v[102:103], v[254:255]
	v_pk_fma_f32 v[96:97], v[170:171], v[154:155], v[96:97] neg_lo:[0,0,1] neg_hi:[0,0,1]
	v_pk_mul_f32 v[100:101], v[174:175], v[158:159] op_sel:[1,1] op_sel_hi:[0,1]
	v_mov_b32_e32 v97, v109
	v_pk_fma_f32 v[108:109], v[172:173], v[156:157], v[98:99] op_sel_hi:[1,0,1]
	v_pk_add_f32 v[94:95], v[102:103], v[94:95]
	v_pk_fma_f32 v[98:99], v[172:173], v[156:157], v[98:99] neg_lo:[0,0,1] neg_hi:[0,0,1]
	v_pk_fma_f32 v[102:103], v[174:175], v[158:159], v[100:101] op_sel_hi:[1,0,1]
	v_pk_mul_f32 v[104:105], v[248:249], v[104:105] op_sel_hi:[1,0]
	v_mov_b32_e32 v99, v109
	v_pk_add_f32 v[94:95], v[94:95], v[96:97]
	v_pk_fma_f32 v[100:101], v[174:175], v[158:159], v[100:101] neg_lo:[0,0,1] neg_hi:[0,0,1]
	s_wait_loadcnt 0x2
	v_pk_mul_f32 v[106:107], v[186:187], v[162:163] op_sel:[1,1] op_sel_hi:[0,1]
	v_dual_mov_b32 v96, v165 :: v_dual_mov_b32 v101, v103
	v_pk_fma_f32 v[102:103], v[176:177], v[160:161], v[104:105] op_sel_hi:[1,0,1]
	v_pk_add_f32 v[94:95], v[94:95], v[98:99]
	v_pk_fma_f32 v[104:105], v[176:177], v[160:161], v[104:105] neg_lo:[0,0,1] neg_hi:[0,0,1]
	v_pk_fma_f32 v[98:99], v[186:187], v[162:163], v[106:107] op_sel_hi:[1,0,1]
	v_pk_mul_f32 v[96:97], v[250:251], v[96:97] op_sel_hi:[1,0]
	v_mov_b32_e32 v105, v103
	v_pk_add_f32 v[94:95], v[94:95], v[100:101]
	v_pk_fma_f32 v[100:101], v[186:187], v[162:163], v[106:107] neg_lo:[0,0,1] neg_hi:[0,0,1]
	v_mov_b32_e32 v101, v99
	v_pk_fma_f32 v[98:99], v[188:189], v[164:165], v[96:97] op_sel_hi:[1,0,1]
	s_wait_loadcnt_dscnt 0x100
	v_pk_mul_f32 v[102:103], v[242:243], v[238:239] op_sel:[1,1] op_sel_hi:[0,1]
	v_pk_add_f32 v[94:95], v[94:95], v[104:105]
	v_pk_fma_f32 v[96:97], v[188:189], v[164:165], v[96:97] neg_lo:[0,0,1] neg_hi:[0,0,1]
	v_mov_b32_e32 v97, v99
	s_delay_alu instid0(VALU_DEP_4) | instskip(NEXT) | instid1(VALU_DEP_4)
	v_pk_fma_f32 v[98:99], v[242:243], v[238:239], v[102:103] op_sel_hi:[1,0,1]
	v_pk_add_f32 v[94:95], v[94:95], v[100:101]
	v_pk_fma_f32 v[100:101], v[242:243], v[238:239], v[102:103] neg_lo:[0,0,1] neg_hi:[0,0,1]
	s_delay_alu instid0(VALU_DEP_3) | instskip(NEXT) | instid1(VALU_DEP_3)
	v_mov_b32_e32 v101, v99
	v_pk_add_f32 v[94:95], v[94:95], v[96:97]
	s_delay_alu instid0(VALU_DEP_1) | instskip(SKIP_1) | instid1(VALU_DEP_1)
	v_pk_add_f32 v[94:95], v[94:95], v[100:101]
	s_wait_loadcnt 0x0
	v_pk_add_f32 v[94:95], v[240:241], v[94:95] neg_lo:[0,1] neg_hi:[0,1]
	scratch_store_b64 off, v[94:95], off offset:64
	s_wait_xcnt 0x0
	v_cmpx_lt_u32_e32 7, v0
	s_cbranch_execz .LBB45_275
; %bb.274:
	scratch_load_b64 v[94:95], off, off offset:56
	v_mov_b64_e32 v[96:97], 0
	scratch_store_b64 off, v[96:97], off offset:56
	s_wait_loadcnt 0x0
	ds_store_b64 v1, v[94:95]
.LBB45_275:
	s_wait_xcnt 0x0
	s_or_b32 exec_lo, exec_lo, s0
	s_wait_storecnt_dscnt 0x0
	s_barrier_signal -1
	s_barrier_wait -1
	s_clause 0x13
	scratch_load_b128 v[94:97], off, off offset:64
	scratch_load_b128 v[98:101], off, off offset:80
	;; [unrolled: 1-line block ×19, first 2 shown]
	scratch_load_b64 v[246:247], off, off offset:56
	ds_load_b128 v[170:173], v7 offset:672
	ds_load_b128 v[174:177], v7 offset:688
	;; [unrolled: 1-line block ×19, first 2 shown]
	s_mov_b32 s0, exec_lo
	s_wait_dscnt 0x12
	v_dual_mov_b32 v248, v173 :: v_dual_mov_b32 v249, v172
	s_wait_dscnt 0x11
	v_dual_mov_b32 v250, v177 :: v_dual_mov_b32 v251, v176
	;; [unrolled: 2-line block ×4, first 2 shown]
	s_wait_loadcnt_dscnt 0x130d
	v_dual_mul_f32 v7, v190, v95 :: v_dual_mul_f32 v9, v192, v97
	v_dual_mul_f32 v63, v191, v95 :: v_dual_mul_f32 v65, v193, v97
	s_wait_loadcnt_dscnt 0x120c
	v_dual_mul_f32 v11, v194, v99 :: v_dual_mul_f32 v13, v196, v101
	s_delay_alu instid0(VALU_DEP_3) | instskip(SKIP_3) | instid1(VALU_DEP_3)
	v_dual_fmac_f32 v7, v191, v94 :: v_dual_fmac_f32 v9, v193, v96
	s_wait_loadcnt_dscnt 0x100a
	v_dual_fma_f32 v63, v190, v94, -v63 :: v_dual_mul_f32 v75, v203, v107
	v_dual_mul_f32 v67, v195, v99 :: v_dual_mul_f32 v69, v197, v101
	v_dual_fma_f32 v65, v192, v96, -v65 :: v_dual_add_f32 v7, 0, v7
	s_delay_alu instid0(VALU_DEP_3) | instskip(SKIP_1) | instid1(VALU_DEP_3)
	v_dual_add_f32 v63, 0, v63 :: v_dual_mul_f32 v77, v205, v109
	v_dual_fmac_f32 v11, v195, v98 :: v_dual_fmac_f32 v13, v197, v100
	v_dual_fma_f32 v67, v194, v98, -v67 :: v_dual_add_f32 v7, v7, v9
	s_delay_alu instid0(VALU_DEP_3) | instskip(SKIP_2) | instid1(VALU_DEP_4)
	v_dual_add_f32 v9, v63, v65 :: v_dual_fma_f32 v65, v196, v100, -v69
	v_dual_mul_f32 v15, v198, v103 :: v_dual_mul_f32 v17, v200, v105
	v_dual_mul_f32 v71, v199, v103 :: v_dual_mul_f32 v73, v201, v105
	v_add_f32_e32 v7, v7, v11
	s_delay_alu instid0(VALU_DEP_3) | instskip(NEXT) | instid1(VALU_DEP_3)
	v_dual_add_f32 v9, v9, v67 :: v_dual_fmac_f32 v15, v199, v102
	v_fma_f32 v67, v198, v102, -v71
	v_dual_mul_f32 v19, v202, v107 :: v_dual_mul_f32 v21, v204, v109
	s_delay_alu instid0(VALU_DEP_4) | instskip(SKIP_2) | instid1(VALU_DEP_2)
	v_dual_add_f32 v7, v7, v13 :: v_dual_fmac_f32 v17, v201, v104
	s_wait_loadcnt_dscnt 0xe08
	v_dual_add_f32 v9, v9, v65 :: v_dual_mul_f32 v13, v211, v115
	v_dual_fma_f32 v65, v200, v104, -v73 :: v_dual_add_f32 v7, v7, v15
	v_mul_f32_e32 v15, v213, v117
	s_delay_alu instid0(VALU_DEP_3) | instskip(NEXT) | instid1(VALU_DEP_3)
	v_dual_add_f32 v9, v9, v67 :: v_dual_fmac_f32 v19, v203, v106
	v_dual_fma_f32 v67, v202, v106, -v75 :: v_dual_add_f32 v7, v7, v17
	v_fmac_f32_e32 v21, v205, v108
	s_wait_loadcnt_dscnt 0xd07
	s_delay_alu instid0(VALU_DEP_3) | instskip(SKIP_3) | instid1(VALU_DEP_3)
	v_dual_add_f32 v9, v9, v65 :: v_dual_mul_f32 v17, v215, v119
	v_dual_mul_f32 v23, v206, v111 :: v_dual_mul_f32 v25, v208, v113
	v_dual_mul_f32 v63, v207, v111 :: v_dual_mul_f32 v11, v209, v113
	v_dual_fma_f32 v65, v204, v108, -v77 :: v_dual_add_f32 v7, v7, v19
	v_dual_add_f32 v9, v9, v67 :: v_dual_fmac_f32 v23, v207, v110
	s_delay_alu instid0(VALU_DEP_3) | instskip(NEXT) | instid1(VALU_DEP_3)
	v_dual_mul_f32 v19, v217, v121 :: v_dual_fma_f32 v63, v206, v110, -v63
	v_dual_add_f32 v7, v7, v21 :: v_dual_fmac_f32 v25, v209, v112
	s_wait_loadcnt_dscnt 0xc06
	s_delay_alu instid0(VALU_DEP_3) | instskip(SKIP_1) | instid1(VALU_DEP_3)
	v_dual_add_f32 v9, v9, v65 :: v_dual_mul_f32 v21, v219, v123
	v_dual_mul_f32 v27, v210, v115 :: v_dual_mul_f32 v29, v212, v117
	v_dual_fma_f32 v11, v208, v112, -v11 :: v_dual_add_f32 v7, v7, v23
	s_delay_alu instid0(VALU_DEP_2) | instskip(SKIP_1) | instid1(VALU_DEP_2)
	v_dual_add_f32 v9, v9, v63 :: v_dual_fmac_f32 v27, v211, v114
	v_dual_mul_f32 v23, v221, v125 :: v_dual_fma_f32 v13, v210, v114, -v13
	v_dual_add_f32 v7, v7, v25 :: v_dual_add_f32 v9, v9, v11
	v_dual_mul_f32 v31, v214, v119 :: v_dual_mul_f32 v33, v216, v121
	s_wait_loadcnt_dscnt 0xb05
	v_dual_mul_f32 v11, v223, v127 :: v_dual_fmac_f32 v29, v213, v116
	s_delay_alu instid0(VALU_DEP_3) | instskip(NEXT) | instid1(VALU_DEP_3)
	v_dual_fma_f32 v15, v212, v116, -v15 :: v_dual_add_f32 v7, v7, v27
	v_dual_add_f32 v9, v9, v13 :: v_dual_fmac_f32 v31, v215, v118
	v_dual_mul_f32 v13, v225, v129 :: v_dual_fma_f32 v17, v214, v118, -v17
	s_delay_alu instid0(VALU_DEP_2) | instskip(SKIP_3) | instid1(VALU_DEP_3)
	v_dual_add_f32 v7, v7, v29 :: v_dual_add_f32 v9, v9, v15
	v_dual_mul_f32 v35, v218, v123 :: v_dual_mul_f32 v37, v220, v125
	s_wait_loadcnt_dscnt 0xa04
	v_dual_mul_f32 v15, v227, v131 :: v_dual_fmac_f32 v33, v217, v120
	v_dual_fma_f32 v19, v216, v120, -v19 :: v_dual_add_f32 v7, v7, v31
	s_delay_alu instid0(VALU_DEP_3) | instskip(SKIP_1) | instid1(VALU_DEP_2)
	v_dual_add_f32 v9, v9, v17 :: v_dual_fmac_f32 v35, v219, v122
	v_dual_mul_f32 v17, v229, v133 :: v_dual_fma_f32 v21, v218, v122, -v21
	v_dual_add_f32 v7, v7, v33 :: v_dual_add_f32 v9, v9, v19
	v_dual_mul_f32 v39, v222, v127 :: v_dual_mul_f32 v41, v224, v129
	s_wait_loadcnt_dscnt 0x903
	v_dual_mul_f32 v19, v231, v135 :: v_dual_fmac_f32 v37, v221, v124
	s_delay_alu instid0(VALU_DEP_3) | instskip(NEXT) | instid1(VALU_DEP_3)
	v_dual_fma_f32 v23, v220, v124, -v23 :: v_dual_add_f32 v7, v7, v35
	v_dual_add_f32 v9, v9, v21 :: v_dual_fmac_f32 v39, v223, v126
	v_dual_mul_f32 v21, v233, v137 :: v_dual_fma_f32 v11, v222, v126, -v11
	s_delay_alu instid0(VALU_DEP_2) | instskip(SKIP_3) | instid1(VALU_DEP_3)
	v_dual_add_f32 v7, v7, v37 :: v_dual_add_f32 v9, v9, v23
	v_dual_mul_f32 v43, v226, v131 :: v_dual_mul_f32 v45, v228, v133
	s_wait_loadcnt_dscnt 0x802
	v_dual_mul_f32 v23, v235, v139 :: v_dual_fmac_f32 v41, v225, v128
	v_dual_fma_f32 v13, v224, v128, -v13 :: v_dual_add_f32 v7, v7, v39
	s_delay_alu instid0(VALU_DEP_3) | instskip(SKIP_1) | instid1(VALU_DEP_3)
	v_dual_add_f32 v9, v9, v11 :: v_dual_fmac_f32 v43, v227, v130
	v_dual_mul_f32 v11, v237, v141 :: v_dual_fma_f32 v15, v226, v130, -v15
	v_dual_add_f32 v7, v7, v41 :: v_dual_fmac_f32 v45, v229, v132
	s_wait_loadcnt_dscnt 0x701
	s_delay_alu instid0(VALU_DEP_3) | instskip(SKIP_1) | instid1(VALU_DEP_3)
	v_dual_add_f32 v9, v9, v13 :: v_dual_mul_f32 v13, v239, v143
	v_dual_mul_f32 v47, v230, v135 :: v_dual_mul_f32 v49, v232, v137
	v_dual_fma_f32 v17, v228, v132, -v17 :: v_dual_add_f32 v7, v7, v43
	s_delay_alu instid0(VALU_DEP_2) | instskip(SKIP_1) | instid1(VALU_DEP_3)
	v_dual_add_f32 v9, v9, v15 :: v_dual_fmac_f32 v47, v231, v134
	v_dual_mul_f32 v15, v241, v145 :: v_dual_fma_f32 v19, v230, v134, -v19
	v_dual_add_f32 v7, v7, v45 :: v_dual_fmac_f32 v49, v233, v136
	s_wait_loadcnt_dscnt 0x600
	s_delay_alu instid0(VALU_DEP_3) | instskip(SKIP_1) | instid1(VALU_DEP_3)
	v_dual_add_f32 v9, v9, v17 :: v_dual_mul_f32 v17, v243, v147
	v_dual_mul_f32 v51, v234, v139 :: v_dual_mul_f32 v53, v236, v141
	v_dual_fma_f32 v21, v232, v136, -v21 :: v_dual_add_f32 v7, v7, v47
	s_delay_alu instid0(VALU_DEP_2) | instskip(SKIP_1) | instid1(VALU_DEP_3)
	v_dual_add_f32 v9, v9, v19 :: v_dual_fmac_f32 v51, v235, v138
	v_dual_mul_f32 v19, v245, v149 :: v_dual_fma_f32 v23, v234, v138, -v23
	v_dual_add_f32 v7, v7, v49 :: v_dual_fmac_f32 v53, v237, v140
	s_wait_loadcnt 0x5
	s_delay_alu instid0(VALU_DEP_3) | instskip(SKIP_1) | instid1(VALU_DEP_3)
	v_dual_add_f32 v9, v9, v21 :: v_dual_mul_f32 v21, v179, v151
	v_dual_mul_f32 v55, v238, v143 :: v_dual_mul_f32 v57, v240, v145
	v_dual_fma_f32 v11, v236, v140, -v11 :: v_dual_add_f32 v7, v7, v51
	s_delay_alu instid0(VALU_DEP_2) | instskip(SKIP_1) | instid1(VALU_DEP_2)
	v_dual_add_f32 v9, v9, v23 :: v_dual_fmac_f32 v55, v239, v142
	v_dual_mul_f32 v23, v181, v153 :: v_dual_fma_f32 v13, v238, v142, -v13
	v_dual_add_f32 v7, v7, v53 :: v_dual_add_f32 v9, v9, v11
	v_dual_mul_f32 v59, v242, v147 :: v_dual_mul_f32 v61, v244, v149
	v_dual_fmac_f32 v57, v241, v144 :: v_dual_fma_f32 v11, v240, v144, -v15
	s_delay_alu instid0(VALU_DEP_3) | instskip(SKIP_1) | instid1(VALU_DEP_3)
	v_dual_add_f32 v7, v7, v55 :: v_dual_add_f32 v9, v9, v13
	s_wait_loadcnt 0x4
	v_dual_mov_b32 v96, v157 :: v_dual_fmac_f32 v59, v243, v146
	s_delay_alu instid0(VALU_DEP_2) | instskip(NEXT) | instid1(VALU_DEP_3)
	v_dual_fma_f32 v13, v242, v146, -v17 :: v_dual_add_f32 v7, v7, v57
	v_dual_add_f32 v9, v9, v11 :: v_dual_fma_f32 v11, v244, v148, -v19
	s_set_vgpr_msb 64                       ;  msbs: dst=1 src0=0 src1=0 src2=0
	v_dual_mul_f32 v1 /*v257*/, v178, v151 :: v_dual_mul_f32 v3 /*v259*/, v180, v153
	s_set_vgpr_msb 0                        ;  msbs: dst=0 src0=0 src1=0 src2=0
	v_dual_fmac_f32 v61, v245, v148 :: v_dual_add_f32 v7, v7, v59
	v_add_f32_e32 v9, v9, v13
	v_pk_mul_f32 v[94:95], v[170:171], v[154:155] op_sel:[1,1] op_sel_hi:[0,1]
	s_wait_loadcnt 0x3
	v_mov_b32_e32 v100, v161
	s_set_vgpr_msb 64                       ;  msbs: dst=1 src0=0 src1=0 src2=0
	v_dual_fmac_f32 v1 /*v257*/, v179, v150 :: v_dual_fmac_f32 v3 /*v259*/, v181, v152
	v_dual_fma_f32 v0 /*v256*/, v178, v150, -v21 :: v_dual_fma_f32 v2 /*v258*/, v180, v152, -v23
	s_set_vgpr_msb 0                        ;  msbs: dst=0 src0=0 src1=0 src2=0
	v_dual_add_f32 v103, v7, v61 :: v_dual_add_f32 v102, v9, v11
	v_pk_fma_f32 v[104:105], v[170:171], v[154:155], v[94:95] op_sel_hi:[1,0,1]
	v_pk_mul_f32 v[96:97], v[248:249], v[96:97] op_sel_hi:[1,0]
	v_pk_fma_f32 v[94:95], v[170:171], v[154:155], v[94:95] neg_lo:[0,0,1] neg_hi:[0,0,1]
	v_pk_mul_f32 v[98:99], v[174:175], v[158:159] op_sel:[1,1] op_sel_hi:[0,1]
	s_set_vgpr_msb 4                        ;  msbs: dst=0 src0=0 src1=1 src2=0
	v_pk_add_f32 v[102:103], v[102:103], v[0:1] /*v[256:257]*/
	v_mov_b32_e32 v95, v105
	s_set_vgpr_msb 0                        ;  msbs: dst=0 src0=0 src1=0 src2=0
	v_pk_fma_f32 v[104:105], v[172:173], v[156:157], v[96:97] op_sel_hi:[1,0,1]
	v_pk_fma_f32 v[96:97], v[172:173], v[156:157], v[96:97] neg_lo:[0,0,1] neg_hi:[0,0,1]
	v_pk_fma_f32 v[108:109], v[174:175], v[158:159], v[98:99] op_sel_hi:[1,0,1]
	s_set_vgpr_msb 4                        ;  msbs: dst=0 src0=0 src1=1 src2=0
	v_pk_add_f32 v[102:103], v[102:103], v[2:3] /*v[258:259]*/
	s_set_vgpr_msb 0                        ;  msbs: dst=0 src0=0 src1=0 src2=0
	v_pk_mul_f32 v[100:101], v[250:251], v[100:101] op_sel_hi:[1,0]
	v_mov_b32_e32 v97, v105
	s_wait_loadcnt 0x2
	v_pk_mul_f32 v[106:107], v[182:183], v[162:163] op_sel:[1,1] op_sel_hi:[0,1]
	v_pk_fma_f32 v[98:99], v[174:175], v[158:159], v[98:99] neg_lo:[0,0,1] neg_hi:[0,0,1]
	v_pk_add_f32 v[94:95], v[102:103], v[94:95]
	v_dual_mov_b32 v102, v165 :: v_dual_mov_b32 v99, v109
	v_pk_fma_f32 v[104:105], v[176:177], v[160:161], v[100:101] op_sel_hi:[1,0,1]
	v_pk_fma_f32 v[100:101], v[176:177], v[160:161], v[100:101] neg_lo:[0,0,1] neg_hi:[0,0,1]
	s_delay_alu instid0(VALU_DEP_4)
	v_pk_add_f32 v[94:95], v[94:95], v[96:97]
	v_pk_fma_f32 v[96:97], v[182:183], v[162:163], v[106:107] op_sel_hi:[1,0,1]
	v_pk_mul_f32 v[102:103], v[252:253], v[102:103] op_sel_hi:[1,0]
	v_mov_b32_e32 v101, v105
	v_pk_fma_f32 v[104:105], v[182:183], v[162:163], v[106:107] neg_lo:[0,0,1] neg_hi:[0,0,1]
	v_pk_add_f32 v[94:95], v[94:95], v[98:99]
	v_mov_b32_e32 v105, v97
	v_pk_fma_f32 v[96:97], v[184:185], v[164:165], v[102:103] op_sel_hi:[1,0,1]
	s_wait_loadcnt 0x1
	v_pk_mul_f32 v[98:99], v[186:187], v[166:167] op_sel:[1,1] op_sel_hi:[0,1]
	v_mov_b32_e32 v96, v169
	v_pk_add_f32 v[94:95], v[94:95], v[100:101]
	v_pk_fma_f32 v[102:103], v[184:185], v[164:165], v[102:103] neg_lo:[0,0,1] neg_hi:[0,0,1]
	v_mov_b32_e32 v103, v97
	v_pk_fma_f32 v[100:101], v[186:187], v[166:167], v[98:99] op_sel_hi:[1,0,1]
	v_pk_mul_f32 v[96:97], v[254:255], v[96:97] op_sel_hi:[1,0]
	v_pk_add_f32 v[94:95], v[94:95], v[104:105]
	v_pk_fma_f32 v[98:99], v[186:187], v[166:167], v[98:99] neg_lo:[0,0,1] neg_hi:[0,0,1]
	s_delay_alu instid0(VALU_DEP_4) | instskip(NEXT) | instid1(VALU_DEP_4)
	v_mov_b32_e32 v99, v101
	v_pk_fma_f32 v[100:101], v[188:189], v[168:169], v[96:97] op_sel_hi:[1,0,1]
	s_delay_alu instid0(VALU_DEP_4) | instskip(SKIP_1) | instid1(VALU_DEP_3)
	v_pk_add_f32 v[94:95], v[94:95], v[102:103]
	v_pk_fma_f32 v[96:97], v[188:189], v[168:169], v[96:97] neg_lo:[0,0,1] neg_hi:[0,0,1]
	v_mov_b32_e32 v97, v101
	s_delay_alu instid0(VALU_DEP_3) | instskip(NEXT) | instid1(VALU_DEP_1)
	v_pk_add_f32 v[94:95], v[94:95], v[98:99]
	v_pk_add_f32 v[94:95], v[94:95], v[96:97]
	s_wait_loadcnt 0x0
	s_delay_alu instid0(VALU_DEP_1)
	v_pk_add_f32 v[94:95], v[246:247], v[94:95] neg_lo:[0,1] neg_hi:[0,1]
	scratch_store_b64 off, v[94:95], off offset:56
	s_wait_xcnt 0x0
	v_cmpx_lt_u32_e32 6, v0
	s_cbranch_execz .LBB45_277
; %bb.276:
	scratch_load_b64 v[94:95], off, off offset:48
	v_mov_b64_e32 v[96:97], 0
	scratch_store_b64 off, v[96:97], off offset:48
	s_wait_loadcnt 0x0
	ds_store_b64 v1, v[94:95]
.LBB45_277:
	s_wait_xcnt 0x0
	s_or_b32 exec_lo, exec_lo, s0
	s_wait_storecnt_dscnt 0x0
	s_barrier_signal -1
	s_barrier_wait -1
	s_clause 0x14
	scratch_load_b128 v[94:97], off, off offset:56
	scratch_load_b128 v[98:101], off, off offset:72
	;; [unrolled: 1-line block ×19, first 2 shown]
	scratch_load_b64 v[246:247], off, off offset:360
	scratch_load_b64 v[248:249], off, off offset:48
	v_mov_b32_e32 v7, 0
	ds_load_2addr_b64 v[170:173], v7 offset0:83 offset1:84
	ds_load_2addr_b64 v[174:177], v7 offset0:81 offset1:82
	;; [unrolled: 1-line block ×19, first 2 shown]
	ds_load_b64 v[250:251], v7 offset:728
	s_wait_dscnt 0x13
	v_dual_mov_b32 v252, v173 :: v_dual_mov_b32 v253, v172
	s_wait_dscnt 0x11
	v_dual_mov_b32 v254, v181 :: v_dual_mov_b32 v255, v180
	s_wait_dscnt 0x10
	s_set_vgpr_msb 64                       ;  msbs: dst=1 src0=0 src1=0 src2=0
	v_dual_mov_b32 v0 /*v256*/, v185 :: v_dual_mov_b32 v1 /*v257*/, v184
	s_wait_dscnt 0xd
	v_dual_mov_b32 v2 /*v258*/, v197 :: v_dual_mov_b32 v3 /*v259*/, v196
	s_mov_b32 s0, exec_lo
	s_wait_loadcnt 0x14
	s_set_vgpr_msb 0                        ;  msbs: dst=0 src0=0 src1=0 src2=0
	v_dual_mul_f32 v9, v186, v95 :: v_dual_mul_f32 v67, v187, v95
	v_dual_mul_f32 v69, v189, v97 :: v_dual_mul_f32 v11, v188, v97
	s_wait_loadcnt 0x13
	v_mul_f32_e32 v13, v190, v99
	s_wait_loadcnt_dscnt 0x110b
	v_dual_mul_f32 v79, v203, v107 :: v_dual_fma_f32 v67, v186, v94, -v67
	v_dual_fmac_f32 v9, v187, v94 :: v_dual_mul_f32 v81, v205, v109
	v_dual_mul_f32 v71, v191, v99 :: v_dual_mul_f32 v73, v193, v101
	v_dual_fmac_f32 v11, v189, v96 :: v_dual_fma_f32 v69, v188, v96, -v69
	s_delay_alu instid0(VALU_DEP_3) | instskip(SKIP_3) | instid1(VALU_DEP_3)
	v_dual_add_f32 v9, 0, v9 :: v_dual_add_f32 v67, 0, v67
	v_dual_mul_f32 v15, v192, v101 :: v_dual_mul_f32 v17, v198, v103
	s_wait_loadcnt_dscnt 0x100a
	v_dual_mul_f32 v83, v207, v111 :: v_dual_fma_f32 v71, v190, v98, -v71
	v_dual_fmac_f32 v13, v191, v98 :: v_dual_add_f32 v9, v9, v11
	s_delay_alu instid0(VALU_DEP_3) | instskip(SKIP_2) | instid1(VALU_DEP_3)
	v_dual_add_f32 v11, v67, v69 :: v_dual_fmac_f32 v15, v193, v100
	v_dual_mul_f32 v75, v199, v103 :: v_dual_mul_f32 v77, v201, v105
	v_dual_mul_f32 v67, v209, v113 :: v_dual_fma_f32 v69, v192, v100, -v73
	v_dual_add_f32 v9, v9, v13 :: v_dual_add_f32 v11, v11, v71
	v_dual_mul_f32 v19, v200, v105 :: v_dual_mul_f32 v21, v202, v107
	s_wait_loadcnt_dscnt 0xf09
	v_dual_mul_f32 v13, v211, v115 :: v_dual_fma_f32 v71, v198, v102, -v75
	s_delay_alu instid0(VALU_DEP_3) | instskip(NEXT) | instid1(VALU_DEP_3)
	v_dual_fmac_f32 v17, v199, v102 :: v_dual_add_f32 v9, v9, v15
	v_dual_add_f32 v11, v11, v69 :: v_dual_fmac_f32 v19, v201, v104
	v_dual_mul_f32 v15, v213, v117 :: v_dual_fma_f32 v69, v200, v104, -v77
	s_delay_alu instid0(VALU_DEP_2) | instskip(SKIP_3) | instid1(VALU_DEP_3)
	v_dual_add_f32 v9, v9, v17 :: v_dual_add_f32 v11, v11, v71
	v_dual_mul_f32 v23, v204, v109 :: v_dual_mul_f32 v25, v206, v111
	s_wait_loadcnt_dscnt 0xe08
	v_dual_mul_f32 v17, v215, v119 :: v_dual_fma_f32 v71, v202, v106, -v79
	v_dual_fmac_f32 v21, v203, v106 :: v_dual_add_f32 v9, v9, v19
	s_delay_alu instid0(VALU_DEP_3) | instskip(SKIP_1) | instid1(VALU_DEP_2)
	v_dual_add_f32 v11, v11, v69 :: v_dual_fmac_f32 v23, v205, v108
	v_dual_mul_f32 v19, v217, v121 :: v_dual_fma_f32 v69, v204, v108, -v81
	v_dual_add_f32 v9, v9, v21 :: v_dual_add_f32 v11, v11, v71
	v_dual_mul_f32 v27, v208, v113 :: v_dual_mul_f32 v29, v210, v115
	s_wait_loadcnt_dscnt 0xd07
	v_dual_mul_f32 v21, v219, v123 :: v_dual_fma_f32 v71, v206, v110, -v83
	s_delay_alu instid0(VALU_DEP_3) | instskip(NEXT) | instid1(VALU_DEP_3)
	v_dual_fmac_f32 v25, v207, v110 :: v_dual_add_f32 v9, v9, v23
	v_dual_add_f32 v11, v11, v69 :: v_dual_fmac_f32 v27, v209, v112
	v_dual_mul_f32 v23, v221, v125 :: v_dual_fma_f32 v67, v208, v112, -v67
	s_delay_alu instid0(VALU_DEP_2) | instskip(SKIP_3) | instid1(VALU_DEP_3)
	v_dual_add_f32 v9, v9, v25 :: v_dual_add_f32 v11, v11, v71
	v_dual_mul_f32 v31, v212, v117 :: v_dual_mul_f32 v33, v214, v119
	s_wait_loadcnt_dscnt 0xc06
	v_dual_mul_f32 v25, v223, v127 :: v_dual_fma_f32 v13, v210, v114, -v13
	v_dual_fmac_f32 v29, v211, v114 :: v_dual_add_f32 v9, v9, v27
	v_dual_add_f32 v11, v11, v67 :: v_dual_mul_f32 v27, v225, v129
	v_fmac_f32_e32 v31, v213, v116
	s_delay_alu instid0(VALU_DEP_3) | instskip(NEXT) | instid1(VALU_DEP_3)
	v_dual_fma_f32 v15, v212, v116, -v15 :: v_dual_add_f32 v9, v9, v29
	v_add_f32_e32 v11, v11, v13
	v_dual_mul_f32 v35, v216, v121 :: v_dual_mul_f32 v37, v218, v123
	s_wait_loadcnt_dscnt 0xb05
	v_dual_mul_f32 v13, v227, v131 :: v_dual_fma_f32 v17, v214, v118, -v17
	v_dual_fmac_f32 v33, v215, v118 :: v_dual_add_f32 v9, v9, v31
	v_dual_add_f32 v11, v11, v15 :: v_dual_mul_f32 v15, v229, v133
	v_fmac_f32_e32 v35, v217, v120
	s_delay_alu instid0(VALU_DEP_3) | instskip(NEXT) | instid1(VALU_DEP_3)
	v_dual_fma_f32 v19, v216, v120, -v19 :: v_dual_add_f32 v9, v9, v33
	v_add_f32_e32 v11, v11, v17
	;; [unrolled: 9-line block ×6, first 2 shown]
	v_dual_mul_f32 v55, v236, v141 :: v_dual_mul_f32 v57, v238, v143
	s_wait_loadcnt 0x6
	v_dual_mul_f32 v17, v175, v151 :: v_dual_fma_f32 v21, v234, v138, -v21
	v_dual_fmac_f32 v53, v235, v138 :: v_dual_add_f32 v9, v9, v51
	v_dual_add_f32 v11, v11, v19 :: v_dual_mul_f32 v19, v177, v153
	v_fmac_f32_e32 v55, v237, v140
	s_delay_alu instid0(VALU_DEP_3) | instskip(NEXT) | instid1(VALU_DEP_3)
	v_dual_fma_f32 v23, v236, v140, -v23 :: v_dual_add_f32 v9, v9, v53
	v_add_f32_e32 v11, v11, v21
	v_dual_mul_f32 v59, v240, v145 :: v_dual_mul_f32 v61, v242, v147
	s_wait_loadcnt 0x5
	v_dual_mul_f32 v21, v171, v155 :: v_dual_fma_f32 v25, v238, v142, -v25
	v_dual_fmac_f32 v57, v239, v142 :: v_dual_add_f32 v9, v9, v55
	v_dual_add_f32 v11, v11, v23 :: v_dual_mov_b32 v94, v157
	v_fmac_f32_e32 v59, v241, v144
	s_delay_alu instid0(VALU_DEP_3) | instskip(NEXT) | instid1(VALU_DEP_3)
	v_dual_fma_f32 v23, v240, v144, -v27 :: v_dual_add_f32 v9, v9, v57
	v_add_f32_e32 v11, v11, v25
	v_dual_mul_f32 v63, v244, v149 :: v_dual_mul_f32 v65, v174, v151
	s_delay_alu instid0(VALU_DEP_3) | instskip(NEXT) | instid1(VALU_DEP_3)
	v_dual_fmac_f32 v61, v243, v146 :: v_dual_add_f32 v9, v9, v59
	v_dual_fma_f32 v13, v242, v146, -v13 :: v_dual_add_f32 v11, v11, v23
	s_wait_loadcnt 0x4
	v_dual_mov_b32 v98, v161 :: v_dual_fma_f32 v15, v244, v148, -v15
	v_fmac_f32_e32 v63, v245, v148
	v_dual_add_f32 v9, v9, v61 :: v_dual_fmac_f32 v65, v175, v150
	v_add_f32_e32 v11, v11, v13
	s_set_vgpr_msb 64                       ;  msbs: dst=1 src0=0 src1=0 src2=0
	v_dual_mul_f32 v5 /*v261*/, v176, v153 :: v_dual_mul_f32 v7 /*v263*/, v170, v155
	s_set_vgpr_msb 0                        ;  msbs: dst=0 src0=0 src1=0 src2=0
	v_dual_fma_f32 v13, v174, v150, -v17 :: v_dual_add_f32 v9, v9, v63
	v_add_f32_e32 v11, v11, v15
	s_set_vgpr_msb 64                       ;  msbs: dst=1 src0=0 src1=0 src2=0
	v_dual_fmac_f32 v5 /*v261*/, v177, v152 :: v_dual_fmac_f32 v7 /*v263*/, v171, v154
	v_dual_fma_f32 v4 /*v260*/, v176, v152, -v19 :: v_dual_fma_f32 v6 /*v262*/, v170, v154, -v21
	s_set_vgpr_msb 0                        ;  msbs: dst=0 src0=0 src1=0 src2=0
	v_pk_mul_f32 v[94:95], v[252:253], v[94:95] op_sel_hi:[1,0]
	v_add_f32_e32 v103, v9, v65
	s_wait_loadcnt 0x3
	v_dual_add_f32 v102, v11, v13 :: v_dual_mov_b32 v104, v165
	v_pk_mul_f32 v[96:97], v[178:179], v[158:159] op_sel:[1,1] op_sel_hi:[0,1]
	v_pk_fma_f32 v[106:107], v[172:173], v[156:157], v[94:95] op_sel_hi:[1,0,1]
	v_pk_fma_f32 v[94:95], v[172:173], v[156:157], v[94:95] neg_lo:[0,0,1] neg_hi:[0,0,1]
	s_set_vgpr_msb 4                        ;  msbs: dst=0 src0=0 src1=1 src2=0
	v_pk_add_f32 v[102:103], v[102:103], v[4:5] /*v[260:261]*/
	s_set_vgpr_msb 0                        ;  msbs: dst=0 src0=0 src1=0 src2=0
	v_pk_mul_f32 v[98:99], v[254:255], v[98:99] op_sel_hi:[1,0]
	v_pk_fma_f32 v[108:109], v[178:179], v[158:159], v[96:97] op_sel_hi:[1,0,1]
	v_mov_b32_e32 v95, v107
	v_pk_fma_f32 v[96:97], v[178:179], v[158:159], v[96:97] neg_lo:[0,0,1] neg_hi:[0,0,1]
	s_set_vgpr_msb 4                        ;  msbs: dst=0 src0=0 src1=1 src2=0
	v_pk_add_f32 v[102:103], v[102:103], v[6:7] /*v[262:263]*/
	s_set_vgpr_msb 0                        ;  msbs: dst=0 src0=0 src1=0 src2=0
	v_pk_mul_f32 v[100:101], v[182:183], v[162:163] op_sel:[1,1] op_sel_hi:[0,1]
	v_mov_b32_e32 v97, v109
	v_pk_fma_f32 v[108:109], v[180:181], v[160:161], v[98:99] op_sel_hi:[1,0,1]
	v_pk_fma_f32 v[98:99], v[180:181], v[160:161], v[98:99] neg_lo:[0,0,1] neg_hi:[0,0,1]
	v_pk_add_f32 v[94:95], v[102:103], v[94:95]
	v_pk_fma_f32 v[102:103], v[182:183], v[162:163], v[100:101] op_sel_hi:[1,0,1]
	s_set_vgpr_msb 1                        ;  msbs: dst=0 src0=1 src1=0 src2=0
	v_pk_mul_f32 v[104:105], v[0:1] /*v[256:257]*/, v[104:105] op_sel_hi:[1,0]
	s_set_vgpr_msb 0                        ;  msbs: dst=0 src0=0 src1=0 src2=0
	v_mov_b32_e32 v99, v109
	v_pk_fma_f32 v[100:101], v[182:183], v[162:163], v[100:101] neg_lo:[0,0,1] neg_hi:[0,0,1]
	v_pk_add_f32 v[94:95], v[94:95], v[96:97]
	s_wait_loadcnt 0x2
	v_pk_mul_f32 v[106:107], v[194:195], v[166:167] op_sel:[1,1] op_sel_hi:[0,1]
	v_dual_mov_b32 v96, v169 :: v_dual_mov_b32 v101, v103
	v_pk_fma_f32 v[102:103], v[184:185], v[164:165], v[104:105] op_sel_hi:[1,0,1]
	v_pk_add_f32 v[94:95], v[94:95], v[98:99]
	v_pk_fma_f32 v[104:105], v[184:185], v[164:165], v[104:105] neg_lo:[0,0,1] neg_hi:[0,0,1]
	v_pk_fma_f32 v[98:99], v[194:195], v[166:167], v[106:107] op_sel_hi:[1,0,1]
	s_set_vgpr_msb 1                        ;  msbs: dst=0 src0=1 src1=0 src2=0
	v_pk_mul_f32 v[96:97], v[2:3] /*v[258:259]*/, v[96:97] op_sel_hi:[1,0]
	s_set_vgpr_msb 0                        ;  msbs: dst=0 src0=0 src1=0 src2=0
	v_mov_b32_e32 v105, v103
	v_pk_add_f32 v[94:95], v[94:95], v[100:101]
	v_pk_fma_f32 v[100:101], v[194:195], v[166:167], v[106:107] neg_lo:[0,0,1] neg_hi:[0,0,1]
	v_mov_b32_e32 v101, v99
	v_pk_fma_f32 v[98:99], v[196:197], v[168:169], v[96:97] op_sel_hi:[1,0,1]
	s_wait_loadcnt_dscnt 0x100
	v_pk_mul_f32 v[102:103], v[250:251], v[246:247] op_sel:[1,1] op_sel_hi:[0,1]
	v_pk_add_f32 v[94:95], v[94:95], v[104:105]
	v_pk_fma_f32 v[96:97], v[196:197], v[168:169], v[96:97] neg_lo:[0,0,1] neg_hi:[0,0,1]
	v_mov_b32_e32 v97, v99
	s_delay_alu instid0(VALU_DEP_4) | instskip(NEXT) | instid1(VALU_DEP_4)
	v_pk_fma_f32 v[98:99], v[250:251], v[246:247], v[102:103] op_sel_hi:[1,0,1]
	v_pk_add_f32 v[94:95], v[94:95], v[100:101]
	v_pk_fma_f32 v[100:101], v[250:251], v[246:247], v[102:103] neg_lo:[0,0,1] neg_hi:[0,0,1]
	s_delay_alu instid0(VALU_DEP_3) | instskip(NEXT) | instid1(VALU_DEP_3)
	v_mov_b32_e32 v101, v99
	v_pk_add_f32 v[94:95], v[94:95], v[96:97]
	s_delay_alu instid0(VALU_DEP_1) | instskip(SKIP_1) | instid1(VALU_DEP_1)
	v_pk_add_f32 v[94:95], v[94:95], v[100:101]
	s_wait_loadcnt 0x0
	v_pk_add_f32 v[94:95], v[248:249], v[94:95] neg_lo:[0,1] neg_hi:[0,1]
	scratch_store_b64 off, v[94:95], off offset:48
	s_wait_xcnt 0x0
	v_cmpx_lt_u32_e32 5, v0
	s_cbranch_execz .LBB45_279
; %bb.278:
	scratch_load_b64 v[94:95], off, off offset:40
	v_mov_b64_e32 v[96:97], 0
	scratch_store_b64 off, v[96:97], off offset:40
	s_wait_loadcnt 0x0
	ds_store_b64 v1, v[94:95]
.LBB45_279:
	s_wait_xcnt 0x0
	s_or_b32 exec_lo, exec_lo, s0
	s_wait_storecnt_dscnt 0x0
	s_barrier_signal -1
	s_barrier_wait -1
	s_clause 0x14
	scratch_load_b128 v[94:97], off, off offset:48
	scratch_load_b128 v[98:101], off, off offset:64
	;; [unrolled: 1-line block ×20, first 2 shown]
	scratch_load_b64 v[254:255], off, off offset:40
	ds_load_b128 v[174:177], v7 offset:672
	ds_load_b128 v[178:181], v7 offset:688
	;; [unrolled: 1-line block ×20, first 2 shown]
	s_wait_dscnt 0x13
	s_set_vgpr_msb 64                       ;  msbs: dst=1 src0=0 src1=0 src2=0
	v_dual_mov_b32 v0 /*v256*/, v177 :: v_dual_mov_b32 v1 /*v257*/, v176
	s_wait_dscnt 0x12
	v_dual_mov_b32 v2 /*v258*/, v181 :: v_dual_mov_b32 v3 /*v259*/, v180
	s_wait_dscnt 0xf
	;; [unrolled: 2-line block ×3, first 2 shown]
	v_dual_mov_b32 v6 /*v262*/, v197 :: v_dual_mov_b32 v7 /*v263*/, v196
	s_mov_b32 s0, exec_lo
	s_wait_loadcnt 0x14
	s_set_vgpr_msb 0                        ;  msbs: dst=0 src0=0 src1=0 src2=0
	v_dual_mul_f32 v7, v182, v95 :: v_dual_mul_f32 v9, v184, v97
	v_dual_mul_f32 v67, v183, v95 :: v_dual_mul_f32 v69, v185, v97
	s_wait_loadcnt 0x13
	v_dual_mul_f32 v11, v186, v99 :: v_dual_mul_f32 v13, v188, v101
	s_delay_alu instid0(VALU_DEP_3) | instskip(SKIP_3) | instid1(VALU_DEP_3)
	v_dual_fmac_f32 v7, v183, v94 :: v_dual_fmac_f32 v9, v185, v96
	s_wait_loadcnt_dscnt 0x110c
	v_dual_fma_f32 v67, v182, v94, -v67 :: v_dual_mul_f32 v79, v203, v107
	v_dual_mul_f32 v71, v187, v99 :: v_dual_mul_f32 v73, v189, v101
	v_dual_fma_f32 v69, v184, v96, -v69 :: v_dual_add_f32 v7, 0, v7
	s_delay_alu instid0(VALU_DEP_3) | instskip(SKIP_1) | instid1(VALU_DEP_3)
	v_dual_add_f32 v67, 0, v67 :: v_dual_mul_f32 v81, v205, v109
	v_dual_fmac_f32 v11, v187, v98 :: v_dual_fmac_f32 v13, v189, v100
	v_dual_fma_f32 v71, v186, v98, -v71 :: v_dual_add_f32 v7, v7, v9
	s_delay_alu instid0(VALU_DEP_3) | instskip(SKIP_2) | instid1(VALU_DEP_4)
	v_dual_add_f32 v9, v67, v69 :: v_dual_fma_f32 v69, v188, v100, -v73
	v_dual_mul_f32 v15, v198, v103 :: v_dual_mul_f32 v17, v200, v105
	v_dual_mul_f32 v75, v199, v103 :: v_dual_mul_f32 v77, v201, v105
	v_add_f32_e32 v7, v7, v11
	s_delay_alu instid0(VALU_DEP_3) | instskip(NEXT) | instid1(VALU_DEP_3)
	v_dual_add_f32 v9, v9, v71 :: v_dual_fmac_f32 v15, v199, v102
	v_fma_f32 v71, v198, v102, -v75
	v_dual_mul_f32 v19, v202, v107 :: v_dual_mul_f32 v21, v204, v109
	s_delay_alu instid0(VALU_DEP_4) | instskip(SKIP_2) | instid1(VALU_DEP_2)
	v_dual_add_f32 v7, v7, v13 :: v_dual_fmac_f32 v17, v201, v104
	s_wait_loadcnt_dscnt 0xf0a
	v_dual_add_f32 v9, v9, v69 :: v_dual_mul_f32 v13, v211, v115
	v_dual_fma_f32 v69, v200, v104, -v77 :: v_dual_add_f32 v7, v7, v15
	v_mul_f32_e32 v15, v213, v117
	s_delay_alu instid0(VALU_DEP_3) | instskip(NEXT) | instid1(VALU_DEP_3)
	v_dual_add_f32 v9, v9, v71 :: v_dual_fmac_f32 v19, v203, v106
	v_dual_fma_f32 v71, v202, v106, -v79 :: v_dual_add_f32 v7, v7, v17
	v_fmac_f32_e32 v21, v205, v108
	s_wait_loadcnt_dscnt 0xe09
	s_delay_alu instid0(VALU_DEP_3) | instskip(SKIP_3) | instid1(VALU_DEP_3)
	v_dual_add_f32 v9, v9, v69 :: v_dual_mul_f32 v17, v215, v119
	v_dual_mul_f32 v23, v206, v111 :: v_dual_mul_f32 v25, v208, v113
	v_dual_mul_f32 v67, v207, v111 :: v_dual_mul_f32 v11, v209, v113
	v_dual_fma_f32 v69, v204, v108, -v81 :: v_dual_add_f32 v7, v7, v19
	v_dual_add_f32 v9, v9, v71 :: v_dual_fmac_f32 v23, v207, v110
	s_delay_alu instid0(VALU_DEP_3) | instskip(NEXT) | instid1(VALU_DEP_3)
	v_dual_mul_f32 v19, v217, v121 :: v_dual_fma_f32 v67, v206, v110, -v67
	v_dual_add_f32 v7, v7, v21 :: v_dual_fmac_f32 v25, v209, v112
	s_wait_loadcnt_dscnt 0xd08
	s_delay_alu instid0(VALU_DEP_3) | instskip(SKIP_1) | instid1(VALU_DEP_3)
	v_dual_add_f32 v9, v9, v69 :: v_dual_mul_f32 v21, v219, v123
	v_dual_mul_f32 v27, v210, v115 :: v_dual_mul_f32 v29, v212, v117
	v_dual_fma_f32 v11, v208, v112, -v11 :: v_dual_add_f32 v7, v7, v23
	s_delay_alu instid0(VALU_DEP_2) | instskip(SKIP_1) | instid1(VALU_DEP_2)
	v_dual_add_f32 v9, v9, v67 :: v_dual_fmac_f32 v27, v211, v114
	v_dual_mul_f32 v23, v221, v125 :: v_dual_fma_f32 v13, v210, v114, -v13
	v_dual_add_f32 v7, v7, v25 :: v_dual_add_f32 v9, v9, v11
	v_dual_mul_f32 v31, v214, v119 :: v_dual_mul_f32 v33, v216, v121
	s_wait_loadcnt_dscnt 0xc07
	v_dual_mul_f32 v11, v223, v127 :: v_dual_fmac_f32 v29, v213, v116
	s_delay_alu instid0(VALU_DEP_3) | instskip(NEXT) | instid1(VALU_DEP_3)
	v_dual_fma_f32 v15, v212, v116, -v15 :: v_dual_add_f32 v7, v7, v27
	v_dual_add_f32 v9, v9, v13 :: v_dual_fmac_f32 v31, v215, v118
	v_dual_mul_f32 v13, v225, v129 :: v_dual_fma_f32 v17, v214, v118, -v17
	s_delay_alu instid0(VALU_DEP_2) | instskip(SKIP_3) | instid1(VALU_DEP_3)
	v_dual_add_f32 v7, v7, v29 :: v_dual_add_f32 v9, v9, v15
	v_dual_mul_f32 v35, v218, v123 :: v_dual_mul_f32 v37, v220, v125
	s_wait_loadcnt_dscnt 0xb06
	v_dual_mul_f32 v15, v227, v131 :: v_dual_fmac_f32 v33, v217, v120
	v_dual_fma_f32 v19, v216, v120, -v19 :: v_dual_add_f32 v7, v7, v31
	s_delay_alu instid0(VALU_DEP_3) | instskip(SKIP_1) | instid1(VALU_DEP_2)
	v_dual_add_f32 v9, v9, v17 :: v_dual_fmac_f32 v35, v219, v122
	v_dual_mul_f32 v17, v229, v133 :: v_dual_fma_f32 v21, v218, v122, -v21
	v_dual_add_f32 v7, v7, v33 :: v_dual_add_f32 v9, v9, v19
	v_dual_mul_f32 v39, v222, v127 :: v_dual_mul_f32 v41, v224, v129
	s_wait_loadcnt_dscnt 0xa05
	v_dual_mul_f32 v19, v231, v135 :: v_dual_fmac_f32 v37, v221, v124
	s_delay_alu instid0(VALU_DEP_3) | instskip(NEXT) | instid1(VALU_DEP_3)
	v_dual_fma_f32 v23, v220, v124, -v23 :: v_dual_add_f32 v7, v7, v35
	v_dual_add_f32 v9, v9, v21 :: v_dual_fmac_f32 v39, v223, v126
	v_dual_mul_f32 v21, v233, v137 :: v_dual_fma_f32 v11, v222, v126, -v11
	s_delay_alu instid0(VALU_DEP_2) | instskip(SKIP_3) | instid1(VALU_DEP_3)
	v_dual_add_f32 v7, v7, v37 :: v_dual_add_f32 v9, v9, v23
	v_dual_mul_f32 v43, v226, v131 :: v_dual_mul_f32 v45, v228, v133
	s_wait_loadcnt_dscnt 0x904
	v_dual_mul_f32 v23, v235, v139 :: v_dual_fmac_f32 v41, v225, v128
	v_dual_fma_f32 v13, v224, v128, -v13 :: v_dual_add_f32 v7, v7, v39
	s_delay_alu instid0(VALU_DEP_3) | instskip(SKIP_1) | instid1(VALU_DEP_3)
	v_dual_add_f32 v9, v9, v11 :: v_dual_fmac_f32 v43, v227, v130
	v_dual_mul_f32 v11, v237, v141 :: v_dual_fma_f32 v15, v226, v130, -v15
	v_dual_add_f32 v7, v7, v41 :: v_dual_fmac_f32 v45, v229, v132
	s_wait_loadcnt_dscnt 0x803
	s_delay_alu instid0(VALU_DEP_3) | instskip(SKIP_1) | instid1(VALU_DEP_3)
	v_dual_add_f32 v9, v9, v13 :: v_dual_mul_f32 v13, v239, v143
	v_dual_mul_f32 v47, v230, v135 :: v_dual_mul_f32 v49, v232, v137
	v_dual_fma_f32 v17, v228, v132, -v17 :: v_dual_add_f32 v7, v7, v43
	s_delay_alu instid0(VALU_DEP_2) | instskip(SKIP_1) | instid1(VALU_DEP_3)
	v_dual_add_f32 v9, v9, v15 :: v_dual_fmac_f32 v47, v231, v134
	v_dual_mul_f32 v15, v241, v145 :: v_dual_fma_f32 v19, v230, v134, -v19
	v_dual_add_f32 v7, v7, v45 :: v_dual_fmac_f32 v49, v233, v136
	s_wait_loadcnt_dscnt 0x702
	s_delay_alu instid0(VALU_DEP_3) | instskip(SKIP_1) | instid1(VALU_DEP_3)
	v_dual_add_f32 v9, v9, v17 :: v_dual_mul_f32 v17, v243, v147
	v_dual_mul_f32 v51, v234, v139 :: v_dual_mul_f32 v53, v236, v141
	v_dual_fma_f32 v21, v232, v136, -v21 :: v_dual_add_f32 v7, v7, v47
	s_delay_alu instid0(VALU_DEP_2) | instskip(SKIP_1) | instid1(VALU_DEP_3)
	v_dual_add_f32 v9, v9, v19 :: v_dual_fmac_f32 v51, v235, v138
	v_dual_mul_f32 v19, v245, v149 :: v_dual_fma_f32 v23, v234, v138, -v23
	v_dual_add_f32 v7, v7, v49 :: v_dual_fmac_f32 v53, v237, v140
	s_wait_loadcnt_dscnt 0x601
	s_delay_alu instid0(VALU_DEP_3) | instskip(SKIP_1) | instid1(VALU_DEP_3)
	v_dual_add_f32 v9, v9, v21 :: v_dual_mul_f32 v21, v247, v151
	v_dual_mul_f32 v55, v238, v143 :: v_dual_mul_f32 v57, v240, v145
	v_dual_fma_f32 v11, v236, v140, -v11 :: v_dual_add_f32 v7, v7, v51
	s_delay_alu instid0(VALU_DEP_2) | instskip(SKIP_1) | instid1(VALU_DEP_2)
	v_dual_add_f32 v9, v9, v23 :: v_dual_fmac_f32 v55, v239, v142
	v_dual_mul_f32 v23, v249, v153 :: v_dual_fma_f32 v13, v238, v142, -v13
	v_dual_add_f32 v7, v7, v53 :: v_dual_add_f32 v9, v9, v11
	v_dual_mul_f32 v59, v242, v147 :: v_dual_mul_f32 v61, v244, v149
	s_wait_loadcnt_dscnt 0x500
	v_dual_mul_f32 v11, v251, v155 :: v_dual_fmac_f32 v57, v241, v144
	s_delay_alu instid0(VALU_DEP_3) | instskip(NEXT) | instid1(VALU_DEP_3)
	v_dual_fma_f32 v15, v240, v144, -v15 :: v_dual_add_f32 v7, v7, v55
	v_dual_add_f32 v9, v9, v13 :: v_dual_fmac_f32 v59, v243, v146
	v_dual_mul_f32 v13, v253, v157 :: v_dual_fma_f32 v17, v242, v146, -v17
	s_delay_alu instid0(VALU_DEP_2) | instskip(SKIP_2) | instid1(VALU_DEP_3)
	v_dual_add_f32 v7, v7, v57 :: v_dual_add_f32 v9, v9, v15
	v_dual_mul_f32 v63, v246, v151 :: v_dual_mul_f32 v65, v248, v153
	v_dual_fmac_f32 v61, v245, v148 :: v_dual_fma_f32 v15, v244, v148, -v19
	v_dual_add_f32 v7, v7, v59 :: v_dual_add_f32 v9, v9, v17
	s_wait_loadcnt 0x4
	s_delay_alu instid0(VALU_DEP_3) | instskip(NEXT) | instid1(VALU_DEP_2)
	v_dual_mov_b32 v96, v161 :: v_dual_fmac_f32 v63, v247, v150
	v_dual_fma_f32 v17, v246, v150, -v21 :: v_dual_add_f32 v7, v7, v61
	s_delay_alu instid0(VALU_DEP_3)
	v_dual_add_f32 v9, v9, v15 :: v_dual_fma_f32 v15, v248, v152, -v23
	s_set_vgpr_msb 64                       ;  msbs: dst=1 src0=0 src1=0 src2=0
	v_dual_mul_f32 v9 /*v265*/, v250, v155 :: v_dual_mul_f32 v11 /*v267*/, v252, v157
	s_set_vgpr_msb 0                        ;  msbs: dst=0 src0=0 src1=0 src2=0
	v_dual_fmac_f32 v65, v249, v152 :: v_dual_add_f32 v7, v7, v63
	v_add_f32_e32 v9, v9, v17
	v_pk_mul_f32 v[94:95], v[174:175], v[158:159] op_sel:[1,1] op_sel_hi:[0,1]
	s_wait_loadcnt 0x3
	v_mov_b32_e32 v100, v165
	s_set_vgpr_msb 64                       ;  msbs: dst=1 src0=0 src1=0 src2=0
	v_dual_fmac_f32 v9 /*v265*/, v251, v154 :: v_dual_fmac_f32 v11 /*v267*/, v253, v156
	v_dual_fma_f32 v8 /*v264*/, v250, v154, -v11 :: v_dual_fma_f32 v10 /*v266*/, v252, v156, -v13
	s_set_vgpr_msb 0                        ;  msbs: dst=0 src0=0 src1=0 src2=0
	v_dual_add_f32 v103, v7, v65 :: v_dual_add_f32 v102, v9, v15
	v_pk_fma_f32 v[104:105], v[174:175], v[158:159], v[94:95] op_sel_hi:[1,0,1]
	s_set_vgpr_msb 1                        ;  msbs: dst=0 src0=1 src1=0 src2=0
	v_pk_mul_f32 v[96:97], v[0:1] /*v[256:257]*/, v[96:97] op_sel_hi:[1,0]
	s_set_vgpr_msb 0                        ;  msbs: dst=0 src0=0 src1=0 src2=0
	v_pk_fma_f32 v[94:95], v[174:175], v[158:159], v[94:95] neg_lo:[0,0,1] neg_hi:[0,0,1]
	v_pk_mul_f32 v[98:99], v[178:179], v[162:163] op_sel:[1,1] op_sel_hi:[0,1]
	s_set_vgpr_msb 4                        ;  msbs: dst=0 src0=0 src1=1 src2=0
	v_pk_add_f32 v[102:103], v[102:103], v[8:9] /*v[264:265]*/
	v_mov_b32_e32 v95, v105
	s_set_vgpr_msb 0                        ;  msbs: dst=0 src0=0 src1=0 src2=0
	v_pk_fma_f32 v[104:105], v[176:177], v[160:161], v[96:97] op_sel_hi:[1,0,1]
	v_pk_fma_f32 v[96:97], v[176:177], v[160:161], v[96:97] neg_lo:[0,0,1] neg_hi:[0,0,1]
	v_pk_fma_f32 v[108:109], v[178:179], v[162:163], v[98:99] op_sel_hi:[1,0,1]
	s_set_vgpr_msb 4                        ;  msbs: dst=0 src0=0 src1=1 src2=0
	v_pk_add_f32 v[102:103], v[102:103], v[10:11] /*v[266:267]*/
	s_set_vgpr_msb 1                        ;  msbs: dst=0 src0=1 src1=0 src2=0
	v_pk_mul_f32 v[100:101], v[2:3] /*v[258:259]*/, v[100:101] op_sel_hi:[1,0]
	s_set_vgpr_msb 0                        ;  msbs: dst=0 src0=0 src1=0 src2=0
	v_mov_b32_e32 v97, v105
	s_wait_loadcnt 0x2
	v_pk_mul_f32 v[106:107], v[190:191], v[166:167] op_sel:[1,1] op_sel_hi:[0,1]
	v_pk_fma_f32 v[98:99], v[178:179], v[162:163], v[98:99] neg_lo:[0,0,1] neg_hi:[0,0,1]
	v_pk_add_f32 v[94:95], v[102:103], v[94:95]
	v_dual_mov_b32 v102, v169 :: v_dual_mov_b32 v99, v109
	v_pk_fma_f32 v[104:105], v[180:181], v[164:165], v[100:101] op_sel_hi:[1,0,1]
	v_pk_fma_f32 v[100:101], v[180:181], v[164:165], v[100:101] neg_lo:[0,0,1] neg_hi:[0,0,1]
	s_delay_alu instid0(VALU_DEP_4)
	v_pk_add_f32 v[94:95], v[94:95], v[96:97]
	v_pk_fma_f32 v[96:97], v[190:191], v[166:167], v[106:107] op_sel_hi:[1,0,1]
	s_set_vgpr_msb 1                        ;  msbs: dst=0 src0=1 src1=0 src2=0
	v_pk_mul_f32 v[102:103], v[4:5] /*v[260:261]*/, v[102:103] op_sel_hi:[1,0]
	s_set_vgpr_msb 0                        ;  msbs: dst=0 src0=0 src1=0 src2=0
	v_mov_b32_e32 v101, v105
	v_pk_fma_f32 v[104:105], v[190:191], v[166:167], v[106:107] neg_lo:[0,0,1] neg_hi:[0,0,1]
	v_pk_add_f32 v[94:95], v[94:95], v[98:99]
	v_mov_b32_e32 v105, v97
	v_pk_fma_f32 v[96:97], v[192:193], v[168:169], v[102:103] op_sel_hi:[1,0,1]
	s_wait_loadcnt 0x1
	v_pk_mul_f32 v[98:99], v[194:195], v[170:171] op_sel:[1,1] op_sel_hi:[0,1]
	v_mov_b32_e32 v96, v173
	v_pk_add_f32 v[94:95], v[94:95], v[100:101]
	v_pk_fma_f32 v[102:103], v[192:193], v[168:169], v[102:103] neg_lo:[0,0,1] neg_hi:[0,0,1]
	v_mov_b32_e32 v103, v97
	v_pk_fma_f32 v[100:101], v[194:195], v[170:171], v[98:99] op_sel_hi:[1,0,1]
	s_set_vgpr_msb 1                        ;  msbs: dst=0 src0=1 src1=0 src2=0
	v_pk_mul_f32 v[96:97], v[6:7] /*v[262:263]*/, v[96:97] op_sel_hi:[1,0]
	s_set_vgpr_msb 0                        ;  msbs: dst=0 src0=0 src1=0 src2=0
	v_pk_add_f32 v[94:95], v[94:95], v[104:105]
	v_pk_fma_f32 v[98:99], v[194:195], v[170:171], v[98:99] neg_lo:[0,0,1] neg_hi:[0,0,1]
	v_mov_b32_e32 v99, v101
	v_pk_fma_f32 v[100:101], v[196:197], v[172:173], v[96:97] op_sel_hi:[1,0,1]
	s_delay_alu instid0(VALU_DEP_4) | instskip(SKIP_1) | instid1(VALU_DEP_3)
	v_pk_add_f32 v[94:95], v[94:95], v[102:103]
	v_pk_fma_f32 v[96:97], v[196:197], v[172:173], v[96:97] neg_lo:[0,0,1] neg_hi:[0,0,1]
	v_mov_b32_e32 v97, v101
	s_delay_alu instid0(VALU_DEP_3) | instskip(NEXT) | instid1(VALU_DEP_1)
	v_pk_add_f32 v[94:95], v[94:95], v[98:99]
	v_pk_add_f32 v[94:95], v[94:95], v[96:97]
	s_wait_loadcnt 0x0
	s_delay_alu instid0(VALU_DEP_1)
	v_pk_add_f32 v[94:95], v[254:255], v[94:95] neg_lo:[0,1] neg_hi:[0,1]
	scratch_store_b64 off, v[94:95], off offset:40
	s_wait_xcnt 0x0
	v_cmpx_lt_u32_e32 4, v0
	s_cbranch_execz .LBB45_281
; %bb.280:
	scratch_load_b64 v[94:95], off, off offset:32
	v_mov_b64_e32 v[96:97], 0
	scratch_store_b64 off, v[96:97], off offset:32
	s_wait_loadcnt 0x0
	ds_store_b64 v1, v[94:95]
.LBB45_281:
	s_wait_xcnt 0x0
	s_or_b32 exec_lo, exec_lo, s0
	s_wait_storecnt_dscnt 0x0
	s_barrier_signal -1
	s_barrier_wait -1
	s_clause 0x10
	scratch_load_b128 v[98:101], off, off offset:40
	scratch_load_b128 v[106:109], off, off offset:56
	;; [unrolled: 1-line block ×17, first 2 shown]
	v_mov_b32_e32 v7, 0
	s_mov_b32 s0, exec_lo
	ds_load_2addr_b64 v[94:97], v7 offset0:51 offset1:52
	ds_load_2addr_b64 v[102:105], v7 offset0:53 offset1:54
	s_wait_loadcnt_dscnt 0x1001
	v_mul_f32_e32 v9, v94, v99
	ds_load_2addr_b64 v[206:209], v7 offset0:79 offset1:80
	ds_load_2addr_b64 v[214:217], v7 offset0:81 offset1:82
	v_mul_f32_e32 v11, v96, v101
	ds_load_2addr_b64 v[110:113], v7 offset0:55 offset1:56
	ds_load_2addr_b64 v[118:121], v7 offset0:57 offset1:58
	v_fmac_f32_e32 v9, v95, v98
	ds_load_2addr_b64 v[222:225], v7 offset0:83 offset1:84
	v_fmac_f32_e32 v11, v97, v100
	ds_load_2addr_b64 v[126:129], v7 offset0:59 offset1:60
	ds_load_2addr_b64 v[134:137], v7 offset0:61 offset1:62
	v_add_f32_e32 v9, 0, v9
	ds_load_2addr_b64 v[142:145], v7 offset0:63 offset1:64
	ds_load_2addr_b64 v[150:153], v7 offset0:65 offset1:66
	;; [unrolled: 1-line block ×4, first 2 shown]
	v_add_f32_e32 v9, v9, v11
	s_wait_loadcnt_dscnt 0xf0b
	v_mul_f32_e32 v11, v102, v107
	ds_load_2addr_b64 v[174:177], v7 offset0:71 offset1:72
	ds_load_2addr_b64 v[182:185], v7 offset0:73 offset1:74
	;; [unrolled: 1-line block ×4, first 2 shown]
	s_wait_loadcnt_dscnt 0xd0d
	v_dual_mul_f32 v245, v216, v221 :: v_dual_fmac_f32 v11, v103, v106
	s_clause 0x3
	scratch_load_b128 v[230:233], off, off offset:312
	scratch_load_b128 v[234:237], off, off offset:328
	;; [unrolled: 1-line block ×3, first 2 shown]
	scratch_load_b64 v[248:249], off, off offset:360
	s_wait_loadcnt_dscnt 0xe0a
	v_mul_f32_e32 v247, v222, v227
	v_dual_add_f32 v9, v9, v11 :: v_dual_mul_f32 v11, v104, v109
	s_delay_alu instid0(VALU_DEP_2) | instskip(NEXT) | instid1(VALU_DEP_2)
	v_dual_fmac_f32 v245, v217, v220 :: v_dual_fmac_f32 v247, v223, v226
	v_fmac_f32_e32 v11, v105, v108
	s_delay_alu instid0(VALU_DEP_1) | instskip(SKIP_1) | instid1(VALU_DEP_1)
	v_add_f32_e32 v9, v9, v11
	v_mul_f32_e32 v11, v110, v115
	v_fmac_f32_e32 v11, v111, v114
	s_delay_alu instid0(VALU_DEP_1) | instskip(NEXT) | instid1(VALU_DEP_1)
	v_dual_add_f32 v9, v9, v11 :: v_dual_mul_f32 v11, v112, v117
	v_fmac_f32_e32 v11, v113, v116
	s_delay_alu instid0(VALU_DEP_1) | instskip(SKIP_1) | instid1(VALU_DEP_1)
	v_add_f32_e32 v9, v9, v11
	v_mul_f32_e32 v11, v118, v123
	v_fmac_f32_e32 v11, v119, v122
	s_delay_alu instid0(VALU_DEP_1) | instskip(NEXT) | instid1(VALU_DEP_1)
	v_dual_add_f32 v9, v9, v11 :: v_dual_mul_f32 v11, v120, v125
	v_fmac_f32_e32 v11, v121, v124
	s_delay_alu instid0(VALU_DEP_1) | instskip(SKIP_2) | instid1(VALU_DEP_1)
	v_add_f32_e32 v9, v9, v11
	s_wait_loadcnt_dscnt 0xd09
	v_mul_f32_e32 v11, v126, v131
	v_fmac_f32_e32 v11, v127, v130
	s_delay_alu instid0(VALU_DEP_1) | instskip(NEXT) | instid1(VALU_DEP_1)
	v_dual_add_f32 v9, v9, v11 :: v_dual_mul_f32 v11, v128, v133
	v_fmac_f32_e32 v11, v129, v132
	s_delay_alu instid0(VALU_DEP_1) | instskip(SKIP_2) | instid1(VALU_DEP_1)
	v_add_f32_e32 v9, v9, v11
	s_wait_loadcnt_dscnt 0xc08
	;; [unrolled: 8-line block ×10, first 2 shown]
	v_mul_f32_e32 v11, v198, v203
	v_fmac_f32_e32 v11, v199, v202
	s_delay_alu instid0(VALU_DEP_1) | instskip(NEXT) | instid1(VALU_DEP_1)
	v_dual_add_f32 v9, v9, v11 :: v_dual_mul_f32 v11, v200, v205
	v_fmac_f32_e32 v11, v201, v204
	s_delay_alu instid0(VALU_DEP_1) | instskip(SKIP_1) | instid1(VALU_DEP_1)
	v_add_f32_e32 v9, v9, v11
	v_mul_f32_e32 v11, v206, v211
	v_fmac_f32_e32 v11, v207, v210
	s_delay_alu instid0(VALU_DEP_1) | instskip(NEXT) | instid1(VALU_DEP_1)
	v_dual_add_f32 v9, v9, v11 :: v_dual_mul_f32 v11, v208, v213
	v_fmac_f32_e32 v11, v209, v212
	s_delay_alu instid0(VALU_DEP_1) | instskip(SKIP_1) | instid1(VALU_DEP_1)
	v_add_f32_e32 v9, v9, v11
	v_mul_f32_e32 v11, v214, v219
	v_fmac_f32_e32 v11, v215, v218
	s_delay_alu instid0(VALU_DEP_1) | instskip(SKIP_1) | instid1(VALU_DEP_1)
	v_add_f32_e32 v243, v9, v11
	v_dual_mul_f32 v9, v95, v99 :: v_dual_mul_f32 v11, v97, v101
	v_dual_fma_f32 v9, v94, v98, -v9 :: v_dual_fma_f32 v11, v96, v100, -v11
	s_delay_alu instid0(VALU_DEP_1) | instskip(NEXT) | instid1(VALU_DEP_1)
	v_add_f32_e32 v9, 0, v9
	v_add_f32_e32 v9, v9, v11
	v_mul_f32_e32 v11, v103, v107
	s_delay_alu instid0(VALU_DEP_1) | instskip(NEXT) | instid1(VALU_DEP_1)
	v_fma_f32 v11, v102, v106, -v11
	v_add_f32_e32 v9, v9, v11
	v_mul_f32_e32 v11, v105, v109
	s_delay_alu instid0(VALU_DEP_1)
	v_fma_f32 v11, v104, v108, -v11
	ds_load_2addr_b64 v[94:97], v7 offset0:85 offset1:86
	ds_load_2addr_b64 v[98:101], v7 offset0:87 offset1:88
	;; [unrolled: 1-line block ×3, first 2 shown]
	ds_load_b64 v[106:107], v7 offset:728
	v_add_f32_e32 v9, v9, v11
	v_dual_mul_f32 v11, v111, v115 :: v_dual_mov_b32 v111, v224
	s_delay_alu instid0(VALU_DEP_1) | instskip(NEXT) | instid1(VALU_DEP_1)
	v_dual_fma_f32 v11, v110, v114, -v11 :: v_dual_mov_b32 v110, v225
	v_add_f32_e32 v9, v9, v11
	v_mul_f32_e32 v11, v113, v117
	s_delay_alu instid0(VALU_DEP_1) | instskip(NEXT) | instid1(VALU_DEP_1)
	v_dual_fma_f32 v11, v112, v116, -v11 :: v_dual_mov_b32 v112, v229
	v_add_f32_e32 v9, v9, v11
	v_mul_f32_e32 v11, v119, v123
	s_delay_alu instid0(VALU_DEP_3) | instskip(NEXT) | instid1(VALU_DEP_2)
	v_pk_mul_f32 v[110:111], v[110:111], v[112:113] op_sel_hi:[1,0]
	v_fma_f32 v11, v118, v122, -v11
	s_delay_alu instid0(VALU_DEP_2) | instskip(SKIP_1) | instid1(VALU_DEP_3)
	v_pk_fma_f32 v[112:113], v[224:225], v[228:229], v[110:111] neg_lo:[0,0,1] neg_hi:[0,0,1]
	v_pk_fma_f32 v[110:111], v[224:225], v[228:229], v[110:111] op_sel_hi:[1,0,1]
	v_add_f32_e32 v9, v9, v11
	s_delay_alu instid0(VALU_DEP_2) | instskip(SKIP_2) | instid1(VALU_DEP_2)
	v_dual_mul_f32 v11, v121, v125 :: v_dual_mov_b32 v113, v111
	s_wait_loadcnt_dscnt 0x303
	v_pk_mul_f32 v[110:111], v[94:95], v[230:231] op_sel:[1,1] op_sel_hi:[0,1]
	v_fma_f32 v11, v120, v124, -v11
	s_delay_alu instid0(VALU_DEP_1) | instskip(SKIP_1) | instid1(VALU_DEP_1)
	v_add_f32_e32 v9, v9, v11
	v_mul_f32_e32 v11, v127, v131
	v_fma_f32 v11, v126, v130, -v11
	s_delay_alu instid0(VALU_DEP_1) | instskip(SKIP_1) | instid1(VALU_DEP_1)
	v_add_f32_e32 v9, v9, v11
	v_mul_f32_e32 v11, v129, v133
	;; [unrolled: 4-line block ×24, first 2 shown]
	v_dual_fma_f32 v244, v216, v220, -v9 :: v_dual_mul_f32 v9, v223, v227
	s_delay_alu instid0(VALU_DEP_1) | instskip(NEXT) | instid1(VALU_DEP_2)
	v_pk_add_f32 v[108:109], v[242:243], v[244:245]
	v_fma_f32 v246, v222, v226, -v9
	s_delay_alu instid0(VALU_DEP_1) | instskip(NEXT) | instid1(VALU_DEP_1)
	v_pk_add_f32 v[108:109], v[108:109], v[246:247]
	v_pk_add_f32 v[108:109], v[108:109], v[112:113]
	v_pk_fma_f32 v[112:113], v[94:95], v[230:231], v[110:111] neg_lo:[0,0,1] neg_hi:[0,0,1]
	v_pk_fma_f32 v[94:95], v[94:95], v[230:231], v[110:111] op_sel_hi:[1,0,1]
	s_delay_alu instid0(VALU_DEP_1) | instskip(NEXT) | instid1(VALU_DEP_1)
	v_dual_mov_b32 v110, v233 :: v_dual_mov_b32 v113, v95
	v_pk_add_f32 v[94:95], v[108:109], v[112:113]
	v_dual_mov_b32 v108, v97 :: v_dual_mov_b32 v109, v96
	s_delay_alu instid0(VALU_DEP_1) | instskip(NEXT) | instid1(VALU_DEP_1)
	v_pk_mul_f32 v[108:109], v[108:109], v[110:111] op_sel_hi:[1,0]
	v_pk_fma_f32 v[110:111], v[96:97], v[232:233], v[108:109] neg_lo:[0,0,1] neg_hi:[0,0,1]
	v_pk_fma_f32 v[96:97], v[96:97], v[232:233], v[108:109] op_sel_hi:[1,0,1]
	s_delay_alu instid0(VALU_DEP_1) | instskip(SKIP_2) | instid1(VALU_DEP_2)
	v_mov_b32_e32 v111, v97
	s_wait_loadcnt_dscnt 0x202
	v_pk_mul_f32 v[96:97], v[98:99], v[234:235] op_sel:[1,1] op_sel_hi:[0,1]
	v_pk_add_f32 v[94:95], v[94:95], v[110:111]
	s_delay_alu instid0(VALU_DEP_2) | instskip(SKIP_2) | instid1(VALU_DEP_2)
	v_pk_fma_f32 v[108:109], v[98:99], v[234:235], v[96:97] neg_lo:[0,0,1] neg_hi:[0,0,1]
	v_pk_fma_f32 v[96:97], v[98:99], v[234:235], v[96:97] op_sel_hi:[1,0,1]
	v_dual_mov_b32 v96, v101 :: v_dual_mov_b32 v98, v237
	v_dual_mov_b32 v109, v97 :: v_dual_mov_b32 v97, v100
	s_delay_alu instid0(VALU_DEP_1) | instskip(NEXT) | instid1(VALU_DEP_2)
	v_pk_add_f32 v[94:95], v[94:95], v[108:109]
	v_pk_mul_f32 v[96:97], v[96:97], v[98:99] op_sel_hi:[1,0]
	s_delay_alu instid0(VALU_DEP_1) | instskip(SKIP_1) | instid1(VALU_DEP_1)
	v_pk_fma_f32 v[98:99], v[100:101], v[236:237], v[96:97] neg_lo:[0,0,1] neg_hi:[0,0,1]
	v_pk_fma_f32 v[96:97], v[100:101], v[236:237], v[96:97] op_sel_hi:[1,0,1]
	v_mov_b32_e32 v99, v97
	s_wait_loadcnt_dscnt 0x101
	v_pk_mul_f32 v[96:97], v[102:103], v[238:239] op_sel:[1,1] op_sel_hi:[0,1]
	s_delay_alu instid0(VALU_DEP_2) | instskip(NEXT) | instid1(VALU_DEP_2)
	v_pk_add_f32 v[94:95], v[94:95], v[98:99]
	v_pk_fma_f32 v[98:99], v[102:103], v[238:239], v[96:97] neg_lo:[0,0,1] neg_hi:[0,0,1]
	v_pk_fma_f32 v[96:97], v[102:103], v[238:239], v[96:97] op_sel_hi:[1,0,1]
	s_delay_alu instid0(VALU_DEP_1) | instskip(SKIP_1) | instid1(VALU_DEP_2)
	v_dual_mov_b32 v96, v105 :: v_dual_mov_b32 v99, v97
	v_mov_b32_e32 v97, v104
	v_pk_add_f32 v[94:95], v[94:95], v[98:99]
	v_mov_b32_e32 v98, v241
	s_delay_alu instid0(VALU_DEP_1) | instskip(NEXT) | instid1(VALU_DEP_1)
	v_pk_mul_f32 v[96:97], v[96:97], v[98:99] op_sel_hi:[1,0]
	v_pk_fma_f32 v[98:99], v[104:105], v[240:241], v[96:97] neg_lo:[0,0,1] neg_hi:[0,0,1]
	v_pk_fma_f32 v[96:97], v[104:105], v[240:241], v[96:97] op_sel_hi:[1,0,1]
	s_delay_alu instid0(VALU_DEP_1) | instskip(SKIP_2) | instid1(VALU_DEP_2)
	v_mov_b32_e32 v99, v97
	s_wait_loadcnt_dscnt 0x0
	v_pk_mul_f32 v[96:97], v[106:107], v[248:249] op_sel:[1,1] op_sel_hi:[0,1]
	v_pk_add_f32 v[94:95], v[94:95], v[98:99]
	s_delay_alu instid0(VALU_DEP_2) | instskip(SKIP_1) | instid1(VALU_DEP_1)
	v_pk_fma_f32 v[98:99], v[106:107], v[248:249], v[96:97] neg_lo:[0,0,1] neg_hi:[0,0,1]
	v_pk_fma_f32 v[96:97], v[106:107], v[248:249], v[96:97] op_sel_hi:[1,0,1]
	v_mov_b32_e32 v99, v97
	scratch_load_b64 v[96:97], off, off offset:32
	v_pk_add_f32 v[94:95], v[94:95], v[98:99]
	s_wait_loadcnt 0x0
	s_delay_alu instid0(VALU_DEP_1)
	v_pk_add_f32 v[94:95], v[96:97], v[94:95] neg_lo:[0,1] neg_hi:[0,1]
	scratch_store_b64 off, v[94:95], off offset:32
	s_wait_xcnt 0x0
	v_cmpx_lt_u32_e32 3, v0
	s_cbranch_execz .LBB45_283
; %bb.282:
	scratch_load_b64 v[94:95], off, off offset:24
	v_mov_b64_e32 v[96:97], 0
	scratch_store_b64 off, v[96:97], off offset:24
	s_wait_loadcnt 0x0
	ds_store_b64 v1, v[94:95]
.LBB45_283:
	s_wait_xcnt 0x0
	s_or_b32 exec_lo, exec_lo, s0
	s_wait_storecnt_dscnt 0x0
	s_barrier_signal -1
	s_barrier_wait -1
	ds_load_b128 v[94:97], v7 offset:400
	ds_load_b128 v[98:101], v7 offset:416
	;; [unrolled: 1-line block ×4, first 2 shown]
	s_clause 0x10
	scratch_load_b128 v[110:113], off, off offset:32
	scratch_load_b128 v[114:117], off, off offset:48
	;; [unrolled: 1-line block ×17, first 2 shown]
	ds_load_b128 v[222:225], v7 offset:656
	ds_load_b128 v[126:129], v7 offset:464
	;; [unrolled: 1-line block ×13, first 2 shown]
	s_clause 0x3
	scratch_load_b128 v[230:233], off, off offset:304
	scratch_load_b128 v[234:237], off, off offset:320
	scratch_load_b128 v[238:241], off, off offset:336
	scratch_load_b128 v[242:245], off, off offset:352
	s_mov_b32 s0, exec_lo
	s_wait_loadcnt_dscnt 0x1410
	v_dual_mul_f32 v9, v94, v111 :: v_dual_mul_f32 v11, v96, v113
	s_wait_loadcnt_dscnt 0x100c
	s_delay_alu instid0(VALU_DEP_1) | instskip(NEXT) | instid1(VALU_DEP_2)
	v_dual_mul_f32 v249, v222, v227 :: v_dual_fmac_f32 v9, v95, v110
	v_dual_fmac_f32 v11, v97, v112 :: v_dual_mul_f32 v251, v224, v229
	s_delay_alu instid0(VALU_DEP_2) | instskip(NEXT) | instid1(VALU_DEP_2)
	v_dual_fmac_f32 v249, v223, v226 :: v_dual_add_f32 v9, 0, v9
	v_fmac_f32_e32 v251, v225, v228
	s_delay_alu instid0(VALU_DEP_2) | instskip(SKIP_1) | instid1(VALU_DEP_1)
	v_add_f32_e32 v9, v9, v11
	v_mul_f32_e32 v11, v98, v115
	v_fmac_f32_e32 v11, v99, v114
	s_delay_alu instid0(VALU_DEP_1) | instskip(NEXT) | instid1(VALU_DEP_1)
	v_dual_add_f32 v9, v9, v11 :: v_dual_mul_f32 v11, v100, v117
	v_fmac_f32_e32 v11, v101, v116
	s_delay_alu instid0(VALU_DEP_1) | instskip(SKIP_1) | instid1(VALU_DEP_1)
	v_add_f32_e32 v9, v9, v11
	v_mul_f32_e32 v11, v102, v119
	v_fmac_f32_e32 v11, v103, v118
	s_delay_alu instid0(VALU_DEP_1) | instskip(NEXT) | instid1(VALU_DEP_1)
	v_dual_add_f32 v9, v9, v11 :: v_dual_mul_f32 v11, v104, v121
	v_fmac_f32_e32 v11, v105, v120
	s_delay_alu instid0(VALU_DEP_1) | instskip(SKIP_1) | instid1(VALU_DEP_1)
	v_add_f32_e32 v9, v9, v11
	v_mul_f32_e32 v11, v106, v123
	v_fmac_f32_e32 v11, v107, v122
	s_delay_alu instid0(VALU_DEP_1) | instskip(NEXT) | instid1(VALU_DEP_1)
	v_dual_add_f32 v9, v9, v11 :: v_dual_mul_f32 v11, v108, v125
	v_fmac_f32_e32 v11, v109, v124
	s_delay_alu instid0(VALU_DEP_1) | instskip(SKIP_2) | instid1(VALU_DEP_1)
	v_add_f32_e32 v9, v9, v11
	s_wait_loadcnt_dscnt 0xf0b
	v_mul_f32_e32 v11, v126, v131
	v_fmac_f32_e32 v11, v127, v130
	s_delay_alu instid0(VALU_DEP_1) | instskip(NEXT) | instid1(VALU_DEP_1)
	v_dual_add_f32 v9, v9, v11 :: v_dual_mul_f32 v11, v128, v133
	v_fmac_f32_e32 v11, v129, v132
	s_delay_alu instid0(VALU_DEP_1) | instskip(SKIP_2) | instid1(VALU_DEP_1)
	v_add_f32_e32 v9, v9, v11
	s_wait_loadcnt_dscnt 0xe0a
	;; [unrolled: 8-line block ×12, first 2 shown]
	v_mul_f32_e32 v11, v214, v219
	v_fmac_f32_e32 v11, v215, v218
	s_delay_alu instid0(VALU_DEP_1) | instskip(NEXT) | instid1(VALU_DEP_1)
	v_dual_add_f32 v9, v9, v11 :: v_dual_mul_f32 v11, v216, v221
	v_fmac_f32_e32 v11, v217, v220
	s_delay_alu instid0(VALU_DEP_1) | instskip(SKIP_1) | instid1(VALU_DEP_1)
	v_add_f32_e32 v247, v9, v11
	v_dual_mul_f32 v9, v95, v111 :: v_dual_mul_f32 v11, v97, v113
	v_dual_fma_f32 v9, v94, v110, -v9 :: v_dual_fma_f32 v11, v96, v112, -v11
	s_delay_alu instid0(VALU_DEP_1) | instskip(NEXT) | instid1(VALU_DEP_1)
	v_add_f32_e32 v9, 0, v9
	v_add_f32_e32 v9, v9, v11
	v_mul_f32_e32 v11, v99, v115
	s_delay_alu instid0(VALU_DEP_1) | instskip(NEXT) | instid1(VALU_DEP_1)
	v_fma_f32 v11, v98, v114, -v11
	v_add_f32_e32 v9, v9, v11
	v_mul_f32_e32 v11, v101, v117
	s_delay_alu instid0(VALU_DEP_1) | instskip(NEXT) | instid1(VALU_DEP_1)
	v_fma_f32 v11, v100, v116, -v11
	;; [unrolled: 4-line block ×5, first 2 shown]
	v_add_f32_e32 v9, v9, v11
	v_mul_f32_e32 v11, v109, v125
	s_delay_alu instid0(VALU_DEP_1)
	v_fma_f32 v11, v108, v124, -v11
	ds_load_b128 v[94:97], v7 offset:672
	ds_load_b128 v[98:101], v7 offset:688
	;; [unrolled: 1-line block ×4, first 2 shown]
	v_add_f32_e32 v9, v9, v11
	v_mul_f32_e32 v11, v127, v131
	s_delay_alu instid0(VALU_DEP_1) | instskip(NEXT) | instid1(VALU_DEP_1)
	v_fma_f32 v11, v126, v130, -v11
	v_add_f32_e32 v9, v9, v11
	v_mul_f32_e32 v11, v129, v133
	s_wait_loadcnt_dscnt 0x303
	v_pk_mul_f32 v[112:113], v[94:95], v[230:231] op_sel:[1,1] op_sel_hi:[0,1]
	s_delay_alu instid0(VALU_DEP_2) | instskip(NEXT) | instid1(VALU_DEP_2)
	v_fma_f32 v11, v128, v132, -v11
	v_pk_fma_f32 v[114:115], v[94:95], v[230:231], v[112:113] neg_lo:[0,0,1] neg_hi:[0,0,1]
	v_pk_fma_f32 v[94:95], v[94:95], v[230:231], v[112:113] op_sel_hi:[1,0,1]
	v_mov_b32_e32 v112, v233
	s_delay_alu instid0(VALU_DEP_4) | instskip(SKIP_1) | instid1(VALU_DEP_1)
	v_add_f32_e32 v9, v9, v11
	v_mul_f32_e32 v11, v135, v139
	v_dual_mov_b32 v115, v95 :: v_dual_fma_f32 v11, v134, v138, -v11
	s_delay_alu instid0(VALU_DEP_1) | instskip(SKIP_1) | instid1(VALU_DEP_1)
	v_add_f32_e32 v9, v9, v11
	v_mul_f32_e32 v11, v137, v141
	v_fma_f32 v11, v136, v140, -v11
	s_delay_alu instid0(VALU_DEP_1) | instskip(SKIP_1) | instid1(VALU_DEP_1)
	v_add_f32_e32 v9, v9, v11
	v_mul_f32_e32 v11, v143, v147
	v_fma_f32 v11, v142, v146, -v11
	;; [unrolled: 4-line block ×21, first 2 shown]
	s_delay_alu instid0(VALU_DEP_1) | instskip(SKIP_1) | instid1(VALU_DEP_1)
	v_add_f32_e32 v246, v9, v11
	v_mul_f32_e32 v9, v223, v227
	v_dual_fma_f32 v248, v222, v226, -v9 :: v_dual_mul_f32 v9, v225, v229
	s_delay_alu instid0(VALU_DEP_1) | instskip(NEXT) | instid1(VALU_DEP_2)
	v_pk_add_f32 v[110:111], v[246:247], v[248:249]
	v_fma_f32 v250, v224, v228, -v9
	s_delay_alu instid0(VALU_DEP_1) | instskip(NEXT) | instid1(VALU_DEP_1)
	v_pk_add_f32 v[110:111], v[110:111], v[250:251]
	v_pk_add_f32 v[94:95], v[110:111], v[114:115]
	v_dual_mov_b32 v110, v97 :: v_dual_mov_b32 v111, v96
	s_delay_alu instid0(VALU_DEP_1) | instskip(NEXT) | instid1(VALU_DEP_1)
	v_pk_mul_f32 v[110:111], v[110:111], v[112:113] op_sel_hi:[1,0]
	v_pk_fma_f32 v[112:113], v[96:97], v[232:233], v[110:111] neg_lo:[0,0,1] neg_hi:[0,0,1]
	v_pk_fma_f32 v[96:97], v[96:97], v[232:233], v[110:111] op_sel_hi:[1,0,1]
	s_delay_alu instid0(VALU_DEP_1) | instskip(SKIP_2) | instid1(VALU_DEP_2)
	v_mov_b32_e32 v113, v97
	s_wait_loadcnt_dscnt 0x202
	v_pk_mul_f32 v[96:97], v[98:99], v[234:235] op_sel:[1,1] op_sel_hi:[0,1]
	v_pk_add_f32 v[94:95], v[94:95], v[112:113]
	s_delay_alu instid0(VALU_DEP_2) | instskip(SKIP_2) | instid1(VALU_DEP_2)
	v_pk_fma_f32 v[110:111], v[98:99], v[234:235], v[96:97] neg_lo:[0,0,1] neg_hi:[0,0,1]
	v_pk_fma_f32 v[96:97], v[98:99], v[234:235], v[96:97] op_sel_hi:[1,0,1]
	v_dual_mov_b32 v96, v101 :: v_dual_mov_b32 v98, v237
	v_dual_mov_b32 v111, v97 :: v_dual_mov_b32 v97, v100
	s_delay_alu instid0(VALU_DEP_1) | instskip(NEXT) | instid1(VALU_DEP_2)
	v_pk_add_f32 v[94:95], v[94:95], v[110:111]
	v_pk_mul_f32 v[96:97], v[96:97], v[98:99] op_sel_hi:[1,0]
	s_delay_alu instid0(VALU_DEP_1) | instskip(SKIP_1) | instid1(VALU_DEP_1)
	v_pk_fma_f32 v[98:99], v[100:101], v[236:237], v[96:97] neg_lo:[0,0,1] neg_hi:[0,0,1]
	v_pk_fma_f32 v[96:97], v[100:101], v[236:237], v[96:97] op_sel_hi:[1,0,1]
	v_mov_b32_e32 v99, v97
	s_wait_loadcnt_dscnt 0x101
	v_pk_mul_f32 v[96:97], v[102:103], v[238:239] op_sel:[1,1] op_sel_hi:[0,1]
	s_delay_alu instid0(VALU_DEP_2) | instskip(NEXT) | instid1(VALU_DEP_2)
	v_pk_add_f32 v[94:95], v[94:95], v[98:99]
	v_pk_fma_f32 v[98:99], v[102:103], v[238:239], v[96:97] neg_lo:[0,0,1] neg_hi:[0,0,1]
	v_pk_fma_f32 v[96:97], v[102:103], v[238:239], v[96:97] op_sel_hi:[1,0,1]
	s_delay_alu instid0(VALU_DEP_1) | instskip(SKIP_1) | instid1(VALU_DEP_2)
	v_dual_mov_b32 v96, v105 :: v_dual_mov_b32 v99, v97
	v_mov_b32_e32 v97, v104
	v_pk_add_f32 v[94:95], v[94:95], v[98:99]
	v_mov_b32_e32 v98, v241
	s_delay_alu instid0(VALU_DEP_1) | instskip(NEXT) | instid1(VALU_DEP_1)
	v_pk_mul_f32 v[96:97], v[96:97], v[98:99] op_sel_hi:[1,0]
	v_pk_fma_f32 v[98:99], v[104:105], v[240:241], v[96:97] neg_lo:[0,0,1] neg_hi:[0,0,1]
	v_pk_fma_f32 v[96:97], v[104:105], v[240:241], v[96:97] op_sel_hi:[1,0,1]
	s_delay_alu instid0(VALU_DEP_1) | instskip(SKIP_2) | instid1(VALU_DEP_2)
	v_mov_b32_e32 v99, v97
	s_wait_loadcnt_dscnt 0x0
	v_pk_mul_f32 v[96:97], v[106:107], v[242:243] op_sel:[1,1] op_sel_hi:[0,1]
	v_pk_add_f32 v[94:95], v[94:95], v[98:99]
	s_delay_alu instid0(VALU_DEP_2) | instskip(SKIP_1) | instid1(VALU_DEP_1)
	v_pk_fma_f32 v[98:99], v[106:107], v[242:243], v[96:97] neg_lo:[0,0,1] neg_hi:[0,0,1]
	v_pk_fma_f32 v[96:97], v[106:107], v[242:243], v[96:97] op_sel_hi:[1,0,1]
	v_dual_mov_b32 v96, v109 :: v_dual_mov_b32 v99, v97
	v_mov_b32_e32 v97, v108
	s_delay_alu instid0(VALU_DEP_2) | instskip(SKIP_1) | instid1(VALU_DEP_1)
	v_pk_add_f32 v[94:95], v[94:95], v[98:99]
	v_mov_b32_e32 v98, v245
	v_pk_mul_f32 v[96:97], v[96:97], v[98:99] op_sel_hi:[1,0]
	s_delay_alu instid0(VALU_DEP_1) | instskip(SKIP_1) | instid1(VALU_DEP_1)
	v_pk_fma_f32 v[98:99], v[108:109], v[244:245], v[96:97] neg_lo:[0,0,1] neg_hi:[0,0,1]
	v_pk_fma_f32 v[96:97], v[108:109], v[244:245], v[96:97] op_sel_hi:[1,0,1]
	v_mov_b32_e32 v99, v97
	scratch_load_b64 v[96:97], off, off offset:24
	v_pk_add_f32 v[94:95], v[94:95], v[98:99]
	s_wait_loadcnt 0x0
	s_delay_alu instid0(VALU_DEP_1)
	v_pk_add_f32 v[94:95], v[96:97], v[94:95] neg_lo:[0,1] neg_hi:[0,1]
	scratch_store_b64 off, v[94:95], off offset:24
	s_wait_xcnt 0x0
	v_cmpx_lt_u32_e32 2, v0
	s_cbranch_execz .LBB45_285
; %bb.284:
	scratch_load_b64 v[94:95], off, off offset:16
	v_mov_b64_e32 v[96:97], 0
	scratch_store_b64 off, v[96:97], off offset:16
	s_wait_loadcnt 0x0
	ds_store_b64 v1, v[94:95]
.LBB45_285:
	s_wait_xcnt 0x0
	s_or_b32 exec_lo, exec_lo, s0
	s_wait_storecnt_dscnt 0x0
	s_barrier_signal -1
	s_barrier_wait -1
	s_clause 0x11
	scratch_load_b128 v[98:101], off, off offset:24
	scratch_load_b128 v[106:109], off, off offset:40
	;; [unrolled: 1-line block ×18, first 2 shown]
	v_mov_b32_e32 v73, 0
	s_mov_b32 s0, exec_lo
	ds_load_2addr_b64 v[94:97], v73 offset0:49 offset1:50
	ds_load_2addr_b64 v[102:105], v73 offset0:51 offset1:52
	s_wait_loadcnt_dscnt 0x1101
	v_dual_mul_f32 v7, v94, v99 :: v_dual_mul_f32 v9, v96, v101
	ds_load_2addr_b64 v[222:225], v73 offset0:81 offset1:82
	ds_load_2addr_b64 v[230:233], v73 offset0:83 offset1:84
	;; [unrolled: 1-line block ×4, first 2 shown]
	v_dual_fmac_f32 v7, v95, v98 :: v_dual_fmac_f32 v9, v97, v100
	ds_load_2addr_b64 v[126:129], v73 offset0:57 offset1:58
	ds_load_2addr_b64 v[134:137], v73 offset0:59 offset1:60
	;; [unrolled: 1-line block ×4, first 2 shown]
	v_add_f32_e32 v7, 0, v7
	ds_load_2addr_b64 v[158:161], v73 offset0:65 offset1:66
	ds_load_2addr_b64 v[166:169], v73 offset0:67 offset1:68
	;; [unrolled: 1-line block ×4, first 2 shown]
	s_wait_loadcnt_dscnt 0x100c
	v_dual_add_f32 v7, v7, v9 :: v_dual_mul_f32 v9, v102, v107
	ds_load_2addr_b64 v[190:193], v73 offset0:73 offset1:74
	ds_load_2addr_b64 v[198:201], v73 offset0:75 offset1:76
	;; [unrolled: 1-line block ×4, first 2 shown]
	s_wait_loadcnt_dscnt 0xf0f
	v_dual_fmac_f32 v9, v103, v106 :: v_dual_mul_f32 v253, v224, v229
	s_clause 0x4
	scratch_load_b128 v[238:241], off, off offset:312
	scratch_load_b128 v[242:245], off, off offset:328
	;; [unrolled: 1-line block ×3, first 2 shown]
	s_set_vgpr_msb 64                       ;  msbs: dst=1 src0=0 src1=0 src2=0
	scratch_load_b64 v[0:1] /*v[256:257]*/, off, off offset:360
	s_wait_loadcnt_dscnt 0x120e
	s_set_vgpr_msb 0                        ;  msbs: dst=0 src0=0 src1=0 src2=0
	v_dual_mul_f32 v255, v230, v235 :: v_dual_add_f32 v7, v7, v9
	v_dual_mul_f32 v9, v104, v109 :: v_dual_fmac_f32 v253, v225, v228
	s_delay_alu instid0(VALU_DEP_1) | instskip(SKIP_1) | instid1(VALU_DEP_1)
	v_dual_fmac_f32 v255, v231, v234 :: v_dual_fmac_f32 v9, v105, v108
	s_wait_loadcnt_dscnt 0x110d
	v_dual_add_f32 v7, v7, v9 :: v_dual_mul_f32 v9, v110, v115
	s_delay_alu instid0(VALU_DEP_1) | instskip(NEXT) | instid1(VALU_DEP_1)
	v_fmac_f32_e32 v9, v111, v114
	v_add_f32_e32 v7, v7, v9
	v_mul_f32_e32 v9, v112, v117
	s_delay_alu instid0(VALU_DEP_1) | instskip(SKIP_1) | instid1(VALU_DEP_1)
	v_fmac_f32_e32 v9, v113, v116
	s_wait_loadcnt_dscnt 0x100c
	v_dual_add_f32 v7, v7, v9 :: v_dual_mul_f32 v9, v118, v123
	s_delay_alu instid0(VALU_DEP_1) | instskip(NEXT) | instid1(VALU_DEP_1)
	v_fmac_f32_e32 v9, v119, v122
	v_add_f32_e32 v7, v7, v9
	v_mul_f32_e32 v9, v120, v125
	s_delay_alu instid0(VALU_DEP_1) | instskip(SKIP_1) | instid1(VALU_DEP_1)
	v_fmac_f32_e32 v9, v121, v124
	;; [unrolled: 8-line block ×13, first 2 shown]
	s_wait_loadcnt_dscnt 0x400
	v_dual_add_f32 v7, v7, v9 :: v_dual_mul_f32 v9, v214, v219
	s_delay_alu instid0(VALU_DEP_1) | instskip(NEXT) | instid1(VALU_DEP_1)
	v_fmac_f32_e32 v9, v215, v218
	v_add_f32_e32 v7, v7, v9
	v_mul_f32_e32 v9, v216, v221
	s_delay_alu instid0(VALU_DEP_1) | instskip(NEXT) | instid1(VALU_DEP_1)
	v_fmac_f32_e32 v9, v217, v220
	v_dual_add_f32 v7, v7, v9 :: v_dual_mul_f32 v9, v222, v227
	s_delay_alu instid0(VALU_DEP_1) | instskip(NEXT) | instid1(VALU_DEP_1)
	v_fmac_f32_e32 v9, v223, v226
	v_add_f32_e32 v251, v7, v9
	v_dual_mul_f32 v7, v95, v99 :: v_dual_mul_f32 v9, v97, v101
	s_delay_alu instid0(VALU_DEP_1) | instskip(NEXT) | instid1(VALU_DEP_1)
	v_dual_fma_f32 v7, v94, v98, -v7 :: v_dual_fma_f32 v9, v96, v100, -v9
	v_add_f32_e32 v7, 0, v7
	s_delay_alu instid0(VALU_DEP_1) | instskip(SKIP_1) | instid1(VALU_DEP_1)
	v_add_f32_e32 v7, v7, v9
	v_mul_f32_e32 v9, v103, v107
	v_fma_f32 v9, v102, v106, -v9
	s_delay_alu instid0(VALU_DEP_1) | instskip(SKIP_1) | instid1(VALU_DEP_1)
	v_add_f32_e32 v7, v7, v9
	v_mul_f32_e32 v9, v105, v109
	v_fma_f32 v9, v104, v108, -v9
	ds_load_2addr_b64 v[94:97], v73 offset0:85 offset1:86
	ds_load_2addr_b64 v[98:101], v73 offset0:87 offset1:88
	;; [unrolled: 1-line block ×3, first 2 shown]
	ds_load_b64 v[106:107], v73 offset:728
	v_add_f32_e32 v7, v7, v9
	v_dual_mul_f32 v9, v111, v115 :: v_dual_mov_b32 v111, v232
	s_delay_alu instid0(VALU_DEP_1) | instskip(NEXT) | instid1(VALU_DEP_1)
	v_dual_fma_f32 v9, v110, v114, -v9 :: v_dual_mov_b32 v110, v233
	v_add_f32_e32 v7, v7, v9
	v_mul_f32_e32 v9, v113, v117
	s_delay_alu instid0(VALU_DEP_1) | instskip(NEXT) | instid1(VALU_DEP_1)
	v_dual_fma_f32 v9, v112, v116, -v9 :: v_dual_mov_b32 v112, v237
	v_add_f32_e32 v7, v7, v9
	v_mul_f32_e32 v9, v119, v123
	s_delay_alu instid0(VALU_DEP_3) | instskip(NEXT) | instid1(VALU_DEP_2)
	v_pk_mul_f32 v[110:111], v[110:111], v[112:113] op_sel_hi:[1,0]
	v_fma_f32 v9, v118, v122, -v9
	s_delay_alu instid0(VALU_DEP_2) | instskip(SKIP_1) | instid1(VALU_DEP_3)
	v_pk_fma_f32 v[112:113], v[232:233], v[236:237], v[110:111] neg_lo:[0,0,1] neg_hi:[0,0,1]
	v_pk_fma_f32 v[110:111], v[232:233], v[236:237], v[110:111] op_sel_hi:[1,0,1]
	v_add_f32_e32 v7, v7, v9
	s_delay_alu instid0(VALU_DEP_2) | instskip(SKIP_2) | instid1(VALU_DEP_2)
	v_dual_mul_f32 v9, v121, v125 :: v_dual_mov_b32 v113, v111
	s_wait_loadcnt_dscnt 0x303
	v_pk_mul_f32 v[110:111], v[94:95], v[238:239] op_sel:[1,1] op_sel_hi:[0,1]
	v_fma_f32 v9, v120, v124, -v9
	s_delay_alu instid0(VALU_DEP_1) | instskip(SKIP_1) | instid1(VALU_DEP_1)
	v_add_f32_e32 v7, v7, v9
	v_mul_f32_e32 v9, v127, v131
	v_fma_f32 v9, v126, v130, -v9
	s_delay_alu instid0(VALU_DEP_1) | instskip(SKIP_1) | instid1(VALU_DEP_1)
	v_add_f32_e32 v7, v7, v9
	v_mul_f32_e32 v9, v129, v133
	;; [unrolled: 4-line block ×26, first 2 shown]
	v_dual_fma_f32 v252, v224, v228, -v7 :: v_dual_mul_f32 v7, v231, v235
	s_delay_alu instid0(VALU_DEP_1) | instskip(NEXT) | instid1(VALU_DEP_2)
	v_pk_add_f32 v[108:109], v[250:251], v[252:253]
	v_fma_f32 v254, v230, v234, -v7
	s_delay_alu instid0(VALU_DEP_1) | instskip(NEXT) | instid1(VALU_DEP_1)
	v_pk_add_f32 v[108:109], v[108:109], v[254:255]
	v_pk_add_f32 v[108:109], v[108:109], v[112:113]
	v_pk_fma_f32 v[112:113], v[94:95], v[238:239], v[110:111] neg_lo:[0,0,1] neg_hi:[0,0,1]
	v_pk_fma_f32 v[94:95], v[94:95], v[238:239], v[110:111] op_sel_hi:[1,0,1]
	s_delay_alu instid0(VALU_DEP_1) | instskip(NEXT) | instid1(VALU_DEP_1)
	v_dual_mov_b32 v110, v241 :: v_dual_mov_b32 v113, v95
	v_pk_add_f32 v[94:95], v[108:109], v[112:113]
	v_dual_mov_b32 v108, v97 :: v_dual_mov_b32 v109, v96
	s_delay_alu instid0(VALU_DEP_1) | instskip(NEXT) | instid1(VALU_DEP_1)
	v_pk_mul_f32 v[108:109], v[108:109], v[110:111] op_sel_hi:[1,0]
	v_pk_fma_f32 v[110:111], v[96:97], v[240:241], v[108:109] neg_lo:[0,0,1] neg_hi:[0,0,1]
	v_pk_fma_f32 v[96:97], v[96:97], v[240:241], v[108:109] op_sel_hi:[1,0,1]
	s_delay_alu instid0(VALU_DEP_1) | instskip(SKIP_2) | instid1(VALU_DEP_2)
	v_mov_b32_e32 v111, v97
	s_wait_loadcnt_dscnt 0x202
	v_pk_mul_f32 v[96:97], v[98:99], v[242:243] op_sel:[1,1] op_sel_hi:[0,1]
	v_pk_add_f32 v[94:95], v[94:95], v[110:111]
	s_delay_alu instid0(VALU_DEP_2) | instskip(SKIP_2) | instid1(VALU_DEP_2)
	v_pk_fma_f32 v[108:109], v[98:99], v[242:243], v[96:97] neg_lo:[0,0,1] neg_hi:[0,0,1]
	v_pk_fma_f32 v[96:97], v[98:99], v[242:243], v[96:97] op_sel_hi:[1,0,1]
	v_dual_mov_b32 v96, v101 :: v_dual_mov_b32 v98, v245
	v_dual_mov_b32 v109, v97 :: v_dual_mov_b32 v97, v100
	s_delay_alu instid0(VALU_DEP_1) | instskip(NEXT) | instid1(VALU_DEP_2)
	v_pk_add_f32 v[94:95], v[94:95], v[108:109]
	v_pk_mul_f32 v[96:97], v[96:97], v[98:99] op_sel_hi:[1,0]
	s_delay_alu instid0(VALU_DEP_1) | instskip(SKIP_1) | instid1(VALU_DEP_1)
	v_pk_fma_f32 v[98:99], v[100:101], v[244:245], v[96:97] neg_lo:[0,0,1] neg_hi:[0,0,1]
	v_pk_fma_f32 v[96:97], v[100:101], v[244:245], v[96:97] op_sel_hi:[1,0,1]
	v_mov_b32_e32 v99, v97
	s_wait_loadcnt_dscnt 0x101
	v_pk_mul_f32 v[96:97], v[102:103], v[246:247] op_sel:[1,1] op_sel_hi:[0,1]
	s_delay_alu instid0(VALU_DEP_2) | instskip(NEXT) | instid1(VALU_DEP_2)
	v_pk_add_f32 v[94:95], v[94:95], v[98:99]
	v_pk_fma_f32 v[98:99], v[102:103], v[246:247], v[96:97] neg_lo:[0,0,1] neg_hi:[0,0,1]
	v_pk_fma_f32 v[96:97], v[102:103], v[246:247], v[96:97] op_sel_hi:[1,0,1]
	s_delay_alu instid0(VALU_DEP_1) | instskip(SKIP_1) | instid1(VALU_DEP_2)
	v_dual_mov_b32 v96, v105 :: v_dual_mov_b32 v99, v97
	v_mov_b32_e32 v97, v104
	v_pk_add_f32 v[94:95], v[94:95], v[98:99]
	v_mov_b32_e32 v98, v249
	s_delay_alu instid0(VALU_DEP_1) | instskip(NEXT) | instid1(VALU_DEP_1)
	v_pk_mul_f32 v[96:97], v[96:97], v[98:99] op_sel_hi:[1,0]
	v_pk_fma_f32 v[98:99], v[104:105], v[248:249], v[96:97] neg_lo:[0,0,1] neg_hi:[0,0,1]
	v_pk_fma_f32 v[96:97], v[104:105], v[248:249], v[96:97] op_sel_hi:[1,0,1]
	s_delay_alu instid0(VALU_DEP_1)
	v_mov_b32_e32 v99, v97
	s_wait_loadcnt_dscnt 0x0
	s_set_vgpr_msb 4                        ;  msbs: dst=0 src0=0 src1=1 src2=0
	v_pk_mul_f32 v[96:97], v[106:107], v[0:1] /*v[256:257]*/ op_sel:[1,1] op_sel_hi:[0,1]
	s_set_vgpr_msb 0                        ;  msbs: dst=0 src0=0 src1=0 src2=0
	v_pk_add_f32 v[94:95], v[94:95], v[98:99]
	s_set_vgpr_msb 4                        ;  msbs: dst=0 src0=0 src1=1 src2=0
	s_delay_alu instid0(VALU_DEP_2) | instskip(SKIP_1) | instid1(VALU_DEP_1)
	v_pk_fma_f32 v[98:99], v[106:107], v[0:1] /*v[256:257]*/, v[96:97] neg_lo:[0,0,1] neg_hi:[0,0,1]
	v_pk_fma_f32 v[96:97], v[106:107], v[0:1] /*v[256:257]*/, v[96:97] op_sel_hi:[1,0,1]
	v_mov_b32_e32 v99, v97
	scratch_load_b64 v[96:97], off, off offset:16
	s_set_vgpr_msb 0                        ;  msbs: dst=0 src0=0 src1=0 src2=0
	v_pk_add_f32 v[94:95], v[94:95], v[98:99]
	s_wait_loadcnt 0x0
	s_delay_alu instid0(VALU_DEP_1)
	v_pk_add_f32 v[94:95], v[96:97], v[94:95] neg_lo:[0,1] neg_hi:[0,1]
	scratch_store_b64 off, v[94:95], off offset:16
	s_wait_xcnt 0x0
	v_cmpx_lt_u32_e32 1, v0
	s_cbranch_execz .LBB45_287
; %bb.286:
	scratch_load_b64 v[94:95], off, off offset:8
	v_mov_b64_e32 v[96:97], 0
	scratch_store_b64 off, v[96:97], off offset:8
	s_wait_loadcnt 0x0
	ds_store_b64 v1, v[94:95]
.LBB45_287:
	s_wait_xcnt 0x0
	s_or_b32 exec_lo, exec_lo, s0
	s_wait_storecnt_dscnt 0x0
	s_barrier_signal -1
	s_barrier_wait -1
	s_clause 0x17
	scratch_load_b128 v[94:97], off, off offset:16
	scratch_load_b128 v[98:101], off, off offset:32
	;; [unrolled: 1-line block ×22, first 2 shown]
	s_set_vgpr_msb 64                       ;  msbs: dst=1 src0=0 src1=0 src2=0
	scratch_load_b64 v[14:15] /*v[270:271]*/, off, off offset:8
	s_set_vgpr_msb 0                        ;  msbs: dst=0 src0=0 src1=0 src2=0
	ds_load_b128 v[182:185], v73 offset:384
	ds_load_b128 v[186:189], v73 offset:400
	;; [unrolled: 1-line block ×19, first 2 shown]
	s_set_vgpr_msb 64                       ;  msbs: dst=1 src0=0 src1=0 src2=0
	ds_load_b128 v[2:5] /*v[258:261]*/, v73 offset:624
	ds_load_b128 v[6:9] /*v[262:265]*/, v73 offset:640
	;; [unrolled: 1-line block ×3, first 2 shown]
	s_set_vgpr_msb 0                        ;  msbs: dst=0 src0=0 src1=0 src2=0
	v_ashrrev_i32_e32 v71, 31, v70
	s_wait_dscnt 0x13
	s_set_vgpr_msb 64                       ;  msbs: dst=1 src0=0 src1=0 src2=0
	v_dual_mov_b32 v16 /*v272*/, v193 :: v_dual_mov_b32 v17 /*v273*/, v192
	s_wait_dscnt 0x12
	v_dual_mov_b32 v18 /*v274*/, v197 :: v_dual_mov_b32 v19 /*v275*/, v196
	s_wait_dscnt 0xf
	;; [unrolled: 2-line block ×3, first 2 shown]
	v_dual_mov_b32 v22 /*v278*/, v213 :: v_dual_mov_b32 v23 /*v279*/, v212
	s_set_vgpr_msb 0                        ;  msbs: dst=0 src0=0 src1=0 src2=0
	v_dual_ashrrev_i32 v7, 31, v6 :: v_dual_ashrrev_i32 v9, 31, v8
	v_dual_ashrrev_i32 v11, 31, v10 :: v_dual_ashrrev_i32 v13, 31, v12
	;; [unrolled: 1-line block ×16, first 2 shown]
	s_mov_b32 s0, exec_lo
	s_wait_loadcnt 0x16
	v_dual_mul_f32 v73, v182, v95 :: v_dual_mul_f32 v75, v184, v97
	s_wait_loadcnt 0x15
	v_dual_mul_f32 v77, v186, v99 :: v_dual_mul_f32 v79, v188, v101
	v_dual_mul_f32 v81, v183, v95 :: v_dual_mul_f32 v83, v185, v97
	v_mul_f32_e32 v85, v187, v99
	v_dual_fmac_f32 v73, v183, v94 :: v_dual_fmac_f32 v75, v185, v96
	s_delay_alu instid0(VALU_DEP_3)
	v_dual_fma_f32 v81, v182, v94, -v81 :: v_dual_mul_f32 v87, v189, v101
	s_wait_loadcnt 0x14
	v_dual_mul_f32 v89, v198, v103 :: v_dual_fmac_f32 v77, v187, v98
	s_wait_loadcnt 0x13
	v_dual_mul_f32 v99, v204, v109 :: v_dual_mul_f32 v95, v199, v103
	s_wait_loadcnt_dscnt 0x803
	v_dual_mul_f32 v94, v254, v151 :: v_dual_fma_f32 v83, v184, v96, -v83
	v_add_f32_e32 v73, 0, v73
	v_dual_add_f32 v81, 0, v81 :: v_dual_fma_f32 v85, v186, v98, -v85
	v_dual_mul_f32 v91, v200, v105 :: v_dual_mul_f32 v93, v202, v107
	s_delay_alu instid0(VALU_DEP_3) | instskip(NEXT) | instid1(VALU_DEP_3)
	v_add_f32_e32 v73, v73, v75
	v_dual_add_f32 v75, v81, v83 :: v_dual_fma_f32 v83, v188, v100, -v87
	v_fmac_f32_e32 v79, v189, v100
	v_dual_mul_f32 v97, v201, v105 :: v_dual_mul_f32 v101, v203, v107
	s_delay_alu instid0(VALU_DEP_4) | instskip(NEXT) | instid1(VALU_DEP_4)
	v_dual_add_f32 v73, v73, v77 :: v_dual_fmac_f32 v89, v199, v102
	v_dual_add_f32 v75, v75, v85 :: v_dual_fma_f32 v85, v198, v102, -v95
	v_fmac_f32_e32 v91, v201, v104
	s_delay_alu instid0(VALU_DEP_3) | instskip(SKIP_1) | instid1(VALU_DEP_4)
	v_add_f32_e32 v73, v73, v79
	v_dual_mul_f32 v103, v205, v109 :: v_dual_mul_f32 v105, v214, v111
	v_dual_add_f32 v75, v75, v83 :: v_dual_fma_f32 v83, v200, v104, -v97
	s_delay_alu instid0(VALU_DEP_3) | instskip(NEXT) | instid1(VALU_DEP_2)
	v_dual_add_f32 v73, v73, v89 :: v_dual_fmac_f32 v93, v203, v106
	v_dual_fma_f32 v87, v202, v106, -v101 :: v_dual_add_f32 v75, v75, v85
	v_fmac_f32_e32 v99, v205, v108
	s_delay_alu instid0(VALU_DEP_3) | instskip(SKIP_1) | instid1(VALU_DEP_4)
	v_dual_add_f32 v73, v73, v91 :: v_dual_mul_f32 v107, v216, v113
	v_mul_f32_e32 v109, v218, v115
	v_dual_add_f32 v75, v75, v83 :: v_dual_fma_f32 v83, v204, v108, -v103
	s_delay_alu instid0(VALU_DEP_3) | instskip(NEXT) | instid1(VALU_DEP_2)
	v_dual_add_f32 v73, v73, v93 :: v_dual_mul_f32 v111, v215, v111
	v_dual_mul_f32 v113, v217, v113 :: v_dual_add_f32 v75, v75, v87
	s_delay_alu instid0(VALU_DEP_2) | instskip(NEXT) | instid1(VALU_DEP_3)
	v_dual_fmac_f32 v105, v215, v110 :: v_dual_add_f32 v73, v73, v99
	v_dual_mul_f32 v115, v219, v115 :: v_dual_fma_f32 v87, v214, v110, -v111
	s_delay_alu instid0(VALU_DEP_3) | instskip(NEXT) | instid1(VALU_DEP_3)
	v_dual_add_f32 v75, v75, v83 :: v_dual_fmac_f32 v107, v217, v112
	v_add_f32_e32 v73, v73, v105
	s_set_vgpr_msb 64                       ;  msbs: dst=1 src0=0 src1=0 src2=0
	v_dual_mul_f32 v24 /*v280*/, v220, v117 :: v_dual_mul_f32 v25 /*v281*/, v222, v119
	s_set_vgpr_msb 0                        ;  msbs: dst=0 src0=0 src1=0 src2=0
	v_dual_mul_f32 v117, v221, v117 :: v_dual_mul_f32 v83, v227, v123
	v_dual_fma_f32 v89, v216, v112, -v113 :: v_dual_add_f32 v75, v75, v87
	v_dual_mul_f32 v87, v229, v125 :: v_dual_fmac_f32 v109, v219, v114
	v_dual_fma_f32 v91, v218, v114, -v115 :: v_dual_add_f32 v73, v73, v107
	s_set_vgpr_msb 64                       ;  msbs: dst=1 src0=0 src1=0 src2=0
	v_dual_mul_f32 v40 /*v296*/, v252, v149 :: v_dual_fmac_f32 v24 /*v280*/, v221, v116
	s_set_vgpr_msb 0                        ;  msbs: dst=0 src0=0 src1=0 src2=0
	v_dual_add_f32 v75, v75, v89 :: v_dual_fma_f32 v93, v220, v116, -v117
	v_dual_mul_f32 v89, v231, v127 :: v_dual_add_f32 v73, v73, v109
	s_set_vgpr_msb 64                       ;  msbs: dst=1 src0=0 src1=0 src2=0
	v_dual_mul_f32 v26 /*v282*/, v224, v121 :: v_dual_mul_f32 v27 /*v283*/, v226, v123
	v_fmac_f32_e32 v25 /*v281*/, v223, v118
	s_set_vgpr_msb 0                        ;  msbs: dst=0 src0=0 src1=0 src2=0
	v_dual_mul_f32 v119, v223, v119 :: v_dual_mul_f32 v121, v225, v121
	s_set_vgpr_msb 4                        ;  msbs: dst=0 src0=0 src1=1 src2=0
	v_add_f32_e32 v73, v73, v24 /*v280*/
	s_set_vgpr_msb 0                        ;  msbs: dst=0 src0=0 src1=0 src2=0
	v_dual_add_f32 v75, v75, v91 :: v_dual_mul_f32 v91, v233, v129
	s_set_vgpr_msb 64                       ;  msbs: dst=1 src0=0 src1=0 src2=0
	v_dual_fmac_f32 v26 /*v282*/, v225, v120 :: v_dual_mul_f32 v28 /*v284*/, v228, v125
	v_mul_f32_e32 v29 /*v285*/, v230, v127
	s_set_vgpr_msb 4                        ;  msbs: dst=0 src0=0 src1=1 src2=0
	v_add_f32_e32 v73, v73, v25 /*v281*/
	s_set_vgpr_msb 0                        ;  msbs: dst=0 src0=0 src1=0 src2=0
	v_dual_fma_f32 v98, v222, v118, -v119 :: v_dual_add_f32 v75, v75, v93
	s_set_vgpr_msb 64                       ;  msbs: dst=1 src0=0 src1=0 src2=0
	v_dual_fmac_f32 v27 /*v283*/, v227, v122 :: v_dual_fmac_f32 v28 /*v284*/, v229, v124
	s_set_vgpr_msb 4                        ;  msbs: dst=0 src0=0 src1=1 src2=0
	v_add_f32_e32 v73, v73, v26 /*v282*/
	s_set_vgpr_msb 0                        ;  msbs: dst=0 src0=0 src1=0 src2=0
	v_dual_mul_f32 v93, v235, v131 :: v_dual_fma_f32 v99, v224, v120, -v121
	v_dual_add_f32 v75, v75, v98 :: v_dual_mul_f32 v98, v237, v133
	s_set_vgpr_msb 4                        ;  msbs: dst=0 src0=0 src1=1 src2=0
	v_add_f32_e32 v73, v73, v27 /*v283*/
	s_set_vgpr_msb 64                       ;  msbs: dst=1 src0=0 src1=0 src2=0
	v_dual_mul_f32 v30 /*v286*/, v232, v129 :: v_dual_mul_f32 v31 /*v287*/, v234, v131
	s_set_vgpr_msb 0                        ;  msbs: dst=0 src0=0 src1=0 src2=0
	v_dual_fma_f32 v83, v226, v122, -v83 :: v_dual_add_f32 v75, v75, v99
	s_set_vgpr_msb 64                       ;  msbs: dst=1 src0=0 src1=0 src2=0
	s_delay_alu instid0(VALU_DEP_2)
	v_dual_fmac_f32 v29 /*v285*/, v231, v126 :: v_dual_fmac_f32 v30 /*v286*/, v233, v128
	s_set_vgpr_msb 4                        ;  msbs: dst=0 src0=0 src1=1 src2=0
	v_add_f32_e32 v73, v73, v28 /*v284*/
	s_set_vgpr_msb 0                        ;  msbs: dst=0 src0=0 src1=0 src2=0
	v_dual_mul_f32 v99, v239, v135 :: v_dual_fma_f32 v87, v228, v124, -v87
	v_dual_add_f32 v75, v75, v83 :: v_dual_mul_f32 v83, v241, v137
	s_set_vgpr_msb 4                        ;  msbs: dst=0 src0=0 src1=1 src2=0
	v_add_f32_e32 v73, v73, v29 /*v285*/
	s_set_vgpr_msb 64                       ;  msbs: dst=1 src0=0 src1=0 src2=0
	v_dual_mul_f32 v32 /*v288*/, v236, v133 :: v_dual_mul_f32 v33 /*v289*/, v238, v135
	s_set_vgpr_msb 0                        ;  msbs: dst=0 src0=0 src1=0 src2=0
	v_dual_fma_f32 v89, v230, v126, -v89 :: v_dual_add_f32 v75, v75, v87
	s_set_vgpr_msb 64                       ;  msbs: dst=1 src0=0 src1=0 src2=0
	s_delay_alu instid0(VALU_DEP_2)
	v_dual_fmac_f32 v31 /*v287*/, v235, v130 :: v_dual_fmac_f32 v32 /*v288*/, v237, v132
	s_set_vgpr_msb 4                        ;  msbs: dst=0 src0=0 src1=1 src2=0
	v_add_f32_e32 v73, v73, v30 /*v286*/
	s_set_vgpr_msb 0                        ;  msbs: dst=0 src0=0 src1=0 src2=0
	v_dual_mul_f32 v87, v243, v139 :: v_dual_fma_f32 v91, v232, v128, -v91
	v_dual_add_f32 v75, v75, v89 :: v_dual_fma_f32 v93, v234, v130, -v93
	s_set_vgpr_msb 4                        ;  msbs: dst=0 src0=0 src1=1 src2=0
	v_add_f32_e32 v73, v73, v31 /*v287*/
	s_set_vgpr_msb 64                       ;  msbs: dst=1 src0=0 src1=0 src2=0
	v_dual_mul_f32 v34 /*v290*/, v240, v137 :: v_dual_mul_f32 v35 /*v291*/, v242, v139
	s_set_vgpr_msb 0                        ;  msbs: dst=0 src0=0 src1=0 src2=0
	v_dual_mul_f32 v89, v245, v141 :: v_dual_add_f32 v75, v75, v91
	s_set_vgpr_msb 64                       ;  msbs: dst=1 src0=0 src1=0 src2=0
	s_delay_alu instid0(VALU_DEP_2)
	v_dual_fmac_f32 v33 /*v289*/, v239, v134 :: v_dual_fmac_f32 v34 /*v290*/, v241, v136
	s_set_vgpr_msb 4                        ;  msbs: dst=0 src0=0 src1=1 src2=0
	v_add_f32_e32 v73, v73, v32 /*v288*/
	s_set_vgpr_msb 0                        ;  msbs: dst=0 src0=0 src1=0 src2=0
	v_dual_mul_f32 v91, v247, v143 :: v_dual_fma_f32 v98, v236, v132, -v98
	v_dual_add_f32 v75, v75, v93 :: v_dual_fma_f32 v99, v238, v134, -v99
	s_set_vgpr_msb 4                        ;  msbs: dst=0 src0=0 src1=1 src2=0
	v_add_f32_e32 v73, v73, v33 /*v289*/
	s_set_vgpr_msb 64                       ;  msbs: dst=1 src0=0 src1=0 src2=0
	v_dual_mul_f32 v36 /*v292*/, v244, v141 :: v_dual_mul_f32 v37 /*v293*/, v246, v143
	s_set_vgpr_msb 0                        ;  msbs: dst=0 src0=0 src1=0 src2=0
	v_dual_mul_f32 v93, v249, v145 :: v_dual_add_f32 v75, v75, v98
	s_set_vgpr_msb 64                       ;  msbs: dst=1 src0=0 src1=0 src2=0
	s_delay_alu instid0(VALU_DEP_2)
	v_dual_fmac_f32 v35 /*v291*/, v243, v138 :: v_dual_fmac_f32 v36 /*v292*/, v245, v140
	s_set_vgpr_msb 4                        ;  msbs: dst=0 src0=0 src1=1 src2=0
	v_add_f32_e32 v73, v73, v34 /*v290*/
	s_set_vgpr_msb 0                        ;  msbs: dst=0 src0=0 src1=0 src2=0
	v_dual_mul_f32 v98, v251, v147 :: v_dual_fma_f32 v83, v240, v136, -v83
	v_dual_add_f32 v75, v75, v99 :: v_dual_mul_f32 v99, v253, v149
	s_set_vgpr_msb 4                        ;  msbs: dst=0 src0=0 src1=1 src2=0
	v_add_f32_e32 v73, v73, v35 /*v291*/
	s_set_vgpr_msb 64                       ;  msbs: dst=1 src0=0 src1=0 src2=0
	v_dual_mul_f32 v38 /*v294*/, v248, v145 :: v_dual_mul_f32 v39 /*v295*/, v250, v147
	s_set_vgpr_msb 0                        ;  msbs: dst=0 src0=0 src1=0 src2=0
	v_dual_fma_f32 v87, v242, v138, -v87 :: v_dual_add_f32 v75, v75, v83
	s_set_vgpr_msb 64                       ;  msbs: dst=1 src0=0 src1=0 src2=0
	s_delay_alu instid0(VALU_DEP_2)
	v_dual_fmac_f32 v37 /*v293*/, v247, v142 :: v_dual_fmac_f32 v38 /*v294*/, v249, v144
	s_set_vgpr_msb 4                        ;  msbs: dst=0 src0=0 src1=1 src2=0
	v_add_f32_e32 v73, v73, v36 /*v292*/
	s_set_vgpr_msb 0                        ;  msbs: dst=0 src0=0 src1=0 src2=0
	v_dual_mul_f32 v83, v255, v151 :: v_dual_fma_f32 v89, v244, v140, -v89
	v_dual_add_f32 v75, v75, v87 :: v_dual_fma_f32 v91, v246, v142, -v91
	s_set_vgpr_msb 4                        ;  msbs: dst=0 src0=0 src1=1 src2=0
	v_add_f32_e32 v73, v73, v37 /*v293*/
	s_set_vgpr_msb 64                       ;  msbs: dst=1 src0=0 src1=0 src2=0
	v_dual_fmac_f32 v39 /*v295*/, v251, v146 :: v_dual_fmac_f32 v40 /*v296*/, v253, v148
	s_set_vgpr_msb 0                        ;  msbs: dst=0 src0=0 src1=0 src2=0
	v_dual_add_f32 v75, v75, v89 :: v_dual_fma_f32 v93, v248, v144, -v93
	s_set_vgpr_msb 4                        ;  msbs: dst=0 src0=0 src1=1 src2=0
	v_add_f32_e32 v73, v73, v38 /*v294*/
	s_wait_loadcnt_dscnt 0x702
	s_set_vgpr_msb 1                        ;  msbs: dst=0 src0=1 src1=0 src2=0
	v_dual_mul_f32 v96, v0 /*v256*/, v153 :: v_dual_mul_f32 v81, v2 /*v258*/, v155
	s_set_vgpr_msb 0                        ;  msbs: dst=0 src0=0 src1=0 src2=0
	v_dual_add_f32 v75, v75, v91 :: v_dual_fma_f32 v98, v250, v146, -v98
	s_set_vgpr_msb 4                        ;  msbs: dst=0 src0=0 src1=1 src2=0
	v_add_f32_e32 v73, v73, v39 /*v295*/
	s_set_vgpr_msb 0                        ;  msbs: dst=0 src0=0 src1=0 src2=0
	v_dual_fmac_f32 v94, v255, v150 :: v_dual_fma_f32 v83, v254, v150, -v83
	v_dual_add_f32 v75, v75, v93 :: v_dual_fma_f32 v99, v252, v148, -v99
	s_set_vgpr_msb 4                        ;  msbs: dst=0 src0=0 src1=1 src2=0
	v_add_f32_e32 v73, v73, v40 /*v296*/
	s_set_vgpr_msb 1                        ;  msbs: dst=0 src0=1 src1=0 src2=0
	v_dual_fmac_f32 v96, v1 /*v257*/, v152 :: v_dual_fmac_f32 v81, v3 /*v259*/, v154
	s_wait_loadcnt_dscnt 0x601
	v_dual_mul_f32 v87, v1 /*v257*/, v153 :: v_dual_mul_f32 v93, v7 /*v263*/, v159
	s_set_vgpr_msb 0                        ;  msbs: dst=0 src0=0 src1=0 src2=0
	v_add_f32_e32 v73, v73, v94
	v_add_f32_e32 v75, v75, v98
	s_set_vgpr_msb 1                        ;  msbs: dst=0 src0=1 src1=0 src2=0
	v_dual_mul_f32 v77, v4 /*v260*/, v157 :: v_dual_mul_f32 v79, v6 /*v262*/, v159
	s_wait_loadcnt_dscnt 0x500
	v_dual_mul_f32 v97, v12 /*v268*/, v165 :: v_dual_mul_f32 v89, v3 /*v259*/, v155
	s_set_vgpr_msb 0                        ;  msbs: dst=0 src0=0 src1=0 src2=0
	v_dual_add_f32 v73, v73, v96 :: v_dual_add_f32 v75, v75, v99
	s_set_vgpr_msb 1                        ;  msbs: dst=0 src0=1 src1=0 src2=0
	v_dual_mul_f32 v101, v9 /*v265*/, v161 :: v_dual_fma_f32 v87, v0 /*v256*/, v152, -v87
	v_dual_mul_f32 v91, v5 /*v261*/, v157 :: v_dual_mul_f32 v105, v11 /*v267*/, v163
	s_set_vgpr_msb 0                        ;  msbs: dst=0 src0=0 src1=0 src2=0
	v_dual_add_f32 v73, v73, v81 :: v_dual_add_f32 v75, v75, v83
	s_set_vgpr_msb 1                        ;  msbs: dst=0 src0=1 src1=0 src2=0
	v_dual_mul_f32 v83, v13 /*v269*/, v165 :: v_dual_fma_f32 v89, v2 /*v258*/, v154, -v89
	v_fmac_f32_e32 v77, v5 /*v261*/, v156
	s_wait_loadcnt 0x4
	s_set_vgpr_msb 0                        ;  msbs: dst=0 src0=0 src1=0 src2=0
	v_dual_mov_b32 v100, v169 :: v_dual_add_f32 v75, v75, v87
	s_set_vgpr_msb 1                        ;  msbs: dst=0 src0=1 src1=0 src2=0
	v_fma_f32 v87, v4 /*v260*/, v156, -v91
	v_dual_fmac_f32 v79, v7 /*v263*/, v158 :: v_dual_fma_f32 v81, v6 /*v262*/, v158, -v93
	s_set_vgpr_msb 0                        ;  msbs: dst=0 src0=0 src1=0 src2=0
	v_add_f32_e32 v73, v73, v77
	v_add_f32_e32 v75, v75, v89
	s_set_vgpr_msb 1                        ;  msbs: dst=0 src0=1 src1=0 src2=0
	v_dual_mul_f32 v85, v8 /*v264*/, v161 :: v_dual_mul_f32 v95, v10 /*v266*/, v163
	s_set_vgpr_msb 0                        ;  msbs: dst=0 src0=0 src1=0 src2=0
	v_pk_mul_f32 v[98:99], v[190:191], v[166:167] op_sel:[1,1] op_sel_hi:[0,1]
	v_add_f32_e32 v73, v73, v79
	v_add_f32_e32 v75, v75, v87
	s_set_vgpr_msb 1                        ;  msbs: dst=0 src0=1 src1=0 src2=0
	v_dual_fmac_f32 v85, v9 /*v265*/, v160 :: v_dual_fmac_f32 v95, v11 /*v267*/, v162
	v_fma_f32 v77, v8 /*v264*/, v160, -v101
	s_wait_loadcnt 0x3
	s_set_vgpr_msb 0                        ;  msbs: dst=0 src0=0 src1=0 src2=0
	v_dual_mov_b32 v104, v173 :: v_dual_add_f32 v75, v75, v81
	s_set_vgpr_msb 1                        ;  msbs: dst=0 src0=1 src1=0 src2=0
	v_dual_fma_f32 v94, v10 /*v266*/, v162, -v105 :: v_dual_fma_f32 v96, v12 /*v268*/, v164, -v83
	s_set_vgpr_msb 0                        ;  msbs: dst=0 src0=0 src1=0 src2=0
	v_dual_add_f32 v107, v73, v85 :: v_dual_ashrrev_i32 v73, 31, v72
	v_pk_fma_f32 v[108:109], v[190:191], v[166:167], v[98:99] op_sel_hi:[1,0,1]
	v_add_f32_e32 v106, v75, v77
	v_pk_fma_f32 v[98:99], v[190:191], v[166:167], v[98:99] neg_lo:[0,0,1] neg_hi:[0,0,1]
	s_set_vgpr_msb 1                        ;  msbs: dst=0 src0=1 src1=0 src2=0
	v_dual_fmac_f32 v97, v13 /*v269*/, v164 :: v_dual_ashrrev_i32 v79, 31, v78
	v_pk_mul_f32 v[100:101], v[16:17] /*v[272:273]*/, v[100:101] op_sel_hi:[1,0]
	s_set_vgpr_msb 0                        ;  msbs: dst=0 src0=0 src1=0 src2=0
	v_mov_b32_e32 v99, v109
	v_pk_add_f32 v[94:95], v[106:107], v[94:95]
	v_pk_mul_f32 v[102:103], v[194:195], v[170:171] op_sel:[1,1] op_sel_hi:[0,1]
	s_set_vgpr_msb 1                        ;  msbs: dst=0 src0=1 src1=0 src2=0
	v_pk_mul_f32 v[104:105], v[18:19] /*v[274:275]*/, v[104:105] op_sel_hi:[1,0]
	s_set_vgpr_msb 0                        ;  msbs: dst=0 src0=0 src1=0 src2=0
	v_pk_fma_f32 v[108:109], v[192:193], v[168:169], v[100:101] op_sel_hi:[1,0,1]
	v_pk_fma_f32 v[100:101], v[192:193], v[168:169], v[100:101] neg_lo:[0,0,1] neg_hi:[0,0,1]
	v_pk_add_f32 v[94:95], v[94:95], v[96:97]
	s_wait_loadcnt 0x2
	v_pk_mul_f32 v[106:107], v[206:207], v[174:175] op_sel:[1,1] op_sel_hi:[0,1]
	v_pk_fma_f32 v[96:97], v[194:195], v[170:171], v[102:103] op_sel_hi:[1,0,1]
	v_dual_mov_b32 v101, v109 :: v_dual_mov_b32 v96, v177
	v_pk_add_f32 v[94:95], v[94:95], v[98:99]
	v_pk_fma_f32 v[98:99], v[194:195], v[170:171], v[102:103] neg_lo:[0,0,1] neg_hi:[0,0,1]
	v_pk_fma_f32 v[102:103], v[196:197], v[172:173], v[104:105] op_sel_hi:[1,0,1]
	v_pk_fma_f32 v[104:105], v[196:197], v[172:173], v[104:105] neg_lo:[0,0,1] neg_hi:[0,0,1]
	v_ashrrev_i32_e32 v77, 31, v76
	v_pk_add_f32 v[94:95], v[94:95], v[100:101]
	v_pk_fma_f32 v[100:101], v[206:207], v[174:175], v[106:107] op_sel_hi:[1,0,1]
	v_mov_b32_e32 v99, v97
	s_set_vgpr_msb 1                        ;  msbs: dst=0 src0=1 src1=0 src2=0
	v_pk_mul_f32 v[96:97], v[20:21] /*v[276:277]*/, v[96:97] op_sel_hi:[1,0]
	s_set_vgpr_msb 0                        ;  msbs: dst=0 src0=0 src1=0 src2=0
	v_mov_b32_e32 v105, v103
	v_pk_fma_f32 v[102:103], v[206:207], v[174:175], v[106:107] neg_lo:[0,0,1] neg_hi:[0,0,1]
	v_mov_b32_e32 v103, v101
	v_pk_add_f32 v[94:95], v[94:95], v[98:99]
	v_pk_fma_f32 v[100:101], v[208:209], v[176:177], v[96:97] op_sel_hi:[1,0,1]
	s_wait_loadcnt 0x1
	v_pk_mul_f32 v[98:99], v[210:211], v[178:179] op_sel:[1,1] op_sel_hi:[0,1]
	v_mov_b32_e32 v100, v181
	v_pk_fma_f32 v[96:97], v[208:209], v[176:177], v[96:97] neg_lo:[0,0,1] neg_hi:[0,0,1]
	v_pk_add_f32 v[94:95], v[94:95], v[104:105]
	v_mov_b32_e32 v97, v101
	v_pk_fma_f32 v[104:105], v[210:211], v[178:179], v[98:99] op_sel_hi:[1,0,1]
	s_set_vgpr_msb 1                        ;  msbs: dst=0 src0=1 src1=0 src2=0
	v_pk_mul_f32 v[100:101], v[22:23] /*v[278:279]*/, v[100:101] op_sel_hi:[1,0]
	s_set_vgpr_msb 0                        ;  msbs: dst=0 src0=0 src1=0 src2=0
	v_pk_fma_f32 v[98:99], v[210:211], v[178:179], v[98:99] neg_lo:[0,0,1] neg_hi:[0,0,1]
	v_pk_add_f32 v[94:95], v[94:95], v[102:103]
	v_dual_ashrrev_i32 v81, 31, v80 :: v_dual_mov_b32 v99, v105
	v_ashrrev_i32_e32 v75, 31, v74
	v_dual_ashrrev_i32 v83, 31, v82 :: v_dual_ashrrev_i32 v85, 31, v84
	s_delay_alu instid0(VALU_DEP_4) | instskip(SKIP_3) | instid1(VALU_DEP_4)
	v_pk_add_f32 v[94:95], v[94:95], v[96:97]
	v_pk_fma_f32 v[96:97], v[212:213], v[180:181], v[100:101] op_sel_hi:[1,0,1]
	v_pk_fma_f32 v[100:101], v[212:213], v[180:181], v[100:101] neg_lo:[0,0,1] neg_hi:[0,0,1]
	v_dual_ashrrev_i32 v87, 31, v86 :: v_dual_ashrrev_i32 v89, 31, v88
	v_pk_add_f32 v[94:95], v[94:95], v[98:99]
	s_delay_alu instid0(VALU_DEP_4) | instskip(SKIP_1) | instid1(VALU_DEP_2)
	v_dual_mov_b32 v101, v97 :: v_dual_ashrrev_i32 v91, 31, v90
	v_ashrrev_i32_e32 v93, 31, v92
	v_pk_add_f32 v[94:95], v[94:95], v[100:101]
	s_wait_loadcnt 0x0
	s_set_vgpr_msb 1                        ;  msbs: dst=0 src0=1 src1=0 src2=0
	s_delay_alu instid0(VALU_DEP_1)
	v_pk_add_f32 v[94:95], v[14:15] /*v[270:271]*/, v[94:95] neg_lo:[0,1] neg_hi:[0,1]
	scratch_store_b64 off, v[94:95], off offset:8
	s_wait_xcnt 0x0
	v_cmpx_ne_u32_e32 0, v0
	s_set_vgpr_msb 0                        ;  msbs: dst=0 src0=0 src1=0 src2=0
	s_cbranch_execz .LBB45_289
; %bb.288:
	scratch_load_b64 v[94:95], off, off
	v_mov_b64_e32 v[96:97], 0
	scratch_store_b64 off, v[96:97], off
	s_wait_loadcnt 0x0
	ds_store_b64 v1, v[94:95]
.LBB45_289:
	s_wait_xcnt 0x0
	s_or_b32 exec_lo, exec_lo, s0
	s_wait_storecnt_dscnt 0x0
	s_barrier_signal -1
	s_barrier_wait -1
	s_clause 0x18
	scratch_load_b128 v[96:99], off, off offset:8
	scratch_load_b128 v[100:103], off, off offset:24
	;; [unrolled: 1-line block ×22, first 2 shown]
	scratch_load_b64 v[0:1], off, off offset:360
	s_set_vgpr_msb 64                       ;  msbs: dst=1 src0=0 src1=0 src2=0
	scratch_load_b64 v[16:17] /*v[272:273]*/, off, off
	s_set_vgpr_msb 0                        ;  msbs: dst=0 src0=0 src1=0 src2=0
	v_mov_b32_e32 v94, 0
	ds_load_2addr_b64 v[184:187], v94 offset0:47 offset1:48
	ds_load_2addr_b64 v[188:191], v94 offset0:49 offset1:50
	;; [unrolled: 1-line block ×18, first 2 shown]
	s_set_vgpr_msb 64                       ;  msbs: dst=1 src0=0 src1=0 src2=0
	ds_load_2addr_b64 v[0:3] /*v[256:259]*/, v94 offset0:75 offset1:76
	ds_load_2addr_b64 v[4:7] /*v[260:263]*/, v94 offset0:77 offset1:78
	;; [unrolled: 1-line block ×4, first 2 shown]
	ds_load_b64 v[18:19] /*v[274:275]*/, v94 offset:728
	s_wait_dscnt 0x14
	v_dual_mov_b32 v20 /*v276*/, v195 :: v_dual_mov_b32 v21 /*v277*/, v194
	s_wait_dscnt 0x11
	v_dual_mov_b32 v22 /*v278*/, v207 :: v_dual_mov_b32 v23 /*v279*/, v206
	;; [unrolled: 2-line block ×4, first 2 shown]
	s_and_b32 vcc_lo, exec_lo, s18
	s_wait_loadcnt 0x17
	s_set_vgpr_msb 0                        ;  msbs: dst=0 src0=0 src1=0 src2=0
	v_dual_mul_f32 v95, v184, v97 :: v_dual_mul_f32 v97, v185, v97
	s_wait_loadcnt 0x16
	s_set_vgpr_msb 64                       ;  msbs: dst=1 src0=0 src1=0 src2=0
	v_dual_mul_f32 v28 /*v284*/, v186, v99 :: v_dual_mul_f32 v30 /*v286*/, v188, v101
	s_wait_loadcnt 0x14
	v_dual_mul_f32 v34 /*v290*/, v198, v107 :: v_dual_mul_f32 v35 /*v291*/, v200, v109
	s_set_vgpr_msb 0                        ;  msbs: dst=0 src0=0 src1=0 src2=0
	v_dual_mul_f32 v99, v187, v99 :: v_dual_mul_f32 v109, v201, v109
	v_dual_fmac_f32 v95, v185, v96 :: v_dual_fma_f32 v96, v184, v96, -v97
	v_dual_mul_f32 v101, v189, v101 :: v_dual_mul_f32 v97, v203, v111
	s_set_vgpr_msb 64                       ;  msbs: dst=1 src0=0 src1=0 src2=0
	v_dual_fmac_f32 v28 /*v284*/, v187, v98 :: v_dual_fmac_f32 v30 /*v286*/, v189, v100
	s_set_vgpr_msb 0                        ;  msbs: dst=0 src0=0 src1=0 src2=0
	v_dual_fma_f32 v98, v186, v98, -v99 :: v_dual_add_f32 v95, 0, v95
	s_wait_loadcnt 0x13
	v_dual_add_f32 v96, 0, v96 :: v_dual_mul_f32 v99, v213, v113
	s_set_vgpr_msb 64                       ;  msbs: dst=1 src0=0 src1=0 src2=0
	v_dual_mul_f32 v32 /*v288*/, v190, v103 :: v_dual_mul_f32 v33 /*v289*/, v196, v105
	s_set_vgpr_msb 0                        ;  msbs: dst=0 src0=0 src1=0 src2=0
	v_dual_mul_f32 v103, v191, v103 :: v_dual_fma_f32 v100, v188, v100, -v101
	s_set_vgpr_msb 4                        ;  msbs: dst=0 src0=0 src1=1 src2=0
	v_add_f32_e32 v95, v95, v28 /*v284*/
	s_set_vgpr_msb 0                        ;  msbs: dst=0 src0=0 src1=0 src2=0
	v_dual_add_f32 v96, v96, v98 :: v_dual_mul_f32 v105, v197, v105
	v_mul_f32_e32 v107, v199, v107
	v_mul_f32_e32 v98, v215, v115
	s_set_vgpr_msb 64                       ;  msbs: dst=1 src0=0 src1=0 src2=0
	v_dual_fmac_f32 v32 /*v288*/, v191, v102 :: v_dual_fmac_f32 v33 /*v289*/, v197, v104
	s_set_vgpr_msb 0                        ;  msbs: dst=0 src0=0 src1=0 src2=0
	v_dual_fma_f32 v101, v190, v102, -v103 :: v_dual_add_f32 v96, v96, v100
	s_set_vgpr_msb 4                        ;  msbs: dst=0 src0=0 src1=1 src2=0
	v_add_f32_e32 v95, v95, v30 /*v286*/
	s_set_vgpr_msb 0                        ;  msbs: dst=0 src0=0 src1=0 src2=0
	v_fma_f32 v102, v196, v104, -v105
	s_set_vgpr_msb 64                       ;  msbs: dst=1 src0=0 src1=0 src2=0
	v_dual_fmac_f32 v34 /*v290*/, v199, v106 :: v_dual_fmac_f32 v35 /*v291*/, v201, v108
	s_set_vgpr_msb 0                        ;  msbs: dst=0 src0=0 src1=0 src2=0
	v_dual_add_f32 v96, v96, v101 :: v_dual_fma_f32 v103, v198, v106, -v107
	s_set_vgpr_msb 4                        ;  msbs: dst=0 src0=0 src1=1 src2=0
	v_add_f32_e32 v95, v95, v32 /*v288*/
	s_wait_loadcnt 0x12
	s_set_vgpr_msb 0                        ;  msbs: dst=0 src0=0 src1=0 src2=0
	v_mul_f32_e32 v101, v219, v119
	s_set_vgpr_msb 64                       ;  msbs: dst=1 src0=0 src1=0 src2=0
	v_dual_mul_f32 v36 /*v292*/, v202, v111 :: v_dual_mul_f32 v37 /*v293*/, v212, v113
	s_wait_loadcnt_dscnt 0x110c
	s_set_vgpr_msb 0                        ;  msbs: dst=0 src0=0 src1=0 src2=0
	v_dual_add_f32 v96, v96, v102 :: v_dual_mul_f32 v102, v225, v121
	s_set_vgpr_msb 4                        ;  msbs: dst=0 src0=0 src1=1 src2=0
	v_add_f32_e32 v95, v95, v33 /*v289*/
	s_set_vgpr_msb 0                        ;  msbs: dst=0 src0=0 src1=0 src2=0
	v_fma_f32 v104, v200, v108, -v109
	s_set_vgpr_msb 64                       ;  msbs: dst=1 src0=0 src1=0 src2=0
	v_dual_fmac_f32 v36 /*v292*/, v203, v110 :: v_dual_fmac_f32 v37 /*v293*/, v213, v112
	s_set_vgpr_msb 0                        ;  msbs: dst=0 src0=0 src1=0 src2=0
	v_dual_add_f32 v96, v96, v103 :: v_dual_fma_f32 v97, v202, v110, -v97
	s_set_vgpr_msb 4                        ;  msbs: dst=0 src0=0 src1=1 src2=0
	v_add_f32_e32 v95, v95, v34 /*v290*/
	s_set_vgpr_msb 0                        ;  msbs: dst=0 src0=0 src1=0 src2=0
	v_mul_f32_e32 v103, v227, v123
	s_set_vgpr_msb 64                       ;  msbs: dst=1 src0=0 src1=0 src2=0
	v_dual_mul_f32 v38 /*v294*/, v214, v115 :: v_dual_mul_f32 v39 /*v295*/, v216, v117
	s_wait_loadcnt_dscnt 0x100b
	s_set_vgpr_msb 0                        ;  msbs: dst=0 src0=0 src1=0 src2=0
	v_dual_add_f32 v96, v96, v104 :: v_dual_mul_f32 v104, v229, v125
	s_set_vgpr_msb 4                        ;  msbs: dst=0 src0=0 src1=1 src2=0
	v_add_f32_e32 v95, v95, v35 /*v291*/
	s_set_vgpr_msb 0                        ;  msbs: dst=0 src0=0 src1=0 src2=0
	v_dual_fma_f32 v99, v212, v112, -v99 :: v_dual_mul_f32 v100, v217, v117
	v_dual_add_f32 v96, v96, v97 :: v_dual_fma_f32 v98, v214, v114, -v98
	s_set_vgpr_msb 4                        ;  msbs: dst=0 src0=0 src1=1 src2=0
	v_add_f32_e32 v95, v95, v36 /*v292*/
	s_set_vgpr_msb 0                        ;  msbs: dst=0 src0=0 src1=0 src2=0
	v_mul_f32_e32 v97, v231, v127
	s_set_vgpr_msb 64                       ;  msbs: dst=1 src0=0 src1=0 src2=0
	v_dual_fmac_f32 v38 /*v294*/, v215, v114 :: v_dual_fmac_f32 v39 /*v295*/, v217, v116
	s_wait_loadcnt_dscnt 0xf0a
	s_set_vgpr_msb 0                        ;  msbs: dst=0 src0=0 src1=0 src2=0
	v_dual_add_f32 v96, v96, v99 :: v_dual_mul_f32 v99, v233, v129
	s_set_vgpr_msb 4                        ;  msbs: dst=0 src0=0 src1=1 src2=0
	v_add_f32_e32 v95, v95, v37 /*v293*/
	s_set_vgpr_msb 64                       ;  msbs: dst=1 src0=0 src1=0 src2=0
	v_dual_mul_f32 v40 /*v296*/, v218, v119 :: v_dual_mul_f32 v41 /*v297*/, v224, v121
	s_set_vgpr_msb 0                        ;  msbs: dst=0 src0=0 src1=0 src2=0
	v_fma_f32 v100, v216, v116, -v100
	v_add_f32_e32 v96, v96, v98
	s_set_vgpr_msb 4                        ;  msbs: dst=0 src0=0 src1=1 src2=0
	v_add_f32_e32 v95, v95, v38 /*v294*/
	s_set_vgpr_msb 0                        ;  msbs: dst=0 src0=0 src1=0 src2=0
	v_mul_f32_e32 v98, v235, v131
	s_set_vgpr_msb 64                       ;  msbs: dst=1 src0=0 src1=0 src2=0
	v_dual_fmac_f32 v40 /*v296*/, v219, v118 :: v_dual_fmac_f32 v41 /*v297*/, v225, v120
	s_set_vgpr_msb 0                        ;  msbs: dst=0 src0=0 src1=0 src2=0
	v_dual_fma_f32 v101, v218, v118, -v101 :: v_dual_add_f32 v96, v96, v100
	s_set_vgpr_msb 4                        ;  msbs: dst=0 src0=0 src1=1 src2=0
	v_add_f32_e32 v95, v95, v39 /*v295*/
	s_set_vgpr_msb 64                       ;  msbs: dst=1 src0=0 src1=0 src2=0
	v_dual_mul_f32 v42 /*v298*/, v226, v123 :: v_dual_mul_f32 v43 /*v299*/, v228, v125
	s_set_vgpr_msb 0                        ;  msbs: dst=0 src0=0 src1=0 src2=0
	v_fma_f32 v102, v224, v120, -v102
	v_dual_add_f32 v96, v96, v101 :: v_dual_fma_f32 v103, v226, v122, -v103
	s_set_vgpr_msb 4                        ;  msbs: dst=0 src0=0 src1=1 src2=0
	v_add_f32_e32 v95, v95, v40 /*v296*/
	s_wait_loadcnt_dscnt 0xe09
	s_set_vgpr_msb 0                        ;  msbs: dst=0 src0=0 src1=0 src2=0
	v_mul_f32_e32 v101, v239, v135
	s_set_vgpr_msb 64                       ;  msbs: dst=1 src0=0 src1=0 src2=0
	v_dual_fmac_f32 v42 /*v298*/, v227, v122 :: v_dual_fmac_f32 v43 /*v299*/, v229, v124
	s_wait_loadcnt_dscnt 0xd08
	s_set_vgpr_msb 0                        ;  msbs: dst=0 src0=0 src1=0 src2=0
	v_dual_add_f32 v96, v96, v102 :: v_dual_mul_f32 v102, v241, v137
	s_set_vgpr_msb 4                        ;  msbs: dst=0 src0=0 src1=1 src2=0
	v_add_f32_e32 v95, v95, v41 /*v297*/
	s_set_vgpr_msb 64                       ;  msbs: dst=1 src0=0 src1=0 src2=0
	v_dual_mul_f32 v44 /*v300*/, v230, v127 :: v_dual_mul_f32 v45 /*v301*/, v232, v129
	s_set_vgpr_msb 0                        ;  msbs: dst=0 src0=0 src1=0 src2=0
	v_fma_f32 v104, v228, v124, -v104
	v_dual_add_f32 v96, v96, v103 :: v_dual_fma_f32 v97, v230, v126, -v97
	s_set_vgpr_msb 4                        ;  msbs: dst=0 src0=0 src1=1 src2=0
	v_add_f32_e32 v95, v95, v42 /*v298*/
	s_set_vgpr_msb 0                        ;  msbs: dst=0 src0=0 src1=0 src2=0
	v_mul_f32_e32 v103, v243, v139
	s_set_vgpr_msb 64                       ;  msbs: dst=1 src0=0 src1=0 src2=0
	v_dual_fmac_f32 v44 /*v300*/, v231, v126 :: v_dual_fmac_f32 v45 /*v301*/, v233, v128
	s_wait_loadcnt_dscnt 0xc07
	s_set_vgpr_msb 0                        ;  msbs: dst=0 src0=0 src1=0 src2=0
	v_dual_add_f32 v96, v96, v104 :: v_dual_mul_f32 v104, v245, v141
	s_set_vgpr_msb 4                        ;  msbs: dst=0 src0=0 src1=1 src2=0
	v_add_f32_e32 v95, v95, v43 /*v299*/
	s_set_vgpr_msb 64                       ;  msbs: dst=1 src0=0 src1=0 src2=0
	v_dual_mul_f32 v46 /*v302*/, v234, v131 :: v_dual_mul_f32 v47 /*v303*/, v236, v133
	s_set_vgpr_msb 0                        ;  msbs: dst=0 src0=0 src1=0 src2=0
	v_fma_f32 v99, v232, v128, -v99
	v_dual_add_f32 v96, v96, v97 :: v_dual_fma_f32 v98, v234, v130, -v98
	s_set_vgpr_msb 4                        ;  msbs: dst=0 src0=0 src1=1 src2=0
	v_add_f32_e32 v95, v95, v44 /*v300*/
	s_set_vgpr_msb 0                        ;  msbs: dst=0 src0=0 src1=0 src2=0
	v_dual_mul_f32 v100, v237, v133 :: v_dual_mul_f32 v97, v247, v143
	s_set_vgpr_msb 64                       ;  msbs: dst=1 src0=0 src1=0 src2=0
	v_dual_fmac_f32 v46 /*v302*/, v235, v130 :: v_dual_fmac_f32 v47 /*v303*/, v237, v132
	s_set_vgpr_msb 4                        ;  msbs: dst=0 src0=0 src1=1 src2=0
	v_add_f32_e32 v95, v95, v45 /*v301*/
	s_wait_loadcnt_dscnt 0xb06
	s_set_vgpr_msb 0                        ;  msbs: dst=0 src0=0 src1=0 src2=0
	v_dual_add_f32 v96, v96, v99 :: v_dual_mul_f32 v99, v249, v145
	s_set_vgpr_msb 64                       ;  msbs: dst=1 src0=0 src1=0 src2=0
	v_dual_mul_f32 v48 /*v304*/, v238, v135 :: v_dual_mul_f32 v49 /*v305*/, v240, v137
	s_set_vgpr_msb 0                        ;  msbs: dst=0 src0=0 src1=0 src2=0
	v_fma_f32 v100, v236, v132, -v100
	s_set_vgpr_msb 4                        ;  msbs: dst=0 src0=0 src1=1 src2=0
	v_add_f32_e32 v95, v95, v46 /*v302*/
	s_set_vgpr_msb 0                        ;  msbs: dst=0 src0=0 src1=0 src2=0
	v_dual_add_f32 v96, v96, v98 :: v_dual_mul_f32 v98, v251, v147
	s_set_vgpr_msb 64                       ;  msbs: dst=1 src0=0 src1=0 src2=0
	v_dual_fmac_f32 v48 /*v304*/, v239, v134 :: v_dual_fmac_f32 v49 /*v305*/, v241, v136
	s_set_vgpr_msb 0                        ;  msbs: dst=0 src0=0 src1=0 src2=0
	s_delay_alu instid0(VALU_DEP_2)
	v_dual_fma_f32 v101, v238, v134, -v101 :: v_dual_add_f32 v96, v96, v100
	s_set_vgpr_msb 4                        ;  msbs: dst=0 src0=0 src1=1 src2=0
	v_add_f32_e32 v95, v95, v47 /*v303*/
	s_set_vgpr_msb 64                       ;  msbs: dst=1 src0=0 src1=0 src2=0
	v_dual_mul_f32 v50 /*v306*/, v242, v139 :: v_dual_mul_f32 v51 /*v307*/, v244, v141
	s_set_vgpr_msb 0                        ;  msbs: dst=0 src0=0 src1=0 src2=0
	v_fma_f32 v102, v240, v136, -v102
	v_dual_add_f32 v96, v96, v101 :: v_dual_fma_f32 v103, v242, v138, -v103
	s_set_vgpr_msb 4                        ;  msbs: dst=0 src0=0 src1=1 src2=0
	v_add_f32_e32 v95, v95, v48 /*v304*/
	s_wait_loadcnt_dscnt 0xa05
	s_set_vgpr_msb 0                        ;  msbs: dst=0 src0=0 src1=0 src2=0
	v_mul_f32_e32 v101, v255, v151
	s_set_vgpr_msb 64                       ;  msbs: dst=1 src0=0 src1=0 src2=0
	v_dual_fmac_f32 v50 /*v306*/, v243, v138 :: v_dual_fmac_f32 v51 /*v307*/, v245, v140
	s_wait_loadcnt 0x5
	s_set_vgpr_msb 0                        ;  msbs: dst=0 src0=0 src1=0 src2=0
	v_dual_add_f32 v96, v96, v102 :: v_dual_mul_f32 v108, v193, v169
	s_set_vgpr_msb 4                        ;  msbs: dst=0 src0=0 src1=1 src2=0
	v_add_f32_e32 v95, v95, v49 /*v305*/
	s_set_vgpr_msb 64                       ;  msbs: dst=1 src0=0 src1=0 src2=0
	v_dual_mul_f32 v52 /*v308*/, v246, v143 :: v_dual_mul_f32 v53 /*v309*/, v248, v145
	s_set_vgpr_msb 0                        ;  msbs: dst=0 src0=0 src1=0 src2=0
	v_dual_fma_f32 v104, v244, v140, -v104 :: v_dual_fma_f32 v97, v246, v142, -v97
	s_set_vgpr_msb 4                        ;  msbs: dst=0 src0=0 src1=1 src2=0
	v_add_f32_e32 v95, v95, v50 /*v306*/
	s_set_vgpr_msb 0                        ;  msbs: dst=0 src0=0 src1=0 src2=0
	v_dual_add_f32 v96, v96, v103 :: v_dual_fma_f32 v98, v250, v146, -v98
	s_set_vgpr_msb 64                       ;  msbs: dst=1 src0=0 src1=0 src2=0
	v_dual_fmac_f32 v52 /*v308*/, v247, v142 :: v_dual_fmac_f32 v53 /*v309*/, v249, v144
	s_set_vgpr_msb 4                        ;  msbs: dst=0 src0=0 src1=1 src2=0
	v_add_f32_e32 v95, v95, v51 /*v307*/
	s_set_vgpr_msb 0                        ;  msbs: dst=0 src0=0 src1=0 src2=0
	v_add_f32_e32 v96, v96, v104
	s_set_vgpr_msb 64                       ;  msbs: dst=1 src0=0 src1=0 src2=0
	v_dual_mul_f32 v54 /*v310*/, v250, v147 :: v_dual_mul_f32 v55 /*v311*/, v252, v149
	s_set_vgpr_msb 0                        ;  msbs: dst=0 src0=0 src1=0 src2=0
	v_fma_f32 v99, v248, v144, -v99
	s_set_vgpr_msb 4                        ;  msbs: dst=0 src0=0 src1=1 src2=0
	v_add_f32_e32 v95, v95, v52 /*v308*/
	s_set_vgpr_msb 0                        ;  msbs: dst=0 src0=0 src1=0 src2=0
	v_add_f32_e32 v96, v96, v97
	v_mul_f32_e32 v100, v253, v149
	s_set_vgpr_msb 64                       ;  msbs: dst=1 src0=0 src1=0 src2=0
	v_dual_fmac_f32 v54 /*v310*/, v251, v146 :: v_dual_fmac_f32 v55 /*v311*/, v253, v148
	s_set_vgpr_msb 4                        ;  msbs: dst=0 src0=0 src1=1 src2=0
	v_add_f32_e32 v95, v95, v53 /*v309*/
	s_set_vgpr_msb 0                        ;  msbs: dst=0 src0=0 src1=0 src2=0
	v_add_f32_e32 v96, v96, v99
	s_set_vgpr_msb 64                       ;  msbs: dst=1 src0=0 src1=0 src2=0
	v_dual_mul_f32 v56 /*v312*/, v254, v151 :: v_dual_mul_f32 v31 /*v287*/, v192, v169
	s_set_vgpr_msb 0                        ;  msbs: dst=0 src0=0 src1=0 src2=0
	v_fma_f32 v99, v252, v148, -v100
	s_set_vgpr_msb 4                        ;  msbs: dst=0 src0=0 src1=1 src2=0
	v_add_f32_e32 v95, v95, v54 /*v310*/
	s_set_vgpr_msb 0                        ;  msbs: dst=0 src0=0 src1=0 src2=0
	v_add_f32_e32 v96, v96, v98
	s_wait_dscnt 0x4
	s_set_vgpr_msb 0x41                     ;  msbs: dst=1 src0=1 src1=0 src2=0
	v_dual_mul_f32 v57 /*v313*/, v0 /*v256*/, v153 :: v_dual_mul_f32 v58 /*v314*/, v2 /*v258*/, v155
	s_set_vgpr_msb 1                        ;  msbs: dst=0 src0=1 src1=0 src2=0
	v_dual_mul_f32 v102, v1 /*v257*/, v153 :: v_dual_mul_f32 v103, v3 /*v259*/, v155
	s_set_vgpr_msb 64                       ;  msbs: dst=1 src0=0 src1=0 src2=0
	v_dual_fmac_f32 v56 /*v312*/, v255, v150 :: v_dual_fmac_f32 v31 /*v287*/, v193, v168
	s_set_vgpr_msb 0                        ;  msbs: dst=0 src0=0 src1=0 src2=0
	v_fma_f32 v98, v254, v150, -v101
	s_set_vgpr_msb 4                        ;  msbs: dst=0 src0=0 src1=1 src2=0
	v_add_f32_e32 v95, v95, v55 /*v311*/
	s_set_vgpr_msb 0                        ;  msbs: dst=0 src0=0 src1=0 src2=0
	v_add_f32_e32 v96, v96, v99
	s_wait_dscnt 0x1
	s_set_vgpr_msb 1                        ;  msbs: dst=0 src0=1 src1=0 src2=0
	v_dual_mul_f32 v101, v13 /*v269*/, v165 :: v_dual_fma_f32 v99, v0 /*v256*/, v152, -v102
	s_set_vgpr_msb 0x41                     ;  msbs: dst=1 src0=1 src1=0 src2=0
	v_dual_fmac_f32 v57 /*v313*/, v1 /*v257*/, v152 :: v_dual_fmac_f32 v58 /*v314*/, v3 /*v259*/, v154
	s_set_vgpr_msb 4                        ;  msbs: dst=0 src0=0 src1=1 src2=0
	v_add_f32_e32 v95, v95, v56 /*v312*/
	s_set_vgpr_msb 0                        ;  msbs: dst=0 src0=0 src1=0 src2=0
	v_add_f32_e32 v96, v96, v98
	s_set_vgpr_msb 0x41                     ;  msbs: dst=1 src0=1 src1=0 src2=0
	v_dual_mul_f32 v59 /*v315*/, v4 /*v260*/, v157 :: v_dual_mul_f32 v60 /*v316*/, v6 /*v262*/, v159
	s_set_vgpr_msb 1                        ;  msbs: dst=0 src0=1 src1=0 src2=0
	v_dual_mul_f32 v104, v5 /*v261*/, v157 :: v_dual_mul_f32 v97, v7 /*v263*/, v159
	v_dual_mul_f32 v107, v15 /*v271*/, v167 :: v_dual_fma_f32 v98, v2 /*v258*/, v154, -v103
	s_set_vgpr_msb 4                        ;  msbs: dst=0 src0=0 src1=1 src2=0
	v_add_f32_e32 v95, v95, v57 /*v313*/
	s_set_vgpr_msb 0                        ;  msbs: dst=0 src0=0 src1=0 src2=0
	v_add_f32_e32 v96, v96, v99
	s_set_vgpr_msb 0x41                     ;  msbs: dst=1 src0=1 src1=0 src2=0
	v_dual_fmac_f32 v59 /*v315*/, v5 /*v261*/, v156 :: v_dual_fmac_f32 v60 /*v316*/, v7 /*v263*/, v158
	s_set_vgpr_msb 1                        ;  msbs: dst=0 src0=1 src1=0 src2=0
	v_dual_fma_f32 v99, v4 /*v260*/, v156, -v104 :: v_dual_fma_f32 v97, v6 /*v262*/, v158, -v97
	s_set_vgpr_msb 4                        ;  msbs: dst=0 src0=0 src1=1 src2=0
	v_add_f32_e32 v95, v95, v58 /*v314*/
	s_set_vgpr_msb 0                        ;  msbs: dst=0 src0=0 src1=0 src2=0
	v_add_f32_e32 v98, v96, v98
	s_set_vgpr_msb 0x41                     ;  msbs: dst=1 src0=1 src1=0 src2=0
	v_dual_mul_f32 v61 /*v317*/, v8 /*v264*/, v161 :: v_dual_mul_f32 v62 /*v318*/, v10 /*v266*/, v163
	s_set_vgpr_msb 1                        ;  msbs: dst=0 src0=1 src1=0 src2=0
	v_dual_mul_f32 v105, v9 /*v265*/, v161 :: v_dual_mul_f32 v106, v11 /*v267*/, v163
	s_set_vgpr_msb 4                        ;  msbs: dst=0 src0=0 src1=1 src2=0
	v_add_f32_e32 v95, v95, v59 /*v315*/
	s_set_vgpr_msb 0                        ;  msbs: dst=0 src0=0 src1=0 src2=0
	v_add_f32_e32 v100, v98, v99
	s_set_vgpr_msb 0x41                     ;  msbs: dst=1 src0=1 src1=0 src2=0
	v_dual_fmac_f32 v61 /*v317*/, v9 /*v265*/, v160 :: v_dual_fmac_f32 v62 /*v318*/, v11 /*v267*/, v162
	s_set_vgpr_msb 1                        ;  msbs: dst=0 src0=1 src1=0 src2=0
	v_dual_fma_f32 v102, v8 /*v264*/, v160, -v105 :: v_dual_fma_f32 v104, v10 /*v266*/, v162, -v106
	s_set_vgpr_msb 4                        ;  msbs: dst=0 src0=0 src1=1 src2=0
	v_add_f32_e32 v95, v95, v60 /*v316*/
	s_set_vgpr_msb 0                        ;  msbs: dst=0 src0=0 src1=0 src2=0
	v_add_f32_e32 v97, v100, v97
	s_set_vgpr_msb 0x41                     ;  msbs: dst=1 src0=1 src1=0 src2=0
	v_dual_mul_f32 v63 /*v319*/, v12 /*v268*/, v165 :: v_dual_mul_f32 v29 /*v285*/, v14 /*v270*/, v167
	s_set_vgpr_msb 4                        ;  msbs: dst=0 src0=0 src1=1 src2=0
	v_mov_b32_e32 v96, v171
	v_add_f32_e32 v95, v95, v61 /*v317*/
	s_set_vgpr_msb 0                        ;  msbs: dst=0 src0=0 src1=0 src2=0
	v_add_f32_e32 v97, v97, v102
	s_set_vgpr_msb 0x41                     ;  msbs: dst=1 src0=1 src1=0 src2=0
	v_dual_fmac_f32 v63 /*v319*/, v13 /*v269*/, v164 :: v_dual_fmac_f32 v29 /*v285*/, v15 /*v271*/, v166
	s_set_vgpr_msb 1                        ;  msbs: dst=0 src0=1 src1=0 src2=0
	v_fma_f32 v101, v12 /*v268*/, v164, -v101
	s_set_vgpr_msb 4                        ;  msbs: dst=0 src0=0 src1=1 src2=0
	v_add_f32_e32 v95, v95, v62 /*v318*/
	s_set_vgpr_msb 0                        ;  msbs: dst=0 src0=0 src1=0 src2=0
	v_add_f32_e32 v104, v97, v104
	s_set_vgpr_msb 0x41                     ;  msbs: dst=1 src0=1 src1=0 src2=0
	v_fma_f32 v28 /*v284*/, v14 /*v270*/, v166, -v107
	s_set_vgpr_msb 1                        ;  msbs: dst=0 src0=1 src1=0 src2=0
	v_pk_mul_f32 v[96:97], v[20:21] /*v[276:277]*/, v[96:97] op_sel_hi:[1,0]
	s_wait_loadcnt 0x4
	s_set_vgpr_msb 0                        ;  msbs: dst=0 src0=0 src1=0 src2=0
	v_pk_mul_f32 v[98:99], v[204:205], v[172:173] op_sel:[1,1] op_sel_hi:[0,1]
	s_set_vgpr_msb 4                        ;  msbs: dst=0 src0=0 src1=1 src2=0
	v_add_f32_e32 v105, v95, v63 /*v319*/
	s_set_vgpr_msb 0                        ;  msbs: dst=0 src0=0 src1=0 src2=0
	v_dual_add_f32 v104, v104, v101 :: v_dual_mov_b32 v100, v175
	s_set_vgpr_msb 64                       ;  msbs: dst=1 src0=0 src1=0 src2=0
	v_fma_f32 v30 /*v286*/, v192, v168, -v108
	s_set_vgpr_msb 0                        ;  msbs: dst=0 src0=0 src1=0 src2=0
	v_pk_fma_f32 v[108:109], v[194:195], v[170:171], v[96:97] op_sel_hi:[1,0,1]
	v_pk_fma_f32 v[96:97], v[194:195], v[170:171], v[96:97] neg_lo:[0,0,1] neg_hi:[0,0,1]
	s_set_vgpr_msb 4                        ;  msbs: dst=0 src0=0 src1=1 src2=0
	v_pk_add_f32 v[104:105], v[104:105], v[28:29] /*v[284:285]*/
	s_set_vgpr_msb 0                        ;  msbs: dst=0 src0=0 src1=0 src2=0
	v_pk_fma_f32 v[110:111], v[204:205], v[172:173], v[98:99] op_sel_hi:[1,0,1]
	s_set_vgpr_msb 1                        ;  msbs: dst=0 src0=1 src1=0 src2=0
	v_pk_mul_f32 v[100:101], v[22:23] /*v[278:279]*/, v[100:101] op_sel_hi:[1,0]
	s_set_vgpr_msb 0                        ;  msbs: dst=0 src0=0 src1=0 src2=0
	v_mov_b32_e32 v97, v109
	v_pk_fma_f32 v[98:99], v[204:205], v[172:173], v[98:99] neg_lo:[0,0,1] neg_hi:[0,0,1]
	s_set_vgpr_msb 4                        ;  msbs: dst=0 src0=0 src1=1 src2=0
	v_pk_add_f32 v[104:105], v[104:105], v[30:31] /*v[286:287]*/
	s_wait_loadcnt 0x3
	s_set_vgpr_msb 0                        ;  msbs: dst=0 src0=0 src1=0 src2=0
	v_pk_mul_f32 v[102:103], v[208:209], v[176:177] op_sel:[1,1] op_sel_hi:[0,1]
	v_dual_mov_b32 v106, v179 :: v_dual_mov_b32 v99, v111
	v_pk_fma_f32 v[110:111], v[206:207], v[174:175], v[100:101] op_sel_hi:[1,0,1]
	v_pk_add_f32 v[96:97], v[104:105], v[96:97]
	v_pk_fma_f32 v[100:101], v[206:207], v[174:175], v[100:101] neg_lo:[0,0,1] neg_hi:[0,0,1]
	v_pk_fma_f32 v[104:105], v[208:209], v[176:177], v[102:103] op_sel_hi:[1,0,1]
	s_set_vgpr_msb 1                        ;  msbs: dst=0 src0=1 src1=0 src2=0
	v_pk_mul_f32 v[106:107], v[24:25] /*v[280:281]*/, v[106:107] op_sel_hi:[1,0]
	s_set_vgpr_msb 0                        ;  msbs: dst=0 src0=0 src1=0 src2=0
	v_mov_b32_e32 v101, v111
	v_pk_add_f32 v[96:97], v[96:97], v[98:99]
	v_pk_fma_f32 v[102:103], v[208:209], v[176:177], v[102:103] neg_lo:[0,0,1] neg_hi:[0,0,1]
	s_wait_loadcnt 0x2
	v_pk_mul_f32 v[108:109], v[220:221], v[180:181] op_sel:[1,1] op_sel_hi:[0,1]
	v_dual_mov_b32 v98, v183 :: v_dual_mov_b32 v103, v105
	v_pk_fma_f32 v[104:105], v[210:211], v[178:179], v[106:107] op_sel_hi:[1,0,1]
	v_pk_add_f32 v[96:97], v[96:97], v[100:101]
	v_pk_fma_f32 v[106:107], v[210:211], v[178:179], v[106:107] neg_lo:[0,0,1] neg_hi:[0,0,1]
	v_pk_fma_f32 v[100:101], v[220:221], v[180:181], v[108:109] op_sel_hi:[1,0,1]
	s_set_vgpr_msb 1                        ;  msbs: dst=0 src0=1 src1=0 src2=0
	v_pk_mul_f32 v[98:99], v[26:27] /*v[282:283]*/, v[98:99] op_sel_hi:[1,0]
	s_set_vgpr_msb 0                        ;  msbs: dst=0 src0=0 src1=0 src2=0
	v_mov_b32_e32 v107, v105
	v_pk_add_f32 v[96:97], v[96:97], v[102:103]
	v_pk_fma_f32 v[104:105], v[220:221], v[180:181], v[108:109] neg_lo:[0,0,1] neg_hi:[0,0,1]
	s_wait_loadcnt_dscnt 0x100
	s_set_vgpr_msb 1                        ;  msbs: dst=0 src0=1 src1=0 src2=0
	v_pk_mul_f32 v[102:103], v[18:19] /*v[274:275]*/, v[0:1] op_sel:[1,1] op_sel_hi:[0,1]
	s_set_vgpr_msb 0                        ;  msbs: dst=0 src0=0 src1=0 src2=0
	v_mov_b32_e32 v105, v101
	v_pk_fma_f32 v[100:101], v[222:223], v[182:183], v[98:99] op_sel_hi:[1,0,1]
	v_pk_add_f32 v[96:97], v[96:97], v[106:107]
	v_pk_fma_f32 v[98:99], v[222:223], v[182:183], v[98:99] neg_lo:[0,0,1] neg_hi:[0,0,1]
	s_set_vgpr_msb 1                        ;  msbs: dst=0 src0=1 src1=0 src2=0
	v_pk_fma_f32 v[106:107], v[18:19] /*v[274:275]*/, v[0:1], v[102:103] op_sel_hi:[1,0,1]
	v_pk_fma_f32 v[0:1], v[18:19] /*v[274:275]*/, v[0:1], v[102:103] neg_lo:[0,0,1] neg_hi:[0,0,1]
	s_set_vgpr_msb 0                        ;  msbs: dst=0 src0=0 src1=0 src2=0
	v_mov_b32_e32 v99, v101
	v_pk_add_f32 v[96:97], v[96:97], v[104:105]
	v_mov_b32_e32 v1, v107
	s_delay_alu instid0(VALU_DEP_2) | instskip(NEXT) | instid1(VALU_DEP_1)
	v_pk_add_f32 v[96:97], v[96:97], v[98:99]
	v_pk_add_f32 v[0:1], v[96:97], v[0:1]
	s_wait_loadcnt 0x0
	s_set_vgpr_msb 1                        ;  msbs: dst=0 src0=1 src1=0 src2=0
	s_delay_alu instid0(VALU_DEP_1)
	v_pk_add_f32 v[0:1], v[16:17] /*v[272:273]*/, v[0:1] neg_lo:[0,1] neg_hi:[0,1]
	scratch_store_b64 off, v[0:1], off
	s_set_vgpr_msb 0                        ;  msbs: dst=0 src0=0 src1=0 src2=0
	s_cbranch_vccz .LBB45_380
; %bb.290:
	global_load_b32 v0, v94, s[2:3] offset:176
	s_wait_loadcnt 0x0
	v_cmp_ne_u32_e32 vcc_lo, 45, v0
	s_cbranch_vccz .LBB45_292
; %bb.291:
	v_lshlrev_b32_e32 v0, 3, v0
	s_delay_alu instid0(VALU_DEP_1)
	v_mov_b32_e32 v96, v0
	scratch_load_b64 v[0:1], v96, off offset:-8
	scratch_load_b64 v[94:95], off, off offset:352
	s_wait_loadcnt 0x1
	scratch_store_b64 off, v[0:1], off offset:352
	s_wait_loadcnt 0x0
	scratch_store_b64 v96, v[94:95], off offset:-8
.LBB45_292:
	s_wait_xcnt 0x1
	v_mov_b32_e32 v0, 0
	global_load_b32 v1, v0, s[2:3] offset:172
	s_wait_loadcnt 0x0
	v_cmp_eq_u32_e32 vcc_lo, 44, v1
	s_cbranch_vccnz .LBB45_294
; %bb.293:
	v_lshlrev_b32_e32 v1, 3, v1
	scratch_load_b64 v[94:95], v1, off offset:-8
	scratch_load_b64 v[96:97], off, off offset:344
	s_wait_loadcnt 0x1
	scratch_store_b64 off, v[94:95], off offset:344
	s_wait_loadcnt 0x0
	scratch_store_b64 v1, v[96:97], off offset:-8
.LBB45_294:
	global_load_b32 v0, v0, s[2:3] offset:168
	s_wait_loadcnt 0x0
	v_cmp_eq_u32_e32 vcc_lo, 43, v0
	s_cbranch_vccnz .LBB45_296
; %bb.295:
	s_wait_xcnt 0x0
	v_lshlrev_b32_e32 v0, 3, v0
	s_delay_alu instid0(VALU_DEP_1)
	v_mov_b32_e32 v96, v0
	scratch_load_b64 v[0:1], v96, off offset:-8
	scratch_load_b64 v[94:95], off, off offset:336
	s_wait_loadcnt 0x1
	scratch_store_b64 off, v[0:1], off offset:336
	s_wait_loadcnt 0x0
	scratch_store_b64 v96, v[94:95], off offset:-8
.LBB45_296:
	s_wait_xcnt 0x0
	v_mov_b32_e32 v0, 0
	global_load_b32 v1, v0, s[2:3] offset:164
	s_wait_loadcnt 0x0
	v_cmp_eq_u32_e32 vcc_lo, 42, v1
	s_cbranch_vccnz .LBB45_298
; %bb.297:
	v_lshlrev_b32_e32 v1, 3, v1
	scratch_load_b64 v[94:95], v1, off offset:-8
	scratch_load_b64 v[96:97], off, off offset:328
	s_wait_loadcnt 0x1
	scratch_store_b64 off, v[94:95], off offset:328
	s_wait_loadcnt 0x0
	scratch_store_b64 v1, v[96:97], off offset:-8
.LBB45_298:
	global_load_b32 v0, v0, s[2:3] offset:160
	s_wait_loadcnt 0x0
	v_cmp_eq_u32_e32 vcc_lo, 41, v0
	s_cbranch_vccnz .LBB45_300
; %bb.299:
	s_wait_xcnt 0x0
	v_lshlrev_b32_e32 v0, 3, v0
	s_delay_alu instid0(VALU_DEP_1)
	v_mov_b32_e32 v96, v0
	scratch_load_b64 v[0:1], v96, off offset:-8
	scratch_load_b64 v[94:95], off, off offset:320
	s_wait_loadcnt 0x1
	scratch_store_b64 off, v[0:1], off offset:320
	s_wait_loadcnt 0x0
	scratch_store_b64 v96, v[94:95], off offset:-8
.LBB45_300:
	;; [unrolled: 31-line block ×21, first 2 shown]
	s_wait_xcnt 0x0
	v_mov_b32_e32 v0, 0
	global_load_b32 v1, v0, s[2:3] offset:4
	s_wait_loadcnt 0x0
	v_cmp_eq_u32_e32 vcc_lo, 2, v1
	s_cbranch_vccnz .LBB45_378
; %bb.377:
	v_lshlrev_b32_e32 v1, 3, v1
	scratch_load_b64 v[94:95], v1, off offset:-8
	scratch_load_b64 v[96:97], off, off offset:8
	s_wait_loadcnt 0x1
	scratch_store_b64 off, v[94:95], off offset:8
	s_wait_loadcnt 0x0
	scratch_store_b64 v1, v[96:97], off offset:-8
.LBB45_378:
	global_load_b32 v94, v0, s[2:3]
	scratch_load_b64 v[0:1], off, off
	s_wait_loadcnt 0x1
	v_cmp_eq_u32_e32 vcc_lo, 1, v94
	s_cbranch_vccnz .LBB45_380
; %bb.379:
	v_lshlrev_b32_e32 v94, 3, v94
	s_delay_alu instid0(VALU_DEP_1)
	v_mov_b32_e32 v96, v94
	scratch_load_b64 v[94:95], v96, off offset:-8
	s_wait_loadcnt 0x0
	scratch_store_b64 off, v[94:95], off
	scratch_store_b64 v96, v[0:1], off offset:-8
	scratch_load_b64 v[0:1], off, off
.LBB45_380:
	s_clause 0x16
	scratch_load_b128 v[94:97], off, off offset:8
	scratch_load_b128 v[98:101], off, off offset:24
	;; [unrolled: 1-line block ×22, first 2 shown]
	scratch_load_b64 v[182:183], off, off offset:360
	v_lshl_add_u64 v[6:7], v[6:7], 3, s[4:5]
	v_lshl_add_u64 v[8:9], v[8:9], 3, s[4:5]
	;; [unrolled: 1-line block ×44, first 2 shown]
	s_wait_loadcnt 0x17
	global_store_b64 v[2:3], v[0:1], off
	s_wait_loadcnt 0x16
	s_clause 0x1
	global_store_b64 v[4:5], v[94:95], off
	global_store_b64 v[6:7], v[96:97], off
	s_wait_loadcnt 0x15
	s_clause 0x1
	global_store_b64 v[8:9], v[98:99], off
	;; [unrolled: 4-line block ×22, first 2 shown]
	global_store_b64 v[90:91], v[180:181], off
	s_wait_loadcnt 0x0
	global_store_b64 v[92:93], v[182:183], off
	s_sendmsg sendmsg(MSG_DEALLOC_VGPRS)
	s_endpgm
	.section	.rodata,"a",@progbits
	.p2align	6, 0x0
	.amdhsa_kernel _ZN9rocsolver6v33100L18getri_kernel_smallILi46E19rocblas_complex_numIfEPS3_EEvT1_iilPiilS6_bb
		.amdhsa_group_segment_fixed_size 740
		.amdhsa_private_segment_fixed_size 384
		.amdhsa_kernarg_size 60
		.amdhsa_user_sgpr_count 2
		.amdhsa_user_sgpr_dispatch_ptr 0
		.amdhsa_user_sgpr_queue_ptr 0
		.amdhsa_user_sgpr_kernarg_segment_ptr 1
		.amdhsa_user_sgpr_dispatch_id 0
		.amdhsa_user_sgpr_kernarg_preload_length 0
		.amdhsa_user_sgpr_kernarg_preload_offset 0
		.amdhsa_user_sgpr_private_segment_size 0
		.amdhsa_wavefront_size32 1
		.amdhsa_uses_dynamic_stack 0
		.amdhsa_enable_private_segment 1
		.amdhsa_system_sgpr_workgroup_id_x 1
		.amdhsa_system_sgpr_workgroup_id_y 0
		.amdhsa_system_sgpr_workgroup_id_z 0
		.amdhsa_system_sgpr_workgroup_info 0
		.amdhsa_system_vgpr_workitem_id 0
		.amdhsa_next_free_vgpr 320
		.amdhsa_next_free_sgpr 19
		.amdhsa_named_barrier_count 0
		.amdhsa_reserve_vcc 1
		.amdhsa_float_round_mode_32 0
		.amdhsa_float_round_mode_16_64 0
		.amdhsa_float_denorm_mode_32 3
		.amdhsa_float_denorm_mode_16_64 3
		.amdhsa_fp16_overflow 0
		.amdhsa_memory_ordered 1
		.amdhsa_forward_progress 1
		.amdhsa_inst_pref_size 255
		.amdhsa_round_robin_scheduling 0
		.amdhsa_exception_fp_ieee_invalid_op 0
		.amdhsa_exception_fp_denorm_src 0
		.amdhsa_exception_fp_ieee_div_zero 0
		.amdhsa_exception_fp_ieee_overflow 0
		.amdhsa_exception_fp_ieee_underflow 0
		.amdhsa_exception_fp_ieee_inexact 0
		.amdhsa_exception_int_div_zero 0
	.end_amdhsa_kernel
	.section	.text._ZN9rocsolver6v33100L18getri_kernel_smallILi46E19rocblas_complex_numIfEPS3_EEvT1_iilPiilS6_bb,"axG",@progbits,_ZN9rocsolver6v33100L18getri_kernel_smallILi46E19rocblas_complex_numIfEPS3_EEvT1_iilPiilS6_bb,comdat
.Lfunc_end45:
	.size	_ZN9rocsolver6v33100L18getri_kernel_smallILi46E19rocblas_complex_numIfEPS3_EEvT1_iilPiilS6_bb, .Lfunc_end45-_ZN9rocsolver6v33100L18getri_kernel_smallILi46E19rocblas_complex_numIfEPS3_EEvT1_iilPiilS6_bb
                                        ; -- End function
	.set _ZN9rocsolver6v33100L18getri_kernel_smallILi46E19rocblas_complex_numIfEPS3_EEvT1_iilPiilS6_bb.num_vgpr, 320
	.set _ZN9rocsolver6v33100L18getri_kernel_smallILi46E19rocblas_complex_numIfEPS3_EEvT1_iilPiilS6_bb.num_agpr, 0
	.set _ZN9rocsolver6v33100L18getri_kernel_smallILi46E19rocblas_complex_numIfEPS3_EEvT1_iilPiilS6_bb.numbered_sgpr, 19
	.set _ZN9rocsolver6v33100L18getri_kernel_smallILi46E19rocblas_complex_numIfEPS3_EEvT1_iilPiilS6_bb.num_named_barrier, 0
	.set _ZN9rocsolver6v33100L18getri_kernel_smallILi46E19rocblas_complex_numIfEPS3_EEvT1_iilPiilS6_bb.private_seg_size, 384
	.set _ZN9rocsolver6v33100L18getri_kernel_smallILi46E19rocblas_complex_numIfEPS3_EEvT1_iilPiilS6_bb.uses_vcc, 1
	.set _ZN9rocsolver6v33100L18getri_kernel_smallILi46E19rocblas_complex_numIfEPS3_EEvT1_iilPiilS6_bb.uses_flat_scratch, 1
	.set _ZN9rocsolver6v33100L18getri_kernel_smallILi46E19rocblas_complex_numIfEPS3_EEvT1_iilPiilS6_bb.has_dyn_sized_stack, 0
	.set _ZN9rocsolver6v33100L18getri_kernel_smallILi46E19rocblas_complex_numIfEPS3_EEvT1_iilPiilS6_bb.has_recursion, 0
	.set _ZN9rocsolver6v33100L18getri_kernel_smallILi46E19rocblas_complex_numIfEPS3_EEvT1_iilPiilS6_bb.has_indirect_call, 0
	.section	.AMDGPU.csdata,"",@progbits
; Kernel info:
; codeLenInByte = 80764
; TotalNumSgprs: 21
; NumVgprs: 320
; ScratchSize: 384
; MemoryBound: 0
; FloatMode: 240
; IeeeMode: 1
; LDSByteSize: 740 bytes/workgroup (compile time only)
; SGPRBlocks: 0
; VGPRBlocks: 19
; NumSGPRsForWavesPerEU: 21
; NumVGPRsForWavesPerEU: 320
; NamedBarCnt: 0
; Occupancy: 3
; WaveLimiterHint : 1
; COMPUTE_PGM_RSRC2:SCRATCH_EN: 1
; COMPUTE_PGM_RSRC2:USER_SGPR: 2
; COMPUTE_PGM_RSRC2:TRAP_HANDLER: 0
; COMPUTE_PGM_RSRC2:TGID_X_EN: 1
; COMPUTE_PGM_RSRC2:TGID_Y_EN: 0
; COMPUTE_PGM_RSRC2:TGID_Z_EN: 0
; COMPUTE_PGM_RSRC2:TIDIG_COMP_CNT: 0
	.section	.text._ZN9rocsolver6v33100L18getri_kernel_smallILi47E19rocblas_complex_numIfEPS3_EEvT1_iilPiilS6_bb,"axG",@progbits,_ZN9rocsolver6v33100L18getri_kernel_smallILi47E19rocblas_complex_numIfEPS3_EEvT1_iilPiilS6_bb,comdat
	.globl	_ZN9rocsolver6v33100L18getri_kernel_smallILi47E19rocblas_complex_numIfEPS3_EEvT1_iilPiilS6_bb ; -- Begin function _ZN9rocsolver6v33100L18getri_kernel_smallILi47E19rocblas_complex_numIfEPS3_EEvT1_iilPiilS6_bb
	.p2align	8
	.type	_ZN9rocsolver6v33100L18getri_kernel_smallILi47E19rocblas_complex_numIfEPS3_EEvT1_iilPiilS6_bb,@function
_ZN9rocsolver6v33100L18getri_kernel_smallILi47E19rocblas_complex_numIfEPS3_EEvT1_iilPiilS6_bb: ; @_ZN9rocsolver6v33100L18getri_kernel_smallILi47E19rocblas_complex_numIfEPS3_EEvT1_iilPiilS6_bb
; %bb.0:
	s_mov_b32 s2, exec_lo
	v_cmpx_gt_u32_e32 47, v0
	s_cbranch_execz .LBB46_202
; %bb.1:
	s_clause 0x2
	s_load_b32 s2, s[0:1], 0x38
	s_load_b128 s[12:15], s[0:1], 0x10
	s_load_b128 s[4:7], s[0:1], 0x28
	s_getreg_b32 s9, hwreg(HW_REG_IB_STS2, 6, 4)
	s_wait_kmcnt 0x0
	s_bitcmp1_b32 s2, 8
	s_cselect_b32 s18, -1, 0
	s_bfe_u32 s3, ttmp6, 0x4000c
	s_and_b32 s8, ttmp6, 15
	s_add_co_i32 s3, s3, 1
	s_delay_alu instid0(SALU_CYCLE_1) | instskip(NEXT) | instid1(SALU_CYCLE_1)
	s_mul_i32 s3, ttmp9, s3
	s_add_co_i32 s8, s8, s3
	s_cmp_eq_u32 s9, 0
	s_cselect_b32 s16, ttmp9, s8
	s_bfe_u32 s2, s2, 0x10008
	s_ashr_i32 s17, s16, 31
	s_cmp_eq_u32 s2, 0
                                        ; implicit-def: $sgpr2_sgpr3
	s_cbranch_scc1 .LBB46_3
; %bb.2:
	s_load_b32 s2, s[0:1], 0x20
	s_mul_u64 s[4:5], s[4:5], s[16:17]
	s_delay_alu instid0(SALU_CYCLE_1) | instskip(NEXT) | instid1(SALU_CYCLE_1)
	s_lshl_b64 s[4:5], s[4:5], 2
	s_add_nc_u64 s[4:5], s[14:15], s[4:5]
	s_wait_kmcnt 0x0
	s_ashr_i32 s3, s2, 31
	s_delay_alu instid0(SALU_CYCLE_1) | instskip(NEXT) | instid1(SALU_CYCLE_1)
	s_lshl_b64 s[2:3], s[2:3], 2
	s_add_nc_u64 s[2:3], s[4:5], s[2:3]
.LBB46_3:
	s_clause 0x1
	s_load_b128 s[8:11], s[0:1], 0x0
	s_load_b32 s14, s[0:1], 0x38
	s_wait_xcnt 0x0
	s_mul_u64 s[0:1], s[12:13], s[16:17]
	s_delay_alu instid0(SALU_CYCLE_1)
	s_lshl_b64 s[0:1], s[0:1], 3
	s_wait_kmcnt 0x0
	v_add3_u32 v4, s11, s11, v0
	s_ashr_i32 s5, s10, 31
	s_mov_b32 s4, s10
	s_add_nc_u64 s[0:1], s[8:9], s[0:1]
	s_lshl_b64 s[4:5], s[4:5], 3
	v_add_nc_u32_e32 v6, s11, v4
	s_add_nc_u64 s[4:5], s[0:1], s[4:5]
	s_ashr_i32 s1, s11, 31
	s_mov_b32 s0, s11
	s_bitcmp0_b32 s14, 0
	v_add_nc_u32_e32 v10, s11, v6
	s_delay_alu instid0(VALU_DEP_1) | instskip(NEXT) | instid1(VALU_DEP_1)
	v_add_nc_u32_e32 v12, s11, v10
	v_add_nc_u32_e32 v14, s11, v12
	s_delay_alu instid0(VALU_DEP_1) | instskip(NEXT) | instid1(VALU_DEP_1)
	v_add_nc_u32_e32 v16, s11, v14
	;; [unrolled: 3-line block ×13, first 2 shown]
	v_add_nc_u32_e32 v62, s11, v60
	s_delay_alu instid0(VALU_DEP_1) | instskip(NEXT) | instid1(VALU_DEP_1)
	v_dual_lshlrev_b32 v96, 3, v0 :: v_dual_add_nc_u32 v64, s11, v62
	v_dual_mov_b32 v97, 0 :: v_dual_add_nc_u32 v66, s11, v64
	s_delay_alu instid0(VALU_DEP_1) | instskip(NEXT) | instid1(VALU_DEP_2)
	v_add_nc_u64_e32 v[2:3], s[4:5], v[96:97]
	v_add_nc_u32_e32 v68, s11, v66
	s_delay_alu instid0(VALU_DEP_2) | instskip(SKIP_1) | instid1(VALU_DEP_2)
	v_lshl_add_u64 v[8:9], s[0:1], 3, v[2:3]
	s_mov_b32 s1, -1
	v_add_nc_u32_e32 v70, s11, v68
	s_clause 0x9
	global_load_b64 v[98:99], v0, s[4:5] scale_offset
	global_load_b64 v[100:101], v[8:9], off
	global_load_b64 v[102:103], v4, s[4:5] scale_offset
	global_load_b64 v[104:105], v6, s[4:5] scale_offset
	;; [unrolled: 1-line block ×8, first 2 shown]
	v_add_nc_u32_e32 v72, s11, v70
	s_clause 0xf
	global_load_b64 v[118:119], v22, s[4:5] scale_offset
	global_load_b64 v[120:121], v24, s[4:5] scale_offset
	;; [unrolled: 1-line block ×16, first 2 shown]
	v_add_nc_u32_e32 v74, s11, v72
	s_clause 0x7
	global_load_b64 v[150:151], v54, s[4:5] scale_offset
	global_load_b64 v[152:153], v56, s[4:5] scale_offset
	;; [unrolled: 1-line block ×8, first 2 shown]
	v_add_nc_u32_e32 v76, s11, v74
	s_delay_alu instid0(VALU_DEP_1)
	v_add_nc_u32_e32 v78, s11, v76
	s_clause 0x3
	global_load_b64 v[166:167], v70, s[4:5] scale_offset
	global_load_b64 v[168:169], v72, s[4:5] scale_offset
	;; [unrolled: 1-line block ×4, first 2 shown]
	v_add_nc_u32_e32 v80, s11, v78
	s_delay_alu instid0(VALU_DEP_1) | instskip(NEXT) | instid1(VALU_DEP_1)
	v_add_nc_u32_e32 v82, s11, v80
	v_add_nc_u32_e32 v84, s11, v82
	s_delay_alu instid0(VALU_DEP_1) | instskip(NEXT) | instid1(VALU_DEP_1)
	v_add_nc_u32_e32 v86, s11, v84
	v_add_nc_u32_e32 v88, s11, v86
	s_delay_alu instid0(VALU_DEP_1)
	v_add_nc_u32_e32 v90, s11, v88
	s_clause 0x3
	global_load_b64 v[174:175], v78, s[4:5] scale_offset
	global_load_b64 v[176:177], v80, s[4:5] scale_offset
	;; [unrolled: 1-line block ×4, first 2 shown]
	v_add_nc_u32_e32 v92, s11, v90
	s_delay_alu instid0(VALU_DEP_1)
	v_add_nc_u32_e32 v94, s11, v92
	s_clause 0x4
	global_load_b64 v[182:183], v86, s[4:5] scale_offset
	global_load_b64 v[184:185], v88, s[4:5] scale_offset
	global_load_b64 v[186:187], v90, s[4:5] scale_offset
	global_load_b64 v[188:189], v92, s[4:5] scale_offset
	global_load_b64 v[190:191], v94, s[4:5] scale_offset
	s_wait_loadcnt 0x2d
	scratch_store_b128 off, v[98:101], off
	s_wait_loadcnt 0x2b
	scratch_store_b128 off, v[102:105], off offset:16
	s_wait_loadcnt 0x29
	scratch_store_b128 off, v[106:109], off offset:32
	;; [unrolled: 2-line block ×22, first 2 shown]
	s_wait_loadcnt 0x0
	scratch_store_b64 off, v[190:191], off offset:368
	s_cbranch_scc1 .LBB46_200
; %bb.4:
	v_cmp_eq_u32_e64 s0, 0, v0
	s_wait_xcnt 0x0
	s_and_saveexec_b32 s1, s0
; %bb.5:
	v_mov_b32_e32 v1, 0
	ds_store_b32 v1, v1 offset:376
; %bb.6:
	s_or_b32 exec_lo, exec_lo, s1
	s_wait_storecnt_dscnt 0x0
	s_barrier_signal -1
	s_barrier_wait -1
	scratch_load_b64 v[98:99], v0, off scale_offset
	s_wait_loadcnt 0x0
	v_cmp_eq_f32_e32 vcc_lo, 0, v98
	v_cmp_eq_f32_e64 s1, 0, v99
	s_and_b32 s1, vcc_lo, s1
	s_delay_alu instid0(SALU_CYCLE_1)
	s_and_saveexec_b32 s8, s1
	s_cbranch_execz .LBB46_10
; %bb.7:
	v_mov_b32_e32 v1, 0
	s_mov_b32 s9, 0
	ds_load_b32 v5, v1 offset:376
	s_wait_dscnt 0x0
	v_readfirstlane_b32 s1, v5
	v_add_nc_u32_e32 v5, 1, v0
	s_cmp_eq_u32 s1, 0
	s_delay_alu instid0(VALU_DEP_1) | instskip(SKIP_1) | instid1(SALU_CYCLE_1)
	v_cmp_gt_i32_e32 vcc_lo, s1, v5
	s_cselect_b32 s10, -1, 0
	s_or_b32 s10, s10, vcc_lo
	s_delay_alu instid0(SALU_CYCLE_1)
	s_and_b32 exec_lo, exec_lo, s10
	s_cbranch_execz .LBB46_10
; %bb.8:
	v_mov_b32_e32 v7, s1
.LBB46_9:                               ; =>This Inner Loop Header: Depth=1
	ds_cmpstore_rtn_b32 v7, v1, v5, v7 offset:376
	s_wait_dscnt 0x0
	v_cmp_ne_u32_e32 vcc_lo, 0, v7
	v_cmp_le_i32_e64 s1, v7, v5
	s_and_b32 s1, vcc_lo, s1
	s_delay_alu instid0(SALU_CYCLE_1) | instskip(NEXT) | instid1(SALU_CYCLE_1)
	s_and_b32 s1, exec_lo, s1
	s_or_b32 s9, s1, s9
	s_delay_alu instid0(SALU_CYCLE_1)
	s_and_not1_b32 exec_lo, exec_lo, s9
	s_cbranch_execnz .LBB46_9
.LBB46_10:
	s_or_b32 exec_lo, exec_lo, s8
	v_mov_b32_e32 v1, 0
	s_barrier_signal -1
	s_barrier_wait -1
	ds_load_b32 v5, v1 offset:376
	s_and_saveexec_b32 s1, s0
	s_cbranch_execz .LBB46_12
; %bb.11:
	s_lshl_b64 s[8:9], s[16:17], 2
	s_delay_alu instid0(SALU_CYCLE_1)
	s_add_nc_u64 s[8:9], s[6:7], s[8:9]
	s_wait_dscnt 0x0
	global_store_b32 v1, v5, s[8:9]
.LBB46_12:
	s_wait_xcnt 0x0
	s_or_b32 exec_lo, exec_lo, s1
	s_wait_dscnt 0x0
	v_cmp_ne_u32_e32 vcc_lo, 0, v5
	s_mov_b32 s1, 0
	s_cbranch_vccnz .LBB46_200
; %bb.13:
	v_lshl_add_u32 v5, v0, 3, 0
                                        ; implicit-def: $vgpr101
                                        ; implicit-def: $vgpr102
	scratch_load_b64 v[98:99], v5, off
	s_wait_loadcnt 0x0
	v_cmp_ngt_f32_e64 s1, |v98|, |v99|
	s_wait_xcnt 0x0
	s_and_saveexec_b32 s8, s1
	s_delay_alu instid0(SALU_CYCLE_1)
	s_xor_b32 s1, exec_lo, s8
	s_cbranch_execz .LBB46_15
; %bb.14:
	v_div_scale_f32 v1, null, v99, v99, v98
	v_div_scale_f32 v13, vcc_lo, v98, v99, v98
	s_delay_alu instid0(VALU_DEP_2) | instskip(SKIP_1) | instid1(TRANS32_DEP_1)
	v_rcp_f32_e32 v7, v1
	v_nop
	v_fma_f32 v11, -v1, v7, 1.0
	s_delay_alu instid0(VALU_DEP_1) | instskip(NEXT) | instid1(VALU_DEP_1)
	v_fmac_f32_e32 v7, v11, v7
	v_mul_f32_e32 v11, v13, v7
	s_delay_alu instid0(VALU_DEP_1) | instskip(NEXT) | instid1(VALU_DEP_1)
	v_fma_f32 v15, -v1, v11, v13
	v_fmac_f32_e32 v11, v15, v7
	s_delay_alu instid0(VALU_DEP_1) | instskip(NEXT) | instid1(VALU_DEP_1)
	v_fma_f32 v1, -v1, v11, v13
	v_div_fmas_f32 v1, v1, v7, v11
	s_delay_alu instid0(VALU_DEP_1) | instskip(NEXT) | instid1(VALU_DEP_1)
	v_div_fixup_f32 v1, v1, v99, v98
	v_fmac_f32_e32 v99, v98, v1
	s_delay_alu instid0(VALU_DEP_1) | instskip(NEXT) | instid1(VALU_DEP_1)
	v_div_scale_f32 v7, null, v99, v99, -1.0
	v_rcp_f32_e32 v11, v7
	v_nop
	s_delay_alu instid0(TRANS32_DEP_1) | instskip(NEXT) | instid1(VALU_DEP_1)
	v_fma_f32 v13, -v7, v11, 1.0
	v_fmac_f32_e32 v11, v13, v11
	v_div_scale_f32 v13, vcc_lo, -1.0, v99, -1.0
	s_delay_alu instid0(VALU_DEP_1) | instskip(NEXT) | instid1(VALU_DEP_1)
	v_mul_f32_e32 v15, v13, v11
	v_fma_f32 v17, -v7, v15, v13
	s_delay_alu instid0(VALU_DEP_1) | instskip(NEXT) | instid1(VALU_DEP_1)
	v_fmac_f32_e32 v15, v17, v11
	v_fma_f32 v7, -v7, v15, v13
	s_delay_alu instid0(VALU_DEP_1) | instskip(NEXT) | instid1(VALU_DEP_1)
	v_div_fmas_f32 v7, v7, v11, v15
	v_div_fixup_f32 v101, v7, v99, -1.0
                                        ; implicit-def: $vgpr98_vgpr99
	s_delay_alu instid0(VALU_DEP_1) | instskip(NEXT) | instid1(VALU_DEP_1)
	v_mul_f32_e32 v102, v1, v101
	v_xor_b32_e32 v100, 0x80000000, v102
.LBB46_15:
	s_and_not1_saveexec_b32 s1, s1
	s_cbranch_execz .LBB46_17
; %bb.16:
	v_div_scale_f32 v1, null, v98, v98, v99
	v_div_scale_f32 v13, vcc_lo, v99, v98, v99
	s_delay_alu instid0(VALU_DEP_2) | instskip(SKIP_1) | instid1(TRANS32_DEP_1)
	v_rcp_f32_e32 v7, v1
	v_nop
	v_fma_f32 v11, -v1, v7, 1.0
	s_delay_alu instid0(VALU_DEP_1) | instskip(NEXT) | instid1(VALU_DEP_1)
	v_fmac_f32_e32 v7, v11, v7
	v_mul_f32_e32 v11, v13, v7
	s_delay_alu instid0(VALU_DEP_1) | instskip(NEXT) | instid1(VALU_DEP_1)
	v_fma_f32 v15, -v1, v11, v13
	v_fmac_f32_e32 v11, v15, v7
	s_delay_alu instid0(VALU_DEP_1) | instskip(NEXT) | instid1(VALU_DEP_1)
	v_fma_f32 v1, -v1, v11, v13
	v_div_fmas_f32 v1, v1, v7, v11
	s_delay_alu instid0(VALU_DEP_1) | instskip(NEXT) | instid1(VALU_DEP_1)
	v_div_fixup_f32 v1, v1, v98, v99
	v_fmac_f32_e32 v98, v99, v1
	s_delay_alu instid0(VALU_DEP_1) | instskip(SKIP_1) | instid1(VALU_DEP_2)
	v_div_scale_f32 v7, null, v98, v98, 1.0
	v_div_scale_f32 v15, vcc_lo, 1.0, v98, 1.0
	v_rcp_f32_e32 v11, v7
	v_nop
	s_delay_alu instid0(TRANS32_DEP_1) | instskip(NEXT) | instid1(VALU_DEP_1)
	v_fma_f32 v13, -v7, v11, 1.0
	v_fmac_f32_e32 v11, v13, v11
	s_delay_alu instid0(VALU_DEP_1) | instskip(NEXT) | instid1(VALU_DEP_1)
	v_mul_f32_e32 v13, v15, v11
	v_fma_f32 v17, -v7, v13, v15
	s_delay_alu instid0(VALU_DEP_1) | instskip(NEXT) | instid1(VALU_DEP_1)
	v_fmac_f32_e32 v13, v17, v11
	v_fma_f32 v7, -v7, v13, v15
	s_delay_alu instid0(VALU_DEP_1) | instskip(NEXT) | instid1(VALU_DEP_1)
	v_div_fmas_f32 v7, v7, v11, v13
	v_div_fixup_f32 v100, v7, v98, 1.0
	s_delay_alu instid0(VALU_DEP_1)
	v_xor_b32_e32 v102, 0x80000000, v100
	v_mul_f32_e64 v101, v1, -v100
.LBB46_17:
	s_or_b32 exec_lo, exec_lo, s1
	scratch_store_b64 v5, v[100:101], off
	scratch_load_b64 v[98:99], off, off offset:8
	v_xor_b32_e32 v103, 0x80000000, v101
	v_add_nc_u32_e32 v1, 0x180, v96
	s_wait_loadcnt 0x0
	ds_store_2addr_b64 v96, v[102:103], v[98:99] offset1:48
	s_wait_storecnt_dscnt 0x0
	s_barrier_signal -1
	s_barrier_wait -1
	s_wait_xcnt 0x0
	s_and_saveexec_b32 s1, s0
	s_cbranch_execz .LBB46_19
; %bb.18:
	scratch_load_b64 v[98:99], v5, off
	ds_load_b64 v[100:101], v1
	s_wait_loadcnt_dscnt 0x0
	v_pk_mul_f32 v[104:105], v[100:101], v[98:99] op_sel:[1,1] op_sel_hi:[0,1]
	s_delay_alu instid0(VALU_DEP_1) | instskip(SKIP_2) | instid1(VALU_DEP_3)
	v_pk_fma_f32 v[106:107], v[100:101], v[98:99], v[104:105] op_sel_hi:[1,0,1]
	v_mov_b32_e32 v7, 0
	v_pk_fma_f32 v[98:99], v[100:101], v[98:99], v[104:105] neg_lo:[0,0,1] neg_hi:[0,0,1]
	v_mov_b32_e32 v99, v107
	ds_load_b64 v[102:103], v7 offset:8
	v_pk_add_f32 v[98:99], v[98:99], 0 op_sel_hi:[1,0]
	s_wait_dscnt 0x0
	s_delay_alu instid0(VALU_DEP_1) | instskip(NEXT) | instid1(VALU_DEP_1)
	v_pk_mul_f32 v[100:101], v[98:99], v[102:103] op_sel:[1,1] op_sel_hi:[0,1]
	v_pk_fma_f32 v[104:105], v[98:99], v[102:103], v[100:101] op_sel_hi:[1,0,1]
	v_pk_fma_f32 v[98:99], v[98:99], v[102:103], v[100:101] neg_lo:[0,0,1] neg_hi:[0,0,1]
	s_delay_alu instid0(VALU_DEP_2)
	v_mov_b32_e32 v99, v105
	scratch_store_b64 off, v[98:99], off offset:8
.LBB46_19:
	s_wait_xcnt 0x0
	s_or_b32 exec_lo, exec_lo, s1
	s_wait_storecnt 0x0
	s_barrier_signal -1
	s_barrier_wait -1
	scratch_load_b64 v[98:99], off, off offset:16
	s_mov_b32 s1, exec_lo
	s_wait_loadcnt 0x0
	ds_store_b64 v1, v[98:99]
	s_wait_dscnt 0x0
	s_barrier_signal -1
	s_barrier_wait -1
	v_cmpx_gt_u32_e32 2, v0
	s_cbranch_execz .LBB46_23
; %bb.20:
	scratch_load_b64 v[98:99], v5, off
	ds_load_b64 v[100:101], v1
	s_wait_loadcnt_dscnt 0x0
	v_pk_mul_f32 v[102:103], v[100:101], v[98:99] op_sel:[1,1] op_sel_hi:[0,1]
	s_delay_alu instid0(VALU_DEP_1) | instskip(SKIP_1) | instid1(VALU_DEP_2)
	v_pk_fma_f32 v[104:105], v[100:101], v[98:99], v[102:103] op_sel_hi:[1,0,1]
	v_pk_fma_f32 v[98:99], v[100:101], v[98:99], v[102:103] neg_lo:[0,0,1] neg_hi:[0,0,1]
	v_mov_b32_e32 v99, v105
	s_delay_alu instid0(VALU_DEP_1)
	v_pk_add_f32 v[98:99], v[98:99], 0 op_sel_hi:[1,0]
	s_and_saveexec_b32 s8, s0
	s_cbranch_execz .LBB46_22
; %bb.21:
	scratch_load_b64 v[100:101], off, off offset:8
	v_mov_b32_e32 v5, 0
	ds_load_b64 v[102:103], v5 offset:392
	s_wait_loadcnt_dscnt 0x0
	v_pk_mul_f32 v[104:105], v[102:103], v[100:101] op_sel:[1,1] op_sel_hi:[0,1]
	s_delay_alu instid0(VALU_DEP_1) | instskip(SKIP_1) | instid1(VALU_DEP_2)
	v_pk_fma_f32 v[106:107], v[102:103], v[100:101], v[104:105] op_sel_hi:[1,0,1]
	v_pk_fma_f32 v[100:101], v[102:103], v[100:101], v[104:105] neg_lo:[0,0,1] neg_hi:[0,0,1]
	v_mov_b32_e32 v101, v107
	s_delay_alu instid0(VALU_DEP_1)
	v_pk_add_f32 v[98:99], v[98:99], v[100:101]
.LBB46_22:
	s_or_b32 exec_lo, exec_lo, s8
	v_mov_b32_e32 v5, 0
	ds_load_b64 v[100:101], v5 offset:16
	s_wait_dscnt 0x0
	v_pk_mul_f32 v[102:103], v[98:99], v[100:101] op_sel:[1,1] op_sel_hi:[0,1]
	s_delay_alu instid0(VALU_DEP_1) | instskip(SKIP_1) | instid1(VALU_DEP_2)
	v_pk_fma_f32 v[104:105], v[98:99], v[100:101], v[102:103] op_sel_hi:[1,0,1]
	v_pk_fma_f32 v[98:99], v[98:99], v[100:101], v[102:103] neg_lo:[0,0,1] neg_hi:[0,0,1]
	v_mov_b32_e32 v99, v105
	scratch_store_b64 off, v[98:99], off offset:16
.LBB46_23:
	s_wait_xcnt 0x0
	s_or_b32 exec_lo, exec_lo, s1
	s_wait_storecnt 0x0
	s_barrier_signal -1
	s_barrier_wait -1
	scratch_load_b64 v[98:99], off, off offset:24
	v_add_nc_u32_e32 v5, -1, v0
	s_mov_b32 s0, exec_lo
	s_wait_loadcnt 0x0
	ds_store_b64 v1, v[98:99]
	s_wait_dscnt 0x0
	s_barrier_signal -1
	s_barrier_wait -1
	v_cmpx_gt_u32_e32 3, v0
	s_cbranch_execz .LBB46_27
; %bb.24:
	v_dual_mov_b32 v98, 0 :: v_dual_add_nc_u32 v7, -1, v0
	v_add_nc_u32_e32 v11, 0x180, v96
	v_mov_b32_e32 v13, v96
	s_mov_b32 s1, 0
	s_delay_alu instid0(VALU_DEP_3)
	v_mov_b32_e32 v99, v98
.LBB46_25:                              ; =>This Inner Loop Header: Depth=1
	scratch_load_b64 v[100:101], v13, off
	ds_load_b64 v[102:103], v11
	s_wait_xcnt 0x0
	v_dual_add_nc_u32 v11, 8, v11 :: v_dual_add_nc_u32 v13, 8, v13
	s_wait_loadcnt_dscnt 0x0
	v_pk_mul_f32 v[104:105], v[102:103], v[100:101] op_sel:[1,1] op_sel_hi:[0,1]
	s_delay_alu instid0(VALU_DEP_1) | instskip(SKIP_2) | instid1(VALU_DEP_3)
	v_pk_fma_f32 v[106:107], v[102:103], v[100:101], v[104:105] op_sel_hi:[1,0,1]
	v_add_nc_u32_e32 v7, 1, v7
	v_pk_fma_f32 v[100:101], v[102:103], v[100:101], v[104:105] neg_lo:[0,0,1] neg_hi:[0,0,1]
	v_mov_b32_e32 v101, v107
	s_delay_alu instid0(VALU_DEP_3) | instskip(NEXT) | instid1(VALU_DEP_2)
	v_cmp_lt_u32_e32 vcc_lo, 1, v7
	v_pk_add_f32 v[98:99], v[98:99], v[100:101]
	s_or_b32 s1, vcc_lo, s1
	s_delay_alu instid0(SALU_CYCLE_1)
	s_and_not1_b32 exec_lo, exec_lo, s1
	s_cbranch_execnz .LBB46_25
; %bb.26:
	s_or_b32 exec_lo, exec_lo, s1
	v_mov_b32_e32 v7, 0
	ds_load_b64 v[100:101], v7 offset:24
	s_wait_dscnt 0x0
	v_pk_mul_f32 v[102:103], v[98:99], v[100:101] op_sel:[1,1] op_sel_hi:[0,1]
	s_delay_alu instid0(VALU_DEP_1) | instskip(SKIP_1) | instid1(VALU_DEP_2)
	v_pk_fma_f32 v[104:105], v[98:99], v[100:101], v[102:103] op_sel_hi:[1,0,1]
	v_pk_fma_f32 v[98:99], v[98:99], v[100:101], v[102:103] neg_lo:[0,0,1] neg_hi:[0,0,1]
	v_mov_b32_e32 v99, v105
	scratch_store_b64 off, v[98:99], off offset:24
.LBB46_27:
	s_wait_xcnt 0x0
	s_or_b32 exec_lo, exec_lo, s0
	s_wait_storecnt 0x0
	s_barrier_signal -1
	s_barrier_wait -1
	scratch_load_b64 v[98:99], off, off offset:32
	s_mov_b32 s0, exec_lo
	s_wait_loadcnt 0x0
	ds_store_b64 v1, v[98:99]
	s_wait_dscnt 0x0
	s_barrier_signal -1
	s_barrier_wait -1
	v_cmpx_gt_u32_e32 4, v0
	s_cbranch_execz .LBB46_31
; %bb.28:
	v_dual_mov_b32 v98, 0 :: v_dual_add_nc_u32 v7, -1, v0
	v_add_nc_u32_e32 v11, 0x180, v96
	v_mov_b32_e32 v13, v96
	s_mov_b32 s1, 0
	s_delay_alu instid0(VALU_DEP_3)
	v_mov_b32_e32 v99, v98
.LBB46_29:                              ; =>This Inner Loop Header: Depth=1
	scratch_load_b64 v[100:101], v13, off
	ds_load_b64 v[102:103], v11
	s_wait_xcnt 0x0
	v_dual_add_nc_u32 v11, 8, v11 :: v_dual_add_nc_u32 v13, 8, v13
	s_wait_loadcnt_dscnt 0x0
	v_pk_mul_f32 v[104:105], v[102:103], v[100:101] op_sel:[1,1] op_sel_hi:[0,1]
	s_delay_alu instid0(VALU_DEP_1) | instskip(SKIP_2) | instid1(VALU_DEP_3)
	v_pk_fma_f32 v[106:107], v[102:103], v[100:101], v[104:105] op_sel_hi:[1,0,1]
	v_add_nc_u32_e32 v7, 1, v7
	v_pk_fma_f32 v[100:101], v[102:103], v[100:101], v[104:105] neg_lo:[0,0,1] neg_hi:[0,0,1]
	v_mov_b32_e32 v101, v107
	s_delay_alu instid0(VALU_DEP_3) | instskip(NEXT) | instid1(VALU_DEP_2)
	v_cmp_lt_u32_e32 vcc_lo, 2, v7
	v_pk_add_f32 v[98:99], v[98:99], v[100:101]
	s_or_b32 s1, vcc_lo, s1
	s_delay_alu instid0(SALU_CYCLE_1)
	s_and_not1_b32 exec_lo, exec_lo, s1
	s_cbranch_execnz .LBB46_29
; %bb.30:
	s_or_b32 exec_lo, exec_lo, s1
	v_mov_b32_e32 v7, 0
	ds_load_b64 v[100:101], v7 offset:32
	s_wait_dscnt 0x0
	v_pk_mul_f32 v[102:103], v[98:99], v[100:101] op_sel:[1,1] op_sel_hi:[0,1]
	s_delay_alu instid0(VALU_DEP_1) | instskip(SKIP_1) | instid1(VALU_DEP_2)
	v_pk_fma_f32 v[104:105], v[98:99], v[100:101], v[102:103] op_sel_hi:[1,0,1]
	v_pk_fma_f32 v[98:99], v[98:99], v[100:101], v[102:103] neg_lo:[0,0,1] neg_hi:[0,0,1]
	v_mov_b32_e32 v99, v105
	scratch_store_b64 off, v[98:99], off offset:32
.LBB46_31:
	s_wait_xcnt 0x0
	s_or_b32 exec_lo, exec_lo, s0
	s_wait_storecnt 0x0
	s_barrier_signal -1
	s_barrier_wait -1
	scratch_load_b64 v[98:99], off, off offset:40
	;; [unrolled: 52-line block ×19, first 2 shown]
	s_mov_b32 s0, exec_lo
	s_wait_loadcnt 0x0
	ds_store_b64 v1, v[98:99]
	s_wait_dscnt 0x0
	s_barrier_signal -1
	s_barrier_wait -1
	v_cmpx_gt_u32_e32 22, v0
	s_cbranch_execz .LBB46_103
; %bb.100:
	v_dual_mov_b32 v98, 0 :: v_dual_add_nc_u32 v7, -1, v0
	v_add_nc_u32_e32 v11, 0x180, v96
	v_mov_b32_e32 v13, v96
	s_mov_b32 s1, 0
	s_delay_alu instid0(VALU_DEP_3)
	v_mov_b32_e32 v99, v98
.LBB46_101:                             ; =>This Inner Loop Header: Depth=1
	scratch_load_b64 v[100:101], v13, off
	ds_load_b64 v[102:103], v11
	s_wait_xcnt 0x0
	v_dual_add_nc_u32 v11, 8, v11 :: v_dual_add_nc_u32 v13, 8, v13
	s_wait_loadcnt_dscnt 0x0
	v_pk_mul_f32 v[104:105], v[102:103], v[100:101] op_sel:[1,1] op_sel_hi:[0,1]
	s_delay_alu instid0(VALU_DEP_1) | instskip(SKIP_2) | instid1(VALU_DEP_3)
	v_pk_fma_f32 v[106:107], v[102:103], v[100:101], v[104:105] op_sel_hi:[1,0,1]
	v_add_nc_u32_e32 v7, 1, v7
	v_pk_fma_f32 v[100:101], v[102:103], v[100:101], v[104:105] neg_lo:[0,0,1] neg_hi:[0,0,1]
	v_mov_b32_e32 v101, v107
	s_delay_alu instid0(VALU_DEP_3) | instskip(NEXT) | instid1(VALU_DEP_2)
	v_cmp_lt_u32_e32 vcc_lo, 20, v7
	v_pk_add_f32 v[98:99], v[98:99], v[100:101]
	s_or_b32 s1, vcc_lo, s1
	s_delay_alu instid0(SALU_CYCLE_1)
	s_and_not1_b32 exec_lo, exec_lo, s1
	s_cbranch_execnz .LBB46_101
; %bb.102:
	s_or_b32 exec_lo, exec_lo, s1
	v_mov_b32_e32 v7, 0
	ds_load_b64 v[100:101], v7 offset:176
	s_wait_dscnt 0x0
	v_pk_mul_f32 v[102:103], v[98:99], v[100:101] op_sel:[1,1] op_sel_hi:[0,1]
	s_delay_alu instid0(VALU_DEP_1) | instskip(SKIP_1) | instid1(VALU_DEP_2)
	v_pk_fma_f32 v[104:105], v[98:99], v[100:101], v[102:103] op_sel_hi:[1,0,1]
	v_pk_fma_f32 v[98:99], v[98:99], v[100:101], v[102:103] neg_lo:[0,0,1] neg_hi:[0,0,1]
	v_mov_b32_e32 v99, v105
	scratch_store_b64 off, v[98:99], off offset:176
.LBB46_103:
	s_wait_xcnt 0x0
	s_or_b32 exec_lo, exec_lo, s0
	s_wait_storecnt 0x0
	s_barrier_signal -1
	s_barrier_wait -1
	scratch_load_b64 v[98:99], off, off offset:184
	s_mov_b32 s0, exec_lo
	s_wait_loadcnt 0x0
	ds_store_b64 v1, v[98:99]
	s_wait_dscnt 0x0
	s_barrier_signal -1
	s_barrier_wait -1
	v_cmpx_gt_u32_e32 23, v0
	s_cbranch_execz .LBB46_107
; %bb.104:
	v_dual_mov_b32 v98, 0 :: v_dual_add_nc_u32 v7, -1, v0
	v_add_nc_u32_e32 v11, 0x180, v96
	v_mov_b32_e32 v13, v96
	s_mov_b32 s1, 0
	s_delay_alu instid0(VALU_DEP_3)
	v_mov_b32_e32 v99, v98
.LBB46_105:                             ; =>This Inner Loop Header: Depth=1
	scratch_load_b64 v[100:101], v13, off
	ds_load_b64 v[102:103], v11
	s_wait_xcnt 0x0
	v_dual_add_nc_u32 v11, 8, v11 :: v_dual_add_nc_u32 v13, 8, v13
	s_wait_loadcnt_dscnt 0x0
	v_pk_mul_f32 v[104:105], v[102:103], v[100:101] op_sel:[1,1] op_sel_hi:[0,1]
	s_delay_alu instid0(VALU_DEP_1) | instskip(SKIP_2) | instid1(VALU_DEP_3)
	v_pk_fma_f32 v[106:107], v[102:103], v[100:101], v[104:105] op_sel_hi:[1,0,1]
	v_add_nc_u32_e32 v7, 1, v7
	v_pk_fma_f32 v[100:101], v[102:103], v[100:101], v[104:105] neg_lo:[0,0,1] neg_hi:[0,0,1]
	v_mov_b32_e32 v101, v107
	s_delay_alu instid0(VALU_DEP_3) | instskip(NEXT) | instid1(VALU_DEP_2)
	v_cmp_lt_u32_e32 vcc_lo, 21, v7
	v_pk_add_f32 v[98:99], v[98:99], v[100:101]
	s_or_b32 s1, vcc_lo, s1
	s_delay_alu instid0(SALU_CYCLE_1)
	s_and_not1_b32 exec_lo, exec_lo, s1
	s_cbranch_execnz .LBB46_105
; %bb.106:
	s_or_b32 exec_lo, exec_lo, s1
	v_mov_b32_e32 v7, 0
	ds_load_b64 v[100:101], v7 offset:184
	s_wait_dscnt 0x0
	v_pk_mul_f32 v[102:103], v[98:99], v[100:101] op_sel:[1,1] op_sel_hi:[0,1]
	s_delay_alu instid0(VALU_DEP_1) | instskip(SKIP_1) | instid1(VALU_DEP_2)
	v_pk_fma_f32 v[104:105], v[98:99], v[100:101], v[102:103] op_sel_hi:[1,0,1]
	v_pk_fma_f32 v[98:99], v[98:99], v[100:101], v[102:103] neg_lo:[0,0,1] neg_hi:[0,0,1]
	v_mov_b32_e32 v99, v105
	scratch_store_b64 off, v[98:99], off offset:184
.LBB46_107:
	s_wait_xcnt 0x0
	s_or_b32 exec_lo, exec_lo, s0
	s_wait_storecnt 0x0
	s_barrier_signal -1
	s_barrier_wait -1
	scratch_load_b64 v[98:99], off, off offset:192
	;; [unrolled: 52-line block ×24, first 2 shown]
	s_mov_b32 s0, exec_lo
	s_wait_loadcnt 0x0
	ds_store_b64 v1, v[98:99]
	s_wait_dscnt 0x0
	s_barrier_signal -1
	s_barrier_wait -1
	v_cmpx_ne_u32_e32 46, v0
	s_cbranch_execz .LBB46_199
; %bb.196:
	v_dual_mov_b32 v98, 0 :: v_dual_mov_b32 v7, v96
	s_mov_b32 s1, 0
	s_delay_alu instid0(VALU_DEP_1)
	v_mov_b32_e32 v99, v98
.LBB46_197:                             ; =>This Inner Loop Header: Depth=1
	scratch_load_b64 v[96:97], v7, off
	ds_load_b64 v[100:101], v1
	s_wait_xcnt 0x0
	v_dual_add_nc_u32 v1, 8, v1 :: v_dual_add_nc_u32 v7, 8, v7
	s_wait_loadcnt_dscnt 0x0
	v_pk_mul_f32 v[102:103], v[100:101], v[96:97] op_sel:[1,1] op_sel_hi:[0,1]
	s_delay_alu instid0(VALU_DEP_1) | instskip(SKIP_2) | instid1(VALU_DEP_3)
	v_pk_fma_f32 v[104:105], v[100:101], v[96:97], v[102:103] op_sel_hi:[1,0,1]
	v_add_nc_u32_e32 v5, 1, v5
	v_pk_fma_f32 v[96:97], v[100:101], v[96:97], v[102:103] neg_lo:[0,0,1] neg_hi:[0,0,1]
	v_mov_b32_e32 v97, v105
	s_delay_alu instid0(VALU_DEP_3) | instskip(NEXT) | instid1(VALU_DEP_2)
	v_cmp_lt_u32_e32 vcc_lo, 44, v5
	v_pk_add_f32 v[98:99], v[98:99], v[96:97]
	s_or_b32 s1, vcc_lo, s1
	s_delay_alu instid0(SALU_CYCLE_1)
	s_and_not1_b32 exec_lo, exec_lo, s1
	s_cbranch_execnz .LBB46_197
; %bb.198:
	s_or_b32 exec_lo, exec_lo, s1
	v_mov_b32_e32 v1, 0
	ds_load_b64 v[96:97], v1 offset:368
	s_wait_dscnt 0x0
	v_pk_mul_f32 v[100:101], v[98:99], v[96:97] op_sel:[1,1] op_sel_hi:[0,1]
	s_delay_alu instid0(VALU_DEP_1) | instskip(SKIP_1) | instid1(VALU_DEP_2)
	v_pk_fma_f32 v[102:103], v[98:99], v[96:97], v[100:101] op_sel_hi:[1,0,1]
	v_pk_fma_f32 v[96:97], v[98:99], v[96:97], v[100:101] neg_lo:[0,0,1] neg_hi:[0,0,1]
	v_mov_b32_e32 v97, v103
	scratch_store_b64 off, v[96:97], off offset:368
.LBB46_199:
	s_wait_xcnt 0x0
	s_or_b32 exec_lo, exec_lo, s0
	s_mov_b32 s1, -1
	s_wait_storecnt 0x0
	s_barrier_signal -1
	s_barrier_wait -1
.LBB46_200:
	s_and_b32 vcc_lo, exec_lo, s1
	s_cbranch_vccz .LBB46_202
; %bb.201:
	v_mov_b32_e32 v1, 0
	s_lshl_b64 s[0:1], s[16:17], 2
	s_delay_alu instid0(SALU_CYCLE_1)
	s_add_nc_u64 s[0:1], s[6:7], s[0:1]
	global_load_b32 v1, v1, s[0:1]
	s_wait_loadcnt 0x0
	v_cmp_ne_u32_e32 vcc_lo, 0, v1
	s_cbranch_vccz .LBB46_203
.LBB46_202:
	s_sendmsg sendmsg(MSG_DEALLOC_VGPRS)
	s_endpgm
.LBB46_203:
	s_wait_xcnt 0x0
	v_lshl_add_u32 v1, v0, 3, 0x180
	s_mov_b32 s0, exec_lo
	v_cmpx_eq_u32_e32 46, v0
	s_cbranch_execz .LBB46_205
; %bb.204:
	scratch_load_b64 v[96:97], off, off offset:360
	v_mov_b64_e32 v[98:99], 0
	scratch_store_b64 off, v[98:99], off offset:360
	s_wait_loadcnt 0x0
	ds_store_b64 v1, v[96:97]
.LBB46_205:
	s_wait_xcnt 0x0
	s_or_b32 exec_lo, exec_lo, s0
	s_wait_storecnt_dscnt 0x0
	s_barrier_signal -1
	s_barrier_wait -1
	s_clause 0x1
	scratch_load_b64 v[96:97], off, off offset:368
	scratch_load_b64 v[98:99], off, off offset:360
	v_mov_b32_e32 v5, 0
	s_mov_b32 s0, exec_lo
	ds_load_b64 v[100:101], v5 offset:752
	s_wait_loadcnt_dscnt 0x100
	v_pk_mul_f32 v[102:103], v[100:101], v[96:97] op_sel:[1,1] op_sel_hi:[0,1]
	s_delay_alu instid0(VALU_DEP_1) | instskip(SKIP_1) | instid1(VALU_DEP_2)
	v_pk_fma_f32 v[104:105], v[100:101], v[96:97], v[102:103] op_sel_hi:[1,0,1]
	v_pk_fma_f32 v[96:97], v[100:101], v[96:97], v[102:103] neg_lo:[0,0,1] neg_hi:[0,0,1]
	v_mov_b32_e32 v97, v105
	s_delay_alu instid0(VALU_DEP_1) | instskip(SKIP_1) | instid1(VALU_DEP_1)
	v_pk_add_f32 v[96:97], v[96:97], 0 op_sel_hi:[1,0]
	s_wait_loadcnt 0x0
	v_pk_add_f32 v[96:97], v[98:99], v[96:97] neg_lo:[0,1] neg_hi:[0,1]
	scratch_store_b64 off, v[96:97], off offset:360
	s_wait_xcnt 0x0
	v_cmpx_lt_u32_e32 44, v0
	s_cbranch_execz .LBB46_207
; %bb.206:
	scratch_load_b64 v[96:97], off, off offset:352
	v_mov_b64_e32 v[98:99], 0
	scratch_store_b64 off, v[98:99], off offset:352
	s_wait_loadcnt 0x0
	ds_store_b64 v1, v[96:97]
.LBB46_207:
	s_wait_xcnt 0x0
	s_or_b32 exec_lo, exec_lo, s0
	s_wait_storecnt_dscnt 0x0
	s_barrier_signal -1
	s_barrier_wait -1
	s_clause 0x1
	scratch_load_b128 v[96:99], off, off offset:360
	scratch_load_b64 v[104:105], off, off offset:352
	ds_load_2addr_b64 v[100:103], v5 offset0:93 offset1:94
	s_mov_b32 s0, exec_lo
	s_wait_dscnt 0x0
	v_dual_mov_b32 v106, v103 :: v_dual_mov_b32 v107, v102
	s_wait_loadcnt 0x1
	v_pk_mul_f32 v[108:109], v[100:101], v[96:97] op_sel:[1,1] op_sel_hi:[0,1]
	s_delay_alu instid0(VALU_DEP_1) | instskip(SKIP_2) | instid1(VALU_DEP_3)
	v_pk_fma_f32 v[112:113], v[100:101], v[96:97], v[108:109] op_sel_hi:[1,0,1]
	v_mov_b32_e32 v110, v99
	v_pk_fma_f32 v[96:97], v[100:101], v[96:97], v[108:109] neg_lo:[0,0,1] neg_hi:[0,0,1]
	v_mov_b32_e32 v97, v113
	s_delay_alu instid0(VALU_DEP_3) | instskip(NEXT) | instid1(VALU_DEP_2)
	v_pk_mul_f32 v[106:107], v[106:107], v[110:111] op_sel_hi:[1,0]
	v_pk_add_f32 v[96:97], v[96:97], 0 op_sel_hi:[1,0]
	s_delay_alu instid0(VALU_DEP_2) | instskip(SKIP_1) | instid1(VALU_DEP_2)
	v_pk_fma_f32 v[100:101], v[102:103], v[98:99], v[106:107] op_sel_hi:[1,0,1]
	v_pk_fma_f32 v[98:99], v[102:103], v[98:99], v[106:107] neg_lo:[0,0,1] neg_hi:[0,0,1]
	v_mov_b32_e32 v99, v101
	s_delay_alu instid0(VALU_DEP_1) | instskip(SKIP_1) | instid1(VALU_DEP_1)
	v_pk_add_f32 v[96:97], v[96:97], v[98:99]
	s_wait_loadcnt 0x0
	v_pk_add_f32 v[96:97], v[104:105], v[96:97] neg_lo:[0,1] neg_hi:[0,1]
	scratch_store_b64 off, v[96:97], off offset:352
	s_wait_xcnt 0x0
	v_cmpx_lt_u32_e32 43, v0
	s_cbranch_execz .LBB46_209
; %bb.208:
	scratch_load_b64 v[96:97], off, off offset:344
	v_mov_b64_e32 v[98:99], 0
	scratch_store_b64 off, v[98:99], off offset:344
	s_wait_loadcnt 0x0
	ds_store_b64 v1, v[96:97]
.LBB46_209:
	s_wait_xcnt 0x0
	s_or_b32 exec_lo, exec_lo, s0
	s_wait_storecnt_dscnt 0x0
	s_barrier_signal -1
	s_barrier_wait -1
	s_clause 0x2
	scratch_load_b128 v[96:99], off, off offset:352
	scratch_load_b64 v[104:105], off, off offset:368
	scratch_load_b64 v[106:107], off, off offset:344
	v_mov_b32_e32 v5, 0
	ds_load_b128 v[100:103], v5 offset:736
	ds_load_b64 v[108:109], v5 offset:752
	s_mov_b32 s0, exec_lo
	s_wait_dscnt 0x1
	v_dual_mov_b32 v110, v103 :: v_dual_mov_b32 v111, v102
	s_wait_loadcnt 0x2
	v_mov_b32_e32 v114, v99
	v_pk_mul_f32 v[112:113], v[100:101], v[96:97] op_sel:[1,1] op_sel_hi:[0,1]
	s_delay_alu instid0(VALU_DEP_2) | instskip(NEXT) | instid1(VALU_DEP_2)
	v_pk_mul_f32 v[110:111], v[110:111], v[114:115] op_sel_hi:[1,0]
	v_pk_fma_f32 v[116:117], v[100:101], v[96:97], v[112:113] op_sel_hi:[1,0,1]
	v_pk_fma_f32 v[96:97], v[100:101], v[96:97], v[112:113] neg_lo:[0,0,1] neg_hi:[0,0,1]
	s_wait_loadcnt_dscnt 0x100
	v_pk_mul_f32 v[112:113], v[108:109], v[104:105] op_sel:[1,1] op_sel_hi:[0,1]
	v_pk_fma_f32 v[100:101], v[102:103], v[98:99], v[110:111] op_sel_hi:[1,0,1]
	v_mov_b32_e32 v97, v117
	v_pk_fma_f32 v[98:99], v[102:103], v[98:99], v[110:111] neg_lo:[0,0,1] neg_hi:[0,0,1]
	s_delay_alu instid0(VALU_DEP_4) | instskip(NEXT) | instid1(VALU_DEP_4)
	v_pk_fma_f32 v[102:103], v[108:109], v[104:105], v[112:113] neg_lo:[0,0,1] neg_hi:[0,0,1]
	v_mov_b32_e32 v99, v101
	s_delay_alu instid0(VALU_DEP_4) | instskip(SKIP_1) | instid1(VALU_DEP_2)
	v_pk_add_f32 v[96:97], v[96:97], 0 op_sel_hi:[1,0]
	v_pk_fma_f32 v[100:101], v[108:109], v[104:105], v[112:113] op_sel_hi:[1,0,1]
	v_pk_add_f32 v[96:97], v[96:97], v[98:99]
	s_delay_alu instid0(VALU_DEP_2) | instskip(NEXT) | instid1(VALU_DEP_1)
	v_mov_b32_e32 v103, v101
	v_pk_add_f32 v[96:97], v[96:97], v[102:103]
	s_wait_loadcnt 0x0
	s_delay_alu instid0(VALU_DEP_1)
	v_pk_add_f32 v[96:97], v[106:107], v[96:97] neg_lo:[0,1] neg_hi:[0,1]
	scratch_store_b64 off, v[96:97], off offset:344
	s_wait_xcnt 0x0
	v_cmpx_lt_u32_e32 42, v0
	s_cbranch_execz .LBB46_211
; %bb.210:
	scratch_load_b64 v[96:97], off, off offset:336
	v_mov_b64_e32 v[98:99], 0
	scratch_store_b64 off, v[98:99], off offset:336
	s_wait_loadcnt 0x0
	ds_store_b64 v1, v[96:97]
.LBB46_211:
	s_wait_xcnt 0x0
	s_or_b32 exec_lo, exec_lo, s0
	s_wait_storecnt_dscnt 0x0
	s_barrier_signal -1
	s_barrier_wait -1
	s_clause 0x2
	scratch_load_b128 v[96:99], off, off offset:344
	scratch_load_b128 v[100:103], off, off offset:360
	scratch_load_b64 v[112:113], off, off offset:336
	ds_load_2addr_b64 v[104:107], v5 offset0:91 offset1:92
	ds_load_2addr_b64 v[108:111], v5 offset0:93 offset1:94
	s_mov_b32 s0, exec_lo
	s_wait_dscnt 0x1
	v_dual_mov_b32 v114, v107 :: v_dual_mov_b32 v115, v106
	s_wait_loadcnt_dscnt 0x200
	v_dual_mov_b32 v120, v111 :: v_dual_mov_b32 v118, v99
	v_pk_mul_f32 v[116:117], v[104:105], v[96:97] op_sel:[1,1] op_sel_hi:[0,1]
	s_delay_alu instid0(VALU_DEP_2) | instskip(NEXT) | instid1(VALU_DEP_2)
	v_pk_mul_f32 v[114:115], v[114:115], v[118:119] op_sel_hi:[1,0]
	v_pk_fma_f32 v[122:123], v[104:105], v[96:97], v[116:117] op_sel_hi:[1,0,1]
	v_pk_fma_f32 v[96:97], v[104:105], v[96:97], v[116:117] neg_lo:[0,0,1] neg_hi:[0,0,1]
	v_mov_b32_e32 v121, v110
	s_wait_loadcnt 0x1
	v_pk_mul_f32 v[118:119], v[108:109], v[100:101] op_sel:[1,1] op_sel_hi:[0,1]
	v_pk_fma_f32 v[104:105], v[106:107], v[98:99], v[114:115] op_sel_hi:[1,0,1]
	v_dual_mov_b32 v97, v123 :: v_dual_mov_b32 v104, v103
	v_pk_fma_f32 v[98:99], v[106:107], v[98:99], v[114:115] neg_lo:[0,0,1] neg_hi:[0,0,1]
	s_delay_alu instid0(VALU_DEP_4) | instskip(NEXT) | instid1(VALU_DEP_4)
	v_pk_fma_f32 v[116:117], v[108:109], v[100:101], v[118:119] op_sel_hi:[1,0,1]
	v_mov_b32_e32 v99, v105
	s_delay_alu instid0(VALU_DEP_4) | instskip(SKIP_2) | instid1(VALU_DEP_3)
	v_pk_add_f32 v[96:97], v[96:97], 0 op_sel_hi:[1,0]
	v_pk_mul_f32 v[104:105], v[120:121], v[104:105] op_sel_hi:[1,0]
	v_pk_fma_f32 v[100:101], v[108:109], v[100:101], v[118:119] neg_lo:[0,0,1] neg_hi:[0,0,1]
	v_pk_add_f32 v[96:97], v[96:97], v[98:99]
	s_delay_alu instid0(VALU_DEP_3) | instskip(SKIP_2) | instid1(VALU_DEP_3)
	v_pk_fma_f32 v[98:99], v[110:111], v[102:103], v[104:105] op_sel_hi:[1,0,1]
	v_mov_b32_e32 v101, v117
	v_pk_fma_f32 v[102:103], v[110:111], v[102:103], v[104:105] neg_lo:[0,0,1] neg_hi:[0,0,1]
	v_mov_b32_e32 v103, v99
	s_delay_alu instid0(VALU_DEP_3) | instskip(NEXT) | instid1(VALU_DEP_1)
	v_pk_add_f32 v[96:97], v[96:97], v[100:101]
	v_pk_add_f32 v[96:97], v[96:97], v[102:103]
	s_wait_loadcnt 0x0
	s_delay_alu instid0(VALU_DEP_1)
	v_pk_add_f32 v[96:97], v[112:113], v[96:97] neg_lo:[0,1] neg_hi:[0,1]
	scratch_store_b64 off, v[96:97], off offset:336
	s_wait_xcnt 0x0
	v_cmpx_lt_u32_e32 41, v0
	s_cbranch_execz .LBB46_213
; %bb.212:
	scratch_load_b64 v[96:97], off, off offset:328
	v_mov_b64_e32 v[98:99], 0
	scratch_store_b64 off, v[98:99], off offset:328
	s_wait_loadcnt 0x0
	ds_store_b64 v1, v[96:97]
.LBB46_213:
	s_wait_xcnt 0x0
	s_or_b32 exec_lo, exec_lo, s0
	s_wait_storecnt_dscnt 0x0
	s_barrier_signal -1
	s_barrier_wait -1
	s_clause 0x3
	scratch_load_b128 v[96:99], off, off offset:336
	scratch_load_b128 v[100:103], off, off offset:352
	scratch_load_b64 v[112:113], off, off offset:368
	scratch_load_b64 v[114:115], off, off offset:328
	v_mov_b32_e32 v5, 0
	ds_load_b128 v[104:107], v5 offset:720
	ds_load_b128 v[108:111], v5 offset:736
	s_mov_b32 s0, exec_lo
	s_wait_dscnt 0x1
	v_dual_mov_b32 v116, v107 :: v_dual_mov_b32 v117, v106
	ds_load_b64 v[122:123], v5 offset:752
	s_wait_dscnt 0x1
	v_dual_mov_b32 v124, v111 :: v_dual_mov_b32 v125, v110
	s_wait_loadcnt 0x3
	v_pk_mul_f32 v[118:119], v[104:105], v[96:97] op_sel:[1,1] op_sel_hi:[0,1]
	v_mov_b32_e32 v120, v99
	s_delay_alu instid0(VALU_DEP_2) | instskip(NEXT) | instid1(VALU_DEP_2)
	v_pk_fma_f32 v[126:127], v[104:105], v[96:97], v[118:119] op_sel_hi:[1,0,1]
	v_pk_mul_f32 v[116:117], v[116:117], v[120:121] op_sel_hi:[1,0]
	v_pk_fma_f32 v[96:97], v[104:105], v[96:97], v[118:119] neg_lo:[0,0,1] neg_hi:[0,0,1]
	s_wait_loadcnt 0x2
	v_pk_mul_f32 v[120:121], v[108:109], v[100:101] op_sel:[1,1] op_sel_hi:[0,1]
	v_dual_mov_b32 v126, v103 :: v_dual_mov_b32 v97, v127
	v_pk_fma_f32 v[104:105], v[106:107], v[98:99], v[116:117] op_sel_hi:[1,0,1]
	v_pk_fma_f32 v[98:99], v[106:107], v[98:99], v[116:117] neg_lo:[0,0,1] neg_hi:[0,0,1]
	s_delay_alu instid0(VALU_DEP_4) | instskip(NEXT) | instid1(VALU_DEP_4)
	v_pk_fma_f32 v[118:119], v[108:109], v[100:101], v[120:121] op_sel_hi:[1,0,1]
	v_pk_mul_f32 v[124:125], v[124:125], v[126:127] op_sel_hi:[1,0]
	v_pk_add_f32 v[96:97], v[96:97], 0 op_sel_hi:[1,0]
	v_mov_b32_e32 v99, v105
	v_pk_fma_f32 v[100:101], v[108:109], v[100:101], v[120:121] neg_lo:[0,0,1] neg_hi:[0,0,1]
	v_mov_b32_e32 v101, v119
	v_pk_fma_f32 v[104:105], v[110:111], v[102:103], v[124:125] op_sel_hi:[1,0,1]
	v_pk_fma_f32 v[102:103], v[110:111], v[102:103], v[124:125] neg_lo:[0,0,1] neg_hi:[0,0,1]
	v_pk_add_f32 v[96:97], v[96:97], v[98:99]
	s_wait_loadcnt_dscnt 0x100
	v_pk_mul_f32 v[98:99], v[122:123], v[112:113] op_sel:[1,1] op_sel_hi:[0,1]
	s_delay_alu instid0(VALU_DEP_2) | instskip(NEXT) | instid1(VALU_DEP_2)
	v_pk_add_f32 v[96:97], v[96:97], v[100:101]
	v_pk_fma_f32 v[100:101], v[122:123], v[112:113], v[98:99] op_sel_hi:[1,0,1]
	v_mov_b32_e32 v103, v105
	v_pk_fma_f32 v[98:99], v[122:123], v[112:113], v[98:99] neg_lo:[0,0,1] neg_hi:[0,0,1]
	s_delay_alu instid0(VALU_DEP_3) | instskip(NEXT) | instid1(VALU_DEP_3)
	v_mov_b32_e32 v99, v101
	v_pk_add_f32 v[96:97], v[96:97], v[102:103]
	s_delay_alu instid0(VALU_DEP_1) | instskip(SKIP_1) | instid1(VALU_DEP_1)
	v_pk_add_f32 v[96:97], v[96:97], v[98:99]
	s_wait_loadcnt 0x0
	v_pk_add_f32 v[96:97], v[114:115], v[96:97] neg_lo:[0,1] neg_hi:[0,1]
	scratch_store_b64 off, v[96:97], off offset:328
	s_wait_xcnt 0x0
	v_cmpx_lt_u32_e32 40, v0
	s_cbranch_execz .LBB46_215
; %bb.214:
	scratch_load_b64 v[96:97], off, off offset:320
	v_mov_b64_e32 v[98:99], 0
	scratch_store_b64 off, v[98:99], off offset:320
	s_wait_loadcnt 0x0
	ds_store_b64 v1, v[96:97]
.LBB46_215:
	s_wait_xcnt 0x0
	s_or_b32 exec_lo, exec_lo, s0
	s_wait_storecnt_dscnt 0x0
	s_barrier_signal -1
	s_barrier_wait -1
	s_clause 0x3
	scratch_load_b128 v[96:99], off, off offset:328
	scratch_load_b128 v[100:103], off, off offset:344
	;; [unrolled: 1-line block ×3, first 2 shown]
	scratch_load_b64 v[120:121], off, off offset:320
	ds_load_2addr_b64 v[108:111], v5 offset0:89 offset1:90
	ds_load_2addr_b64 v[112:115], v5 offset0:91 offset1:92
	;; [unrolled: 1-line block ×3, first 2 shown]
	s_mov_b32 s0, exec_lo
	s_wait_dscnt 0x2
	v_dual_mov_b32 v122, v111 :: v_dual_mov_b32 v123, v110
	s_wait_dscnt 0x1
	v_dual_mov_b32 v124, v115 :: v_dual_mov_b32 v125, v114
	s_wait_dscnt 0x0
	v_dual_mov_b32 v130, v119 :: v_dual_mov_b32 v131, v118
	s_wait_loadcnt 0x3
	v_pk_mul_f32 v[126:127], v[108:109], v[96:97] op_sel:[1,1] op_sel_hi:[0,1]
	v_mov_b32_e32 v128, v99
	s_delay_alu instid0(VALU_DEP_2) | instskip(NEXT) | instid1(VALU_DEP_2)
	v_pk_fma_f32 v[132:133], v[108:109], v[96:97], v[126:127] op_sel_hi:[1,0,1]
	v_pk_mul_f32 v[122:123], v[122:123], v[128:129] op_sel_hi:[1,0]
	v_pk_fma_f32 v[96:97], v[108:109], v[96:97], v[126:127] neg_lo:[0,0,1] neg_hi:[0,0,1]
	s_wait_loadcnt 0x2
	v_pk_mul_f32 v[128:129], v[112:113], v[100:101] op_sel:[1,1] op_sel_hi:[0,1]
	v_mov_b32_e32 v132, v103
	v_pk_fma_f32 v[108:109], v[110:111], v[98:99], v[122:123] op_sel_hi:[1,0,1]
	v_mov_b32_e32 v97, v133
	v_pk_fma_f32 v[98:99], v[110:111], v[98:99], v[122:123] neg_lo:[0,0,1] neg_hi:[0,0,1]
	v_pk_fma_f32 v[126:127], v[112:113], v[100:101], v[128:129] op_sel_hi:[1,0,1]
	v_pk_mul_f32 v[124:125], v[124:125], v[132:133] op_sel_hi:[1,0]
	v_mov_b32_e32 v99, v109
	v_pk_add_f32 v[96:97], v[96:97], 0 op_sel_hi:[1,0]
	v_pk_fma_f32 v[100:101], v[112:113], v[100:101], v[128:129] neg_lo:[0,0,1] neg_hi:[0,0,1]
	s_wait_loadcnt 0x1
	v_pk_mul_f32 v[108:109], v[116:117], v[104:105] op_sel:[1,1] op_sel_hi:[0,1]
	v_mov_b32_e32 v101, v127
	v_pk_fma_f32 v[110:111], v[114:115], v[102:103], v[124:125] op_sel_hi:[1,0,1]
	v_pk_add_f32 v[96:97], v[96:97], v[98:99]
	v_mov_b32_e32 v98, v107
	v_pk_fma_f32 v[102:103], v[114:115], v[102:103], v[124:125] neg_lo:[0,0,1] neg_hi:[0,0,1]
	v_pk_fma_f32 v[112:113], v[116:117], v[104:105], v[108:109] op_sel_hi:[1,0,1]
	v_mov_b32_e32 v103, v111
	v_pk_add_f32 v[96:97], v[96:97], v[100:101]
	v_pk_mul_f32 v[98:99], v[130:131], v[98:99] op_sel_hi:[1,0]
	v_pk_fma_f32 v[100:101], v[116:117], v[104:105], v[108:109] neg_lo:[0,0,1] neg_hi:[0,0,1]
	v_mov_b32_e32 v101, v113
	s_delay_alu instid0(VALU_DEP_4) | instskip(NEXT) | instid1(VALU_DEP_4)
	v_pk_add_f32 v[96:97], v[96:97], v[102:103]
	v_pk_fma_f32 v[102:103], v[118:119], v[106:107], v[98:99] op_sel_hi:[1,0,1]
	v_pk_fma_f32 v[98:99], v[118:119], v[106:107], v[98:99] neg_lo:[0,0,1] neg_hi:[0,0,1]
	s_delay_alu instid0(VALU_DEP_3) | instskip(NEXT) | instid1(VALU_DEP_3)
	v_pk_add_f32 v[96:97], v[96:97], v[100:101]
	v_mov_b32_e32 v99, v103
	s_delay_alu instid0(VALU_DEP_1) | instskip(SKIP_1) | instid1(VALU_DEP_1)
	v_pk_add_f32 v[96:97], v[96:97], v[98:99]
	s_wait_loadcnt 0x0
	v_pk_add_f32 v[96:97], v[120:121], v[96:97] neg_lo:[0,1] neg_hi:[0,1]
	scratch_store_b64 off, v[96:97], off offset:320
	s_wait_xcnt 0x0
	v_cmpx_lt_u32_e32 39, v0
	s_cbranch_execz .LBB46_217
; %bb.216:
	scratch_load_b64 v[96:97], off, off offset:312
	v_mov_b64_e32 v[98:99], 0
	scratch_store_b64 off, v[98:99], off offset:312
	s_wait_loadcnt 0x0
	ds_store_b64 v1, v[96:97]
.LBB46_217:
	s_wait_xcnt 0x0
	s_or_b32 exec_lo, exec_lo, s0
	s_wait_storecnt_dscnt 0x0
	s_barrier_signal -1
	s_barrier_wait -1
	s_clause 0x4
	scratch_load_b128 v[96:99], off, off offset:320
	scratch_load_b128 v[100:103], off, off offset:336
	;; [unrolled: 1-line block ×3, first 2 shown]
	scratch_load_b64 v[120:121], off, off offset:368
	scratch_load_b64 v[122:123], off, off offset:312
	v_mov_b32_e32 v5, 0
	ds_load_b128 v[108:111], v5 offset:704
	ds_load_b128 v[112:115], v5 offset:720
	;; [unrolled: 1-line block ×3, first 2 shown]
	ds_load_b64 v[124:125], v5 offset:752
	s_mov_b32 s0, exec_lo
	s_wait_dscnt 0x3
	v_dual_mov_b32 v126, v111 :: v_dual_mov_b32 v127, v110
	s_wait_dscnt 0x2
	v_dual_mov_b32 v128, v115 :: v_dual_mov_b32 v129, v114
	;; [unrolled: 2-line block ×3, first 2 shown]
	s_wait_loadcnt 0x4
	v_pk_mul_f32 v[130:131], v[108:109], v[96:97] op_sel:[1,1] op_sel_hi:[0,1]
	v_mov_b32_e32 v132, v99
	s_wait_loadcnt 0x3
	v_pk_mul_f32 v[136:137], v[112:113], v[100:101] op_sel:[1,1] op_sel_hi:[0,1]
	s_wait_loadcnt 0x2
	v_pk_mul_f32 v[140:141], v[116:117], v[104:105] op_sel:[1,1] op_sel_hi:[0,1]
	v_pk_fma_f32 v[138:139], v[108:109], v[96:97], v[130:131] op_sel_hi:[1,0,1]
	v_pk_mul_f32 v[126:127], v[126:127], v[132:133] op_sel_hi:[1,0]
	v_pk_fma_f32 v[96:97], v[108:109], v[96:97], v[130:131] neg_lo:[0,0,1] neg_hi:[0,0,1]
	v_mov_b32_e32 v132, v103
	v_pk_fma_f32 v[130:131], v[112:113], v[100:101], v[136:137] op_sel_hi:[1,0,1]
	v_mov_b32_e32 v97, v139
	v_pk_fma_f32 v[108:109], v[110:111], v[98:99], v[126:127] op_sel_hi:[1,0,1]
	v_pk_fma_f32 v[98:99], v[110:111], v[98:99], v[126:127] neg_lo:[0,0,1] neg_hi:[0,0,1]
	v_pk_mul_f32 v[128:129], v[128:129], v[132:133] op_sel_hi:[1,0]
	v_pk_fma_f32 v[100:101], v[112:113], v[100:101], v[136:137] neg_lo:[0,0,1] neg_hi:[0,0,1]
	v_pk_add_f32 v[96:97], v[96:97], 0 op_sel_hi:[1,0]
	v_dual_mov_b32 v99, v109 :: v_dual_mov_b32 v108, v107
	s_delay_alu instid0(VALU_DEP_4) | instskip(SKIP_2) | instid1(VALU_DEP_4)
	v_pk_fma_f32 v[110:111], v[114:115], v[102:103], v[128:129] op_sel_hi:[1,0,1]
	v_mov_b32_e32 v101, v131
	v_pk_fma_f32 v[102:103], v[114:115], v[102:103], v[128:129] neg_lo:[0,0,1] neg_hi:[0,0,1]
	v_pk_add_f32 v[96:97], v[96:97], v[98:99]
	v_pk_fma_f32 v[98:99], v[116:117], v[104:105], v[140:141] op_sel_hi:[1,0,1]
	v_pk_mul_f32 v[108:109], v[134:135], v[108:109] op_sel_hi:[1,0]
	v_mov_b32_e32 v103, v111
	s_delay_alu instid0(VALU_DEP_4)
	v_pk_add_f32 v[96:97], v[96:97], v[100:101]
	v_pk_fma_f32 v[100:101], v[116:117], v[104:105], v[140:141] neg_lo:[0,0,1] neg_hi:[0,0,1]
	v_mov_b32_e32 v101, v99
	v_pk_fma_f32 v[98:99], v[118:119], v[106:107], v[108:109] op_sel_hi:[1,0,1]
	v_pk_fma_f32 v[104:105], v[118:119], v[106:107], v[108:109] neg_lo:[0,0,1] neg_hi:[0,0,1]
	v_pk_add_f32 v[96:97], v[96:97], v[102:103]
	s_wait_loadcnt_dscnt 0x100
	v_pk_mul_f32 v[102:103], v[124:125], v[120:121] op_sel:[1,1] op_sel_hi:[0,1]
	v_mov_b32_e32 v105, v99
	s_delay_alu instid0(VALU_DEP_3) | instskip(NEXT) | instid1(VALU_DEP_3)
	v_pk_add_f32 v[96:97], v[96:97], v[100:101]
	v_pk_fma_f32 v[98:99], v[124:125], v[120:121], v[102:103] op_sel_hi:[1,0,1]
	v_pk_fma_f32 v[100:101], v[124:125], v[120:121], v[102:103] neg_lo:[0,0,1] neg_hi:[0,0,1]
	s_delay_alu instid0(VALU_DEP_3) | instskip(NEXT) | instid1(VALU_DEP_3)
	v_pk_add_f32 v[96:97], v[96:97], v[104:105]
	v_mov_b32_e32 v101, v99
	s_delay_alu instid0(VALU_DEP_1) | instskip(SKIP_1) | instid1(VALU_DEP_1)
	v_pk_add_f32 v[96:97], v[96:97], v[100:101]
	s_wait_loadcnt 0x0
	v_pk_add_f32 v[96:97], v[122:123], v[96:97] neg_lo:[0,1] neg_hi:[0,1]
	scratch_store_b64 off, v[96:97], off offset:312
	s_wait_xcnt 0x0
	v_cmpx_lt_u32_e32 38, v0
	s_cbranch_execz .LBB46_219
; %bb.218:
	scratch_load_b64 v[96:97], off, off offset:304
	v_mov_b64_e32 v[98:99], 0
	scratch_store_b64 off, v[98:99], off offset:304
	s_wait_loadcnt 0x0
	ds_store_b64 v1, v[96:97]
.LBB46_219:
	s_wait_xcnt 0x0
	s_or_b32 exec_lo, exec_lo, s0
	s_wait_storecnt_dscnt 0x0
	s_barrier_signal -1
	s_barrier_wait -1
	s_clause 0x4
	scratch_load_b128 v[96:99], off, off offset:312
	scratch_load_b128 v[100:103], off, off offset:328
	;; [unrolled: 1-line block ×4, first 2 shown]
	scratch_load_b64 v[128:129], off, off offset:304
	ds_load_2addr_b64 v[112:115], v5 offset0:87 offset1:88
	ds_load_2addr_b64 v[116:119], v5 offset0:89 offset1:90
	;; [unrolled: 1-line block ×4, first 2 shown]
	s_mov_b32 s0, exec_lo
	s_wait_dscnt 0x3
	v_dual_mov_b32 v130, v115 :: v_dual_mov_b32 v131, v114
	s_wait_dscnt 0x2
	v_dual_mov_b32 v132, v119 :: v_dual_mov_b32 v133, v118
	;; [unrolled: 2-line block ×3, first 2 shown]
	v_dual_mov_b32 v135, v122 :: v_dual_mov_b32 v140, v127
	s_wait_loadcnt 0x4
	v_mov_b32_e32 v138, v99
	v_pk_mul_f32 v[136:137], v[112:113], v[96:97] op_sel:[1,1] op_sel_hi:[0,1]
	s_wait_loadcnt 0x3
	v_pk_mul_f32 v[142:143], v[116:117], v[100:101] op_sel:[1,1] op_sel_hi:[0,1]
	s_wait_loadcnt 0x2
	v_pk_mul_f32 v[146:147], v[120:121], v[104:105] op_sel:[1,1] op_sel_hi:[0,1]
	v_pk_mul_f32 v[130:131], v[130:131], v[138:139] op_sel_hi:[1,0]
	v_pk_fma_f32 v[144:145], v[112:113], v[96:97], v[136:137] op_sel_hi:[1,0,1]
	v_pk_fma_f32 v[96:97], v[112:113], v[96:97], v[136:137] neg_lo:[0,0,1] neg_hi:[0,0,1]
	v_mov_b32_e32 v138, v103
	v_pk_fma_f32 v[136:137], v[116:117], v[100:101], v[142:143] op_sel_hi:[1,0,1]
	v_pk_fma_f32 v[112:113], v[114:115], v[98:99], v[130:131] op_sel_hi:[1,0,1]
	v_mov_b32_e32 v97, v145
	v_pk_fma_f32 v[98:99], v[114:115], v[98:99], v[130:131] neg_lo:[0,0,1] neg_hi:[0,0,1]
	v_pk_mul_f32 v[132:133], v[132:133], v[138:139] op_sel_hi:[1,0]
	s_delay_alu instid0(VALU_DEP_4) | instskip(NEXT) | instid1(VALU_DEP_4)
	v_dual_mov_b32 v112, v107 :: v_dual_mov_b32 v99, v113
	v_pk_add_f32 v[96:97], v[96:97], 0 op_sel_hi:[1,0]
	v_pk_fma_f32 v[100:101], v[116:117], v[100:101], v[142:143] neg_lo:[0,0,1] neg_hi:[0,0,1]
	v_mov_b32_e32 v101, v137
	v_pk_fma_f32 v[114:115], v[118:119], v[102:103], v[132:133] op_sel_hi:[1,0,1]
	v_pk_mul_f32 v[112:113], v[134:135], v[112:113] op_sel_hi:[1,0]
	v_pk_add_f32 v[96:97], v[96:97], v[98:99]
	v_pk_fma_f32 v[98:99], v[120:121], v[104:105], v[146:147] op_sel_hi:[1,0,1]
	v_pk_fma_f32 v[102:103], v[118:119], v[102:103], v[132:133] neg_lo:[0,0,1] neg_hi:[0,0,1]
	v_mov_b32_e32 v103, v115
	v_pk_fma_f32 v[104:105], v[120:121], v[104:105], v[146:147] neg_lo:[0,0,1] neg_hi:[0,0,1]
	v_pk_add_f32 v[96:97], v[96:97], v[100:101]
	v_mov_b32_e32 v105, v99
	v_pk_fma_f32 v[98:99], v[122:123], v[106:107], v[112:113] op_sel_hi:[1,0,1]
	s_wait_loadcnt 0x1
	v_pk_mul_f32 v[100:101], v[124:125], v[108:109] op_sel:[1,1] op_sel_hi:[0,1]
	v_mov_b32_e32 v98, v111
	v_pk_add_f32 v[96:97], v[96:97], v[102:103]
	v_pk_fma_f32 v[106:107], v[122:123], v[106:107], v[112:113] neg_lo:[0,0,1] neg_hi:[0,0,1]
	v_mov_b32_e32 v107, v99
	v_pk_fma_f32 v[102:103], v[124:125], v[108:109], v[100:101] op_sel_hi:[1,0,1]
	v_pk_mul_f32 v[98:99], v[140:141], v[98:99] op_sel_hi:[1,0]
	v_pk_add_f32 v[96:97], v[96:97], v[104:105]
	v_pk_fma_f32 v[100:101], v[124:125], v[108:109], v[100:101] neg_lo:[0,0,1] neg_hi:[0,0,1]
	s_delay_alu instid0(VALU_DEP_4) | instskip(NEXT) | instid1(VALU_DEP_4)
	v_mov_b32_e32 v101, v103
	v_pk_fma_f32 v[102:103], v[126:127], v[110:111], v[98:99] op_sel_hi:[1,0,1]
	s_delay_alu instid0(VALU_DEP_4) | instskip(SKIP_1) | instid1(VALU_DEP_3)
	v_pk_add_f32 v[96:97], v[96:97], v[106:107]
	v_pk_fma_f32 v[98:99], v[126:127], v[110:111], v[98:99] neg_lo:[0,0,1] neg_hi:[0,0,1]
	v_mov_b32_e32 v99, v103
	s_delay_alu instid0(VALU_DEP_3) | instskip(NEXT) | instid1(VALU_DEP_1)
	v_pk_add_f32 v[96:97], v[96:97], v[100:101]
	v_pk_add_f32 v[96:97], v[96:97], v[98:99]
	s_wait_loadcnt 0x0
	s_delay_alu instid0(VALU_DEP_1)
	v_pk_add_f32 v[96:97], v[128:129], v[96:97] neg_lo:[0,1] neg_hi:[0,1]
	scratch_store_b64 off, v[96:97], off offset:304
	s_wait_xcnt 0x0
	v_cmpx_lt_u32_e32 37, v0
	s_cbranch_execz .LBB46_221
; %bb.220:
	scratch_load_b64 v[96:97], off, off offset:296
	v_mov_b64_e32 v[98:99], 0
	scratch_store_b64 off, v[98:99], off offset:296
	s_wait_loadcnt 0x0
	ds_store_b64 v1, v[96:97]
.LBB46_221:
	s_wait_xcnt 0x0
	s_or_b32 exec_lo, exec_lo, s0
	s_wait_storecnt_dscnt 0x0
	s_barrier_signal -1
	s_barrier_wait -1
	s_clause 0x5
	scratch_load_b128 v[96:99], off, off offset:304
	scratch_load_b128 v[100:103], off, off offset:320
	scratch_load_b128 v[104:107], off, off offset:336
	scratch_load_b128 v[108:111], off, off offset:352
	scratch_load_b64 v[128:129], off, off offset:368
	scratch_load_b64 v[130:131], off, off offset:296
	v_mov_b32_e32 v5, 0
	ds_load_b128 v[112:115], v5 offset:688
	ds_load_b128 v[116:119], v5 offset:704
	;; [unrolled: 1-line block ×4, first 2 shown]
	ds_load_b64 v[132:133], v5 offset:752
	s_mov_b32 s0, exec_lo
	s_wait_dscnt 0x4
	v_dual_mov_b32 v134, v115 :: v_dual_mov_b32 v135, v114
	s_wait_dscnt 0x1
	v_dual_mov_b32 v136, v119 :: v_dual_mov_b32 v141, v126
	v_dual_mov_b32 v137, v118 :: v_dual_mov_b32 v138, v123
	;; [unrolled: 1-line block ×3, first 2 shown]
	s_wait_loadcnt 0x5
	v_dual_mov_b32 v142, v99 :: v_dual_mul_f32 v143, v112, v97
	v_mul_f32_e32 v7, v113, v97
	s_wait_loadcnt 0x4
	v_pk_mul_f32 v[144:145], v[116:117], v[100:101] op_sel:[1,1] op_sel_hi:[0,1]
	v_mov_b32_e32 v146, v103
	s_wait_loadcnt 0x3
	v_pk_mul_f32 v[148:149], v[120:121], v[104:105] op_sel:[1,1] op_sel_hi:[0,1]
	v_pk_mul_f32 v[134:135], v[134:135], v[142:143] op_sel_hi:[1,0]
	v_fmac_f32_e32 v143, v113, v96
	v_dual_fma_f32 v142, v112, v96, -v7 :: v_dual_mov_b32 v96, v107
	v_pk_fma_f32 v[150:151], v[116:117], v[100:101], v[144:145] op_sel_hi:[1,0,1]
	s_delay_alu instid0(VALU_DEP_4)
	v_pk_fma_f32 v[112:113], v[114:115], v[98:99], v[134:135] op_sel_hi:[1,0,1]
	v_pk_fma_f32 v[98:99], v[114:115], v[98:99], v[134:135] neg_lo:[0,0,1] neg_hi:[0,0,1]
	v_pk_mul_f32 v[136:137], v[136:137], v[146:147] op_sel_hi:[1,0]
	v_pk_add_f32 v[142:143], v[142:143], 0 op_sel_hi:[1,0]
	v_pk_fma_f32 v[100:101], v[116:117], v[100:101], v[144:145] neg_lo:[0,0,1] neg_hi:[0,0,1]
	v_dual_mov_b32 v99, v113 :: v_dual_mov_b32 v101, v151
	s_delay_alu instid0(VALU_DEP_4) | instskip(SKIP_2) | instid1(VALU_DEP_4)
	v_pk_fma_f32 v[114:115], v[118:119], v[102:103], v[136:137] op_sel_hi:[1,0,1]
	v_pk_fma_f32 v[102:103], v[118:119], v[102:103], v[136:137] neg_lo:[0,0,1] neg_hi:[0,0,1]
	v_pk_fma_f32 v[116:117], v[120:121], v[104:105], v[148:149] op_sel_hi:[1,0,1]
	v_pk_add_f32 v[98:99], v[142:143], v[98:99]
	v_pk_mul_f32 v[96:97], v[138:139], v[96:97] op_sel_hi:[1,0]
	v_mov_b32_e32 v103, v115
	v_pk_fma_f32 v[104:105], v[120:121], v[104:105], v[148:149] neg_lo:[0,0,1] neg_hi:[0,0,1]
	s_wait_loadcnt 0x2
	v_pk_mul_f32 v[112:113], v[124:125], v[108:109] op_sel:[1,1] op_sel_hi:[0,1]
	v_pk_add_f32 v[98:99], v[98:99], v[100:101]
	v_mov_b32_e32 v100, v111
	v_pk_fma_f32 v[114:115], v[122:123], v[106:107], v[96:97] op_sel_hi:[1,0,1]
	v_mov_b32_e32 v105, v117
	v_pk_fma_f32 v[96:97], v[122:123], v[106:107], v[96:97] neg_lo:[0,0,1] neg_hi:[0,0,1]
	v_pk_add_f32 v[98:99], v[98:99], v[102:103]
	v_pk_fma_f32 v[102:103], v[124:125], v[108:109], v[112:113] op_sel_hi:[1,0,1]
	v_pk_mul_f32 v[100:101], v[140:141], v[100:101] op_sel_hi:[1,0]
	v_mov_b32_e32 v97, v115
	s_delay_alu instid0(VALU_DEP_4)
	v_pk_add_f32 v[98:99], v[98:99], v[104:105]
	v_pk_fma_f32 v[104:105], v[124:125], v[108:109], v[112:113] neg_lo:[0,0,1] neg_hi:[0,0,1]
	v_mov_b32_e32 v105, v103
	v_pk_fma_f32 v[102:103], v[126:127], v[110:111], v[100:101] op_sel_hi:[1,0,1]
	v_pk_fma_f32 v[100:101], v[126:127], v[110:111], v[100:101] neg_lo:[0,0,1] neg_hi:[0,0,1]
	v_pk_add_f32 v[96:97], v[98:99], v[96:97]
	s_wait_loadcnt_dscnt 0x100
	v_pk_mul_f32 v[98:99], v[132:133], v[128:129] op_sel:[1,1] op_sel_hi:[0,1]
	v_mov_b32_e32 v101, v103
	s_delay_alu instid0(VALU_DEP_3) | instskip(NEXT) | instid1(VALU_DEP_3)
	v_pk_add_f32 v[96:97], v[96:97], v[104:105]
	v_pk_fma_f32 v[102:103], v[132:133], v[128:129], v[98:99] op_sel_hi:[1,0,1]
	v_pk_fma_f32 v[98:99], v[132:133], v[128:129], v[98:99] neg_lo:[0,0,1] neg_hi:[0,0,1]
	s_delay_alu instid0(VALU_DEP_3) | instskip(NEXT) | instid1(VALU_DEP_3)
	v_pk_add_f32 v[96:97], v[96:97], v[100:101]
	v_mov_b32_e32 v99, v103
	s_delay_alu instid0(VALU_DEP_1) | instskip(SKIP_1) | instid1(VALU_DEP_1)
	v_pk_add_f32 v[96:97], v[96:97], v[98:99]
	s_wait_loadcnt 0x0
	v_pk_add_f32 v[96:97], v[130:131], v[96:97] neg_lo:[0,1] neg_hi:[0,1]
	scratch_store_b64 off, v[96:97], off offset:296
	s_wait_xcnt 0x0
	v_cmpx_lt_u32_e32 36, v0
	s_cbranch_execz .LBB46_223
; %bb.222:
	scratch_load_b64 v[96:97], off, off offset:288
	v_mov_b64_e32 v[98:99], 0
	scratch_store_b64 off, v[98:99], off offset:288
	s_wait_loadcnt 0x0
	ds_store_b64 v1, v[96:97]
.LBB46_223:
	s_wait_xcnt 0x0
	s_or_b32 exec_lo, exec_lo, s0
	s_wait_storecnt_dscnt 0x0
	s_barrier_signal -1
	s_barrier_wait -1
	s_clause 0x5
	scratch_load_b128 v[96:99], off, off offset:296
	scratch_load_b128 v[100:103], off, off offset:312
	;; [unrolled: 1-line block ×5, first 2 shown]
	scratch_load_b64 v[136:137], off, off offset:288
	ds_load_2addr_b64 v[116:119], v5 offset0:87 offset1:88
	ds_load_2addr_b64 v[120:123], v5 offset0:89 offset1:90
	;; [unrolled: 1-line block ×5, first 2 shown]
	s_mov_b32 s0, exec_lo
	s_wait_dscnt 0x4
	v_dual_mov_b32 v138, v119 :: v_dual_mov_b32 v139, v118
	s_wait_dscnt 0x3
	v_dual_mov_b32 v140, v123 :: v_dual_mov_b32 v141, v122
	;; [unrolled: 2-line block ×4, first 2 shown]
	s_wait_loadcnt_dscnt 0x500
	v_dual_mul_f32 v147, v132, v97 :: v_dual_mul_f32 v149, v134, v99
	v_dual_mul_f32 v5, v133, v97 :: v_dual_mul_f32 v7, v135, v99
	s_wait_loadcnt 0x4
	v_pk_mul_f32 v[150:151], v[116:117], v[100:101] op_sel:[1,1] op_sel_hi:[0,1]
	s_wait_loadcnt 0x3
	v_dual_mov_b32 v152, v103 :: v_dual_mov_b32 v156, v107
	v_dual_fmac_f32 v147, v133, v96 :: v_dual_fma_f32 v146, v132, v96, -v5
	v_dual_fmac_f32 v149, v135, v98 :: v_dual_fma_f32 v148, v134, v98, -v7
	v_pk_fma_f32 v[96:97], v[116:117], v[100:101], v[150:151] op_sel_hi:[1,0,1]
	s_delay_alu instid0(VALU_DEP_4) | instskip(NEXT) | instid1(VALU_DEP_4)
	v_pk_mul_f32 v[98:99], v[138:139], v[152:153] op_sel_hi:[1,0]
	v_pk_add_f32 v[132:133], v[146:147], 0 op_sel_hi:[1,0]
	v_pk_fma_f32 v[100:101], v[116:117], v[100:101], v[150:151] neg_lo:[0,0,1] neg_hi:[0,0,1]
	v_pk_mul_f32 v[154:155], v[120:121], v[104:105] op_sel:[1,1] op_sel_hi:[0,1]
	v_mov_b32_e32 v101, v97
	v_pk_fma_f32 v[96:97], v[118:119], v[102:103], v[98:99] op_sel_hi:[1,0,1]
	v_pk_add_f32 v[116:117], v[132:133], v[148:149]
	v_pk_fma_f32 v[98:99], v[118:119], v[102:103], v[98:99] neg_lo:[0,0,1] neg_hi:[0,0,1]
	v_pk_fma_f32 v[132:133], v[120:121], v[104:105], v[154:155] op_sel_hi:[1,0,1]
	v_pk_mul_f32 v[138:139], v[140:141], v[156:157] op_sel_hi:[1,0]
	v_mov_b32_e32 v99, v97
	v_pk_add_f32 v[96:97], v[116:117], v[100:101]
	s_wait_loadcnt 0x2
	v_pk_mul_f32 v[134:135], v[124:125], v[108:109] op_sel:[1,1] op_sel_hi:[0,1]
	v_mov_b32_e32 v100, v111
	v_pk_fma_f32 v[102:103], v[120:121], v[104:105], v[154:155] neg_lo:[0,0,1] neg_hi:[0,0,1]
	v_mov_b32_e32 v103, v133
	v_pk_fma_f32 v[104:105], v[122:123], v[106:107], v[138:139] op_sel_hi:[1,0,1]
	v_pk_add_f32 v[96:97], v[96:97], v[98:99]
	v_pk_fma_f32 v[98:99], v[124:125], v[108:109], v[134:135] op_sel_hi:[1,0,1]
	v_pk_mul_f32 v[100:101], v[142:143], v[100:101] op_sel_hi:[1,0]
	v_pk_fma_f32 v[106:107], v[122:123], v[106:107], v[138:139] neg_lo:[0,0,1] neg_hi:[0,0,1]
	v_mov_b32_e32 v107, v105
	v_pk_add_f32 v[96:97], v[96:97], v[102:103]
	v_pk_fma_f32 v[104:105], v[124:125], v[108:109], v[134:135] neg_lo:[0,0,1] neg_hi:[0,0,1]
	v_mov_b32_e32 v105, v99
	v_pk_fma_f32 v[98:99], v[126:127], v[110:111], v[100:101] op_sel_hi:[1,0,1]
	s_wait_loadcnt 0x1
	v_pk_mul_f32 v[102:103], v[128:129], v[112:113] op_sel:[1,1] op_sel_hi:[0,1]
	v_pk_add_f32 v[96:97], v[96:97], v[106:107]
	v_mov_b32_e32 v98, v115
	v_pk_fma_f32 v[100:101], v[126:127], v[110:111], v[100:101] neg_lo:[0,0,1] neg_hi:[0,0,1]
	v_mov_b32_e32 v101, v99
	v_pk_fma_f32 v[106:107], v[128:129], v[112:113], v[102:103] op_sel_hi:[1,0,1]
	v_pk_add_f32 v[96:97], v[96:97], v[104:105]
	v_pk_mul_f32 v[98:99], v[144:145], v[98:99] op_sel_hi:[1,0]
	v_pk_fma_f32 v[102:103], v[128:129], v[112:113], v[102:103] neg_lo:[0,0,1] neg_hi:[0,0,1]
	s_delay_alu instid0(VALU_DEP_3) | instskip(NEXT) | instid1(VALU_DEP_3)
	v_pk_add_f32 v[96:97], v[96:97], v[100:101]
	v_pk_fma_f32 v[100:101], v[130:131], v[114:115], v[98:99] op_sel_hi:[1,0,1]
	v_mov_b32_e32 v103, v107
	v_pk_fma_f32 v[98:99], v[130:131], v[114:115], v[98:99] neg_lo:[0,0,1] neg_hi:[0,0,1]
	s_delay_alu instid0(VALU_DEP_3) | instskip(NEXT) | instid1(VALU_DEP_3)
	v_mov_b32_e32 v99, v101
	v_pk_add_f32 v[96:97], v[96:97], v[102:103]
	s_delay_alu instid0(VALU_DEP_1) | instskip(SKIP_1) | instid1(VALU_DEP_1)
	v_pk_add_f32 v[96:97], v[96:97], v[98:99]
	s_wait_loadcnt 0x0
	v_pk_add_f32 v[96:97], v[136:137], v[96:97] neg_lo:[0,1] neg_hi:[0,1]
	scratch_store_b64 off, v[96:97], off offset:288
	s_wait_xcnt 0x0
	v_cmpx_lt_u32_e32 35, v0
	s_cbranch_execz .LBB46_225
; %bb.224:
	scratch_load_b64 v[96:97], off, off offset:280
	v_mov_b64_e32 v[98:99], 0
	scratch_store_b64 off, v[98:99], off offset:280
	s_wait_loadcnt 0x0
	ds_store_b64 v1, v[96:97]
.LBB46_225:
	s_wait_xcnt 0x0
	s_or_b32 exec_lo, exec_lo, s0
	s_wait_storecnt_dscnt 0x0
	s_barrier_signal -1
	s_barrier_wait -1
	s_clause 0x6
	scratch_load_b128 v[96:99], off, off offset:288
	scratch_load_b128 v[100:103], off, off offset:304
	;; [unrolled: 1-line block ×5, first 2 shown]
	scratch_load_b64 v[136:137], off, off offset:368
	scratch_load_b64 v[138:139], off, off offset:280
	v_mov_b32_e32 v5, 0
	ds_load_b128 v[116:119], v5 offset:688
	ds_load_b128 v[120:123], v5 offset:704
	;; [unrolled: 1-line block ×5, first 2 shown]
	ds_load_b64 v[140:141], v5 offset:752
	s_mov_b32 s0, exec_lo
	s_wait_dscnt 0x5
	v_dual_mov_b32 v142, v119 :: v_dual_mov_b32 v143, v118
	s_wait_dscnt 0x2
	v_dual_mov_b32 v144, v123 :: v_dual_mov_b32 v149, v130
	v_dual_mov_b32 v145, v122 :: v_dual_mov_b32 v146, v127
	;; [unrolled: 1-line block ×3, first 2 shown]
	s_wait_loadcnt_dscnt 0x601
	v_dual_mul_f32 v7, v132, v97 :: v_dual_mul_f32 v11, v133, v97
	v_dual_mul_f32 v13, v135, v99 :: v_dual_mul_f32 v151, v134, v99
	s_wait_loadcnt 0x5
	v_dual_mul_f32 v153, v116, v101 :: v_dual_mul_f32 v15, v117, v101
	s_wait_loadcnt 0x4
	v_dual_mov_b32 v152, v103 :: v_dual_mov_b32 v156, v107
	v_fmac_f32_e32 v7, v133, v96
	v_dual_fma_f32 v11, v132, v96, -v11 :: v_dual_fma_f32 v150, v134, v98, -v13
	v_fmac_f32_e32 v151, v135, v98
	s_delay_alu instid0(VALU_DEP_4) | instskip(NEXT) | instid1(VALU_DEP_4)
	v_pk_mul_f32 v[96:97], v[142:143], v[152:153] op_sel_hi:[1,0]
	v_add_f32_e32 v99, 0, v7
	s_wait_loadcnt 0x3
	v_dual_add_f32 v98, 0, v11 :: v_dual_mov_b32 v132, v111
	v_pk_mul_f32 v[154:155], v[120:121], v[104:105] op_sel:[1,1] op_sel_hi:[0,1]
	v_dual_fmac_f32 v153, v117, v100 :: v_dual_fma_f32 v152, v116, v100, -v15
	v_pk_fma_f32 v[100:101], v[118:119], v[102:103], v[96:97] op_sel_hi:[1,0,1]
	s_delay_alu instid0(VALU_DEP_4)
	v_pk_add_f32 v[98:99], v[98:99], v[150:151]
	v_pk_fma_f32 v[96:97], v[118:119], v[102:103], v[96:97] neg_lo:[0,0,1] neg_hi:[0,0,1]
	v_pk_fma_f32 v[116:117], v[120:121], v[104:105], v[154:155] op_sel_hi:[1,0,1]
	v_pk_mul_f32 v[134:135], v[144:145], v[156:157] op_sel_hi:[1,0]
	v_mov_b32_e32 v97, v101
	v_pk_add_f32 v[98:99], v[98:99], v[152:153]
	v_pk_fma_f32 v[102:103], v[120:121], v[104:105], v[154:155] neg_lo:[0,0,1] neg_hi:[0,0,1]
	v_pk_mul_f32 v[158:159], v[124:125], v[108:109] op_sel:[1,1] op_sel_hi:[0,1]
	v_mov_b32_e32 v103, v117
	v_pk_fma_f32 v[104:105], v[122:123], v[106:107], v[134:135] op_sel_hi:[1,0,1]
	v_pk_add_f32 v[96:97], v[98:99], v[96:97]
	v_pk_fma_f32 v[106:107], v[122:123], v[106:107], v[134:135] neg_lo:[0,0,1] neg_hi:[0,0,1]
	v_pk_fma_f32 v[98:99], v[124:125], v[108:109], v[158:159] op_sel_hi:[1,0,1]
	v_pk_mul_f32 v[116:117], v[146:147], v[132:133] op_sel_hi:[1,0]
	s_wait_loadcnt 0x2
	v_dual_mov_b32 v107, v105 :: v_dual_mov_b32 v98, v115
	v_pk_add_f32 v[96:97], v[96:97], v[102:103]
	v_pk_fma_f32 v[102:103], v[124:125], v[108:109], v[158:159] neg_lo:[0,0,1] neg_hi:[0,0,1]
	v_pk_mul_f32 v[100:101], v[128:129], v[112:113] op_sel:[1,1] op_sel_hi:[0,1]
	v_pk_fma_f32 v[104:105], v[126:127], v[110:111], v[116:117] op_sel_hi:[1,0,1]
	v_mov_b32_e32 v103, v99
	v_pk_add_f32 v[96:97], v[96:97], v[106:107]
	v_pk_fma_f32 v[108:109], v[126:127], v[110:111], v[116:117] neg_lo:[0,0,1] neg_hi:[0,0,1]
	v_pk_fma_f32 v[106:107], v[128:129], v[112:113], v[100:101] op_sel_hi:[1,0,1]
	v_pk_mul_f32 v[98:99], v[148:149], v[98:99] op_sel_hi:[1,0]
	v_mov_b32_e32 v109, v105
	v_pk_add_f32 v[96:97], v[96:97], v[102:103]
	v_pk_fma_f32 v[100:101], v[128:129], v[112:113], v[100:101] neg_lo:[0,0,1] neg_hi:[0,0,1]
	s_wait_loadcnt_dscnt 0x100
	v_pk_mul_f32 v[104:105], v[140:141], v[136:137] op_sel:[1,1] op_sel_hi:[0,1]
	v_pk_fma_f32 v[102:103], v[130:131], v[114:115], v[98:99] op_sel_hi:[1,0,1]
	v_mov_b32_e32 v101, v107
	v_pk_add_f32 v[96:97], v[96:97], v[108:109]
	v_pk_fma_f32 v[98:99], v[130:131], v[114:115], v[98:99] neg_lo:[0,0,1] neg_hi:[0,0,1]
	s_delay_alu instid0(VALU_DEP_4) | instskip(SKIP_1) | instid1(VALU_DEP_4)
	v_mov_b32_e32 v99, v103
	v_pk_fma_f32 v[102:103], v[140:141], v[136:137], v[104:105] neg_lo:[0,0,1] neg_hi:[0,0,1]
	v_pk_add_f32 v[96:97], v[96:97], v[100:101]
	v_pk_fma_f32 v[100:101], v[140:141], v[136:137], v[104:105] op_sel_hi:[1,0,1]
	s_delay_alu instid0(VALU_DEP_2) | instskip(NEXT) | instid1(VALU_DEP_2)
	v_pk_add_f32 v[96:97], v[96:97], v[98:99]
	v_mov_b32_e32 v103, v101
	s_delay_alu instid0(VALU_DEP_1) | instskip(SKIP_1) | instid1(VALU_DEP_1)
	v_pk_add_f32 v[96:97], v[96:97], v[102:103]
	s_wait_loadcnt 0x0
	v_pk_add_f32 v[96:97], v[138:139], v[96:97] neg_lo:[0,1] neg_hi:[0,1]
	scratch_store_b64 off, v[96:97], off offset:280
	s_wait_xcnt 0x0
	v_cmpx_lt_u32_e32 34, v0
	s_cbranch_execz .LBB46_227
; %bb.226:
	scratch_load_b64 v[96:97], off, off offset:272
	v_mov_b64_e32 v[98:99], 0
	scratch_store_b64 off, v[98:99], off offset:272
	s_wait_loadcnt 0x0
	ds_store_b64 v1, v[96:97]
.LBB46_227:
	s_wait_xcnt 0x0
	s_or_b32 exec_lo, exec_lo, s0
	s_wait_storecnt_dscnt 0x0
	s_barrier_signal -1
	s_barrier_wait -1
	s_clause 0x6
	scratch_load_b128 v[96:99], off, off offset:280
	scratch_load_b128 v[100:103], off, off offset:296
	;; [unrolled: 1-line block ×6, first 2 shown]
	scratch_load_b64 v[144:145], off, off offset:272
	ds_load_2addr_b64 v[120:123], v5 offset0:87 offset1:88
	ds_load_2addr_b64 v[124:127], v5 offset0:89 offset1:90
	;; [unrolled: 1-line block ×6, first 2 shown]
	s_mov_b32 s0, exec_lo
	s_wait_dscnt 0x5
	v_dual_mov_b32 v146, v123 :: v_dual_mov_b32 v147, v122
	s_wait_dscnt 0x4
	v_dual_mov_b32 v148, v127 :: v_dual_mov_b32 v149, v126
	s_wait_dscnt 0x3
	v_dual_mov_b32 v150, v131 :: v_dual_mov_b32 v151, v130
	s_wait_dscnt 0x2
	v_dual_mov_b32 v152, v135 :: v_dual_mov_b32 v153, v134
	s_wait_loadcnt_dscnt 0x601
	v_dual_mul_f32 v5, v136, v97 :: v_dual_mul_f32 v7, v138, v99
	v_dual_mul_f32 v11, v137, v97 :: v_dual_mul_f32 v13, v139, v99
	s_wait_loadcnt 0x4
	s_delay_alu instid0(VALU_DEP_2)
	v_dual_mov_b32 v160, v107 :: v_dual_fmac_f32 v5, v137, v96
	s_wait_dscnt 0x0
	v_dual_mul_f32 v155, v140, v101 :: v_dual_mul_f32 v157, v142, v103
	v_dual_fma_f32 v11, v136, v96, -v11 :: v_dual_fma_f32 v13, v138, v98, -v13
	v_dual_mul_f32 v15, v141, v101 :: v_dual_mul_f32 v17, v143, v103
	v_dual_fmac_f32 v7, v139, v98 :: v_dual_add_f32 v5, 0, v5
	s_wait_loadcnt 0x3
	s_delay_alu instid0(VALU_DEP_3)
	v_dual_add_f32 v11, 0, v11 :: v_dual_mov_b32 v98, v111
	v_pk_mul_f32 v[158:159], v[120:121], v[104:105] op_sel:[1,1] op_sel_hi:[0,1]
	v_pk_mul_f32 v[96:97], v[124:125], v[108:109] op_sel:[1,1] op_sel_hi:[0,1]
	v_fmac_f32_e32 v155, v141, v100
	v_dual_fma_f32 v154, v140, v100, -v15 :: v_dual_add_f32 v101, v5, v7
	v_add_f32_e32 v100, v11, v13
	v_fmac_f32_e32 v157, v143, v102
	v_fma_f32 v156, v142, v102, -v17
	v_pk_fma_f32 v[102:103], v[120:121], v[104:105], v[158:159] op_sel_hi:[1,0,1]
	v_pk_mul_f32 v[136:137], v[146:147], v[160:161] op_sel_hi:[1,0]
	v_pk_add_f32 v[100:101], v[100:101], v[154:155]
	v_pk_fma_f32 v[104:105], v[120:121], v[104:105], v[158:159] neg_lo:[0,0,1] neg_hi:[0,0,1]
	v_pk_fma_f32 v[120:121], v[124:125], v[108:109], v[96:97] op_sel_hi:[1,0,1]
	v_pk_fma_f32 v[96:97], v[124:125], v[108:109], v[96:97] neg_lo:[0,0,1] neg_hi:[0,0,1]
	v_mov_b32_e32 v105, v103
	v_pk_fma_f32 v[102:103], v[122:123], v[106:107], v[136:137] op_sel_hi:[1,0,1]
	v_pk_fma_f32 v[106:107], v[122:123], v[106:107], v[136:137] neg_lo:[0,0,1] neg_hi:[0,0,1]
	v_mov_b32_e32 v97, v121
	v_pk_add_f32 v[100:101], v[100:101], v[156:157]
	v_pk_mul_f32 v[98:99], v[148:149], v[98:99] op_sel_hi:[1,0]
	s_wait_loadcnt 0x2
	v_dual_mov_b32 v107, v103 :: v_dual_mov_b32 v102, v115
	v_pk_mul_f32 v[138:139], v[128:129], v[112:113] op_sel:[1,1] op_sel_hi:[0,1]
	v_pk_add_f32 v[100:101], v[100:101], v[104:105]
	v_pk_fma_f32 v[104:105], v[126:127], v[110:111], v[98:99] op_sel_hi:[1,0,1]
	v_pk_fma_f32 v[98:99], v[126:127], v[110:111], v[98:99] neg_lo:[0,0,1] neg_hi:[0,0,1]
	v_pk_mul_f32 v[102:103], v[150:151], v[102:103] op_sel_hi:[1,0]
	s_delay_alu instid0(VALU_DEP_4) | instskip(SKIP_3) | instid1(VALU_DEP_4)
	v_pk_add_f32 v[100:101], v[100:101], v[106:107]
	v_pk_fma_f32 v[106:107], v[128:129], v[112:113], v[138:139] op_sel_hi:[1,0,1]
	v_mov_b32_e32 v99, v105
	v_pk_fma_f32 v[104:105], v[128:129], v[112:113], v[138:139] neg_lo:[0,0,1] neg_hi:[0,0,1]
	v_pk_add_f32 v[96:97], v[100:101], v[96:97]
	s_wait_loadcnt 0x1
	v_pk_mul_f32 v[100:101], v[132:133], v[116:117] op_sel:[1,1] op_sel_hi:[0,1]
	v_mov_b32_e32 v105, v107
	v_pk_fma_f32 v[106:107], v[130:131], v[114:115], v[102:103] op_sel_hi:[1,0,1]
	v_pk_fma_f32 v[102:103], v[130:131], v[114:115], v[102:103] neg_lo:[0,0,1] neg_hi:[0,0,1]
	v_pk_add_f32 v[96:97], v[96:97], v[98:99]
	v_mov_b32_e32 v98, v119
	v_pk_fma_f32 v[108:109], v[132:133], v[116:117], v[100:101] op_sel_hi:[1,0,1]
	v_mov_b32_e32 v103, v107
	v_pk_fma_f32 v[100:101], v[132:133], v[116:117], v[100:101] neg_lo:[0,0,1] neg_hi:[0,0,1]
	v_pk_add_f32 v[96:97], v[96:97], v[104:105]
	v_pk_mul_f32 v[98:99], v[152:153], v[98:99] op_sel_hi:[1,0]
	s_delay_alu instid0(VALU_DEP_2) | instskip(NEXT) | instid1(VALU_DEP_2)
	v_pk_add_f32 v[96:97], v[96:97], v[102:103]
	v_pk_fma_f32 v[102:103], v[134:135], v[118:119], v[98:99] op_sel_hi:[1,0,1]
	v_mov_b32_e32 v101, v109
	v_pk_fma_f32 v[98:99], v[134:135], v[118:119], v[98:99] neg_lo:[0,0,1] neg_hi:[0,0,1]
	s_delay_alu instid0(VALU_DEP_3) | instskip(NEXT) | instid1(VALU_DEP_3)
	v_mov_b32_e32 v99, v103
	v_pk_add_f32 v[96:97], v[96:97], v[100:101]
	s_delay_alu instid0(VALU_DEP_1) | instskip(SKIP_1) | instid1(VALU_DEP_1)
	v_pk_add_f32 v[96:97], v[96:97], v[98:99]
	s_wait_loadcnt 0x0
	v_pk_add_f32 v[96:97], v[144:145], v[96:97] neg_lo:[0,1] neg_hi:[0,1]
	scratch_store_b64 off, v[96:97], off offset:272
	s_wait_xcnt 0x0
	v_cmpx_lt_u32_e32 33, v0
	s_cbranch_execz .LBB46_229
; %bb.228:
	scratch_load_b64 v[96:97], off, off offset:264
	v_mov_b64_e32 v[98:99], 0
	scratch_store_b64 off, v[98:99], off offset:264
	s_wait_loadcnt 0x0
	ds_store_b64 v1, v[96:97]
.LBB46_229:
	s_wait_xcnt 0x0
	s_or_b32 exec_lo, exec_lo, s0
	s_wait_storecnt_dscnt 0x0
	s_barrier_signal -1
	s_barrier_wait -1
	s_clause 0x7
	scratch_load_b128 v[96:99], off, off offset:272
	scratch_load_b128 v[100:103], off, off offset:288
	;; [unrolled: 1-line block ×6, first 2 shown]
	scratch_load_b64 v[144:145], off, off offset:368
	scratch_load_b64 v[146:147], off, off offset:264
	v_mov_b32_e32 v5, 0
	ds_load_b128 v[120:123], v5 offset:688
	ds_load_b128 v[124:127], v5 offset:704
	;; [unrolled: 1-line block ×6, first 2 shown]
	ds_load_b64 v[148:149], v5 offset:752
	s_mov_b32 s0, exec_lo
	s_wait_dscnt 0x6
	v_dual_mov_b32 v150, v123 :: v_dual_mov_b32 v151, v122
	s_wait_dscnt 0x3
	v_dual_mov_b32 v152, v127 :: v_dual_mov_b32 v157, v134
	v_dual_mov_b32 v153, v126 :: v_dual_mov_b32 v154, v131
	;; [unrolled: 1-line block ×3, first 2 shown]
	s_wait_loadcnt_dscnt 0x702
	v_dual_mul_f32 v7, v136, v97 :: v_dual_mul_f32 v15, v137, v97
	v_dual_mul_f32 v17, v139, v99 :: v_dual_mul_f32 v11, v138, v99
	s_wait_loadcnt_dscnt 0x601
	s_delay_alu instid0(VALU_DEP_2) | instskip(NEXT) | instid1(VALU_DEP_2)
	v_dual_mul_f32 v13, v140, v101 :: v_dual_fmac_f32 v7, v137, v96
	v_dual_fma_f32 v15, v136, v96, -v15 :: v_dual_fma_f32 v17, v138, v98, -v17
	s_wait_loadcnt 0x5
	v_dual_mul_f32 v159, v142, v103 :: v_dual_mul_f32 v161, v120, v105
	v_dual_mul_f32 v19, v141, v101 :: v_dual_mul_f32 v21, v143, v103
	v_dual_mul_f32 v23, v121, v105 :: v_dual_mov_b32 v160, v107
	s_wait_loadcnt 0x4
	v_mov_b32_e32 v96, v111
	v_dual_fmac_f32 v11, v139, v98 :: v_dual_add_f32 v7, 0, v7
	v_dual_add_f32 v15, 0, v15 :: v_dual_fmac_f32 v13, v141, v100
	v_fma_f32 v19, v140, v100, -v19
	v_pk_mul_f32 v[100:101], v[150:151], v[160:161] op_sel_hi:[1,0]
	s_delay_alu instid0(VALU_DEP_4) | instskip(NEXT) | instid1(VALU_DEP_4)
	v_add_f32_e32 v7, v7, v11
	v_dual_add_f32 v11, v15, v17 :: v_dual_fma_f32 v158, v142, v102, -v21
	v_dual_fmac_f32 v159, v143, v102 :: v_dual_fmac_f32 v161, v121, v104
	s_delay_alu instid0(VALU_DEP_3) | instskip(SKIP_1) | instid1(VALU_DEP_4)
	v_dual_add_f32 v103, v7, v13 :: v_dual_fma_f32 v160, v120, v104, -v23
	v_pk_fma_f32 v[104:105], v[122:123], v[106:107], v[100:101] op_sel_hi:[1,0,1]
	v_add_f32_e32 v102, v11, v19
	v_pk_fma_f32 v[100:101], v[122:123], v[106:107], v[100:101] neg_lo:[0,0,1] neg_hi:[0,0,1]
	v_pk_mul_f32 v[162:163], v[124:125], v[108:109] op_sel:[1,1] op_sel_hi:[0,1]
	v_pk_mul_f32 v[96:97], v[152:153], v[96:97] op_sel_hi:[1,0]
	v_mov_b32_e32 v101, v105
	v_pk_add_f32 v[102:103], v[102:103], v[158:159]
	s_wait_loadcnt 0x3
	v_pk_mul_f32 v[98:99], v[128:129], v[112:113] op_sel:[1,1] op_sel_hi:[0,1]
	v_pk_fma_f32 v[120:121], v[124:125], v[108:109], v[162:163] op_sel_hi:[1,0,1]
	v_pk_fma_f32 v[106:107], v[124:125], v[108:109], v[162:163] neg_lo:[0,0,1] neg_hi:[0,0,1]
	v_mov_b32_e32 v136, v115
	v_pk_add_f32 v[102:103], v[102:103], v[160:161]
	v_pk_fma_f32 v[108:109], v[126:127], v[110:111], v[96:97] op_sel_hi:[1,0,1]
	v_mov_b32_e32 v107, v121
	v_pk_fma_f32 v[96:97], v[126:127], v[110:111], v[96:97] neg_lo:[0,0,1] neg_hi:[0,0,1]
	v_pk_mul_f32 v[120:121], v[154:155], v[136:137] op_sel_hi:[1,0]
	v_pk_add_f32 v[100:101], v[102:103], v[100:101]
	v_pk_fma_f32 v[102:103], v[128:129], v[112:113], v[98:99] op_sel_hi:[1,0,1]
	s_wait_loadcnt 0x2
	v_dual_mov_b32 v97, v109 :: v_dual_mov_b32 v102, v119
	v_pk_fma_f32 v[98:99], v[128:129], v[112:113], v[98:99] neg_lo:[0,0,1] neg_hi:[0,0,1]
	v_pk_add_f32 v[100:101], v[100:101], v[106:107]
	v_pk_mul_f32 v[104:105], v[132:133], v[116:117] op_sel:[1,1] op_sel_hi:[0,1]
	v_pk_fma_f32 v[106:107], v[130:131], v[114:115], v[120:121] op_sel_hi:[1,0,1]
	v_mov_b32_e32 v99, v103
	v_pk_fma_f32 v[108:109], v[130:131], v[114:115], v[120:121] neg_lo:[0,0,1] neg_hi:[0,0,1]
	v_pk_add_f32 v[96:97], v[100:101], v[96:97]
	v_pk_fma_f32 v[100:101], v[132:133], v[116:117], v[104:105] op_sel_hi:[1,0,1]
	v_pk_mul_f32 v[102:103], v[156:157], v[102:103] op_sel_hi:[1,0]
	v_mov_b32_e32 v109, v107
	s_delay_alu instid0(VALU_DEP_4)
	v_pk_add_f32 v[96:97], v[96:97], v[98:99]
	v_pk_fma_f32 v[98:99], v[132:133], v[116:117], v[104:105] neg_lo:[0,0,1] neg_hi:[0,0,1]
	v_mov_b32_e32 v99, v101
	v_pk_fma_f32 v[100:101], v[134:135], v[118:119], v[102:103] op_sel_hi:[1,0,1]
	s_wait_loadcnt_dscnt 0x100
	v_pk_mul_f32 v[104:105], v[148:149], v[144:145] op_sel:[1,1] op_sel_hi:[0,1]
	v_pk_add_f32 v[96:97], v[96:97], v[108:109]
	v_pk_fma_f32 v[102:103], v[134:135], v[118:119], v[102:103] neg_lo:[0,0,1] neg_hi:[0,0,1]
	v_mov_b32_e32 v103, v101
	s_delay_alu instid0(VALU_DEP_4) | instskip(NEXT) | instid1(VALU_DEP_4)
	v_pk_fma_f32 v[100:101], v[148:149], v[144:145], v[104:105] neg_lo:[0,0,1] neg_hi:[0,0,1]
	v_pk_add_f32 v[96:97], v[96:97], v[98:99]
	v_pk_fma_f32 v[98:99], v[148:149], v[144:145], v[104:105] op_sel_hi:[1,0,1]
	s_delay_alu instid0(VALU_DEP_2) | instskip(NEXT) | instid1(VALU_DEP_2)
	v_pk_add_f32 v[96:97], v[96:97], v[102:103]
	v_mov_b32_e32 v101, v99
	s_delay_alu instid0(VALU_DEP_1) | instskip(SKIP_1) | instid1(VALU_DEP_1)
	v_pk_add_f32 v[96:97], v[96:97], v[100:101]
	s_wait_loadcnt 0x0
	v_pk_add_f32 v[96:97], v[146:147], v[96:97] neg_lo:[0,1] neg_hi:[0,1]
	scratch_store_b64 off, v[96:97], off offset:264
	s_wait_xcnt 0x0
	v_cmpx_lt_u32_e32 32, v0
	s_cbranch_execz .LBB46_231
; %bb.230:
	scratch_load_b64 v[96:97], off, off offset:256
	v_mov_b64_e32 v[98:99], 0
	scratch_store_b64 off, v[98:99], off offset:256
	s_wait_loadcnt 0x0
	ds_store_b64 v1, v[96:97]
.LBB46_231:
	s_wait_xcnt 0x0
	s_or_b32 exec_lo, exec_lo, s0
	s_wait_storecnt_dscnt 0x0
	s_barrier_signal -1
	s_barrier_wait -1
	s_clause 0x7
	scratch_load_b128 v[96:99], off, off offset:264
	scratch_load_b128 v[100:103], off, off offset:280
	;; [unrolled: 1-line block ×7, first 2 shown]
	scratch_load_b64 v[152:153], off, off offset:256
	ds_load_2addr_b64 v[124:127], v5 offset0:87 offset1:88
	ds_load_2addr_b64 v[128:131], v5 offset0:89 offset1:90
	ds_load_2addr_b64 v[132:135], v5 offset0:91 offset1:92
	ds_load_2addr_b64 v[136:139], v5 offset0:93 offset1:94
	ds_load_2addr_b64 v[140:143], v5 offset0:81 offset1:82
	ds_load_2addr_b64 v[144:147], v5 offset0:83 offset1:84
	ds_load_2addr_b64 v[148:151], v5 offset0:85 offset1:86
	s_mov_b32 s0, exec_lo
	s_wait_dscnt 0x6
	v_dual_mov_b32 v154, v127 :: v_dual_mov_b32 v155, v126
	s_wait_dscnt 0x5
	v_dual_mov_b32 v156, v131 :: v_dual_mov_b32 v157, v130
	;; [unrolled: 2-line block ×4, first 2 shown]
	s_wait_loadcnt_dscnt 0x702
	v_dual_mul_f32 v5, v140, v97 :: v_dual_mul_f32 v7, v142, v99
	v_dual_mul_f32 v15, v141, v97 :: v_dual_mul_f32 v17, v143, v99
	s_wait_loadcnt_dscnt 0x601
	v_dual_mul_f32 v11, v144, v101 :: v_dual_mul_f32 v13, v146, v103
	s_delay_alu instid0(VALU_DEP_2) | instskip(SKIP_2) | instid1(VALU_DEP_3)
	v_dual_fmac_f32 v5, v141, v96 :: v_dual_fma_f32 v15, v140, v96, -v15
	v_dual_mul_f32 v19, v145, v101 :: v_dual_mul_f32 v21, v147, v103
	v_dual_fmac_f32 v7, v143, v98 :: v_dual_fma_f32 v17, v142, v98, -v17
	v_dual_add_f32 v5, 0, v5 :: v_dual_add_f32 v15, 0, v15
	s_wait_loadcnt 0x4
	v_dual_mov_b32 v98, v111 :: v_dual_fmac_f32 v11, v145, v100
	s_delay_alu instid0(VALU_DEP_2) | instskip(NEXT) | instid1(VALU_DEP_3)
	v_dual_fma_f32 v19, v144, v100, -v19 :: v_dual_add_f32 v5, v5, v7
	v_dual_add_f32 v7, v15, v17 :: v_dual_fma_f32 v15, v146, v102, -v21
	s_wait_dscnt 0x0
	v_dual_mul_f32 v163, v148, v105 :: v_dual_mul_f32 v165, v150, v107
	v_dual_mul_f32 v23, v149, v105 :: v_dual_mul_f32 v25, v151, v107
	v_dual_fmac_f32 v13, v147, v102 :: v_dual_add_f32 v5, v5, v11
	s_delay_alu instid0(VALU_DEP_3)
	v_dual_add_f32 v7, v7, v19 :: v_dual_fmac_f32 v163, v149, v104
	v_pk_mul_f32 v[96:97], v[124:125], v[108:109] op_sel:[1,1] op_sel_hi:[0,1]
	s_wait_loadcnt 0x3
	v_pk_mul_f32 v[100:101], v[128:129], v[112:113] op_sel:[1,1] op_sel_hi:[0,1]
	v_dual_mov_b32 v102, v115 :: v_dual_fma_f32 v162, v148, v104, -v23
	v_dual_add_f32 v105, v5, v13 :: v_dual_add_f32 v104, v7, v15
	v_fmac_f32_e32 v165, v151, v106
	v_fma_f32 v164, v150, v106, -v25
	v_pk_fma_f32 v[106:107], v[124:125], v[108:109], v[96:97] op_sel_hi:[1,0,1]
	v_pk_mul_f32 v[98:99], v[154:155], v[98:99] op_sel_hi:[1,0]
	v_pk_add_f32 v[104:105], v[104:105], v[162:163]
	v_pk_fma_f32 v[96:97], v[124:125], v[108:109], v[96:97] neg_lo:[0,0,1] neg_hi:[0,0,1]
	v_pk_fma_f32 v[108:109], v[128:129], v[112:113], v[100:101] op_sel_hi:[1,0,1]
	v_pk_fma_f32 v[100:101], v[128:129], v[112:113], v[100:101] neg_lo:[0,0,1] neg_hi:[0,0,1]
	v_mov_b32_e32 v97, v107
	v_pk_fma_f32 v[106:107], v[126:127], v[110:111], v[98:99] op_sel_hi:[1,0,1]
	v_pk_fma_f32 v[98:99], v[126:127], v[110:111], v[98:99] neg_lo:[0,0,1] neg_hi:[0,0,1]
	v_mov_b32_e32 v101, v109
	v_pk_add_f32 v[104:105], v[104:105], v[164:165]
	v_pk_mul_f32 v[102:103], v[156:157], v[102:103] op_sel_hi:[1,0]
	v_mov_b32_e32 v99, v107
	s_wait_loadcnt 0x2
	v_pk_mul_f32 v[140:141], v[132:133], v[116:117] op_sel:[1,1] op_sel_hi:[0,1]
	v_pk_add_f32 v[96:97], v[104:105], v[96:97]
	v_mov_b32_e32 v104, v119
	v_pk_fma_f32 v[106:107], v[130:131], v[114:115], v[102:103] op_sel_hi:[1,0,1]
	v_pk_fma_f32 v[102:103], v[130:131], v[114:115], v[102:103] neg_lo:[0,0,1] neg_hi:[0,0,1]
	s_delay_alu instid0(VALU_DEP_4)
	v_pk_add_f32 v[96:97], v[96:97], v[98:99]
	v_pk_fma_f32 v[98:99], v[132:133], v[116:117], v[140:141] op_sel_hi:[1,0,1]
	v_pk_mul_f32 v[104:105], v[158:159], v[104:105] op_sel_hi:[1,0]
	v_mov_b32_e32 v103, v107
	v_pk_fma_f32 v[106:107], v[132:133], v[116:117], v[140:141] neg_lo:[0,0,1] neg_hi:[0,0,1]
	v_pk_add_f32 v[96:97], v[96:97], v[100:101]
	v_mov_b32_e32 v107, v99
	v_pk_fma_f32 v[98:99], v[134:135], v[118:119], v[104:105] op_sel_hi:[1,0,1]
	s_wait_loadcnt 0x1
	v_pk_mul_f32 v[100:101], v[136:137], v[120:121] op_sel:[1,1] op_sel_hi:[0,1]
	v_mov_b32_e32 v98, v123
	v_pk_add_f32 v[96:97], v[96:97], v[102:103]
	v_pk_fma_f32 v[104:105], v[134:135], v[118:119], v[104:105] neg_lo:[0,0,1] neg_hi:[0,0,1]
	v_mov_b32_e32 v105, v99
	v_pk_fma_f32 v[102:103], v[136:137], v[120:121], v[100:101] op_sel_hi:[1,0,1]
	v_pk_mul_f32 v[98:99], v[160:161], v[98:99] op_sel_hi:[1,0]
	v_pk_add_f32 v[96:97], v[96:97], v[106:107]
	v_pk_fma_f32 v[100:101], v[136:137], v[120:121], v[100:101] neg_lo:[0,0,1] neg_hi:[0,0,1]
	s_delay_alu instid0(VALU_DEP_4) | instskip(NEXT) | instid1(VALU_DEP_4)
	v_mov_b32_e32 v101, v103
	v_pk_fma_f32 v[102:103], v[138:139], v[122:123], v[98:99] op_sel_hi:[1,0,1]
	s_delay_alu instid0(VALU_DEP_4) | instskip(SKIP_1) | instid1(VALU_DEP_3)
	v_pk_add_f32 v[96:97], v[96:97], v[104:105]
	v_pk_fma_f32 v[98:99], v[138:139], v[122:123], v[98:99] neg_lo:[0,0,1] neg_hi:[0,0,1]
	v_mov_b32_e32 v99, v103
	s_delay_alu instid0(VALU_DEP_3) | instskip(NEXT) | instid1(VALU_DEP_1)
	v_pk_add_f32 v[96:97], v[96:97], v[100:101]
	v_pk_add_f32 v[96:97], v[96:97], v[98:99]
	s_wait_loadcnt 0x0
	s_delay_alu instid0(VALU_DEP_1)
	v_pk_add_f32 v[96:97], v[152:153], v[96:97] neg_lo:[0,1] neg_hi:[0,1]
	scratch_store_b64 off, v[96:97], off offset:256
	s_wait_xcnt 0x0
	v_cmpx_lt_u32_e32 31, v0
	s_cbranch_execz .LBB46_233
; %bb.232:
	scratch_load_b64 v[96:97], off, off offset:248
	v_mov_b64_e32 v[98:99], 0
	scratch_store_b64 off, v[98:99], off offset:248
	s_wait_loadcnt 0x0
	ds_store_b64 v1, v[96:97]
.LBB46_233:
	s_wait_xcnt 0x0
	s_or_b32 exec_lo, exec_lo, s0
	s_wait_storecnt_dscnt 0x0
	s_barrier_signal -1
	s_barrier_wait -1
	s_clause 0x8
	scratch_load_b128 v[96:99], off, off offset:256
	scratch_load_b128 v[100:103], off, off offset:272
	;; [unrolled: 1-line block ×7, first 2 shown]
	scratch_load_b64 v[152:153], off, off offset:368
	scratch_load_b64 v[154:155], off, off offset:248
	v_mov_b32_e32 v5, 0
	ds_load_b128 v[124:127], v5 offset:688
	ds_load_b128 v[128:131], v5 offset:704
	;; [unrolled: 1-line block ×7, first 2 shown]
	ds_load_b64 v[156:157], v5 offset:752
	s_mov_b32 s0, exec_lo
	s_wait_dscnt 0x7
	v_dual_mov_b32 v158, v127 :: v_dual_mov_b32 v159, v126
	s_wait_dscnt 0x4
	v_dual_mov_b32 v160, v131 :: v_dual_mov_b32 v165, v138
	v_dual_mov_b32 v161, v130 :: v_dual_mov_b32 v162, v135
	;; [unrolled: 1-line block ×3, first 2 shown]
	s_wait_loadcnt_dscnt 0x803
	v_dual_mul_f32 v7, v140, v97 :: v_dual_mul_f32 v19, v141, v97
	v_dual_mul_f32 v21, v143, v99 :: v_dual_mul_f32 v11, v142, v99
	s_wait_loadcnt_dscnt 0x702
	v_mul_f32_e32 v13, v144, v101
	s_wait_loadcnt 0x5
	v_dual_mul_f32 v31, v125, v109 :: v_dual_fma_f32 v19, v140, v96, -v19
	v_dual_fmac_f32 v7, v141, v96 :: v_dual_mov_b32 v96, v111
	v_dual_mul_f32 v23, v145, v101 :: v_dual_mul_f32 v25, v147, v103
	v_dual_fmac_f32 v11, v143, v98 :: v_dual_fma_f32 v21, v142, v98, -v21
	s_delay_alu instid0(VALU_DEP_3) | instskip(NEXT) | instid1(VALU_DEP_3)
	v_dual_add_f32 v7, 0, v7 :: v_dual_fmac_f32 v13, v145, v100
	v_dual_add_f32 v19, 0, v19 :: v_dual_fma_f32 v23, v144, v100, -v23
	s_wait_dscnt 0x1
	v_dual_mul_f32 v15, v146, v103 :: v_dual_mul_f32 v17, v148, v105
	s_delay_alu instid0(VALU_DEP_3) | instskip(NEXT) | instid1(VALU_DEP_3)
	v_add_f32_e32 v7, v7, v11
	v_dual_add_f32 v11, v19, v21 :: v_dual_mul_f32 v167, v150, v107
	v_mul_f32_e32 v169, v124, v109
	v_dual_mul_f32 v27, v149, v105 :: v_dual_mul_f32 v29, v151, v107
	s_wait_loadcnt 0x4
	v_pk_mul_f32 v[98:99], v[128:129], v[112:113] op_sel:[1,1] op_sel_hi:[0,1]
	s_delay_alu instid0(VALU_DEP_3)
	v_dual_fmac_f32 v15, v147, v102 :: v_dual_fmac_f32 v169, v125, v108
	v_dual_fma_f32 v19, v146, v102, -v25 :: v_dual_add_f32 v7, v7, v13
	v_fma_f32 v166, v150, v106, -v29
	v_dual_fmac_f32 v17, v149, v104 :: v_dual_add_f32 v11, v11, v23
	v_fma_f32 v168, v124, v108, -v31
	v_pk_mul_f32 v[96:97], v[158:159], v[96:97] op_sel_hi:[1,0]
	v_dual_mov_b32 v100, v115 :: v_dual_fma_f32 v13, v148, v104, -v27
	v_pk_fma_f32 v[124:125], v[128:129], v[112:113], v[98:99] op_sel_hi:[1,0,1]
	v_add_f32_e32 v11, v11, v19
	s_delay_alu instid0(VALU_DEP_4) | instskip(SKIP_3) | instid1(VALU_DEP_4)
	v_pk_fma_f32 v[108:109], v[126:127], v[110:111], v[96:97] op_sel_hi:[1,0,1]
	v_add_f32_e32 v7, v7, v15
	v_pk_fma_f32 v[96:97], v[126:127], v[110:111], v[96:97] neg_lo:[0,0,1] neg_hi:[0,0,1]
	v_pk_fma_f32 v[98:99], v[128:129], v[112:113], v[98:99] neg_lo:[0,0,1] neg_hi:[0,0,1]
	v_dual_fmac_f32 v167, v151, v106 :: v_dual_mov_b32 v97, v109
	s_delay_alu instid0(VALU_DEP_4)
	v_dual_add_f32 v105, v7, v17 :: v_dual_mov_b32 v99, v125
	v_add_f32_e32 v104, v11, v13
	v_pk_mul_f32 v[100:101], v[160:161], v[100:101] op_sel_hi:[1,0]
	s_wait_loadcnt 0x3
	v_pk_mul_f32 v[102:103], v[132:133], v[116:117] op_sel:[1,1] op_sel_hi:[0,1]
	s_wait_loadcnt 0x2
	v_pk_mul_f32 v[108:109], v[136:137], v[120:121] op_sel:[1,1] op_sel_hi:[0,1]
	v_pk_add_f32 v[104:105], v[104:105], v[166:167]
	v_pk_fma_f32 v[110:111], v[130:131], v[114:115], v[100:101] op_sel_hi:[1,0,1]
	v_mov_b32_e32 v106, v119
	v_pk_fma_f32 v[100:101], v[130:131], v[114:115], v[100:101] neg_lo:[0,0,1] neg_hi:[0,0,1]
	s_delay_alu instid0(VALU_DEP_4) | instskip(NEXT) | instid1(VALU_DEP_4)
	v_pk_add_f32 v[104:105], v[104:105], v[168:169]
	v_mov_b32_e32 v101, v111
	s_delay_alu instid0(VALU_DEP_4) | instskip(NEXT) | instid1(VALU_DEP_3)
	v_pk_mul_f32 v[106:107], v[162:163], v[106:107] op_sel_hi:[1,0]
	v_pk_add_f32 v[96:97], v[104:105], v[96:97]
	v_pk_fma_f32 v[104:105], v[132:133], v[116:117], v[102:103] op_sel_hi:[1,0,1]
	v_pk_fma_f32 v[102:103], v[132:133], v[116:117], v[102:103] neg_lo:[0,0,1] neg_hi:[0,0,1]
	s_delay_alu instid0(VALU_DEP_3) | instskip(NEXT) | instid1(VALU_DEP_3)
	v_pk_add_f32 v[96:97], v[96:97], v[98:99]
	v_dual_mov_b32 v98, v123 :: v_dual_mov_b32 v103, v105
	v_pk_fma_f32 v[104:105], v[134:135], v[118:119], v[106:107] op_sel_hi:[1,0,1]
	v_pk_fma_f32 v[106:107], v[134:135], v[118:119], v[106:107] neg_lo:[0,0,1] neg_hi:[0,0,1]
	s_delay_alu instid0(VALU_DEP_4)
	v_pk_add_f32 v[96:97], v[96:97], v[100:101]
	v_pk_fma_f32 v[100:101], v[136:137], v[120:121], v[108:109] op_sel_hi:[1,0,1]
	v_pk_mul_f32 v[98:99], v[164:165], v[98:99] op_sel_hi:[1,0]
	v_mov_b32_e32 v107, v105
	s_wait_loadcnt_dscnt 0x100
	v_pk_mul_f32 v[104:105], v[156:157], v[152:153] op_sel:[1,1] op_sel_hi:[0,1]
	v_pk_add_f32 v[96:97], v[96:97], v[102:103]
	v_pk_fma_f32 v[102:103], v[136:137], v[120:121], v[108:109] neg_lo:[0,0,1] neg_hi:[0,0,1]
	v_mov_b32_e32 v103, v101
	v_pk_fma_f32 v[100:101], v[138:139], v[122:123], v[98:99] op_sel_hi:[1,0,1]
	v_pk_fma_f32 v[98:99], v[138:139], v[122:123], v[98:99] neg_lo:[0,0,1] neg_hi:[0,0,1]
	v_pk_add_f32 v[96:97], v[96:97], v[106:107]
	s_delay_alu instid0(VALU_DEP_3) | instskip(SKIP_1) | instid1(VALU_DEP_3)
	v_mov_b32_e32 v99, v101
	v_pk_fma_f32 v[100:101], v[156:157], v[152:153], v[104:105] op_sel_hi:[1,0,1]
	v_pk_add_f32 v[96:97], v[96:97], v[102:103]
	v_pk_fma_f32 v[102:103], v[156:157], v[152:153], v[104:105] neg_lo:[0,0,1] neg_hi:[0,0,1]
	s_delay_alu instid0(VALU_DEP_3) | instskip(NEXT) | instid1(VALU_DEP_3)
	v_mov_b32_e32 v103, v101
	v_pk_add_f32 v[96:97], v[96:97], v[98:99]
	s_delay_alu instid0(VALU_DEP_1) | instskip(SKIP_1) | instid1(VALU_DEP_1)
	v_pk_add_f32 v[96:97], v[96:97], v[102:103]
	s_wait_loadcnt 0x0
	v_pk_add_f32 v[96:97], v[154:155], v[96:97] neg_lo:[0,1] neg_hi:[0,1]
	scratch_store_b64 off, v[96:97], off offset:248
	s_wait_xcnt 0x0
	v_cmpx_lt_u32_e32 30, v0
	s_cbranch_execz .LBB46_235
; %bb.234:
	scratch_load_b64 v[96:97], off, off offset:240
	v_mov_b64_e32 v[98:99], 0
	scratch_store_b64 off, v[98:99], off offset:240
	s_wait_loadcnt 0x0
	ds_store_b64 v1, v[96:97]
.LBB46_235:
	s_wait_xcnt 0x0
	s_or_b32 exec_lo, exec_lo, s0
	s_wait_storecnt_dscnt 0x0
	s_barrier_signal -1
	s_barrier_wait -1
	s_clause 0x8
	scratch_load_b128 v[96:99], off, off offset:248
	scratch_load_b128 v[100:103], off, off offset:264
	;; [unrolled: 1-line block ×8, first 2 shown]
	scratch_load_b64 v[160:161], off, off offset:240
	ds_load_2addr_b64 v[128:131], v5 offset0:87 offset1:88
	ds_load_2addr_b64 v[132:135], v5 offset0:89 offset1:90
	;; [unrolled: 1-line block ×8, first 2 shown]
	s_mov_b32 s0, exec_lo
	s_wait_dscnt 0x7
	v_dual_mov_b32 v162, v131 :: v_dual_mov_b32 v163, v130
	s_wait_dscnt 0x6
	v_dual_mov_b32 v164, v135 :: v_dual_mov_b32 v165, v134
	;; [unrolled: 2-line block ×4, first 2 shown]
	s_wait_loadcnt_dscnt 0x803
	v_dual_mul_f32 v5, v144, v97 :: v_dual_mul_f32 v7, v146, v99
	v_dual_mul_f32 v19, v145, v97 :: v_dual_mul_f32 v21, v147, v99
	s_wait_loadcnt_dscnt 0x702
	v_dual_mul_f32 v11, v148, v101 :: v_dual_mul_f32 v13, v150, v103
	s_delay_alu instid0(VALU_DEP_2) | instskip(SKIP_3) | instid1(VALU_DEP_3)
	v_dual_fmac_f32 v5, v145, v96 :: v_dual_fma_f32 v19, v144, v96, -v19
	v_dual_mul_f32 v23, v149, v101 :: v_dual_mul_f32 v25, v151, v103
	s_wait_loadcnt_dscnt 0x500
	v_dual_mul_f32 v31, v157, v109 :: v_dual_fmac_f32 v7, v147, v98
	v_dual_fma_f32 v21, v146, v98, -v21 :: v_dual_add_f32 v5, 0, v5
	v_dual_add_f32 v19, 0, v19 :: v_dual_fmac_f32 v11, v149, v100
	v_dual_mul_f32 v33, v159, v111 :: v_dual_fma_f32 v23, v148, v100, -v23
	s_delay_alu instid0(VALU_DEP_2) | instskip(SKIP_2) | instid1(VALU_DEP_3)
	v_dual_add_f32 v5, v5, v7 :: v_dual_add_f32 v7, v19, v21
	v_dual_mul_f32 v15, v152, v105 :: v_dual_mul_f32 v17, v154, v107
	v_dual_mul_f32 v27, v153, v105 :: v_dual_mul_f32 v29, v155, v107
	v_dual_fmac_f32 v13, v151, v102 :: v_dual_add_f32 v5, v5, v11
	s_delay_alu instid0(VALU_DEP_4) | instskip(SKIP_2) | instid1(VALU_DEP_3)
	v_dual_fma_f32 v19, v150, v102, -v25 :: v_dual_add_f32 v7, v7, v23
	s_wait_loadcnt 0x4
	v_dual_mov_b32 v98, v115 :: v_dual_fmac_f32 v15, v153, v104
	v_dual_fma_f32 v11, v152, v104, -v27 :: v_dual_add_f32 v5, v5, v13
	s_delay_alu instid0(VALU_DEP_3) | instskip(SKIP_1) | instid1(VALU_DEP_3)
	v_dual_add_f32 v7, v7, v19 :: v_dual_fma_f32 v13, v154, v106, -v29
	v_dual_mul_f32 v171, v156, v109 :: v_dual_mul_f32 v173, v158, v111
	v_dual_fmac_f32 v17, v155, v106 :: v_dual_add_f32 v5, v5, v15
	s_delay_alu instid0(VALU_DEP_2)
	v_dual_add_f32 v7, v7, v11 :: v_dual_fmac_f32 v171, v157, v108
	v_pk_mul_f32 v[96:97], v[128:129], v[112:113] op_sel:[1,1] op_sel_hi:[0,1]
	s_wait_loadcnt 0x3
	v_dual_mov_b32 v102, v119 :: v_dual_fma_f32 v170, v156, v108, -v31
	v_dual_add_f32 v105, v5, v17 :: v_dual_fmac_f32 v173, v159, v110
	v_dual_add_f32 v104, v7, v13 :: v_dual_fma_f32 v172, v158, v110, -v33
	v_pk_fma_f32 v[106:107], v[128:129], v[112:113], v[96:97] op_sel_hi:[1,0,1]
	v_pk_mul_f32 v[98:99], v[162:163], v[98:99] op_sel_hi:[1,0]
	v_pk_fma_f32 v[96:97], v[128:129], v[112:113], v[96:97] neg_lo:[0,0,1] neg_hi:[0,0,1]
	s_delay_alu instid0(VALU_DEP_4)
	v_pk_add_f32 v[104:105], v[104:105], v[170:171]
	v_pk_mul_f32 v[100:101], v[132:133], v[116:117] op_sel:[1,1] op_sel_hi:[0,1]
	v_mov_b32_e32 v97, v107
	v_pk_fma_f32 v[106:107], v[130:131], v[114:115], v[98:99] op_sel_hi:[1,0,1]
	v_pk_fma_f32 v[98:99], v[130:131], v[114:115], v[98:99] neg_lo:[0,0,1] neg_hi:[0,0,1]
	v_pk_add_f32 v[104:105], v[104:105], v[172:173]
	v_pk_fma_f32 v[110:111], v[132:133], v[116:117], v[100:101] op_sel_hi:[1,0,1]
	v_pk_mul_f32 v[102:103], v[164:165], v[102:103] op_sel_hi:[1,0]
	v_mov_b32_e32 v99, v107
	s_wait_loadcnt 0x2
	v_pk_mul_f32 v[108:109], v[136:137], v[120:121] op_sel:[1,1] op_sel_hi:[0,1]
	v_pk_add_f32 v[96:97], v[104:105], v[96:97]
	v_mov_b32_e32 v104, v123
	v_pk_fma_f32 v[100:101], v[132:133], v[116:117], v[100:101] neg_lo:[0,0,1] neg_hi:[0,0,1]
	v_mov_b32_e32 v101, v111
	v_pk_fma_f32 v[106:107], v[134:135], v[118:119], v[102:103] op_sel_hi:[1,0,1]
	v_pk_add_f32 v[96:97], v[96:97], v[98:99]
	v_pk_fma_f32 v[98:99], v[136:137], v[120:121], v[108:109] op_sel_hi:[1,0,1]
	v_pk_mul_f32 v[104:105], v[166:167], v[104:105] op_sel_hi:[1,0]
	v_pk_fma_f32 v[102:103], v[134:135], v[118:119], v[102:103] neg_lo:[0,0,1] neg_hi:[0,0,1]
	v_mov_b32_e32 v103, v107
	v_pk_add_f32 v[96:97], v[96:97], v[100:101]
	v_pk_fma_f32 v[106:107], v[136:137], v[120:121], v[108:109] neg_lo:[0,0,1] neg_hi:[0,0,1]
	v_mov_b32_e32 v107, v99
	v_pk_fma_f32 v[98:99], v[138:139], v[122:123], v[104:105] op_sel_hi:[1,0,1]
	s_wait_loadcnt 0x1
	v_pk_mul_f32 v[100:101], v[140:141], v[124:125] op_sel:[1,1] op_sel_hi:[0,1]
	v_pk_add_f32 v[96:97], v[96:97], v[102:103]
	v_mov_b32_e32 v98, v127
	v_pk_fma_f32 v[104:105], v[138:139], v[122:123], v[104:105] neg_lo:[0,0,1] neg_hi:[0,0,1]
	v_mov_b32_e32 v105, v99
	v_pk_fma_f32 v[102:103], v[140:141], v[124:125], v[100:101] op_sel_hi:[1,0,1]
	v_pk_add_f32 v[96:97], v[96:97], v[106:107]
	v_pk_mul_f32 v[98:99], v[168:169], v[98:99] op_sel_hi:[1,0]
	v_pk_fma_f32 v[100:101], v[140:141], v[124:125], v[100:101] neg_lo:[0,0,1] neg_hi:[0,0,1]
	s_delay_alu instid0(VALU_DEP_4) | instskip(NEXT) | instid1(VALU_DEP_4)
	v_mov_b32_e32 v101, v103
	v_pk_add_f32 v[96:97], v[96:97], v[104:105]
	s_delay_alu instid0(VALU_DEP_4) | instskip(SKIP_1) | instid1(VALU_DEP_2)
	v_pk_fma_f32 v[102:103], v[142:143], v[126:127], v[98:99] op_sel_hi:[1,0,1]
	v_pk_fma_f32 v[98:99], v[142:143], v[126:127], v[98:99] neg_lo:[0,0,1] neg_hi:[0,0,1]
	v_mov_b32_e32 v99, v103
	s_delay_alu instid0(VALU_DEP_4) | instskip(NEXT) | instid1(VALU_DEP_1)
	v_pk_add_f32 v[96:97], v[96:97], v[100:101]
	v_pk_add_f32 v[96:97], v[96:97], v[98:99]
	s_wait_loadcnt 0x0
	s_delay_alu instid0(VALU_DEP_1)
	v_pk_add_f32 v[96:97], v[160:161], v[96:97] neg_lo:[0,1] neg_hi:[0,1]
	scratch_store_b64 off, v[96:97], off offset:240
	s_wait_xcnt 0x0
	v_cmpx_lt_u32_e32 29, v0
	s_cbranch_execz .LBB46_237
; %bb.236:
	scratch_load_b64 v[96:97], off, off offset:232
	v_mov_b64_e32 v[98:99], 0
	scratch_store_b64 off, v[98:99], off offset:232
	s_wait_loadcnt 0x0
	ds_store_b64 v1, v[96:97]
.LBB46_237:
	s_wait_xcnt 0x0
	s_or_b32 exec_lo, exec_lo, s0
	s_wait_storecnt_dscnt 0x0
	s_barrier_signal -1
	s_barrier_wait -1
	s_clause 0x9
	scratch_load_b128 v[96:99], off, off offset:240
	scratch_load_b128 v[100:103], off, off offset:256
	;; [unrolled: 1-line block ×8, first 2 shown]
	scratch_load_b64 v[160:161], off, off offset:368
	scratch_load_b64 v[162:163], off, off offset:232
	v_mov_b32_e32 v5, 0
	ds_load_b128 v[128:131], v5 offset:688
	ds_load_b128 v[132:135], v5 offset:704
	;; [unrolled: 1-line block ×8, first 2 shown]
	ds_load_b64 v[164:165], v5 offset:752
	s_mov_b32 s0, exec_lo
	s_wait_dscnt 0x8
	v_dual_mov_b32 v166, v131 :: v_dual_mov_b32 v167, v130
	s_wait_dscnt 0x5
	v_dual_mov_b32 v168, v135 :: v_dual_mov_b32 v173, v142
	v_dual_mov_b32 v169, v134 :: v_dual_mov_b32 v170, v139
	;; [unrolled: 1-line block ×3, first 2 shown]
	s_wait_loadcnt_dscnt 0x904
	v_dual_mul_f32 v7, v144, v97 :: v_dual_mul_f32 v23, v145, v97
	v_dual_mul_f32 v25, v147, v99 :: v_dual_mul_f32 v11, v146, v99
	s_wait_loadcnt_dscnt 0x803
	v_mul_f32_e32 v13, v148, v101
	s_wait_loadcnt_dscnt 0x601
	v_dual_mul_f32 v35, v157, v109 :: v_dual_fma_f32 v23, v144, v96, -v23
	v_dual_fmac_f32 v7, v145, v96 :: v_dual_mul_f32 v37, v159, v111
	v_dual_mul_f32 v27, v149, v101 :: v_dual_mul_f32 v29, v151, v103
	v_dual_fmac_f32 v11, v147, v98 :: v_dual_fma_f32 v25, v146, v98, -v25
	s_wait_loadcnt 0x5
	s_delay_alu instid0(VALU_DEP_3) | instskip(SKIP_2) | instid1(VALU_DEP_3)
	v_dual_add_f32 v7, 0, v7 :: v_dual_mul_f32 v39, v129, v113
	v_dual_add_f32 v23, 0, v23 :: v_dual_fmac_f32 v13, v149, v100
	v_dual_mul_f32 v15, v150, v103 :: v_dual_mul_f32 v17, v152, v105
	v_dual_fma_f32 v27, v148, v100, -v27 :: v_dual_add_f32 v7, v7, v11
	s_delay_alu instid0(VALU_DEP_3) | instskip(SKIP_3) | instid1(VALU_DEP_3)
	v_dual_add_f32 v11, v23, v25 :: v_dual_fma_f32 v23, v150, v102, -v29
	v_dual_mul_f32 v19, v154, v107 :: v_dual_mul_f32 v21, v156, v109
	v_dual_mul_f32 v31, v153, v105 :: v_dual_mul_f32 v33, v155, v107
	v_dual_mov_b32 v96, v115 :: v_dual_fmac_f32 v17, v153, v104
	v_dual_fmac_f32 v15, v151, v102 :: v_dual_fmac_f32 v21, v157, v108
	s_delay_alu instid0(VALU_DEP_3) | instskip(SKIP_1) | instid1(VALU_DEP_4)
	v_dual_add_f32 v7, v7, v13 :: v_dual_fma_f32 v13, v152, v104, -v31
	v_add_f32_e32 v11, v11, v27
	v_pk_mul_f32 v[96:97], v[166:167], v[96:97] op_sel_hi:[1,0]
	v_dual_mul_f32 v175, v158, v111 :: v_dual_mul_f32 v177, v128, v113
	s_delay_alu instid0(VALU_DEP_4) | instskip(NEXT) | instid1(VALU_DEP_4)
	v_dual_add_f32 v7, v7, v15 :: v_dual_fma_f32 v15, v154, v106, -v33
	v_dual_add_f32 v11, v11, v23 :: v_dual_fma_f32 v174, v158, v110, -v37
	s_delay_alu instid0(VALU_DEP_3) | instskip(NEXT) | instid1(VALU_DEP_2)
	v_dual_fmac_f32 v19, v155, v106 :: v_dual_fmac_f32 v177, v129, v112
	v_dual_fma_f32 v176, v128, v112, -v39 :: v_dual_add_f32 v11, v11, v13
	s_delay_alu instid0(VALU_DEP_4)
	v_dual_fma_f32 v13, v156, v108, -v35 :: v_dual_add_f32 v7, v7, v17
	v_pk_fma_f32 v[108:109], v[130:131], v[114:115], v[96:97] op_sel_hi:[1,0,1]
	v_pk_fma_f32 v[96:97], v[130:131], v[114:115], v[96:97] neg_lo:[0,0,1] neg_hi:[0,0,1]
	v_fmac_f32_e32 v175, v159, v110
	s_wait_loadcnt 0x4
	v_pk_mul_f32 v[98:99], v[132:133], v[116:117] op_sel:[1,1] op_sel_hi:[0,1]
	v_dual_add_f32 v7, v7, v19 :: v_dual_mov_b32 v97, v109
	v_add_f32_e32 v11, v11, v15
	s_wait_loadcnt 0x3
	v_dual_mov_b32 v100, v119 :: v_dual_mov_b32 v106, v123
	s_delay_alu instid0(VALU_DEP_3) | instskip(SKIP_2) | instid1(VALU_DEP_4)
	v_add_f32_e32 v105, v7, v21
	v_pk_fma_f32 v[110:111], v[132:133], v[116:117], v[98:99] op_sel_hi:[1,0,1]
	v_add_f32_e32 v104, v11, v13
	v_pk_mul_f32 v[100:101], v[168:169], v[100:101] op_sel_hi:[1,0]
	v_pk_fma_f32 v[98:99], v[132:133], v[116:117], v[98:99] neg_lo:[0,0,1] neg_hi:[0,0,1]
	v_pk_mul_f32 v[102:103], v[136:137], v[120:121] op_sel:[1,1] op_sel_hi:[0,1]
	v_mov_b32_e32 v99, v111
	v_pk_add_f32 v[104:105], v[104:105], v[174:175]
	v_pk_fma_f32 v[110:111], v[134:135], v[118:119], v[100:101] op_sel_hi:[1,0,1]
	v_pk_fma_f32 v[100:101], v[134:135], v[118:119], v[100:101] neg_lo:[0,0,1] neg_hi:[0,0,1]
	v_pk_mul_f32 v[106:107], v[170:171], v[106:107] op_sel_hi:[1,0]
	s_wait_loadcnt 0x2
	v_pk_mul_f32 v[108:109], v[140:141], v[124:125] op_sel:[1,1] op_sel_hi:[0,1]
	v_pk_add_f32 v[104:105], v[104:105], v[176:177]
	v_mov_b32_e32 v101, v111
	s_delay_alu instid0(VALU_DEP_2) | instskip(SKIP_2) | instid1(VALU_DEP_3)
	v_pk_add_f32 v[96:97], v[104:105], v[96:97]
	v_pk_fma_f32 v[104:105], v[136:137], v[120:121], v[102:103] op_sel_hi:[1,0,1]
	v_pk_fma_f32 v[102:103], v[136:137], v[120:121], v[102:103] neg_lo:[0,0,1] neg_hi:[0,0,1]
	v_pk_add_f32 v[96:97], v[96:97], v[98:99]
	s_delay_alu instid0(VALU_DEP_3) | instskip(SKIP_2) | instid1(VALU_DEP_4)
	v_dual_mov_b32 v98, v127 :: v_dual_mov_b32 v103, v105
	v_pk_fma_f32 v[104:105], v[138:139], v[122:123], v[106:107] op_sel_hi:[1,0,1]
	v_pk_fma_f32 v[106:107], v[138:139], v[122:123], v[106:107] neg_lo:[0,0,1] neg_hi:[0,0,1]
	v_pk_add_f32 v[96:97], v[96:97], v[100:101]
	v_pk_fma_f32 v[100:101], v[140:141], v[124:125], v[108:109] op_sel_hi:[1,0,1]
	v_pk_mul_f32 v[98:99], v[172:173], v[98:99] op_sel_hi:[1,0]
	v_mov_b32_e32 v107, v105
	s_wait_loadcnt_dscnt 0x100
	v_pk_mul_f32 v[104:105], v[164:165], v[160:161] op_sel:[1,1] op_sel_hi:[0,1]
	v_pk_add_f32 v[96:97], v[96:97], v[102:103]
	v_pk_fma_f32 v[102:103], v[140:141], v[124:125], v[108:109] neg_lo:[0,0,1] neg_hi:[0,0,1]
	v_mov_b32_e32 v103, v101
	v_pk_fma_f32 v[100:101], v[142:143], v[126:127], v[98:99] op_sel_hi:[1,0,1]
	v_pk_fma_f32 v[98:99], v[142:143], v[126:127], v[98:99] neg_lo:[0,0,1] neg_hi:[0,0,1]
	v_pk_add_f32 v[96:97], v[96:97], v[106:107]
	s_delay_alu instid0(VALU_DEP_3) | instskip(SKIP_1) | instid1(VALU_DEP_3)
	v_mov_b32_e32 v99, v101
	v_pk_fma_f32 v[100:101], v[164:165], v[160:161], v[104:105] op_sel_hi:[1,0,1]
	v_pk_add_f32 v[96:97], v[96:97], v[102:103]
	v_pk_fma_f32 v[102:103], v[164:165], v[160:161], v[104:105] neg_lo:[0,0,1] neg_hi:[0,0,1]
	s_delay_alu instid0(VALU_DEP_3) | instskip(NEXT) | instid1(VALU_DEP_3)
	v_mov_b32_e32 v103, v101
	v_pk_add_f32 v[96:97], v[96:97], v[98:99]
	s_delay_alu instid0(VALU_DEP_1) | instskip(SKIP_1) | instid1(VALU_DEP_1)
	v_pk_add_f32 v[96:97], v[96:97], v[102:103]
	s_wait_loadcnt 0x0
	v_pk_add_f32 v[96:97], v[162:163], v[96:97] neg_lo:[0,1] neg_hi:[0,1]
	scratch_store_b64 off, v[96:97], off offset:232
	s_wait_xcnt 0x0
	v_cmpx_lt_u32_e32 28, v0
	s_cbranch_execz .LBB46_239
; %bb.238:
	scratch_load_b64 v[96:97], off, off offset:224
	v_mov_b64_e32 v[98:99], 0
	scratch_store_b64 off, v[98:99], off offset:224
	s_wait_loadcnt 0x0
	ds_store_b64 v1, v[96:97]
.LBB46_239:
	s_wait_xcnt 0x0
	s_or_b32 exec_lo, exec_lo, s0
	s_wait_storecnt_dscnt 0x0
	s_barrier_signal -1
	s_barrier_wait -1
	s_clause 0x9
	scratch_load_b128 v[96:99], off, off offset:232
	scratch_load_b128 v[100:103], off, off offset:248
	;; [unrolled: 1-line block ×9, first 2 shown]
	scratch_load_b64 v[168:169], off, off offset:224
	ds_load_2addr_b64 v[132:135], v5 offset0:87 offset1:88
	ds_load_2addr_b64 v[136:139], v5 offset0:89 offset1:90
	;; [unrolled: 1-line block ×9, first 2 shown]
	s_mov_b32 s0, exec_lo
	s_wait_dscnt 0x8
	v_dual_mov_b32 v170, v135 :: v_dual_mov_b32 v171, v134
	s_wait_dscnt 0x7
	v_dual_mov_b32 v172, v139 :: v_dual_mov_b32 v173, v138
	;; [unrolled: 2-line block ×4, first 2 shown]
	s_wait_loadcnt_dscnt 0x904
	v_dual_mul_f32 v5, v148, v97 :: v_dual_mul_f32 v7, v150, v99
	v_dual_mul_f32 v23, v149, v97 :: v_dual_mul_f32 v25, v151, v99
	s_wait_loadcnt_dscnt 0x803
	v_dual_mul_f32 v11, v152, v101 :: v_dual_mul_f32 v13, v154, v103
	s_delay_alu instid0(VALU_DEP_2) | instskip(SKIP_3) | instid1(VALU_DEP_3)
	v_dual_fmac_f32 v5, v149, v96 :: v_dual_fma_f32 v23, v148, v96, -v23
	v_dual_mul_f32 v27, v153, v101 :: v_dual_mul_f32 v29, v155, v103
	s_wait_loadcnt_dscnt 0x601
	v_dual_mul_f32 v35, v161, v109 :: v_dual_fmac_f32 v7, v151, v98
	v_dual_fma_f32 v25, v150, v98, -v25 :: v_dual_add_f32 v5, 0, v5
	v_dual_add_f32 v23, 0, v23 :: v_dual_fmac_f32 v11, v153, v100
	v_dual_mul_f32 v37, v163, v111 :: v_dual_fma_f32 v27, v152, v100, -v27
	s_delay_alu instid0(VALU_DEP_2)
	v_dual_add_f32 v5, v5, v7 :: v_dual_add_f32 v7, v23, v25
	v_dual_mul_f32 v15, v156, v105 :: v_dual_mul_f32 v17, v158, v107
	v_dual_mul_f32 v31, v157, v105 :: v_dual_mul_f32 v33, v159, v107
	s_wait_loadcnt_dscnt 0x500
	v_dual_mul_f32 v23, v165, v113 :: v_dual_fmac_f32 v13, v155, v102
	v_dual_fma_f32 v25, v154, v102, -v29 :: v_dual_add_f32 v5, v5, v11
	v_dual_add_f32 v7, v7, v27 :: v_dual_fmac_f32 v15, v157, v104
	v_dual_mul_f32 v11, v167, v115 :: v_dual_fma_f32 v27, v156, v104, -v31
	s_delay_alu instid0(VALU_DEP_3) | instskip(NEXT) | instid1(VALU_DEP_3)
	v_dual_add_f32 v5, v5, v13 :: v_dual_fmac_f32 v17, v159, v106
	v_dual_add_f32 v7, v7, v25 :: v_dual_fma_f32 v13, v158, v106, -v33
	v_dual_mul_f32 v19, v160, v109 :: v_dual_mul_f32 v21, v162, v111
	s_wait_loadcnt 0x4
	s_delay_alu instid0(VALU_DEP_3) | instskip(NEXT) | instid1(VALU_DEP_2)
	v_dual_add_f32 v5, v5, v15 :: v_dual_mov_b32 v98, v119
	v_dual_add_f32 v7, v7, v27 :: v_dual_fmac_f32 v19, v161, v108
	s_delay_alu instid0(VALU_DEP_2) | instskip(SKIP_1) | instid1(VALU_DEP_3)
	v_dual_fma_f32 v15, v160, v108, -v35 :: v_dual_add_f32 v5, v5, v17
	v_dual_mul_f32 v179, v164, v113 :: v_dual_mul_f32 v181, v166, v115
	v_dual_add_f32 v7, v7, v13 :: v_dual_fma_f32 v13, v162, v110, -v37
	s_delay_alu instid0(VALU_DEP_3) | instskip(SKIP_1) | instid1(VALU_DEP_3)
	v_dual_fmac_f32 v21, v163, v110 :: v_dual_add_f32 v5, v5, v19
	v_pk_mul_f32 v[96:97], v[132:133], v[116:117] op_sel:[1,1] op_sel_hi:[0,1]
	v_dual_add_f32 v7, v7, v15 :: v_dual_fmac_f32 v179, v165, v112
	s_wait_loadcnt 0x3
	v_dual_mov_b32 v102, v123 :: v_dual_fma_f32 v178, v164, v112, -v23
	v_dual_add_f32 v105, v5, v21 :: v_dual_fmac_f32 v181, v167, v114
	s_delay_alu instid0(VALU_DEP_3) | instskip(SKIP_3) | instid1(VALU_DEP_4)
	v_dual_add_f32 v104, v7, v13 :: v_dual_fma_f32 v180, v166, v114, -v11
	v_pk_fma_f32 v[106:107], v[132:133], v[116:117], v[96:97] op_sel_hi:[1,0,1]
	v_pk_mul_f32 v[98:99], v[170:171], v[98:99] op_sel_hi:[1,0]
	v_pk_fma_f32 v[96:97], v[132:133], v[116:117], v[96:97] neg_lo:[0,0,1] neg_hi:[0,0,1]
	v_pk_add_f32 v[104:105], v[104:105], v[178:179]
	v_pk_mul_f32 v[100:101], v[136:137], v[120:121] op_sel:[1,1] op_sel_hi:[0,1]
	v_mov_b32_e32 v97, v107
	v_pk_fma_f32 v[106:107], v[134:135], v[118:119], v[98:99] op_sel_hi:[1,0,1]
	v_pk_fma_f32 v[98:99], v[134:135], v[118:119], v[98:99] neg_lo:[0,0,1] neg_hi:[0,0,1]
	v_pk_add_f32 v[104:105], v[104:105], v[180:181]
	v_pk_fma_f32 v[110:111], v[136:137], v[120:121], v[100:101] op_sel_hi:[1,0,1]
	v_pk_mul_f32 v[102:103], v[172:173], v[102:103] op_sel_hi:[1,0]
	v_mov_b32_e32 v99, v107
	s_wait_loadcnt 0x2
	v_pk_mul_f32 v[108:109], v[140:141], v[124:125] op_sel:[1,1] op_sel_hi:[0,1]
	v_pk_add_f32 v[96:97], v[104:105], v[96:97]
	v_mov_b32_e32 v104, v127
	v_pk_fma_f32 v[100:101], v[136:137], v[120:121], v[100:101] neg_lo:[0,0,1] neg_hi:[0,0,1]
	v_mov_b32_e32 v101, v111
	v_pk_fma_f32 v[106:107], v[138:139], v[122:123], v[102:103] op_sel_hi:[1,0,1]
	v_pk_add_f32 v[96:97], v[96:97], v[98:99]
	v_pk_fma_f32 v[98:99], v[140:141], v[124:125], v[108:109] op_sel_hi:[1,0,1]
	v_pk_mul_f32 v[104:105], v[174:175], v[104:105] op_sel_hi:[1,0]
	v_pk_fma_f32 v[102:103], v[138:139], v[122:123], v[102:103] neg_lo:[0,0,1] neg_hi:[0,0,1]
	v_mov_b32_e32 v103, v107
	v_pk_add_f32 v[96:97], v[96:97], v[100:101]
	v_pk_fma_f32 v[106:107], v[140:141], v[124:125], v[108:109] neg_lo:[0,0,1] neg_hi:[0,0,1]
	v_mov_b32_e32 v107, v99
	v_pk_fma_f32 v[98:99], v[142:143], v[126:127], v[104:105] op_sel_hi:[1,0,1]
	s_wait_loadcnt 0x1
	v_pk_mul_f32 v[100:101], v[144:145], v[128:129] op_sel:[1,1] op_sel_hi:[0,1]
	v_pk_add_f32 v[96:97], v[96:97], v[102:103]
	v_mov_b32_e32 v98, v131
	v_pk_fma_f32 v[104:105], v[142:143], v[126:127], v[104:105] neg_lo:[0,0,1] neg_hi:[0,0,1]
	v_mov_b32_e32 v105, v99
	v_pk_fma_f32 v[102:103], v[144:145], v[128:129], v[100:101] op_sel_hi:[1,0,1]
	v_pk_add_f32 v[96:97], v[96:97], v[106:107]
	v_pk_mul_f32 v[98:99], v[176:177], v[98:99] op_sel_hi:[1,0]
	v_pk_fma_f32 v[100:101], v[144:145], v[128:129], v[100:101] neg_lo:[0,0,1] neg_hi:[0,0,1]
	s_delay_alu instid0(VALU_DEP_4) | instskip(NEXT) | instid1(VALU_DEP_4)
	v_mov_b32_e32 v101, v103
	v_pk_add_f32 v[96:97], v[96:97], v[104:105]
	s_delay_alu instid0(VALU_DEP_4) | instskip(SKIP_1) | instid1(VALU_DEP_2)
	v_pk_fma_f32 v[102:103], v[146:147], v[130:131], v[98:99] op_sel_hi:[1,0,1]
	v_pk_fma_f32 v[98:99], v[146:147], v[130:131], v[98:99] neg_lo:[0,0,1] neg_hi:[0,0,1]
	v_mov_b32_e32 v99, v103
	s_delay_alu instid0(VALU_DEP_4) | instskip(NEXT) | instid1(VALU_DEP_1)
	v_pk_add_f32 v[96:97], v[96:97], v[100:101]
	v_pk_add_f32 v[96:97], v[96:97], v[98:99]
	s_wait_loadcnt 0x0
	s_delay_alu instid0(VALU_DEP_1)
	v_pk_add_f32 v[96:97], v[168:169], v[96:97] neg_lo:[0,1] neg_hi:[0,1]
	scratch_store_b64 off, v[96:97], off offset:224
	s_wait_xcnt 0x0
	v_cmpx_lt_u32_e32 27, v0
	s_cbranch_execz .LBB46_241
; %bb.240:
	scratch_load_b64 v[96:97], off, off offset:216
	v_mov_b64_e32 v[98:99], 0
	scratch_store_b64 off, v[98:99], off offset:216
	s_wait_loadcnt 0x0
	ds_store_b64 v1, v[96:97]
.LBB46_241:
	s_wait_xcnt 0x0
	s_or_b32 exec_lo, exec_lo, s0
	s_wait_storecnt_dscnt 0x0
	s_barrier_signal -1
	s_barrier_wait -1
	s_clause 0xa
	scratch_load_b128 v[96:99], off, off offset:224
	scratch_load_b128 v[100:103], off, off offset:240
	;; [unrolled: 1-line block ×9, first 2 shown]
	scratch_load_b64 v[168:169], off, off offset:368
	scratch_load_b64 v[170:171], off, off offset:216
	v_mov_b32_e32 v5, 0
	ds_load_b128 v[132:135], v5 offset:688
	ds_load_b128 v[136:139], v5 offset:704
	;; [unrolled: 1-line block ×9, first 2 shown]
	ds_load_b64 v[172:173], v5 offset:752
	s_mov_b32 s0, exec_lo
	s_wait_dscnt 0x9
	v_dual_mov_b32 v174, v135 :: v_dual_mov_b32 v175, v134
	s_wait_dscnt 0x6
	v_dual_mov_b32 v176, v139 :: v_dual_mov_b32 v181, v146
	v_dual_mov_b32 v177, v138 :: v_dual_mov_b32 v178, v143
	;; [unrolled: 1-line block ×3, first 2 shown]
	s_wait_loadcnt_dscnt 0xa05
	v_dual_mul_f32 v7, v148, v97 :: v_dual_mul_f32 v27, v149, v97
	v_dual_mul_f32 v29, v151, v99 :: v_dual_mul_f32 v11, v150, v99
	s_wait_loadcnt_dscnt 0x904
	v_mul_f32_e32 v13, v152, v101
	s_wait_loadcnt_dscnt 0x702
	v_dual_mul_f32 v39, v161, v109 :: v_dual_fma_f32 v27, v148, v96, -v27
	v_dual_fmac_f32 v7, v149, v96 :: v_dual_mul_f32 v41, v163, v111
	v_dual_mul_f32 v31, v153, v101 :: v_dual_mul_f32 v33, v155, v103
	v_dual_fmac_f32 v11, v151, v98 :: v_dual_fma_f32 v29, v150, v98, -v29
	s_wait_loadcnt_dscnt 0x601
	s_delay_alu instid0(VALU_DEP_3) | instskip(SKIP_2) | instid1(VALU_DEP_3)
	v_dual_add_f32 v7, 0, v7 :: v_dual_mul_f32 v43, v165, v113
	v_dual_add_f32 v27, 0, v27 :: v_dual_fmac_f32 v13, v153, v100
	v_dual_mul_f32 v15, v154, v103 :: v_dual_mul_f32 v17, v156, v105
	v_dual_fma_f32 v31, v152, v100, -v31 :: v_dual_add_f32 v7, v7, v11
	s_delay_alu instid0(VALU_DEP_3) | instskip(SKIP_1) | instid1(VALU_DEP_4)
	v_dual_add_f32 v11, v27, v29 :: v_dual_fma_f32 v29, v154, v102, -v33
	v_dual_mul_f32 v35, v157, v105 :: v_dual_mul_f32 v37, v159, v107
	v_dual_fmac_f32 v15, v155, v102 :: v_dual_fmac_f32 v17, v157, v104
	s_delay_alu instid0(VALU_DEP_4) | instskip(NEXT) | instid1(VALU_DEP_4)
	v_add_f32_e32 v7, v7, v13
	v_add_f32_e32 v11, v11, v31
	v_dual_mul_f32 v19, v158, v107 :: v_dual_mul_f32 v21, v160, v109
	s_delay_alu instid0(VALU_DEP_3) | instskip(NEXT) | instid1(VALU_DEP_3)
	v_dual_fma_f32 v31, v156, v104, -v35 :: v_dual_add_f32 v7, v7, v15
	v_dual_fma_f32 v15, v158, v106, -v37 :: v_dual_add_f32 v11, v11, v29
	v_dual_mul_f32 v23, v162, v111 :: v_dual_mul_f32 v25, v164, v113
	s_wait_loadcnt 0x4
	v_dual_mov_b32 v96, v119 :: v_dual_mov_b32 v100, v123
	v_dual_fmac_f32 v19, v159, v106 :: v_dual_fmac_f32 v21, v161, v108
	v_dual_add_f32 v7, v7, v17 :: v_dual_fma_f32 v17, v160, v108, -v39
	v_add_f32_e32 v11, v11, v31
	v_dual_mul_f32 v183, v166, v115 :: v_dual_mul_f32 v185, v132, v117
	v_dual_mul_f32 v27, v167, v115 :: v_dual_mul_f32 v13, v133, v117
	s_delay_alu instid0(VALU_DEP_3) | instskip(SKIP_1) | instid1(VALU_DEP_3)
	v_dual_add_f32 v11, v11, v15 :: v_dual_fma_f32 v15, v162, v110, -v41
	v_dual_fmac_f32 v25, v165, v112 :: v_dual_add_f32 v7, v7, v19
	v_fma_f32 v182, v166, v114, -v27
	v_pk_mul_f32 v[96:97], v[174:175], v[96:97] op_sel_hi:[1,0]
	v_dual_fmac_f32 v23, v163, v110 :: v_dual_fma_f32 v184, v132, v116, -v13
	v_dual_fmac_f32 v185, v133, v116 :: v_dual_add_f32 v11, v11, v17
	s_delay_alu instid0(VALU_DEP_3) | instskip(SKIP_2) | instid1(VALU_DEP_4)
	v_pk_fma_f32 v[108:109], v[134:135], v[118:119], v[96:97] op_sel_hi:[1,0,1]
	v_add_f32_e32 v7, v7, v21
	v_pk_fma_f32 v[96:97], v[134:135], v[118:119], v[96:97] neg_lo:[0,0,1] neg_hi:[0,0,1]
	v_dual_fma_f32 v17, v164, v112, -v43 :: v_dual_add_f32 v11, v11, v15
	s_delay_alu instid0(VALU_DEP_3) | instskip(SKIP_2) | instid1(VALU_DEP_4)
	v_dual_mov_b32 v97, v109 :: v_dual_add_f32 v7, v7, v23
	v_fmac_f32_e32 v183, v167, v114
	v_pk_mul_f32 v[98:99], v[136:137], v[120:121] op_sel:[1,1] op_sel_hi:[0,1]
	v_add_f32_e32 v104, v11, v17
	v_pk_mul_f32 v[100:101], v[176:177], v[100:101] op_sel_hi:[1,0]
	v_add_f32_e32 v105, v7, v25
	s_wait_loadcnt 0x3
	v_pk_mul_f32 v[102:103], v[140:141], v[124:125] op_sel:[1,1] op_sel_hi:[0,1]
	v_pk_fma_f32 v[110:111], v[136:137], v[120:121], v[98:99] op_sel_hi:[1,0,1]
	v_pk_fma_f32 v[98:99], v[136:137], v[120:121], v[98:99] neg_lo:[0,0,1] neg_hi:[0,0,1]
	v_mov_b32_e32 v106, v127
	v_pk_add_f32 v[104:105], v[104:105], v[182:183]
	s_wait_loadcnt 0x2
	v_pk_mul_f32 v[108:109], v[144:145], v[128:129] op_sel:[1,1] op_sel_hi:[0,1]
	v_mov_b32_e32 v99, v111
	v_pk_fma_f32 v[110:111], v[138:139], v[122:123], v[100:101] op_sel_hi:[1,0,1]
	v_pk_fma_f32 v[100:101], v[138:139], v[122:123], v[100:101] neg_lo:[0,0,1] neg_hi:[0,0,1]
	v_pk_add_f32 v[104:105], v[104:105], v[184:185]
	v_pk_mul_f32 v[106:107], v[178:179], v[106:107] op_sel_hi:[1,0]
	s_delay_alu instid0(VALU_DEP_4) | instskip(NEXT) | instid1(VALU_DEP_3)
	v_mov_b32_e32 v101, v111
	v_pk_add_f32 v[96:97], v[104:105], v[96:97]
	v_pk_fma_f32 v[104:105], v[140:141], v[124:125], v[102:103] op_sel_hi:[1,0,1]
	v_pk_fma_f32 v[102:103], v[140:141], v[124:125], v[102:103] neg_lo:[0,0,1] neg_hi:[0,0,1]
	s_delay_alu instid0(VALU_DEP_3) | instskip(NEXT) | instid1(VALU_DEP_3)
	v_pk_add_f32 v[96:97], v[96:97], v[98:99]
	v_dual_mov_b32 v98, v131 :: v_dual_mov_b32 v103, v105
	v_pk_fma_f32 v[104:105], v[142:143], v[126:127], v[106:107] op_sel_hi:[1,0,1]
	v_pk_fma_f32 v[106:107], v[142:143], v[126:127], v[106:107] neg_lo:[0,0,1] neg_hi:[0,0,1]
	s_delay_alu instid0(VALU_DEP_4)
	v_pk_add_f32 v[96:97], v[96:97], v[100:101]
	v_pk_fma_f32 v[100:101], v[144:145], v[128:129], v[108:109] op_sel_hi:[1,0,1]
	v_pk_mul_f32 v[98:99], v[180:181], v[98:99] op_sel_hi:[1,0]
	v_mov_b32_e32 v107, v105
	s_wait_loadcnt_dscnt 0x100
	v_pk_mul_f32 v[104:105], v[172:173], v[168:169] op_sel:[1,1] op_sel_hi:[0,1]
	v_pk_add_f32 v[96:97], v[96:97], v[102:103]
	v_pk_fma_f32 v[102:103], v[144:145], v[128:129], v[108:109] neg_lo:[0,0,1] neg_hi:[0,0,1]
	v_mov_b32_e32 v103, v101
	v_pk_fma_f32 v[100:101], v[146:147], v[130:131], v[98:99] op_sel_hi:[1,0,1]
	v_pk_fma_f32 v[98:99], v[146:147], v[130:131], v[98:99] neg_lo:[0,0,1] neg_hi:[0,0,1]
	v_pk_add_f32 v[96:97], v[96:97], v[106:107]
	s_delay_alu instid0(VALU_DEP_3) | instskip(SKIP_1) | instid1(VALU_DEP_3)
	v_mov_b32_e32 v99, v101
	v_pk_fma_f32 v[100:101], v[172:173], v[168:169], v[104:105] op_sel_hi:[1,0,1]
	v_pk_add_f32 v[96:97], v[96:97], v[102:103]
	v_pk_fma_f32 v[102:103], v[172:173], v[168:169], v[104:105] neg_lo:[0,0,1] neg_hi:[0,0,1]
	s_delay_alu instid0(VALU_DEP_3) | instskip(NEXT) | instid1(VALU_DEP_3)
	v_mov_b32_e32 v103, v101
	v_pk_add_f32 v[96:97], v[96:97], v[98:99]
	s_delay_alu instid0(VALU_DEP_1) | instskip(SKIP_1) | instid1(VALU_DEP_1)
	v_pk_add_f32 v[96:97], v[96:97], v[102:103]
	s_wait_loadcnt 0x0
	v_pk_add_f32 v[96:97], v[170:171], v[96:97] neg_lo:[0,1] neg_hi:[0,1]
	scratch_store_b64 off, v[96:97], off offset:216
	s_wait_xcnt 0x0
	v_cmpx_lt_u32_e32 26, v0
	s_cbranch_execz .LBB46_243
; %bb.242:
	scratch_load_b64 v[96:97], off, off offset:208
	v_mov_b64_e32 v[98:99], 0
	scratch_store_b64 off, v[98:99], off offset:208
	s_wait_loadcnt 0x0
	ds_store_b64 v1, v[96:97]
.LBB46_243:
	s_wait_xcnt 0x0
	s_or_b32 exec_lo, exec_lo, s0
	s_wait_storecnt_dscnt 0x0
	s_barrier_signal -1
	s_barrier_wait -1
	s_clause 0xa
	scratch_load_b128 v[96:99], off, off offset:216
	scratch_load_b128 v[100:103], off, off offset:232
	scratch_load_b128 v[104:107], off, off offset:248
	scratch_load_b128 v[108:111], off, off offset:264
	scratch_load_b128 v[112:115], off, off offset:280
	scratch_load_b128 v[116:119], off, off offset:296
	scratch_load_b128 v[120:123], off, off offset:312
	scratch_load_b128 v[124:127], off, off offset:328
	scratch_load_b128 v[128:131], off, off offset:344
	scratch_load_b128 v[132:135], off, off offset:360
	scratch_load_b64 v[176:177], off, off offset:208
	ds_load_2addr_b64 v[136:139], v5 offset0:87 offset1:88
	ds_load_2addr_b64 v[140:143], v5 offset0:89 offset1:90
	;; [unrolled: 1-line block ×10, first 2 shown]
	s_mov_b32 s0, exec_lo
	s_wait_dscnt 0x9
	v_dual_mov_b32 v178, v139 :: v_dual_mov_b32 v179, v138
	s_wait_dscnt 0x8
	v_dual_mov_b32 v180, v143 :: v_dual_mov_b32 v181, v142
	;; [unrolled: 2-line block ×4, first 2 shown]
	s_wait_loadcnt_dscnt 0xa05
	v_dual_mul_f32 v5, v152, v97 :: v_dual_mul_f32 v7, v154, v99
	v_dual_mul_f32 v27, v153, v97 :: v_dual_mul_f32 v29, v155, v99
	s_wait_loadcnt_dscnt 0x904
	v_dual_mul_f32 v11, v156, v101 :: v_dual_mul_f32 v13, v158, v103
	s_delay_alu instid0(VALU_DEP_2) | instskip(SKIP_3) | instid1(VALU_DEP_3)
	v_dual_fmac_f32 v5, v153, v96 :: v_dual_fma_f32 v27, v152, v96, -v27
	v_dual_mul_f32 v31, v157, v101 :: v_dual_mul_f32 v33, v159, v103
	s_wait_loadcnt_dscnt 0x702
	v_dual_mul_f32 v39, v165, v109 :: v_dual_fmac_f32 v7, v155, v98
	v_dual_fma_f32 v29, v154, v98, -v29 :: v_dual_add_f32 v5, 0, v5
	v_dual_add_f32 v27, 0, v27 :: v_dual_fmac_f32 v11, v157, v100
	v_dual_mul_f32 v41, v167, v111 :: v_dual_fma_f32 v31, v156, v100, -v31
	s_delay_alu instid0(VALU_DEP_2)
	v_dual_add_f32 v5, v5, v7 :: v_dual_add_f32 v7, v27, v29
	v_dual_mul_f32 v15, v160, v105 :: v_dual_mul_f32 v17, v162, v107
	v_dual_mul_f32 v35, v161, v105 :: v_dual_mul_f32 v37, v163, v107
	s_wait_loadcnt_dscnt 0x601
	v_dual_mul_f32 v27, v169, v113 :: v_dual_fmac_f32 v13, v159, v102
	v_dual_fma_f32 v29, v158, v102, -v33 :: v_dual_add_f32 v5, v5, v11
	v_dual_add_f32 v7, v7, v31 :: v_dual_fmac_f32 v15, v161, v104
	v_dual_mul_f32 v11, v171, v115 :: v_dual_fma_f32 v31, v160, v104, -v35
	s_delay_alu instid0(VALU_DEP_3) | instskip(NEXT) | instid1(VALU_DEP_3)
	v_dual_add_f32 v5, v5, v13 :: v_dual_fmac_f32 v17, v163, v106
	v_dual_add_f32 v7, v7, v29 :: v_dual_fma_f32 v29, v162, v106, -v37
	v_dual_mul_f32 v19, v164, v109 :: v_dual_mul_f32 v21, v166, v111
	s_wait_loadcnt_dscnt 0x500
	s_delay_alu instid0(VALU_DEP_2) | instskip(SKIP_1) | instid1(VALU_DEP_3)
	v_dual_mul_f32 v13, v173, v117 :: v_dual_add_f32 v7, v7, v31
	v_dual_add_f32 v5, v5, v15 :: v_dual_fma_f32 v31, v164, v108, -v39
	v_dual_mul_f32 v15, v175, v119 :: v_dual_fmac_f32 v19, v165, v108
	s_delay_alu instid0(VALU_DEP_3) | instskip(NEXT) | instid1(VALU_DEP_3)
	v_add_f32_e32 v7, v7, v29
	v_dual_add_f32 v5, v5, v17 :: v_dual_fmac_f32 v21, v167, v110
	v_dual_mul_f32 v23, v168, v113 :: v_dual_mul_f32 v25, v170, v115
	s_delay_alu instid0(VALU_DEP_2) | instskip(SKIP_2) | instid1(VALU_DEP_3)
	v_dual_fma_f32 v17, v166, v110, -v41 :: v_dual_add_f32 v5, v5, v19
	s_wait_loadcnt 0x4
	v_mov_b32_e32 v98, v123
	v_dual_add_f32 v7, v7, v31 :: v_dual_fmac_f32 v23, v169, v112
	s_delay_alu instid0(VALU_DEP_3) | instskip(SKIP_1) | instid1(VALU_DEP_3)
	v_dual_fma_f32 v19, v168, v112, -v27 :: v_dual_add_f32 v5, v5, v21
	v_dual_mul_f32 v187, v172, v117 :: v_dual_mul_f32 v189, v174, v119
	v_dual_add_f32 v7, v7, v17 :: v_dual_fma_f32 v11, v170, v114, -v11
	s_delay_alu instid0(VALU_DEP_3) | instskip(SKIP_1) | instid1(VALU_DEP_3)
	v_dual_fmac_f32 v25, v171, v114 :: v_dual_add_f32 v5, v5, v23
	v_pk_mul_f32 v[96:97], v[136:137], v[120:121] op_sel:[1,1] op_sel_hi:[0,1]
	v_dual_add_f32 v7, v7, v19 :: v_dual_fmac_f32 v187, v173, v116
	s_wait_loadcnt 0x3
	v_dual_mov_b32 v102, v127 :: v_dual_fma_f32 v186, v172, v116, -v13
	s_delay_alu instid0(VALU_DEP_2) | instskip(SKIP_3) | instid1(VALU_DEP_4)
	v_dual_add_f32 v105, v5, v25 :: v_dual_add_f32 v104, v7, v11
	v_dual_fmac_f32 v189, v175, v118 :: v_dual_fma_f32 v188, v174, v118, -v15
	v_pk_fma_f32 v[106:107], v[136:137], v[120:121], v[96:97] op_sel_hi:[1,0,1]
	v_pk_mul_f32 v[98:99], v[178:179], v[98:99] op_sel_hi:[1,0]
	v_pk_add_f32 v[104:105], v[104:105], v[186:187]
	v_pk_fma_f32 v[96:97], v[136:137], v[120:121], v[96:97] neg_lo:[0,0,1] neg_hi:[0,0,1]
	v_pk_mul_f32 v[100:101], v[140:141], v[124:125] op_sel:[1,1] op_sel_hi:[0,1]
	v_mov_b32_e32 v97, v107
	v_pk_fma_f32 v[106:107], v[138:139], v[122:123], v[98:99] op_sel_hi:[1,0,1]
	v_pk_add_f32 v[104:105], v[104:105], v[188:189]
	v_pk_fma_f32 v[98:99], v[138:139], v[122:123], v[98:99] neg_lo:[0,0,1] neg_hi:[0,0,1]
	v_pk_fma_f32 v[110:111], v[140:141], v[124:125], v[100:101] op_sel_hi:[1,0,1]
	v_pk_mul_f32 v[102:103], v[180:181], v[102:103] op_sel_hi:[1,0]
	v_mov_b32_e32 v99, v107
	v_pk_add_f32 v[96:97], v[104:105], v[96:97]
	s_wait_loadcnt 0x2
	v_pk_mul_f32 v[108:109], v[144:145], v[128:129] op_sel:[1,1] op_sel_hi:[0,1]
	v_mov_b32_e32 v104, v131
	v_pk_fma_f32 v[100:101], v[140:141], v[124:125], v[100:101] neg_lo:[0,0,1] neg_hi:[0,0,1]
	v_mov_b32_e32 v101, v111
	v_pk_fma_f32 v[106:107], v[142:143], v[126:127], v[102:103] op_sel_hi:[1,0,1]
	v_pk_add_f32 v[96:97], v[96:97], v[98:99]
	v_pk_fma_f32 v[98:99], v[144:145], v[128:129], v[108:109] op_sel_hi:[1,0,1]
	v_pk_mul_f32 v[104:105], v[182:183], v[104:105] op_sel_hi:[1,0]
	v_pk_fma_f32 v[102:103], v[142:143], v[126:127], v[102:103] neg_lo:[0,0,1] neg_hi:[0,0,1]
	v_mov_b32_e32 v103, v107
	v_pk_add_f32 v[96:97], v[96:97], v[100:101]
	v_pk_fma_f32 v[106:107], v[144:145], v[128:129], v[108:109] neg_lo:[0,0,1] neg_hi:[0,0,1]
	v_mov_b32_e32 v107, v99
	v_pk_fma_f32 v[98:99], v[146:147], v[130:131], v[104:105] op_sel_hi:[1,0,1]
	s_wait_loadcnt 0x1
	v_pk_mul_f32 v[100:101], v[148:149], v[132:133] op_sel:[1,1] op_sel_hi:[0,1]
	v_pk_add_f32 v[96:97], v[96:97], v[102:103]
	v_mov_b32_e32 v98, v135
	v_pk_fma_f32 v[104:105], v[146:147], v[130:131], v[104:105] neg_lo:[0,0,1] neg_hi:[0,0,1]
	v_mov_b32_e32 v105, v99
	v_pk_fma_f32 v[102:103], v[148:149], v[132:133], v[100:101] op_sel_hi:[1,0,1]
	v_pk_add_f32 v[96:97], v[96:97], v[106:107]
	v_pk_mul_f32 v[98:99], v[184:185], v[98:99] op_sel_hi:[1,0]
	v_pk_fma_f32 v[100:101], v[148:149], v[132:133], v[100:101] neg_lo:[0,0,1] neg_hi:[0,0,1]
	s_delay_alu instid0(VALU_DEP_4) | instskip(NEXT) | instid1(VALU_DEP_4)
	v_mov_b32_e32 v101, v103
	v_pk_add_f32 v[96:97], v[96:97], v[104:105]
	s_delay_alu instid0(VALU_DEP_4) | instskip(SKIP_1) | instid1(VALU_DEP_2)
	v_pk_fma_f32 v[102:103], v[150:151], v[134:135], v[98:99] op_sel_hi:[1,0,1]
	v_pk_fma_f32 v[98:99], v[150:151], v[134:135], v[98:99] neg_lo:[0,0,1] neg_hi:[0,0,1]
	v_mov_b32_e32 v99, v103
	s_delay_alu instid0(VALU_DEP_4) | instskip(NEXT) | instid1(VALU_DEP_1)
	v_pk_add_f32 v[96:97], v[96:97], v[100:101]
	v_pk_add_f32 v[96:97], v[96:97], v[98:99]
	s_wait_loadcnt 0x0
	s_delay_alu instid0(VALU_DEP_1)
	v_pk_add_f32 v[96:97], v[176:177], v[96:97] neg_lo:[0,1] neg_hi:[0,1]
	scratch_store_b64 off, v[96:97], off offset:208
	s_wait_xcnt 0x0
	v_cmpx_lt_u32_e32 25, v0
	s_cbranch_execz .LBB46_245
; %bb.244:
	scratch_load_b64 v[96:97], off, off offset:200
	v_mov_b64_e32 v[98:99], 0
	scratch_store_b64 off, v[98:99], off offset:200
	s_wait_loadcnt 0x0
	ds_store_b64 v1, v[96:97]
.LBB46_245:
	s_wait_xcnt 0x0
	s_or_b32 exec_lo, exec_lo, s0
	s_wait_storecnt_dscnt 0x0
	s_barrier_signal -1
	s_barrier_wait -1
	s_clause 0xb
	scratch_load_b128 v[96:99], off, off offset:208
	scratch_load_b128 v[100:103], off, off offset:224
	;; [unrolled: 1-line block ×10, first 2 shown]
	scratch_load_b64 v[176:177], off, off offset:368
	scratch_load_b64 v[178:179], off, off offset:200
	v_mov_b32_e32 v5, 0
	ds_load_b128 v[136:139], v5 offset:688
	ds_load_b128 v[140:143], v5 offset:704
	;; [unrolled: 1-line block ×10, first 2 shown]
	ds_load_b64 v[180:181], v5 offset:752
	s_mov_b32 s0, exec_lo
	s_wait_dscnt 0xa
	v_dual_mov_b32 v182, v139 :: v_dual_mov_b32 v183, v138
	s_wait_dscnt 0x7
	v_dual_mov_b32 v184, v143 :: v_dual_mov_b32 v189, v150
	v_dual_mov_b32 v185, v142 :: v_dual_mov_b32 v186, v147
	;; [unrolled: 1-line block ×3, first 2 shown]
	s_wait_loadcnt_dscnt 0xb06
	v_dual_mul_f32 v7, v152, v97 :: v_dual_mul_f32 v11, v154, v99
	s_wait_loadcnt_dscnt 0xa05
	v_mul_f32_e32 v13, v156, v101
	v_dual_mul_f32 v31, v153, v97 :: v_dual_mul_f32 v33, v155, v99
	s_wait_loadcnt_dscnt 0x803
	v_dual_fmac_f32 v7, v153, v96 :: v_dual_mul_f32 v45, v167, v111
	v_dual_mul_f32 v35, v157, v101 :: v_dual_mul_f32 v37, v159, v103
	s_delay_alu instid0(VALU_DEP_3)
	v_dual_mul_f32 v43, v165, v109 :: v_dual_fma_f32 v31, v152, v96, -v31
	v_dual_fmac_f32 v11, v155, v98 :: v_dual_fma_f32 v33, v154, v98, -v33
	s_wait_loadcnt_dscnt 0x702
	v_dual_add_f32 v7, 0, v7 :: v_dual_mul_f32 v47, v169, v113
	v_dual_mul_f32 v15, v158, v103 :: v_dual_mul_f32 v17, v160, v105
	v_dual_add_f32 v31, 0, v31 :: v_dual_fmac_f32 v13, v157, v100
	s_delay_alu instid0(VALU_DEP_3) | instskip(SKIP_1) | instid1(VALU_DEP_3)
	v_dual_fma_f32 v35, v156, v100, -v35 :: v_dual_add_f32 v7, v7, v11
	v_dual_mul_f32 v39, v161, v105 :: v_dual_mul_f32 v41, v163, v107
	v_dual_add_f32 v11, v31, v33 :: v_dual_fma_f32 v33, v158, v102, -v37
	v_dual_fmac_f32 v15, v159, v102 :: v_dual_fmac_f32 v17, v161, v104
	s_delay_alu instid0(VALU_DEP_4) | instskip(NEXT) | instid1(VALU_DEP_3)
	v_dual_add_f32 v7, v7, v13 :: v_dual_mul_f32 v19, v162, v107
	v_dual_mul_f32 v21, v164, v109 :: v_dual_add_f32 v11, v11, v35
	s_delay_alu instid0(VALU_DEP_2) | instskip(SKIP_1) | instid1(VALU_DEP_3)
	v_dual_fma_f32 v35, v160, v104, -v39 :: v_dual_add_f32 v7, v7, v15
	v_dual_mul_f32 v23, v166, v111 :: v_dual_mul_f32 v25, v168, v113
	v_dual_add_f32 v11, v11, v33 :: v_dual_fmac_f32 v21, v165, v108
	v_fmac_f32_e32 v19, v163, v106
	s_delay_alu instid0(VALU_DEP_4) | instskip(SKIP_3) | instid1(VALU_DEP_3)
	v_add_f32_e32 v7, v7, v17
	s_wait_loadcnt_dscnt 0x601
	v_dual_mul_f32 v31, v171, v115 :: v_dual_mul_f32 v13, v173, v117
	v_dual_fma_f32 v33, v162, v106, -v41 :: v_dual_add_f32 v11, v11, v35
	v_dual_fmac_f32 v25, v169, v112 :: v_dual_add_f32 v7, v7, v19
	v_dual_mul_f32 v27, v170, v115 :: v_dual_mul_f32 v29, v172, v117
	v_dual_mul_f32 v15, v175, v119 :: v_dual_fma_f32 v35, v164, v108, -v43
	s_wait_loadcnt 0x4
	v_dual_mov_b32 v96, v123 :: v_dual_mov_b32 v100, v127
	s_delay_alu instid0(VALU_DEP_2) | instskip(SKIP_4) | instid1(VALU_DEP_4)
	v_dual_add_f32 v7, v7, v21 :: v_dual_fma_f32 v190, v174, v118, -v15
	v_dual_fma_f32 v21, v168, v112, -v47 :: v_dual_add_f32 v11, v11, v33
	v_dual_fmac_f32 v29, v173, v116 :: v_dual_mul_f32 v191, v174, v119
	v_dual_mul_f32 v193, v136, v121 :: v_dual_fmac_f32 v23, v167, v110
	v_fma_f32 v13, v172, v116, -v13
	v_dual_fma_f32 v19, v166, v110, -v45 :: v_dual_add_f32 v11, v11, v35
	s_delay_alu instid0(VALU_DEP_3) | instskip(SKIP_4) | instid1(VALU_DEP_4)
	v_fmac_f32_e32 v193, v137, v120
	v_pk_mul_f32 v[96:97], v[182:183], v[96:97] op_sel_hi:[1,0]
	v_dual_mul_f32 v17, v137, v121 :: v_dual_add_f32 v7, v7, v23
	v_fmac_f32_e32 v27, v171, v114
	v_fmac_f32_e32 v191, v175, v118
	v_pk_fma_f32 v[108:109], v[138:139], v[122:123], v[96:97] op_sel_hi:[1,0,1]
	v_add_f32_e32 v11, v11, v19
	v_pk_fma_f32 v[96:97], v[138:139], v[122:123], v[96:97] neg_lo:[0,0,1] neg_hi:[0,0,1]
	v_dual_fma_f32 v19, v170, v114, -v31 :: v_dual_fma_f32 v192, v136, v120, -v17
	s_delay_alu instid0(VALU_DEP_4) | instskip(NEXT) | instid1(VALU_DEP_4)
	v_dual_add_f32 v7, v7, v25 :: v_dual_mov_b32 v97, v109
	v_add_f32_e32 v11, v11, v21
	v_pk_mul_f32 v[98:99], v[140:141], v[124:125] op_sel:[1,1] op_sel_hi:[0,1]
	v_pk_mul_f32 v[100:101], v[184:185], v[100:101] op_sel_hi:[1,0]
	s_delay_alu instid0(VALU_DEP_4)
	v_add_f32_e32 v7, v7, v27
	s_wait_loadcnt 0x3
	v_pk_mul_f32 v[102:103], v[144:145], v[128:129] op_sel:[1,1] op_sel_hi:[0,1]
	v_add_f32_e32 v11, v11, v19
	v_pk_fma_f32 v[110:111], v[140:141], v[124:125], v[98:99] op_sel_hi:[1,0,1]
	v_pk_fma_f32 v[98:99], v[140:141], v[124:125], v[98:99] neg_lo:[0,0,1] neg_hi:[0,0,1]
	v_add_f32_e32 v105, v7, v29
	v_mov_b32_e32 v106, v131
	v_add_f32_e32 v104, v11, v13
	v_mov_b32_e32 v99, v111
	v_pk_fma_f32 v[110:111], v[142:143], v[126:127], v[100:101] op_sel_hi:[1,0,1]
	v_pk_fma_f32 v[100:101], v[142:143], v[126:127], v[100:101] neg_lo:[0,0,1] neg_hi:[0,0,1]
	v_pk_mul_f32 v[106:107], v[186:187], v[106:107] op_sel_hi:[1,0]
	v_pk_add_f32 v[104:105], v[104:105], v[190:191]
	s_wait_loadcnt 0x2
	v_pk_mul_f32 v[108:109], v[148:149], v[132:133] op_sel:[1,1] op_sel_hi:[0,1]
	v_mov_b32_e32 v101, v111
	s_delay_alu instid0(VALU_DEP_3) | instskip(NEXT) | instid1(VALU_DEP_1)
	v_pk_add_f32 v[104:105], v[104:105], v[192:193]
	v_pk_add_f32 v[96:97], v[104:105], v[96:97]
	v_pk_fma_f32 v[104:105], v[144:145], v[128:129], v[102:103] op_sel_hi:[1,0,1]
	v_pk_fma_f32 v[102:103], v[144:145], v[128:129], v[102:103] neg_lo:[0,0,1] neg_hi:[0,0,1]
	s_delay_alu instid0(VALU_DEP_3) | instskip(NEXT) | instid1(VALU_DEP_3)
	v_pk_add_f32 v[96:97], v[96:97], v[98:99]
	v_dual_mov_b32 v98, v135 :: v_dual_mov_b32 v103, v105
	v_pk_fma_f32 v[104:105], v[146:147], v[130:131], v[106:107] op_sel_hi:[1,0,1]
	v_pk_fma_f32 v[106:107], v[146:147], v[130:131], v[106:107] neg_lo:[0,0,1] neg_hi:[0,0,1]
	s_delay_alu instid0(VALU_DEP_4)
	v_pk_add_f32 v[96:97], v[96:97], v[100:101]
	v_pk_fma_f32 v[100:101], v[148:149], v[132:133], v[108:109] op_sel_hi:[1,0,1]
	v_pk_mul_f32 v[98:99], v[188:189], v[98:99] op_sel_hi:[1,0]
	v_mov_b32_e32 v107, v105
	s_wait_loadcnt_dscnt 0x100
	v_pk_mul_f32 v[104:105], v[180:181], v[176:177] op_sel:[1,1] op_sel_hi:[0,1]
	v_pk_add_f32 v[96:97], v[96:97], v[102:103]
	v_pk_fma_f32 v[102:103], v[148:149], v[132:133], v[108:109] neg_lo:[0,0,1] neg_hi:[0,0,1]
	v_mov_b32_e32 v103, v101
	v_pk_fma_f32 v[100:101], v[150:151], v[134:135], v[98:99] op_sel_hi:[1,0,1]
	v_pk_fma_f32 v[98:99], v[150:151], v[134:135], v[98:99] neg_lo:[0,0,1] neg_hi:[0,0,1]
	v_pk_add_f32 v[96:97], v[96:97], v[106:107]
	s_delay_alu instid0(VALU_DEP_3) | instskip(SKIP_1) | instid1(VALU_DEP_3)
	v_mov_b32_e32 v99, v101
	v_pk_fma_f32 v[100:101], v[180:181], v[176:177], v[104:105] op_sel_hi:[1,0,1]
	v_pk_add_f32 v[96:97], v[96:97], v[102:103]
	v_pk_fma_f32 v[102:103], v[180:181], v[176:177], v[104:105] neg_lo:[0,0,1] neg_hi:[0,0,1]
	s_delay_alu instid0(VALU_DEP_3) | instskip(NEXT) | instid1(VALU_DEP_3)
	v_mov_b32_e32 v103, v101
	v_pk_add_f32 v[96:97], v[96:97], v[98:99]
	s_delay_alu instid0(VALU_DEP_1) | instskip(SKIP_1) | instid1(VALU_DEP_1)
	v_pk_add_f32 v[96:97], v[96:97], v[102:103]
	s_wait_loadcnt 0x0
	v_pk_add_f32 v[96:97], v[178:179], v[96:97] neg_lo:[0,1] neg_hi:[0,1]
	scratch_store_b64 off, v[96:97], off offset:200
	s_wait_xcnt 0x0
	v_cmpx_lt_u32_e32 24, v0
	s_cbranch_execz .LBB46_247
; %bb.246:
	scratch_load_b64 v[96:97], off, off offset:192
	v_mov_b64_e32 v[98:99], 0
	scratch_store_b64 off, v[98:99], off offset:192
	s_wait_loadcnt 0x0
	ds_store_b64 v1, v[96:97]
.LBB46_247:
	s_wait_xcnt 0x0
	s_or_b32 exec_lo, exec_lo, s0
	s_wait_storecnt_dscnt 0x0
	s_barrier_signal -1
	s_barrier_wait -1
	s_clause 0xb
	scratch_load_b128 v[96:99], off, off offset:200
	scratch_load_b128 v[100:103], off, off offset:216
	;; [unrolled: 1-line block ×11, first 2 shown]
	scratch_load_b64 v[184:185], off, off offset:192
	ds_load_2addr_b64 v[140:143], v5 offset0:87 offset1:88
	ds_load_2addr_b64 v[144:147], v5 offset0:89 offset1:90
	;; [unrolled: 1-line block ×11, first 2 shown]
	s_mov_b32 s0, exec_lo
	s_wait_dscnt 0xa
	v_dual_mov_b32 v186, v143 :: v_dual_mov_b32 v187, v142
	s_wait_dscnt 0x9
	v_dual_mov_b32 v188, v147 :: v_dual_mov_b32 v189, v146
	;; [unrolled: 2-line block ×4, first 2 shown]
	s_wait_loadcnt_dscnt 0xb06
	v_dual_mul_f32 v5, v156, v97 :: v_dual_mul_f32 v7, v158, v99
	v_dual_mul_f32 v31, v157, v97 :: v_dual_mul_f32 v33, v159, v99
	s_wait_loadcnt_dscnt 0xa05
	v_dual_mul_f32 v11, v160, v101 :: v_dual_mul_f32 v13, v162, v103
	s_delay_alu instid0(VALU_DEP_2) | instskip(SKIP_3) | instid1(VALU_DEP_3)
	v_dual_fmac_f32 v5, v157, v96 :: v_dual_fma_f32 v31, v156, v96, -v31
	v_dual_mul_f32 v35, v161, v101 :: v_dual_mul_f32 v37, v163, v103
	s_wait_loadcnt_dscnt 0x803
	v_dual_mul_f32 v43, v169, v109 :: v_dual_fmac_f32 v7, v159, v98
	v_dual_fma_f32 v33, v158, v98, -v33 :: v_dual_add_f32 v5, 0, v5
	v_dual_add_f32 v31, 0, v31 :: v_dual_fmac_f32 v11, v161, v100
	v_dual_mul_f32 v45, v171, v111 :: v_dual_fma_f32 v35, v160, v100, -v35
	s_delay_alu instid0(VALU_DEP_2)
	v_dual_add_f32 v5, v5, v7 :: v_dual_add_f32 v7, v31, v33
	v_dual_mul_f32 v15, v164, v105 :: v_dual_mul_f32 v17, v166, v107
	v_dual_mul_f32 v39, v165, v105 :: v_dual_mul_f32 v41, v167, v107
	s_wait_loadcnt_dscnt 0x702
	v_dual_mul_f32 v31, v173, v113 :: v_dual_fmac_f32 v13, v163, v102
	v_dual_fma_f32 v33, v162, v102, -v37 :: v_dual_add_f32 v5, v5, v11
	v_dual_add_f32 v7, v7, v35 :: v_dual_fmac_f32 v15, v165, v104
	v_dual_mul_f32 v11, v175, v115 :: v_dual_fma_f32 v35, v164, v104, -v39
	s_delay_alu instid0(VALU_DEP_3) | instskip(NEXT) | instid1(VALU_DEP_3)
	v_dual_add_f32 v5, v5, v13 :: v_dual_fmac_f32 v17, v167, v106
	v_dual_add_f32 v7, v7, v33 :: v_dual_fma_f32 v33, v166, v106, -v41
	v_dual_mul_f32 v19, v168, v109 :: v_dual_mul_f32 v21, v170, v111
	s_wait_loadcnt_dscnt 0x601
	s_delay_alu instid0(VALU_DEP_2) | instskip(SKIP_1) | instid1(VALU_DEP_3)
	v_dual_mul_f32 v13, v177, v117 :: v_dual_add_f32 v7, v7, v35
	v_dual_add_f32 v5, v5, v15 :: v_dual_fma_f32 v35, v168, v108, -v43
	v_dual_mul_f32 v15, v179, v119 :: v_dual_fmac_f32 v19, v169, v108
	s_delay_alu instid0(VALU_DEP_3) | instskip(NEXT) | instid1(VALU_DEP_3)
	v_dual_add_f32 v7, v7, v33 :: v_dual_fma_f32 v33, v170, v110, -v45
	v_dual_add_f32 v5, v5, v17 :: v_dual_fmac_f32 v21, v171, v110
	v_dual_mul_f32 v23, v172, v113 :: v_dual_mul_f32 v25, v174, v115
	s_wait_loadcnt_dscnt 0x500
	s_delay_alu instid0(VALU_DEP_3) | instskip(NEXT) | instid1(VALU_DEP_3)
	v_dual_mul_f32 v17, v181, v121 :: v_dual_add_f32 v7, v7, v35
	v_dual_add_f32 v5, v5, v19 :: v_dual_fma_f32 v31, v172, v112, -v31
	s_delay_alu instid0(VALU_DEP_3) | instskip(NEXT) | instid1(VALU_DEP_3)
	v_dual_mul_f32 v19, v183, v123 :: v_dual_fmac_f32 v23, v173, v112
	v_dual_add_f32 v7, v7, v33 :: v_dual_fma_f32 v11, v174, v114, -v11
	s_delay_alu instid0(VALU_DEP_3) | instskip(SKIP_1) | instid1(VALU_DEP_3)
	v_dual_add_f32 v5, v5, v21 :: v_dual_fmac_f32 v25, v175, v114
	v_dual_mul_f32 v27, v176, v117 :: v_dual_mul_f32 v29, v178, v119
	v_add_f32_e32 v7, v7, v31
	s_wait_loadcnt 0x4
	s_delay_alu instid0(VALU_DEP_3) | instskip(NEXT) | instid1(VALU_DEP_3)
	v_dual_add_f32 v5, v5, v23 :: v_dual_mov_b32 v98, v127
	v_dual_fmac_f32 v27, v177, v116 :: v_dual_fma_f32 v13, v176, v116, -v13
	s_delay_alu instid0(VALU_DEP_3) | instskip(NEXT) | instid1(VALU_DEP_3)
	v_dual_add_f32 v7, v7, v11 :: v_dual_fma_f32 v11, v178, v118, -v15
	v_add_f32_e32 v5, v5, v25
	v_dual_mul_f32 v195, v180, v121 :: v_dual_mul_f32 v197, v182, v123
	v_fmac_f32_e32 v29, v179, v118
	s_delay_alu instid0(VALU_DEP_3)
	v_dual_add_f32 v7, v7, v13 :: v_dual_add_f32 v5, v5, v27
	v_pk_mul_f32 v[96:97], v[140:141], v[124:125] op_sel:[1,1] op_sel_hi:[0,1]
	s_wait_loadcnt 0x3
	v_dual_mov_b32 v102, v131 :: v_dual_fma_f32 v194, v180, v120, -v17
	v_fmac_f32_e32 v195, v181, v120
	v_dual_add_f32 v105, v5, v29 :: v_dual_add_f32 v104, v7, v11
	v_dual_fmac_f32 v197, v183, v122 :: v_dual_fma_f32 v196, v182, v122, -v19
	v_pk_fma_f32 v[106:107], v[140:141], v[124:125], v[96:97] op_sel_hi:[1,0,1]
	v_pk_mul_f32 v[98:99], v[186:187], v[98:99] op_sel_hi:[1,0]
	s_delay_alu instid0(VALU_DEP_4)
	v_pk_add_f32 v[104:105], v[104:105], v[194:195]
	v_pk_fma_f32 v[96:97], v[140:141], v[124:125], v[96:97] neg_lo:[0,0,1] neg_hi:[0,0,1]
	v_pk_mul_f32 v[100:101], v[144:145], v[128:129] op_sel:[1,1] op_sel_hi:[0,1]
	v_mov_b32_e32 v97, v107
	v_pk_fma_f32 v[106:107], v[142:143], v[126:127], v[98:99] op_sel_hi:[1,0,1]
	v_pk_add_f32 v[104:105], v[104:105], v[196:197]
	v_pk_fma_f32 v[98:99], v[142:143], v[126:127], v[98:99] neg_lo:[0,0,1] neg_hi:[0,0,1]
	v_pk_fma_f32 v[110:111], v[144:145], v[128:129], v[100:101] op_sel_hi:[1,0,1]
	v_pk_mul_f32 v[102:103], v[188:189], v[102:103] op_sel_hi:[1,0]
	v_mov_b32_e32 v99, v107
	v_pk_add_f32 v[96:97], v[104:105], v[96:97]
	s_wait_loadcnt 0x2
	v_pk_mul_f32 v[108:109], v[148:149], v[132:133] op_sel:[1,1] op_sel_hi:[0,1]
	v_mov_b32_e32 v104, v135
	v_pk_fma_f32 v[100:101], v[144:145], v[128:129], v[100:101] neg_lo:[0,0,1] neg_hi:[0,0,1]
	v_mov_b32_e32 v101, v111
	v_pk_fma_f32 v[106:107], v[146:147], v[130:131], v[102:103] op_sel_hi:[1,0,1]
	v_pk_add_f32 v[96:97], v[96:97], v[98:99]
	v_pk_fma_f32 v[98:99], v[148:149], v[132:133], v[108:109] op_sel_hi:[1,0,1]
	v_pk_mul_f32 v[104:105], v[190:191], v[104:105] op_sel_hi:[1,0]
	v_pk_fma_f32 v[102:103], v[146:147], v[130:131], v[102:103] neg_lo:[0,0,1] neg_hi:[0,0,1]
	v_mov_b32_e32 v103, v107
	v_pk_add_f32 v[96:97], v[96:97], v[100:101]
	v_pk_fma_f32 v[106:107], v[148:149], v[132:133], v[108:109] neg_lo:[0,0,1] neg_hi:[0,0,1]
	v_mov_b32_e32 v107, v99
	v_pk_fma_f32 v[98:99], v[150:151], v[134:135], v[104:105] op_sel_hi:[1,0,1]
	s_wait_loadcnt 0x1
	v_pk_mul_f32 v[100:101], v[152:153], v[136:137] op_sel:[1,1] op_sel_hi:[0,1]
	v_pk_add_f32 v[96:97], v[96:97], v[102:103]
	v_mov_b32_e32 v98, v139
	v_pk_fma_f32 v[104:105], v[150:151], v[134:135], v[104:105] neg_lo:[0,0,1] neg_hi:[0,0,1]
	v_mov_b32_e32 v105, v99
	v_pk_fma_f32 v[102:103], v[152:153], v[136:137], v[100:101] op_sel_hi:[1,0,1]
	v_pk_add_f32 v[96:97], v[96:97], v[106:107]
	v_pk_mul_f32 v[98:99], v[192:193], v[98:99] op_sel_hi:[1,0]
	v_pk_fma_f32 v[100:101], v[152:153], v[136:137], v[100:101] neg_lo:[0,0,1] neg_hi:[0,0,1]
	s_delay_alu instid0(VALU_DEP_4) | instskip(NEXT) | instid1(VALU_DEP_4)
	v_mov_b32_e32 v101, v103
	v_pk_add_f32 v[96:97], v[96:97], v[104:105]
	s_delay_alu instid0(VALU_DEP_4) | instskip(SKIP_1) | instid1(VALU_DEP_2)
	v_pk_fma_f32 v[102:103], v[154:155], v[138:139], v[98:99] op_sel_hi:[1,0,1]
	v_pk_fma_f32 v[98:99], v[154:155], v[138:139], v[98:99] neg_lo:[0,0,1] neg_hi:[0,0,1]
	v_mov_b32_e32 v99, v103
	s_delay_alu instid0(VALU_DEP_4) | instskip(NEXT) | instid1(VALU_DEP_1)
	v_pk_add_f32 v[96:97], v[96:97], v[100:101]
	v_pk_add_f32 v[96:97], v[96:97], v[98:99]
	s_wait_loadcnt 0x0
	s_delay_alu instid0(VALU_DEP_1)
	v_pk_add_f32 v[96:97], v[184:185], v[96:97] neg_lo:[0,1] neg_hi:[0,1]
	scratch_store_b64 off, v[96:97], off offset:192
	s_wait_xcnt 0x0
	v_cmpx_lt_u32_e32 23, v0
	s_cbranch_execz .LBB46_249
; %bb.248:
	scratch_load_b64 v[96:97], off, off offset:184
	v_mov_b64_e32 v[98:99], 0
	scratch_store_b64 off, v[98:99], off offset:184
	s_wait_loadcnt 0x0
	ds_store_b64 v1, v[96:97]
.LBB46_249:
	s_wait_xcnt 0x0
	s_or_b32 exec_lo, exec_lo, s0
	s_wait_storecnt_dscnt 0x0
	s_barrier_signal -1
	s_barrier_wait -1
	s_clause 0xc
	scratch_load_b128 v[96:99], off, off offset:192
	scratch_load_b128 v[100:103], off, off offset:208
	;; [unrolled: 1-line block ×11, first 2 shown]
	scratch_load_b64 v[184:185], off, off offset:368
	scratch_load_b64 v[186:187], off, off offset:184
	v_mov_b32_e32 v5, 0
	ds_load_b128 v[140:143], v5 offset:688
	ds_load_b128 v[144:147], v5 offset:704
	;; [unrolled: 1-line block ×11, first 2 shown]
	ds_load_b64 v[188:189], v5 offset:752
	s_mov_b32 s0, exec_lo
	s_wait_dscnt 0xb
	v_dual_mov_b32 v190, v143 :: v_dual_mov_b32 v191, v142
	s_wait_dscnt 0x8
	v_dual_mov_b32 v192, v147 :: v_dual_mov_b32 v197, v154
	v_dual_mov_b32 v193, v146 :: v_dual_mov_b32 v194, v151
	;; [unrolled: 1-line block ×3, first 2 shown]
	s_wait_loadcnt_dscnt 0xc07
	v_dual_mul_f32 v7, v156, v97 :: v_dual_mul_f32 v35, v157, v97
	v_dual_mul_f32 v37, v159, v99 :: v_dual_mul_f32 v11, v158, v99
	s_wait_loadcnt_dscnt 0xb06
	v_mul_f32_e32 v13, v160, v101
	s_wait_loadcnt_dscnt 0x904
	v_dual_mul_f32 v47, v169, v109 :: v_dual_fma_f32 v35, v156, v96, -v35
	v_dual_fmac_f32 v7, v157, v96 :: v_dual_mul_f32 v49, v171, v111
	v_dual_mul_f32 v39, v161, v101 :: v_dual_mul_f32 v41, v163, v103
	v_dual_fmac_f32 v11, v159, v98 :: v_dual_fma_f32 v37, v158, v98, -v37
	s_wait_loadcnt_dscnt 0x803
	s_delay_alu instid0(VALU_DEP_3) | instskip(SKIP_1) | instid1(VALU_DEP_2)
	v_dual_add_f32 v7, 0, v7 :: v_dual_mul_f32 v51, v173, v113
	v_dual_add_f32 v35, 0, v35 :: v_dual_fmac_f32 v13, v161, v100
	v_dual_fma_f32 v39, v160, v100, -v39 :: v_dual_add_f32 v7, v7, v11
	v_dual_mul_f32 v15, v162, v103 :: v_dual_mul_f32 v17, v164, v105
	s_delay_alu instid0(VALU_DEP_3) | instskip(SKIP_2) | instid1(VALU_DEP_3)
	v_dual_add_f32 v11, v35, v37 :: v_dual_fma_f32 v37, v162, v102, -v41
	v_dual_mul_f32 v43, v165, v105 :: v_dual_mul_f32 v45, v167, v107
	v_dual_mul_f32 v19, v166, v107 :: v_dual_mul_f32 v21, v168, v109
	v_add_f32_e32 v11, v11, v39
	v_dual_fmac_f32 v15, v163, v102 :: v_dual_fmac_f32 v17, v165, v104
	s_delay_alu instid0(VALU_DEP_4) | instskip(NEXT) | instid1(VALU_DEP_3)
	v_dual_add_f32 v7, v7, v13 :: v_dual_fma_f32 v39, v164, v104, -v43
	v_dual_add_f32 v11, v11, v37 :: v_dual_fmac_f32 v21, v169, v108
	v_dual_mul_f32 v23, v170, v111 :: v_dual_mul_f32 v25, v172, v113
	s_delay_alu instid0(VALU_DEP_3) | instskip(NEXT) | instid1(VALU_DEP_3)
	v_dual_add_f32 v7, v7, v15 :: v_dual_fma_f32 v37, v166, v106, -v45
	v_add_f32_e32 v11, v11, v39
	s_wait_loadcnt_dscnt 0x701
	v_dual_mul_f32 v35, v175, v115 :: v_dual_mul_f32 v13, v181, v117
	v_dual_mul_f32 v15, v183, v119 :: v_dual_fma_f32 v39, v168, v108, -v47
	v_fmac_f32_e32 v19, v167, v106
	v_dual_add_f32 v7, v7, v17 :: v_dual_fmac_f32 v25, v173, v112
	v_dual_add_f32 v11, v11, v37 :: v_dual_mul_f32 v27, v174, v115
	v_dual_mul_f32 v29, v180, v117 :: v_dual_mul_f32 v31, v182, v119
	s_wait_loadcnt 0x6
	v_dual_mul_f32 v33, v176, v121 :: v_dual_fma_f32 v37, v170, v110, -v49
	v_add_f32_e32 v7, v7, v19
	v_add_f32_e32 v11, v11, v39
	s_wait_loadcnt 0x4
	v_dual_mov_b32 v96, v127 :: v_dual_mov_b32 v100, v131
	v_dual_mul_f32 v19, v179, v123 :: v_dual_fmac_f32 v29, v181, v116
	v_dual_fmac_f32 v23, v171, v110 :: v_dual_fma_f32 v13, v180, v116, -v13
	v_dual_fma_f32 v39, v172, v112, -v51 :: v_dual_add_f32 v7, v7, v21
	v_dual_fma_f32 v15, v182, v118, -v15 :: v_dual_fmac_f32 v33, v177, v120
	s_delay_alu instid0(VALU_DEP_4) | instskip(SKIP_1) | instid1(VALU_DEP_4)
	v_dual_add_f32 v11, v11, v37 :: v_dual_fma_f32 v198, v178, v122, -v19
	v_pk_mul_f32 v[96:97], v[190:191], v[96:97] op_sel_hi:[1,0]
	v_dual_mul_f32 v17, v177, v121 :: v_dual_add_f32 v7, v7, v23
	v_fma_f32 v23, v174, v114, -v35
	v_dual_mul_f32 v199, v178, v123 :: v_dual_mul_f32 v201, v140, v125
	s_delay_alu instid0(VALU_DEP_4) | instskip(SKIP_4) | instid1(VALU_DEP_4)
	v_pk_fma_f32 v[108:109], v[142:143], v[126:127], v[96:97] op_sel_hi:[1,0,1]
	v_add_f32_e32 v11, v11, v39
	v_pk_fma_f32 v[96:97], v[142:143], v[126:127], v[96:97] neg_lo:[0,0,1] neg_hi:[0,0,1]
	v_dual_mul_f32 v21, v141, v125 :: v_dual_fmac_f32 v27, v175, v114
	v_fmac_f32_e32 v201, v141, v124
	v_dual_mov_b32 v97, v109 :: v_dual_add_f32 v11, v11, v23
	s_delay_alu instid0(VALU_DEP_3) | instskip(SKIP_2) | instid1(VALU_DEP_4)
	v_dual_fma_f32 v200, v140, v124, -v21 :: v_dual_fmac_f32 v31, v183, v118
	v_fmac_f32_e32 v199, v179, v122
	v_pk_mul_f32 v[98:99], v[144:145], v[128:129] op_sel:[1,1] op_sel_hi:[0,1]
	v_dual_add_f32 v11, v11, v13 :: v_dual_fma_f32 v13, v176, v120, -v17
	v_add_f32_e32 v7, v7, v25
	v_pk_mul_f32 v[100:101], v[192:193], v[100:101] op_sel_hi:[1,0]
	s_delay_alu instid0(VALU_DEP_4) | instskip(NEXT) | instid1(VALU_DEP_4)
	v_pk_fma_f32 v[110:111], v[144:145], v[128:129], v[98:99] op_sel_hi:[1,0,1]
	v_add_f32_e32 v11, v11, v15
	v_pk_fma_f32 v[98:99], v[144:145], v[128:129], v[98:99] neg_lo:[0,0,1] neg_hi:[0,0,1]
	v_add_f32_e32 v7, v7, v27
	s_wait_loadcnt 0x3
	v_pk_mul_f32 v[102:103], v[148:149], v[132:133] op_sel:[1,1] op_sel_hi:[0,1]
	v_dual_mov_b32 v106, v135 :: v_dual_mov_b32 v99, v111
	v_add_f32_e32 v104, v11, v13
	v_add_f32_e32 v7, v7, v29
	v_pk_fma_f32 v[110:111], v[146:147], v[130:131], v[100:101] op_sel_hi:[1,0,1]
	v_pk_fma_f32 v[100:101], v[146:147], v[130:131], v[100:101] neg_lo:[0,0,1] neg_hi:[0,0,1]
	v_pk_mul_f32 v[106:107], v[194:195], v[106:107] op_sel_hi:[1,0]
	s_wait_loadcnt 0x2
	v_pk_mul_f32 v[108:109], v[152:153], v[136:137] op_sel:[1,1] op_sel_hi:[0,1]
	v_add_f32_e32 v7, v7, v31
	v_mov_b32_e32 v101, v111
	s_delay_alu instid0(VALU_DEP_2) | instskip(NEXT) | instid1(VALU_DEP_1)
	v_add_f32_e32 v105, v7, v33
	v_pk_add_f32 v[104:105], v[104:105], v[198:199]
	s_delay_alu instid0(VALU_DEP_1) | instskip(NEXT) | instid1(VALU_DEP_1)
	v_pk_add_f32 v[104:105], v[104:105], v[200:201]
	v_pk_add_f32 v[96:97], v[104:105], v[96:97]
	v_pk_fma_f32 v[104:105], v[148:149], v[132:133], v[102:103] op_sel_hi:[1,0,1]
	v_pk_fma_f32 v[102:103], v[148:149], v[132:133], v[102:103] neg_lo:[0,0,1] neg_hi:[0,0,1]
	s_delay_alu instid0(VALU_DEP_3) | instskip(NEXT) | instid1(VALU_DEP_3)
	v_pk_add_f32 v[96:97], v[96:97], v[98:99]
	v_dual_mov_b32 v98, v139 :: v_dual_mov_b32 v103, v105
	v_pk_fma_f32 v[104:105], v[150:151], v[134:135], v[106:107] op_sel_hi:[1,0,1]
	v_pk_fma_f32 v[106:107], v[150:151], v[134:135], v[106:107] neg_lo:[0,0,1] neg_hi:[0,0,1]
	s_delay_alu instid0(VALU_DEP_4)
	v_pk_add_f32 v[96:97], v[96:97], v[100:101]
	v_pk_fma_f32 v[100:101], v[152:153], v[136:137], v[108:109] op_sel_hi:[1,0,1]
	v_pk_mul_f32 v[98:99], v[196:197], v[98:99] op_sel_hi:[1,0]
	v_mov_b32_e32 v107, v105
	s_wait_loadcnt_dscnt 0x100
	v_pk_mul_f32 v[104:105], v[188:189], v[184:185] op_sel:[1,1] op_sel_hi:[0,1]
	v_pk_add_f32 v[96:97], v[96:97], v[102:103]
	v_pk_fma_f32 v[102:103], v[152:153], v[136:137], v[108:109] neg_lo:[0,0,1] neg_hi:[0,0,1]
	v_mov_b32_e32 v103, v101
	v_pk_fma_f32 v[100:101], v[154:155], v[138:139], v[98:99] op_sel_hi:[1,0,1]
	v_pk_fma_f32 v[98:99], v[154:155], v[138:139], v[98:99] neg_lo:[0,0,1] neg_hi:[0,0,1]
	v_pk_add_f32 v[96:97], v[96:97], v[106:107]
	s_delay_alu instid0(VALU_DEP_3) | instskip(SKIP_1) | instid1(VALU_DEP_3)
	v_mov_b32_e32 v99, v101
	v_pk_fma_f32 v[100:101], v[188:189], v[184:185], v[104:105] op_sel_hi:[1,0,1]
	v_pk_add_f32 v[96:97], v[96:97], v[102:103]
	v_pk_fma_f32 v[102:103], v[188:189], v[184:185], v[104:105] neg_lo:[0,0,1] neg_hi:[0,0,1]
	s_delay_alu instid0(VALU_DEP_3) | instskip(NEXT) | instid1(VALU_DEP_3)
	v_mov_b32_e32 v103, v101
	v_pk_add_f32 v[96:97], v[96:97], v[98:99]
	s_delay_alu instid0(VALU_DEP_1) | instskip(SKIP_1) | instid1(VALU_DEP_1)
	v_pk_add_f32 v[96:97], v[96:97], v[102:103]
	s_wait_loadcnt 0x0
	v_pk_add_f32 v[96:97], v[186:187], v[96:97] neg_lo:[0,1] neg_hi:[0,1]
	scratch_store_b64 off, v[96:97], off offset:184
	s_wait_xcnt 0x0
	v_cmpx_lt_u32_e32 22, v0
	s_cbranch_execz .LBB46_251
; %bb.250:
	scratch_load_b64 v[96:97], off, off offset:176
	v_mov_b64_e32 v[98:99], 0
	scratch_store_b64 off, v[98:99], off offset:176
	s_wait_loadcnt 0x0
	ds_store_b64 v1, v[96:97]
.LBB46_251:
	s_wait_xcnt 0x0
	s_or_b32 exec_lo, exec_lo, s0
	s_wait_storecnt_dscnt 0x0
	s_barrier_signal -1
	s_barrier_wait -1
	s_clause 0xc
	scratch_load_b128 v[96:99], off, off offset:184
	scratch_load_b128 v[100:103], off, off offset:200
	;; [unrolled: 1-line block ×12, first 2 shown]
	scratch_load_b64 v[192:193], off, off offset:176
	ds_load_2addr_b64 v[144:147], v5 offset0:87 offset1:88
	ds_load_2addr_b64 v[148:151], v5 offset0:89 offset1:90
	ds_load_2addr_b64 v[152:155], v5 offset0:91 offset1:92
	ds_load_2addr_b64 v[156:159], v5 offset0:93 offset1:94
	ds_load_2addr_b64 v[160:163], v5 offset0:71 offset1:72
	ds_load_2addr_b64 v[164:167], v5 offset0:73 offset1:74
	ds_load_2addr_b64 v[168:171], v5 offset0:75 offset1:76
	ds_load_2addr_b64 v[172:175], v5 offset0:77 offset1:78
	ds_load_2addr_b64 v[176:179], v5 offset0:79 offset1:80
	ds_load_2addr_b64 v[180:183], v5 offset0:81 offset1:82
	ds_load_2addr_b64 v[184:187], v5 offset0:83 offset1:84
	ds_load_2addr_b64 v[188:191], v5 offset0:85 offset1:86
	s_mov_b32 s0, exec_lo
	s_wait_dscnt 0xb
	v_dual_mov_b32 v194, v147 :: v_dual_mov_b32 v195, v146
	s_wait_dscnt 0xa
	v_dual_mov_b32 v196, v151 :: v_dual_mov_b32 v197, v150
	;; [unrolled: 2-line block ×4, first 2 shown]
	s_wait_loadcnt_dscnt 0xc07
	v_dual_mul_f32 v5, v160, v97 :: v_dual_mul_f32 v7, v162, v99
	v_dual_mul_f32 v35, v161, v97 :: v_dual_mul_f32 v37, v163, v99
	s_wait_loadcnt_dscnt 0xb06
	v_dual_mul_f32 v11, v164, v101 :: v_dual_mul_f32 v13, v166, v103
	s_delay_alu instid0(VALU_DEP_2) | instskip(SKIP_3) | instid1(VALU_DEP_3)
	v_dual_fmac_f32 v5, v161, v96 :: v_dual_fma_f32 v35, v160, v96, -v35
	v_dual_mul_f32 v39, v165, v101 :: v_dual_mul_f32 v41, v167, v103
	s_wait_loadcnt_dscnt 0x904
	v_dual_mul_f32 v47, v173, v109 :: v_dual_fmac_f32 v7, v163, v98
	v_dual_fma_f32 v37, v162, v98, -v37 :: v_dual_add_f32 v5, 0, v5
	v_dual_add_f32 v35, 0, v35 :: v_dual_fmac_f32 v11, v165, v100
	v_dual_mul_f32 v49, v175, v111 :: v_dual_fma_f32 v39, v164, v100, -v39
	s_delay_alu instid0(VALU_DEP_2)
	v_dual_add_f32 v5, v5, v7 :: v_dual_add_f32 v7, v35, v37
	v_dual_mul_f32 v15, v168, v105 :: v_dual_mul_f32 v17, v170, v107
	v_dual_mul_f32 v43, v169, v105 :: v_dual_mul_f32 v45, v171, v107
	s_wait_loadcnt_dscnt 0x803
	v_dual_mul_f32 v35, v177, v113 :: v_dual_fmac_f32 v13, v167, v102
	v_dual_fma_f32 v37, v166, v102, -v41 :: v_dual_add_f32 v5, v5, v11
	v_dual_add_f32 v7, v7, v39 :: v_dual_fmac_f32 v15, v169, v104
	v_dual_mul_f32 v11, v179, v115 :: v_dual_fma_f32 v39, v168, v104, -v43
	s_delay_alu instid0(VALU_DEP_3) | instskip(NEXT) | instid1(VALU_DEP_3)
	v_dual_add_f32 v5, v5, v13 :: v_dual_fmac_f32 v17, v171, v106
	v_dual_add_f32 v7, v7, v37 :: v_dual_fma_f32 v37, v170, v106, -v45
	v_dual_mul_f32 v19, v172, v109 :: v_dual_mul_f32 v21, v174, v111
	s_wait_loadcnt_dscnt 0x702
	s_delay_alu instid0(VALU_DEP_2) | instskip(SKIP_1) | instid1(VALU_DEP_3)
	v_dual_mul_f32 v13, v181, v117 :: v_dual_add_f32 v7, v7, v39
	v_dual_add_f32 v5, v5, v15 :: v_dual_fma_f32 v39, v172, v108, -v47
	v_dual_mul_f32 v15, v183, v119 :: v_dual_fmac_f32 v19, v173, v108
	s_delay_alu instid0(VALU_DEP_3) | instskip(NEXT) | instid1(VALU_DEP_3)
	v_dual_add_f32 v7, v7, v37 :: v_dual_fma_f32 v37, v174, v110, -v49
	v_dual_add_f32 v5, v5, v17 :: v_dual_fmac_f32 v21, v175, v110
	v_dual_mul_f32 v23, v176, v113 :: v_dual_mul_f32 v25, v178, v115
	s_wait_loadcnt_dscnt 0x601
	s_delay_alu instid0(VALU_DEP_3) | instskip(NEXT) | instid1(VALU_DEP_3)
	v_dual_mul_f32 v17, v185, v121 :: v_dual_add_f32 v7, v7, v39
	v_dual_add_f32 v5, v5, v19 :: v_dual_fma_f32 v35, v176, v112, -v35
	s_delay_alu instid0(VALU_DEP_3) | instskip(NEXT) | instid1(VALU_DEP_3)
	v_dual_mul_f32 v19, v187, v123 :: v_dual_fmac_f32 v23, v177, v112
	v_dual_add_f32 v7, v7, v37 :: v_dual_fma_f32 v11, v178, v114, -v11
	s_delay_alu instid0(VALU_DEP_3) | instskip(SKIP_2) | instid1(VALU_DEP_3)
	v_dual_add_f32 v5, v5, v21 :: v_dual_fmac_f32 v25, v179, v114
	v_dual_mul_f32 v27, v180, v117 :: v_dual_mul_f32 v29, v182, v119
	s_wait_loadcnt_dscnt 0x500
	v_dual_mul_f32 v21, v189, v125 :: v_dual_add_f32 v7, v7, v35
	s_delay_alu instid0(VALU_DEP_3) | instskip(NEXT) | instid1(VALU_DEP_3)
	v_dual_add_f32 v5, v5, v23 :: v_dual_fma_f32 v13, v180, v116, -v13
	v_dual_mul_f32 v23, v191, v127 :: v_dual_fmac_f32 v27, v181, v116
	s_delay_alu instid0(VALU_DEP_2) | instskip(SKIP_2) | instid1(VALU_DEP_3)
	v_dual_add_f32 v7, v7, v11 :: v_dual_add_f32 v5, v5, v25
	v_dual_mul_f32 v31, v184, v121 :: v_dual_mul_f32 v33, v186, v123
	v_dual_fmac_f32 v29, v183, v118 :: v_dual_fma_f32 v11, v182, v118, -v15
	v_dual_add_f32 v5, v5, v27 :: v_dual_add_f32 v7, v7, v13
	s_wait_loadcnt 0x4
	s_delay_alu instid0(VALU_DEP_3) | instskip(NEXT) | instid1(VALU_DEP_2)
	v_dual_mov_b32 v98, v131 :: v_dual_fmac_f32 v31, v185, v120
	v_dual_fma_f32 v13, v184, v120, -v17 :: v_dual_add_f32 v5, v5, v29
	s_delay_alu instid0(VALU_DEP_3) | instskip(SKIP_1) | instid1(VALU_DEP_3)
	v_dual_add_f32 v7, v7, v11 :: v_dual_fma_f32 v11, v186, v122, -v19
	v_dual_mul_f32 v203, v188, v125 :: v_dual_mul_f32 v205, v190, v127
	v_dual_fmac_f32 v33, v187, v122 :: v_dual_add_f32 v5, v5, v31
	s_delay_alu instid0(VALU_DEP_2) | instskip(SKIP_3) | instid1(VALU_DEP_3)
	v_dual_add_f32 v7, v7, v13 :: v_dual_fmac_f32 v203, v189, v124
	v_pk_mul_f32 v[96:97], v[144:145], v[128:129] op_sel:[1,1] op_sel_hi:[0,1]
	s_wait_loadcnt 0x3
	v_dual_mov_b32 v102, v135 :: v_dual_fma_f32 v202, v188, v124, -v21
	v_dual_add_f32 v105, v5, v33 :: v_dual_add_f32 v104, v7, v11
	v_dual_fmac_f32 v205, v191, v126 :: v_dual_fma_f32 v204, v190, v126, -v23
	v_pk_fma_f32 v[106:107], v[144:145], v[128:129], v[96:97] op_sel_hi:[1,0,1]
	v_pk_mul_f32 v[98:99], v[194:195], v[98:99] op_sel_hi:[1,0]
	s_delay_alu instid0(VALU_DEP_4)
	v_pk_add_f32 v[104:105], v[104:105], v[202:203]
	v_pk_fma_f32 v[96:97], v[144:145], v[128:129], v[96:97] neg_lo:[0,0,1] neg_hi:[0,0,1]
	v_pk_mul_f32 v[100:101], v[148:149], v[132:133] op_sel:[1,1] op_sel_hi:[0,1]
	v_mov_b32_e32 v97, v107
	v_pk_fma_f32 v[106:107], v[146:147], v[130:131], v[98:99] op_sel_hi:[1,0,1]
	v_pk_add_f32 v[104:105], v[104:105], v[204:205]
	v_pk_fma_f32 v[98:99], v[146:147], v[130:131], v[98:99] neg_lo:[0,0,1] neg_hi:[0,0,1]
	v_pk_fma_f32 v[110:111], v[148:149], v[132:133], v[100:101] op_sel_hi:[1,0,1]
	v_pk_mul_f32 v[102:103], v[196:197], v[102:103] op_sel_hi:[1,0]
	v_mov_b32_e32 v99, v107
	v_pk_add_f32 v[96:97], v[104:105], v[96:97]
	s_wait_loadcnt 0x2
	v_pk_mul_f32 v[108:109], v[152:153], v[136:137] op_sel:[1,1] op_sel_hi:[0,1]
	v_mov_b32_e32 v104, v139
	v_pk_fma_f32 v[100:101], v[148:149], v[132:133], v[100:101] neg_lo:[0,0,1] neg_hi:[0,0,1]
	v_mov_b32_e32 v101, v111
	v_pk_fma_f32 v[106:107], v[150:151], v[134:135], v[102:103] op_sel_hi:[1,0,1]
	v_pk_add_f32 v[96:97], v[96:97], v[98:99]
	v_pk_fma_f32 v[98:99], v[152:153], v[136:137], v[108:109] op_sel_hi:[1,0,1]
	v_pk_mul_f32 v[104:105], v[198:199], v[104:105] op_sel_hi:[1,0]
	v_pk_fma_f32 v[102:103], v[150:151], v[134:135], v[102:103] neg_lo:[0,0,1] neg_hi:[0,0,1]
	v_mov_b32_e32 v103, v107
	v_pk_add_f32 v[96:97], v[96:97], v[100:101]
	v_pk_fma_f32 v[106:107], v[152:153], v[136:137], v[108:109] neg_lo:[0,0,1] neg_hi:[0,0,1]
	v_mov_b32_e32 v107, v99
	v_pk_fma_f32 v[98:99], v[154:155], v[138:139], v[104:105] op_sel_hi:[1,0,1]
	s_wait_loadcnt 0x1
	v_pk_mul_f32 v[100:101], v[156:157], v[140:141] op_sel:[1,1] op_sel_hi:[0,1]
	v_pk_add_f32 v[96:97], v[96:97], v[102:103]
	v_mov_b32_e32 v98, v143
	v_pk_fma_f32 v[104:105], v[154:155], v[138:139], v[104:105] neg_lo:[0,0,1] neg_hi:[0,0,1]
	v_mov_b32_e32 v105, v99
	v_pk_fma_f32 v[102:103], v[156:157], v[140:141], v[100:101] op_sel_hi:[1,0,1]
	v_pk_add_f32 v[96:97], v[96:97], v[106:107]
	v_pk_mul_f32 v[98:99], v[200:201], v[98:99] op_sel_hi:[1,0]
	v_pk_fma_f32 v[100:101], v[156:157], v[140:141], v[100:101] neg_lo:[0,0,1] neg_hi:[0,0,1]
	s_delay_alu instid0(VALU_DEP_4) | instskip(NEXT) | instid1(VALU_DEP_4)
	v_mov_b32_e32 v101, v103
	v_pk_add_f32 v[96:97], v[96:97], v[104:105]
	s_delay_alu instid0(VALU_DEP_4) | instskip(SKIP_1) | instid1(VALU_DEP_2)
	v_pk_fma_f32 v[102:103], v[158:159], v[142:143], v[98:99] op_sel_hi:[1,0,1]
	v_pk_fma_f32 v[98:99], v[158:159], v[142:143], v[98:99] neg_lo:[0,0,1] neg_hi:[0,0,1]
	v_mov_b32_e32 v99, v103
	s_delay_alu instid0(VALU_DEP_4) | instskip(NEXT) | instid1(VALU_DEP_1)
	v_pk_add_f32 v[96:97], v[96:97], v[100:101]
	v_pk_add_f32 v[96:97], v[96:97], v[98:99]
	s_wait_loadcnt 0x0
	s_delay_alu instid0(VALU_DEP_1)
	v_pk_add_f32 v[96:97], v[192:193], v[96:97] neg_lo:[0,1] neg_hi:[0,1]
	scratch_store_b64 off, v[96:97], off offset:176
	s_wait_xcnt 0x0
	v_cmpx_lt_u32_e32 21, v0
	s_cbranch_execz .LBB46_253
; %bb.252:
	scratch_load_b64 v[96:97], off, off offset:168
	v_mov_b64_e32 v[98:99], 0
	scratch_store_b64 off, v[98:99], off offset:168
	s_wait_loadcnt 0x0
	ds_store_b64 v1, v[96:97]
.LBB46_253:
	s_wait_xcnt 0x0
	s_or_b32 exec_lo, exec_lo, s0
	s_wait_storecnt_dscnt 0x0
	s_barrier_signal -1
	s_barrier_wait -1
	s_clause 0xd
	scratch_load_b128 v[96:99], off, off offset:176
	scratch_load_b128 v[100:103], off, off offset:192
	;; [unrolled: 1-line block ×12, first 2 shown]
	scratch_load_b64 v[192:193], off, off offset:368
	scratch_load_b64 v[194:195], off, off offset:168
	v_mov_b32_e32 v5, 0
	ds_load_b128 v[144:147], v5 offset:688
	ds_load_b128 v[148:151], v5 offset:704
	;; [unrolled: 1-line block ×12, first 2 shown]
	ds_load_b64 v[196:197], v5 offset:752
	s_mov_b32 s0, exec_lo
	s_wait_dscnt 0xc
	v_dual_mov_b32 v198, v147 :: v_dual_mov_b32 v199, v146
	s_wait_dscnt 0x9
	v_dual_mov_b32 v200, v151 :: v_dual_mov_b32 v205, v158
	v_dual_mov_b32 v201, v150 :: v_dual_mov_b32 v202, v155
	;; [unrolled: 1-line block ×3, first 2 shown]
	s_wait_loadcnt_dscnt 0xd08
	v_dual_mul_f32 v7, v160, v97 :: v_dual_mul_f32 v39, v161, v97
	v_dual_mul_f32 v41, v163, v99 :: v_dual_mul_f32 v11, v162, v99
	s_wait_loadcnt_dscnt 0xc07
	v_mul_f32_e32 v13, v164, v101
	s_wait_loadcnt_dscnt 0xa05
	v_dual_mul_f32 v51, v173, v109 :: v_dual_fma_f32 v39, v160, v96, -v39
	v_dual_fmac_f32 v7, v161, v96 :: v_dual_mul_f32 v53, v175, v111
	v_dual_mul_f32 v43, v165, v101 :: v_dual_mul_f32 v45, v167, v103
	v_dual_fmac_f32 v11, v163, v98 :: v_dual_fma_f32 v41, v162, v98, -v41
	s_wait_loadcnt_dscnt 0x904
	s_delay_alu instid0(VALU_DEP_3) | instskip(SKIP_2) | instid1(VALU_DEP_3)
	v_dual_add_f32 v7, 0, v7 :: v_dual_mul_f32 v55, v177, v113
	v_dual_add_f32 v39, 0, v39 :: v_dual_fmac_f32 v13, v165, v100
	v_dual_mul_f32 v15, v166, v103 :: v_dual_mul_f32 v17, v168, v105
	v_dual_fma_f32 v43, v164, v100, -v43 :: v_dual_add_f32 v7, v7, v11
	s_delay_alu instid0(VALU_DEP_3) | instskip(SKIP_1) | instid1(VALU_DEP_4)
	v_dual_add_f32 v11, v39, v41 :: v_dual_fma_f32 v41, v166, v102, -v45
	v_dual_mul_f32 v47, v169, v105 :: v_dual_mul_f32 v49, v171, v107
	v_dual_fmac_f32 v15, v167, v102 :: v_dual_fmac_f32 v17, v169, v104
	s_delay_alu instid0(VALU_DEP_4) | instskip(NEXT) | instid1(VALU_DEP_4)
	v_add_f32_e32 v7, v7, v13
	v_add_f32_e32 v11, v11, v43
	v_dual_mul_f32 v19, v170, v107 :: v_dual_mul_f32 v21, v172, v109
	s_delay_alu instid0(VALU_DEP_3) | instskip(NEXT) | instid1(VALU_DEP_3)
	v_dual_fma_f32 v43, v168, v104, -v47 :: v_dual_add_f32 v7, v7, v15
	v_dual_add_f32 v11, v11, v41 :: v_dual_mul_f32 v23, v174, v111
	s_delay_alu instid0(VALU_DEP_3) | instskip(NEXT) | instid1(VALU_DEP_3)
	v_dual_mul_f32 v25, v176, v113 :: v_dual_fmac_f32 v19, v171, v106
	v_dual_fma_f32 v41, v170, v106, -v49 :: v_dual_add_f32 v7, v7, v17
	s_delay_alu instid0(VALU_DEP_3) | instskip(NEXT) | instid1(VALU_DEP_3)
	v_dual_fmac_f32 v21, v173, v108 :: v_dual_add_f32 v11, v11, v43
	v_dual_fmac_f32 v25, v177, v112 :: v_dual_mul_f32 v39, v179, v115
	s_wait_loadcnt_dscnt 0x803
	v_dual_mul_f32 v13, v181, v117 :: v_dual_mul_f32 v15, v183, v119
	s_delay_alu instid0(VALU_DEP_3) | instskip(NEXT) | instid1(VALU_DEP_3)
	v_dual_fma_f32 v43, v172, v108, -v51 :: v_dual_add_f32 v11, v11, v41
	v_fma_f32 v39, v178, v114, -v39
	v_dual_fma_f32 v41, v174, v110, -v53 :: v_dual_add_f32 v7, v7, v19
	v_dual_mul_f32 v27, v178, v115 :: v_dual_mul_f32 v29, v180, v117
	v_fmac_f32_e32 v23, v175, v110
	v_dual_add_f32 v11, v11, v43 :: v_dual_fma_f32 v15, v182, v118, -v15
	s_delay_alu instid0(VALU_DEP_4) | instskip(SKIP_4) | instid1(VALU_DEP_2)
	v_dual_fma_f32 v43, v176, v112, -v55 :: v_dual_add_f32 v7, v7, v21
	v_dual_fma_f32 v13, v180, v116, -v13 :: v_dual_mul_f32 v31, v182, v119
	s_wait_loadcnt_dscnt 0x702
	v_dual_mul_f32 v33, v184, v121 :: v_dual_mul_f32 v17, v185, v121
	v_dual_add_f32 v11, v11, v41 :: v_dual_fmac_f32 v29, v181, v116
	v_dual_add_f32 v7, v7, v23 :: v_dual_fmac_f32 v33, v185, v120
	s_wait_loadcnt_dscnt 0x601
	v_dual_mul_f32 v19, v187, v123 :: v_dual_mul_f32 v21, v189, v125
	v_dual_mul_f32 v35, v186, v123 :: v_dual_mul_f32 v37, v188, v125
	s_delay_alu instid0(VALU_DEP_3) | instskip(SKIP_4) | instid1(VALU_DEP_3)
	v_add_f32_e32 v7, v7, v25
	s_wait_loadcnt 0x5
	v_dual_mul_f32 v25, v145, v129 :: v_dual_mul_f32 v23, v191, v127
	v_add_f32_e32 v11, v11, v43
	v_dual_fmac_f32 v27, v179, v114 :: v_dual_fmac_f32 v37, v189, v124
	v_dual_fma_f32 v208, v144, v128, -v25 :: v_dual_mov_b32 v96, v131
	s_wait_loadcnt 0x4
	v_mov_b32_e32 v100, v135
	v_add_f32_e32 v11, v11, v39
	v_dual_mul_f32 v207, v190, v127 :: v_dual_mul_f32 v209, v144, v129
	v_pk_mul_f32 v[96:97], v[198:199], v[96:97] op_sel_hi:[1,0]
	v_fmac_f32_e32 v35, v187, v122
	s_delay_alu instid0(VALU_DEP_4) | instskip(NEXT) | instid1(VALU_DEP_4)
	v_dual_add_f32 v11, v11, v13 :: v_dual_fma_f32 v13, v184, v120, -v17
	v_fmac_f32_e32 v209, v145, v128
	s_delay_alu instid0(VALU_DEP_4) | instskip(SKIP_1) | instid1(VALU_DEP_4)
	v_pk_fma_f32 v[108:109], v[146:147], v[130:131], v[96:97] op_sel_hi:[1,0,1]
	v_fmac_f32_e32 v31, v183, v118
	v_add_f32_e32 v11, v11, v15
	v_pk_fma_f32 v[96:97], v[146:147], v[130:131], v[96:97] neg_lo:[0,0,1] neg_hi:[0,0,1]
	s_delay_alu instid0(VALU_DEP_4) | instskip(SKIP_1) | instid1(VALU_DEP_4)
	v_dual_fma_f32 v15, v186, v122, -v19 :: v_dual_mov_b32 v97, v109
	v_fmac_f32_e32 v207, v191, v126
	v_dual_add_f32 v11, v11, v13 :: v_dual_fma_f32 v13, v188, v124, -v21
	v_dual_add_f32 v7, v7, v27 :: v_dual_fma_f32 v206, v190, v126, -v23
	v_pk_mul_f32 v[98:99], v[148:149], v[132:133] op_sel:[1,1] op_sel_hi:[0,1]
	s_delay_alu instid0(VALU_DEP_3) | instskip(SKIP_1) | instid1(VALU_DEP_4)
	v_add_f32_e32 v11, v11, v15
	v_pk_mul_f32 v[100:101], v[200:201], v[100:101] op_sel_hi:[1,0]
	v_add_f32_e32 v7, v7, v29
	s_wait_loadcnt 0x3
	v_pk_mul_f32 v[102:103], v[152:153], v[136:137] op_sel:[1,1] op_sel_hi:[0,1]
	v_pk_fma_f32 v[110:111], v[148:149], v[132:133], v[98:99] op_sel_hi:[1,0,1]
	v_add_f32_e32 v104, v11, v13
	v_pk_fma_f32 v[98:99], v[148:149], v[132:133], v[98:99] neg_lo:[0,0,1] neg_hi:[0,0,1]
	v_add_f32_e32 v7, v7, v31
	s_delay_alu instid0(VALU_DEP_4) | instskip(SKIP_2) | instid1(VALU_DEP_4)
	v_dual_mov_b32 v106, v139 :: v_dual_mov_b32 v99, v111
	v_pk_fma_f32 v[110:111], v[150:151], v[134:135], v[100:101] op_sel_hi:[1,0,1]
	v_pk_fma_f32 v[100:101], v[150:151], v[134:135], v[100:101] neg_lo:[0,0,1] neg_hi:[0,0,1]
	v_add_f32_e32 v7, v7, v33
	s_delay_alu instid0(VALU_DEP_4) | instskip(SKIP_4) | instid1(VALU_DEP_1)
	v_pk_mul_f32 v[106:107], v[202:203], v[106:107] op_sel_hi:[1,0]
	s_wait_loadcnt 0x2
	v_pk_mul_f32 v[108:109], v[156:157], v[140:141] op_sel:[1,1] op_sel_hi:[0,1]
	v_mov_b32_e32 v101, v111
	v_add_f32_e32 v7, v7, v35
	v_add_f32_e32 v105, v7, v37
	s_delay_alu instid0(VALU_DEP_1) | instskip(NEXT) | instid1(VALU_DEP_1)
	v_pk_add_f32 v[104:105], v[104:105], v[206:207]
	v_pk_add_f32 v[104:105], v[104:105], v[208:209]
	s_delay_alu instid0(VALU_DEP_1) | instskip(SKIP_2) | instid1(VALU_DEP_3)
	v_pk_add_f32 v[96:97], v[104:105], v[96:97]
	v_pk_fma_f32 v[104:105], v[152:153], v[136:137], v[102:103] op_sel_hi:[1,0,1]
	v_pk_fma_f32 v[102:103], v[152:153], v[136:137], v[102:103] neg_lo:[0,0,1] neg_hi:[0,0,1]
	v_pk_add_f32 v[96:97], v[96:97], v[98:99]
	s_delay_alu instid0(VALU_DEP_3) | instskip(SKIP_2) | instid1(VALU_DEP_4)
	v_dual_mov_b32 v98, v143 :: v_dual_mov_b32 v103, v105
	v_pk_fma_f32 v[104:105], v[154:155], v[138:139], v[106:107] op_sel_hi:[1,0,1]
	v_pk_fma_f32 v[106:107], v[154:155], v[138:139], v[106:107] neg_lo:[0,0,1] neg_hi:[0,0,1]
	v_pk_add_f32 v[96:97], v[96:97], v[100:101]
	v_pk_fma_f32 v[100:101], v[156:157], v[140:141], v[108:109] op_sel_hi:[1,0,1]
	v_pk_mul_f32 v[98:99], v[204:205], v[98:99] op_sel_hi:[1,0]
	v_mov_b32_e32 v107, v105
	s_wait_loadcnt_dscnt 0x100
	v_pk_mul_f32 v[104:105], v[196:197], v[192:193] op_sel:[1,1] op_sel_hi:[0,1]
	v_pk_add_f32 v[96:97], v[96:97], v[102:103]
	v_pk_fma_f32 v[102:103], v[156:157], v[140:141], v[108:109] neg_lo:[0,0,1] neg_hi:[0,0,1]
	v_mov_b32_e32 v103, v101
	v_pk_fma_f32 v[100:101], v[158:159], v[142:143], v[98:99] op_sel_hi:[1,0,1]
	v_pk_fma_f32 v[98:99], v[158:159], v[142:143], v[98:99] neg_lo:[0,0,1] neg_hi:[0,0,1]
	v_pk_add_f32 v[96:97], v[96:97], v[106:107]
	s_delay_alu instid0(VALU_DEP_3) | instskip(SKIP_1) | instid1(VALU_DEP_3)
	v_mov_b32_e32 v99, v101
	v_pk_fma_f32 v[100:101], v[196:197], v[192:193], v[104:105] op_sel_hi:[1,0,1]
	v_pk_add_f32 v[96:97], v[96:97], v[102:103]
	v_pk_fma_f32 v[102:103], v[196:197], v[192:193], v[104:105] neg_lo:[0,0,1] neg_hi:[0,0,1]
	s_delay_alu instid0(VALU_DEP_3) | instskip(NEXT) | instid1(VALU_DEP_3)
	v_mov_b32_e32 v103, v101
	v_pk_add_f32 v[96:97], v[96:97], v[98:99]
	s_delay_alu instid0(VALU_DEP_1) | instskip(SKIP_1) | instid1(VALU_DEP_1)
	v_pk_add_f32 v[96:97], v[96:97], v[102:103]
	s_wait_loadcnt 0x0
	v_pk_add_f32 v[96:97], v[194:195], v[96:97] neg_lo:[0,1] neg_hi:[0,1]
	scratch_store_b64 off, v[96:97], off offset:168
	s_wait_xcnt 0x0
	v_cmpx_lt_u32_e32 20, v0
	s_cbranch_execz .LBB46_255
; %bb.254:
	scratch_load_b64 v[96:97], off, off offset:160
	v_mov_b64_e32 v[98:99], 0
	scratch_store_b64 off, v[98:99], off offset:160
	s_wait_loadcnt 0x0
	ds_store_b64 v1, v[96:97]
.LBB46_255:
	s_wait_xcnt 0x0
	s_or_b32 exec_lo, exec_lo, s0
	s_wait_storecnt_dscnt 0x0
	s_barrier_signal -1
	s_barrier_wait -1
	s_clause 0xd
	scratch_load_b128 v[96:99], off, off offset:168
	scratch_load_b128 v[100:103], off, off offset:184
	;; [unrolled: 1-line block ×13, first 2 shown]
	scratch_load_b64 v[200:201], off, off offset:160
	ds_load_2addr_b64 v[148:151], v5 offset0:87 offset1:88
	ds_load_2addr_b64 v[152:155], v5 offset0:89 offset1:90
	;; [unrolled: 1-line block ×13, first 2 shown]
	s_mov_b32 s0, exec_lo
	s_wait_dscnt 0xc
	v_dual_mov_b32 v202, v151 :: v_dual_mov_b32 v203, v150
	s_wait_dscnt 0xb
	v_dual_mov_b32 v204, v155 :: v_dual_mov_b32 v205, v154
	;; [unrolled: 2-line block ×4, first 2 shown]
	s_wait_loadcnt_dscnt 0xd08
	v_dual_mul_f32 v5, v164, v97 :: v_dual_mul_f32 v7, v166, v99
	v_dual_mul_f32 v39, v165, v97 :: v_dual_mul_f32 v41, v167, v99
	s_wait_loadcnt_dscnt 0xc07
	v_dual_mul_f32 v11, v168, v101 :: v_dual_mul_f32 v13, v170, v103
	s_delay_alu instid0(VALU_DEP_2) | instskip(SKIP_3) | instid1(VALU_DEP_3)
	v_dual_fmac_f32 v5, v165, v96 :: v_dual_fma_f32 v39, v164, v96, -v39
	v_dual_mul_f32 v43, v169, v101 :: v_dual_mul_f32 v45, v171, v103
	s_wait_loadcnt_dscnt 0xa05
	v_dual_mul_f32 v51, v177, v109 :: v_dual_fmac_f32 v7, v167, v98
	v_dual_fma_f32 v41, v166, v98, -v41 :: v_dual_add_f32 v5, 0, v5
	v_dual_add_f32 v39, 0, v39 :: v_dual_fmac_f32 v11, v169, v100
	v_dual_mul_f32 v53, v179, v111 :: v_dual_fma_f32 v43, v168, v100, -v43
	s_delay_alu instid0(VALU_DEP_2)
	v_dual_add_f32 v5, v5, v7 :: v_dual_add_f32 v7, v39, v41
	v_dual_mul_f32 v15, v172, v105 :: v_dual_mul_f32 v17, v174, v107
	v_dual_mul_f32 v47, v173, v105 :: v_dual_mul_f32 v49, v175, v107
	s_wait_loadcnt_dscnt 0x903
	v_dual_mul_f32 v39, v185, v113 :: v_dual_fmac_f32 v13, v171, v102
	v_dual_fma_f32 v41, v170, v102, -v45 :: v_dual_add_f32 v5, v5, v11
	v_dual_add_f32 v7, v7, v43 :: v_dual_fmac_f32 v15, v173, v104
	v_dual_mul_f32 v11, v187, v115 :: v_dual_fma_f32 v43, v172, v104, -v47
	s_delay_alu instid0(VALU_DEP_3) | instskip(NEXT) | instid1(VALU_DEP_3)
	v_dual_add_f32 v5, v5, v13 :: v_dual_fmac_f32 v17, v175, v106
	v_dual_add_f32 v7, v7, v41 :: v_dual_fma_f32 v41, v174, v106, -v49
	v_dual_mul_f32 v19, v176, v109 :: v_dual_mul_f32 v21, v178, v111
	s_wait_loadcnt_dscnt 0x802
	s_delay_alu instid0(VALU_DEP_2) | instskip(SKIP_1) | instid1(VALU_DEP_3)
	v_dual_mul_f32 v13, v189, v117 :: v_dual_add_f32 v7, v7, v43
	v_dual_add_f32 v5, v5, v15 :: v_dual_fma_f32 v43, v176, v108, -v51
	v_dual_mul_f32 v15, v191, v119 :: v_dual_fmac_f32 v19, v177, v108
	s_delay_alu instid0(VALU_DEP_3) | instskip(NEXT) | instid1(VALU_DEP_3)
	v_dual_add_f32 v7, v7, v41 :: v_dual_fma_f32 v41, v178, v110, -v53
	v_dual_add_f32 v5, v5, v17 :: v_dual_fmac_f32 v21, v179, v110
	v_dual_mul_f32 v23, v184, v113 :: v_dual_mul_f32 v25, v186, v115
	s_wait_loadcnt_dscnt 0x701
	s_delay_alu instid0(VALU_DEP_3) | instskip(NEXT) | instid1(VALU_DEP_3)
	v_dual_mul_f32 v17, v193, v121 :: v_dual_add_f32 v7, v7, v43
	v_dual_add_f32 v5, v5, v19 :: v_dual_fma_f32 v39, v184, v112, -v39
	s_delay_alu instid0(VALU_DEP_3) | instskip(NEXT) | instid1(VALU_DEP_3)
	v_dual_mul_f32 v19, v195, v123 :: v_dual_fmac_f32 v23, v185, v112
	v_dual_add_f32 v7, v7, v41 :: v_dual_fma_f32 v11, v186, v114, -v11
	s_delay_alu instid0(VALU_DEP_3) | instskip(SKIP_2) | instid1(VALU_DEP_3)
	v_dual_add_f32 v5, v5, v21 :: v_dual_fmac_f32 v25, v187, v114
	v_dual_mul_f32 v27, v188, v117 :: v_dual_mul_f32 v29, v190, v119
	s_wait_loadcnt_dscnt 0x600
	v_dual_mul_f32 v21, v197, v125 :: v_dual_add_f32 v7, v7, v39
	s_delay_alu instid0(VALU_DEP_3) | instskip(NEXT) | instid1(VALU_DEP_3)
	v_dual_add_f32 v5, v5, v23 :: v_dual_fma_f32 v13, v188, v116, -v13
	v_dual_mul_f32 v23, v199, v127 :: v_dual_fmac_f32 v27, v189, v116
	s_delay_alu instid0(VALU_DEP_2) | instskip(SKIP_3) | instid1(VALU_DEP_3)
	v_dual_add_f32 v7, v7, v11 :: v_dual_add_f32 v5, v5, v25
	v_dual_mul_f32 v31, v192, v121 :: v_dual_mul_f32 v33, v194, v123
	s_wait_loadcnt 0x5
	v_dual_mul_f32 v11, v181, v129 :: v_dual_fmac_f32 v29, v191, v118
	v_dual_fma_f32 v15, v190, v118, -v15 :: v_dual_add_f32 v5, v5, v27
	s_delay_alu instid0(VALU_DEP_3) | instskip(SKIP_1) | instid1(VALU_DEP_2)
	v_dual_add_f32 v7, v7, v13 :: v_dual_fmac_f32 v31, v193, v120
	v_dual_mul_f32 v13, v183, v131 :: v_dual_fma_f32 v17, v192, v120, -v17
	v_dual_add_f32 v5, v5, v29 :: v_dual_add_f32 v7, v7, v15
	v_dual_mul_f32 v35, v196, v125 :: v_dual_mul_f32 v37, v198, v127
	v_dual_fmac_f32 v33, v195, v122 :: v_dual_fma_f32 v15, v194, v122, -v19
	s_delay_alu instid0(VALU_DEP_3) | instskip(SKIP_1) | instid1(VALU_DEP_3)
	v_dual_add_f32 v5, v5, v31 :: v_dual_add_f32 v7, v7, v17
	s_wait_loadcnt 0x4
	v_dual_mov_b32 v98, v135 :: v_dual_fmac_f32 v35, v197, v124
	s_delay_alu instid0(VALU_DEP_2) | instskip(NEXT) | instid1(VALU_DEP_3)
	v_dual_fma_f32 v17, v196, v124, -v21 :: v_dual_add_f32 v5, v5, v33
	v_dual_add_f32 v7, v7, v15 :: v_dual_fma_f32 v15, v198, v126, -v23
	v_dual_mul_f32 v211, v180, v129 :: v_dual_mul_f32 v213, v182, v131
	s_delay_alu instid0(VALU_DEP_3) | instskip(NEXT) | instid1(VALU_DEP_2)
	v_dual_fmac_f32 v37, v199, v126 :: v_dual_add_f32 v5, v5, v35
	v_dual_add_f32 v7, v7, v17 :: v_dual_fmac_f32 v211, v181, v128
	v_pk_mul_f32 v[96:97], v[148:149], v[132:133] op_sel:[1,1] op_sel_hi:[0,1]
	s_wait_loadcnt 0x3
	v_dual_mov_b32 v102, v139 :: v_dual_fma_f32 v210, v180, v128, -v11
	s_delay_alu instid0(VALU_DEP_3)
	v_dual_add_f32 v105, v5, v37 :: v_dual_add_f32 v104, v7, v15
	v_fmac_f32_e32 v213, v183, v130
	v_pk_fma_f32 v[106:107], v[148:149], v[132:133], v[96:97] op_sel_hi:[1,0,1]
	v_fma_f32 v212, v182, v130, -v13
	v_pk_mul_f32 v[98:99], v[202:203], v[98:99] op_sel_hi:[1,0]
	v_pk_add_f32 v[104:105], v[104:105], v[210:211]
	v_pk_fma_f32 v[96:97], v[148:149], v[132:133], v[96:97] neg_lo:[0,0,1] neg_hi:[0,0,1]
	v_pk_mul_f32 v[100:101], v[152:153], v[136:137] op_sel:[1,1] op_sel_hi:[0,1]
	v_mov_b32_e32 v97, v107
	v_pk_fma_f32 v[106:107], v[150:151], v[134:135], v[98:99] op_sel_hi:[1,0,1]
	v_pk_add_f32 v[104:105], v[104:105], v[212:213]
	v_pk_fma_f32 v[98:99], v[150:151], v[134:135], v[98:99] neg_lo:[0,0,1] neg_hi:[0,0,1]
	v_pk_fma_f32 v[110:111], v[152:153], v[136:137], v[100:101] op_sel_hi:[1,0,1]
	v_pk_mul_f32 v[102:103], v[204:205], v[102:103] op_sel_hi:[1,0]
	v_mov_b32_e32 v99, v107
	v_pk_add_f32 v[96:97], v[104:105], v[96:97]
	s_wait_loadcnt 0x2
	v_pk_mul_f32 v[108:109], v[156:157], v[140:141] op_sel:[1,1] op_sel_hi:[0,1]
	v_mov_b32_e32 v104, v143
	v_pk_fma_f32 v[100:101], v[152:153], v[136:137], v[100:101] neg_lo:[0,0,1] neg_hi:[0,0,1]
	v_pk_fma_f32 v[106:107], v[154:155], v[138:139], v[102:103] op_sel_hi:[1,0,1]
	v_mov_b32_e32 v101, v111
	v_pk_add_f32 v[96:97], v[96:97], v[98:99]
	v_pk_fma_f32 v[98:99], v[156:157], v[140:141], v[108:109] op_sel_hi:[1,0,1]
	v_pk_mul_f32 v[104:105], v[206:207], v[104:105] op_sel_hi:[1,0]
	v_pk_fma_f32 v[102:103], v[154:155], v[138:139], v[102:103] neg_lo:[0,0,1] neg_hi:[0,0,1]
	v_mov_b32_e32 v103, v107
	v_pk_add_f32 v[96:97], v[96:97], v[100:101]
	v_pk_fma_f32 v[106:107], v[156:157], v[140:141], v[108:109] neg_lo:[0,0,1] neg_hi:[0,0,1]
	v_mov_b32_e32 v107, v99
	v_pk_fma_f32 v[98:99], v[158:159], v[142:143], v[104:105] op_sel_hi:[1,0,1]
	s_wait_loadcnt 0x1
	v_pk_mul_f32 v[100:101], v[160:161], v[144:145] op_sel:[1,1] op_sel_hi:[0,1]
	v_pk_add_f32 v[96:97], v[96:97], v[102:103]
	v_mov_b32_e32 v98, v147
	v_pk_fma_f32 v[104:105], v[158:159], v[142:143], v[104:105] neg_lo:[0,0,1] neg_hi:[0,0,1]
	s_delay_alu instid0(VALU_DEP_4)
	v_pk_fma_f32 v[102:103], v[160:161], v[144:145], v[100:101] op_sel_hi:[1,0,1]
	v_mov_b32_e32 v105, v99
	v_pk_add_f32 v[96:97], v[96:97], v[106:107]
	v_pk_mul_f32 v[98:99], v[208:209], v[98:99] op_sel_hi:[1,0]
	v_pk_fma_f32 v[100:101], v[160:161], v[144:145], v[100:101] neg_lo:[0,0,1] neg_hi:[0,0,1]
	v_mov_b32_e32 v101, v103
	s_delay_alu instid0(VALU_DEP_4) | instskip(NEXT) | instid1(VALU_DEP_4)
	v_pk_add_f32 v[96:97], v[96:97], v[104:105]
	v_pk_fma_f32 v[102:103], v[162:163], v[146:147], v[98:99] op_sel_hi:[1,0,1]
	v_pk_fma_f32 v[98:99], v[162:163], v[146:147], v[98:99] neg_lo:[0,0,1] neg_hi:[0,0,1]
	s_delay_alu instid0(VALU_DEP_3) | instskip(NEXT) | instid1(VALU_DEP_3)
	v_pk_add_f32 v[96:97], v[96:97], v[100:101]
	v_mov_b32_e32 v99, v103
	s_delay_alu instid0(VALU_DEP_1) | instskip(SKIP_1) | instid1(VALU_DEP_1)
	v_pk_add_f32 v[96:97], v[96:97], v[98:99]
	s_wait_loadcnt 0x0
	v_pk_add_f32 v[96:97], v[200:201], v[96:97] neg_lo:[0,1] neg_hi:[0,1]
	scratch_store_b64 off, v[96:97], off offset:160
	s_wait_xcnt 0x0
	v_cmpx_lt_u32_e32 19, v0
	s_cbranch_execz .LBB46_257
; %bb.256:
	scratch_load_b64 v[96:97], off, off offset:152
	v_mov_b64_e32 v[98:99], 0
	scratch_store_b64 off, v[98:99], off offset:152
	s_wait_loadcnt 0x0
	ds_store_b64 v1, v[96:97]
.LBB46_257:
	s_wait_xcnt 0x0
	s_or_b32 exec_lo, exec_lo, s0
	s_wait_storecnt_dscnt 0x0
	s_barrier_signal -1
	s_barrier_wait -1
	s_clause 0xe
	scratch_load_b128 v[96:99], off, off offset:160
	scratch_load_b128 v[100:103], off, off offset:176
	;; [unrolled: 1-line block ×13, first 2 shown]
	scratch_load_b64 v[200:201], off, off offset:368
	scratch_load_b64 v[202:203], off, off offset:152
	v_mov_b32_e32 v5, 0
	ds_load_b128 v[148:151], v5 offset:688
	ds_load_b128 v[152:155], v5 offset:704
	;; [unrolled: 1-line block ×13, first 2 shown]
	ds_load_b64 v[204:205], v5 offset:752
	s_mov_b32 s0, exec_lo
	s_wait_dscnt 0xd
	v_dual_mov_b32 v206, v151 :: v_dual_mov_b32 v207, v150
	s_wait_dscnt 0xa
	v_dual_mov_b32 v208, v155 :: v_dual_mov_b32 v213, v162
	v_dual_mov_b32 v209, v154 :: v_dual_mov_b32 v210, v159
	;; [unrolled: 1-line block ×3, first 2 shown]
	s_wait_loadcnt_dscnt 0xe09
	v_dual_mul_f32 v7, v164, v97 :: v_dual_mul_f32 v43, v165, v97
	v_dual_mul_f32 v45, v167, v99 :: v_dual_mul_f32 v11, v166, v99
	s_wait_loadcnt_dscnt 0xd08
	v_mul_f32_e32 v13, v168, v101
	s_wait_loadcnt_dscnt 0xb05
	v_dual_mul_f32 v55, v181, v109 :: v_dual_fma_f32 v43, v164, v96, -v43
	v_dual_fmac_f32 v7, v165, v96 :: v_dual_mul_f32 v57, v183, v111
	v_dual_mul_f32 v47, v169, v101 :: v_dual_mul_f32 v49, v171, v103
	v_dual_fmac_f32 v11, v167, v98 :: v_dual_fma_f32 v45, v166, v98, -v45
	s_wait_loadcnt_dscnt 0xa04
	s_delay_alu instid0(VALU_DEP_3) | instskip(SKIP_1) | instid1(VALU_DEP_2)
	v_dual_add_f32 v7, 0, v7 :: v_dual_mul_f32 v59, v185, v113
	v_dual_add_f32 v43, 0, v43 :: v_dual_fmac_f32 v13, v169, v100
	v_dual_fma_f32 v47, v168, v100, -v47 :: v_dual_add_f32 v7, v7, v11
	v_dual_mul_f32 v51, v173, v105 :: v_dual_mul_f32 v53, v175, v107
	s_delay_alu instid0(VALU_DEP_3) | instskip(SKIP_2) | instid1(VALU_DEP_3)
	v_dual_add_f32 v11, v43, v45 :: v_dual_fma_f32 v45, v170, v102, -v49
	v_dual_mul_f32 v15, v170, v103 :: v_dual_mul_f32 v17, v172, v105
	v_dual_mul_f32 v19, v174, v107 :: v_dual_mul_f32 v21, v180, v109
	v_add_f32_e32 v11, v11, v47
	v_dual_add_f32 v7, v7, v13 :: v_dual_fma_f32 v47, v172, v104, -v51
	v_dual_mul_f32 v23, v182, v111 :: v_dual_mul_f32 v25, v184, v113
	s_delay_alu instid0(VALU_DEP_3) | instskip(SKIP_1) | instid1(VALU_DEP_2)
	v_dual_add_f32 v11, v11, v45 :: v_dual_fmac_f32 v21, v181, v108
	v_dual_fmac_f32 v15, v171, v102 :: v_dual_fmac_f32 v17, v173, v104
	v_dual_fma_f32 v45, v174, v106, -v53 :: v_dual_add_f32 v11, v11, v47
	s_delay_alu instid0(VALU_DEP_4) | instskip(SKIP_1) | instid1(VALU_DEP_3)
	v_dual_fmac_f32 v25, v185, v112 :: v_dual_mul_f32 v43, v187, v115
	s_wait_loadcnt_dscnt 0x903
	v_dual_mul_f32 v13, v189, v117 :: v_dual_add_f32 v7, v7, v15
	v_dual_mul_f32 v15, v191, v119 :: v_dual_fma_f32 v47, v180, v108, -v55
	s_delay_alu instid0(VALU_DEP_3) | instskip(SKIP_1) | instid1(VALU_DEP_4)
	v_dual_add_f32 v11, v11, v45 :: v_dual_fma_f32 v43, v186, v114, -v43
	v_fmac_f32_e32 v19, v175, v106
	v_dual_add_f32 v7, v7, v17 :: v_dual_fma_f32 v45, v182, v110, -v57
	s_delay_alu instid0(VALU_DEP_3) | instskip(SKIP_2) | instid1(VALU_DEP_3)
	v_dual_add_f32 v11, v11, v47 :: v_dual_fma_f32 v15, v190, v118, -v15
	s_wait_loadcnt_dscnt 0x802
	v_dual_mul_f32 v31, v190, v119 :: v_dual_mul_f32 v33, v192, v121
	v_dual_add_f32 v7, v7, v19 :: v_dual_fma_f32 v47, v184, v112, -v59
	s_delay_alu instid0(VALU_DEP_3) | instskip(SKIP_1) | instid1(VALU_DEP_3)
	v_dual_add_f32 v11, v11, v45 :: v_dual_mul_f32 v27, v186, v115
	v_mul_f32_e32 v29, v188, v117
	v_dual_add_f32 v7, v7, v21 :: v_dual_fma_f32 v13, v188, v116, -v13
	s_wait_loadcnt_dscnt 0x701
	v_mul_f32_e32 v21, v197, v125
	v_dual_fmac_f32 v33, v193, v120 :: v_dual_add_f32 v11, v11, v47
	s_wait_loadcnt 0x6
	v_dual_mul_f32 v39, v198, v127 :: v_dual_mul_f32 v41, v176, v129
	v_dual_fmac_f32 v23, v183, v110 :: v_dual_fmac_f32 v29, v189, v116
	s_delay_alu instid0(VALU_DEP_3) | instskip(NEXT) | instid1(VALU_DEP_2)
	v_dual_add_f32 v11, v11, v43 :: v_dual_mul_f32 v17, v193, v121
	v_dual_fmac_f32 v41, v177, v128 :: v_dual_add_f32 v7, v7, v23
	v_mul_f32_e32 v19, v195, v123
	s_delay_alu instid0(VALU_DEP_3) | instskip(SKIP_4) | instid1(VALU_DEP_3)
	v_add_f32_e32 v11, v11, v13
	s_wait_loadcnt 0x5
	v_dual_mul_f32 v13, v149, v133 :: v_dual_mul_f32 v23, v199, v127
	v_dual_fma_f32 v17, v192, v120, -v17 :: v_dual_mul_f32 v35, v194, v123
	v_mul_f32_e32 v37, v196, v125
	v_dual_fma_f32 v216, v148, v132, -v13 :: v_dual_add_f32 v11, v11, v15
	v_fmac_f32_e32 v27, v187, v114
	v_add_f32_e32 v7, v7, v25
	v_dual_mul_f32 v25, v177, v129 :: v_dual_fma_f32 v15, v194, v122, -v19
	s_delay_alu instid0(VALU_DEP_4) | instskip(SKIP_3) | instid1(VALU_DEP_3)
	v_add_f32_e32 v11, v11, v17
	s_wait_loadcnt 0x4
	v_dual_mov_b32 v96, v135 :: v_dual_mov_b32 v100, v139
	v_dual_fmac_f32 v37, v197, v124 :: v_dual_add_f32 v7, v7, v27
	v_dual_fma_f32 v17, v196, v124, -v21 :: v_dual_add_f32 v11, v11, v15
	v_dual_mul_f32 v215, v178, v131 :: v_dual_mul_f32 v217, v148, v133
	v_mul_f32_e32 v27, v179, v131
	v_fmac_f32_e32 v31, v191, v118
	s_delay_alu instid0(VALU_DEP_4) | instskip(SKIP_1) | instid1(VALU_DEP_4)
	v_dual_fma_f32 v15, v198, v126, -v23 :: v_dual_add_f32 v11, v11, v17
	v_dual_fma_f32 v17, v176, v128, -v25 :: v_dual_add_f32 v7, v7, v29
	v_fma_f32 v214, v178, v130, -v27
	v_pk_mul_f32 v[96:97], v[206:207], v[96:97] op_sel_hi:[1,0]
	v_dual_fmac_f32 v217, v149, v132 :: v_dual_fmac_f32 v35, v195, v122
	v_fmac_f32_e32 v39, v199, v126
	v_add_f32_e32 v11, v11, v15
	s_delay_alu instid0(VALU_DEP_4) | instskip(SKIP_3) | instid1(VALU_DEP_4)
	v_pk_fma_f32 v[108:109], v[150:151], v[134:135], v[96:97] op_sel_hi:[1,0,1]
	v_add_f32_e32 v7, v7, v31
	v_pk_fma_f32 v[96:97], v[150:151], v[134:135], v[96:97] neg_lo:[0,0,1] neg_hi:[0,0,1]
	v_fmac_f32_e32 v215, v179, v130
	v_dual_add_f32 v104, v11, v17 :: v_dual_mov_b32 v97, v109
	s_delay_alu instid0(VALU_DEP_4)
	v_add_f32_e32 v7, v7, v33
	v_pk_mul_f32 v[98:99], v[152:153], v[136:137] op_sel:[1,1] op_sel_hi:[0,1]
	v_pk_mul_f32 v[100:101], v[208:209], v[100:101] op_sel_hi:[1,0]
	s_wait_loadcnt 0x3
	v_pk_mul_f32 v[102:103], v[156:157], v[140:141] op_sel:[1,1] op_sel_hi:[0,1]
	s_wait_loadcnt 0x2
	v_pk_mul_f32 v[108:109], v[160:161], v[144:145] op_sel:[1,1] op_sel_hi:[0,1]
	v_add_f32_e32 v7, v7, v35
	v_pk_fma_f32 v[110:111], v[152:153], v[136:137], v[98:99] op_sel_hi:[1,0,1]
	v_pk_fma_f32 v[98:99], v[152:153], v[136:137], v[98:99] neg_lo:[0,0,1] neg_hi:[0,0,1]
	v_mov_b32_e32 v106, v143
	s_delay_alu instid0(VALU_DEP_4) | instskip(NEXT) | instid1(VALU_DEP_4)
	v_add_f32_e32 v7, v7, v37
	v_mov_b32_e32 v99, v111
	v_pk_fma_f32 v[110:111], v[154:155], v[138:139], v[100:101] op_sel_hi:[1,0,1]
	v_pk_fma_f32 v[100:101], v[154:155], v[138:139], v[100:101] neg_lo:[0,0,1] neg_hi:[0,0,1]
	v_pk_mul_f32 v[106:107], v[210:211], v[106:107] op_sel_hi:[1,0]
	v_add_f32_e32 v7, v7, v39
	s_delay_alu instid0(VALU_DEP_4) | instskip(NEXT) | instid1(VALU_DEP_2)
	v_mov_b32_e32 v101, v111
	v_add_f32_e32 v105, v7, v41
	s_delay_alu instid0(VALU_DEP_1) | instskip(NEXT) | instid1(VALU_DEP_1)
	v_pk_add_f32 v[104:105], v[104:105], v[214:215]
	v_pk_add_f32 v[104:105], v[104:105], v[216:217]
	s_delay_alu instid0(VALU_DEP_1) | instskip(SKIP_2) | instid1(VALU_DEP_3)
	v_pk_add_f32 v[96:97], v[104:105], v[96:97]
	v_pk_fma_f32 v[104:105], v[156:157], v[140:141], v[102:103] op_sel_hi:[1,0,1]
	v_pk_fma_f32 v[102:103], v[156:157], v[140:141], v[102:103] neg_lo:[0,0,1] neg_hi:[0,0,1]
	v_pk_add_f32 v[96:97], v[96:97], v[98:99]
	s_delay_alu instid0(VALU_DEP_3) | instskip(SKIP_2) | instid1(VALU_DEP_4)
	v_dual_mov_b32 v98, v147 :: v_dual_mov_b32 v103, v105
	v_pk_fma_f32 v[104:105], v[158:159], v[142:143], v[106:107] op_sel_hi:[1,0,1]
	v_pk_fma_f32 v[106:107], v[158:159], v[142:143], v[106:107] neg_lo:[0,0,1] neg_hi:[0,0,1]
	v_pk_add_f32 v[96:97], v[96:97], v[100:101]
	v_pk_fma_f32 v[100:101], v[160:161], v[144:145], v[108:109] op_sel_hi:[1,0,1]
	v_pk_mul_f32 v[98:99], v[212:213], v[98:99] op_sel_hi:[1,0]
	v_mov_b32_e32 v107, v105
	s_wait_loadcnt_dscnt 0x100
	v_pk_mul_f32 v[104:105], v[204:205], v[200:201] op_sel:[1,1] op_sel_hi:[0,1]
	v_pk_add_f32 v[96:97], v[96:97], v[102:103]
	v_pk_fma_f32 v[102:103], v[160:161], v[144:145], v[108:109] neg_lo:[0,0,1] neg_hi:[0,0,1]
	v_mov_b32_e32 v103, v101
	v_pk_fma_f32 v[100:101], v[162:163], v[146:147], v[98:99] op_sel_hi:[1,0,1]
	v_pk_fma_f32 v[98:99], v[162:163], v[146:147], v[98:99] neg_lo:[0,0,1] neg_hi:[0,0,1]
	v_pk_add_f32 v[96:97], v[96:97], v[106:107]
	s_delay_alu instid0(VALU_DEP_3) | instskip(SKIP_1) | instid1(VALU_DEP_3)
	v_mov_b32_e32 v99, v101
	v_pk_fma_f32 v[100:101], v[204:205], v[200:201], v[104:105] op_sel_hi:[1,0,1]
	v_pk_add_f32 v[96:97], v[96:97], v[102:103]
	v_pk_fma_f32 v[102:103], v[204:205], v[200:201], v[104:105] neg_lo:[0,0,1] neg_hi:[0,0,1]
	s_delay_alu instid0(VALU_DEP_3) | instskip(NEXT) | instid1(VALU_DEP_3)
	v_mov_b32_e32 v103, v101
	v_pk_add_f32 v[96:97], v[96:97], v[98:99]
	s_delay_alu instid0(VALU_DEP_1) | instskip(SKIP_1) | instid1(VALU_DEP_1)
	v_pk_add_f32 v[96:97], v[96:97], v[102:103]
	s_wait_loadcnt 0x0
	v_pk_add_f32 v[96:97], v[202:203], v[96:97] neg_lo:[0,1] neg_hi:[0,1]
	scratch_store_b64 off, v[96:97], off offset:152
	s_wait_xcnt 0x0
	v_cmpx_lt_u32_e32 18, v0
	s_cbranch_execz .LBB46_259
; %bb.258:
	scratch_load_b64 v[96:97], off, off offset:144
	v_mov_b64_e32 v[98:99], 0
	scratch_store_b64 off, v[98:99], off offset:144
	s_wait_loadcnt 0x0
	ds_store_b64 v1, v[96:97]
.LBB46_259:
	s_wait_xcnt 0x0
	s_or_b32 exec_lo, exec_lo, s0
	s_wait_storecnt_dscnt 0x0
	s_barrier_signal -1
	s_barrier_wait -1
	s_clause 0xe
	scratch_load_b128 v[96:99], off, off offset:152
	scratch_load_b128 v[100:103], off, off offset:168
	scratch_load_b128 v[104:107], off, off offset:184
	scratch_load_b128 v[108:111], off, off offset:200
	scratch_load_b128 v[112:115], off, off offset:216
	scratch_load_b128 v[116:119], off, off offset:232
	scratch_load_b128 v[120:123], off, off offset:248
	scratch_load_b128 v[124:127], off, off offset:264
	scratch_load_b128 v[128:131], off, off offset:280
	scratch_load_b128 v[132:135], off, off offset:296
	scratch_load_b128 v[136:139], off, off offset:312
	scratch_load_b128 v[140:143], off, off offset:328
	scratch_load_b128 v[144:147], off, off offset:344
	scratch_load_b128 v[148:151], off, off offset:360
	scratch_load_b64 v[208:209], off, off offset:144
	ds_load_2addr_b64 v[152:155], v5 offset0:87 offset1:88
	ds_load_2addr_b64 v[156:159], v5 offset0:89 offset1:90
	;; [unrolled: 1-line block ×14, first 2 shown]
	s_mov_b32 s0, exec_lo
	s_wait_dscnt 0xd
	v_dual_mov_b32 v210, v155 :: v_dual_mov_b32 v211, v154
	s_wait_dscnt 0xc
	v_dual_mov_b32 v212, v159 :: v_dual_mov_b32 v213, v158
	;; [unrolled: 2-line block ×4, first 2 shown]
	s_wait_loadcnt_dscnt 0xe09
	v_dual_mul_f32 v5, v168, v97 :: v_dual_mul_f32 v7, v170, v99
	v_dual_mul_f32 v43, v169, v97 :: v_dual_mul_f32 v45, v171, v99
	s_wait_loadcnt_dscnt 0xd08
	v_dual_mul_f32 v11, v172, v101 :: v_dual_mul_f32 v13, v174, v103
	s_delay_alu instid0(VALU_DEP_2) | instskip(SKIP_3) | instid1(VALU_DEP_3)
	v_dual_fmac_f32 v5, v169, v96 :: v_dual_fma_f32 v43, v168, v96, -v43
	v_dual_mul_f32 v47, v173, v101 :: v_dual_mul_f32 v49, v175, v103
	s_wait_loadcnt_dscnt 0xb06
	v_dual_mul_f32 v55, v181, v109 :: v_dual_fmac_f32 v7, v171, v98
	v_dual_fma_f32 v45, v170, v98, -v45 :: v_dual_add_f32 v5, 0, v5
	v_dual_add_f32 v43, 0, v43 :: v_dual_fmac_f32 v11, v173, v100
	v_dual_mul_f32 v57, v183, v111 :: v_dual_fma_f32 v47, v172, v100, -v47
	s_delay_alu instid0(VALU_DEP_2)
	v_dual_add_f32 v5, v5, v7 :: v_dual_add_f32 v7, v43, v45
	v_dual_mul_f32 v15, v176, v105 :: v_dual_mul_f32 v17, v178, v107
	v_dual_mul_f32 v51, v177, v105 :: v_dual_mul_f32 v53, v179, v107
	s_wait_loadcnt_dscnt 0xa05
	v_dual_mul_f32 v43, v185, v113 :: v_dual_fmac_f32 v13, v175, v102
	v_dual_fma_f32 v45, v174, v102, -v49 :: v_dual_add_f32 v5, v5, v11
	v_dual_add_f32 v7, v7, v47 :: v_dual_fmac_f32 v15, v177, v104
	v_dual_mul_f32 v11, v187, v115 :: v_dual_fma_f32 v47, v176, v104, -v51
	s_delay_alu instid0(VALU_DEP_3) | instskip(NEXT) | instid1(VALU_DEP_3)
	v_dual_add_f32 v5, v5, v13 :: v_dual_fmac_f32 v17, v179, v106
	v_dual_add_f32 v7, v7, v45 :: v_dual_fma_f32 v45, v178, v106, -v53
	v_dual_mul_f32 v19, v180, v109 :: v_dual_mul_f32 v21, v182, v111
	s_wait_loadcnt_dscnt 0x904
	s_delay_alu instid0(VALU_DEP_2) | instskip(SKIP_1) | instid1(VALU_DEP_3)
	v_dual_mul_f32 v13, v189, v117 :: v_dual_add_f32 v7, v7, v47
	v_dual_add_f32 v5, v5, v15 :: v_dual_fma_f32 v47, v180, v108, -v55
	v_dual_mul_f32 v15, v191, v119 :: v_dual_fmac_f32 v19, v181, v108
	s_delay_alu instid0(VALU_DEP_3) | instskip(NEXT) | instid1(VALU_DEP_3)
	v_dual_add_f32 v7, v7, v45 :: v_dual_fma_f32 v45, v182, v110, -v57
	v_dual_add_f32 v5, v5, v17 :: v_dual_fmac_f32 v21, v183, v110
	v_dual_mul_f32 v23, v184, v113 :: v_dual_mul_f32 v25, v186, v115
	s_wait_loadcnt_dscnt 0x803
	s_delay_alu instid0(VALU_DEP_3) | instskip(NEXT) | instid1(VALU_DEP_3)
	v_dual_mul_f32 v17, v193, v121 :: v_dual_add_f32 v7, v7, v47
	v_dual_add_f32 v5, v5, v19 :: v_dual_fma_f32 v43, v184, v112, -v43
	s_delay_alu instid0(VALU_DEP_3) | instskip(NEXT) | instid1(VALU_DEP_3)
	v_dual_mul_f32 v19, v195, v123 :: v_dual_fmac_f32 v23, v185, v112
	v_dual_add_f32 v7, v7, v45 :: v_dual_fma_f32 v11, v186, v114, -v11
	s_delay_alu instid0(VALU_DEP_3) | instskip(SKIP_2) | instid1(VALU_DEP_3)
	v_dual_add_f32 v5, v5, v21 :: v_dual_fmac_f32 v25, v187, v114
	v_dual_mul_f32 v27, v188, v117 :: v_dual_mul_f32 v29, v190, v119
	s_wait_loadcnt_dscnt 0x702
	v_dual_mul_f32 v21, v197, v125 :: v_dual_add_f32 v7, v7, v43
	s_delay_alu instid0(VALU_DEP_3) | instskip(NEXT) | instid1(VALU_DEP_3)
	v_dual_add_f32 v5, v5, v23 :: v_dual_fma_f32 v13, v188, v116, -v13
	v_dual_mul_f32 v23, v199, v127 :: v_dual_fmac_f32 v27, v189, v116
	s_delay_alu instid0(VALU_DEP_2) | instskip(SKIP_3) | instid1(VALU_DEP_3)
	v_dual_add_f32 v7, v7, v11 :: v_dual_add_f32 v5, v5, v25
	v_dual_mul_f32 v31, v192, v121 :: v_dual_mul_f32 v33, v194, v123
	s_wait_loadcnt_dscnt 0x601
	v_dual_mul_f32 v11, v201, v129 :: v_dual_fmac_f32 v29, v191, v118
	v_dual_fma_f32 v15, v190, v118, -v15 :: v_dual_add_f32 v5, v5, v27
	s_delay_alu instid0(VALU_DEP_3) | instskip(SKIP_1) | instid1(VALU_DEP_2)
	v_dual_add_f32 v7, v7, v13 :: v_dual_fmac_f32 v31, v193, v120
	v_dual_mul_f32 v13, v203, v131 :: v_dual_fma_f32 v17, v192, v120, -v17
	v_dual_add_f32 v5, v5, v29 :: v_dual_add_f32 v7, v7, v15
	v_dual_mul_f32 v35, v196, v125 :: v_dual_mul_f32 v37, v198, v127
	s_wait_loadcnt_dscnt 0x500
	v_dual_mul_f32 v15, v205, v133 :: v_dual_fmac_f32 v33, v195, v122
	s_delay_alu instid0(VALU_DEP_3) | instskip(NEXT) | instid1(VALU_DEP_3)
	v_dual_fma_f32 v19, v194, v122, -v19 :: v_dual_add_f32 v5, v5, v31
	v_dual_add_f32 v7, v7, v17 :: v_dual_fmac_f32 v35, v197, v124
	v_dual_mul_f32 v17, v207, v135 :: v_dual_fma_f32 v21, v196, v124, -v21
	s_delay_alu instid0(VALU_DEP_2) | instskip(SKIP_2) | instid1(VALU_DEP_3)
	v_dual_add_f32 v5, v5, v33 :: v_dual_add_f32 v7, v7, v19
	v_dual_mul_f32 v39, v200, v129 :: v_dual_mul_f32 v41, v202, v131
	v_dual_fmac_f32 v37, v199, v126 :: v_dual_fma_f32 v19, v198, v126, -v23
	v_dual_add_f32 v5, v5, v35 :: v_dual_add_f32 v7, v7, v21
	s_wait_loadcnt 0x4
	s_delay_alu instid0(VALU_DEP_3) | instskip(NEXT) | instid1(VALU_DEP_2)
	v_dual_mov_b32 v98, v139 :: v_dual_fmac_f32 v39, v201, v128
	v_dual_fma_f32 v11, v200, v128, -v11 :: v_dual_add_f32 v5, v5, v37
	s_delay_alu instid0(VALU_DEP_3) | instskip(SKIP_1) | instid1(VALU_DEP_3)
	v_dual_add_f32 v7, v7, v19 :: v_dual_fma_f32 v13, v202, v130, -v13
	v_dual_mul_f32 v219, v204, v133 :: v_dual_mul_f32 v221, v206, v135
	v_dual_fmac_f32 v41, v203, v130 :: v_dual_add_f32 v5, v5, v39
	s_delay_alu instid0(VALU_DEP_2)
	v_dual_add_f32 v7, v7, v11 :: v_dual_fmac_f32 v219, v205, v132
	v_pk_mul_f32 v[96:97], v[152:153], v[136:137] op_sel:[1,1] op_sel_hi:[0,1]
	s_wait_loadcnt 0x3
	v_dual_mov_b32 v102, v143 :: v_dual_fma_f32 v218, v204, v132, -v15
	v_dual_add_f32 v105, v5, v41 :: v_dual_fmac_f32 v221, v207, v134
	v_dual_add_f32 v104, v7, v13 :: v_dual_fma_f32 v220, v206, v134, -v17
	v_pk_fma_f32 v[106:107], v[152:153], v[136:137], v[96:97] op_sel_hi:[1,0,1]
	v_pk_mul_f32 v[98:99], v[210:211], v[98:99] op_sel_hi:[1,0]
	v_pk_fma_f32 v[96:97], v[152:153], v[136:137], v[96:97] neg_lo:[0,0,1] neg_hi:[0,0,1]
	s_delay_alu instid0(VALU_DEP_4)
	v_pk_add_f32 v[104:105], v[104:105], v[218:219]
	v_pk_mul_f32 v[100:101], v[156:157], v[140:141] op_sel:[1,1] op_sel_hi:[0,1]
	v_mov_b32_e32 v97, v107
	v_pk_fma_f32 v[106:107], v[154:155], v[138:139], v[98:99] op_sel_hi:[1,0,1]
	v_pk_fma_f32 v[98:99], v[154:155], v[138:139], v[98:99] neg_lo:[0,0,1] neg_hi:[0,0,1]
	v_pk_add_f32 v[104:105], v[104:105], v[220:221]
	v_pk_fma_f32 v[110:111], v[156:157], v[140:141], v[100:101] op_sel_hi:[1,0,1]
	v_pk_mul_f32 v[102:103], v[212:213], v[102:103] op_sel_hi:[1,0]
	v_mov_b32_e32 v99, v107
	s_wait_loadcnt 0x2
	v_pk_mul_f32 v[108:109], v[160:161], v[144:145] op_sel:[1,1] op_sel_hi:[0,1]
	v_pk_add_f32 v[96:97], v[104:105], v[96:97]
	v_mov_b32_e32 v104, v147
	v_pk_fma_f32 v[100:101], v[156:157], v[140:141], v[100:101] neg_lo:[0,0,1] neg_hi:[0,0,1]
	v_mov_b32_e32 v101, v111
	v_pk_fma_f32 v[106:107], v[158:159], v[142:143], v[102:103] op_sel_hi:[1,0,1]
	v_pk_add_f32 v[96:97], v[96:97], v[98:99]
	v_pk_fma_f32 v[98:99], v[160:161], v[144:145], v[108:109] op_sel_hi:[1,0,1]
	v_pk_mul_f32 v[104:105], v[214:215], v[104:105] op_sel_hi:[1,0]
	v_pk_fma_f32 v[102:103], v[158:159], v[142:143], v[102:103] neg_lo:[0,0,1] neg_hi:[0,0,1]
	v_mov_b32_e32 v103, v107
	v_pk_add_f32 v[96:97], v[96:97], v[100:101]
	v_pk_fma_f32 v[106:107], v[160:161], v[144:145], v[108:109] neg_lo:[0,0,1] neg_hi:[0,0,1]
	v_mov_b32_e32 v107, v99
	v_pk_fma_f32 v[98:99], v[162:163], v[146:147], v[104:105] op_sel_hi:[1,0,1]
	s_wait_loadcnt 0x1
	v_pk_mul_f32 v[100:101], v[164:165], v[148:149] op_sel:[1,1] op_sel_hi:[0,1]
	v_pk_add_f32 v[96:97], v[96:97], v[102:103]
	v_mov_b32_e32 v98, v151
	v_pk_fma_f32 v[104:105], v[162:163], v[146:147], v[104:105] neg_lo:[0,0,1] neg_hi:[0,0,1]
	v_mov_b32_e32 v105, v99
	v_pk_fma_f32 v[102:103], v[164:165], v[148:149], v[100:101] op_sel_hi:[1,0,1]
	v_pk_add_f32 v[96:97], v[96:97], v[106:107]
	v_pk_mul_f32 v[98:99], v[216:217], v[98:99] op_sel_hi:[1,0]
	v_pk_fma_f32 v[100:101], v[164:165], v[148:149], v[100:101] neg_lo:[0,0,1] neg_hi:[0,0,1]
	s_delay_alu instid0(VALU_DEP_4) | instskip(NEXT) | instid1(VALU_DEP_4)
	v_mov_b32_e32 v101, v103
	v_pk_add_f32 v[96:97], v[96:97], v[104:105]
	s_delay_alu instid0(VALU_DEP_4) | instskip(SKIP_1) | instid1(VALU_DEP_2)
	v_pk_fma_f32 v[102:103], v[166:167], v[150:151], v[98:99] op_sel_hi:[1,0,1]
	v_pk_fma_f32 v[98:99], v[166:167], v[150:151], v[98:99] neg_lo:[0,0,1] neg_hi:[0,0,1]
	v_mov_b32_e32 v99, v103
	s_delay_alu instid0(VALU_DEP_4) | instskip(NEXT) | instid1(VALU_DEP_1)
	v_pk_add_f32 v[96:97], v[96:97], v[100:101]
	v_pk_add_f32 v[96:97], v[96:97], v[98:99]
	s_wait_loadcnt 0x0
	s_delay_alu instid0(VALU_DEP_1)
	v_pk_add_f32 v[96:97], v[208:209], v[96:97] neg_lo:[0,1] neg_hi:[0,1]
	scratch_store_b64 off, v[96:97], off offset:144
	s_wait_xcnt 0x0
	v_cmpx_lt_u32_e32 17, v0
	s_cbranch_execz .LBB46_261
; %bb.260:
	scratch_load_b64 v[96:97], off, off offset:136
	v_mov_b64_e32 v[98:99], 0
	scratch_store_b64 off, v[98:99], off offset:136
	s_wait_loadcnt 0x0
	ds_store_b64 v1, v[96:97]
.LBB46_261:
	s_wait_xcnt 0x0
	s_or_b32 exec_lo, exec_lo, s0
	s_wait_storecnt_dscnt 0x0
	s_barrier_signal -1
	s_barrier_wait -1
	s_clause 0xf
	scratch_load_b128 v[96:99], off, off offset:144
	scratch_load_b128 v[100:103], off, off offset:160
	scratch_load_b128 v[104:107], off, off offset:176
	scratch_load_b128 v[108:111], off, off offset:192
	scratch_load_b128 v[112:115], off, off offset:208
	scratch_load_b128 v[116:119], off, off offset:224
	scratch_load_b128 v[120:123], off, off offset:240
	scratch_load_b128 v[124:127], off, off offset:256
	scratch_load_b128 v[128:131], off, off offset:272
	scratch_load_b128 v[132:135], off, off offset:288
	scratch_load_b128 v[136:139], off, off offset:304
	scratch_load_b128 v[140:143], off, off offset:320
	scratch_load_b128 v[144:147], off, off offset:336
	scratch_load_b128 v[148:151], off, off offset:352
	scratch_load_b64 v[208:209], off, off offset:368
	scratch_load_b64 v[210:211], off, off offset:136
	v_mov_b32_e32 v5, 0
	ds_load_b128 v[152:155], v5 offset:688
	ds_load_b128 v[156:159], v5 offset:704
	ds_load_b128 v[160:163], v5 offset:720
	ds_load_b128 v[164:167], v5 offset:736
	ds_load_b128 v[168:171], v5 offset:528
	ds_load_b128 v[172:175], v5 offset:544
	ds_load_b128 v[176:179], v5 offset:560
	ds_load_b128 v[180:183], v5 offset:576
	ds_load_b128 v[184:187], v5 offset:592
	ds_load_b128 v[188:191], v5 offset:608
	ds_load_b128 v[192:195], v5 offset:624
	ds_load_b128 v[196:199], v5 offset:640
	ds_load_b128 v[200:203], v5 offset:656
	ds_load_b128 v[204:207], v5 offset:672
	ds_load_b64 v[212:213], v5 offset:752
	s_mov_b32 s0, exec_lo
	s_wait_dscnt 0xe
	v_dual_mov_b32 v214, v155 :: v_dual_mov_b32 v215, v154
	s_wait_dscnt 0xb
	v_dual_mov_b32 v216, v159 :: v_dual_mov_b32 v221, v166
	v_dual_mov_b32 v217, v158 :: v_dual_mov_b32 v218, v163
	;; [unrolled: 1-line block ×3, first 2 shown]
	s_wait_loadcnt_dscnt 0xf0a
	v_dual_mul_f32 v7, v168, v97 :: v_dual_mul_f32 v47, v169, v97
	v_dual_mul_f32 v49, v171, v99 :: v_dual_mul_f32 v11, v170, v99
	s_wait_loadcnt_dscnt 0xe09
	v_mul_f32_e32 v13, v172, v101
	s_wait_loadcnt_dscnt 0xc07
	v_dual_mul_f32 v59, v181, v109 :: v_dual_fma_f32 v47, v168, v96, -v47
	v_dual_fmac_f32 v7, v169, v96 :: v_dual_mul_f32 v61, v183, v111
	v_dual_mul_f32 v51, v173, v101 :: v_dual_mul_f32 v53, v175, v103
	v_dual_fmac_f32 v11, v171, v98 :: v_dual_fma_f32 v49, v170, v98, -v49
	s_wait_loadcnt_dscnt 0xb06
	s_delay_alu instid0(VALU_DEP_3) | instskip(SKIP_1) | instid1(VALU_DEP_2)
	v_dual_add_f32 v7, 0, v7 :: v_dual_mul_f32 v63, v185, v113
	v_dual_add_f32 v47, 0, v47 :: v_dual_fmac_f32 v13, v173, v100
	v_dual_fma_f32 v51, v172, v100, -v51 :: v_dual_add_f32 v7, v7, v11
	v_dual_mul_f32 v55, v177, v105 :: v_dual_mul_f32 v57, v179, v107
	s_delay_alu instid0(VALU_DEP_3) | instskip(SKIP_2) | instid1(VALU_DEP_3)
	v_dual_add_f32 v11, v47, v49 :: v_dual_fma_f32 v49, v174, v102, -v53
	v_dual_mul_f32 v15, v174, v103 :: v_dual_mul_f32 v17, v176, v105
	v_dual_mul_f32 v19, v178, v107 :: v_dual_mul_f32 v21, v180, v109
	v_add_f32_e32 v11, v11, v51
	v_dual_add_f32 v7, v7, v13 :: v_dual_fma_f32 v51, v176, v104, -v55
	v_dual_mul_f32 v23, v182, v111 :: v_dual_mul_f32 v25, v184, v113
	s_delay_alu instid0(VALU_DEP_3) | instskip(SKIP_1) | instid1(VALU_DEP_2)
	v_dual_add_f32 v11, v11, v49 :: v_dual_fmac_f32 v21, v181, v108
	v_dual_fmac_f32 v15, v175, v102 :: v_dual_fmac_f32 v17, v177, v104
	v_dual_fma_f32 v49, v178, v106, -v57 :: v_dual_add_f32 v11, v11, v51
	s_delay_alu instid0(VALU_DEP_4) | instskip(SKIP_1) | instid1(VALU_DEP_3)
	v_dual_fmac_f32 v25, v185, v112 :: v_dual_mul_f32 v47, v187, v115
	s_wait_loadcnt_dscnt 0xa05
	v_dual_mul_f32 v13, v189, v117 :: v_dual_add_f32 v7, v7, v15
	v_dual_mul_f32 v15, v191, v119 :: v_dual_fma_f32 v51, v180, v108, -v59
	s_delay_alu instid0(VALU_DEP_3) | instskip(SKIP_1) | instid1(VALU_DEP_4)
	v_dual_add_f32 v11, v11, v49 :: v_dual_fma_f32 v47, v186, v114, -v47
	v_fmac_f32_e32 v19, v179, v106
	v_dual_add_f32 v7, v7, v17 :: v_dual_fma_f32 v49, v182, v110, -v61
	s_delay_alu instid0(VALU_DEP_3) | instskip(SKIP_2) | instid1(VALU_DEP_3)
	v_dual_add_f32 v11, v11, v51 :: v_dual_fma_f32 v15, v190, v118, -v15
	s_wait_loadcnt_dscnt 0x904
	v_dual_mul_f32 v31, v190, v119 :: v_dual_mul_f32 v33, v192, v121
	v_dual_add_f32 v7, v7, v19 :: v_dual_fma_f32 v51, v184, v112, -v63
	s_delay_alu instid0(VALU_DEP_3) | instskip(SKIP_4) | instid1(VALU_DEP_3)
	v_dual_add_f32 v11, v11, v49 :: v_dual_mul_f32 v27, v186, v115
	v_dual_mul_f32 v29, v188, v117 :: v_dual_mul_f32 v35, v194, v123
	s_wait_loadcnt_dscnt 0x803
	v_mul_f32_e32 v37, v196, v125
	v_dual_mul_f32 v17, v193, v121 :: v_dual_fmac_f32 v23, v183, v110
	v_dual_fmac_f32 v29, v189, v116 :: v_dual_add_f32 v7, v7, v21
	v_fma_f32 v13, v188, v116, -v13
	v_dual_fmac_f32 v33, v193, v120 :: v_dual_add_f32 v11, v11, v51
	s_delay_alu instid0(VALU_DEP_3) | instskip(SKIP_1) | instid1(VALU_DEP_3)
	v_dual_fmac_f32 v37, v197, v124 :: v_dual_add_f32 v7, v7, v23
	v_dual_mul_f32 v23, v199, v127 :: v_dual_fma_f32 v17, v192, v120, -v17
	v_add_f32_e32 v11, v11, v47
	s_wait_loadcnt_dscnt 0x601
	v_dual_mul_f32 v43, v202, v131 :: v_dual_mul_f32 v45, v204, v133
	s_wait_loadcnt 0x4
	v_dual_mov_b32 v96, v139 :: v_dual_mov_b32 v100, v143
	v_dual_add_f32 v11, v11, v13 :: v_dual_mul_f32 v223, v206, v135
	v_dual_mul_f32 v225, v152, v137 :: v_dual_mul_f32 v19, v195, v123
	s_delay_alu instid0(VALU_DEP_2) | instskip(NEXT) | instid1(VALU_DEP_3)
	v_dual_fmac_f32 v45, v205, v132 :: v_dual_add_f32 v11, v11, v15
	v_dual_mul_f32 v15, v207, v135 :: v_dual_fmac_f32 v223, v207, v134
	v_pk_mul_f32 v[96:97], v[214:215], v[96:97] op_sel_hi:[1,0]
	v_dual_mul_f32 v21, v197, v125 :: v_dual_fmac_f32 v27, v187, v114
	v_mul_f32_e32 v13, v205, v133
	v_add_f32_e32 v7, v7, v25
	v_dual_mul_f32 v25, v201, v129 :: v_dual_fma_f32 v19, v194, v122, -v19
	v_fma_f32 v222, v206, v134, -v15
	v_pk_fma_f32 v[108:109], v[154:155], v[138:139], v[96:97] op_sel_hi:[1,0,1]
	v_add_f32_e32 v11, v11, v17
	v_pk_fma_f32 v[96:97], v[154:155], v[138:139], v[96:97] neg_lo:[0,0,1] neg_hi:[0,0,1]
	v_dual_mul_f32 v39, v198, v127 :: v_dual_mul_f32 v41, v200, v129
	v_dual_mul_f32 v17, v153, v137 :: v_dual_add_f32 v7, v7, v27
	v_dual_fma_f32 v21, v196, v124, -v21 :: v_dual_mov_b32 v97, v109
	v_add_f32_e32 v11, v11, v19
	s_delay_alu instid0(VALU_DEP_4) | instskip(SKIP_2) | instid1(VALU_DEP_4)
	v_dual_mul_f32 v27, v203, v131 :: v_dual_fmac_f32 v41, v201, v128
	v_fmac_f32_e32 v31, v191, v118
	v_dual_add_f32 v7, v7, v29 :: v_dual_fma_f32 v19, v198, v126, -v23
	v_dual_add_f32 v11, v11, v21 :: v_dual_fma_f32 v21, v200, v128, -v25
	v_dual_fmac_f32 v35, v195, v122 :: v_dual_fmac_f32 v225, v153, v136
	s_delay_alu instid0(VALU_DEP_2) | instskip(NEXT) | instid1(VALU_DEP_4)
	v_dual_fma_f32 v13, v204, v132, -v13 :: v_dual_add_f32 v11, v11, v19
	v_dual_fma_f32 v19, v202, v130, -v27 :: v_dual_add_f32 v7, v7, v31
	v_dual_fma_f32 v224, v152, v136, -v17 :: v_dual_fmac_f32 v39, v199, v126
	v_fmac_f32_e32 v43, v203, v130
	s_delay_alu instid0(VALU_DEP_4) | instskip(NEXT) | instid1(VALU_DEP_4)
	v_add_f32_e32 v11, v11, v21
	v_add_f32_e32 v7, v7, v33
	v_pk_mul_f32 v[98:99], v[156:157], v[140:141] op_sel:[1,1] op_sel_hi:[0,1]
	v_pk_mul_f32 v[100:101], v[216:217], v[100:101] op_sel_hi:[1,0]
	s_wait_loadcnt 0x3
	v_pk_mul_f32 v[102:103], v[160:161], v[144:145] op_sel:[1,1] op_sel_hi:[0,1]
	v_add_f32_e32 v11, v11, v19
	v_add_f32_e32 v7, v7, v35
	v_pk_fma_f32 v[110:111], v[156:157], v[140:141], v[98:99] op_sel_hi:[1,0,1]
	v_pk_fma_f32 v[98:99], v[156:157], v[140:141], v[98:99] neg_lo:[0,0,1] neg_hi:[0,0,1]
	v_mov_b32_e32 v106, v147
	v_add_f32_e32 v104, v11, v13
	v_add_f32_e32 v7, v7, v37
	v_mov_b32_e32 v99, v111
	v_pk_fma_f32 v[110:111], v[158:159], v[142:143], v[100:101] op_sel_hi:[1,0,1]
	v_pk_fma_f32 v[100:101], v[158:159], v[142:143], v[100:101] neg_lo:[0,0,1] neg_hi:[0,0,1]
	v_pk_mul_f32 v[106:107], v[218:219], v[106:107] op_sel_hi:[1,0]
	v_add_f32_e32 v7, v7, v39
	s_wait_loadcnt 0x2
	v_pk_mul_f32 v[108:109], v[164:165], v[148:149] op_sel:[1,1] op_sel_hi:[0,1]
	v_mov_b32_e32 v101, v111
	s_delay_alu instid0(VALU_DEP_3) | instskip(NEXT) | instid1(VALU_DEP_1)
	v_add_f32_e32 v7, v7, v41
	v_add_f32_e32 v7, v7, v43
	s_delay_alu instid0(VALU_DEP_1) | instskip(NEXT) | instid1(VALU_DEP_1)
	v_add_f32_e32 v105, v7, v45
	v_pk_add_f32 v[104:105], v[104:105], v[222:223]
	s_delay_alu instid0(VALU_DEP_1) | instskip(NEXT) | instid1(VALU_DEP_1)
	v_pk_add_f32 v[104:105], v[104:105], v[224:225]
	v_pk_add_f32 v[96:97], v[104:105], v[96:97]
	v_pk_fma_f32 v[104:105], v[160:161], v[144:145], v[102:103] op_sel_hi:[1,0,1]
	v_pk_fma_f32 v[102:103], v[160:161], v[144:145], v[102:103] neg_lo:[0,0,1] neg_hi:[0,0,1]
	s_delay_alu instid0(VALU_DEP_3) | instskip(NEXT) | instid1(VALU_DEP_3)
	v_pk_add_f32 v[96:97], v[96:97], v[98:99]
	v_dual_mov_b32 v98, v151 :: v_dual_mov_b32 v103, v105
	v_pk_fma_f32 v[104:105], v[162:163], v[146:147], v[106:107] op_sel_hi:[1,0,1]
	v_pk_fma_f32 v[106:107], v[162:163], v[146:147], v[106:107] neg_lo:[0,0,1] neg_hi:[0,0,1]
	s_delay_alu instid0(VALU_DEP_4)
	v_pk_add_f32 v[96:97], v[96:97], v[100:101]
	v_pk_fma_f32 v[100:101], v[164:165], v[148:149], v[108:109] op_sel_hi:[1,0,1]
	v_pk_mul_f32 v[98:99], v[220:221], v[98:99] op_sel_hi:[1,0]
	v_mov_b32_e32 v107, v105
	s_wait_loadcnt_dscnt 0x100
	v_pk_mul_f32 v[104:105], v[212:213], v[208:209] op_sel:[1,1] op_sel_hi:[0,1]
	v_pk_add_f32 v[96:97], v[96:97], v[102:103]
	v_pk_fma_f32 v[102:103], v[164:165], v[148:149], v[108:109] neg_lo:[0,0,1] neg_hi:[0,0,1]
	v_mov_b32_e32 v103, v101
	v_pk_fma_f32 v[100:101], v[166:167], v[150:151], v[98:99] op_sel_hi:[1,0,1]
	v_pk_fma_f32 v[98:99], v[166:167], v[150:151], v[98:99] neg_lo:[0,0,1] neg_hi:[0,0,1]
	v_pk_add_f32 v[96:97], v[96:97], v[106:107]
	s_delay_alu instid0(VALU_DEP_3) | instskip(SKIP_1) | instid1(VALU_DEP_3)
	v_mov_b32_e32 v99, v101
	v_pk_fma_f32 v[100:101], v[212:213], v[208:209], v[104:105] op_sel_hi:[1,0,1]
	v_pk_add_f32 v[96:97], v[96:97], v[102:103]
	v_pk_fma_f32 v[102:103], v[212:213], v[208:209], v[104:105] neg_lo:[0,0,1] neg_hi:[0,0,1]
	s_delay_alu instid0(VALU_DEP_3) | instskip(NEXT) | instid1(VALU_DEP_3)
	v_mov_b32_e32 v103, v101
	v_pk_add_f32 v[96:97], v[96:97], v[98:99]
	s_delay_alu instid0(VALU_DEP_1) | instskip(SKIP_1) | instid1(VALU_DEP_1)
	v_pk_add_f32 v[96:97], v[96:97], v[102:103]
	s_wait_loadcnt 0x0
	v_pk_add_f32 v[96:97], v[210:211], v[96:97] neg_lo:[0,1] neg_hi:[0,1]
	scratch_store_b64 off, v[96:97], off offset:136
	s_wait_xcnt 0x0
	v_cmpx_lt_u32_e32 16, v0
	s_cbranch_execz .LBB46_263
; %bb.262:
	scratch_load_b64 v[96:97], off, off offset:128
	v_mov_b64_e32 v[98:99], 0
	scratch_store_b64 off, v[98:99], off offset:128
	s_wait_loadcnt 0x0
	ds_store_b64 v1, v[96:97]
.LBB46_263:
	s_wait_xcnt 0x0
	s_or_b32 exec_lo, exec_lo, s0
	s_wait_storecnt_dscnt 0x0
	s_barrier_signal -1
	s_barrier_wait -1
	s_clause 0xf
	scratch_load_b128 v[96:99], off, off offset:136
	scratch_load_b128 v[100:103], off, off offset:152
	;; [unrolled: 1-line block ×15, first 2 shown]
	scratch_load_b64 v[216:217], off, off offset:128
	ds_load_2addr_b64 v[156:159], v5 offset0:87 offset1:88
	ds_load_2addr_b64 v[160:163], v5 offset0:89 offset1:90
	;; [unrolled: 1-line block ×15, first 2 shown]
	s_mov_b32 s0, exec_lo
	s_wait_dscnt 0xe
	v_dual_mov_b32 v218, v159 :: v_dual_mov_b32 v219, v158
	s_wait_dscnt 0xd
	v_dual_mov_b32 v220, v163 :: v_dual_mov_b32 v221, v162
	;; [unrolled: 2-line block ×4, first 2 shown]
	s_wait_loadcnt_dscnt 0xf0a
	v_dual_mul_f32 v5, v172, v97 :: v_dual_mul_f32 v7, v174, v99
	v_dual_mul_f32 v47, v173, v97 :: v_dual_mul_f32 v49, v175, v99
	s_wait_loadcnt_dscnt 0xe09
	v_dual_mul_f32 v11, v176, v101 :: v_dual_mul_f32 v13, v178, v103
	s_delay_alu instid0(VALU_DEP_2) | instskip(SKIP_3) | instid1(VALU_DEP_3)
	v_dual_fmac_f32 v5, v173, v96 :: v_dual_fma_f32 v47, v172, v96, -v47
	v_dual_mul_f32 v51, v177, v101 :: v_dual_mul_f32 v53, v179, v103
	s_wait_loadcnt_dscnt 0xc06
	v_dual_mul_f32 v59, v189, v109 :: v_dual_fmac_f32 v7, v175, v98
	v_dual_fma_f32 v49, v174, v98, -v49 :: v_dual_add_f32 v5, 0, v5
	v_dual_add_f32 v47, 0, v47 :: v_dual_fmac_f32 v11, v177, v100
	v_dual_mul_f32 v61, v191, v111 :: v_dual_fma_f32 v51, v176, v100, -v51
	s_delay_alu instid0(VALU_DEP_2)
	v_dual_add_f32 v5, v5, v7 :: v_dual_add_f32 v7, v47, v49
	v_dual_mul_f32 v15, v184, v105 :: v_dual_mul_f32 v17, v186, v107
	v_dual_mul_f32 v55, v185, v105 :: v_dual_mul_f32 v57, v187, v107
	s_wait_loadcnt_dscnt 0xb05
	v_dual_mul_f32 v47, v193, v113 :: v_dual_fmac_f32 v13, v179, v102
	v_dual_fma_f32 v49, v178, v102, -v53 :: v_dual_add_f32 v5, v5, v11
	v_dual_add_f32 v7, v7, v51 :: v_dual_fmac_f32 v15, v185, v104
	v_dual_mul_f32 v11, v195, v115 :: v_dual_fma_f32 v51, v184, v104, -v55
	s_delay_alu instid0(VALU_DEP_3) | instskip(NEXT) | instid1(VALU_DEP_3)
	v_dual_add_f32 v5, v5, v13 :: v_dual_fmac_f32 v17, v187, v106
	v_dual_add_f32 v7, v7, v49 :: v_dual_fma_f32 v49, v186, v106, -v57
	v_dual_mul_f32 v19, v188, v109 :: v_dual_mul_f32 v21, v190, v111
	s_wait_loadcnt_dscnt 0xa04
	s_delay_alu instid0(VALU_DEP_2) | instskip(SKIP_1) | instid1(VALU_DEP_3)
	v_dual_mul_f32 v13, v197, v117 :: v_dual_add_f32 v7, v7, v51
	v_dual_add_f32 v5, v5, v15 :: v_dual_fma_f32 v51, v188, v108, -v59
	v_dual_mul_f32 v15, v199, v119 :: v_dual_fmac_f32 v19, v189, v108
	s_delay_alu instid0(VALU_DEP_3) | instskip(NEXT) | instid1(VALU_DEP_3)
	v_dual_add_f32 v7, v7, v49 :: v_dual_fma_f32 v49, v190, v110, -v61
	v_dual_add_f32 v5, v5, v17 :: v_dual_fmac_f32 v21, v191, v110
	v_dual_mul_f32 v23, v192, v113 :: v_dual_mul_f32 v25, v194, v115
	s_wait_loadcnt_dscnt 0x903
	s_delay_alu instid0(VALU_DEP_3) | instskip(NEXT) | instid1(VALU_DEP_3)
	v_dual_mul_f32 v17, v201, v121 :: v_dual_add_f32 v7, v7, v51
	v_dual_add_f32 v5, v5, v19 :: v_dual_fma_f32 v47, v192, v112, -v47
	s_delay_alu instid0(VALU_DEP_3) | instskip(NEXT) | instid1(VALU_DEP_3)
	v_dual_mul_f32 v19, v203, v123 :: v_dual_fmac_f32 v23, v193, v112
	v_dual_add_f32 v7, v7, v49 :: v_dual_fma_f32 v11, v194, v114, -v11
	s_delay_alu instid0(VALU_DEP_3) | instskip(SKIP_2) | instid1(VALU_DEP_3)
	v_dual_add_f32 v5, v5, v21 :: v_dual_fmac_f32 v25, v195, v114
	v_dual_mul_f32 v27, v196, v117 :: v_dual_mul_f32 v29, v198, v119
	s_wait_loadcnt_dscnt 0x802
	v_dual_mul_f32 v21, v205, v125 :: v_dual_add_f32 v7, v7, v47
	s_delay_alu instid0(VALU_DEP_3) | instskip(NEXT) | instid1(VALU_DEP_3)
	v_dual_add_f32 v5, v5, v23 :: v_dual_fma_f32 v13, v196, v116, -v13
	v_dual_mul_f32 v23, v207, v127 :: v_dual_fmac_f32 v27, v197, v116
	s_delay_alu instid0(VALU_DEP_2) | instskip(SKIP_3) | instid1(VALU_DEP_3)
	v_dual_add_f32 v7, v7, v11 :: v_dual_add_f32 v5, v5, v25
	v_dual_mul_f32 v31, v200, v121 :: v_dual_mul_f32 v33, v202, v123
	s_wait_loadcnt_dscnt 0x701
	v_dual_mul_f32 v11, v209, v129 :: v_dual_fmac_f32 v29, v199, v118
	v_dual_fma_f32 v15, v198, v118, -v15 :: v_dual_add_f32 v5, v5, v27
	s_delay_alu instid0(VALU_DEP_3) | instskip(SKIP_1) | instid1(VALU_DEP_2)
	v_dual_add_f32 v7, v7, v13 :: v_dual_fmac_f32 v31, v201, v120
	v_dual_mul_f32 v13, v211, v131 :: v_dual_fma_f32 v17, v200, v120, -v17
	v_dual_add_f32 v5, v5, v29 :: v_dual_add_f32 v7, v7, v15
	v_dual_mul_f32 v35, v204, v125 :: v_dual_mul_f32 v37, v206, v127
	s_wait_loadcnt_dscnt 0x600
	v_dual_mul_f32 v15, v213, v133 :: v_dual_fmac_f32 v33, v203, v122
	s_delay_alu instid0(VALU_DEP_3) | instskip(NEXT) | instid1(VALU_DEP_3)
	v_dual_fma_f32 v19, v202, v122, -v19 :: v_dual_add_f32 v5, v5, v31
	v_dual_add_f32 v7, v7, v17 :: v_dual_fmac_f32 v35, v205, v124
	v_dual_mul_f32 v17, v215, v135 :: v_dual_fma_f32 v21, v204, v124, -v21
	s_delay_alu instid0(VALU_DEP_2) | instskip(SKIP_3) | instid1(VALU_DEP_3)
	v_dual_add_f32 v5, v5, v33 :: v_dual_add_f32 v7, v7, v19
	v_dual_mul_f32 v39, v208, v129 :: v_dual_mul_f32 v41, v210, v131
	s_wait_loadcnt 0x5
	v_dual_mul_f32 v19, v181, v137 :: v_dual_fmac_f32 v37, v207, v126
	v_dual_fma_f32 v23, v206, v126, -v23 :: v_dual_add_f32 v5, v5, v35
	s_delay_alu instid0(VALU_DEP_3) | instskip(SKIP_1) | instid1(VALU_DEP_2)
	v_dual_add_f32 v7, v7, v21 :: v_dual_fmac_f32 v39, v209, v128
	v_dual_mul_f32 v21, v183, v139 :: v_dual_fma_f32 v11, v208, v128, -v11
	v_dual_add_f32 v5, v5, v37 :: v_dual_add_f32 v7, v7, v23
	v_dual_mul_f32 v43, v212, v133 :: v_dual_mul_f32 v45, v214, v135
	s_delay_alu instid0(VALU_DEP_2) | instskip(NEXT) | instid1(VALU_DEP_3)
	v_dual_fmac_f32 v41, v211, v130 :: v_dual_add_f32 v5, v5, v39
	v_dual_fma_f32 v13, v210, v130, -v13 :: v_dual_add_f32 v7, v7, v11
	s_wait_loadcnt 0x4
	s_delay_alu instid0(VALU_DEP_3) | instskip(NEXT) | instid1(VALU_DEP_3)
	v_dual_mov_b32 v98, v143 :: v_dual_fmac_f32 v43, v213, v132
	v_dual_fma_f32 v11, v212, v132, -v15 :: v_dual_add_f32 v5, v5, v41
	s_delay_alu instid0(VALU_DEP_3) | instskip(SKIP_1) | instid1(VALU_DEP_3)
	v_dual_add_f32 v7, v7, v13 :: v_dual_fma_f32 v13, v214, v134, -v17
	v_dual_mul_f32 v227, v180, v137 :: v_dual_mul_f32 v229, v182, v139
	v_dual_fmac_f32 v45, v215, v134 :: v_dual_add_f32 v5, v5, v43
	s_delay_alu instid0(VALU_DEP_2)
	v_dual_add_f32 v7, v7, v11 :: v_dual_fmac_f32 v227, v181, v136
	v_pk_mul_f32 v[96:97], v[156:157], v[140:141] op_sel:[1,1] op_sel_hi:[0,1]
	s_wait_loadcnt 0x3
	v_dual_mov_b32 v102, v147 :: v_dual_fma_f32 v226, v180, v136, -v19
	v_dual_add_f32 v105, v5, v45 :: v_dual_fmac_f32 v229, v183, v138
	v_dual_add_f32 v104, v7, v13 :: v_dual_fma_f32 v228, v182, v138, -v21
	v_pk_fma_f32 v[106:107], v[156:157], v[140:141], v[96:97] op_sel_hi:[1,0,1]
	v_pk_mul_f32 v[98:99], v[218:219], v[98:99] op_sel_hi:[1,0]
	v_pk_fma_f32 v[96:97], v[156:157], v[140:141], v[96:97] neg_lo:[0,0,1] neg_hi:[0,0,1]
	s_delay_alu instid0(VALU_DEP_4)
	v_pk_add_f32 v[104:105], v[104:105], v[226:227]
	v_pk_mul_f32 v[100:101], v[160:161], v[144:145] op_sel:[1,1] op_sel_hi:[0,1]
	v_mov_b32_e32 v97, v107
	v_pk_fma_f32 v[106:107], v[158:159], v[142:143], v[98:99] op_sel_hi:[1,0,1]
	v_pk_fma_f32 v[98:99], v[158:159], v[142:143], v[98:99] neg_lo:[0,0,1] neg_hi:[0,0,1]
	v_pk_add_f32 v[104:105], v[104:105], v[228:229]
	v_pk_fma_f32 v[110:111], v[160:161], v[144:145], v[100:101] op_sel_hi:[1,0,1]
	v_pk_mul_f32 v[102:103], v[220:221], v[102:103] op_sel_hi:[1,0]
	v_mov_b32_e32 v99, v107
	s_wait_loadcnt 0x2
	v_pk_mul_f32 v[108:109], v[164:165], v[148:149] op_sel:[1,1] op_sel_hi:[0,1]
	v_pk_add_f32 v[96:97], v[104:105], v[96:97]
	v_mov_b32_e32 v104, v151
	v_pk_fma_f32 v[100:101], v[160:161], v[144:145], v[100:101] neg_lo:[0,0,1] neg_hi:[0,0,1]
	v_mov_b32_e32 v101, v111
	v_pk_fma_f32 v[106:107], v[162:163], v[146:147], v[102:103] op_sel_hi:[1,0,1]
	v_pk_add_f32 v[96:97], v[96:97], v[98:99]
	v_pk_fma_f32 v[98:99], v[164:165], v[148:149], v[108:109] op_sel_hi:[1,0,1]
	v_pk_mul_f32 v[104:105], v[222:223], v[104:105] op_sel_hi:[1,0]
	v_pk_fma_f32 v[102:103], v[162:163], v[146:147], v[102:103] neg_lo:[0,0,1] neg_hi:[0,0,1]
	v_mov_b32_e32 v103, v107
	v_pk_add_f32 v[96:97], v[96:97], v[100:101]
	v_pk_fma_f32 v[106:107], v[164:165], v[148:149], v[108:109] neg_lo:[0,0,1] neg_hi:[0,0,1]
	v_mov_b32_e32 v107, v99
	v_pk_fma_f32 v[98:99], v[166:167], v[150:151], v[104:105] op_sel_hi:[1,0,1]
	s_wait_loadcnt 0x1
	v_pk_mul_f32 v[100:101], v[168:169], v[152:153] op_sel:[1,1] op_sel_hi:[0,1]
	v_pk_add_f32 v[96:97], v[96:97], v[102:103]
	v_mov_b32_e32 v98, v155
	v_pk_fma_f32 v[104:105], v[166:167], v[150:151], v[104:105] neg_lo:[0,0,1] neg_hi:[0,0,1]
	v_mov_b32_e32 v105, v99
	v_pk_fma_f32 v[102:103], v[168:169], v[152:153], v[100:101] op_sel_hi:[1,0,1]
	v_pk_add_f32 v[96:97], v[96:97], v[106:107]
	v_pk_mul_f32 v[98:99], v[224:225], v[98:99] op_sel_hi:[1,0]
	v_pk_fma_f32 v[100:101], v[168:169], v[152:153], v[100:101] neg_lo:[0,0,1] neg_hi:[0,0,1]
	s_delay_alu instid0(VALU_DEP_4) | instskip(NEXT) | instid1(VALU_DEP_4)
	v_mov_b32_e32 v101, v103
	v_pk_add_f32 v[96:97], v[96:97], v[104:105]
	s_delay_alu instid0(VALU_DEP_4) | instskip(SKIP_1) | instid1(VALU_DEP_2)
	v_pk_fma_f32 v[102:103], v[170:171], v[154:155], v[98:99] op_sel_hi:[1,0,1]
	v_pk_fma_f32 v[98:99], v[170:171], v[154:155], v[98:99] neg_lo:[0,0,1] neg_hi:[0,0,1]
	v_mov_b32_e32 v99, v103
	s_delay_alu instid0(VALU_DEP_4) | instskip(NEXT) | instid1(VALU_DEP_1)
	v_pk_add_f32 v[96:97], v[96:97], v[100:101]
	v_pk_add_f32 v[96:97], v[96:97], v[98:99]
	s_wait_loadcnt 0x0
	s_delay_alu instid0(VALU_DEP_1)
	v_pk_add_f32 v[96:97], v[216:217], v[96:97] neg_lo:[0,1] neg_hi:[0,1]
	scratch_store_b64 off, v[96:97], off offset:128
	s_wait_xcnt 0x0
	v_cmpx_lt_u32_e32 15, v0
	s_cbranch_execz .LBB46_265
; %bb.264:
	scratch_load_b64 v[96:97], off, off offset:120
	v_mov_b64_e32 v[98:99], 0
	scratch_store_b64 off, v[98:99], off offset:120
	s_wait_loadcnt 0x0
	ds_store_b64 v1, v[96:97]
.LBB46_265:
	s_wait_xcnt 0x0
	s_or_b32 exec_lo, exec_lo, s0
	s_wait_storecnt_dscnt 0x0
	s_barrier_signal -1
	s_barrier_wait -1
	s_clause 0x10
	scratch_load_b128 v[96:99], off, off offset:128
	scratch_load_b128 v[100:103], off, off offset:144
	;; [unrolled: 1-line block ×15, first 2 shown]
	scratch_load_b64 v[216:217], off, off offset:368
	scratch_load_b64 v[218:219], off, off offset:120
	v_mov_b32_e32 v5, 0
	ds_load_b128 v[156:159], v5 offset:688
	ds_load_b128 v[160:163], v5 offset:704
	;; [unrolled: 1-line block ×15, first 2 shown]
	ds_load_b64 v[220:221], v5 offset:752
	s_mov_b32 s0, exec_lo
	s_wait_dscnt 0xf
	v_dual_mov_b32 v222, v159 :: v_dual_mov_b32 v223, v158
	s_wait_dscnt 0xc
	v_dual_mov_b32 v224, v163 :: v_dual_mov_b32 v229, v170
	v_dual_mov_b32 v225, v162 :: v_dual_mov_b32 v226, v167
	;; [unrolled: 1-line block ×3, first 2 shown]
	s_wait_loadcnt_dscnt 0x100b
	v_dual_mul_f32 v7, v172, v97 :: v_dual_mul_f32 v51, v173, v97
	v_dual_mul_f32 v53, v175, v99 :: v_dual_mul_f32 v11, v174, v99
	s_wait_loadcnt_dscnt 0xf09
	v_mul_f32_e32 v13, v180, v101
	s_wait_loadcnt_dscnt 0xd07
	v_dual_mul_f32 v63, v189, v109 :: v_dual_fma_f32 v51, v172, v96, -v51
	v_dual_fmac_f32 v7, v173, v96 :: v_dual_mul_f32 v65, v191, v111
	v_dual_mul_f32 v55, v181, v101 :: v_dual_mul_f32 v57, v183, v103
	v_dual_fmac_f32 v11, v175, v98 :: v_dual_fma_f32 v53, v174, v98, -v53
	s_wait_loadcnt_dscnt 0xc06
	s_delay_alu instid0(VALU_DEP_3) | instskip(SKIP_1) | instid1(VALU_DEP_2)
	v_dual_add_f32 v7, 0, v7 :: v_dual_mul_f32 v67, v193, v113
	v_dual_add_f32 v51, 0, v51 :: v_dual_fmac_f32 v13, v181, v100
	v_dual_fma_f32 v55, v180, v100, -v55 :: v_dual_add_f32 v7, v7, v11
	v_dual_mul_f32 v59, v185, v105 :: v_dual_mul_f32 v61, v187, v107
	s_delay_alu instid0(VALU_DEP_3) | instskip(SKIP_2) | instid1(VALU_DEP_3)
	v_dual_add_f32 v11, v51, v53 :: v_dual_fma_f32 v53, v182, v102, -v57
	v_dual_mul_f32 v15, v182, v103 :: v_dual_mul_f32 v17, v184, v105
	v_dual_mul_f32 v19, v186, v107 :: v_dual_mul_f32 v21, v188, v109
	v_add_f32_e32 v11, v11, v55
	v_dual_add_f32 v7, v7, v13 :: v_dual_fma_f32 v55, v184, v104, -v59
	v_dual_mul_f32 v23, v190, v111 :: v_dual_mul_f32 v25, v192, v113
	s_delay_alu instid0(VALU_DEP_3) | instskip(SKIP_1) | instid1(VALU_DEP_2)
	v_dual_add_f32 v11, v11, v53 :: v_dual_fmac_f32 v21, v189, v108
	v_dual_fmac_f32 v15, v183, v102 :: v_dual_fmac_f32 v17, v185, v104
	v_dual_fma_f32 v53, v186, v106, -v61 :: v_dual_add_f32 v11, v11, v55
	s_delay_alu instid0(VALU_DEP_4) | instskip(SKIP_1) | instid1(VALU_DEP_3)
	v_dual_fmac_f32 v25, v193, v112 :: v_dual_mul_f32 v51, v195, v115
	s_wait_loadcnt_dscnt 0xb05
	v_dual_mul_f32 v13, v197, v117 :: v_dual_add_f32 v7, v7, v15
	v_dual_mul_f32 v15, v199, v119 :: v_dual_fma_f32 v55, v188, v108, -v63
	s_delay_alu instid0(VALU_DEP_3) | instskip(SKIP_1) | instid1(VALU_DEP_4)
	v_dual_add_f32 v11, v11, v53 :: v_dual_fma_f32 v51, v194, v114, -v51
	v_fmac_f32_e32 v19, v187, v106
	v_dual_add_f32 v7, v7, v17 :: v_dual_fma_f32 v53, v190, v110, -v65
	s_delay_alu instid0(VALU_DEP_3) | instskip(SKIP_2) | instid1(VALU_DEP_3)
	v_dual_add_f32 v11, v11, v55 :: v_dual_fma_f32 v15, v198, v118, -v15
	s_wait_loadcnt_dscnt 0xa04
	v_dual_mul_f32 v31, v198, v119 :: v_dual_mul_f32 v33, v200, v121
	v_dual_add_f32 v7, v7, v19 :: v_dual_fma_f32 v55, v192, v112, -v67
	s_delay_alu instid0(VALU_DEP_3) | instskip(SKIP_4) | instid1(VALU_DEP_3)
	v_dual_add_f32 v11, v11, v53 :: v_dual_mul_f32 v27, v194, v115
	v_dual_mul_f32 v29, v196, v117 :: v_dual_mul_f32 v35, v202, v123
	s_wait_loadcnt_dscnt 0x903
	v_mul_f32_e32 v37, v204, v125
	v_dual_mul_f32 v17, v201, v121 :: v_dual_fmac_f32 v23, v191, v110
	v_dual_fmac_f32 v29, v197, v116 :: v_dual_add_f32 v7, v7, v21
	v_fma_f32 v13, v196, v116, -v13
	v_dual_fmac_f32 v33, v201, v120 :: v_dual_add_f32 v11, v11, v55
	s_delay_alu instid0(VALU_DEP_3) | instskip(SKIP_1) | instid1(VALU_DEP_3)
	v_dual_fmac_f32 v37, v205, v124 :: v_dual_add_f32 v7, v7, v23
	v_dual_mul_f32 v23, v207, v127 :: v_dual_fma_f32 v17, v200, v120, -v17
	v_add_f32_e32 v11, v11, v51
	v_mul_f32_e32 v19, v203, v123
	v_fmac_f32_e32 v27, v195, v114
	s_delay_alu instid0(VALU_DEP_4) | instskip(NEXT) | instid1(VALU_DEP_4)
	v_dual_fma_f32 v23, v206, v126, -v23 :: v_dual_mul_f32 v21, v205, v125
	v_add_f32_e32 v11, v11, v13
	s_wait_loadcnt_dscnt 0x701
	v_mul_f32_e32 v13, v213, v133
	v_add_f32_e32 v7, v7, v25
	v_dual_mul_f32 v25, v209, v129 :: v_dual_fma_f32 v19, v202, v122, -v19
	s_delay_alu instid0(VALU_DEP_3) | instskip(SKIP_2) | instid1(VALU_DEP_3)
	v_dual_add_f32 v11, v11, v15 :: v_dual_fma_f32 v13, v212, v132, -v13
	v_dual_mul_f32 v39, v206, v127 :: v_dual_mul_f32 v41, v208, v129
	v_fmac_f32_e32 v31, v199, v118
	v_add_f32_e32 v11, v11, v17
	s_wait_loadcnt 0x6
	v_dual_mul_f32 v17, v177, v137 :: v_dual_add_f32 v7, v7, v27
	v_dual_fma_f32 v21, v204, v124, -v21 :: v_dual_mul_f32 v43, v210, v131
	v_dual_mul_f32 v45, v212, v133 :: v_dual_mul_f32 v47, v214, v135
	v_mul_f32_e32 v49, v176, v137
	s_delay_alu instid0(VALU_DEP_4) | instskip(SKIP_2) | instid1(VALU_DEP_2)
	v_dual_add_f32 v7, v7, v29 :: v_dual_fma_f32 v25, v208, v128, -v25
	v_dual_fmac_f32 v41, v209, v128 :: v_dual_mul_f32 v231, v178, v139
	s_wait_loadcnt 0x5
	v_dual_mul_f32 v233, v156, v141 :: v_dual_add_f32 v7, v7, v31
	v_dual_fmac_f32 v45, v213, v132 :: v_dual_mul_f32 v15, v215, v135
	v_fmac_f32_e32 v47, v215, v134
	v_dual_fmac_f32 v35, v203, v122 :: v_dual_fmac_f32 v49, v177, v136
	s_delay_alu instid0(VALU_DEP_3)
	v_dual_add_f32 v7, v7, v33 :: v_dual_fma_f32 v15, v214, v134, -v15
	s_wait_loadcnt 0x4
	v_dual_mov_b32 v96, v143 :: v_dual_mov_b32 v100, v147
	v_dual_add_f32 v11, v11, v19 :: v_dual_fmac_f32 v233, v157, v140
	v_dual_mul_f32 v19, v179, v139 :: v_dual_fmac_f32 v231, v179, v138
	v_add_f32_e32 v7, v7, v35
	s_delay_alu instid0(VALU_DEP_4)
	v_pk_mul_f32 v[96:97], v[222:223], v[96:97] op_sel_hi:[1,0]
	v_mul_f32_e32 v27, v211, v131
	v_add_f32_e32 v11, v11, v21
	v_dual_mul_f32 v21, v157, v141 :: v_dual_fmac_f32 v39, v207, v126
	v_fma_f32 v230, v178, v138, -v19
	v_pk_fma_f32 v[108:109], v[158:159], v[142:143], v[96:97] op_sel_hi:[1,0,1]
	v_add_f32_e32 v7, v7, v37
	v_pk_fma_f32 v[96:97], v[158:159], v[142:143], v[96:97] neg_lo:[0,0,1] neg_hi:[0,0,1]
	v_dual_add_f32 v11, v11, v23 :: v_dual_fma_f32 v232, v156, v140, -v21
	s_delay_alu instid0(VALU_DEP_3) | instskip(SKIP_1) | instid1(VALU_DEP_3)
	v_dual_mov_b32 v97, v109 :: v_dual_add_f32 v7, v7, v39
	v_fmac_f32_e32 v43, v211, v130
	v_dual_fma_f32 v23, v210, v130, -v27 :: v_dual_add_f32 v11, v11, v25
	v_pk_mul_f32 v[98:99], v[160:161], v[144:145] op_sel:[1,1] op_sel_hi:[0,1]
	s_delay_alu instid0(VALU_DEP_4)
	v_add_f32_e32 v7, v7, v41
	v_pk_mul_f32 v[100:101], v[224:225], v[100:101] op_sel_hi:[1,0]
	s_wait_loadcnt 0x3
	v_pk_mul_f32 v[102:103], v[164:165], v[148:149] op_sel:[1,1] op_sel_hi:[0,1]
	v_add_f32_e32 v11, v11, v23
	v_pk_fma_f32 v[110:111], v[160:161], v[144:145], v[98:99] op_sel_hi:[1,0,1]
	v_add_f32_e32 v7, v7, v43
	v_pk_fma_f32 v[98:99], v[160:161], v[144:145], v[98:99] neg_lo:[0,0,1] neg_hi:[0,0,1]
	v_mov_b32_e32 v106, v151
	v_dual_add_f32 v11, v11, v13 :: v_dual_fma_f32 v13, v176, v136, -v17
	s_delay_alu instid0(VALU_DEP_4) | instskip(SKIP_2) | instid1(VALU_DEP_4)
	v_add_f32_e32 v7, v7, v45
	v_mov_b32_e32 v99, v111
	v_pk_fma_f32 v[110:111], v[162:163], v[146:147], v[100:101] op_sel_hi:[1,0,1]
	v_add_f32_e32 v11, v11, v15
	v_pk_fma_f32 v[100:101], v[162:163], v[146:147], v[100:101] neg_lo:[0,0,1] neg_hi:[0,0,1]
	v_add_f32_e32 v7, v7, v47
	v_pk_mul_f32 v[106:107], v[226:227], v[106:107] op_sel_hi:[1,0]
	v_mov_b32_e32 v101, v111
	v_add_f32_e32 v104, v11, v13
	s_wait_loadcnt 0x2
	v_pk_mul_f32 v[108:109], v[168:169], v[152:153] op_sel:[1,1] op_sel_hi:[0,1]
	v_add_f32_e32 v105, v7, v49
	s_delay_alu instid0(VALU_DEP_1) | instskip(NEXT) | instid1(VALU_DEP_1)
	v_pk_add_f32 v[104:105], v[104:105], v[230:231]
	v_pk_add_f32 v[104:105], v[104:105], v[232:233]
	s_delay_alu instid0(VALU_DEP_1) | instskip(SKIP_2) | instid1(VALU_DEP_3)
	v_pk_add_f32 v[96:97], v[104:105], v[96:97]
	v_pk_fma_f32 v[104:105], v[164:165], v[148:149], v[102:103] op_sel_hi:[1,0,1]
	v_pk_fma_f32 v[102:103], v[164:165], v[148:149], v[102:103] neg_lo:[0,0,1] neg_hi:[0,0,1]
	v_pk_add_f32 v[96:97], v[96:97], v[98:99]
	s_delay_alu instid0(VALU_DEP_3) | instskip(SKIP_2) | instid1(VALU_DEP_4)
	v_dual_mov_b32 v98, v155 :: v_dual_mov_b32 v103, v105
	v_pk_fma_f32 v[104:105], v[166:167], v[150:151], v[106:107] op_sel_hi:[1,0,1]
	v_pk_fma_f32 v[106:107], v[166:167], v[150:151], v[106:107] neg_lo:[0,0,1] neg_hi:[0,0,1]
	v_pk_add_f32 v[96:97], v[96:97], v[100:101]
	v_pk_fma_f32 v[100:101], v[168:169], v[152:153], v[108:109] op_sel_hi:[1,0,1]
	v_pk_mul_f32 v[98:99], v[228:229], v[98:99] op_sel_hi:[1,0]
	v_mov_b32_e32 v107, v105
	s_wait_loadcnt_dscnt 0x100
	v_pk_mul_f32 v[104:105], v[220:221], v[216:217] op_sel:[1,1] op_sel_hi:[0,1]
	v_pk_add_f32 v[96:97], v[96:97], v[102:103]
	v_pk_fma_f32 v[102:103], v[168:169], v[152:153], v[108:109] neg_lo:[0,0,1] neg_hi:[0,0,1]
	v_mov_b32_e32 v103, v101
	v_pk_fma_f32 v[100:101], v[170:171], v[154:155], v[98:99] op_sel_hi:[1,0,1]
	v_pk_fma_f32 v[98:99], v[170:171], v[154:155], v[98:99] neg_lo:[0,0,1] neg_hi:[0,0,1]
	v_pk_add_f32 v[96:97], v[96:97], v[106:107]
	s_delay_alu instid0(VALU_DEP_3) | instskip(SKIP_1) | instid1(VALU_DEP_3)
	v_mov_b32_e32 v99, v101
	v_pk_fma_f32 v[100:101], v[220:221], v[216:217], v[104:105] op_sel_hi:[1,0,1]
	v_pk_add_f32 v[96:97], v[96:97], v[102:103]
	v_pk_fma_f32 v[102:103], v[220:221], v[216:217], v[104:105] neg_lo:[0,0,1] neg_hi:[0,0,1]
	s_delay_alu instid0(VALU_DEP_3) | instskip(NEXT) | instid1(VALU_DEP_3)
	v_mov_b32_e32 v103, v101
	v_pk_add_f32 v[96:97], v[96:97], v[98:99]
	s_delay_alu instid0(VALU_DEP_1) | instskip(SKIP_1) | instid1(VALU_DEP_1)
	v_pk_add_f32 v[96:97], v[96:97], v[102:103]
	s_wait_loadcnt 0x0
	v_pk_add_f32 v[96:97], v[218:219], v[96:97] neg_lo:[0,1] neg_hi:[0,1]
	scratch_store_b64 off, v[96:97], off offset:120
	s_wait_xcnt 0x0
	v_cmpx_lt_u32_e32 14, v0
	s_cbranch_execz .LBB46_267
; %bb.266:
	scratch_load_b64 v[96:97], off, off offset:112
	v_mov_b64_e32 v[98:99], 0
	scratch_store_b64 off, v[98:99], off offset:112
	s_wait_loadcnt 0x0
	ds_store_b64 v1, v[96:97]
.LBB46_267:
	s_wait_xcnt 0x0
	s_or_b32 exec_lo, exec_lo, s0
	s_wait_storecnt_dscnt 0x0
	s_barrier_signal -1
	s_barrier_wait -1
	s_clause 0x10
	scratch_load_b128 v[96:99], off, off offset:120
	scratch_load_b128 v[100:103], off, off offset:136
	;; [unrolled: 1-line block ×16, first 2 shown]
	scratch_load_b64 v[224:225], off, off offset:112
	ds_load_2addr_b64 v[160:163], v5 offset0:87 offset1:88
	ds_load_2addr_b64 v[164:167], v5 offset0:89 offset1:90
	;; [unrolled: 1-line block ×16, first 2 shown]
	s_mov_b32 s0, exec_lo
	s_wait_dscnt 0xf
	v_dual_mov_b32 v226, v163 :: v_dual_mov_b32 v227, v162
	s_wait_dscnt 0xe
	v_dual_mov_b32 v228, v167 :: v_dual_mov_b32 v229, v166
	;; [unrolled: 2-line block ×4, first 2 shown]
	s_wait_loadcnt_dscnt 0x100b
	v_dual_mul_f32 v5, v176, v97 :: v_dual_mul_f32 v7, v178, v99
	v_dual_mul_f32 v51, v177, v97 :: v_dual_mul_f32 v53, v179, v99
	s_wait_loadcnt_dscnt 0xf0a
	v_dual_mul_f32 v11, v180, v101 :: v_dual_mul_f32 v13, v182, v103
	s_delay_alu instid0(VALU_DEP_2) | instskip(SKIP_3) | instid1(VALU_DEP_3)
	v_dual_fmac_f32 v5, v177, v96 :: v_dual_fma_f32 v51, v176, v96, -v51
	v_dual_mul_f32 v55, v181, v101 :: v_dual_mul_f32 v57, v183, v103
	s_wait_loadcnt_dscnt 0xd08
	v_dual_mul_f32 v63, v189, v109 :: v_dual_fmac_f32 v7, v179, v98
	v_dual_fma_f32 v53, v178, v98, -v53 :: v_dual_add_f32 v5, 0, v5
	v_dual_add_f32 v51, 0, v51 :: v_dual_fmac_f32 v11, v181, v100
	v_dual_mul_f32 v65, v191, v111 :: v_dual_fma_f32 v55, v180, v100, -v55
	s_delay_alu instid0(VALU_DEP_2)
	v_dual_add_f32 v5, v5, v7 :: v_dual_add_f32 v7, v51, v53
	v_dual_mul_f32 v15, v184, v105 :: v_dual_mul_f32 v17, v186, v107
	v_dual_mul_f32 v59, v185, v105 :: v_dual_mul_f32 v61, v187, v107
	s_wait_loadcnt_dscnt 0xc07
	v_dual_mul_f32 v51, v193, v113 :: v_dual_fmac_f32 v13, v183, v102
	v_dual_fma_f32 v53, v182, v102, -v57 :: v_dual_add_f32 v5, v5, v11
	v_dual_add_f32 v7, v7, v55 :: v_dual_fmac_f32 v15, v185, v104
	v_dual_mul_f32 v11, v195, v115 :: v_dual_fma_f32 v55, v184, v104, -v59
	s_delay_alu instid0(VALU_DEP_3) | instskip(NEXT) | instid1(VALU_DEP_3)
	v_dual_add_f32 v5, v5, v13 :: v_dual_fmac_f32 v17, v187, v106
	v_dual_add_f32 v7, v7, v53 :: v_dual_fma_f32 v53, v186, v106, -v61
	v_dual_mul_f32 v19, v188, v109 :: v_dual_mul_f32 v21, v190, v111
	s_wait_loadcnt_dscnt 0xb06
	s_delay_alu instid0(VALU_DEP_2) | instskip(SKIP_1) | instid1(VALU_DEP_3)
	v_dual_mul_f32 v13, v197, v117 :: v_dual_add_f32 v7, v7, v55
	v_dual_add_f32 v5, v5, v15 :: v_dual_fma_f32 v55, v188, v108, -v63
	v_dual_mul_f32 v15, v199, v119 :: v_dual_fmac_f32 v19, v189, v108
	s_delay_alu instid0(VALU_DEP_3) | instskip(NEXT) | instid1(VALU_DEP_3)
	v_dual_add_f32 v7, v7, v53 :: v_dual_fma_f32 v53, v190, v110, -v65
	v_dual_add_f32 v5, v5, v17 :: v_dual_fmac_f32 v21, v191, v110
	v_dual_mul_f32 v23, v192, v113 :: v_dual_mul_f32 v25, v194, v115
	s_wait_loadcnt_dscnt 0xa05
	s_delay_alu instid0(VALU_DEP_3) | instskip(NEXT) | instid1(VALU_DEP_3)
	v_dual_mul_f32 v17, v201, v121 :: v_dual_add_f32 v7, v7, v55
	v_dual_add_f32 v5, v5, v19 :: v_dual_fma_f32 v51, v192, v112, -v51
	s_delay_alu instid0(VALU_DEP_3) | instskip(NEXT) | instid1(VALU_DEP_3)
	v_dual_mul_f32 v19, v203, v123 :: v_dual_fmac_f32 v23, v193, v112
	v_dual_add_f32 v7, v7, v53 :: v_dual_fma_f32 v11, v194, v114, -v11
	s_delay_alu instid0(VALU_DEP_3) | instskip(SKIP_2) | instid1(VALU_DEP_3)
	v_dual_add_f32 v5, v5, v21 :: v_dual_fmac_f32 v25, v195, v114
	v_dual_mul_f32 v27, v196, v117 :: v_dual_mul_f32 v29, v198, v119
	s_wait_loadcnt_dscnt 0x904
	v_dual_mul_f32 v21, v205, v125 :: v_dual_add_f32 v7, v7, v51
	s_delay_alu instid0(VALU_DEP_3) | instskip(NEXT) | instid1(VALU_DEP_3)
	v_dual_add_f32 v5, v5, v23 :: v_dual_fma_f32 v13, v196, v116, -v13
	v_dual_mul_f32 v23, v207, v127 :: v_dual_fmac_f32 v27, v197, v116
	s_delay_alu instid0(VALU_DEP_2) | instskip(SKIP_3) | instid1(VALU_DEP_3)
	v_dual_add_f32 v7, v7, v11 :: v_dual_add_f32 v5, v5, v25
	v_dual_mul_f32 v31, v200, v121 :: v_dual_mul_f32 v33, v202, v123
	s_wait_loadcnt_dscnt 0x803
	v_dual_mul_f32 v11, v209, v129 :: v_dual_fmac_f32 v29, v199, v118
	v_dual_fma_f32 v15, v198, v118, -v15 :: v_dual_add_f32 v5, v5, v27
	s_delay_alu instid0(VALU_DEP_3) | instskip(SKIP_1) | instid1(VALU_DEP_2)
	v_dual_add_f32 v7, v7, v13 :: v_dual_fmac_f32 v31, v201, v120
	v_dual_mul_f32 v13, v211, v131 :: v_dual_fma_f32 v17, v200, v120, -v17
	v_dual_add_f32 v5, v5, v29 :: v_dual_add_f32 v7, v7, v15
	v_dual_mul_f32 v35, v204, v125 :: v_dual_mul_f32 v37, v206, v127
	s_wait_loadcnt_dscnt 0x702
	v_dual_mul_f32 v15, v213, v133 :: v_dual_fmac_f32 v33, v203, v122
	s_delay_alu instid0(VALU_DEP_3) | instskip(NEXT) | instid1(VALU_DEP_3)
	v_dual_fma_f32 v19, v202, v122, -v19 :: v_dual_add_f32 v5, v5, v31
	v_dual_add_f32 v7, v7, v17 :: v_dual_fmac_f32 v35, v205, v124
	v_dual_mul_f32 v17, v215, v135 :: v_dual_fma_f32 v21, v204, v124, -v21
	s_delay_alu instid0(VALU_DEP_2) | instskip(SKIP_3) | instid1(VALU_DEP_3)
	v_dual_add_f32 v5, v5, v33 :: v_dual_add_f32 v7, v7, v19
	v_dual_mul_f32 v39, v208, v129 :: v_dual_mul_f32 v41, v210, v131
	s_wait_loadcnt_dscnt 0x601
	v_dual_mul_f32 v19, v217, v137 :: v_dual_fmac_f32 v37, v207, v126
	v_dual_fma_f32 v23, v206, v126, -v23 :: v_dual_add_f32 v5, v5, v35
	s_delay_alu instid0(VALU_DEP_3) | instskip(SKIP_1) | instid1(VALU_DEP_2)
	v_dual_add_f32 v7, v7, v21 :: v_dual_fmac_f32 v39, v209, v128
	v_dual_mul_f32 v21, v219, v139 :: v_dual_fma_f32 v11, v208, v128, -v11
	v_dual_add_f32 v5, v5, v37 :: v_dual_add_f32 v7, v7, v23
	v_dual_mul_f32 v43, v212, v133 :: v_dual_mul_f32 v45, v214, v135
	s_wait_loadcnt_dscnt 0x500
	v_dual_mul_f32 v23, v221, v141 :: v_dual_fmac_f32 v41, v211, v130
	s_delay_alu instid0(VALU_DEP_3) | instskip(NEXT) | instid1(VALU_DEP_3)
	v_dual_fma_f32 v13, v210, v130, -v13 :: v_dual_add_f32 v5, v5, v39
	v_dual_add_f32 v7, v7, v11 :: v_dual_fmac_f32 v43, v213, v132
	v_dual_mul_f32 v11, v223, v143 :: v_dual_fma_f32 v15, v212, v132, -v15
	s_delay_alu instid0(VALU_DEP_3) | instskip(NEXT) | instid1(VALU_DEP_3)
	v_dual_add_f32 v5, v5, v41 :: v_dual_fmac_f32 v45, v215, v134
	v_dual_add_f32 v7, v7, v13 :: v_dual_fma_f32 v13, v214, v134, -v17
	v_dual_mul_f32 v47, v216, v137 :: v_dual_mul_f32 v49, v218, v139
	s_wait_loadcnt 0x4
	s_delay_alu instid0(VALU_DEP_3) | instskip(NEXT) | instid1(VALU_DEP_2)
	v_dual_add_f32 v5, v5, v43 :: v_dual_mov_b32 v98, v147
	v_dual_add_f32 v7, v7, v15 :: v_dual_fmac_f32 v47, v217, v136
	s_delay_alu instid0(VALU_DEP_2) | instskip(SKIP_1) | instid1(VALU_DEP_3)
	v_dual_fma_f32 v15, v216, v136, -v19 :: v_dual_add_f32 v5, v5, v45
	v_dual_mul_f32 v235, v220, v141 :: v_dual_mul_f32 v237, v222, v143
	v_dual_add_f32 v7, v7, v13 :: v_dual_fma_f32 v13, v218, v138, -v21
	s_delay_alu instid0(VALU_DEP_3) | instskip(SKIP_1) | instid1(VALU_DEP_3)
	v_dual_fmac_f32 v49, v219, v138 :: v_dual_add_f32 v5, v5, v47
	v_pk_mul_f32 v[96:97], v[160:161], v[144:145] op_sel:[1,1] op_sel_hi:[0,1]
	v_dual_add_f32 v7, v7, v15 :: v_dual_fmac_f32 v235, v221, v140
	s_wait_loadcnt 0x3
	v_dual_mov_b32 v102, v151 :: v_dual_fma_f32 v234, v220, v140, -v23
	v_dual_add_f32 v105, v5, v49 :: v_dual_fmac_f32 v237, v223, v142
	s_delay_alu instid0(VALU_DEP_3) | instskip(SKIP_3) | instid1(VALU_DEP_4)
	v_dual_add_f32 v104, v7, v13 :: v_dual_fma_f32 v236, v222, v142, -v11
	v_pk_fma_f32 v[106:107], v[160:161], v[144:145], v[96:97] op_sel_hi:[1,0,1]
	v_pk_mul_f32 v[98:99], v[226:227], v[98:99] op_sel_hi:[1,0]
	v_pk_fma_f32 v[96:97], v[160:161], v[144:145], v[96:97] neg_lo:[0,0,1] neg_hi:[0,0,1]
	v_pk_add_f32 v[104:105], v[104:105], v[234:235]
	v_pk_mul_f32 v[100:101], v[164:165], v[148:149] op_sel:[1,1] op_sel_hi:[0,1]
	v_mov_b32_e32 v97, v107
	v_pk_fma_f32 v[106:107], v[162:163], v[146:147], v[98:99] op_sel_hi:[1,0,1]
	v_pk_fma_f32 v[98:99], v[162:163], v[146:147], v[98:99] neg_lo:[0,0,1] neg_hi:[0,0,1]
	v_pk_add_f32 v[104:105], v[104:105], v[236:237]
	v_pk_fma_f32 v[110:111], v[164:165], v[148:149], v[100:101] op_sel_hi:[1,0,1]
	v_pk_mul_f32 v[102:103], v[228:229], v[102:103] op_sel_hi:[1,0]
	v_mov_b32_e32 v99, v107
	s_wait_loadcnt 0x2
	v_pk_mul_f32 v[108:109], v[168:169], v[152:153] op_sel:[1,1] op_sel_hi:[0,1]
	v_pk_add_f32 v[96:97], v[104:105], v[96:97]
	v_mov_b32_e32 v104, v155
	v_pk_fma_f32 v[100:101], v[164:165], v[148:149], v[100:101] neg_lo:[0,0,1] neg_hi:[0,0,1]
	v_mov_b32_e32 v101, v111
	v_pk_fma_f32 v[106:107], v[166:167], v[150:151], v[102:103] op_sel_hi:[1,0,1]
	v_pk_add_f32 v[96:97], v[96:97], v[98:99]
	v_pk_fma_f32 v[98:99], v[168:169], v[152:153], v[108:109] op_sel_hi:[1,0,1]
	v_pk_mul_f32 v[104:105], v[230:231], v[104:105] op_sel_hi:[1,0]
	v_pk_fma_f32 v[102:103], v[166:167], v[150:151], v[102:103] neg_lo:[0,0,1] neg_hi:[0,0,1]
	v_mov_b32_e32 v103, v107
	v_pk_add_f32 v[96:97], v[96:97], v[100:101]
	v_pk_fma_f32 v[106:107], v[168:169], v[152:153], v[108:109] neg_lo:[0,0,1] neg_hi:[0,0,1]
	v_mov_b32_e32 v107, v99
	v_pk_fma_f32 v[98:99], v[170:171], v[154:155], v[104:105] op_sel_hi:[1,0,1]
	s_wait_loadcnt 0x1
	v_pk_mul_f32 v[100:101], v[172:173], v[156:157] op_sel:[1,1] op_sel_hi:[0,1]
	v_pk_add_f32 v[96:97], v[96:97], v[102:103]
	v_mov_b32_e32 v98, v159
	v_pk_fma_f32 v[104:105], v[170:171], v[154:155], v[104:105] neg_lo:[0,0,1] neg_hi:[0,0,1]
	v_mov_b32_e32 v105, v99
	v_pk_fma_f32 v[102:103], v[172:173], v[156:157], v[100:101] op_sel_hi:[1,0,1]
	v_pk_add_f32 v[96:97], v[96:97], v[106:107]
	v_pk_mul_f32 v[98:99], v[232:233], v[98:99] op_sel_hi:[1,0]
	v_pk_fma_f32 v[100:101], v[172:173], v[156:157], v[100:101] neg_lo:[0,0,1] neg_hi:[0,0,1]
	s_delay_alu instid0(VALU_DEP_4) | instskip(NEXT) | instid1(VALU_DEP_4)
	v_mov_b32_e32 v101, v103
	v_pk_add_f32 v[96:97], v[96:97], v[104:105]
	s_delay_alu instid0(VALU_DEP_4) | instskip(SKIP_1) | instid1(VALU_DEP_2)
	v_pk_fma_f32 v[102:103], v[174:175], v[158:159], v[98:99] op_sel_hi:[1,0,1]
	v_pk_fma_f32 v[98:99], v[174:175], v[158:159], v[98:99] neg_lo:[0,0,1] neg_hi:[0,0,1]
	v_mov_b32_e32 v99, v103
	s_delay_alu instid0(VALU_DEP_4) | instskip(NEXT) | instid1(VALU_DEP_1)
	v_pk_add_f32 v[96:97], v[96:97], v[100:101]
	v_pk_add_f32 v[96:97], v[96:97], v[98:99]
	s_wait_loadcnt 0x0
	s_delay_alu instid0(VALU_DEP_1)
	v_pk_add_f32 v[96:97], v[224:225], v[96:97] neg_lo:[0,1] neg_hi:[0,1]
	scratch_store_b64 off, v[96:97], off offset:112
	s_wait_xcnt 0x0
	v_cmpx_lt_u32_e32 13, v0
	s_cbranch_execz .LBB46_269
; %bb.268:
	scratch_load_b64 v[96:97], off, off offset:104
	v_mov_b64_e32 v[98:99], 0
	scratch_store_b64 off, v[98:99], off offset:104
	s_wait_loadcnt 0x0
	ds_store_b64 v1, v[96:97]
.LBB46_269:
	s_wait_xcnt 0x0
	s_or_b32 exec_lo, exec_lo, s0
	s_wait_storecnt_dscnt 0x0
	s_barrier_signal -1
	s_barrier_wait -1
	s_clause 0x11
	scratch_load_b128 v[96:99], off, off offset:112
	scratch_load_b128 v[100:103], off, off offset:128
	;; [unrolled: 1-line block ×16, first 2 shown]
	scratch_load_b64 v[224:225], off, off offset:368
	scratch_load_b64 v[226:227], off, off offset:104
	v_mov_b32_e32 v5, 0
	ds_load_b128 v[160:163], v5 offset:688
	ds_load_b128 v[164:167], v5 offset:704
	;; [unrolled: 1-line block ×16, first 2 shown]
	ds_load_b64 v[228:229], v5 offset:752
	s_mov_b32 s0, exec_lo
	s_wait_dscnt 0x10
	v_dual_mov_b32 v230, v163 :: v_dual_mov_b32 v231, v162
	s_wait_dscnt 0xd
	v_dual_mov_b32 v232, v167 :: v_dual_mov_b32 v237, v174
	v_dual_mov_b32 v233, v166 :: v_dual_mov_b32 v234, v171
	;; [unrolled: 1-line block ×3, first 2 shown]
	s_wait_loadcnt_dscnt 0x110c
	v_dual_mul_f32 v7, v176, v97 :: v_dual_mul_f32 v55, v177, v97
	v_dual_mul_f32 v57, v179, v99 :: v_dual_mul_f32 v11, v178, v99
	s_wait_loadcnt_dscnt 0x100b
	v_mul_f32_e32 v13, v180, v101
	s_wait_loadcnt_dscnt 0xe09
	v_dual_mul_f32 v67, v189, v109 :: v_dual_fma_f32 v55, v176, v96, -v55
	v_dual_fmac_f32 v7, v177, v96 :: v_dual_mul_f32 v69, v191, v111
	v_dual_mul_f32 v59, v181, v101 :: v_dual_mul_f32 v61, v183, v103
	v_dual_fmac_f32 v11, v179, v98 :: v_dual_fma_f32 v57, v178, v98, -v57
	s_wait_loadcnt_dscnt 0xd08
	s_delay_alu instid0(VALU_DEP_3) | instskip(SKIP_1) | instid1(VALU_DEP_2)
	v_dual_add_f32 v7, 0, v7 :: v_dual_mul_f32 v71, v193, v113
	v_dual_add_f32 v55, 0, v55 :: v_dual_fmac_f32 v13, v181, v100
	v_dual_fma_f32 v59, v180, v100, -v59 :: v_dual_add_f32 v7, v7, v11
	v_dual_mul_f32 v63, v185, v105 :: v_dual_mul_f32 v65, v187, v107
	s_delay_alu instid0(VALU_DEP_3) | instskip(SKIP_2) | instid1(VALU_DEP_3)
	v_dual_add_f32 v11, v55, v57 :: v_dual_fma_f32 v57, v182, v102, -v61
	v_dual_mul_f32 v15, v182, v103 :: v_dual_mul_f32 v17, v184, v105
	v_dual_mul_f32 v19, v186, v107 :: v_dual_mul_f32 v21, v188, v109
	v_add_f32_e32 v11, v11, v59
	v_dual_add_f32 v7, v7, v13 :: v_dual_fma_f32 v59, v184, v104, -v63
	v_dual_mul_f32 v23, v190, v111 :: v_dual_mul_f32 v25, v192, v113
	s_delay_alu instid0(VALU_DEP_3) | instskip(SKIP_1) | instid1(VALU_DEP_2)
	v_dual_add_f32 v11, v11, v57 :: v_dual_fmac_f32 v21, v189, v108
	v_dual_fmac_f32 v15, v183, v102 :: v_dual_fmac_f32 v17, v185, v104
	v_dual_fma_f32 v57, v186, v106, -v65 :: v_dual_add_f32 v11, v11, v59
	s_delay_alu instid0(VALU_DEP_4) | instskip(SKIP_1) | instid1(VALU_DEP_3)
	v_dual_fmac_f32 v25, v193, v112 :: v_dual_mul_f32 v55, v195, v115
	s_wait_loadcnt_dscnt 0xc07
	v_dual_mul_f32 v13, v197, v117 :: v_dual_add_f32 v7, v7, v15
	v_dual_mul_f32 v15, v199, v119 :: v_dual_fma_f32 v59, v188, v108, -v67
	s_delay_alu instid0(VALU_DEP_3) | instskip(SKIP_1) | instid1(VALU_DEP_4)
	v_dual_add_f32 v11, v11, v57 :: v_dual_fma_f32 v55, v194, v114, -v55
	v_fmac_f32_e32 v19, v187, v106
	v_dual_add_f32 v7, v7, v17 :: v_dual_fma_f32 v57, v190, v110, -v69
	s_delay_alu instid0(VALU_DEP_3) | instskip(SKIP_2) | instid1(VALU_DEP_3)
	v_dual_add_f32 v11, v11, v59 :: v_dual_fma_f32 v15, v198, v118, -v15
	s_wait_loadcnt_dscnt 0xb06
	v_dual_mul_f32 v31, v198, v119 :: v_dual_mul_f32 v33, v200, v121
	v_dual_add_f32 v7, v7, v19 :: v_dual_fma_f32 v59, v192, v112, -v71
	s_delay_alu instid0(VALU_DEP_3) | instskip(SKIP_4) | instid1(VALU_DEP_3)
	v_dual_add_f32 v11, v11, v57 :: v_dual_mul_f32 v27, v194, v115
	v_dual_mul_f32 v29, v196, v117 :: v_dual_mul_f32 v35, v202, v123
	s_wait_loadcnt_dscnt 0xa05
	v_mul_f32_e32 v37, v204, v125
	v_dual_mul_f32 v17, v201, v121 :: v_dual_fmac_f32 v23, v191, v110
	v_dual_fmac_f32 v29, v197, v116 :: v_dual_add_f32 v7, v7, v21
	v_fma_f32 v13, v196, v116, -v13
	v_dual_fmac_f32 v33, v201, v120 :: v_dual_add_f32 v11, v11, v59
	s_delay_alu instid0(VALU_DEP_3) | instskip(SKIP_1) | instid1(VALU_DEP_3)
	v_dual_fmac_f32 v37, v205, v124 :: v_dual_add_f32 v7, v7, v23
	v_dual_mul_f32 v23, v207, v127 :: v_dual_fma_f32 v17, v200, v120, -v17
	v_add_f32_e32 v11, v11, v55
	s_wait_loadcnt_dscnt 0x803
	v_dual_mul_f32 v43, v210, v131 :: v_dual_mul_f32 v45, v212, v133
	s_delay_alu instid0(VALU_DEP_3) | instskip(NEXT) | instid1(VALU_DEP_3)
	v_dual_fma_f32 v23, v206, v126, -v23 :: v_dual_mul_f32 v19, v203, v123
	v_add_f32_e32 v11, v11, v13
	v_dual_mul_f32 v21, v205, v125 :: v_dual_fmac_f32 v27, v195, v114
	v_mul_f32_e32 v13, v213, v133
	v_add_f32_e32 v7, v7, v25
	s_delay_alu instid0(VALU_DEP_4) | instskip(SKIP_3) | instid1(VALU_DEP_3)
	v_dual_add_f32 v11, v11, v15 :: v_dual_fmac_f32 v45, v213, v132
	v_dual_mul_f32 v25, v209, v129 :: v_dual_fma_f32 v19, v202, v122, -v19
	s_wait_loadcnt_dscnt 0x601
	v_dual_mul_f32 v51, v218, v139 :: v_dual_mul_f32 v53, v220, v141
	v_add_f32_e32 v11, v11, v17
	v_dual_mul_f32 v17, v217, v137 :: v_dual_add_f32 v7, v7, v27
	s_wait_loadcnt 0x5
	v_dual_fma_f32 v21, v204, v124, -v21 :: v_dual_mov_b32 v96, v147
	s_wait_loadcnt 0x4
	v_mov_b32_e32 v100, v151
	v_dual_add_f32 v11, v11, v19 :: v_dual_fmac_f32 v53, v221, v140
	v_dual_mul_f32 v239, v222, v143 :: v_dual_mul_f32 v241, v160, v145
	v_pk_mul_f32 v[96:97], v[230:231], v[96:97] op_sel_hi:[1,0]
	s_delay_alu instid0(VALU_DEP_3)
	v_dual_add_f32 v11, v11, v21 :: v_dual_mul_f32 v39, v206, v127
	v_dual_mul_f32 v41, v208, v129 :: v_dual_mul_f32 v27, v211, v131
	v_dual_mul_f32 v21, v221, v141 :: v_dual_fmac_f32 v31, v199, v118
	v_dual_add_f32 v7, v7, v29 :: v_dual_fma_f32 v25, v208, v128, -v25
	v_fmac_f32_e32 v241, v161, v144
	v_pk_fma_f32 v[108:109], v[162:163], v[146:147], v[96:97] op_sel_hi:[1,0,1]
	v_add_f32_e32 v11, v11, v23
	v_pk_fma_f32 v[96:97], v[162:163], v[146:147], v[96:97] neg_lo:[0,0,1] neg_hi:[0,0,1]
	v_dual_fmac_f32 v41, v209, v128 :: v_dual_add_f32 v7, v7, v31
	s_delay_alu instid0(VALU_DEP_4) | instskip(NEXT) | instid1(VALU_DEP_4)
	v_dual_fma_f32 v27, v210, v130, -v27 :: v_dual_mov_b32 v97, v109
	v_dual_add_f32 v11, v11, v25 :: v_dual_mul_f32 v47, v214, v135
	v_dual_mul_f32 v49, v216, v137 :: v_dual_mul_f32 v15, v215, v135
	v_dual_fma_f32 v13, v212, v132, -v13 :: v_dual_fmac_f32 v35, v203, v122
	v_mul_f32_e32 v25, v161, v145
	s_delay_alu instid0(VALU_DEP_3) | instskip(SKIP_2) | instid1(VALU_DEP_3)
	v_dual_add_f32 v7, v7, v33 :: v_dual_fma_f32 v15, v214, v134, -v15
	v_add_f32_e32 v11, v11, v27
	v_dual_mul_f32 v19, v219, v139 :: v_dual_fmac_f32 v51, v219, v138
	v_dual_fmac_f32 v49, v217, v136 :: v_dual_add_f32 v7, v7, v35
	s_delay_alu instid0(VALU_DEP_3) | instskip(SKIP_2) | instid1(VALU_DEP_3)
	v_add_f32_e32 v11, v11, v13
	v_fmac_f32_e32 v39, v207, v126
	v_dual_mul_f32 v23, v223, v143 :: v_dual_fmac_f32 v239, v223, v142
	v_dual_fma_f32 v13, v216, v136, -v17 :: v_dual_add_f32 v11, v11, v15
	v_dual_fma_f32 v15, v218, v138, -v19 :: v_dual_add_f32 v7, v7, v37
	s_delay_alu instid0(VALU_DEP_3) | instskip(SKIP_1) | instid1(VALU_DEP_4)
	v_fma_f32 v238, v222, v142, -v23
	v_fmac_f32_e32 v43, v211, v130
	v_dual_add_f32 v11, v11, v13 :: v_dual_fma_f32 v13, v220, v140, -v21
	s_delay_alu instid0(VALU_DEP_4) | instskip(SKIP_1) | instid1(VALU_DEP_3)
	v_dual_add_f32 v7, v7, v39 :: v_dual_fma_f32 v240, v160, v144, -v25
	v_fmac_f32_e32 v47, v215, v134
	v_add_f32_e32 v11, v11, v15
	v_pk_mul_f32 v[98:99], v[164:165], v[148:149] op_sel:[1,1] op_sel_hi:[0,1]
	s_delay_alu instid0(VALU_DEP_4)
	v_add_f32_e32 v7, v7, v41
	v_pk_mul_f32 v[100:101], v[232:233], v[100:101] op_sel_hi:[1,0]
	s_wait_loadcnt 0x3
	v_pk_mul_f32 v[102:103], v[168:169], v[152:153] op_sel:[1,1] op_sel_hi:[0,1]
	v_add_f32_e32 v104, v11, v13
	v_pk_fma_f32 v[110:111], v[164:165], v[148:149], v[98:99] op_sel_hi:[1,0,1]
	v_add_f32_e32 v7, v7, v43
	v_pk_fma_f32 v[98:99], v[164:165], v[148:149], v[98:99] neg_lo:[0,0,1] neg_hi:[0,0,1]
	v_mov_b32_e32 v106, v155
	s_wait_loadcnt 0x2
	v_pk_mul_f32 v[108:109], v[172:173], v[156:157] op_sel:[1,1] op_sel_hi:[0,1]
	v_mov_b32_e32 v99, v111
	v_add_f32_e32 v7, v7, v45
	v_pk_fma_f32 v[110:111], v[166:167], v[150:151], v[100:101] op_sel_hi:[1,0,1]
	v_pk_fma_f32 v[100:101], v[166:167], v[150:151], v[100:101] neg_lo:[0,0,1] neg_hi:[0,0,1]
	v_pk_mul_f32 v[106:107], v[234:235], v[106:107] op_sel_hi:[1,0]
	s_delay_alu instid0(VALU_DEP_4) | instskip(NEXT) | instid1(VALU_DEP_4)
	v_add_f32_e32 v7, v7, v47
	v_mov_b32_e32 v101, v111
	s_delay_alu instid0(VALU_DEP_2) | instskip(NEXT) | instid1(VALU_DEP_1)
	v_add_f32_e32 v7, v7, v49
	v_add_f32_e32 v7, v7, v51
	s_delay_alu instid0(VALU_DEP_1) | instskip(NEXT) | instid1(VALU_DEP_1)
	v_add_f32_e32 v105, v7, v53
	v_pk_add_f32 v[104:105], v[104:105], v[238:239]
	s_delay_alu instid0(VALU_DEP_1) | instskip(NEXT) | instid1(VALU_DEP_1)
	v_pk_add_f32 v[104:105], v[104:105], v[240:241]
	v_pk_add_f32 v[96:97], v[104:105], v[96:97]
	v_pk_fma_f32 v[104:105], v[168:169], v[152:153], v[102:103] op_sel_hi:[1,0,1]
	v_pk_fma_f32 v[102:103], v[168:169], v[152:153], v[102:103] neg_lo:[0,0,1] neg_hi:[0,0,1]
	s_delay_alu instid0(VALU_DEP_3) | instskip(NEXT) | instid1(VALU_DEP_3)
	v_pk_add_f32 v[96:97], v[96:97], v[98:99]
	v_dual_mov_b32 v98, v159 :: v_dual_mov_b32 v103, v105
	v_pk_fma_f32 v[104:105], v[170:171], v[154:155], v[106:107] op_sel_hi:[1,0,1]
	v_pk_fma_f32 v[106:107], v[170:171], v[154:155], v[106:107] neg_lo:[0,0,1] neg_hi:[0,0,1]
	s_delay_alu instid0(VALU_DEP_4)
	v_pk_add_f32 v[96:97], v[96:97], v[100:101]
	v_pk_fma_f32 v[100:101], v[172:173], v[156:157], v[108:109] op_sel_hi:[1,0,1]
	v_pk_mul_f32 v[98:99], v[236:237], v[98:99] op_sel_hi:[1,0]
	v_mov_b32_e32 v107, v105
	s_wait_loadcnt_dscnt 0x100
	v_pk_mul_f32 v[104:105], v[228:229], v[224:225] op_sel:[1,1] op_sel_hi:[0,1]
	v_pk_add_f32 v[96:97], v[96:97], v[102:103]
	v_pk_fma_f32 v[102:103], v[172:173], v[156:157], v[108:109] neg_lo:[0,0,1] neg_hi:[0,0,1]
	v_mov_b32_e32 v103, v101
	v_pk_fma_f32 v[100:101], v[174:175], v[158:159], v[98:99] op_sel_hi:[1,0,1]
	v_pk_fma_f32 v[98:99], v[174:175], v[158:159], v[98:99] neg_lo:[0,0,1] neg_hi:[0,0,1]
	v_pk_add_f32 v[96:97], v[96:97], v[106:107]
	s_delay_alu instid0(VALU_DEP_3) | instskip(SKIP_1) | instid1(VALU_DEP_3)
	v_mov_b32_e32 v99, v101
	v_pk_fma_f32 v[100:101], v[228:229], v[224:225], v[104:105] op_sel_hi:[1,0,1]
	v_pk_add_f32 v[96:97], v[96:97], v[102:103]
	v_pk_fma_f32 v[102:103], v[228:229], v[224:225], v[104:105] neg_lo:[0,0,1] neg_hi:[0,0,1]
	s_delay_alu instid0(VALU_DEP_3) | instskip(NEXT) | instid1(VALU_DEP_3)
	v_mov_b32_e32 v103, v101
	v_pk_add_f32 v[96:97], v[96:97], v[98:99]
	s_delay_alu instid0(VALU_DEP_1) | instskip(SKIP_1) | instid1(VALU_DEP_1)
	v_pk_add_f32 v[96:97], v[96:97], v[102:103]
	s_wait_loadcnt 0x0
	v_pk_add_f32 v[96:97], v[226:227], v[96:97] neg_lo:[0,1] neg_hi:[0,1]
	scratch_store_b64 off, v[96:97], off offset:104
	s_wait_xcnt 0x0
	v_cmpx_lt_u32_e32 12, v0
	s_cbranch_execz .LBB46_271
; %bb.270:
	scratch_load_b64 v[96:97], off, off offset:96
	v_mov_b64_e32 v[98:99], 0
	scratch_store_b64 off, v[98:99], off offset:96
	s_wait_loadcnt 0x0
	ds_store_b64 v1, v[96:97]
.LBB46_271:
	s_wait_xcnt 0x0
	s_or_b32 exec_lo, exec_lo, s0
	s_wait_storecnt_dscnt 0x0
	s_barrier_signal -1
	s_barrier_wait -1
	s_clause 0x11
	scratch_load_b128 v[96:99], off, off offset:104
	scratch_load_b128 v[100:103], off, off offset:120
	;; [unrolled: 1-line block ×17, first 2 shown]
	scratch_load_b64 v[232:233], off, off offset:96
	ds_load_2addr_b64 v[164:167], v5 offset0:87 offset1:88
	ds_load_2addr_b64 v[168:171], v5 offset0:89 offset1:90
	;; [unrolled: 1-line block ×17, first 2 shown]
	s_mov_b32 s0, exec_lo
	s_wait_dscnt 0x10
	v_dual_mov_b32 v234, v167 :: v_dual_mov_b32 v235, v166
	s_wait_dscnt 0xf
	v_dual_mov_b32 v236, v171 :: v_dual_mov_b32 v237, v170
	;; [unrolled: 2-line block ×4, first 2 shown]
	s_wait_loadcnt_dscnt 0x110b
	v_dual_mul_f32 v5, v184, v97 :: v_dual_mul_f32 v7, v186, v99
	v_dual_mul_f32 v55, v185, v97 :: v_dual_mul_f32 v57, v187, v99
	s_wait_loadcnt_dscnt 0x100a
	v_dual_mul_f32 v11, v188, v101 :: v_dual_mul_f32 v13, v190, v103
	s_delay_alu instid0(VALU_DEP_2) | instskip(SKIP_3) | instid1(VALU_DEP_3)
	v_dual_fmac_f32 v5, v185, v96 :: v_dual_fma_f32 v55, v184, v96, -v55
	v_dual_mul_f32 v59, v189, v101 :: v_dual_mul_f32 v61, v191, v103
	s_wait_loadcnt_dscnt 0xe08
	v_dual_mul_f32 v67, v197, v109 :: v_dual_fmac_f32 v7, v187, v98
	v_dual_fma_f32 v57, v186, v98, -v57 :: v_dual_add_f32 v5, 0, v5
	v_dual_add_f32 v55, 0, v55 :: v_dual_fmac_f32 v11, v189, v100
	v_dual_mul_f32 v69, v199, v111 :: v_dual_fma_f32 v59, v188, v100, -v59
	s_delay_alu instid0(VALU_DEP_2)
	v_dual_add_f32 v5, v5, v7 :: v_dual_add_f32 v7, v55, v57
	v_dual_mul_f32 v15, v192, v105 :: v_dual_mul_f32 v17, v194, v107
	v_dual_mul_f32 v63, v193, v105 :: v_dual_mul_f32 v65, v195, v107
	s_wait_loadcnt_dscnt 0xd07
	v_dual_mul_f32 v55, v201, v113 :: v_dual_fmac_f32 v13, v191, v102
	v_dual_fma_f32 v57, v190, v102, -v61 :: v_dual_add_f32 v5, v5, v11
	v_dual_add_f32 v7, v7, v59 :: v_dual_fmac_f32 v15, v193, v104
	v_dual_mul_f32 v11, v203, v115 :: v_dual_fma_f32 v59, v192, v104, -v63
	s_delay_alu instid0(VALU_DEP_3) | instskip(NEXT) | instid1(VALU_DEP_3)
	v_dual_add_f32 v5, v5, v13 :: v_dual_fmac_f32 v17, v195, v106
	v_dual_add_f32 v7, v7, v57 :: v_dual_fma_f32 v57, v194, v106, -v65
	v_dual_mul_f32 v19, v196, v109 :: v_dual_mul_f32 v21, v198, v111
	s_wait_loadcnt_dscnt 0xc06
	s_delay_alu instid0(VALU_DEP_2) | instskip(SKIP_1) | instid1(VALU_DEP_3)
	v_dual_mul_f32 v13, v205, v117 :: v_dual_add_f32 v7, v7, v59
	v_dual_add_f32 v5, v5, v15 :: v_dual_fma_f32 v59, v196, v108, -v67
	v_dual_mul_f32 v15, v207, v119 :: v_dual_fmac_f32 v19, v197, v108
	s_delay_alu instid0(VALU_DEP_3) | instskip(NEXT) | instid1(VALU_DEP_3)
	v_dual_add_f32 v7, v7, v57 :: v_dual_fma_f32 v57, v198, v110, -v69
	v_dual_add_f32 v5, v5, v17 :: v_dual_fmac_f32 v21, v199, v110
	v_dual_mul_f32 v23, v200, v113 :: v_dual_mul_f32 v25, v202, v115
	s_wait_loadcnt_dscnt 0xb05
	s_delay_alu instid0(VALU_DEP_3) | instskip(NEXT) | instid1(VALU_DEP_3)
	v_dual_mul_f32 v17, v209, v121 :: v_dual_add_f32 v7, v7, v59
	v_dual_add_f32 v5, v5, v19 :: v_dual_fma_f32 v55, v200, v112, -v55
	s_delay_alu instid0(VALU_DEP_3) | instskip(NEXT) | instid1(VALU_DEP_3)
	v_dual_mul_f32 v19, v211, v123 :: v_dual_fmac_f32 v23, v201, v112
	v_dual_add_f32 v7, v7, v57 :: v_dual_fma_f32 v11, v202, v114, -v11
	s_delay_alu instid0(VALU_DEP_3) | instskip(SKIP_2) | instid1(VALU_DEP_3)
	v_dual_add_f32 v5, v5, v21 :: v_dual_fmac_f32 v25, v203, v114
	v_dual_mul_f32 v27, v204, v117 :: v_dual_mul_f32 v29, v206, v119
	s_wait_loadcnt_dscnt 0xa04
	v_dual_mul_f32 v21, v213, v125 :: v_dual_add_f32 v7, v7, v55
	s_delay_alu instid0(VALU_DEP_3) | instskip(NEXT) | instid1(VALU_DEP_3)
	v_dual_add_f32 v5, v5, v23 :: v_dual_fma_f32 v13, v204, v116, -v13
	v_dual_mul_f32 v23, v215, v127 :: v_dual_fmac_f32 v27, v205, v116
	s_delay_alu instid0(VALU_DEP_2) | instskip(SKIP_3) | instid1(VALU_DEP_3)
	v_dual_add_f32 v7, v7, v11 :: v_dual_add_f32 v5, v5, v25
	v_dual_mul_f32 v31, v208, v121 :: v_dual_mul_f32 v33, v210, v123
	s_wait_loadcnt_dscnt 0x903
	v_dual_mul_f32 v11, v217, v129 :: v_dual_fmac_f32 v29, v207, v118
	v_dual_fma_f32 v15, v206, v118, -v15 :: v_dual_add_f32 v5, v5, v27
	s_delay_alu instid0(VALU_DEP_3) | instskip(SKIP_1) | instid1(VALU_DEP_2)
	v_dual_add_f32 v7, v7, v13 :: v_dual_fmac_f32 v31, v209, v120
	v_dual_mul_f32 v13, v219, v131 :: v_dual_fma_f32 v17, v208, v120, -v17
	v_dual_add_f32 v5, v5, v29 :: v_dual_add_f32 v7, v7, v15
	v_dual_mul_f32 v35, v212, v125 :: v_dual_mul_f32 v37, v214, v127
	s_wait_loadcnt_dscnt 0x802
	v_dual_mul_f32 v15, v221, v133 :: v_dual_fmac_f32 v33, v211, v122
	s_delay_alu instid0(VALU_DEP_3) | instskip(NEXT) | instid1(VALU_DEP_3)
	v_dual_fma_f32 v19, v210, v122, -v19 :: v_dual_add_f32 v5, v5, v31
	v_dual_add_f32 v7, v7, v17 :: v_dual_fmac_f32 v35, v213, v124
	v_dual_mul_f32 v17, v223, v135 :: v_dual_fma_f32 v21, v212, v124, -v21
	s_delay_alu instid0(VALU_DEP_2) | instskip(SKIP_3) | instid1(VALU_DEP_3)
	v_dual_add_f32 v5, v5, v33 :: v_dual_add_f32 v7, v7, v19
	v_dual_mul_f32 v39, v216, v129 :: v_dual_mul_f32 v41, v218, v131
	s_wait_loadcnt_dscnt 0x701
	v_dual_mul_f32 v19, v225, v137 :: v_dual_fmac_f32 v37, v215, v126
	v_dual_fma_f32 v23, v214, v126, -v23 :: v_dual_add_f32 v5, v5, v35
	s_delay_alu instid0(VALU_DEP_3) | instskip(SKIP_1) | instid1(VALU_DEP_2)
	v_dual_add_f32 v7, v7, v21 :: v_dual_fmac_f32 v39, v217, v128
	v_dual_mul_f32 v21, v227, v139 :: v_dual_fma_f32 v11, v216, v128, -v11
	v_dual_add_f32 v5, v5, v37 :: v_dual_add_f32 v7, v7, v23
	v_dual_mul_f32 v43, v220, v133 :: v_dual_mul_f32 v45, v222, v135
	s_wait_loadcnt_dscnt 0x600
	v_dual_mul_f32 v23, v229, v141 :: v_dual_fmac_f32 v41, v219, v130
	s_delay_alu instid0(VALU_DEP_3) | instskip(NEXT) | instid1(VALU_DEP_3)
	v_dual_fma_f32 v13, v218, v130, -v13 :: v_dual_add_f32 v5, v5, v39
	v_dual_add_f32 v7, v7, v11 :: v_dual_fmac_f32 v43, v221, v132
	v_dual_mul_f32 v11, v231, v143 :: v_dual_fma_f32 v15, v220, v132, -v15
	s_delay_alu instid0(VALU_DEP_3) | instskip(NEXT) | instid1(VALU_DEP_3)
	v_dual_add_f32 v5, v5, v41 :: v_dual_fmac_f32 v45, v223, v134
	v_dual_add_f32 v7, v7, v13 :: v_dual_fma_f32 v17, v222, v134, -v17
	v_dual_mul_f32 v47, v224, v137 :: v_dual_mul_f32 v49, v226, v139
	s_wait_loadcnt 0x5
	s_delay_alu instid0(VALU_DEP_2) | instskip(SKIP_1) | instid1(VALU_DEP_3)
	v_dual_mul_f32 v13, v181, v145 :: v_dual_add_f32 v7, v7, v15
	v_dual_add_f32 v5, v5, v43 :: v_dual_fma_f32 v19, v224, v136, -v19
	v_dual_mul_f32 v15, v183, v147 :: v_dual_fmac_f32 v47, v225, v136
	s_delay_alu instid0(VALU_DEP_3) | instskip(NEXT) | instid1(VALU_DEP_3)
	v_dual_add_f32 v7, v7, v17 :: v_dual_fma_f32 v17, v226, v138, -v21
	v_dual_add_f32 v5, v5, v45 :: v_dual_fmac_f32 v49, v227, v138
	v_dual_mul_f32 v51, v228, v141 :: v_dual_mul_f32 v53, v230, v143
	s_delay_alu instid0(VALU_DEP_3) | instskip(SKIP_1) | instid1(VALU_DEP_3)
	v_add_f32_e32 v7, v7, v19
	s_wait_loadcnt 0x4
	v_dual_add_f32 v5, v5, v47 :: v_dual_mov_b32 v98, v151
	s_delay_alu instid0(VALU_DEP_3) | instskip(NEXT) | instid1(VALU_DEP_3)
	v_fmac_f32_e32 v51, v229, v140
	v_dual_fma_f32 v19, v228, v140, -v23 :: v_dual_add_f32 v7, v7, v17
	s_delay_alu instid0(VALU_DEP_3) | instskip(SKIP_2) | instid1(VALU_DEP_4)
	v_dual_fma_f32 v11, v230, v142, -v11 :: v_dual_add_f32 v5, v5, v49
	v_dual_mul_f32 v243, v180, v145 :: v_dual_mul_f32 v245, v182, v147
	v_fmac_f32_e32 v53, v231, v142
	v_add_f32_e32 v7, v7, v19
	s_delay_alu instid0(VALU_DEP_4)
	v_add_f32_e32 v5, v5, v51
	v_pk_mul_f32 v[96:97], v[164:165], v[148:149] op_sel:[1,1] op_sel_hi:[0,1]
	s_wait_loadcnt 0x3
	v_dual_mov_b32 v102, v155 :: v_dual_fma_f32 v242, v180, v144, -v13
	v_fmac_f32_e32 v243, v181, v144
	v_dual_add_f32 v105, v5, v53 :: v_dual_add_f32 v104, v7, v11
	v_dual_fmac_f32 v245, v183, v146 :: v_dual_fma_f32 v244, v182, v146, -v15
	v_pk_fma_f32 v[106:107], v[164:165], v[148:149], v[96:97] op_sel_hi:[1,0,1]
	v_pk_mul_f32 v[98:99], v[234:235], v[98:99] op_sel_hi:[1,0]
	s_delay_alu instid0(VALU_DEP_4)
	v_pk_add_f32 v[104:105], v[104:105], v[242:243]
	v_pk_fma_f32 v[96:97], v[164:165], v[148:149], v[96:97] neg_lo:[0,0,1] neg_hi:[0,0,1]
	v_pk_mul_f32 v[100:101], v[168:169], v[152:153] op_sel:[1,1] op_sel_hi:[0,1]
	v_mov_b32_e32 v97, v107
	v_pk_fma_f32 v[106:107], v[166:167], v[150:151], v[98:99] op_sel_hi:[1,0,1]
	v_pk_add_f32 v[104:105], v[104:105], v[244:245]
	v_pk_fma_f32 v[98:99], v[166:167], v[150:151], v[98:99] neg_lo:[0,0,1] neg_hi:[0,0,1]
	v_pk_fma_f32 v[110:111], v[168:169], v[152:153], v[100:101] op_sel_hi:[1,0,1]
	v_pk_mul_f32 v[102:103], v[236:237], v[102:103] op_sel_hi:[1,0]
	v_mov_b32_e32 v99, v107
	v_pk_add_f32 v[96:97], v[104:105], v[96:97]
	s_wait_loadcnt 0x2
	v_pk_mul_f32 v[108:109], v[172:173], v[156:157] op_sel:[1,1] op_sel_hi:[0,1]
	v_mov_b32_e32 v104, v159
	v_pk_fma_f32 v[100:101], v[168:169], v[152:153], v[100:101] neg_lo:[0,0,1] neg_hi:[0,0,1]
	v_mov_b32_e32 v101, v111
	v_pk_fma_f32 v[106:107], v[170:171], v[154:155], v[102:103] op_sel_hi:[1,0,1]
	v_pk_add_f32 v[96:97], v[96:97], v[98:99]
	v_pk_fma_f32 v[98:99], v[172:173], v[156:157], v[108:109] op_sel_hi:[1,0,1]
	v_pk_mul_f32 v[104:105], v[238:239], v[104:105] op_sel_hi:[1,0]
	v_pk_fma_f32 v[102:103], v[170:171], v[154:155], v[102:103] neg_lo:[0,0,1] neg_hi:[0,0,1]
	v_mov_b32_e32 v103, v107
	v_pk_add_f32 v[96:97], v[96:97], v[100:101]
	v_pk_fma_f32 v[106:107], v[172:173], v[156:157], v[108:109] neg_lo:[0,0,1] neg_hi:[0,0,1]
	v_mov_b32_e32 v107, v99
	v_pk_fma_f32 v[98:99], v[174:175], v[158:159], v[104:105] op_sel_hi:[1,0,1]
	s_wait_loadcnt 0x1
	v_pk_mul_f32 v[100:101], v[176:177], v[160:161] op_sel:[1,1] op_sel_hi:[0,1]
	v_pk_add_f32 v[96:97], v[96:97], v[102:103]
	v_mov_b32_e32 v98, v163
	v_pk_fma_f32 v[104:105], v[174:175], v[158:159], v[104:105] neg_lo:[0,0,1] neg_hi:[0,0,1]
	v_mov_b32_e32 v105, v99
	v_pk_fma_f32 v[102:103], v[176:177], v[160:161], v[100:101] op_sel_hi:[1,0,1]
	v_pk_add_f32 v[96:97], v[96:97], v[106:107]
	v_pk_mul_f32 v[98:99], v[240:241], v[98:99] op_sel_hi:[1,0]
	v_pk_fma_f32 v[100:101], v[176:177], v[160:161], v[100:101] neg_lo:[0,0,1] neg_hi:[0,0,1]
	s_delay_alu instid0(VALU_DEP_4) | instskip(NEXT) | instid1(VALU_DEP_4)
	v_mov_b32_e32 v101, v103
	v_pk_add_f32 v[96:97], v[96:97], v[104:105]
	s_delay_alu instid0(VALU_DEP_4) | instskip(SKIP_1) | instid1(VALU_DEP_2)
	v_pk_fma_f32 v[102:103], v[178:179], v[162:163], v[98:99] op_sel_hi:[1,0,1]
	v_pk_fma_f32 v[98:99], v[178:179], v[162:163], v[98:99] neg_lo:[0,0,1] neg_hi:[0,0,1]
	v_mov_b32_e32 v99, v103
	s_delay_alu instid0(VALU_DEP_4) | instskip(NEXT) | instid1(VALU_DEP_1)
	v_pk_add_f32 v[96:97], v[96:97], v[100:101]
	v_pk_add_f32 v[96:97], v[96:97], v[98:99]
	s_wait_loadcnt 0x0
	s_delay_alu instid0(VALU_DEP_1)
	v_pk_add_f32 v[96:97], v[232:233], v[96:97] neg_lo:[0,1] neg_hi:[0,1]
	scratch_store_b64 off, v[96:97], off offset:96
	s_wait_xcnt 0x0
	v_cmpx_lt_u32_e32 11, v0
	s_cbranch_execz .LBB46_273
; %bb.272:
	scratch_load_b64 v[96:97], off, off offset:88
	v_mov_b64_e32 v[98:99], 0
	scratch_store_b64 off, v[98:99], off offset:88
	s_wait_loadcnt 0x0
	ds_store_b64 v1, v[96:97]
.LBB46_273:
	s_wait_xcnt 0x0
	s_or_b32 exec_lo, exec_lo, s0
	s_wait_storecnt_dscnt 0x0
	s_barrier_signal -1
	s_barrier_wait -1
	s_clause 0x12
	scratch_load_b128 v[96:99], off, off offset:96
	scratch_load_b128 v[100:103], off, off offset:112
	;; [unrolled: 1-line block ×17, first 2 shown]
	scratch_load_b64 v[232:233], off, off offset:368
	scratch_load_b64 v[234:235], off, off offset:88
	v_mov_b32_e32 v5, 0
	ds_load_b128 v[164:167], v5 offset:688
	ds_load_b128 v[168:171], v5 offset:704
	;; [unrolled: 1-line block ×17, first 2 shown]
	ds_load_b64 v[236:237], v5 offset:752
	s_mov_b32 s0, exec_lo
	s_wait_dscnt 0x11
	v_dual_mov_b32 v238, v167 :: v_dual_mov_b32 v239, v166
	s_wait_dscnt 0x10
	v_dual_mov_b32 v240, v171 :: v_dual_mov_b32 v241, v170
	;; [unrolled: 2-line block ×3, first 2 shown]
	v_dual_mov_b32 v243, v174 :: v_dual_mov_b32 v244, v183
	s_wait_loadcnt_dscnt 0x120c
	v_dual_mul_f32 v7, v184, v97 :: v_dual_mul_f32 v59, v185, v97
	v_dual_mul_f32 v61, v187, v99 :: v_dual_mul_f32 v11, v186, v99
	s_wait_loadcnt_dscnt 0x110b
	v_mul_f32_e32 v13, v188, v101
	s_wait_loadcnt_dscnt 0xf09
	v_dual_mul_f32 v71, v197, v109 :: v_dual_fma_f32 v59, v184, v96, -v59
	v_dual_fmac_f32 v7, v185, v96 :: v_dual_mul_f32 v73, v199, v111
	v_dual_mul_f32 v63, v189, v101 :: v_dual_mul_f32 v65, v191, v103
	v_dual_fmac_f32 v11, v187, v98 :: v_dual_fma_f32 v61, v186, v98, -v61
	s_wait_loadcnt_dscnt 0xe08
	s_delay_alu instid0(VALU_DEP_3) | instskip(SKIP_1) | instid1(VALU_DEP_2)
	v_dual_add_f32 v7, 0, v7 :: v_dual_mul_f32 v75, v201, v113
	v_dual_add_f32 v59, 0, v59 :: v_dual_fmac_f32 v13, v189, v100
	v_dual_fma_f32 v63, v188, v100, -v63 :: v_dual_add_f32 v7, v7, v11
	v_dual_mul_f32 v67, v193, v105 :: v_dual_mul_f32 v69, v195, v107
	s_delay_alu instid0(VALU_DEP_3) | instskip(SKIP_2) | instid1(VALU_DEP_3)
	v_dual_add_f32 v11, v59, v61 :: v_dual_fma_f32 v61, v190, v102, -v65
	v_dual_mul_f32 v15, v190, v103 :: v_dual_mul_f32 v17, v192, v105
	v_dual_mul_f32 v19, v194, v107 :: v_dual_mul_f32 v21, v196, v109
	v_add_f32_e32 v11, v11, v63
	v_dual_add_f32 v7, v7, v13 :: v_dual_fma_f32 v63, v192, v104, -v67
	v_dual_mul_f32 v23, v198, v111 :: v_dual_mul_f32 v25, v200, v113
	s_delay_alu instid0(VALU_DEP_3) | instskip(SKIP_1) | instid1(VALU_DEP_2)
	v_dual_add_f32 v11, v11, v61 :: v_dual_fmac_f32 v21, v197, v108
	v_dual_fmac_f32 v15, v191, v102 :: v_dual_fmac_f32 v17, v193, v104
	v_dual_fma_f32 v61, v194, v106, -v69 :: v_dual_add_f32 v11, v11, v63
	s_delay_alu instid0(VALU_DEP_4) | instskip(SKIP_1) | instid1(VALU_DEP_3)
	v_dual_fmac_f32 v25, v201, v112 :: v_dual_mul_f32 v59, v203, v115
	s_wait_loadcnt_dscnt 0xd07
	v_dual_mul_f32 v13, v205, v117 :: v_dual_add_f32 v7, v7, v15
	v_dual_mul_f32 v15, v207, v119 :: v_dual_fma_f32 v63, v196, v108, -v71
	s_delay_alu instid0(VALU_DEP_3) | instskip(SKIP_1) | instid1(VALU_DEP_4)
	v_dual_add_f32 v11, v11, v61 :: v_dual_fma_f32 v59, v202, v114, -v59
	v_fmac_f32_e32 v19, v195, v106
	v_dual_add_f32 v7, v7, v17 :: v_dual_fma_f32 v61, v198, v110, -v73
	s_delay_alu instid0(VALU_DEP_3) | instskip(SKIP_2) | instid1(VALU_DEP_3)
	v_dual_add_f32 v11, v11, v63 :: v_dual_fma_f32 v15, v206, v118, -v15
	s_wait_loadcnt_dscnt 0xc06
	v_dual_mul_f32 v31, v206, v119 :: v_dual_mul_f32 v33, v208, v121
	v_dual_add_f32 v7, v7, v19 :: v_dual_fma_f32 v63, v200, v112, -v75
	s_delay_alu instid0(VALU_DEP_3) | instskip(SKIP_4) | instid1(VALU_DEP_3)
	v_dual_add_f32 v11, v11, v61 :: v_dual_mul_f32 v27, v202, v115
	v_dual_mul_f32 v29, v204, v117 :: v_dual_mul_f32 v35, v210, v123
	s_wait_loadcnt_dscnt 0xb05
	v_mul_f32_e32 v37, v212, v125
	v_dual_mul_f32 v17, v209, v121 :: v_dual_fmac_f32 v23, v199, v110
	v_dual_fmac_f32 v29, v205, v116 :: v_dual_add_f32 v7, v7, v21
	v_fma_f32 v13, v204, v116, -v13
	v_dual_fmac_f32 v33, v209, v120 :: v_dual_add_f32 v11, v11, v63
	s_delay_alu instid0(VALU_DEP_3) | instskip(SKIP_1) | instid1(VALU_DEP_3)
	v_dual_fmac_f32 v37, v213, v124 :: v_dual_add_f32 v7, v7, v23
	v_dual_mul_f32 v23, v215, v127 :: v_dual_fma_f32 v17, v208, v120, -v17
	v_add_f32_e32 v11, v11, v59
	s_wait_loadcnt_dscnt 0x903
	v_dual_mul_f32 v43, v218, v131 :: v_dual_mul_f32 v45, v220, v133
	s_delay_alu instid0(VALU_DEP_3) | instskip(NEXT) | instid1(VALU_DEP_3)
	v_dual_fma_f32 v23, v214, v126, -v23 :: v_dual_mul_f32 v19, v211, v123
	v_dual_add_f32 v11, v11, v13 :: v_dual_mul_f32 v47, v222, v135
	s_wait_loadcnt_dscnt 0x802
	v_mul_f32_e32 v49, v224, v137
	v_dual_mul_f32 v21, v213, v125 :: v_dual_fmac_f32 v27, v203, v114
	s_delay_alu instid0(VALU_DEP_3) | instskip(SKIP_3) | instid1(VALU_DEP_4)
	v_dual_add_f32 v11, v11, v15 :: v_dual_fmac_f32 v45, v221, v132
	v_mul_f32_e32 v13, v221, v133
	v_add_f32_e32 v7, v7, v25
	v_dual_mul_f32 v25, v217, v129 :: v_dual_fma_f32 v19, v210, v122, -v19
	v_dual_add_f32 v11, v11, v17 :: v_dual_fmac_f32 v49, v225, v136
	s_delay_alu instid0(VALU_DEP_3) | instskip(NEXT) | instid1(VALU_DEP_2)
	v_dual_mul_f32 v17, v225, v137 :: v_dual_add_f32 v7, v7, v27
	v_dual_fma_f32 v21, v212, v124, -v21 :: v_dual_add_f32 v11, v11, v19
	v_dual_mul_f32 v39, v214, v127 :: v_dual_mul_f32 v41, v216, v129
	v_mul_f32_e32 v27, v219, v131
	v_fmac_f32_e32 v31, v207, v118
	s_delay_alu instid0(VALU_DEP_4) | instskip(SKIP_3) | instid1(VALU_DEP_3)
	v_add_f32_e32 v11, v11, v21
	v_dual_add_f32 v7, v7, v29 :: v_dual_fma_f32 v25, v216, v128, -v25
	s_wait_loadcnt_dscnt 0x701
	v_mul_f32_e32 v21, v229, v141
	v_dual_fmac_f32 v41, v217, v128 :: v_dual_add_f32 v11, v11, v23
	s_delay_alu instid0(VALU_DEP_3) | instskip(SKIP_1) | instid1(VALU_DEP_3)
	v_dual_add_f32 v7, v7, v31 :: v_dual_fma_f32 v27, v218, v130, -v27
	v_dual_mul_f32 v15, v223, v135 :: v_dual_fma_f32 v13, v220, v132, -v13
	v_add_f32_e32 v11, v11, v25
	s_wait_loadcnt 0x6
	v_dual_fmac_f32 v35, v211, v122 :: v_dual_mul_f32 v25, v177, v145
	s_delay_alu instid0(VALU_DEP_3) | instskip(NEXT) | instid1(VALU_DEP_3)
	v_dual_add_f32 v7, v7, v33 :: v_dual_fma_f32 v15, v222, v134, -v15
	v_add_f32_e32 v11, v11, v27
	v_dual_mul_f32 v51, v226, v139 :: v_dual_mul_f32 v53, v228, v141
	v_dual_fmac_f32 v39, v215, v126 :: v_dual_fma_f32 v17, v224, v136, -v17
	s_delay_alu instid0(VALU_DEP_3) | instskip(SKIP_3) | instid1(VALU_DEP_3)
	v_add_f32_e32 v11, v11, v13
	s_wait_loadcnt 0x5
	v_dual_mul_f32 v13, v165, v149 :: v_dual_add_f32 v7, v7, v35
	v_dual_mul_f32 v55, v230, v143 :: v_dual_mul_f32 v57, v176, v145
	v_add_f32_e32 v11, v11, v15
	v_dual_mul_f32 v247, v178, v147 :: v_dual_mul_f32 v249, v164, v149
	s_delay_alu instid0(VALU_DEP_4) | instskip(SKIP_3) | instid1(VALU_DEP_3)
	v_add_f32_e32 v7, v7, v37
	s_wait_loadcnt 0x4
	v_dual_mov_b32 v96, v151 :: v_dual_mov_b32 v100, v155
	v_dual_add_f32 v11, v11, v17 :: v_dual_fmac_f32 v53, v229, v140
	v_dual_fma_f32 v17, v228, v140, -v21 :: v_dual_add_f32 v7, v7, v39
	v_dual_fmac_f32 v57, v177, v144 :: v_dual_fmac_f32 v43, v219, v130
	v_dual_fmac_f32 v249, v165, v148 :: v_dual_mul_f32 v27, v179, v147
	v_fmac_f32_e32 v247, v179, v146
	s_delay_alu instid0(VALU_DEP_4) | instskip(SKIP_4) | instid1(VALU_DEP_4)
	v_add_f32_e32 v7, v7, v41
	v_pk_mul_f32 v[96:97], v[238:239], v[96:97] op_sel_hi:[1,0]
	v_fmac_f32_e32 v47, v223, v134
	v_dual_fma_f32 v246, v178, v146, -v27 :: v_dual_mul_f32 v19, v227, v139
	v_fmac_f32_e32 v51, v227, v138
	v_pk_fma_f32 v[108:109], v[166:167], v[150:151], v[96:97] op_sel_hi:[1,0,1]
	v_add_f32_e32 v7, v7, v43
	v_pk_fma_f32 v[96:97], v[166:167], v[150:151], v[96:97] neg_lo:[0,0,1] neg_hi:[0,0,1]
	v_dual_fma_f32 v15, v226, v138, -v19 :: v_dual_mul_f32 v23, v231, v143
	s_delay_alu instid0(VALU_DEP_4) | instskip(NEXT) | instid1(VALU_DEP_4)
	v_dual_fmac_f32 v55, v231, v142 :: v_dual_mov_b32 v97, v109
	v_add_f32_e32 v7, v7, v45
	s_delay_alu instid0(VALU_DEP_3) | instskip(SKIP_1) | instid1(VALU_DEP_3)
	v_dual_add_f32 v11, v11, v15 :: v_dual_fma_f32 v15, v230, v142, -v23
	v_pk_mul_f32 v[98:99], v[168:169], v[152:153] op_sel:[1,1] op_sel_hi:[0,1]
	v_dual_fma_f32 v248, v164, v148, -v13 :: v_dual_add_f32 v7, v7, v47
	s_delay_alu instid0(VALU_DEP_3) | instskip(NEXT) | instid1(VALU_DEP_3)
	v_dual_add_f32 v11, v11, v17 :: v_dual_fma_f32 v17, v176, v144, -v25
	v_pk_fma_f32 v[110:111], v[168:169], v[152:153], v[98:99] op_sel_hi:[1,0,1]
	v_pk_mul_f32 v[100:101], v[240:241], v[100:101] op_sel_hi:[1,0]
	s_delay_alu instid0(VALU_DEP_4) | instskip(NEXT) | instid1(VALU_DEP_4)
	v_add_f32_e32 v7, v7, v49
	v_add_f32_e32 v11, v11, v15
	v_pk_fma_f32 v[98:99], v[168:169], v[152:153], v[98:99] neg_lo:[0,0,1] neg_hi:[0,0,1]
	s_wait_loadcnt 0x3
	v_pk_mul_f32 v[102:103], v[172:173], v[156:157] op_sel:[1,1] op_sel_hi:[0,1]
	v_dual_mov_b32 v106, v159 :: v_dual_mov_b32 v99, v111
	v_add_f32_e32 v7, v7, v51
	v_add_f32_e32 v104, v11, v17
	v_pk_fma_f32 v[110:111], v[170:171], v[154:155], v[100:101] op_sel_hi:[1,0,1]
	v_pk_fma_f32 v[100:101], v[170:171], v[154:155], v[100:101] neg_lo:[0,0,1] neg_hi:[0,0,1]
	v_pk_mul_f32 v[106:107], v[242:243], v[106:107] op_sel_hi:[1,0]
	v_add_f32_e32 v7, v7, v53
	s_wait_loadcnt 0x2
	v_pk_mul_f32 v[108:109], v[180:181], v[160:161] op_sel:[1,1] op_sel_hi:[0,1]
	v_mov_b32_e32 v101, v111
	s_delay_alu instid0(VALU_DEP_3) | instskip(NEXT) | instid1(VALU_DEP_1)
	v_add_f32_e32 v7, v7, v55
	v_add_f32_e32 v105, v7, v57
	s_delay_alu instid0(VALU_DEP_1) | instskip(NEXT) | instid1(VALU_DEP_1)
	v_pk_add_f32 v[104:105], v[104:105], v[246:247]
	v_pk_add_f32 v[104:105], v[104:105], v[248:249]
	s_delay_alu instid0(VALU_DEP_1) | instskip(SKIP_2) | instid1(VALU_DEP_3)
	v_pk_add_f32 v[96:97], v[104:105], v[96:97]
	v_pk_fma_f32 v[104:105], v[172:173], v[156:157], v[102:103] op_sel_hi:[1,0,1]
	v_pk_fma_f32 v[102:103], v[172:173], v[156:157], v[102:103] neg_lo:[0,0,1] neg_hi:[0,0,1]
	v_pk_add_f32 v[96:97], v[96:97], v[98:99]
	s_delay_alu instid0(VALU_DEP_3) | instskip(SKIP_2) | instid1(VALU_DEP_4)
	v_dual_mov_b32 v98, v163 :: v_dual_mov_b32 v103, v105
	v_pk_fma_f32 v[104:105], v[174:175], v[158:159], v[106:107] op_sel_hi:[1,0,1]
	v_pk_fma_f32 v[106:107], v[174:175], v[158:159], v[106:107] neg_lo:[0,0,1] neg_hi:[0,0,1]
	v_pk_add_f32 v[96:97], v[96:97], v[100:101]
	v_pk_fma_f32 v[100:101], v[180:181], v[160:161], v[108:109] op_sel_hi:[1,0,1]
	v_pk_mul_f32 v[98:99], v[244:245], v[98:99] op_sel_hi:[1,0]
	v_mov_b32_e32 v107, v105
	s_wait_loadcnt_dscnt 0x100
	v_pk_mul_f32 v[104:105], v[236:237], v[232:233] op_sel:[1,1] op_sel_hi:[0,1]
	v_pk_add_f32 v[96:97], v[96:97], v[102:103]
	v_pk_fma_f32 v[102:103], v[180:181], v[160:161], v[108:109] neg_lo:[0,0,1] neg_hi:[0,0,1]
	v_mov_b32_e32 v103, v101
	v_pk_fma_f32 v[100:101], v[182:183], v[162:163], v[98:99] op_sel_hi:[1,0,1]
	v_pk_fma_f32 v[98:99], v[182:183], v[162:163], v[98:99] neg_lo:[0,0,1] neg_hi:[0,0,1]
	v_pk_add_f32 v[96:97], v[96:97], v[106:107]
	s_delay_alu instid0(VALU_DEP_3) | instskip(SKIP_1) | instid1(VALU_DEP_3)
	v_mov_b32_e32 v99, v101
	v_pk_fma_f32 v[100:101], v[236:237], v[232:233], v[104:105] op_sel_hi:[1,0,1]
	v_pk_add_f32 v[96:97], v[96:97], v[102:103]
	v_pk_fma_f32 v[102:103], v[236:237], v[232:233], v[104:105] neg_lo:[0,0,1] neg_hi:[0,0,1]
	s_delay_alu instid0(VALU_DEP_3) | instskip(NEXT) | instid1(VALU_DEP_3)
	v_mov_b32_e32 v103, v101
	v_pk_add_f32 v[96:97], v[96:97], v[98:99]
	s_delay_alu instid0(VALU_DEP_1) | instskip(SKIP_1) | instid1(VALU_DEP_1)
	v_pk_add_f32 v[96:97], v[96:97], v[102:103]
	s_wait_loadcnt 0x0
	v_pk_add_f32 v[96:97], v[234:235], v[96:97] neg_lo:[0,1] neg_hi:[0,1]
	scratch_store_b64 off, v[96:97], off offset:88
	s_wait_xcnt 0x0
	v_cmpx_lt_u32_e32 10, v0
	s_cbranch_execz .LBB46_275
; %bb.274:
	scratch_load_b64 v[96:97], off, off offset:80
	v_mov_b64_e32 v[98:99], 0
	scratch_store_b64 off, v[98:99], off offset:80
	s_wait_loadcnt 0x0
	ds_store_b64 v1, v[96:97]
.LBB46_275:
	s_wait_xcnt 0x0
	s_or_b32 exec_lo, exec_lo, s0
	s_wait_storecnt_dscnt 0x0
	s_barrier_signal -1
	s_barrier_wait -1
	s_clause 0x12
	scratch_load_b128 v[96:99], off, off offset:88
	scratch_load_b128 v[100:103], off, off offset:104
	;; [unrolled: 1-line block ×18, first 2 shown]
	scratch_load_b64 v[240:241], off, off offset:80
	ds_load_2addr_b64 v[168:171], v5 offset0:87 offset1:88
	ds_load_2addr_b64 v[172:175], v5 offset0:89 offset1:90
	;; [unrolled: 1-line block ×18, first 2 shown]
	s_mov_b32 s0, exec_lo
	s_wait_dscnt 0x11
	v_dual_mov_b32 v242, v171 :: v_dual_mov_b32 v243, v170
	s_wait_dscnt 0x10
	v_dual_mov_b32 v244, v175 :: v_dual_mov_b32 v245, v174
	;; [unrolled: 2-line block ×4, first 2 shown]
	s_wait_loadcnt_dscnt 0x120d
	v_dual_mul_f32 v5, v184, v97 :: v_dual_mul_f32 v7, v186, v99
	v_dual_mul_f32 v59, v185, v97 :: v_dual_mul_f32 v61, v187, v99
	s_wait_loadcnt_dscnt 0x110c
	v_dual_mul_f32 v11, v188, v101 :: v_dual_mul_f32 v13, v190, v103
	s_delay_alu instid0(VALU_DEP_2) | instskip(SKIP_3) | instid1(VALU_DEP_3)
	v_dual_fmac_f32 v5, v185, v96 :: v_dual_fma_f32 v59, v184, v96, -v59
	v_dual_mul_f32 v63, v189, v101 :: v_dual_mul_f32 v65, v191, v103
	s_wait_loadcnt_dscnt 0xf0a
	v_dual_mul_f32 v71, v197, v109 :: v_dual_fmac_f32 v7, v187, v98
	v_dual_fma_f32 v61, v186, v98, -v61 :: v_dual_add_f32 v5, 0, v5
	v_dual_add_f32 v59, 0, v59 :: v_dual_fmac_f32 v11, v189, v100
	v_dual_mul_f32 v73, v199, v111 :: v_dual_fma_f32 v63, v188, v100, -v63
	s_delay_alu instid0(VALU_DEP_2)
	v_dual_add_f32 v5, v5, v7 :: v_dual_add_f32 v7, v59, v61
	v_dual_mul_f32 v15, v192, v105 :: v_dual_mul_f32 v17, v194, v107
	v_dual_mul_f32 v67, v193, v105 :: v_dual_mul_f32 v69, v195, v107
	s_wait_loadcnt_dscnt 0xe09
	v_dual_mul_f32 v59, v201, v113 :: v_dual_fmac_f32 v13, v191, v102
	v_dual_fma_f32 v61, v190, v102, -v65 :: v_dual_add_f32 v5, v5, v11
	v_dual_add_f32 v7, v7, v63 :: v_dual_fmac_f32 v15, v193, v104
	v_dual_mul_f32 v11, v203, v115 :: v_dual_fma_f32 v63, v192, v104, -v67
	s_delay_alu instid0(VALU_DEP_3) | instskip(NEXT) | instid1(VALU_DEP_3)
	v_dual_add_f32 v5, v5, v13 :: v_dual_fmac_f32 v17, v195, v106
	v_dual_add_f32 v7, v7, v61 :: v_dual_fma_f32 v61, v194, v106, -v69
	v_dual_mul_f32 v19, v196, v109 :: v_dual_mul_f32 v21, v198, v111
	s_wait_loadcnt_dscnt 0xd08
	s_delay_alu instid0(VALU_DEP_2) | instskip(SKIP_1) | instid1(VALU_DEP_3)
	v_dual_mul_f32 v13, v205, v117 :: v_dual_add_f32 v7, v7, v63
	v_dual_add_f32 v5, v5, v15 :: v_dual_fma_f32 v63, v196, v108, -v71
	v_dual_mul_f32 v15, v207, v119 :: v_dual_fmac_f32 v19, v197, v108
	s_delay_alu instid0(VALU_DEP_3) | instskip(NEXT) | instid1(VALU_DEP_3)
	v_dual_add_f32 v7, v7, v61 :: v_dual_fma_f32 v61, v198, v110, -v73
	v_dual_add_f32 v5, v5, v17 :: v_dual_fmac_f32 v21, v199, v110
	v_dual_mul_f32 v23, v200, v113 :: v_dual_mul_f32 v25, v202, v115
	s_wait_loadcnt_dscnt 0xc07
	s_delay_alu instid0(VALU_DEP_3) | instskip(NEXT) | instid1(VALU_DEP_3)
	v_dual_mul_f32 v17, v209, v121 :: v_dual_add_f32 v7, v7, v63
	v_dual_add_f32 v5, v5, v19 :: v_dual_fma_f32 v59, v200, v112, -v59
	s_delay_alu instid0(VALU_DEP_3) | instskip(NEXT) | instid1(VALU_DEP_3)
	v_dual_mul_f32 v19, v211, v123 :: v_dual_fmac_f32 v23, v201, v112
	v_dual_add_f32 v7, v7, v61 :: v_dual_fma_f32 v11, v202, v114, -v11
	s_delay_alu instid0(VALU_DEP_3) | instskip(SKIP_2) | instid1(VALU_DEP_3)
	v_dual_add_f32 v5, v5, v21 :: v_dual_fmac_f32 v25, v203, v114
	v_dual_mul_f32 v27, v204, v117 :: v_dual_mul_f32 v29, v206, v119
	s_wait_loadcnt_dscnt 0xb06
	v_dual_mul_f32 v21, v213, v125 :: v_dual_add_f32 v7, v7, v59
	s_delay_alu instid0(VALU_DEP_3) | instskip(NEXT) | instid1(VALU_DEP_3)
	v_dual_add_f32 v5, v5, v23 :: v_dual_fma_f32 v13, v204, v116, -v13
	v_dual_mul_f32 v23, v215, v127 :: v_dual_fmac_f32 v27, v205, v116
	s_delay_alu instid0(VALU_DEP_2) | instskip(SKIP_3) | instid1(VALU_DEP_3)
	v_dual_add_f32 v7, v7, v11 :: v_dual_add_f32 v5, v5, v25
	v_dual_mul_f32 v31, v208, v121 :: v_dual_mul_f32 v33, v210, v123
	s_wait_loadcnt_dscnt 0xa05
	v_dual_mul_f32 v11, v217, v129 :: v_dual_fmac_f32 v29, v207, v118
	v_dual_fma_f32 v15, v206, v118, -v15 :: v_dual_add_f32 v5, v5, v27
	s_delay_alu instid0(VALU_DEP_3) | instskip(SKIP_1) | instid1(VALU_DEP_2)
	v_dual_add_f32 v7, v7, v13 :: v_dual_fmac_f32 v31, v209, v120
	v_dual_mul_f32 v13, v219, v131 :: v_dual_fma_f32 v17, v208, v120, -v17
	v_dual_add_f32 v5, v5, v29 :: v_dual_add_f32 v7, v7, v15
	v_dual_mul_f32 v35, v212, v125 :: v_dual_mul_f32 v37, v214, v127
	s_wait_loadcnt_dscnt 0x904
	v_dual_mul_f32 v15, v221, v133 :: v_dual_fmac_f32 v33, v211, v122
	s_delay_alu instid0(VALU_DEP_3) | instskip(NEXT) | instid1(VALU_DEP_3)
	v_dual_fma_f32 v19, v210, v122, -v19 :: v_dual_add_f32 v5, v5, v31
	v_dual_add_f32 v7, v7, v17 :: v_dual_fmac_f32 v35, v213, v124
	v_dual_mul_f32 v17, v223, v135 :: v_dual_fma_f32 v21, v212, v124, -v21
	s_delay_alu instid0(VALU_DEP_2) | instskip(SKIP_3) | instid1(VALU_DEP_3)
	v_dual_add_f32 v5, v5, v33 :: v_dual_add_f32 v7, v7, v19
	v_dual_mul_f32 v39, v216, v129 :: v_dual_mul_f32 v41, v218, v131
	s_wait_loadcnt_dscnt 0x803
	v_dual_mul_f32 v19, v225, v137 :: v_dual_fmac_f32 v37, v215, v126
	v_dual_fma_f32 v23, v214, v126, -v23 :: v_dual_add_f32 v5, v5, v35
	s_delay_alu instid0(VALU_DEP_3) | instskip(SKIP_1) | instid1(VALU_DEP_2)
	v_dual_add_f32 v7, v7, v21 :: v_dual_fmac_f32 v39, v217, v128
	v_dual_mul_f32 v21, v227, v139 :: v_dual_fma_f32 v11, v216, v128, -v11
	v_dual_add_f32 v5, v5, v37 :: v_dual_add_f32 v7, v7, v23
	v_dual_mul_f32 v43, v220, v133 :: v_dual_mul_f32 v45, v222, v135
	s_wait_loadcnt_dscnt 0x702
	v_dual_mul_f32 v23, v229, v141 :: v_dual_fmac_f32 v41, v219, v130
	s_delay_alu instid0(VALU_DEP_3) | instskip(NEXT) | instid1(VALU_DEP_3)
	v_dual_fma_f32 v13, v218, v130, -v13 :: v_dual_add_f32 v5, v5, v39
	v_dual_add_f32 v7, v7, v11 :: v_dual_fmac_f32 v43, v221, v132
	v_dual_mul_f32 v11, v231, v143 :: v_dual_fma_f32 v15, v220, v132, -v15
	s_delay_alu instid0(VALU_DEP_3) | instskip(NEXT) | instid1(VALU_DEP_3)
	v_dual_add_f32 v5, v5, v41 :: v_dual_fmac_f32 v45, v223, v134
	v_dual_add_f32 v7, v7, v13 :: v_dual_fma_f32 v17, v222, v134, -v17
	v_dual_mul_f32 v47, v224, v137 :: v_dual_mul_f32 v49, v226, v139
	s_wait_loadcnt_dscnt 0x601
	s_delay_alu instid0(VALU_DEP_2) | instskip(SKIP_1) | instid1(VALU_DEP_3)
	v_dual_mul_f32 v13, v233, v145 :: v_dual_add_f32 v7, v7, v15
	v_dual_add_f32 v5, v5, v43 :: v_dual_fma_f32 v19, v224, v136, -v19
	v_dual_mul_f32 v15, v235, v147 :: v_dual_fmac_f32 v47, v225, v136
	s_delay_alu instid0(VALU_DEP_3) | instskip(NEXT) | instid1(VALU_DEP_3)
	v_dual_add_f32 v7, v7, v17 :: v_dual_fma_f32 v21, v226, v138, -v21
	v_dual_add_f32 v5, v5, v45 :: v_dual_fmac_f32 v49, v227, v138
	v_dual_mul_f32 v51, v228, v141 :: v_dual_mul_f32 v53, v230, v143
	s_wait_loadcnt_dscnt 0x500
	s_delay_alu instid0(VALU_DEP_3) | instskip(NEXT) | instid1(VALU_DEP_3)
	v_dual_mul_f32 v17, v237, v149 :: v_dual_add_f32 v7, v7, v19
	v_dual_add_f32 v5, v5, v47 :: v_dual_fma_f32 v23, v228, v140, -v23
	s_delay_alu instid0(VALU_DEP_3) | instskip(NEXT) | instid1(VALU_DEP_3)
	v_dual_mul_f32 v19, v239, v151 :: v_dual_fmac_f32 v51, v229, v140
	v_dual_add_f32 v7, v7, v21 :: v_dual_fma_f32 v11, v230, v142, -v11
	s_delay_alu instid0(VALU_DEP_3) | instskip(SKIP_1) | instid1(VALU_DEP_3)
	v_dual_add_f32 v5, v5, v49 :: v_dual_fmac_f32 v53, v231, v142
	v_dual_mul_f32 v55, v232, v145 :: v_dual_mul_f32 v57, v234, v147
	v_add_f32_e32 v7, v7, v23
	s_wait_loadcnt 0x4
	s_delay_alu instid0(VALU_DEP_3) | instskip(NEXT) | instid1(VALU_DEP_3)
	v_dual_add_f32 v5, v5, v51 :: v_dual_mov_b32 v98, v155
	v_dual_fmac_f32 v55, v233, v144 :: v_dual_fma_f32 v13, v232, v144, -v13
	s_delay_alu instid0(VALU_DEP_3) | instskip(NEXT) | instid1(VALU_DEP_3)
	v_dual_add_f32 v7, v7, v11 :: v_dual_fma_f32 v11, v234, v146, -v15
	v_add_f32_e32 v5, v5, v53
	v_dual_mul_f32 v251, v236, v149 :: v_dual_mul_f32 v253, v238, v151
	v_fmac_f32_e32 v57, v235, v146
	s_delay_alu instid0(VALU_DEP_3)
	v_dual_add_f32 v7, v7, v13 :: v_dual_add_f32 v5, v5, v55
	v_pk_mul_f32 v[96:97], v[168:169], v[152:153] op_sel:[1,1] op_sel_hi:[0,1]
	s_wait_loadcnt 0x3
	v_dual_mov_b32 v102, v159 :: v_dual_fma_f32 v250, v236, v148, -v17
	v_fmac_f32_e32 v251, v237, v148
	v_dual_add_f32 v105, v5, v57 :: v_dual_add_f32 v104, v7, v11
	v_dual_fmac_f32 v253, v239, v150 :: v_dual_fma_f32 v252, v238, v150, -v19
	v_pk_fma_f32 v[106:107], v[168:169], v[152:153], v[96:97] op_sel_hi:[1,0,1]
	v_pk_mul_f32 v[98:99], v[242:243], v[98:99] op_sel_hi:[1,0]
	s_delay_alu instid0(VALU_DEP_4)
	v_pk_add_f32 v[104:105], v[104:105], v[250:251]
	v_pk_fma_f32 v[96:97], v[168:169], v[152:153], v[96:97] neg_lo:[0,0,1] neg_hi:[0,0,1]
	v_pk_mul_f32 v[100:101], v[172:173], v[156:157] op_sel:[1,1] op_sel_hi:[0,1]
	v_mov_b32_e32 v97, v107
	v_pk_fma_f32 v[106:107], v[170:171], v[154:155], v[98:99] op_sel_hi:[1,0,1]
	v_pk_add_f32 v[104:105], v[104:105], v[252:253]
	v_pk_fma_f32 v[98:99], v[170:171], v[154:155], v[98:99] neg_lo:[0,0,1] neg_hi:[0,0,1]
	v_pk_fma_f32 v[110:111], v[172:173], v[156:157], v[100:101] op_sel_hi:[1,0,1]
	v_pk_mul_f32 v[102:103], v[244:245], v[102:103] op_sel_hi:[1,0]
	v_mov_b32_e32 v99, v107
	v_pk_add_f32 v[96:97], v[104:105], v[96:97]
	s_wait_loadcnt 0x2
	v_pk_mul_f32 v[108:109], v[176:177], v[160:161] op_sel:[1,1] op_sel_hi:[0,1]
	v_mov_b32_e32 v104, v163
	v_pk_fma_f32 v[100:101], v[172:173], v[156:157], v[100:101] neg_lo:[0,0,1] neg_hi:[0,0,1]
	v_mov_b32_e32 v101, v111
	v_pk_fma_f32 v[106:107], v[174:175], v[158:159], v[102:103] op_sel_hi:[1,0,1]
	v_pk_add_f32 v[96:97], v[96:97], v[98:99]
	v_pk_fma_f32 v[98:99], v[176:177], v[160:161], v[108:109] op_sel_hi:[1,0,1]
	v_pk_mul_f32 v[104:105], v[246:247], v[104:105] op_sel_hi:[1,0]
	v_pk_fma_f32 v[102:103], v[174:175], v[158:159], v[102:103] neg_lo:[0,0,1] neg_hi:[0,0,1]
	v_mov_b32_e32 v103, v107
	v_pk_add_f32 v[96:97], v[96:97], v[100:101]
	v_pk_fma_f32 v[106:107], v[176:177], v[160:161], v[108:109] neg_lo:[0,0,1] neg_hi:[0,0,1]
	v_mov_b32_e32 v107, v99
	v_pk_fma_f32 v[98:99], v[178:179], v[162:163], v[104:105] op_sel_hi:[1,0,1]
	s_wait_loadcnt 0x1
	v_pk_mul_f32 v[100:101], v[180:181], v[164:165] op_sel:[1,1] op_sel_hi:[0,1]
	v_pk_add_f32 v[96:97], v[96:97], v[102:103]
	v_mov_b32_e32 v98, v167
	v_pk_fma_f32 v[104:105], v[178:179], v[162:163], v[104:105] neg_lo:[0,0,1] neg_hi:[0,0,1]
	v_mov_b32_e32 v105, v99
	v_pk_fma_f32 v[102:103], v[180:181], v[164:165], v[100:101] op_sel_hi:[1,0,1]
	v_pk_add_f32 v[96:97], v[96:97], v[106:107]
	v_pk_mul_f32 v[98:99], v[248:249], v[98:99] op_sel_hi:[1,0]
	v_pk_fma_f32 v[100:101], v[180:181], v[164:165], v[100:101] neg_lo:[0,0,1] neg_hi:[0,0,1]
	s_delay_alu instid0(VALU_DEP_4) | instskip(NEXT) | instid1(VALU_DEP_4)
	v_mov_b32_e32 v101, v103
	v_pk_add_f32 v[96:97], v[96:97], v[104:105]
	s_delay_alu instid0(VALU_DEP_4) | instskip(SKIP_1) | instid1(VALU_DEP_2)
	v_pk_fma_f32 v[102:103], v[182:183], v[166:167], v[98:99] op_sel_hi:[1,0,1]
	v_pk_fma_f32 v[98:99], v[182:183], v[166:167], v[98:99] neg_lo:[0,0,1] neg_hi:[0,0,1]
	v_mov_b32_e32 v99, v103
	s_delay_alu instid0(VALU_DEP_4) | instskip(NEXT) | instid1(VALU_DEP_1)
	v_pk_add_f32 v[96:97], v[96:97], v[100:101]
	v_pk_add_f32 v[96:97], v[96:97], v[98:99]
	s_wait_loadcnt 0x0
	s_delay_alu instid0(VALU_DEP_1)
	v_pk_add_f32 v[96:97], v[240:241], v[96:97] neg_lo:[0,1] neg_hi:[0,1]
	scratch_store_b64 off, v[96:97], off offset:80
	s_wait_xcnt 0x0
	v_cmpx_lt_u32_e32 9, v0
	s_cbranch_execz .LBB46_277
; %bb.276:
	scratch_load_b64 v[96:97], off, off offset:72
	v_mov_b64_e32 v[98:99], 0
	scratch_store_b64 off, v[98:99], off offset:72
	s_wait_loadcnt 0x0
	ds_store_b64 v1, v[96:97]
.LBB46_277:
	s_wait_xcnt 0x0
	s_or_b32 exec_lo, exec_lo, s0
	s_wait_storecnt_dscnt 0x0
	s_barrier_signal -1
	s_barrier_wait -1
	s_clause 0x13
	scratch_load_b128 v[96:99], off, off offset:80
	scratch_load_b128 v[100:103], off, off offset:96
	;; [unrolled: 1-line block ×18, first 2 shown]
	scratch_load_b64 v[240:241], off, off offset:368
	scratch_load_b64 v[242:243], off, off offset:72
	v_mov_b32_e32 v5, 0
	ds_load_b128 v[168:171], v5 offset:688
	ds_load_b128 v[172:175], v5 offset:704
	;; [unrolled: 1-line block ×18, first 2 shown]
	ds_load_b64 v[244:245], v5 offset:752
	s_mov_b32 s0, exec_lo
	s_wait_dscnt 0x12
	v_dual_mov_b32 v246, v171 :: v_dual_mov_b32 v247, v170
	s_wait_dscnt 0x11
	v_dual_mov_b32 v248, v175 :: v_dual_mov_b32 v249, v174
	;; [unrolled: 2-line block ×3, first 2 shown]
	v_dual_mov_b32 v251, v178 :: v_dual_mov_b32 v252, v191
	s_wait_loadcnt 0x13
	v_dual_mul_f32 v7, v180, v97 :: v_dual_mul_f32 v11, v182, v99
	s_wait_loadcnt 0x12
	v_dual_mul_f32 v13, v184, v101 :: v_dual_mul_f32 v65, v183, v99
	v_mul_f32_e32 v67, v185, v101
	s_wait_loadcnt_dscnt 0x100b
	v_dual_fmac_f32 v7, v181, v96 :: v_dual_mul_f32 v77, v199, v111
	v_dual_fmac_f32 v11, v183, v98 :: v_dual_mul_f32 v15, v186, v103
	v_mul_f32_e32 v17, v192, v105
	s_delay_alu instid0(VALU_DEP_3) | instskip(SKIP_2) | instid1(VALU_DEP_2)
	v_dual_mul_f32 v63, v181, v97 :: v_dual_add_f32 v7, 0, v7
	v_dual_mul_f32 v69, v187, v103 :: v_dual_mul_f32 v71, v193, v105
	s_wait_loadcnt_dscnt 0x601
	v_dual_mul_f32 v255, v238, v151 :: v_dual_fma_f32 v63, v180, v96, -v63
	v_fma_f32 v65, v182, v98, -v65
	v_dual_fmac_f32 v13, v185, v100 :: v_dual_fma_f32 v67, v184, v100, -v67
	s_delay_alu instid0(VALU_DEP_3) | instskip(SKIP_2) | instid1(VALU_DEP_3)
	v_dual_mul_f32 v79, v201, v113 :: v_dual_add_f32 v63, 0, v63
	v_add_f32_e32 v7, v7, v11
	v_dual_mul_f32 v73, v195, v107 :: v_dual_mul_f32 v75, v197, v109
	v_dual_fmac_f32 v17, v193, v104 :: v_dual_add_f32 v11, v63, v65
	s_delay_alu instid0(VALU_DEP_3) | instskip(SKIP_1) | instid1(VALU_DEP_3)
	v_dual_fma_f32 v65, v186, v102, -v69 :: v_dual_add_f32 v7, v7, v13
	v_dual_fmac_f32 v15, v187, v102 :: v_dual_mul_f32 v19, v194, v107
	v_dual_mul_f32 v21, v196, v109 :: v_dual_add_f32 v11, v11, v67
	v_dual_fma_f32 v67, v192, v104, -v71 :: v_dual_mul_f32 v27, v202, v115
	s_delay_alu instid0(VALU_DEP_3) | instskip(NEXT) | instid1(VALU_DEP_3)
	v_dual_mul_f32 v29, v204, v117 :: v_dual_add_f32 v7, v7, v15
	v_dual_fmac_f32 v21, v197, v108 :: v_dual_add_f32 v11, v11, v65
	v_fma_f32 v65, v194, v106, -v73
	v_dual_mul_f32 v23, v198, v111 :: v_dual_mul_f32 v25, v200, v113
	v_mul_f32_e32 v15, v207, v119
	s_delay_alu instid0(VALU_DEP_4) | instskip(SKIP_1) | instid1(VALU_DEP_4)
	v_dual_add_f32 v11, v11, v67 :: v_dual_fma_f32 v67, v196, v108, -v75
	v_fmac_f32_e32 v19, v195, v106
	v_dual_add_f32 v7, v7, v17 :: v_dual_fmac_f32 v25, v201, v112
	s_delay_alu instid0(VALU_DEP_3) | instskip(SKIP_1) | instid1(VALU_DEP_2)
	v_dual_add_f32 v11, v11, v65 :: v_dual_fmac_f32 v29, v205, v116
	v_dual_fma_f32 v65, v198, v110, -v77 :: v_dual_mul_f32 v63, v203, v115
	v_dual_mul_f32 v13, v205, v117 :: v_dual_add_f32 v11, v11, v67
	s_delay_alu instid0(VALU_DEP_4) | instskip(NEXT) | instid1(VALU_DEP_3)
	v_dual_mul_f32 v17, v209, v121 :: v_dual_add_f32 v7, v7, v19
	v_fma_f32 v63, v202, v114, -v63
	s_delay_alu instid0(VALU_DEP_3) | instskip(NEXT) | instid1(VALU_DEP_3)
	v_dual_fma_f32 v67, v200, v112, -v79 :: v_dual_add_f32 v11, v11, v65
	v_dual_fma_f32 v17, v208, v120, -v17 :: v_dual_add_f32 v7, v7, v21
	v_dual_fma_f32 v15, v206, v118, -v15 :: v_dual_mul_f32 v21, v213, v125
	s_delay_alu instid0(VALU_DEP_3) | instskip(SKIP_2) | instid1(VALU_DEP_3)
	v_add_f32_e32 v11, v11, v67
	v_dual_fmac_f32 v23, v199, v110 :: v_dual_fma_f32 v13, v204, v116, -v13
	v_dual_mul_f32 v43, v218, v131 :: v_dual_mul_f32 v45, v220, v133
	v_dual_fma_f32 v21, v212, v124, -v21 :: v_dual_add_f32 v11, v11, v63
	v_dual_mul_f32 v31, v206, v119 :: v_dual_mul_f32 v33, v208, v121
	v_mul_f32_e32 v19, v211, v123
	v_add_f32_e32 v7, v7, v23
	s_delay_alu instid0(VALU_DEP_4) | instskip(SKIP_1) | instid1(VALU_DEP_2)
	v_dual_add_f32 v11, v11, v13 :: v_dual_fmac_f32 v45, v221, v132
	v_dual_mul_f32 v13, v221, v133 :: v_dual_mul_f32 v35, v210, v123
	v_dual_mul_f32 v37, v212, v125 :: v_dual_add_f32 v11, v11, v15
	v_dual_mul_f32 v47, v222, v135 :: v_dual_mul_f32 v49, v224, v137
	v_dual_fmac_f32 v33, v209, v120 :: v_dual_add_f32 v7, v7, v25
	s_delay_alu instid0(VALU_DEP_3)
	v_fmac_f32_e32 v37, v213, v124
	v_dual_mul_f32 v25, v217, v129 :: v_dual_mul_f32 v23, v215, v127
	v_dual_fma_f32 v19, v210, v122, -v19 :: v_dual_fma_f32 v13, v220, v132, -v13
	v_dual_add_f32 v11, v11, v17 :: v_dual_fmac_f32 v49, v225, v136
	v_dual_mul_f32 v51, v226, v139 :: v_dual_mul_f32 v53, v228, v141
	v_dual_fmac_f32 v27, v203, v114 :: v_dual_mul_f32 v17, v225, v137
	s_delay_alu instid0(VALU_DEP_3) | instskip(NEXT) | instid1(VALU_DEP_3)
	v_add_f32_e32 v11, v11, v19
	v_dual_mul_f32 v19, v227, v139 :: v_dual_fmac_f32 v51, v227, v138
	s_delay_alu instid0(VALU_DEP_3) | instskip(SKIP_1) | instid1(VALU_DEP_3)
	v_dual_add_f32 v7, v7, v27 :: v_dual_fma_f32 v23, v214, v126, -v23
	v_dual_mul_f32 v39, v214, v127 :: v_dual_mul_f32 v41, v216, v129
	v_dual_fma_f32 v19, v226, v138, -v19 :: v_dual_add_f32 v11, v11, v21
	v_dual_mul_f32 v21, v229, v141 :: v_dual_mul_f32 v55, v230, v143
	v_dual_mul_f32 v57, v232, v145 :: v_dual_mul_f32 v27, v219, v131
	s_delay_alu instid0(VALU_DEP_4) | instskip(SKIP_1) | instid1(VALU_DEP_4)
	v_dual_fmac_f32 v41, v217, v128 :: v_dual_fmac_f32 v31, v207, v118
	v_fma_f32 v25, v216, v128, -v25
	v_dual_fma_f32 v21, v228, v140, -v21 :: v_dual_add_f32 v11, v11, v23
	s_delay_alu instid0(VALU_DEP_4) | instskip(SKIP_2) | instid1(VALU_DEP_4)
	v_dual_fmac_f32 v57, v233, v144 :: v_dual_mul_f32 v59, v234, v147
	v_mul_f32_e32 v61, v236, v149
	v_dual_add_f32 v7, v7, v29 :: v_dual_fma_f32 v27, v218, v130, -v27
	v_add_f32_e32 v11, v11, v25
	v_dual_mul_f32 v15, v223, v135 :: v_dual_fmac_f32 v47, v223, v134
	s_delay_alu instid0(VALU_DEP_3) | instskip(NEXT) | instid1(VALU_DEP_3)
	v_dual_add_f32 v7, v7, v31 :: v_dual_mul_f32 v25, v233, v145
	v_dual_fmac_f32 v61, v237, v148 :: v_dual_add_f32 v11, v11, v27
	v_fmac_f32_e32 v35, v211, v122
	s_delay_alu instid0(VALU_DEP_3) | instskip(NEXT) | instid1(VALU_DEP_3)
	v_dual_add_f32 v7, v7, v33 :: v_dual_fma_f32 v15, v222, v134, -v15
	v_dual_fma_f32 v17, v224, v136, -v17 :: v_dual_add_f32 v11, v11, v13
	s_delay_alu instid0(VALU_DEP_2) | instskip(SKIP_2) | instid1(VALU_DEP_4)
	v_dual_mul_f32 v13, v237, v149 :: v_dual_add_f32 v7, v7, v35
	v_fmac_f32_e32 v39, v215, v126
	v_dual_mul_f32 v23, v231, v143 :: v_dual_fmac_f32 v55, v231, v142
	v_add_f32_e32 v11, v11, v15
	s_delay_alu instid0(VALU_DEP_4) | instskip(SKIP_2) | instid1(VALU_DEP_4)
	v_dual_add_f32 v7, v7, v37 :: v_dual_fmac_f32 v53, v229, v140
	v_fmac_f32_e32 v43, v219, v130
	v_dual_mul_f32 v27, v235, v147 :: v_dual_fmac_f32 v59, v235, v146
	v_add_f32_e32 v11, v11, v17
	s_wait_loadcnt 0x5
	v_dual_mul_f32 v17, v169, v153 :: v_dual_add_f32 v7, v7, v39
	s_wait_loadcnt 0x4
	v_dual_mov_b32 v96, v155 :: v_dual_mov_b32 v100, v159
	v_dual_add_f32 v11, v11, v19 :: v_dual_fma_f32 v19, v230, v142, -v23
	s_delay_alu instid0(VALU_DEP_3) | instskip(NEXT) | instid1(VALU_DEP_3)
	v_add_f32_e32 v7, v7, v41
	v_pk_mul_f32 v[96:97], v[246:247], v[96:97] op_sel_hi:[1,0]
	s_delay_alu instid0(VALU_DEP_3) | instskip(SKIP_2) | instid1(VALU_DEP_4)
	v_dual_fma_f32 v13, v236, v148, -v13 :: v_dual_add_f32 v11, v11, v21
	v_dual_fma_f32 v21, v232, v144, -v25 :: v_dual_mul_f32 v15, v239, v151
	v_fmac_f32_e32 v255, v239, v150
	v_pk_fma_f32 v[108:109], v[170:171], v[154:155], v[96:97] op_sel_hi:[1,0,1]
	s_delay_alu instid0(VALU_DEP_4) | instskip(SKIP_2) | instid1(VALU_DEP_3)
	v_dual_add_f32 v11, v11, v19 :: v_dual_fma_f32 v19, v234, v146, -v27
	v_add_f32_e32 v7, v7, v43
	v_pk_fma_f32 v[96:97], v[170:171], v[154:155], v[96:97] neg_lo:[0,0,1] neg_hi:[0,0,1]
	v_dual_mov_b32 v97, v109 :: v_dual_add_f32 v11, v11, v21
	s_set_vgpr_msb 64                       ;  msbs: dst=1 src0=0 src1=0 src2=0
	v_dual_mul_f32 v1 /*v257*/, v168, v153 :: v_dual_fma_f32 v0 /*v256*/, v168, v152, -v17
	s_set_vgpr_msb 0                        ;  msbs: dst=0 src0=0 src1=0 src2=0
	v_dual_add_f32 v7, v7, v45 :: v_dual_fma_f32 v254, v238, v150, -v15
	v_add_f32_e32 v11, v11, v19
	v_pk_mul_f32 v[98:99], v[172:173], v[156:157] op_sel:[1,1] op_sel_hi:[0,1]
	s_set_vgpr_msb 64                       ;  msbs: dst=1 src0=0 src1=0 src2=0
	v_fmac_f32_e32 v1 /*v257*/, v169, v152
	s_set_vgpr_msb 0                        ;  msbs: dst=0 src0=0 src1=0 src2=0
	v_add_f32_e32 v7, v7, v47
	v_pk_mul_f32 v[100:101], v[248:249], v[100:101] op_sel_hi:[1,0]
	v_add_f32_e32 v104, v11, v13
	v_pk_fma_f32 v[110:111], v[172:173], v[156:157], v[98:99] op_sel_hi:[1,0,1]
	v_pk_fma_f32 v[98:99], v[172:173], v[156:157], v[98:99] neg_lo:[0,0,1] neg_hi:[0,0,1]
	v_add_f32_e32 v7, v7, v49
	s_wait_loadcnt 0x3
	v_pk_mul_f32 v[102:103], v[176:177], v[160:161] op_sel:[1,1] op_sel_hi:[0,1]
	v_dual_mov_b32 v106, v163 :: v_dual_mov_b32 v99, v111
	v_pk_fma_f32 v[110:111], v[174:175], v[158:159], v[100:101] op_sel_hi:[1,0,1]
	v_add_f32_e32 v7, v7, v51
	v_pk_fma_f32 v[100:101], v[174:175], v[158:159], v[100:101] neg_lo:[0,0,1] neg_hi:[0,0,1]
	s_delay_alu instid0(VALU_DEP_4) | instskip(SKIP_4) | instid1(VALU_DEP_1)
	v_pk_mul_f32 v[106:107], v[250:251], v[106:107] op_sel_hi:[1,0]
	s_wait_loadcnt 0x2
	v_pk_mul_f32 v[108:109], v[188:189], v[164:165] op_sel:[1,1] op_sel_hi:[0,1]
	v_mov_b32_e32 v101, v111
	v_add_f32_e32 v7, v7, v53
	v_add_f32_e32 v7, v7, v55
	s_delay_alu instid0(VALU_DEP_1) | instskip(NEXT) | instid1(VALU_DEP_1)
	v_add_f32_e32 v7, v7, v57
	v_add_f32_e32 v7, v7, v59
	s_delay_alu instid0(VALU_DEP_1) | instskip(NEXT) | instid1(VALU_DEP_1)
	v_add_f32_e32 v105, v7, v61
	v_pk_add_f32 v[104:105], v[104:105], v[254:255]
	s_set_vgpr_msb 4                        ;  msbs: dst=0 src0=0 src1=1 src2=0
	s_delay_alu instid0(VALU_DEP_1) | instskip(SKIP_1) | instid1(VALU_DEP_1)
	v_pk_add_f32 v[104:105], v[104:105], v[0:1] /*v[256:257]*/
	s_set_vgpr_msb 0                        ;  msbs: dst=0 src0=0 src1=0 src2=0
	v_pk_add_f32 v[96:97], v[104:105], v[96:97]
	v_pk_fma_f32 v[104:105], v[176:177], v[160:161], v[102:103] op_sel_hi:[1,0,1]
	v_pk_fma_f32 v[102:103], v[176:177], v[160:161], v[102:103] neg_lo:[0,0,1] neg_hi:[0,0,1]
	s_delay_alu instid0(VALU_DEP_3) | instskip(NEXT) | instid1(VALU_DEP_3)
	v_pk_add_f32 v[96:97], v[96:97], v[98:99]
	v_dual_mov_b32 v98, v167 :: v_dual_mov_b32 v103, v105
	v_pk_fma_f32 v[104:105], v[178:179], v[162:163], v[106:107] op_sel_hi:[1,0,1]
	v_pk_fma_f32 v[106:107], v[178:179], v[162:163], v[106:107] neg_lo:[0,0,1] neg_hi:[0,0,1]
	s_delay_alu instid0(VALU_DEP_4)
	v_pk_add_f32 v[96:97], v[96:97], v[100:101]
	v_pk_fma_f32 v[100:101], v[188:189], v[164:165], v[108:109] op_sel_hi:[1,0,1]
	v_pk_mul_f32 v[98:99], v[252:253], v[98:99] op_sel_hi:[1,0]
	v_mov_b32_e32 v107, v105
	s_wait_loadcnt_dscnt 0x100
	v_pk_mul_f32 v[104:105], v[244:245], v[240:241] op_sel:[1,1] op_sel_hi:[0,1]
	v_pk_add_f32 v[96:97], v[96:97], v[102:103]
	v_pk_fma_f32 v[102:103], v[188:189], v[164:165], v[108:109] neg_lo:[0,0,1] neg_hi:[0,0,1]
	v_mov_b32_e32 v103, v101
	v_pk_fma_f32 v[100:101], v[190:191], v[166:167], v[98:99] op_sel_hi:[1,0,1]
	v_pk_fma_f32 v[98:99], v[190:191], v[166:167], v[98:99] neg_lo:[0,0,1] neg_hi:[0,0,1]
	v_pk_add_f32 v[96:97], v[96:97], v[106:107]
	s_delay_alu instid0(VALU_DEP_3) | instskip(SKIP_1) | instid1(VALU_DEP_3)
	v_mov_b32_e32 v99, v101
	v_pk_fma_f32 v[100:101], v[244:245], v[240:241], v[104:105] op_sel_hi:[1,0,1]
	v_pk_add_f32 v[96:97], v[96:97], v[102:103]
	v_pk_fma_f32 v[102:103], v[244:245], v[240:241], v[104:105] neg_lo:[0,0,1] neg_hi:[0,0,1]
	s_delay_alu instid0(VALU_DEP_3) | instskip(NEXT) | instid1(VALU_DEP_3)
	v_mov_b32_e32 v103, v101
	v_pk_add_f32 v[96:97], v[96:97], v[98:99]
	s_delay_alu instid0(VALU_DEP_1) | instskip(SKIP_1) | instid1(VALU_DEP_1)
	v_pk_add_f32 v[96:97], v[96:97], v[102:103]
	s_wait_loadcnt 0x0
	v_pk_add_f32 v[96:97], v[242:243], v[96:97] neg_lo:[0,1] neg_hi:[0,1]
	scratch_store_b64 off, v[96:97], off offset:72
	s_wait_xcnt 0x0
	v_cmpx_lt_u32_e32 8, v0
	s_cbranch_execz .LBB46_279
; %bb.278:
	scratch_load_b64 v[96:97], off, off offset:64
	v_mov_b64_e32 v[98:99], 0
	scratch_store_b64 off, v[98:99], off offset:64
	s_wait_loadcnt 0x0
	ds_store_b64 v1, v[96:97]
.LBB46_279:
	s_wait_xcnt 0x0
	s_or_b32 exec_lo, exec_lo, s0
	s_wait_storecnt_dscnt 0x0
	s_barrier_signal -1
	s_barrier_wait -1
	s_clause 0x13
	scratch_load_b128 v[96:99], off, off offset:72
	scratch_load_b128 v[100:103], off, off offset:88
	scratch_load_b128 v[104:107], off, off offset:104
	scratch_load_b128 v[108:111], off, off offset:120
	scratch_load_b128 v[112:115], off, off offset:136
	scratch_load_b128 v[116:119], off, off offset:152
	scratch_load_b128 v[120:123], off, off offset:168
	scratch_load_b128 v[124:127], off, off offset:184
	scratch_load_b128 v[128:131], off, off offset:200
	scratch_load_b128 v[132:135], off, off offset:216
	scratch_load_b128 v[136:139], off, off offset:232
	scratch_load_b128 v[140:143], off, off offset:248
	scratch_load_b128 v[144:147], off, off offset:264
	scratch_load_b128 v[148:151], off, off offset:280
	scratch_load_b128 v[152:155], off, off offset:296
	scratch_load_b128 v[156:159], off, off offset:312
	scratch_load_b128 v[160:163], off, off offset:328
	scratch_load_b128 v[164:167], off, off offset:344
	scratch_load_b128 v[168:171], off, off offset:360
	scratch_load_b64 v[248:249], off, off offset:64
	ds_load_2addr_b64 v[172:175], v5 offset0:87 offset1:88
	ds_load_2addr_b64 v[176:179], v5 offset0:89 offset1:90
	ds_load_2addr_b64 v[180:183], v5 offset0:85 offset1:86
	ds_load_2addr_b64 v[184:187], v5 offset0:91 offset1:92
	ds_load_2addr_b64 v[188:191], v5 offset0:93 offset1:94
	ds_load_2addr_b64 v[192:195], v5 offset0:57 offset1:58
	ds_load_2addr_b64 v[196:199], v5 offset0:59 offset1:60
	ds_load_2addr_b64 v[200:203], v5 offset0:61 offset1:62
	ds_load_2addr_b64 v[204:207], v5 offset0:63 offset1:64
	ds_load_2addr_b64 v[208:211], v5 offset0:65 offset1:66
	ds_load_2addr_b64 v[212:215], v5 offset0:67 offset1:68
	ds_load_2addr_b64 v[216:219], v5 offset0:69 offset1:70
	ds_load_2addr_b64 v[220:223], v5 offset0:71 offset1:72
	ds_load_2addr_b64 v[224:227], v5 offset0:73 offset1:74
	ds_load_2addr_b64 v[228:231], v5 offset0:75 offset1:76
	ds_load_2addr_b64 v[232:235], v5 offset0:77 offset1:78
	ds_load_2addr_b64 v[236:239], v5 offset0:79 offset1:80
	ds_load_2addr_b64 v[240:243], v5 offset0:81 offset1:82
	ds_load_2addr_b64 v[244:247], v5 offset0:83 offset1:84
	s_mov_b32 s0, exec_lo
	s_wait_dscnt 0x12
	v_dual_mov_b32 v250, v175 :: v_dual_mov_b32 v251, v174
	s_wait_dscnt 0x11
	v_dual_mov_b32 v252, v179 :: v_dual_mov_b32 v253, v178
	;; [unrolled: 2-line block ×3, first 2 shown]
	s_wait_dscnt 0xe
	s_set_vgpr_msb 64                       ;  msbs: dst=1 src0=0 src1=0 src2=0
	v_dual_mov_b32 v0 /*v256*/, v191 :: v_dual_mov_b32 v1 /*v257*/, v190
	s_wait_loadcnt_dscnt 0x130d
	s_set_vgpr_msb 0                        ;  msbs: dst=0 src0=0 src1=0 src2=0
	v_dual_mul_f32 v5, v192, v97 :: v_dual_mul_f32 v7, v194, v99
	v_dual_mul_f32 v63, v193, v97 :: v_dual_mul_f32 v65, v195, v99
	s_wait_loadcnt_dscnt 0x120c
	v_dual_mul_f32 v11, v196, v101 :: v_dual_mul_f32 v13, v198, v103
	s_delay_alu instid0(VALU_DEP_2) | instskip(SKIP_3) | instid1(VALU_DEP_3)
	v_dual_fmac_f32 v5, v193, v96 :: v_dual_fma_f32 v63, v192, v96, -v63
	v_dual_mul_f32 v67, v197, v101 :: v_dual_mul_f32 v69, v199, v103
	s_wait_loadcnt_dscnt 0x100a
	v_dual_mul_f32 v75, v205, v109 :: v_dual_fmac_f32 v7, v195, v98
	v_dual_fma_f32 v65, v194, v98, -v65 :: v_dual_add_f32 v5, 0, v5
	v_dual_add_f32 v63, 0, v63 :: v_dual_fmac_f32 v11, v197, v100
	v_dual_mul_f32 v77, v207, v111 :: v_dual_fma_f32 v67, v196, v100, -v67
	s_delay_alu instid0(VALU_DEP_2)
	v_dual_add_f32 v5, v5, v7 :: v_dual_add_f32 v7, v63, v65
	v_dual_mul_f32 v15, v200, v105 :: v_dual_mul_f32 v17, v202, v107
	v_dual_mul_f32 v71, v201, v105 :: v_dual_mul_f32 v73, v203, v107
	s_wait_loadcnt_dscnt 0xf09
	v_dual_mul_f32 v63, v209, v113 :: v_dual_fmac_f32 v13, v199, v102
	v_dual_fma_f32 v65, v198, v102, -v69 :: v_dual_add_f32 v5, v5, v11
	v_dual_add_f32 v7, v7, v67 :: v_dual_fmac_f32 v15, v201, v104
	v_dual_mul_f32 v11, v211, v115 :: v_dual_fma_f32 v67, v200, v104, -v71
	s_delay_alu instid0(VALU_DEP_3) | instskip(NEXT) | instid1(VALU_DEP_3)
	v_dual_add_f32 v5, v5, v13 :: v_dual_fmac_f32 v17, v203, v106
	v_dual_add_f32 v7, v7, v65 :: v_dual_fma_f32 v65, v202, v106, -v73
	v_dual_mul_f32 v19, v204, v109 :: v_dual_mul_f32 v21, v206, v111
	s_wait_loadcnt_dscnt 0xe08
	s_delay_alu instid0(VALU_DEP_2) | instskip(SKIP_1) | instid1(VALU_DEP_3)
	v_dual_mul_f32 v13, v213, v117 :: v_dual_add_f32 v7, v7, v67
	v_dual_add_f32 v5, v5, v15 :: v_dual_fma_f32 v67, v204, v108, -v75
	v_dual_mul_f32 v15, v215, v119 :: v_dual_fmac_f32 v19, v205, v108
	s_delay_alu instid0(VALU_DEP_3) | instskip(NEXT) | instid1(VALU_DEP_3)
	v_dual_add_f32 v7, v7, v65 :: v_dual_fma_f32 v65, v206, v110, -v77
	v_dual_add_f32 v5, v5, v17 :: v_dual_fmac_f32 v21, v207, v110
	v_dual_mul_f32 v23, v208, v113 :: v_dual_mul_f32 v25, v210, v115
	s_wait_loadcnt_dscnt 0xd07
	s_delay_alu instid0(VALU_DEP_3) | instskip(NEXT) | instid1(VALU_DEP_3)
	v_dual_mul_f32 v17, v217, v121 :: v_dual_add_f32 v7, v7, v67
	v_dual_add_f32 v5, v5, v19 :: v_dual_fma_f32 v63, v208, v112, -v63
	s_delay_alu instid0(VALU_DEP_3) | instskip(NEXT) | instid1(VALU_DEP_3)
	v_dual_mul_f32 v19, v219, v123 :: v_dual_fmac_f32 v23, v209, v112
	v_dual_add_f32 v7, v7, v65 :: v_dual_fma_f32 v11, v210, v114, -v11
	s_delay_alu instid0(VALU_DEP_3) | instskip(SKIP_2) | instid1(VALU_DEP_3)
	v_dual_add_f32 v5, v5, v21 :: v_dual_fmac_f32 v25, v211, v114
	v_dual_mul_f32 v27, v212, v117 :: v_dual_mul_f32 v29, v214, v119
	s_wait_loadcnt_dscnt 0xc06
	v_dual_mul_f32 v21, v221, v125 :: v_dual_add_f32 v7, v7, v63
	s_delay_alu instid0(VALU_DEP_3) | instskip(NEXT) | instid1(VALU_DEP_3)
	v_dual_add_f32 v5, v5, v23 :: v_dual_fma_f32 v13, v212, v116, -v13
	v_dual_mul_f32 v23, v223, v127 :: v_dual_fmac_f32 v27, v213, v116
	s_delay_alu instid0(VALU_DEP_2) | instskip(SKIP_3) | instid1(VALU_DEP_3)
	v_dual_add_f32 v7, v7, v11 :: v_dual_add_f32 v5, v5, v25
	v_dual_mul_f32 v31, v216, v121 :: v_dual_mul_f32 v33, v218, v123
	s_wait_loadcnt_dscnt 0xb05
	v_dual_mul_f32 v11, v225, v129 :: v_dual_fmac_f32 v29, v215, v118
	v_dual_fma_f32 v15, v214, v118, -v15 :: v_dual_add_f32 v5, v5, v27
	s_delay_alu instid0(VALU_DEP_3) | instskip(SKIP_1) | instid1(VALU_DEP_2)
	v_dual_add_f32 v7, v7, v13 :: v_dual_fmac_f32 v31, v217, v120
	v_dual_mul_f32 v13, v227, v131 :: v_dual_fma_f32 v17, v216, v120, -v17
	v_dual_add_f32 v5, v5, v29 :: v_dual_add_f32 v7, v7, v15
	v_dual_mul_f32 v35, v220, v125 :: v_dual_mul_f32 v37, v222, v127
	s_wait_loadcnt_dscnt 0xa04
	v_dual_mul_f32 v15, v229, v133 :: v_dual_fmac_f32 v33, v219, v122
	s_delay_alu instid0(VALU_DEP_3) | instskip(NEXT) | instid1(VALU_DEP_3)
	v_dual_fma_f32 v19, v218, v122, -v19 :: v_dual_add_f32 v5, v5, v31
	v_dual_add_f32 v7, v7, v17 :: v_dual_fmac_f32 v35, v221, v124
	v_dual_mul_f32 v17, v231, v135 :: v_dual_fma_f32 v21, v220, v124, -v21
	s_delay_alu instid0(VALU_DEP_2) | instskip(SKIP_3) | instid1(VALU_DEP_3)
	v_dual_add_f32 v5, v5, v33 :: v_dual_add_f32 v7, v7, v19
	v_dual_mul_f32 v39, v224, v129 :: v_dual_mul_f32 v41, v226, v131
	s_wait_loadcnt_dscnt 0x903
	v_dual_mul_f32 v19, v233, v137 :: v_dual_fmac_f32 v37, v223, v126
	v_dual_fma_f32 v23, v222, v126, -v23 :: v_dual_add_f32 v5, v5, v35
	s_delay_alu instid0(VALU_DEP_3) | instskip(SKIP_1) | instid1(VALU_DEP_2)
	v_dual_add_f32 v7, v7, v21 :: v_dual_fmac_f32 v39, v225, v128
	v_dual_mul_f32 v21, v235, v139 :: v_dual_fma_f32 v11, v224, v128, -v11
	v_dual_add_f32 v5, v5, v37 :: v_dual_add_f32 v7, v7, v23
	v_dual_mul_f32 v43, v228, v133 :: v_dual_mul_f32 v45, v230, v135
	s_wait_loadcnt_dscnt 0x802
	v_dual_mul_f32 v23, v237, v141 :: v_dual_fmac_f32 v41, v227, v130
	s_delay_alu instid0(VALU_DEP_3) | instskip(NEXT) | instid1(VALU_DEP_3)
	v_dual_fma_f32 v13, v226, v130, -v13 :: v_dual_add_f32 v5, v5, v39
	v_dual_add_f32 v7, v7, v11 :: v_dual_fmac_f32 v43, v229, v132
	v_dual_mul_f32 v11, v239, v143 :: v_dual_fma_f32 v15, v228, v132, -v15
	s_delay_alu instid0(VALU_DEP_3) | instskip(NEXT) | instid1(VALU_DEP_3)
	v_dual_add_f32 v5, v5, v41 :: v_dual_fmac_f32 v45, v231, v134
	v_dual_add_f32 v7, v7, v13 :: v_dual_fma_f32 v17, v230, v134, -v17
	v_dual_mul_f32 v47, v232, v137 :: v_dual_mul_f32 v49, v234, v139
	s_wait_loadcnt_dscnt 0x701
	s_delay_alu instid0(VALU_DEP_2) | instskip(SKIP_1) | instid1(VALU_DEP_3)
	v_dual_mul_f32 v13, v241, v145 :: v_dual_add_f32 v7, v7, v15
	v_dual_add_f32 v5, v5, v43 :: v_dual_fma_f32 v19, v232, v136, -v19
	v_dual_mul_f32 v15, v243, v147 :: v_dual_fmac_f32 v47, v233, v136
	s_delay_alu instid0(VALU_DEP_3) | instskip(NEXT) | instid1(VALU_DEP_3)
	v_dual_add_f32 v7, v7, v17 :: v_dual_fma_f32 v21, v234, v138, -v21
	v_dual_add_f32 v5, v5, v45 :: v_dual_fmac_f32 v49, v235, v138
	v_dual_mul_f32 v51, v236, v141 :: v_dual_mul_f32 v53, v238, v143
	s_wait_loadcnt_dscnt 0x600
	s_delay_alu instid0(VALU_DEP_3) | instskip(NEXT) | instid1(VALU_DEP_3)
	v_dual_mul_f32 v17, v245, v149 :: v_dual_add_f32 v7, v7, v19
	v_dual_add_f32 v5, v5, v47 :: v_dual_fma_f32 v23, v236, v140, -v23
	s_delay_alu instid0(VALU_DEP_3) | instskip(NEXT) | instid1(VALU_DEP_3)
	v_dual_mul_f32 v19, v247, v151 :: v_dual_fmac_f32 v51, v237, v140
	v_dual_add_f32 v7, v7, v21 :: v_dual_fma_f32 v11, v238, v142, -v11
	s_delay_alu instid0(VALU_DEP_3) | instskip(SKIP_2) | instid1(VALU_DEP_3)
	v_dual_add_f32 v5, v5, v49 :: v_dual_fmac_f32 v53, v239, v142
	v_dual_mul_f32 v55, v240, v145 :: v_dual_mul_f32 v57, v242, v147
	s_wait_loadcnt 0x5
	v_dual_mul_f32 v21, v181, v153 :: v_dual_add_f32 v7, v7, v23
	s_delay_alu instid0(VALU_DEP_3) | instskip(NEXT) | instid1(VALU_DEP_3)
	v_dual_add_f32 v5, v5, v51 :: v_dual_fma_f32 v13, v240, v144, -v13
	v_dual_mul_f32 v23, v183, v155 :: v_dual_fmac_f32 v55, v241, v144
	s_delay_alu instid0(VALU_DEP_2) | instskip(SKIP_2) | instid1(VALU_DEP_3)
	v_dual_add_f32 v7, v7, v11 :: v_dual_add_f32 v5, v5, v53
	v_dual_mul_f32 v59, v244, v149 :: v_dual_mul_f32 v61, v246, v151
	v_dual_fmac_f32 v57, v243, v146 :: v_dual_fma_f32 v11, v242, v146, -v15
	v_dual_add_f32 v5, v5, v55 :: v_dual_add_f32 v7, v7, v13
	s_wait_loadcnt 0x4
	s_delay_alu instid0(VALU_DEP_3) | instskip(NEXT) | instid1(VALU_DEP_2)
	v_dual_mov_b32 v98, v159 :: v_dual_fmac_f32 v59, v245, v148
	v_dual_fma_f32 v13, v244, v148, -v17 :: v_dual_add_f32 v5, v5, v57
	s_delay_alu instid0(VALU_DEP_3)
	v_dual_add_f32 v7, v7, v11 :: v_dual_fma_f32 v11, v246, v150, -v19
	s_set_vgpr_msb 64                       ;  msbs: dst=1 src0=0 src1=0 src2=0
	v_dual_mul_f32 v3 /*v259*/, v180, v153 :: v_dual_mul_f32 v5 /*v261*/, v182, v155
	s_set_vgpr_msb 0                        ;  msbs: dst=0 src0=0 src1=0 src2=0
	v_dual_fmac_f32 v61, v247, v150 :: v_dual_add_f32 v5, v5, v59
	v_add_f32_e32 v7, v7, v13
	v_pk_mul_f32 v[96:97], v[172:173], v[156:157] op_sel:[1,1] op_sel_hi:[0,1]
	s_wait_loadcnt 0x3
	v_mov_b32_e32 v102, v163
	s_set_vgpr_msb 64                       ;  msbs: dst=1 src0=0 src1=0 src2=0
	v_dual_fmac_f32 v3 /*v259*/, v181, v152 :: v_dual_fmac_f32 v5 /*v261*/, v183, v154
	v_dual_fma_f32 v2 /*v258*/, v180, v152, -v21 :: v_dual_fma_f32 v4 /*v260*/, v182, v154, -v23
	s_set_vgpr_msb 0                        ;  msbs: dst=0 src0=0 src1=0 src2=0
	v_dual_add_f32 v105, v5, v61 :: v_dual_add_f32 v104, v7, v11
	v_pk_fma_f32 v[106:107], v[172:173], v[156:157], v[96:97] op_sel_hi:[1,0,1]
	v_pk_mul_f32 v[98:99], v[250:251], v[98:99] op_sel_hi:[1,0]
	v_pk_fma_f32 v[96:97], v[172:173], v[156:157], v[96:97] neg_lo:[0,0,1] neg_hi:[0,0,1]
	v_pk_mul_f32 v[100:101], v[176:177], v[160:161] op_sel:[1,1] op_sel_hi:[0,1]
	s_set_vgpr_msb 4                        ;  msbs: dst=0 src0=0 src1=1 src2=0
	v_pk_add_f32 v[104:105], v[104:105], v[2:3] /*v[258:259]*/
	v_mov_b32_e32 v97, v107
	s_set_vgpr_msb 0                        ;  msbs: dst=0 src0=0 src1=0 src2=0
	v_pk_fma_f32 v[106:107], v[174:175], v[158:159], v[98:99] op_sel_hi:[1,0,1]
	v_pk_fma_f32 v[98:99], v[174:175], v[158:159], v[98:99] neg_lo:[0,0,1] neg_hi:[0,0,1]
	v_pk_fma_f32 v[110:111], v[176:177], v[160:161], v[100:101] op_sel_hi:[1,0,1]
	s_set_vgpr_msb 4                        ;  msbs: dst=0 src0=0 src1=1 src2=0
	v_pk_add_f32 v[104:105], v[104:105], v[4:5] /*v[260:261]*/
	s_set_vgpr_msb 0                        ;  msbs: dst=0 src0=0 src1=0 src2=0
	v_pk_mul_f32 v[102:103], v[252:253], v[102:103] op_sel_hi:[1,0]
	v_mov_b32_e32 v99, v107
	s_wait_loadcnt 0x2
	v_pk_mul_f32 v[108:109], v[184:185], v[164:165] op_sel:[1,1] op_sel_hi:[0,1]
	v_pk_fma_f32 v[100:101], v[176:177], v[160:161], v[100:101] neg_lo:[0,0,1] neg_hi:[0,0,1]
	v_pk_add_f32 v[96:97], v[104:105], v[96:97]
	v_dual_mov_b32 v104, v167 :: v_dual_mov_b32 v101, v111
	v_pk_fma_f32 v[106:107], v[178:179], v[162:163], v[102:103] op_sel_hi:[1,0,1]
	v_pk_fma_f32 v[102:103], v[178:179], v[162:163], v[102:103] neg_lo:[0,0,1] neg_hi:[0,0,1]
	s_delay_alu instid0(VALU_DEP_4)
	v_pk_add_f32 v[96:97], v[96:97], v[98:99]
	v_pk_fma_f32 v[98:99], v[184:185], v[164:165], v[108:109] op_sel_hi:[1,0,1]
	v_pk_mul_f32 v[104:105], v[254:255], v[104:105] op_sel_hi:[1,0]
	v_mov_b32_e32 v103, v107
	v_pk_fma_f32 v[106:107], v[184:185], v[164:165], v[108:109] neg_lo:[0,0,1] neg_hi:[0,0,1]
	v_pk_add_f32 v[96:97], v[96:97], v[100:101]
	v_mov_b32_e32 v107, v99
	v_pk_fma_f32 v[98:99], v[186:187], v[166:167], v[104:105] op_sel_hi:[1,0,1]
	s_wait_loadcnt 0x1
	v_pk_mul_f32 v[100:101], v[188:189], v[168:169] op_sel:[1,1] op_sel_hi:[0,1]
	v_mov_b32_e32 v98, v171
	v_pk_add_f32 v[96:97], v[96:97], v[102:103]
	v_pk_fma_f32 v[104:105], v[186:187], v[166:167], v[104:105] neg_lo:[0,0,1] neg_hi:[0,0,1]
	v_mov_b32_e32 v105, v99
	v_pk_fma_f32 v[102:103], v[188:189], v[168:169], v[100:101] op_sel_hi:[1,0,1]
	s_set_vgpr_msb 1                        ;  msbs: dst=0 src0=1 src1=0 src2=0
	v_pk_mul_f32 v[98:99], v[0:1] /*v[256:257]*/, v[98:99] op_sel_hi:[1,0]
	s_set_vgpr_msb 0                        ;  msbs: dst=0 src0=0 src1=0 src2=0
	v_pk_add_f32 v[96:97], v[96:97], v[106:107]
	v_pk_fma_f32 v[100:101], v[188:189], v[168:169], v[100:101] neg_lo:[0,0,1] neg_hi:[0,0,1]
	v_mov_b32_e32 v101, v103
	v_pk_fma_f32 v[102:103], v[190:191], v[170:171], v[98:99] op_sel_hi:[1,0,1]
	s_delay_alu instid0(VALU_DEP_4) | instskip(SKIP_1) | instid1(VALU_DEP_3)
	v_pk_add_f32 v[96:97], v[96:97], v[104:105]
	v_pk_fma_f32 v[98:99], v[190:191], v[170:171], v[98:99] neg_lo:[0,0,1] neg_hi:[0,0,1]
	v_mov_b32_e32 v99, v103
	s_delay_alu instid0(VALU_DEP_3) | instskip(NEXT) | instid1(VALU_DEP_1)
	v_pk_add_f32 v[96:97], v[96:97], v[100:101]
	v_pk_add_f32 v[96:97], v[96:97], v[98:99]
	s_wait_loadcnt 0x0
	s_delay_alu instid0(VALU_DEP_1)
	v_pk_add_f32 v[96:97], v[248:249], v[96:97] neg_lo:[0,1] neg_hi:[0,1]
	scratch_store_b64 off, v[96:97], off offset:64
	s_wait_xcnt 0x0
	v_cmpx_lt_u32_e32 7, v0
	s_cbranch_execz .LBB46_281
; %bb.280:
	scratch_load_b64 v[96:97], off, off offset:56
	v_mov_b64_e32 v[98:99], 0
	scratch_store_b64 off, v[98:99], off offset:56
	s_wait_loadcnt 0x0
	ds_store_b64 v1, v[96:97]
.LBB46_281:
	s_wait_xcnt 0x0
	s_or_b32 exec_lo, exec_lo, s0
	s_wait_storecnt_dscnt 0x0
	s_barrier_signal -1
	s_barrier_wait -1
	s_clause 0x14
	scratch_load_b128 v[96:99], off, off offset:64
	scratch_load_b128 v[100:103], off, off offset:80
	;; [unrolled: 1-line block ×19, first 2 shown]
	scratch_load_b64 v[248:249], off, off offset:368
	scratch_load_b64 v[250:251], off, off offset:56
	v_mov_b32_e32 v5, 0
	ds_load_b128 v[172:175], v5 offset:688
	ds_load_b128 v[176:179], v5 offset:672
	ds_load_b128 v[180:183], v5 offset:704
	ds_load_b128 v[184:187], v5 offset:720
	ds_load_b128 v[188:191], v5 offset:448
	ds_load_b128 v[192:195], v5 offset:464
	ds_load_b128 v[196:199], v5 offset:736
	ds_load_b128 v[200:203], v5 offset:480
	ds_load_b128 v[204:207], v5 offset:496
	ds_load_b128 v[208:211], v5 offset:512
	ds_load_b128 v[212:215], v5 offset:528
	ds_load_b128 v[216:219], v5 offset:544
	ds_load_b128 v[220:223], v5 offset:560
	ds_load_b128 v[224:227], v5 offset:576
	ds_load_b128 v[228:231], v5 offset:592
	ds_load_b128 v[232:235], v5 offset:608
	ds_load_b128 v[236:239], v5 offset:624
	ds_load_b128 v[240:243], v5 offset:640
	ds_load_b128 v[244:247], v5 offset:656
	ds_load_b64 v[252:253], v5 offset:752
	s_wait_dscnt 0x13
	v_dual_mov_b32 v255, v174 :: v_dual_mov_b32 v254, v175
	s_wait_dscnt 0x11
	s_set_vgpr_msb 64                       ;  msbs: dst=1 src0=0 src1=0 src2=0
	v_dual_mov_b32 v0 /*v256*/, v183 :: v_dual_mov_b32 v1 /*v257*/, v182
	s_wait_dscnt 0x10
	v_dual_mov_b32 v2 /*v258*/, v187 :: v_dual_mov_b32 v3 /*v259*/, v186
	s_wait_dscnt 0xd
	v_dual_mov_b32 v4 /*v260*/, v199 :: v_dual_mov_b32 v5 /*v261*/, v198
	s_mov_b32 s0, exec_lo
	s_wait_loadcnt 0x14
	s_set_vgpr_msb 0                        ;  msbs: dst=0 src0=0 src1=0 src2=0
	v_dual_mul_f32 v7, v188, v97 :: v_dual_mul_f32 v67, v189, v97
	v_dual_mul_f32 v69, v191, v99 :: v_dual_mul_f32 v11, v190, v99
	s_wait_loadcnt 0x13
	v_mul_f32_e32 v13, v192, v101
	s_wait_loadcnt_dscnt 0x110b
	v_dual_mul_f32 v79, v205, v109 :: v_dual_fma_f32 v67, v188, v96, -v67
	v_dual_fmac_f32 v7, v189, v96 :: v_dual_mul_f32 v81, v207, v111
	v_dual_mul_f32 v71, v193, v101 :: v_dual_mul_f32 v73, v195, v103
	v_dual_fmac_f32 v11, v191, v98 :: v_dual_fma_f32 v69, v190, v98, -v69
	s_wait_loadcnt_dscnt 0x100a
	s_delay_alu instid0(VALU_DEP_3) | instskip(SKIP_1) | instid1(VALU_DEP_2)
	v_dual_add_f32 v7, 0, v7 :: v_dual_mul_f32 v83, v209, v113
	v_dual_add_f32 v67, 0, v67 :: v_dual_fmac_f32 v13, v193, v100
	v_dual_fma_f32 v71, v192, v100, -v71 :: v_dual_add_f32 v7, v7, v11
	v_dual_mul_f32 v75, v201, v105 :: v_dual_mul_f32 v77, v203, v107
	s_delay_alu instid0(VALU_DEP_3) | instskip(SKIP_2) | instid1(VALU_DEP_3)
	v_dual_add_f32 v11, v67, v69 :: v_dual_fma_f32 v69, v194, v102, -v73
	v_dual_mul_f32 v15, v194, v103 :: v_dual_mul_f32 v17, v200, v105
	v_dual_mul_f32 v19, v202, v107 :: v_dual_mul_f32 v21, v204, v109
	v_add_f32_e32 v11, v11, v71
	v_dual_add_f32 v7, v7, v13 :: v_dual_fma_f32 v71, v200, v104, -v75
	v_dual_mul_f32 v23, v206, v111 :: v_dual_mul_f32 v25, v208, v113
	s_delay_alu instid0(VALU_DEP_3) | instskip(SKIP_1) | instid1(VALU_DEP_2)
	v_dual_add_f32 v11, v11, v69 :: v_dual_fmac_f32 v21, v205, v108
	v_dual_fmac_f32 v15, v195, v102 :: v_dual_fmac_f32 v17, v201, v104
	v_dual_fma_f32 v69, v202, v106, -v77 :: v_dual_add_f32 v11, v11, v71
	s_delay_alu instid0(VALU_DEP_4) | instskip(SKIP_1) | instid1(VALU_DEP_3)
	v_dual_fmac_f32 v25, v209, v112 :: v_dual_mul_f32 v67, v211, v115
	s_wait_loadcnt_dscnt 0xf09
	v_dual_mul_f32 v13, v213, v117 :: v_dual_add_f32 v7, v7, v15
	v_dual_mul_f32 v15, v215, v119 :: v_dual_fma_f32 v71, v204, v108, -v79
	s_delay_alu instid0(VALU_DEP_3) | instskip(SKIP_1) | instid1(VALU_DEP_4)
	v_dual_add_f32 v11, v11, v69 :: v_dual_fma_f32 v67, v210, v114, -v67
	v_fmac_f32_e32 v19, v203, v106
	v_dual_add_f32 v7, v7, v17 :: v_dual_fma_f32 v69, v206, v110, -v81
	s_delay_alu instid0(VALU_DEP_3) | instskip(SKIP_2) | instid1(VALU_DEP_3)
	v_dual_add_f32 v11, v11, v71 :: v_dual_fma_f32 v15, v214, v118, -v15
	s_wait_loadcnt_dscnt 0xe08
	v_dual_mul_f32 v31, v214, v119 :: v_dual_mul_f32 v33, v216, v121
	v_dual_add_f32 v7, v7, v19 :: v_dual_fma_f32 v71, v208, v112, -v83
	s_delay_alu instid0(VALU_DEP_3) | instskip(SKIP_4) | instid1(VALU_DEP_3)
	v_dual_add_f32 v11, v11, v69 :: v_dual_mul_f32 v27, v210, v115
	v_dual_mul_f32 v29, v212, v117 :: v_dual_mul_f32 v35, v218, v123
	s_wait_loadcnt_dscnt 0xd07
	v_mul_f32_e32 v37, v220, v125
	v_dual_mul_f32 v17, v217, v121 :: v_dual_fmac_f32 v23, v207, v110
	v_dual_fmac_f32 v29, v213, v116 :: v_dual_add_f32 v7, v7, v21
	v_fma_f32 v13, v212, v116, -v13
	v_dual_fmac_f32 v33, v217, v120 :: v_dual_add_f32 v11, v11, v71
	s_delay_alu instid0(VALU_DEP_3) | instskip(SKIP_1) | instid1(VALU_DEP_3)
	v_dual_fmac_f32 v37, v221, v124 :: v_dual_add_f32 v7, v7, v23
	v_dual_mul_f32 v23, v223, v127 :: v_dual_fma_f32 v17, v216, v120, -v17
	v_add_f32_e32 v11, v11, v67
	s_wait_loadcnt_dscnt 0xb05
	v_dual_mul_f32 v43, v226, v131 :: v_dual_mul_f32 v45, v228, v133
	s_delay_alu instid0(VALU_DEP_3) | instskip(NEXT) | instid1(VALU_DEP_3)
	v_dual_fma_f32 v23, v222, v126, -v23 :: v_dual_mul_f32 v19, v219, v123
	v_dual_add_f32 v11, v11, v13 :: v_dual_mul_f32 v47, v230, v135
	s_wait_loadcnt_dscnt 0xa04
	v_mul_f32_e32 v49, v232, v137
	v_dual_mul_f32 v21, v221, v125 :: v_dual_fmac_f32 v27, v211, v114
	s_delay_alu instid0(VALU_DEP_3) | instskip(SKIP_3) | instid1(VALU_DEP_4)
	v_dual_add_f32 v11, v11, v15 :: v_dual_fmac_f32 v45, v229, v132
	v_mul_f32_e32 v13, v229, v133
	v_add_f32_e32 v7, v7, v25
	v_dual_mul_f32 v25, v225, v129 :: v_dual_fma_f32 v19, v218, v122, -v19
	v_dual_add_f32 v11, v11, v17 :: v_dual_fmac_f32 v49, v233, v136
	s_wait_loadcnt_dscnt 0x903
	v_dual_mul_f32 v51, v234, v139 :: v_dual_mul_f32 v53, v236, v141
	v_dual_mul_f32 v17, v233, v137 :: v_dual_add_f32 v7, v7, v27
	s_delay_alu instid0(VALU_DEP_3) | instskip(NEXT) | instid1(VALU_DEP_3)
	v_dual_fma_f32 v21, v220, v124, -v21 :: v_dual_add_f32 v11, v11, v19
	v_dual_mul_f32 v19, v235, v139 :: v_dual_fmac_f32 v51, v235, v138
	v_mul_f32_e32 v27, v227, v131
	v_dual_mul_f32 v39, v222, v127 :: v_dual_mul_f32 v41, v224, v129
	s_delay_alu instid0(VALU_DEP_3) | instskip(SKIP_1) | instid1(VALU_DEP_3)
	v_dual_fma_f32 v19, v234, v138, -v19 :: v_dual_add_f32 v11, v11, v21
	v_dual_mul_f32 v21, v237, v141 :: v_dual_fmac_f32 v31, v215, v118
	v_dual_fmac_f32 v41, v225, v128 :: v_dual_add_f32 v7, v7, v29
	v_fma_f32 v25, v224, v128, -v25
	s_delay_alu instid0(VALU_DEP_3) | instskip(NEXT) | instid1(VALU_DEP_3)
	v_dual_fma_f32 v21, v236, v140, -v21 :: v_dual_add_f32 v11, v11, v23
	v_dual_fma_f32 v27, v226, v130, -v27 :: v_dual_add_f32 v7, v7, v31
	v_dual_mul_f32 v15, v231, v135 :: v_dual_fma_f32 v13, v228, v132, -v13
	s_delay_alu instid0(VALU_DEP_3) | instskip(SKIP_2) | instid1(VALU_DEP_3)
	v_add_f32_e32 v11, v11, v25
	s_wait_loadcnt_dscnt 0x802
	v_dual_fmac_f32 v35, v219, v122 :: v_dual_mul_f32 v25, v241, v145
	v_dual_add_f32 v7, v7, v33 :: v_dual_fma_f32 v15, v230, v134, -v15
	s_delay_alu instid0(VALU_DEP_3) | instskip(SKIP_2) | instid1(VALU_DEP_3)
	v_add_f32_e32 v11, v11, v27
	v_dual_mul_f32 v55, v238, v143 :: v_dual_mul_f32 v57, v240, v145
	v_dual_fmac_f32 v39, v223, v126 :: v_dual_fma_f32 v17, v232, v136, -v17
	v_add_f32_e32 v11, v11, v13
	s_wait_loadcnt_dscnt 0x701
	v_dual_mul_f32 v13, v245, v149 :: v_dual_add_f32 v7, v7, v35
	v_dual_mul_f32 v23, v239, v143 :: v_dual_fmac_f32 v55, v239, v142
	s_delay_alu instid0(VALU_DEP_3) | instskip(NEXT) | instid1(VALU_DEP_3)
	v_dual_add_f32 v11, v11, v15 :: v_dual_fmac_f32 v53, v237, v140
	v_add_f32_e32 v7, v7, v37
	v_dual_fmac_f32 v43, v227, v130 :: v_dual_fmac_f32 v57, v241, v144
	s_delay_alu instid0(VALU_DEP_3) | instskip(SKIP_1) | instid1(VALU_DEP_3)
	v_add_f32_e32 v11, v11, v17
	s_wait_loadcnt 0x6
	v_dual_mul_f32 v17, v177, v153 :: v_dual_add_f32 v7, v7, v39
	v_fma_f32 v23, v238, v142, -v23
	v_dual_mul_f32 v59, v242, v147 :: v_dual_mul_f32 v61, v244, v149
	v_dual_mul_f32 v63, v246, v151 :: v_dual_mul_f32 v65, v176, v153
	s_delay_alu instid0(VALU_DEP_4) | instskip(SKIP_2) | instid1(VALU_DEP_3)
	v_dual_add_f32 v7, v7, v41 :: v_dual_fma_f32 v25, v240, v144, -v25
	s_wait_loadcnt 0x4
	v_dual_mov_b32 v96, v159 :: v_dual_mov_b32 v100, v163
	v_dual_fmac_f32 v47, v231, v134 :: v_dual_fmac_f32 v65, v177, v152
	s_delay_alu instid0(VALU_DEP_3) | instskip(SKIP_1) | instid1(VALU_DEP_4)
	v_dual_add_f32 v7, v7, v43 :: v_dual_fmac_f32 v61, v245, v148
	v_dual_mul_f32 v15, v247, v151 :: v_dual_fmac_f32 v63, v247, v150
	v_pk_mul_f32 v[96:97], v[254:255], v[96:97] op_sel_hi:[1,0]
	s_delay_alu instid0(VALU_DEP_3) | instskip(NEXT) | instid1(VALU_DEP_3)
	v_add_f32_e32 v7, v7, v45
	v_dual_add_f32 v11, v11, v19 :: v_dual_fma_f32 v15, v246, v150, -v15
	v_dual_mul_f32 v27, v243, v147 :: v_dual_fmac_f32 v59, v243, v146
	s_delay_alu instid0(VALU_DEP_4) | instskip(NEXT) | instid1(VALU_DEP_4)
	v_pk_fma_f32 v[108:109], v[174:175], v[158:159], v[96:97] op_sel_hi:[1,0,1]
	v_add_f32_e32 v7, v7, v47
	v_pk_fma_f32 v[96:97], v[174:175], v[158:159], v[96:97] neg_lo:[0,0,1] neg_hi:[0,0,1]
	v_dual_add_f32 v11, v11, v21 :: v_dual_fma_f32 v13, v244, v148, -v13
	s_delay_alu instid0(VALU_DEP_3)
	v_dual_mov_b32 v97, v109 :: v_dual_add_f32 v7, v7, v49
	s_set_vgpr_msb 64                       ;  msbs: dst=1 src0=0 src1=0 src2=0
	v_dual_mul_f32 v7 /*v263*/, v178, v155 :: v_dual_mul_f32 v9 /*v265*/, v172, v157
	s_set_vgpr_msb 0                        ;  msbs: dst=0 src0=0 src1=0 src2=0
	v_dual_add_f32 v11, v11, v23 :: v_dual_fma_f32 v23, v242, v146, -v27
	v_add_f32_e32 v7, v7, v51
	v_dual_mul_f32 v19, v179, v155 :: v_dual_mul_f32 v21, v173, v157
	s_delay_alu instid0(VALU_DEP_3)
	v_add_f32_e32 v11, v11, v25
	s_set_vgpr_msb 64                       ;  msbs: dst=1 src0=0 src1=0 src2=0
	v_dual_fmac_f32 v7 /*v263*/, v179, v154 :: v_dual_fmac_f32 v9 /*v265*/, v173, v156
	s_set_vgpr_msb 0                        ;  msbs: dst=0 src0=0 src1=0 src2=0
	v_add_f32_e32 v7, v7, v53
	s_set_vgpr_msb 64                       ;  msbs: dst=1 src0=0 src1=0 src2=0
	v_dual_fma_f32 v6 /*v262*/, v178, v154, -v19 :: v_dual_fma_f32 v8 /*v264*/, v172, v156, -v21
	s_set_vgpr_msb 0                        ;  msbs: dst=0 src0=0 src1=0 src2=0
	v_add_f32_e32 v11, v11, v23
	v_pk_mul_f32 v[98:99], v[180:181], v[160:161] op_sel:[1,1] op_sel_hi:[0,1]
	v_add_f32_e32 v7, v7, v55
	s_set_vgpr_msb 1                        ;  msbs: dst=0 src0=1 src1=0 src2=0
	v_pk_mul_f32 v[100:101], v[0:1] /*v[256:257]*/, v[100:101] op_sel_hi:[1,0]
	s_wait_loadcnt 0x3
	s_set_vgpr_msb 0                        ;  msbs: dst=0 src0=0 src1=0 src2=0
	v_pk_mul_f32 v[102:103], v[184:185], v[164:165] op_sel:[1,1] op_sel_hi:[0,1]
	v_dual_add_f32 v11, v11, v13 :: v_dual_fma_f32 v13, v176, v152, -v17
	v_add_f32_e32 v7, v7, v57
	v_pk_fma_f32 v[110:111], v[180:181], v[160:161], v[98:99] op_sel_hi:[1,0,1]
	v_pk_fma_f32 v[98:99], v[180:181], v[160:161], v[98:99] neg_lo:[0,0,1] neg_hi:[0,0,1]
	s_delay_alu instid0(VALU_DEP_4)
	v_add_f32_e32 v11, v11, v15
	v_mov_b32_e32 v106, v167
	v_add_f32_e32 v7, v7, v59
	v_mov_b32_e32 v99, v111
	v_pk_fma_f32 v[110:111], v[182:183], v[162:163], v[100:101] op_sel_hi:[1,0,1]
	v_add_f32_e32 v104, v11, v13
	v_pk_fma_f32 v[100:101], v[182:183], v[162:163], v[100:101] neg_lo:[0,0,1] neg_hi:[0,0,1]
	v_add_f32_e32 v7, v7, v61
	s_set_vgpr_msb 1                        ;  msbs: dst=0 src0=1 src1=0 src2=0
	v_pk_mul_f32 v[106:107], v[2:3] /*v[258:259]*/, v[106:107] op_sel_hi:[1,0]
	s_set_vgpr_msb 0                        ;  msbs: dst=0 src0=0 src1=0 src2=0
	v_mov_b32_e32 v101, v111
	s_wait_loadcnt 0x2
	v_pk_mul_f32 v[108:109], v[196:197], v[168:169] op_sel:[1,1] op_sel_hi:[0,1]
	v_add_f32_e32 v7, v7, v63
	s_delay_alu instid0(VALU_DEP_1) | instskip(SKIP_1) | instid1(VALU_DEP_1)
	v_add_f32_e32 v105, v7, v65
	s_set_vgpr_msb 4                        ;  msbs: dst=0 src0=0 src1=1 src2=0
	v_pk_add_f32 v[104:105], v[104:105], v[6:7] /*v[262:263]*/
	s_delay_alu instid0(VALU_DEP_1) | instskip(SKIP_1) | instid1(VALU_DEP_1)
	v_pk_add_f32 v[104:105], v[104:105], v[8:9] /*v[264:265]*/
	s_set_vgpr_msb 0                        ;  msbs: dst=0 src0=0 src1=0 src2=0
	v_pk_add_f32 v[96:97], v[104:105], v[96:97]
	v_pk_fma_f32 v[104:105], v[184:185], v[164:165], v[102:103] op_sel_hi:[1,0,1]
	v_pk_fma_f32 v[102:103], v[184:185], v[164:165], v[102:103] neg_lo:[0,0,1] neg_hi:[0,0,1]
	s_delay_alu instid0(VALU_DEP_3) | instskip(NEXT) | instid1(VALU_DEP_3)
	v_pk_add_f32 v[96:97], v[96:97], v[98:99]
	v_dual_mov_b32 v98, v171 :: v_dual_mov_b32 v103, v105
	v_pk_fma_f32 v[104:105], v[186:187], v[166:167], v[106:107] op_sel_hi:[1,0,1]
	v_pk_fma_f32 v[106:107], v[186:187], v[166:167], v[106:107] neg_lo:[0,0,1] neg_hi:[0,0,1]
	s_delay_alu instid0(VALU_DEP_4)
	v_pk_add_f32 v[96:97], v[96:97], v[100:101]
	v_pk_fma_f32 v[100:101], v[196:197], v[168:169], v[108:109] op_sel_hi:[1,0,1]
	s_set_vgpr_msb 1                        ;  msbs: dst=0 src0=1 src1=0 src2=0
	v_pk_mul_f32 v[98:99], v[4:5] /*v[260:261]*/, v[98:99] op_sel_hi:[1,0]
	s_set_vgpr_msb 0                        ;  msbs: dst=0 src0=0 src1=0 src2=0
	v_mov_b32_e32 v107, v105
	s_wait_loadcnt_dscnt 0x100
	v_pk_mul_f32 v[104:105], v[252:253], v[248:249] op_sel:[1,1] op_sel_hi:[0,1]
	v_pk_add_f32 v[96:97], v[96:97], v[102:103]
	v_pk_fma_f32 v[102:103], v[196:197], v[168:169], v[108:109] neg_lo:[0,0,1] neg_hi:[0,0,1]
	v_mov_b32_e32 v103, v101
	v_pk_fma_f32 v[100:101], v[198:199], v[170:171], v[98:99] op_sel_hi:[1,0,1]
	v_pk_fma_f32 v[98:99], v[198:199], v[170:171], v[98:99] neg_lo:[0,0,1] neg_hi:[0,0,1]
	v_pk_add_f32 v[96:97], v[96:97], v[106:107]
	s_delay_alu instid0(VALU_DEP_3) | instskip(SKIP_1) | instid1(VALU_DEP_3)
	v_mov_b32_e32 v99, v101
	v_pk_fma_f32 v[100:101], v[252:253], v[248:249], v[104:105] op_sel_hi:[1,0,1]
	v_pk_add_f32 v[96:97], v[96:97], v[102:103]
	v_pk_fma_f32 v[102:103], v[252:253], v[248:249], v[104:105] neg_lo:[0,0,1] neg_hi:[0,0,1]
	s_delay_alu instid0(VALU_DEP_3) | instskip(NEXT) | instid1(VALU_DEP_3)
	v_mov_b32_e32 v103, v101
	v_pk_add_f32 v[96:97], v[96:97], v[98:99]
	s_delay_alu instid0(VALU_DEP_1) | instskip(SKIP_1) | instid1(VALU_DEP_1)
	v_pk_add_f32 v[96:97], v[96:97], v[102:103]
	s_wait_loadcnt 0x0
	v_pk_add_f32 v[96:97], v[250:251], v[96:97] neg_lo:[0,1] neg_hi:[0,1]
	scratch_store_b64 off, v[96:97], off offset:56
	s_wait_xcnt 0x0
	v_cmpx_lt_u32_e32 6, v0
	s_cbranch_execz .LBB46_283
; %bb.282:
	scratch_load_b64 v[96:97], off, off offset:48
	v_mov_b64_e32 v[98:99], 0
	scratch_store_b64 off, v[98:99], off offset:48
	s_wait_loadcnt 0x0
	ds_store_b64 v1, v[96:97]
.LBB46_283:
	s_wait_xcnt 0x0
	s_or_b32 exec_lo, exec_lo, s0
	s_wait_storecnt_dscnt 0x0
	s_barrier_signal -1
	s_barrier_wait -1
	s_clause 0x15
	scratch_load_b128 v[96:99], off, off offset:56
	scratch_load_b128 v[100:103], off, off offset:72
	scratch_load_b128 v[104:107], off, off offset:88
	scratch_load_b128 v[108:111], off, off offset:104
	scratch_load_b128 v[112:115], off, off offset:120
	scratch_load_b128 v[116:119], off, off offset:136
	scratch_load_b128 v[120:123], off, off offset:152
	scratch_load_b128 v[124:127], off, off offset:168
	scratch_load_b128 v[128:131], off, off offset:184
	scratch_load_b128 v[132:135], off, off offset:200
	scratch_load_b128 v[136:139], off, off offset:216
	scratch_load_b128 v[140:143], off, off offset:232
	scratch_load_b128 v[144:147], off, off offset:248
	scratch_load_b128 v[148:151], off, off offset:264
	scratch_load_b128 v[152:155], off, off offset:280
	scratch_load_b128 v[156:159], off, off offset:296
	scratch_load_b128 v[160:163], off, off offset:312
	scratch_load_b128 v[164:167], off, off offset:328
	scratch_load_b128 v[168:171], off, off offset:344
	scratch_load_b128 v[172:175], off, off offset:360
	s_set_vgpr_msb 64                       ;  msbs: dst=1 src0=0 src1=0 src2=0
	scratch_load_b64 v[0:1] /*v[256:257]*/, off, off offset:48
	s_set_vgpr_msb 0                        ;  msbs: dst=0 src0=0 src1=0 src2=0
	ds_load_2addr_b64 v[176:179], v5 offset0:87 offset1:88
	ds_load_2addr_b64 v[180:183], v5 offset0:89 offset1:90
	ds_load_2addr_b64 v[184:187], v5 offset0:55 offset1:56
	ds_load_2addr_b64 v[188:191], v5 offset0:57 offset1:58
	ds_load_2addr_b64 v[192:195], v5 offset0:91 offset1:92
	ds_load_2addr_b64 v[196:199], v5 offset0:93 offset1:94
	ds_load_2addr_b64 v[200:203], v5 offset0:59 offset1:60
	ds_load_2addr_b64 v[204:207], v5 offset0:61 offset1:62
	ds_load_2addr_b64 v[208:211], v5 offset0:63 offset1:64
	ds_load_2addr_b64 v[212:215], v5 offset0:65 offset1:66
	ds_load_2addr_b64 v[216:219], v5 offset0:67 offset1:68
	ds_load_2addr_b64 v[220:223], v5 offset0:69 offset1:70
	ds_load_2addr_b64 v[224:227], v5 offset0:71 offset1:72
	ds_load_2addr_b64 v[228:231], v5 offset0:73 offset1:74
	ds_load_2addr_b64 v[232:235], v5 offset0:75 offset1:76
	ds_load_2addr_b64 v[236:239], v5 offset0:77 offset1:78
	ds_load_2addr_b64 v[240:243], v5 offset0:79 offset1:80
	ds_load_2addr_b64 v[244:247], v5 offset0:81 offset1:82
	ds_load_2addr_b64 v[248:251], v5 offset0:83 offset1:84
	ds_load_2addr_b64 v[252:255], v5 offset0:85 offset1:86
	s_wait_dscnt 0x13
	s_set_vgpr_msb 64                       ;  msbs: dst=1 src0=0 src1=0 src2=0
	v_dual_mov_b32 v2 /*v258*/, v179 :: v_dual_mov_b32 v3 /*v259*/, v178
	s_wait_dscnt 0x12
	v_dual_mov_b32 v4 /*v260*/, v183 :: v_dual_mov_b32 v5 /*v261*/, v182
	s_wait_dscnt 0xf
	;; [unrolled: 2-line block ×3, first 2 shown]
	v_dual_mov_b32 v8 /*v264*/, v199 :: v_dual_mov_b32 v9 /*v265*/, v198
	s_mov_b32 s0, exec_lo
	s_wait_loadcnt 0x14
	s_set_vgpr_msb 0                        ;  msbs: dst=0 src0=0 src1=0 src2=0
	v_dual_mul_f32 v5, v184, v97 :: v_dual_mul_f32 v7, v186, v99
	v_dual_mul_f32 v67, v185, v97 :: v_dual_mul_f32 v69, v187, v99
	s_wait_loadcnt 0x13
	v_dual_mul_f32 v11, v188, v101 :: v_dual_mul_f32 v13, v190, v103
	s_delay_alu instid0(VALU_DEP_2) | instskip(SKIP_3) | instid1(VALU_DEP_3)
	v_dual_fmac_f32 v5, v185, v96 :: v_dual_fma_f32 v67, v184, v96, -v67
	v_dual_mul_f32 v71, v189, v101 :: v_dual_mul_f32 v73, v191, v103
	s_wait_loadcnt_dscnt 0x110c
	v_dual_mul_f32 v79, v205, v109 :: v_dual_fmac_f32 v7, v187, v98
	v_dual_fma_f32 v69, v186, v98, -v69 :: v_dual_add_f32 v5, 0, v5
	v_dual_add_f32 v67, 0, v67 :: v_dual_fmac_f32 v11, v189, v100
	v_dual_mul_f32 v81, v207, v111 :: v_dual_fma_f32 v71, v188, v100, -v71
	s_delay_alu instid0(VALU_DEP_2)
	v_dual_add_f32 v5, v5, v7 :: v_dual_add_f32 v7, v67, v69
	v_dual_mul_f32 v15, v200, v105 :: v_dual_mul_f32 v17, v202, v107
	v_dual_mul_f32 v75, v201, v105 :: v_dual_mul_f32 v77, v203, v107
	s_wait_loadcnt_dscnt 0x100b
	v_dual_mul_f32 v67, v209, v113 :: v_dual_fmac_f32 v13, v191, v102
	v_dual_fma_f32 v69, v190, v102, -v73 :: v_dual_add_f32 v5, v5, v11
	v_dual_add_f32 v7, v7, v71 :: v_dual_fmac_f32 v15, v201, v104
	v_dual_mul_f32 v11, v211, v115 :: v_dual_fma_f32 v71, v200, v104, -v75
	s_delay_alu instid0(VALU_DEP_3) | instskip(NEXT) | instid1(VALU_DEP_3)
	v_dual_add_f32 v5, v5, v13 :: v_dual_fmac_f32 v17, v203, v106
	v_dual_add_f32 v7, v7, v69 :: v_dual_fma_f32 v69, v202, v106, -v77
	v_dual_mul_f32 v19, v204, v109 :: v_dual_mul_f32 v21, v206, v111
	s_wait_loadcnt_dscnt 0xf0a
	s_delay_alu instid0(VALU_DEP_2) | instskip(SKIP_1) | instid1(VALU_DEP_3)
	v_dual_mul_f32 v13, v213, v117 :: v_dual_add_f32 v7, v7, v71
	v_dual_add_f32 v5, v5, v15 :: v_dual_fma_f32 v71, v204, v108, -v79
	v_dual_mul_f32 v15, v215, v119 :: v_dual_fmac_f32 v19, v205, v108
	s_delay_alu instid0(VALU_DEP_3) | instskip(NEXT) | instid1(VALU_DEP_3)
	v_dual_add_f32 v7, v7, v69 :: v_dual_fma_f32 v69, v206, v110, -v81
	v_dual_add_f32 v5, v5, v17 :: v_dual_fmac_f32 v21, v207, v110
	v_dual_mul_f32 v23, v208, v113 :: v_dual_mul_f32 v25, v210, v115
	s_wait_loadcnt_dscnt 0xe09
	s_delay_alu instid0(VALU_DEP_3) | instskip(NEXT) | instid1(VALU_DEP_3)
	v_dual_mul_f32 v17, v217, v121 :: v_dual_add_f32 v7, v7, v71
	v_dual_add_f32 v5, v5, v19 :: v_dual_fma_f32 v67, v208, v112, -v67
	s_delay_alu instid0(VALU_DEP_3) | instskip(NEXT) | instid1(VALU_DEP_3)
	v_dual_mul_f32 v19, v219, v123 :: v_dual_fmac_f32 v23, v209, v112
	v_dual_add_f32 v7, v7, v69 :: v_dual_fma_f32 v11, v210, v114, -v11
	s_delay_alu instid0(VALU_DEP_3) | instskip(SKIP_2) | instid1(VALU_DEP_3)
	v_dual_add_f32 v5, v5, v21 :: v_dual_fmac_f32 v25, v211, v114
	v_dual_mul_f32 v27, v212, v117 :: v_dual_mul_f32 v29, v214, v119
	s_wait_loadcnt_dscnt 0xd08
	v_dual_mul_f32 v21, v221, v125 :: v_dual_add_f32 v7, v7, v67
	s_delay_alu instid0(VALU_DEP_3) | instskip(NEXT) | instid1(VALU_DEP_3)
	v_dual_add_f32 v5, v5, v23 :: v_dual_fma_f32 v13, v212, v116, -v13
	v_dual_mul_f32 v23, v223, v127 :: v_dual_fmac_f32 v27, v213, v116
	s_delay_alu instid0(VALU_DEP_2) | instskip(SKIP_3) | instid1(VALU_DEP_3)
	v_dual_add_f32 v7, v7, v11 :: v_dual_add_f32 v5, v5, v25
	v_dual_mul_f32 v31, v216, v121 :: v_dual_mul_f32 v33, v218, v123
	s_wait_loadcnt_dscnt 0xc07
	v_dual_mul_f32 v11, v225, v129 :: v_dual_fmac_f32 v29, v215, v118
	v_dual_fma_f32 v15, v214, v118, -v15 :: v_dual_add_f32 v5, v5, v27
	s_delay_alu instid0(VALU_DEP_3) | instskip(SKIP_1) | instid1(VALU_DEP_2)
	v_dual_add_f32 v7, v7, v13 :: v_dual_fmac_f32 v31, v217, v120
	v_dual_mul_f32 v13, v227, v131 :: v_dual_fma_f32 v17, v216, v120, -v17
	v_dual_add_f32 v5, v5, v29 :: v_dual_add_f32 v7, v7, v15
	v_dual_mul_f32 v35, v220, v125 :: v_dual_mul_f32 v37, v222, v127
	s_wait_loadcnt_dscnt 0xb06
	v_dual_mul_f32 v15, v229, v133 :: v_dual_fmac_f32 v33, v219, v122
	s_delay_alu instid0(VALU_DEP_3) | instskip(NEXT) | instid1(VALU_DEP_3)
	v_dual_fma_f32 v19, v218, v122, -v19 :: v_dual_add_f32 v5, v5, v31
	v_dual_add_f32 v7, v7, v17 :: v_dual_fmac_f32 v35, v221, v124
	v_dual_mul_f32 v17, v231, v135 :: v_dual_fma_f32 v21, v220, v124, -v21
	s_delay_alu instid0(VALU_DEP_2) | instskip(SKIP_3) | instid1(VALU_DEP_3)
	v_dual_add_f32 v5, v5, v33 :: v_dual_add_f32 v7, v7, v19
	v_dual_mul_f32 v39, v224, v129 :: v_dual_mul_f32 v41, v226, v131
	s_wait_loadcnt_dscnt 0xa05
	v_dual_mul_f32 v19, v233, v137 :: v_dual_fmac_f32 v37, v223, v126
	v_dual_fma_f32 v23, v222, v126, -v23 :: v_dual_add_f32 v5, v5, v35
	s_delay_alu instid0(VALU_DEP_3) | instskip(SKIP_1) | instid1(VALU_DEP_2)
	v_dual_add_f32 v7, v7, v21 :: v_dual_fmac_f32 v39, v225, v128
	v_dual_mul_f32 v21, v235, v139 :: v_dual_fma_f32 v11, v224, v128, -v11
	v_dual_add_f32 v5, v5, v37 :: v_dual_add_f32 v7, v7, v23
	v_dual_mul_f32 v43, v228, v133 :: v_dual_mul_f32 v45, v230, v135
	s_wait_loadcnt_dscnt 0x904
	v_dual_mul_f32 v23, v237, v141 :: v_dual_fmac_f32 v41, v227, v130
	s_delay_alu instid0(VALU_DEP_3) | instskip(NEXT) | instid1(VALU_DEP_3)
	v_dual_fma_f32 v13, v226, v130, -v13 :: v_dual_add_f32 v5, v5, v39
	v_dual_add_f32 v7, v7, v11 :: v_dual_fmac_f32 v43, v229, v132
	v_dual_mul_f32 v11, v239, v143 :: v_dual_fma_f32 v15, v228, v132, -v15
	s_delay_alu instid0(VALU_DEP_3) | instskip(NEXT) | instid1(VALU_DEP_3)
	v_dual_add_f32 v5, v5, v41 :: v_dual_fmac_f32 v45, v231, v134
	v_dual_add_f32 v7, v7, v13 :: v_dual_fma_f32 v17, v230, v134, -v17
	v_dual_mul_f32 v47, v232, v137 :: v_dual_mul_f32 v49, v234, v139
	s_wait_loadcnt_dscnt 0x803
	s_delay_alu instid0(VALU_DEP_2) | instskip(SKIP_1) | instid1(VALU_DEP_3)
	v_dual_mul_f32 v13, v241, v145 :: v_dual_add_f32 v7, v7, v15
	v_dual_add_f32 v5, v5, v43 :: v_dual_fma_f32 v19, v232, v136, -v19
	v_dual_mul_f32 v15, v243, v147 :: v_dual_fmac_f32 v47, v233, v136
	s_delay_alu instid0(VALU_DEP_3) | instskip(NEXT) | instid1(VALU_DEP_3)
	v_dual_add_f32 v7, v7, v17 :: v_dual_fma_f32 v21, v234, v138, -v21
	v_dual_add_f32 v5, v5, v45 :: v_dual_fmac_f32 v49, v235, v138
	v_dual_mul_f32 v51, v236, v141 :: v_dual_mul_f32 v53, v238, v143
	s_wait_loadcnt_dscnt 0x702
	s_delay_alu instid0(VALU_DEP_3) | instskip(NEXT) | instid1(VALU_DEP_3)
	v_dual_mul_f32 v17, v245, v149 :: v_dual_add_f32 v7, v7, v19
	v_dual_add_f32 v5, v5, v47 :: v_dual_fma_f32 v23, v236, v140, -v23
	s_delay_alu instid0(VALU_DEP_3) | instskip(NEXT) | instid1(VALU_DEP_3)
	v_dual_mul_f32 v19, v247, v151 :: v_dual_fmac_f32 v51, v237, v140
	v_dual_add_f32 v7, v7, v21 :: v_dual_fma_f32 v11, v238, v142, -v11
	s_delay_alu instid0(VALU_DEP_3) | instskip(SKIP_2) | instid1(VALU_DEP_3)
	v_dual_add_f32 v5, v5, v49 :: v_dual_fmac_f32 v53, v239, v142
	v_dual_mul_f32 v55, v240, v145 :: v_dual_mul_f32 v57, v242, v147
	s_wait_loadcnt_dscnt 0x601
	v_dual_mul_f32 v21, v249, v153 :: v_dual_add_f32 v7, v7, v23
	s_delay_alu instid0(VALU_DEP_3) | instskip(NEXT) | instid1(VALU_DEP_3)
	v_dual_add_f32 v5, v5, v51 :: v_dual_fma_f32 v13, v240, v144, -v13
	v_dual_mul_f32 v23, v251, v155 :: v_dual_fmac_f32 v55, v241, v144
	s_delay_alu instid0(VALU_DEP_2) | instskip(SKIP_3) | instid1(VALU_DEP_3)
	v_dual_add_f32 v7, v7, v11 :: v_dual_add_f32 v5, v5, v53
	v_dual_mul_f32 v59, v244, v149 :: v_dual_mul_f32 v61, v246, v151
	s_wait_loadcnt_dscnt 0x500
	v_dual_mul_f32 v11, v253, v157 :: v_dual_fmac_f32 v57, v243, v146
	v_dual_fma_f32 v15, v242, v146, -v15 :: v_dual_add_f32 v5, v5, v55
	s_delay_alu instid0(VALU_DEP_3) | instskip(SKIP_1) | instid1(VALU_DEP_2)
	v_dual_add_f32 v7, v7, v13 :: v_dual_fmac_f32 v59, v245, v148
	v_dual_mul_f32 v13, v255, v159 :: v_dual_fma_f32 v17, v244, v148, -v17
	v_dual_add_f32 v5, v5, v57 :: v_dual_add_f32 v7, v7, v15
	v_dual_mul_f32 v63, v248, v153 :: v_dual_mul_f32 v65, v250, v155
	v_dual_fmac_f32 v61, v247, v150 :: v_dual_fma_f32 v15, v246, v150, -v19
	s_delay_alu instid0(VALU_DEP_3) | instskip(SKIP_1) | instid1(VALU_DEP_3)
	v_dual_add_f32 v5, v5, v59 :: v_dual_add_f32 v7, v7, v17
	s_wait_loadcnt 0x4
	v_dual_mov_b32 v98, v163 :: v_dual_fmac_f32 v63, v249, v152
	s_delay_alu instid0(VALU_DEP_2) | instskip(NEXT) | instid1(VALU_DEP_3)
	v_dual_fma_f32 v17, v248, v152, -v21 :: v_dual_add_f32 v5, v5, v61
	v_dual_add_f32 v7, v7, v15 :: v_dual_fma_f32 v15, v250, v154, -v23
	s_set_vgpr_msb 64                       ;  msbs: dst=1 src0=0 src1=0 src2=0
	v_dual_mul_f32 v11 /*v267*/, v252, v157 :: v_dual_mul_f32 v13 /*v269*/, v254, v159
	s_set_vgpr_msb 0                        ;  msbs: dst=0 src0=0 src1=0 src2=0
	v_dual_fmac_f32 v65, v251, v154 :: v_dual_add_f32 v5, v5, v63
	v_add_f32_e32 v7, v7, v17
	v_pk_mul_f32 v[96:97], v[176:177], v[160:161] op_sel:[1,1] op_sel_hi:[0,1]
	s_wait_loadcnt 0x3
	v_mov_b32_e32 v102, v167
	s_set_vgpr_msb 64                       ;  msbs: dst=1 src0=0 src1=0 src2=0
	v_dual_fmac_f32 v11 /*v267*/, v253, v156 :: v_dual_fmac_f32 v13 /*v269*/, v255, v158
	v_dual_fma_f32 v10 /*v266*/, v252, v156, -v11 :: v_dual_fma_f32 v12 /*v268*/, v254, v158, -v13
	s_set_vgpr_msb 0                        ;  msbs: dst=0 src0=0 src1=0 src2=0
	v_dual_add_f32 v105, v5, v65 :: v_dual_add_f32 v104, v7, v15
	v_pk_fma_f32 v[106:107], v[176:177], v[160:161], v[96:97] op_sel_hi:[1,0,1]
	s_set_vgpr_msb 1                        ;  msbs: dst=0 src0=1 src1=0 src2=0
	v_pk_mul_f32 v[98:99], v[2:3] /*v[258:259]*/, v[98:99] op_sel_hi:[1,0]
	s_set_vgpr_msb 0                        ;  msbs: dst=0 src0=0 src1=0 src2=0
	v_pk_fma_f32 v[96:97], v[176:177], v[160:161], v[96:97] neg_lo:[0,0,1] neg_hi:[0,0,1]
	v_pk_mul_f32 v[100:101], v[180:181], v[164:165] op_sel:[1,1] op_sel_hi:[0,1]
	s_set_vgpr_msb 4                        ;  msbs: dst=0 src0=0 src1=1 src2=0
	v_pk_add_f32 v[104:105], v[104:105], v[10:11] /*v[266:267]*/
	v_mov_b32_e32 v97, v107
	s_set_vgpr_msb 0                        ;  msbs: dst=0 src0=0 src1=0 src2=0
	v_pk_fma_f32 v[106:107], v[178:179], v[162:163], v[98:99] op_sel_hi:[1,0,1]
	v_pk_fma_f32 v[98:99], v[178:179], v[162:163], v[98:99] neg_lo:[0,0,1] neg_hi:[0,0,1]
	v_pk_fma_f32 v[110:111], v[180:181], v[164:165], v[100:101] op_sel_hi:[1,0,1]
	s_set_vgpr_msb 4                        ;  msbs: dst=0 src0=0 src1=1 src2=0
	v_pk_add_f32 v[104:105], v[104:105], v[12:13] /*v[268:269]*/
	s_set_vgpr_msb 1                        ;  msbs: dst=0 src0=1 src1=0 src2=0
	v_pk_mul_f32 v[102:103], v[4:5] /*v[260:261]*/, v[102:103] op_sel_hi:[1,0]
	s_set_vgpr_msb 0                        ;  msbs: dst=0 src0=0 src1=0 src2=0
	v_mov_b32_e32 v99, v107
	s_wait_loadcnt 0x2
	v_pk_mul_f32 v[108:109], v[192:193], v[168:169] op_sel:[1,1] op_sel_hi:[0,1]
	v_pk_fma_f32 v[100:101], v[180:181], v[164:165], v[100:101] neg_lo:[0,0,1] neg_hi:[0,0,1]
	v_pk_add_f32 v[96:97], v[104:105], v[96:97]
	v_dual_mov_b32 v104, v171 :: v_dual_mov_b32 v101, v111
	v_pk_fma_f32 v[106:107], v[182:183], v[166:167], v[102:103] op_sel_hi:[1,0,1]
	v_pk_fma_f32 v[102:103], v[182:183], v[166:167], v[102:103] neg_lo:[0,0,1] neg_hi:[0,0,1]
	s_delay_alu instid0(VALU_DEP_4)
	v_pk_add_f32 v[96:97], v[96:97], v[98:99]
	v_pk_fma_f32 v[98:99], v[192:193], v[168:169], v[108:109] op_sel_hi:[1,0,1]
	s_set_vgpr_msb 1                        ;  msbs: dst=0 src0=1 src1=0 src2=0
	v_pk_mul_f32 v[104:105], v[6:7] /*v[262:263]*/, v[104:105] op_sel_hi:[1,0]
	s_set_vgpr_msb 0                        ;  msbs: dst=0 src0=0 src1=0 src2=0
	v_mov_b32_e32 v103, v107
	v_pk_fma_f32 v[106:107], v[192:193], v[168:169], v[108:109] neg_lo:[0,0,1] neg_hi:[0,0,1]
	v_pk_add_f32 v[96:97], v[96:97], v[100:101]
	v_mov_b32_e32 v107, v99
	v_pk_fma_f32 v[98:99], v[194:195], v[170:171], v[104:105] op_sel_hi:[1,0,1]
	s_wait_loadcnt 0x1
	v_pk_mul_f32 v[100:101], v[196:197], v[172:173] op_sel:[1,1] op_sel_hi:[0,1]
	v_mov_b32_e32 v98, v175
	v_pk_add_f32 v[96:97], v[96:97], v[102:103]
	v_pk_fma_f32 v[104:105], v[194:195], v[170:171], v[104:105] neg_lo:[0,0,1] neg_hi:[0,0,1]
	v_mov_b32_e32 v105, v99
	v_pk_fma_f32 v[102:103], v[196:197], v[172:173], v[100:101] op_sel_hi:[1,0,1]
	s_set_vgpr_msb 1                        ;  msbs: dst=0 src0=1 src1=0 src2=0
	v_pk_mul_f32 v[98:99], v[8:9] /*v[264:265]*/, v[98:99] op_sel_hi:[1,0]
	s_set_vgpr_msb 0                        ;  msbs: dst=0 src0=0 src1=0 src2=0
	v_pk_add_f32 v[96:97], v[96:97], v[106:107]
	v_pk_fma_f32 v[100:101], v[196:197], v[172:173], v[100:101] neg_lo:[0,0,1] neg_hi:[0,0,1]
	v_mov_b32_e32 v101, v103
	v_pk_fma_f32 v[102:103], v[198:199], v[174:175], v[98:99] op_sel_hi:[1,0,1]
	s_delay_alu instid0(VALU_DEP_4) | instskip(SKIP_1) | instid1(VALU_DEP_3)
	v_pk_add_f32 v[96:97], v[96:97], v[104:105]
	v_pk_fma_f32 v[98:99], v[198:199], v[174:175], v[98:99] neg_lo:[0,0,1] neg_hi:[0,0,1]
	v_mov_b32_e32 v99, v103
	s_delay_alu instid0(VALU_DEP_3) | instskip(NEXT) | instid1(VALU_DEP_1)
	v_pk_add_f32 v[96:97], v[96:97], v[100:101]
	v_pk_add_f32 v[96:97], v[96:97], v[98:99]
	s_wait_loadcnt 0x0
	s_set_vgpr_msb 1                        ;  msbs: dst=0 src0=1 src1=0 src2=0
	s_delay_alu instid0(VALU_DEP_1)
	v_pk_add_f32 v[96:97], v[0:1] /*v[256:257]*/, v[96:97] neg_lo:[0,1] neg_hi:[0,1]
	scratch_store_b64 off, v[96:97], off offset:48
	s_wait_xcnt 0x0
	v_cmpx_lt_u32_e32 5, v0
	s_set_vgpr_msb 0                        ;  msbs: dst=0 src0=0 src1=0 src2=0
	s_cbranch_execz .LBB46_285
; %bb.284:
	scratch_load_b64 v[96:97], off, off offset:40
	v_mov_b64_e32 v[98:99], 0
	scratch_store_b64 off, v[98:99], off offset:40
	s_wait_loadcnt 0x0
	ds_store_b64 v1, v[96:97]
.LBB46_285:
	s_wait_xcnt 0x0
	s_or_b32 exec_lo, exec_lo, s0
	v_mov_b32_e32 v5, 0
	s_wait_storecnt_dscnt 0x0
	s_barrier_signal -1
	s_barrier_wait -1
	ds_load_b128 v[96:99], v5 offset:432
	ds_load_b128 v[100:103], v5 offset:448
	;; [unrolled: 1-line block ×4, first 2 shown]
	s_clause 0x10
	scratch_load_b128 v[112:115], off, off offset:48
	scratch_load_b128 v[116:119], off, off offset:64
	;; [unrolled: 1-line block ×17, first 2 shown]
	s_mov_b32 s0, exec_lo
	s_wait_loadcnt_dscnt 0x1003
	v_mul_f32_e32 v7, v96, v113
	ds_load_b128 v[208:211], v5 offset:656
	ds_load_b128 v[216:219], v5 offset:672
	ds_load_b128 v[224:227], v5 offset:688
	v_dual_mul_f32 v11, v98, v115 :: v_dual_fmac_f32 v7, v97, v112
	ds_load_b128 v[128:131], v5 offset:496
	ds_load_b128 v[136:139], v5 offset:512
	;; [unrolled: 1-line block ×4, first 2 shown]
	v_dual_add_f32 v7, 0, v7 :: v_dual_fmac_f32 v11, v99, v114
	ds_load_b128 v[160:163], v5 offset:560
	ds_load_b128 v[168:171], v5 offset:576
	;; [unrolled: 1-line block ×4, first 2 shown]
	s_wait_loadcnt_dscnt 0xf0d
	v_dual_add_f32 v7, v7, v11 :: v_dual_mul_f32 v11, v100, v117
	ds_load_b128 v[192:195], v5 offset:624
	ds_load_b128 v[200:203], v5 offset:640
	s_clause 0x3
	scratch_load_b128 v[232:235], off, off offset:320
	scratch_load_b128 v[236:239], off, off offset:336
	;; [unrolled: 1-line block ×3, first 2 shown]
	scratch_load_b64 v[250:251], off, off offset:368
	s_wait_loadcnt_dscnt 0x110b
	v_dual_fmac_f32 v11, v101, v116 :: v_dual_mul_f32 v247, v218, v223
	s_wait_loadcnt_dscnt 0xe0a
	s_delay_alu instid0(VALU_DEP_1) | instskip(NEXT) | instid1(VALU_DEP_2)
	v_dual_mul_f32 v249, v224, v229 :: v_dual_add_f32 v7, v7, v11
	v_dual_mul_f32 v11, v102, v119 :: v_dual_fmac_f32 v247, v219, v222
	s_delay_alu instid0(VALU_DEP_1) | instskip(NEXT) | instid1(VALU_DEP_1)
	v_dual_fmac_f32 v249, v225, v228 :: v_dual_fmac_f32 v11, v103, v118
	v_dual_add_f32 v7, v7, v11 :: v_dual_mul_f32 v11, v104, v121
	s_delay_alu instid0(VALU_DEP_1) | instskip(NEXT) | instid1(VALU_DEP_1)
	v_fmac_f32_e32 v11, v105, v120
	v_add_f32_e32 v7, v7, v11
	v_mul_f32_e32 v11, v106, v123
	s_delay_alu instid0(VALU_DEP_1) | instskip(NEXT) | instid1(VALU_DEP_1)
	v_fmac_f32_e32 v11, v107, v122
	v_dual_add_f32 v7, v7, v11 :: v_dual_mul_f32 v11, v108, v125
	s_delay_alu instid0(VALU_DEP_1) | instskip(NEXT) | instid1(VALU_DEP_1)
	v_fmac_f32_e32 v11, v109, v124
	v_add_f32_e32 v7, v7, v11
	v_mul_f32_e32 v11, v110, v127
	s_delay_alu instid0(VALU_DEP_1) | instskip(SKIP_1) | instid1(VALU_DEP_1)
	v_fmac_f32_e32 v11, v111, v126
	s_wait_loadcnt_dscnt 0xd09
	v_dual_add_f32 v7, v7, v11 :: v_dual_mul_f32 v11, v128, v133
	s_delay_alu instid0(VALU_DEP_1) | instskip(NEXT) | instid1(VALU_DEP_1)
	v_fmac_f32_e32 v11, v129, v132
	v_add_f32_e32 v7, v7, v11
	v_mul_f32_e32 v11, v130, v135
	s_delay_alu instid0(VALU_DEP_1) | instskip(SKIP_1) | instid1(VALU_DEP_1)
	v_fmac_f32_e32 v11, v131, v134
	s_wait_loadcnt_dscnt 0xc08
	;; [unrolled: 8-line block ×10, first 2 shown]
	v_dual_add_f32 v7, v7, v11 :: v_dual_mul_f32 v11, v200, v205
	s_delay_alu instid0(VALU_DEP_1) | instskip(NEXT) | instid1(VALU_DEP_1)
	v_fmac_f32_e32 v11, v201, v204
	v_add_f32_e32 v7, v7, v11
	v_mul_f32_e32 v11, v202, v207
	s_delay_alu instid0(VALU_DEP_1) | instskip(NEXT) | instid1(VALU_DEP_1)
	v_fmac_f32_e32 v11, v203, v206
	v_dual_add_f32 v7, v7, v11 :: v_dual_mul_f32 v11, v208, v213
	s_delay_alu instid0(VALU_DEP_1) | instskip(NEXT) | instid1(VALU_DEP_1)
	v_fmac_f32_e32 v11, v209, v212
	v_add_f32_e32 v7, v7, v11
	v_mul_f32_e32 v11, v210, v215
	s_delay_alu instid0(VALU_DEP_1) | instskip(NEXT) | instid1(VALU_DEP_1)
	v_fmac_f32_e32 v11, v211, v214
	v_dual_add_f32 v7, v7, v11 :: v_dual_mul_f32 v11, v216, v221
	s_delay_alu instid0(VALU_DEP_1) | instskip(NEXT) | instid1(VALU_DEP_1)
	v_fmac_f32_e32 v11, v217, v220
	v_dual_add_f32 v245, v7, v11 :: v_dual_mul_f32 v7, v97, v113
	v_dual_mul_f32 v11, v99, v115 :: v_dual_mov_b32 v113, v226
	s_delay_alu instid0(VALU_DEP_2) | instskip(NEXT) | instid1(VALU_DEP_2)
	v_fma_f32 v7, v96, v112, -v7
	v_dual_fma_f32 v11, v98, v114, -v11 :: v_dual_mov_b32 v112, v227
	s_delay_alu instid0(VALU_DEP_2) | instskip(NEXT) | instid1(VALU_DEP_1)
	v_dual_mov_b32 v114, v231 :: v_dual_add_f32 v7, 0, v7
	v_pk_mul_f32 v[112:113], v[112:113], v[114:115] op_sel_hi:[1,0]
	s_delay_alu instid0(VALU_DEP_2) | instskip(NEXT) | instid1(VALU_DEP_2)
	v_dual_add_f32 v7, v7, v11 :: v_dual_mul_f32 v11, v101, v117
	v_pk_fma_f32 v[114:115], v[226:227], v[230:231], v[112:113] neg_lo:[0,0,1] neg_hi:[0,0,1]
	v_pk_fma_f32 v[112:113], v[226:227], v[230:231], v[112:113] op_sel_hi:[1,0,1]
	s_delay_alu instid0(VALU_DEP_1) | instskip(NEXT) | instid1(VALU_DEP_1)
	v_dual_fma_f32 v11, v100, v116, -v11 :: v_dual_mov_b32 v115, v113
	v_add_f32_e32 v7, v7, v11
	v_mul_f32_e32 v11, v103, v119
	s_delay_alu instid0(VALU_DEP_1) | instskip(NEXT) | instid1(VALU_DEP_1)
	v_fma_f32 v11, v102, v118, -v11
	v_dual_add_f32 v7, v7, v11 :: v_dual_mul_f32 v11, v105, v121
	s_delay_alu instid0(VALU_DEP_1) | instskip(NEXT) | instid1(VALU_DEP_1)
	v_fma_f32 v11, v104, v120, -v11
	v_add_f32_e32 v7, v7, v11
	v_mul_f32_e32 v11, v107, v123
	s_delay_alu instid0(VALU_DEP_1) | instskip(NEXT) | instid1(VALU_DEP_1)
	v_fma_f32 v11, v106, v122, -v11
	v_dual_add_f32 v7, v7, v11 :: v_dual_mul_f32 v11, v109, v125
	s_delay_alu instid0(VALU_DEP_1)
	v_fma_f32 v11, v108, v124, -v11
	ds_load_b128 v[96:99], v5 offset:704
	ds_load_b128 v[100:103], v5 offset:720
	;; [unrolled: 1-line block ×3, first 2 shown]
	ds_load_b64 v[108:109], v5 offset:752
	v_add_f32_e32 v7, v7, v11
	v_mul_f32_e32 v11, v111, v127
	s_delay_alu instid0(VALU_DEP_1) | instskip(NEXT) | instid1(VALU_DEP_1)
	v_fma_f32 v11, v110, v126, -v11
	v_dual_add_f32 v7, v7, v11 :: v_dual_mul_f32 v11, v129, v133
	s_wait_loadcnt_dscnt 0x303
	v_pk_mul_f32 v[112:113], v[96:97], v[232:233] op_sel:[1,1] op_sel_hi:[0,1]
	s_delay_alu instid0(VALU_DEP_2) | instskip(NEXT) | instid1(VALU_DEP_1)
	v_fma_f32 v11, v128, v132, -v11
	v_add_f32_e32 v7, v7, v11
	v_mul_f32_e32 v11, v131, v135
	s_delay_alu instid0(VALU_DEP_1) | instskip(NEXT) | instid1(VALU_DEP_1)
	v_fma_f32 v11, v130, v134, -v11
	v_dual_add_f32 v7, v7, v11 :: v_dual_mul_f32 v11, v137, v141
	s_delay_alu instid0(VALU_DEP_1) | instskip(NEXT) | instid1(VALU_DEP_1)
	v_fma_f32 v11, v136, v140, -v11
	v_add_f32_e32 v7, v7, v11
	v_mul_f32_e32 v11, v139, v143
	s_delay_alu instid0(VALU_DEP_1) | instskip(NEXT) | instid1(VALU_DEP_1)
	v_fma_f32 v11, v138, v142, -v11
	v_dual_add_f32 v7, v7, v11 :: v_dual_mul_f32 v11, v145, v149
	s_delay_alu instid0(VALU_DEP_1) | instskip(NEXT) | instid1(VALU_DEP_1)
	;; [unrolled: 7-line block ×11, first 2 shown]
	v_fma_f32 v11, v216, v220, -v11
	v_add_f32_e32 v244, v7, v11
	v_mul_f32_e32 v7, v219, v223
	s_delay_alu instid0(VALU_DEP_1) | instskip(NEXT) | instid1(VALU_DEP_1)
	v_dual_fma_f32 v246, v218, v222, -v7 :: v_dual_mul_f32 v7, v225, v229
	v_pk_add_f32 v[110:111], v[244:245], v[246:247]
	s_delay_alu instid0(VALU_DEP_2) | instskip(NEXT) | instid1(VALU_DEP_1)
	v_fma_f32 v248, v224, v228, -v7
	v_pk_add_f32 v[110:111], v[110:111], v[248:249]
	s_delay_alu instid0(VALU_DEP_1) | instskip(SKIP_2) | instid1(VALU_DEP_1)
	v_pk_add_f32 v[110:111], v[110:111], v[114:115]
	v_pk_fma_f32 v[114:115], v[96:97], v[232:233], v[112:113] neg_lo:[0,0,1] neg_hi:[0,0,1]
	v_pk_fma_f32 v[96:97], v[96:97], v[232:233], v[112:113] op_sel_hi:[1,0,1]
	v_dual_mov_b32 v112, v235 :: v_dual_mov_b32 v115, v97
	s_delay_alu instid0(VALU_DEP_1) | instskip(SKIP_1) | instid1(VALU_DEP_1)
	v_pk_add_f32 v[96:97], v[110:111], v[114:115]
	v_dual_mov_b32 v110, v99 :: v_dual_mov_b32 v111, v98
	v_pk_mul_f32 v[110:111], v[110:111], v[112:113] op_sel_hi:[1,0]
	s_delay_alu instid0(VALU_DEP_1) | instskip(SKIP_1) | instid1(VALU_DEP_1)
	v_pk_fma_f32 v[112:113], v[98:99], v[234:235], v[110:111] neg_lo:[0,0,1] neg_hi:[0,0,1]
	v_pk_fma_f32 v[98:99], v[98:99], v[234:235], v[110:111] op_sel_hi:[1,0,1]
	v_mov_b32_e32 v113, v99
	s_wait_loadcnt_dscnt 0x202
	v_pk_mul_f32 v[98:99], v[100:101], v[236:237] op_sel:[1,1] op_sel_hi:[0,1]
	s_delay_alu instid0(VALU_DEP_2) | instskip(NEXT) | instid1(VALU_DEP_2)
	v_pk_add_f32 v[96:97], v[96:97], v[112:113]
	v_pk_fma_f32 v[110:111], v[100:101], v[236:237], v[98:99] neg_lo:[0,0,1] neg_hi:[0,0,1]
	v_pk_fma_f32 v[98:99], v[100:101], v[236:237], v[98:99] op_sel_hi:[1,0,1]
	v_dual_mov_b32 v98, v103 :: v_dual_mov_b32 v100, v239
	s_delay_alu instid0(VALU_DEP_2) | instskip(NEXT) | instid1(VALU_DEP_1)
	v_dual_mov_b32 v111, v99 :: v_dual_mov_b32 v99, v102
	v_pk_add_f32 v[96:97], v[96:97], v[110:111]
	s_delay_alu instid0(VALU_DEP_2) | instskip(NEXT) | instid1(VALU_DEP_1)
	v_pk_mul_f32 v[98:99], v[98:99], v[100:101] op_sel_hi:[1,0]
	v_pk_fma_f32 v[100:101], v[102:103], v[238:239], v[98:99] neg_lo:[0,0,1] neg_hi:[0,0,1]
	v_pk_fma_f32 v[98:99], v[102:103], v[238:239], v[98:99] op_sel_hi:[1,0,1]
	s_delay_alu instid0(VALU_DEP_1) | instskip(SKIP_2) | instid1(VALU_DEP_2)
	v_mov_b32_e32 v101, v99
	s_wait_loadcnt_dscnt 0x101
	v_pk_mul_f32 v[98:99], v[104:105], v[240:241] op_sel:[1,1] op_sel_hi:[0,1]
	v_pk_add_f32 v[96:97], v[96:97], v[100:101]
	s_delay_alu instid0(VALU_DEP_2) | instskip(SKIP_1) | instid1(VALU_DEP_1)
	v_pk_fma_f32 v[100:101], v[104:105], v[240:241], v[98:99] neg_lo:[0,0,1] neg_hi:[0,0,1]
	v_pk_fma_f32 v[98:99], v[104:105], v[240:241], v[98:99] op_sel_hi:[1,0,1]
	v_dual_mov_b32 v98, v107 :: v_dual_mov_b32 v101, v99
	v_mov_b32_e32 v99, v106
	s_delay_alu instid0(VALU_DEP_2) | instskip(SKIP_1) | instid1(VALU_DEP_1)
	v_pk_add_f32 v[96:97], v[96:97], v[100:101]
	v_mov_b32_e32 v100, v243
	v_pk_mul_f32 v[98:99], v[98:99], v[100:101] op_sel_hi:[1,0]
	s_delay_alu instid0(VALU_DEP_1) | instskip(SKIP_1) | instid1(VALU_DEP_1)
	v_pk_fma_f32 v[100:101], v[106:107], v[242:243], v[98:99] neg_lo:[0,0,1] neg_hi:[0,0,1]
	v_pk_fma_f32 v[98:99], v[106:107], v[242:243], v[98:99] op_sel_hi:[1,0,1]
	v_mov_b32_e32 v101, v99
	s_wait_loadcnt_dscnt 0x0
	v_pk_mul_f32 v[98:99], v[108:109], v[250:251] op_sel:[1,1] op_sel_hi:[0,1]
	s_delay_alu instid0(VALU_DEP_2) | instskip(NEXT) | instid1(VALU_DEP_2)
	v_pk_add_f32 v[96:97], v[96:97], v[100:101]
	v_pk_fma_f32 v[100:101], v[108:109], v[250:251], v[98:99] neg_lo:[0,0,1] neg_hi:[0,0,1]
	v_pk_fma_f32 v[98:99], v[108:109], v[250:251], v[98:99] op_sel_hi:[1,0,1]
	s_delay_alu instid0(VALU_DEP_1) | instskip(SKIP_3) | instid1(VALU_DEP_1)
	v_mov_b32_e32 v101, v99
	scratch_load_b64 v[98:99], off, off offset:40
	v_pk_add_f32 v[96:97], v[96:97], v[100:101]
	s_wait_loadcnt 0x0
	v_pk_add_f32 v[96:97], v[98:99], v[96:97] neg_lo:[0,1] neg_hi:[0,1]
	scratch_store_b64 off, v[96:97], off offset:40
	s_wait_xcnt 0x0
	v_cmpx_lt_u32_e32 4, v0
	s_cbranch_execz .LBB46_287
; %bb.286:
	scratch_load_b64 v[96:97], off, off offset:32
	v_mov_b64_e32 v[98:99], 0
	scratch_store_b64 off, v[98:99], off offset:32
	s_wait_loadcnt 0x0
	ds_store_b64 v1, v[96:97]
.LBB46_287:
	s_wait_xcnt 0x0
	s_or_b32 exec_lo, exec_lo, s0
	s_wait_storecnt_dscnt 0x0
	s_barrier_signal -1
	s_barrier_wait -1
	s_clause 0x10
	scratch_load_b128 v[100:103], off, off offset:40
	scratch_load_b128 v[108:111], off, off offset:56
	;; [unrolled: 1-line block ×17, first 2 shown]
	ds_load_2addr_b64 v[96:99], v5 offset0:53 offset1:54
	ds_load_2addr_b64 v[104:107], v5 offset0:55 offset1:56
	;; [unrolled: 1-line block ×17, first 2 shown]
	s_clause 0x3
	scratch_load_b128 v[232:235], off, off offset:312
	scratch_load_b128 v[236:239], off, off offset:328
	;; [unrolled: 1-line block ×4, first 2 shown]
	s_mov_b32 s0, exec_lo
	s_wait_loadcnt_dscnt 0x1410
	v_dual_mul_f32 v7, v96, v101 :: v_dual_mul_f32 v11, v98, v103
	s_wait_loadcnt_dscnt 0x120e
	v_dual_mul_f32 v251, v224, v229 :: v_dual_mul_f32 v253, v226, v231
	s_delay_alu instid0(VALU_DEP_2) | instskip(NEXT) | instid1(VALU_DEP_3)
	v_fmac_f32_e32 v7, v97, v100
	v_fmac_f32_e32 v11, v99, v102
	s_delay_alu instid0(VALU_DEP_3) | instskip(NEXT) | instid1(VALU_DEP_3)
	v_dual_fmac_f32 v251, v225, v228 :: v_dual_fmac_f32 v253, v227, v230
	v_add_f32_e32 v7, 0, v7
	s_delay_alu instid0(VALU_DEP_1) | instskip(NEXT) | instid1(VALU_DEP_1)
	v_dual_add_f32 v7, v7, v11 :: v_dual_mul_f32 v11, v104, v109
	v_fmac_f32_e32 v11, v105, v108
	s_delay_alu instid0(VALU_DEP_1) | instskip(SKIP_1) | instid1(VALU_DEP_1)
	v_add_f32_e32 v7, v7, v11
	v_mul_f32_e32 v11, v106, v111
	v_fmac_f32_e32 v11, v107, v110
	s_wait_loadcnt_dscnt 0x110d
	s_delay_alu instid0(VALU_DEP_1) | instskip(NEXT) | instid1(VALU_DEP_1)
	v_dual_add_f32 v7, v7, v11 :: v_dual_mul_f32 v11, v112, v117
	v_fmac_f32_e32 v11, v113, v116
	s_delay_alu instid0(VALU_DEP_1) | instskip(SKIP_1) | instid1(VALU_DEP_1)
	v_add_f32_e32 v7, v7, v11
	v_mul_f32_e32 v11, v114, v119
	v_fmac_f32_e32 v11, v115, v118
	s_wait_loadcnt_dscnt 0x100c
	;; [unrolled: 8-line block ×14, first 2 shown]
	s_delay_alu instid0(VALU_DEP_1) | instskip(NEXT) | instid1(VALU_DEP_1)
	v_dual_add_f32 v7, v7, v11 :: v_dual_mul_f32 v11, v216, v221
	v_fmac_f32_e32 v11, v217, v220
	s_delay_alu instid0(VALU_DEP_1) | instskip(SKIP_1) | instid1(VALU_DEP_1)
	v_add_f32_e32 v7, v7, v11
	v_mul_f32_e32 v11, v218, v223
	v_fmac_f32_e32 v11, v219, v222
	s_delay_alu instid0(VALU_DEP_1) | instskip(NEXT) | instid1(VALU_DEP_1)
	v_dual_add_f32 v249, v7, v11 :: v_dual_mul_f32 v7, v97, v101
	v_dual_mul_f32 v11, v99, v103 :: v_dual_fma_f32 v7, v96, v100, -v7
	s_delay_alu instid0(VALU_DEP_1) | instskip(NEXT) | instid1(VALU_DEP_1)
	v_dual_fma_f32 v11, v98, v102, -v11 :: v_dual_add_f32 v7, 0, v7
	v_dual_add_f32 v7, v7, v11 :: v_dual_mul_f32 v11, v105, v109
	s_delay_alu instid0(VALU_DEP_1) | instskip(NEXT) | instid1(VALU_DEP_1)
	v_fma_f32 v11, v104, v108, -v11
	v_add_f32_e32 v7, v7, v11
	v_mul_f32_e32 v11, v107, v111
	s_delay_alu instid0(VALU_DEP_1)
	v_fma_f32 v11, v106, v110, -v11
	ds_load_2addr_b64 v[96:99], v5 offset0:87 offset1:88
	ds_load_2addr_b64 v[100:103], v5 offset0:89 offset1:90
	;; [unrolled: 1-line block ×4, first 2 shown]
	v_dual_add_f32 v7, v7, v11 :: v_dual_mul_f32 v11, v113, v117
	s_delay_alu instid0(VALU_DEP_1) | instskip(NEXT) | instid1(VALU_DEP_1)
	v_fma_f32 v11, v112, v116, -v11
	v_add_f32_e32 v7, v7, v11
	v_mul_f32_e32 v11, v115, v119
	s_delay_alu instid0(VALU_DEP_1) | instskip(SKIP_2) | instid1(VALU_DEP_2)
	v_fma_f32 v11, v114, v118, -v11
	s_wait_loadcnt_dscnt 0x303
	v_pk_mul_f32 v[114:115], v[96:97], v[232:233] op_sel:[1,1] op_sel_hi:[0,1]
	v_dual_add_f32 v7, v7, v11 :: v_dual_mul_f32 v11, v121, v125
	s_delay_alu instid0(VALU_DEP_2) | instskip(SKIP_1) | instid1(VALU_DEP_3)
	v_pk_fma_f32 v[116:117], v[96:97], v[232:233], v[114:115] neg_lo:[0,0,1] neg_hi:[0,0,1]
	v_pk_fma_f32 v[96:97], v[96:97], v[232:233], v[114:115] op_sel_hi:[1,0,1]
	v_dual_mov_b32 v114, v235 :: v_dual_fma_f32 v11, v120, v124, -v11
	s_delay_alu instid0(VALU_DEP_1) | instskip(SKIP_1) | instid1(VALU_DEP_1)
	v_dual_mov_b32 v117, v97 :: v_dual_add_f32 v7, v7, v11
	v_mul_f32_e32 v11, v123, v127
	v_fma_f32 v11, v122, v126, -v11
	s_delay_alu instid0(VALU_DEP_1) | instskip(NEXT) | instid1(VALU_DEP_1)
	v_dual_add_f32 v7, v7, v11 :: v_dual_mul_f32 v11, v129, v133
	v_fma_f32 v11, v128, v132, -v11
	s_delay_alu instid0(VALU_DEP_1) | instskip(SKIP_1) | instid1(VALU_DEP_1)
	v_add_f32_e32 v7, v7, v11
	v_mul_f32_e32 v11, v131, v135
	v_fma_f32 v11, v130, v134, -v11
	s_delay_alu instid0(VALU_DEP_1) | instskip(NEXT) | instid1(VALU_DEP_1)
	v_dual_add_f32 v7, v7, v11 :: v_dual_mul_f32 v11, v137, v141
	v_fma_f32 v11, v136, v140, -v11
	s_delay_alu instid0(VALU_DEP_1) | instskip(SKIP_1) | instid1(VALU_DEP_1)
	v_add_f32_e32 v7, v7, v11
	;; [unrolled: 7-line block ×12, first 2 shown]
	v_mul_f32_e32 v11, v219, v223
	v_fma_f32 v11, v218, v222, -v11
	s_delay_alu instid0(VALU_DEP_1) | instskip(NEXT) | instid1(VALU_DEP_1)
	v_dual_add_f32 v248, v7, v11 :: v_dual_mul_f32 v7, v225, v229
	v_dual_fma_f32 v250, v224, v228, -v7 :: v_dual_mul_f32 v7, v227, v231
	s_delay_alu instid0(VALU_DEP_1) | instskip(NEXT) | instid1(VALU_DEP_2)
	v_pk_add_f32 v[112:113], v[248:249], v[250:251]
	v_fma_f32 v252, v226, v230, -v7
	s_delay_alu instid0(VALU_DEP_1) | instskip(NEXT) | instid1(VALU_DEP_1)
	v_pk_add_f32 v[112:113], v[112:113], v[252:253]
	v_pk_add_f32 v[96:97], v[112:113], v[116:117]
	v_dual_mov_b32 v112, v99 :: v_dual_mov_b32 v113, v98
	s_delay_alu instid0(VALU_DEP_1) | instskip(NEXT) | instid1(VALU_DEP_1)
	v_pk_mul_f32 v[112:113], v[112:113], v[114:115] op_sel_hi:[1,0]
	v_pk_fma_f32 v[114:115], v[98:99], v[234:235], v[112:113] neg_lo:[0,0,1] neg_hi:[0,0,1]
	v_pk_fma_f32 v[98:99], v[98:99], v[234:235], v[112:113] op_sel_hi:[1,0,1]
	s_delay_alu instid0(VALU_DEP_1) | instskip(SKIP_2) | instid1(VALU_DEP_2)
	v_mov_b32_e32 v115, v99
	s_wait_loadcnt_dscnt 0x202
	v_pk_mul_f32 v[98:99], v[100:101], v[236:237] op_sel:[1,1] op_sel_hi:[0,1]
	v_pk_add_f32 v[96:97], v[96:97], v[114:115]
	s_delay_alu instid0(VALU_DEP_2) | instskip(SKIP_2) | instid1(VALU_DEP_2)
	v_pk_fma_f32 v[112:113], v[100:101], v[236:237], v[98:99] neg_lo:[0,0,1] neg_hi:[0,0,1]
	v_pk_fma_f32 v[98:99], v[100:101], v[236:237], v[98:99] op_sel_hi:[1,0,1]
	v_dual_mov_b32 v98, v103 :: v_dual_mov_b32 v100, v239
	v_dual_mov_b32 v113, v99 :: v_dual_mov_b32 v99, v102
	s_delay_alu instid0(VALU_DEP_1) | instskip(NEXT) | instid1(VALU_DEP_2)
	v_pk_add_f32 v[96:97], v[96:97], v[112:113]
	v_pk_mul_f32 v[98:99], v[98:99], v[100:101] op_sel_hi:[1,0]
	s_delay_alu instid0(VALU_DEP_1) | instskip(SKIP_1) | instid1(VALU_DEP_1)
	v_pk_fma_f32 v[100:101], v[102:103], v[238:239], v[98:99] neg_lo:[0,0,1] neg_hi:[0,0,1]
	v_pk_fma_f32 v[98:99], v[102:103], v[238:239], v[98:99] op_sel_hi:[1,0,1]
	v_mov_b32_e32 v101, v99
	s_wait_loadcnt_dscnt 0x101
	v_pk_mul_f32 v[98:99], v[104:105], v[240:241] op_sel:[1,1] op_sel_hi:[0,1]
	s_delay_alu instid0(VALU_DEP_2) | instskip(NEXT) | instid1(VALU_DEP_2)
	v_pk_add_f32 v[96:97], v[96:97], v[100:101]
	v_pk_fma_f32 v[100:101], v[104:105], v[240:241], v[98:99] neg_lo:[0,0,1] neg_hi:[0,0,1]
	v_pk_fma_f32 v[98:99], v[104:105], v[240:241], v[98:99] op_sel_hi:[1,0,1]
	s_delay_alu instid0(VALU_DEP_1) | instskip(SKIP_1) | instid1(VALU_DEP_2)
	v_dual_mov_b32 v98, v107 :: v_dual_mov_b32 v101, v99
	v_mov_b32_e32 v99, v106
	v_pk_add_f32 v[96:97], v[96:97], v[100:101]
	v_mov_b32_e32 v100, v243
	s_delay_alu instid0(VALU_DEP_1) | instskip(NEXT) | instid1(VALU_DEP_1)
	v_pk_mul_f32 v[98:99], v[98:99], v[100:101] op_sel_hi:[1,0]
	v_pk_fma_f32 v[100:101], v[106:107], v[242:243], v[98:99] neg_lo:[0,0,1] neg_hi:[0,0,1]
	v_pk_fma_f32 v[98:99], v[106:107], v[242:243], v[98:99] op_sel_hi:[1,0,1]
	s_delay_alu instid0(VALU_DEP_1) | instskip(SKIP_2) | instid1(VALU_DEP_2)
	v_mov_b32_e32 v101, v99
	s_wait_loadcnt_dscnt 0x0
	v_pk_mul_f32 v[98:99], v[108:109], v[244:245] op_sel:[1,1] op_sel_hi:[0,1]
	v_pk_add_f32 v[96:97], v[96:97], v[100:101]
	s_delay_alu instid0(VALU_DEP_2) | instskip(SKIP_1) | instid1(VALU_DEP_1)
	v_pk_fma_f32 v[100:101], v[108:109], v[244:245], v[98:99] neg_lo:[0,0,1] neg_hi:[0,0,1]
	v_pk_fma_f32 v[98:99], v[108:109], v[244:245], v[98:99] op_sel_hi:[1,0,1]
	v_dual_mov_b32 v98, v111 :: v_dual_mov_b32 v101, v99
	v_mov_b32_e32 v99, v110
	s_delay_alu instid0(VALU_DEP_2) | instskip(SKIP_1) | instid1(VALU_DEP_1)
	v_pk_add_f32 v[96:97], v[96:97], v[100:101]
	v_mov_b32_e32 v100, v247
	v_pk_mul_f32 v[98:99], v[98:99], v[100:101] op_sel_hi:[1,0]
	s_delay_alu instid0(VALU_DEP_1) | instskip(SKIP_1) | instid1(VALU_DEP_1)
	v_pk_fma_f32 v[100:101], v[110:111], v[246:247], v[98:99] neg_lo:[0,0,1] neg_hi:[0,0,1]
	v_pk_fma_f32 v[98:99], v[110:111], v[246:247], v[98:99] op_sel_hi:[1,0,1]
	v_mov_b32_e32 v101, v99
	scratch_load_b64 v[98:99], off, off offset:32
	v_pk_add_f32 v[96:97], v[96:97], v[100:101]
	s_wait_loadcnt 0x0
	s_delay_alu instid0(VALU_DEP_1)
	v_pk_add_f32 v[96:97], v[98:99], v[96:97] neg_lo:[0,1] neg_hi:[0,1]
	scratch_store_b64 off, v[96:97], off offset:32
	s_wait_xcnt 0x0
	v_cmpx_lt_u32_e32 3, v0
	s_cbranch_execz .LBB46_289
; %bb.288:
	scratch_load_b64 v[96:97], off, off offset:24
	v_mov_b64_e32 v[98:99], 0
	scratch_store_b64 off, v[98:99], off offset:24
	s_wait_loadcnt 0x0
	ds_store_b64 v1, v[96:97]
.LBB46_289:
	s_wait_xcnt 0x0
	s_or_b32 exec_lo, exec_lo, s0
	v_mov_b32_e32 v5, 0
	s_wait_storecnt_dscnt 0x0
	s_barrier_signal -1
	s_barrier_wait -1
	ds_load_b128 v[96:99], v5 offset:416
	ds_load_b128 v[100:103], v5 offset:432
	ds_load_b128 v[104:107], v5 offset:448
	ds_load_b128 v[108:111], v5 offset:464
	s_clause 0x11
	scratch_load_b128 v[112:115], off, off offset:32
	scratch_load_b128 v[116:119], off, off offset:48
	;; [unrolled: 1-line block ×18, first 2 shown]
	s_mov_b32 s0, exec_lo
	s_wait_loadcnt_dscnt 0x1103
	v_mul_f32_e32 v7, v96, v113
	ds_load_b128 v[224:227], v5 offset:672
	ds_load_b128 v[232:235], v5 offset:688
	;; [unrolled: 1-line block ×4, first 2 shown]
	v_dual_fmac_f32 v7, v97, v112 :: v_dual_mul_f32 v11, v98, v115
	ds_load_b128 v[144:147], v5 offset:512
	ds_load_b128 v[152:155], v5 offset:528
	;; [unrolled: 1-line block ×4, first 2 shown]
	v_dual_add_f32 v7, 0, v7 :: v_dual_fmac_f32 v11, v99, v114
	ds_load_b128 v[176:179], v5 offset:576
	ds_load_b128 v[184:187], v5 offset:592
	;; [unrolled: 1-line block ×4, first 2 shown]
	s_wait_loadcnt_dscnt 0x100e
	v_dual_add_f32 v7, v7, v11 :: v_dual_mul_f32 v11, v100, v117
	ds_load_b128 v[208:211], v5 offset:640
	ds_load_b128 v[216:219], v5 offset:656
	s_wait_loadcnt_dscnt 0xf0d
	v_mul_f32_e32 v255, v226, v231
	s_clause 0x4
	scratch_load_b128 v[240:243], off, off offset:320
	scratch_load_b128 v[244:247], off, off offset:336
	scratch_load_b128 v[248:251], off, off offset:352
	s_set_vgpr_msb 64                       ;  msbs: dst=1 src0=0 src1=0 src2=0
	scratch_load_b64 v[2:3] /*v[258:259]*/, off, off offset:368
	s_set_vgpr_msb 0                        ;  msbs: dst=0 src0=0 src1=0 src2=0
	v_fmac_f32_e32 v11, v101, v116
	v_fmac_f32_e32 v255, v227, v230
	s_delay_alu instid0(VALU_DEP_2) | instskip(SKIP_1) | instid1(VALU_DEP_1)
	v_add_f32_e32 v7, v7, v11
	v_mul_f32_e32 v11, v102, v119
	v_fmac_f32_e32 v11, v103, v118
	s_wait_loadcnt 0x11
	s_delay_alu instid0(VALU_DEP_1) | instskip(NEXT) | instid1(VALU_DEP_1)
	v_dual_add_f32 v7, v7, v11 :: v_dual_mul_f32 v11, v104, v121
	v_fmac_f32_e32 v11, v105, v120
	s_delay_alu instid0(VALU_DEP_1) | instskip(SKIP_1) | instid1(VALU_DEP_1)
	v_add_f32_e32 v7, v7, v11
	v_mul_f32_e32 v11, v106, v123
	v_fmac_f32_e32 v11, v107, v122
	s_wait_loadcnt 0x10
	s_delay_alu instid0(VALU_DEP_1) | instskip(NEXT) | instid1(VALU_DEP_1)
	v_dual_add_f32 v7, v7, v11 :: v_dual_mul_f32 v11, v108, v125
	v_fmac_f32_e32 v11, v109, v124
	s_delay_alu instid0(VALU_DEP_1) | instskip(SKIP_1) | instid1(VALU_DEP_1)
	v_add_f32_e32 v7, v7, v11
	v_mul_f32_e32 v11, v110, v127
	v_fmac_f32_e32 v11, v111, v126
	s_wait_loadcnt_dscnt 0xf0b
	s_delay_alu instid0(VALU_DEP_1) | instskip(NEXT) | instid1(VALU_DEP_1)
	v_dual_add_f32 v7, v7, v11 :: v_dual_mul_f32 v11, v128, v133
	v_fmac_f32_e32 v11, v129, v132
	s_delay_alu instid0(VALU_DEP_1) | instskip(SKIP_1) | instid1(VALU_DEP_1)
	v_add_f32_e32 v7, v7, v11
	v_mul_f32_e32 v11, v130, v135
	v_fmac_f32_e32 v11, v131, v134
	s_wait_loadcnt_dscnt 0xe0a
	;; [unrolled: 8-line block ×12, first 2 shown]
	s_delay_alu instid0(VALU_DEP_1) | instskip(NEXT) | instid1(VALU_DEP_1)
	v_dual_add_f32 v7, v7, v11 :: v_dual_mul_f32 v11, v216, v221
	v_fmac_f32_e32 v11, v217, v220
	s_delay_alu instid0(VALU_DEP_1) | instskip(SKIP_1) | instid1(VALU_DEP_1)
	v_add_f32_e32 v7, v7, v11
	v_mul_f32_e32 v11, v218, v223
	v_fmac_f32_e32 v11, v219, v222
	s_delay_alu instid0(VALU_DEP_1) | instskip(NEXT) | instid1(VALU_DEP_1)
	v_dual_add_f32 v7, v7, v11 :: v_dual_mul_f32 v11, v224, v229
	v_fmac_f32_e32 v11, v225, v228
	s_delay_alu instid0(VALU_DEP_1) | instskip(SKIP_1) | instid1(VALU_DEP_2)
	v_dual_add_f32 v253, v7, v11 :: v_dual_mul_f32 v7, v97, v113
	v_dual_mul_f32 v11, v99, v115 :: v_dual_mov_b32 v113, v234
	v_fma_f32 v7, v96, v112, -v7
	s_delay_alu instid0(VALU_DEP_2) | instskip(NEXT) | instid1(VALU_DEP_2)
	v_dual_fma_f32 v11, v98, v114, -v11 :: v_dual_mov_b32 v112, v235
	v_dual_mov_b32 v114, v239 :: v_dual_add_f32 v7, 0, v7
	s_delay_alu instid0(VALU_DEP_1) | instskip(NEXT) | instid1(VALU_DEP_2)
	v_pk_mul_f32 v[112:113], v[112:113], v[114:115] op_sel_hi:[1,0]
	v_dual_add_f32 v7, v7, v11 :: v_dual_mul_f32 v11, v101, v117
	s_delay_alu instid0(VALU_DEP_2) | instskip(SKIP_1) | instid1(VALU_DEP_1)
	v_pk_fma_f32 v[114:115], v[234:235], v[238:239], v[112:113] neg_lo:[0,0,1] neg_hi:[0,0,1]
	v_pk_fma_f32 v[112:113], v[234:235], v[238:239], v[112:113] op_sel_hi:[1,0,1]
	v_dual_fma_f32 v11, v100, v116, -v11 :: v_dual_mov_b32 v115, v113
	s_delay_alu instid0(VALU_DEP_1) | instskip(SKIP_1) | instid1(VALU_DEP_1)
	v_add_f32_e32 v7, v7, v11
	v_mul_f32_e32 v11, v103, v119
	v_fma_f32 v11, v102, v118, -v11
	s_delay_alu instid0(VALU_DEP_1) | instskip(NEXT) | instid1(VALU_DEP_1)
	v_dual_add_f32 v7, v7, v11 :: v_dual_mul_f32 v11, v105, v121
	v_fma_f32 v11, v104, v120, -v11
	s_delay_alu instid0(VALU_DEP_1) | instskip(SKIP_1) | instid1(VALU_DEP_1)
	v_add_f32_e32 v7, v7, v11
	v_mul_f32_e32 v11, v107, v123
	v_fma_f32 v11, v106, v122, -v11
	s_delay_alu instid0(VALU_DEP_1) | instskip(NEXT) | instid1(VALU_DEP_1)
	v_dual_add_f32 v7, v7, v11 :: v_dual_mul_f32 v11, v109, v125
	v_fma_f32 v11, v108, v124, -v11
	ds_load_b128 v[96:99], v5 offset:704
	ds_load_b128 v[100:103], v5 offset:720
	;; [unrolled: 1-line block ×3, first 2 shown]
	ds_load_b64 v[108:109], v5 offset:752
	v_add_f32_e32 v7, v7, v11
	v_mul_f32_e32 v11, v111, v127
	s_delay_alu instid0(VALU_DEP_1) | instskip(NEXT) | instid1(VALU_DEP_1)
	v_fma_f32 v11, v110, v126, -v11
	v_dual_add_f32 v7, v7, v11 :: v_dual_mul_f32 v11, v129, v133
	s_wait_loadcnt_dscnt 0x303
	v_pk_mul_f32 v[112:113], v[96:97], v[240:241] op_sel:[1,1] op_sel_hi:[0,1]
	s_delay_alu instid0(VALU_DEP_2) | instskip(NEXT) | instid1(VALU_DEP_1)
	v_fma_f32 v11, v128, v132, -v11
	v_add_f32_e32 v7, v7, v11
	v_mul_f32_e32 v11, v131, v135
	s_delay_alu instid0(VALU_DEP_1) | instskip(NEXT) | instid1(VALU_DEP_1)
	v_fma_f32 v11, v130, v134, -v11
	v_dual_add_f32 v7, v7, v11 :: v_dual_mul_f32 v11, v137, v141
	s_delay_alu instid0(VALU_DEP_1) | instskip(NEXT) | instid1(VALU_DEP_1)
	v_fma_f32 v11, v136, v140, -v11
	v_add_f32_e32 v7, v7, v11
	v_mul_f32_e32 v11, v139, v143
	s_delay_alu instid0(VALU_DEP_1) | instskip(NEXT) | instid1(VALU_DEP_1)
	v_fma_f32 v11, v138, v142, -v11
	v_dual_add_f32 v7, v7, v11 :: v_dual_mul_f32 v11, v145, v149
	s_delay_alu instid0(VALU_DEP_1) | instskip(NEXT) | instid1(VALU_DEP_1)
	;; [unrolled: 7-line block ×12, first 2 shown]
	v_fma_f32 v11, v224, v228, -v11
	v_add_f32_e32 v252, v7, v11
	v_mul_f32_e32 v7, v227, v231
	s_delay_alu instid0(VALU_DEP_1) | instskip(SKIP_3) | instid1(VALU_DEP_2)
	v_dual_fma_f32 v254, v226, v230, -v7 :: v_dual_mul_f32 v7, v233, v237
	s_set_vgpr_msb 64                       ;  msbs: dst=1 src0=0 src1=0 src2=0
	v_mul_f32_e32 v1 /*v257*/, v232, v237
	s_set_vgpr_msb 0                        ;  msbs: dst=0 src0=0 src1=0 src2=0
	v_pk_add_f32 v[110:111], v[252:253], v[254:255]
	s_set_vgpr_msb 64                       ;  msbs: dst=1 src0=0 src1=0 src2=0
	v_fma_f32 v0 /*v256*/, v232, v236, -v7
	v_fmac_f32_e32 v1 /*v257*/, v233, v236
	s_set_vgpr_msb 4                        ;  msbs: dst=0 src0=0 src1=1 src2=0
	s_delay_alu instid0(VALU_DEP_1) | instskip(SKIP_1) | instid1(VALU_DEP_1)
	v_pk_add_f32 v[110:111], v[110:111], v[0:1] /*v[256:257]*/
	s_set_vgpr_msb 0                        ;  msbs: dst=0 src0=0 src1=0 src2=0
	v_pk_add_f32 v[110:111], v[110:111], v[114:115]
	v_pk_fma_f32 v[114:115], v[96:97], v[240:241], v[112:113] neg_lo:[0,0,1] neg_hi:[0,0,1]
	v_pk_fma_f32 v[96:97], v[96:97], v[240:241], v[112:113] op_sel_hi:[1,0,1]
	s_delay_alu instid0(VALU_DEP_1) | instskip(NEXT) | instid1(VALU_DEP_1)
	v_dual_mov_b32 v112, v243 :: v_dual_mov_b32 v115, v97
	v_pk_add_f32 v[96:97], v[110:111], v[114:115]
	v_dual_mov_b32 v110, v99 :: v_dual_mov_b32 v111, v98
	s_delay_alu instid0(VALU_DEP_1) | instskip(NEXT) | instid1(VALU_DEP_1)
	v_pk_mul_f32 v[110:111], v[110:111], v[112:113] op_sel_hi:[1,0]
	v_pk_fma_f32 v[112:113], v[98:99], v[242:243], v[110:111] neg_lo:[0,0,1] neg_hi:[0,0,1]
	v_pk_fma_f32 v[98:99], v[98:99], v[242:243], v[110:111] op_sel_hi:[1,0,1]
	s_delay_alu instid0(VALU_DEP_1) | instskip(SKIP_2) | instid1(VALU_DEP_2)
	v_mov_b32_e32 v113, v99
	s_wait_loadcnt_dscnt 0x202
	v_pk_mul_f32 v[98:99], v[100:101], v[244:245] op_sel:[1,1] op_sel_hi:[0,1]
	v_pk_add_f32 v[96:97], v[96:97], v[112:113]
	s_delay_alu instid0(VALU_DEP_2) | instskip(SKIP_2) | instid1(VALU_DEP_2)
	v_pk_fma_f32 v[110:111], v[100:101], v[244:245], v[98:99] neg_lo:[0,0,1] neg_hi:[0,0,1]
	v_pk_fma_f32 v[98:99], v[100:101], v[244:245], v[98:99] op_sel_hi:[1,0,1]
	v_dual_mov_b32 v98, v103 :: v_dual_mov_b32 v100, v247
	v_dual_mov_b32 v111, v99 :: v_dual_mov_b32 v99, v102
	s_delay_alu instid0(VALU_DEP_1) | instskip(NEXT) | instid1(VALU_DEP_2)
	v_pk_add_f32 v[96:97], v[96:97], v[110:111]
	v_pk_mul_f32 v[98:99], v[98:99], v[100:101] op_sel_hi:[1,0]
	s_delay_alu instid0(VALU_DEP_1) | instskip(SKIP_1) | instid1(VALU_DEP_1)
	v_pk_fma_f32 v[100:101], v[102:103], v[246:247], v[98:99] neg_lo:[0,0,1] neg_hi:[0,0,1]
	v_pk_fma_f32 v[98:99], v[102:103], v[246:247], v[98:99] op_sel_hi:[1,0,1]
	v_mov_b32_e32 v101, v99
	s_wait_loadcnt_dscnt 0x101
	v_pk_mul_f32 v[98:99], v[104:105], v[248:249] op_sel:[1,1] op_sel_hi:[0,1]
	s_delay_alu instid0(VALU_DEP_2) | instskip(NEXT) | instid1(VALU_DEP_2)
	v_pk_add_f32 v[96:97], v[96:97], v[100:101]
	v_pk_fma_f32 v[100:101], v[104:105], v[248:249], v[98:99] neg_lo:[0,0,1] neg_hi:[0,0,1]
	v_pk_fma_f32 v[98:99], v[104:105], v[248:249], v[98:99] op_sel_hi:[1,0,1]
	s_delay_alu instid0(VALU_DEP_1) | instskip(SKIP_1) | instid1(VALU_DEP_2)
	v_dual_mov_b32 v98, v107 :: v_dual_mov_b32 v101, v99
	v_mov_b32_e32 v99, v106
	v_pk_add_f32 v[96:97], v[96:97], v[100:101]
	v_mov_b32_e32 v100, v251
	s_delay_alu instid0(VALU_DEP_1) | instskip(NEXT) | instid1(VALU_DEP_1)
	v_pk_mul_f32 v[98:99], v[98:99], v[100:101] op_sel_hi:[1,0]
	v_pk_fma_f32 v[100:101], v[106:107], v[250:251], v[98:99] neg_lo:[0,0,1] neg_hi:[0,0,1]
	v_pk_fma_f32 v[98:99], v[106:107], v[250:251], v[98:99] op_sel_hi:[1,0,1]
	s_delay_alu instid0(VALU_DEP_1)
	v_mov_b32_e32 v101, v99
	s_wait_loadcnt_dscnt 0x0
	s_set_vgpr_msb 4                        ;  msbs: dst=0 src0=0 src1=1 src2=0
	v_pk_mul_f32 v[98:99], v[108:109], v[2:3] /*v[258:259]*/ op_sel:[1,1] op_sel_hi:[0,1]
	s_set_vgpr_msb 0                        ;  msbs: dst=0 src0=0 src1=0 src2=0
	v_pk_add_f32 v[96:97], v[96:97], v[100:101]
	s_set_vgpr_msb 4                        ;  msbs: dst=0 src0=0 src1=1 src2=0
	s_delay_alu instid0(VALU_DEP_2) | instskip(SKIP_1) | instid1(VALU_DEP_1)
	v_pk_fma_f32 v[100:101], v[108:109], v[2:3] /*v[258:259]*/, v[98:99] neg_lo:[0,0,1] neg_hi:[0,0,1]
	v_pk_fma_f32 v[98:99], v[108:109], v[2:3] /*v[258:259]*/, v[98:99] op_sel_hi:[1,0,1]
	v_mov_b32_e32 v101, v99
	scratch_load_b64 v[98:99], off, off offset:24
	s_set_vgpr_msb 0                        ;  msbs: dst=0 src0=0 src1=0 src2=0
	v_pk_add_f32 v[96:97], v[96:97], v[100:101]
	s_wait_loadcnt 0x0
	s_delay_alu instid0(VALU_DEP_1)
	v_pk_add_f32 v[96:97], v[98:99], v[96:97] neg_lo:[0,1] neg_hi:[0,1]
	scratch_store_b64 off, v[96:97], off offset:24
	s_wait_xcnt 0x0
	v_cmpx_lt_u32_e32 2, v0
	s_cbranch_execz .LBB46_291
; %bb.290:
	scratch_load_b64 v[96:97], off, off offset:16
	v_mov_b64_e32 v[98:99], 0
	scratch_store_b64 off, v[98:99], off offset:16
	s_wait_loadcnt 0x0
	ds_store_b64 v1, v[96:97]
.LBB46_291:
	s_wait_xcnt 0x0
	s_or_b32 exec_lo, exec_lo, s0
	s_wait_storecnt_dscnt 0x0
	s_barrier_signal -1
	s_barrier_wait -1
	s_clause 0xf
	scratch_load_b128 v[100:103], off, off offset:24
	scratch_load_b128 v[108:111], off, off offset:40
	scratch_load_b128 v[116:119], off, off offset:56
	scratch_load_b128 v[124:127], off, off offset:72
	scratch_load_b128 v[132:135], off, off offset:88
	scratch_load_b128 v[140:143], off, off offset:104
	scratch_load_b128 v[148:151], off, off offset:120
	scratch_load_b128 v[156:159], off, off offset:136
	scratch_load_b128 v[164:167], off, off offset:152
	scratch_load_b128 v[172:175], off, off offset:168
	scratch_load_b128 v[180:183], off, off offset:184
	scratch_load_b128 v[188:191], off, off offset:200
	scratch_load_b128 v[196:199], off, off offset:216
	scratch_load_b128 v[204:207], off, off offset:232
	scratch_load_b128 v[212:215], off, off offset:248
	scratch_load_b128 v[220:223], off, off offset:264
	ds_load_2addr_b64 v[96:99], v5 offset0:51 offset1:52
	ds_load_2addr_b64 v[104:107], v5 offset0:53 offset1:54
	s_clause 0x1
	scratch_load_b128 v[228:231], off, off offset:280
	scratch_load_b128 v[236:239], off, off offset:296
	ds_load_2addr_b64 v[112:115], v5 offset0:55 offset1:56
	ds_load_2addr_b64 v[120:123], v5 offset0:57 offset1:58
	;; [unrolled: 1-line block ×16, first 2 shown]
	s_clause 0x3
	scratch_load_b128 v[240:243], off, off offset:312
	scratch_load_b128 v[244:247], off, off offset:328
	;; [unrolled: 1-line block ×4, first 2 shown]
	s_mov_b32 s0, exec_lo
	s_wait_loadcnt_dscnt 0x1511
	v_dual_mul_f32 v7, v96, v101 :: v_dual_mul_f32 v11, v98, v103
	s_delay_alu instid0(VALU_DEP_1) | instskip(NEXT) | instid1(VALU_DEP_1)
	v_fmac_f32_e32 v7, v97, v100
	v_dual_fmac_f32 v11, v99, v102 :: v_dual_add_f32 v7, 0, v7
	s_wait_loadcnt_dscnt 0x1410
	s_delay_alu instid0(VALU_DEP_1)
	v_dual_add_f32 v7, v7, v11 :: v_dual_mul_f32 v11, v104, v109
	s_wait_loadcnt_dscnt 0x40c
	s_set_vgpr_msb 64                       ;  msbs: dst=1 src0=0 src1=0 src2=0
	v_dual_mul_f32 v3 /*v259*/, v232, v237 :: v_dual_mul_f32 v5 /*v261*/, v234, v239
	s_set_vgpr_msb 0                        ;  msbs: dst=0 src0=0 src1=0 src2=0
	v_fmac_f32_e32 v11, v105, v108
	s_set_vgpr_msb 64                       ;  msbs: dst=1 src0=0 src1=0 src2=0
	s_delay_alu instid0(VALU_DEP_2) | instskip(SKIP_1) | instid1(VALU_DEP_2)
	v_dual_fmac_f32 v3 /*v259*/, v233, v236 :: v_dual_fmac_f32 v5 /*v261*/, v235, v238
	s_set_vgpr_msb 0                        ;  msbs: dst=0 src0=0 src1=0 src2=0
	v_add_f32_e32 v7, v7, v11
	v_mul_f32_e32 v11, v106, v111
	s_delay_alu instid0(VALU_DEP_1) | instskip(NEXT) | instid1(VALU_DEP_1)
	v_fmac_f32_e32 v11, v107, v110
	v_dual_add_f32 v7, v7, v11 :: v_dual_mul_f32 v11, v112, v117
	s_delay_alu instid0(VALU_DEP_1) | instskip(NEXT) | instid1(VALU_DEP_1)
	v_fmac_f32_e32 v11, v113, v116
	v_add_f32_e32 v7, v7, v11
	v_mul_f32_e32 v11, v114, v119
	s_delay_alu instid0(VALU_DEP_1) | instskip(NEXT) | instid1(VALU_DEP_1)
	v_fmac_f32_e32 v11, v115, v118
	v_dual_add_f32 v7, v7, v11 :: v_dual_mul_f32 v11, v120, v125
	s_delay_alu instid0(VALU_DEP_1) | instskip(NEXT) | instid1(VALU_DEP_1)
	v_fmac_f32_e32 v11, v121, v124
	v_add_f32_e32 v7, v7, v11
	v_mul_f32_e32 v11, v122, v127
	s_delay_alu instid0(VALU_DEP_1) | instskip(SKIP_1) | instid1(VALU_DEP_1)
	v_fmac_f32_e32 v11, v123, v126
	s_wait_dscnt 0xb
	v_dual_add_f32 v7, v7, v11 :: v_dual_mul_f32 v11, v128, v133
	s_delay_alu instid0(VALU_DEP_1) | instskip(NEXT) | instid1(VALU_DEP_1)
	v_fmac_f32_e32 v11, v129, v132
	v_add_f32_e32 v7, v7, v11
	v_mul_f32_e32 v11, v130, v135
	s_delay_alu instid0(VALU_DEP_1) | instskip(SKIP_1) | instid1(VALU_DEP_1)
	v_fmac_f32_e32 v11, v131, v134
	s_wait_dscnt 0xa
	;; [unrolled: 8-line block ×12, first 2 shown]
	v_dual_add_f32 v7, v7, v11 :: v_dual_mul_f32 v11, v216, v221
	s_delay_alu instid0(VALU_DEP_1) | instskip(NEXT) | instid1(VALU_DEP_1)
	v_fmac_f32_e32 v11, v217, v220
	v_add_f32_e32 v7, v7, v11
	v_mul_f32_e32 v11, v218, v223
	s_delay_alu instid0(VALU_DEP_1) | instskip(NEXT) | instid1(VALU_DEP_1)
	v_fmac_f32_e32 v11, v219, v222
	v_dual_add_f32 v7, v7, v11 :: v_dual_mul_f32 v11, v224, v229
	s_delay_alu instid0(VALU_DEP_1) | instskip(NEXT) | instid1(VALU_DEP_1)
	v_fmac_f32_e32 v11, v225, v228
	v_add_f32_e32 v7, v7, v11
	v_mul_f32_e32 v11, v226, v231
	s_delay_alu instid0(VALU_DEP_1) | instskip(SKIP_1) | instid1(VALU_DEP_1)
	v_fmac_f32_e32 v11, v227, v230
	s_set_vgpr_msb 64                       ;  msbs: dst=1 src0=0 src1=0 src2=0
	v_add_f32_e32 v1 /*v257*/, v7, v11
	s_set_vgpr_msb 0                        ;  msbs: dst=0 src0=0 src1=0 src2=0
	v_dual_mul_f32 v7, v97, v101 :: v_dual_mul_f32 v11, v99, v103
	s_delay_alu instid0(VALU_DEP_1) | instskip(NEXT) | instid1(VALU_DEP_1)
	v_fma_f32 v7, v96, v100, -v7
	v_dual_fma_f32 v11, v98, v102, -v11 :: v_dual_add_f32 v7, 0, v7
	s_delay_alu instid0(VALU_DEP_1) | instskip(NEXT) | instid1(VALU_DEP_1)
	v_dual_add_f32 v7, v7, v11 :: v_dual_mul_f32 v11, v105, v109
	v_fma_f32 v11, v104, v108, -v11
	s_delay_alu instid0(VALU_DEP_1) | instskip(SKIP_1) | instid1(VALU_DEP_1)
	v_add_f32_e32 v7, v7, v11
	v_mul_f32_e32 v11, v107, v111
	v_fma_f32 v11, v106, v110, -v11
	ds_load_2addr_b64 v[96:99], v5 offset0:87 offset1:88
	ds_load_2addr_b64 v[100:103], v5 offset0:89 offset1:90
	;; [unrolled: 1-line block ×4, first 2 shown]
	v_dual_add_f32 v7, v7, v11 :: v_dual_mul_f32 v11, v113, v117
	s_delay_alu instid0(VALU_DEP_1) | instskip(NEXT) | instid1(VALU_DEP_1)
	v_fma_f32 v11, v112, v116, -v11
	v_add_f32_e32 v7, v7, v11
	v_mul_f32_e32 v11, v115, v119
	s_delay_alu instid0(VALU_DEP_1) | instskip(SKIP_2) | instid1(VALU_DEP_2)
	v_fma_f32 v11, v114, v118, -v11
	s_wait_loadcnt_dscnt 0x303
	v_pk_mul_f32 v[114:115], v[96:97], v[240:241] op_sel:[1,1] op_sel_hi:[0,1]
	v_dual_add_f32 v7, v7, v11 :: v_dual_mul_f32 v11, v121, v125
	s_delay_alu instid0(VALU_DEP_2) | instskip(SKIP_1) | instid1(VALU_DEP_3)
	v_pk_fma_f32 v[116:117], v[96:97], v[240:241], v[114:115] neg_lo:[0,0,1] neg_hi:[0,0,1]
	v_pk_fma_f32 v[96:97], v[96:97], v[240:241], v[114:115] op_sel_hi:[1,0,1]
	v_dual_mov_b32 v114, v243 :: v_dual_fma_f32 v11, v120, v124, -v11
	s_delay_alu instid0(VALU_DEP_1) | instskip(SKIP_1) | instid1(VALU_DEP_1)
	v_dual_mov_b32 v117, v97 :: v_dual_add_f32 v7, v7, v11
	v_mul_f32_e32 v11, v123, v127
	v_fma_f32 v11, v122, v126, -v11
	s_delay_alu instid0(VALU_DEP_1) | instskip(NEXT) | instid1(VALU_DEP_1)
	v_dual_add_f32 v7, v7, v11 :: v_dual_mul_f32 v11, v129, v133
	v_fma_f32 v11, v128, v132, -v11
	s_delay_alu instid0(VALU_DEP_1) | instskip(SKIP_1) | instid1(VALU_DEP_1)
	v_add_f32_e32 v7, v7, v11
	v_mul_f32_e32 v11, v131, v135
	v_fma_f32 v11, v130, v134, -v11
	s_delay_alu instid0(VALU_DEP_1) | instskip(NEXT) | instid1(VALU_DEP_1)
	v_dual_add_f32 v7, v7, v11 :: v_dual_mul_f32 v11, v137, v141
	v_fma_f32 v11, v136, v140, -v11
	s_delay_alu instid0(VALU_DEP_1) | instskip(SKIP_1) | instid1(VALU_DEP_1)
	v_add_f32_e32 v7, v7, v11
	;; [unrolled: 7-line block ×13, first 2 shown]
	v_mul_f32_e32 v11, v227, v231
	v_fma_f32 v11, v226, v230, -v11
	s_set_vgpr_msb 64                       ;  msbs: dst=1 src0=0 src1=0 src2=0
	s_delay_alu instid0(VALU_DEP_1) | instskip(SKIP_3) | instid1(VALU_DEP_1)
	v_add_f32_e32 v0 /*v256*/, v7, v11
	s_set_vgpr_msb 0                        ;  msbs: dst=0 src0=0 src1=0 src2=0
	v_mul_f32_e32 v7, v233, v237
	s_set_vgpr_msb 64                       ;  msbs: dst=1 src0=0 src1=0 src2=0
	v_fma_f32 v2 /*v258*/, v232, v236, -v7
	s_set_vgpr_msb 0                        ;  msbs: dst=0 src0=0 src1=0 src2=0
	v_mul_f32_e32 v7, v235, v239
	s_set_vgpr_msb 5                        ;  msbs: dst=0 src0=1 src1=1 src2=0
	s_delay_alu instid0(VALU_DEP_2) | instskip(SKIP_1) | instid1(VALU_DEP_2)
	v_pk_add_f32 v[112:113], v[0:1] /*v[256:257]*/, v[2:3] /*v[258:259]*/
	s_set_vgpr_msb 64                       ;  msbs: dst=1 src0=0 src1=0 src2=0
	v_fma_f32 v4 /*v260*/, v234, v238, -v7
	s_set_vgpr_msb 4                        ;  msbs: dst=0 src0=0 src1=1 src2=0
	s_delay_alu instid0(VALU_DEP_1) | instskip(SKIP_1) | instid1(VALU_DEP_1)
	v_pk_add_f32 v[112:113], v[112:113], v[4:5] /*v[260:261]*/
	s_set_vgpr_msb 0                        ;  msbs: dst=0 src0=0 src1=0 src2=0
	v_pk_add_f32 v[96:97], v[112:113], v[116:117]
	v_dual_mov_b32 v112, v99 :: v_dual_mov_b32 v113, v98
	s_delay_alu instid0(VALU_DEP_1) | instskip(NEXT) | instid1(VALU_DEP_1)
	v_pk_mul_f32 v[112:113], v[112:113], v[114:115] op_sel_hi:[1,0]
	v_pk_fma_f32 v[114:115], v[98:99], v[242:243], v[112:113] neg_lo:[0,0,1] neg_hi:[0,0,1]
	v_pk_fma_f32 v[98:99], v[98:99], v[242:243], v[112:113] op_sel_hi:[1,0,1]
	s_delay_alu instid0(VALU_DEP_1) | instskip(SKIP_2) | instid1(VALU_DEP_2)
	v_mov_b32_e32 v115, v99
	s_wait_loadcnt_dscnt 0x202
	v_pk_mul_f32 v[98:99], v[100:101], v[244:245] op_sel:[1,1] op_sel_hi:[0,1]
	v_pk_add_f32 v[96:97], v[96:97], v[114:115]
	s_delay_alu instid0(VALU_DEP_2) | instskip(SKIP_2) | instid1(VALU_DEP_2)
	v_pk_fma_f32 v[112:113], v[100:101], v[244:245], v[98:99] neg_lo:[0,0,1] neg_hi:[0,0,1]
	v_pk_fma_f32 v[98:99], v[100:101], v[244:245], v[98:99] op_sel_hi:[1,0,1]
	v_dual_mov_b32 v98, v103 :: v_dual_mov_b32 v100, v247
	v_dual_mov_b32 v113, v99 :: v_dual_mov_b32 v99, v102
	s_delay_alu instid0(VALU_DEP_1) | instskip(NEXT) | instid1(VALU_DEP_2)
	v_pk_add_f32 v[96:97], v[96:97], v[112:113]
	v_pk_mul_f32 v[98:99], v[98:99], v[100:101] op_sel_hi:[1,0]
	s_delay_alu instid0(VALU_DEP_1) | instskip(SKIP_1) | instid1(VALU_DEP_1)
	v_pk_fma_f32 v[100:101], v[102:103], v[246:247], v[98:99] neg_lo:[0,0,1] neg_hi:[0,0,1]
	v_pk_fma_f32 v[98:99], v[102:103], v[246:247], v[98:99] op_sel_hi:[1,0,1]
	v_mov_b32_e32 v101, v99
	s_wait_loadcnt_dscnt 0x101
	v_pk_mul_f32 v[98:99], v[104:105], v[248:249] op_sel:[1,1] op_sel_hi:[0,1]
	s_delay_alu instid0(VALU_DEP_2) | instskip(NEXT) | instid1(VALU_DEP_2)
	v_pk_add_f32 v[96:97], v[96:97], v[100:101]
	v_pk_fma_f32 v[100:101], v[104:105], v[248:249], v[98:99] neg_lo:[0,0,1] neg_hi:[0,0,1]
	v_pk_fma_f32 v[98:99], v[104:105], v[248:249], v[98:99] op_sel_hi:[1,0,1]
	s_delay_alu instid0(VALU_DEP_1) | instskip(SKIP_1) | instid1(VALU_DEP_2)
	v_dual_mov_b32 v98, v107 :: v_dual_mov_b32 v101, v99
	v_mov_b32_e32 v99, v106
	v_pk_add_f32 v[96:97], v[96:97], v[100:101]
	v_mov_b32_e32 v100, v251
	s_delay_alu instid0(VALU_DEP_1) | instskip(NEXT) | instid1(VALU_DEP_1)
	v_pk_mul_f32 v[98:99], v[98:99], v[100:101] op_sel_hi:[1,0]
	v_pk_fma_f32 v[100:101], v[106:107], v[250:251], v[98:99] neg_lo:[0,0,1] neg_hi:[0,0,1]
	v_pk_fma_f32 v[98:99], v[106:107], v[250:251], v[98:99] op_sel_hi:[1,0,1]
	s_delay_alu instid0(VALU_DEP_1) | instskip(SKIP_2) | instid1(VALU_DEP_2)
	v_mov_b32_e32 v101, v99
	s_wait_loadcnt_dscnt 0x0
	v_pk_mul_f32 v[98:99], v[108:109], v[252:253] op_sel:[1,1] op_sel_hi:[0,1]
	v_pk_add_f32 v[96:97], v[96:97], v[100:101]
	s_delay_alu instid0(VALU_DEP_2) | instskip(SKIP_1) | instid1(VALU_DEP_1)
	v_pk_fma_f32 v[100:101], v[108:109], v[252:253], v[98:99] neg_lo:[0,0,1] neg_hi:[0,0,1]
	v_pk_fma_f32 v[98:99], v[108:109], v[252:253], v[98:99] op_sel_hi:[1,0,1]
	v_dual_mov_b32 v98, v111 :: v_dual_mov_b32 v101, v99
	v_mov_b32_e32 v99, v110
	s_delay_alu instid0(VALU_DEP_2) | instskip(SKIP_1) | instid1(VALU_DEP_1)
	v_pk_add_f32 v[96:97], v[96:97], v[100:101]
	v_mov_b32_e32 v100, v255
	v_pk_mul_f32 v[98:99], v[98:99], v[100:101] op_sel_hi:[1,0]
	s_delay_alu instid0(VALU_DEP_1) | instskip(SKIP_1) | instid1(VALU_DEP_1)
	v_pk_fma_f32 v[100:101], v[110:111], v[254:255], v[98:99] neg_lo:[0,0,1] neg_hi:[0,0,1]
	v_pk_fma_f32 v[98:99], v[110:111], v[254:255], v[98:99] op_sel_hi:[1,0,1]
	v_mov_b32_e32 v101, v99
	scratch_load_b64 v[98:99], off, off offset:16
	v_pk_add_f32 v[96:97], v[96:97], v[100:101]
	s_wait_loadcnt 0x0
	s_delay_alu instid0(VALU_DEP_1)
	v_pk_add_f32 v[96:97], v[98:99], v[96:97] neg_lo:[0,1] neg_hi:[0,1]
	scratch_store_b64 off, v[96:97], off offset:16
	s_wait_xcnt 0x0
	v_cmpx_lt_u32_e32 1, v0
	s_cbranch_execz .LBB46_293
; %bb.292:
	scratch_load_b64 v[96:97], off, off offset:8
	v_mov_b64_e32 v[98:99], 0
	scratch_store_b64 off, v[98:99], off offset:8
	s_wait_loadcnt 0x0
	ds_store_b64 v1, v[96:97]
.LBB46_293:
	s_wait_xcnt 0x0
	s_or_b32 exec_lo, exec_lo, s0
	s_wait_storecnt_dscnt 0x0
	s_barrier_signal -1
	s_barrier_wait -1
	s_clause 0x18
	scratch_load_b128 v[98:101], off, off offset:16
	scratch_load_b128 v[102:105], off, off offset:32
	;; [unrolled: 1-line block ×22, first 2 shown]
	s_set_vgpr_msb 64                       ;  msbs: dst=1 src0=0 src1=0 src2=0
	scratch_load_b64 v[18:19] /*v[274:275]*/, off, off offset:368
	scratch_load_b64 v[20:21] /*v[276:277]*/, off, off offset:8
	s_set_vgpr_msb 0                        ;  msbs: dst=0 src0=0 src1=0 src2=0
	v_dual_mov_b32 v96, 0 :: v_dual_ashrrev_i32 v51, 31, v50
	ds_load_b128 v[186:189], v96 offset:400
	ds_load_b128 v[190:193], v96 offset:416
	;; [unrolled: 1-line block ×18, first 2 shown]
	s_set_vgpr_msb 64                       ;  msbs: dst=1 src0=0 src1=0 src2=0
	ds_load_b128 v[2:5] /*v[258:261]*/, v96 offset:624
	ds_load_b128 v[6:9] /*v[262:265]*/, v96 offset:640
	;; [unrolled: 1-line block ×4, first 2 shown]
	ds_load_b64 v[22:23] /*v[278:279]*/, v96 offset:752
	s_wait_dscnt 0x14
	v_dual_mov_b32 v24 /*v280*/, v197 :: v_dual_mov_b32 v25 /*v281*/, v196
	s_wait_dscnt 0x11
	v_dual_mov_b32 v26 /*v282*/, v209 :: v_dual_mov_b32 v27 /*v283*/, v208
	;; [unrolled: 2-line block ×4, first 2 shown]
	s_set_vgpr_msb 0                        ;  msbs: dst=0 src0=0 src1=0 src2=0
	v_dual_ashrrev_i32 v5, 31, v4 :: v_dual_ashrrev_i32 v7, 31, v6
	v_dual_ashrrev_i32 v11, 31, v10 :: v_dual_ashrrev_i32 v13, 31, v12
	v_dual_ashrrev_i32 v15, 31, v14 :: v_dual_ashrrev_i32 v17, 31, v16
	v_dual_ashrrev_i32 v19, 31, v18 :: v_dual_ashrrev_i32 v21, 31, v20
	v_dual_ashrrev_i32 v23, 31, v22 :: v_dual_ashrrev_i32 v25, 31, v24
	v_dual_ashrrev_i32 v27, 31, v26 :: v_dual_ashrrev_i32 v29, 31, v28
	v_dual_ashrrev_i32 v31, 31, v30 :: v_dual_ashrrev_i32 v33, 31, v32
	v_dual_ashrrev_i32 v35, 31, v34 :: v_dual_ashrrev_i32 v37, 31, v36
	v_dual_ashrrev_i32 v39, 31, v38 :: v_dual_ashrrev_i32 v41, 31, v40
	v_dual_ashrrev_i32 v43, 31, v42 :: v_dual_ashrrev_i32 v45, 31, v44
	v_dual_ashrrev_i32 v47, 31, v46 :: v_dual_ashrrev_i32 v49, 31, v48
	v_dual_ashrrev_i32 v53, 31, v52 :: v_dual_ashrrev_i32 v55, 31, v54
	v_dual_ashrrev_i32 v57, 31, v56 :: v_dual_ashrrev_i32 v59, 31, v58
	v_dual_ashrrev_i32 v61, 31, v60 :: v_dual_ashrrev_i32 v63, 31, v62
	v_dual_ashrrev_i32 v65, 31, v64 :: v_dual_ashrrev_i32 v67, 31, v66
	v_dual_ashrrev_i32 v69, 31, v68 :: v_dual_ashrrev_i32 v71, 31, v70
	s_mov_b32 s0, exec_lo
	s_wait_loadcnt 0x17
	v_dual_mul_f32 v73, v186, v99 :: v_dual_mul_f32 v75, v188, v101
	v_dual_mul_f32 v77, v187, v99 :: v_dual_mul_f32 v79, v189, v101
	s_wait_loadcnt 0x16
	v_dual_mul_f32 v81, v190, v103 :: v_dual_mul_f32 v83, v192, v105
	s_delay_alu instid0(VALU_DEP_3)
	v_fmac_f32_e32 v73, v187, v98
	s_wait_loadcnt_dscnt 0xf0a
	s_set_vgpr_msb 64                       ;  msbs: dst=1 src0=0 src1=0 src2=0
	v_dual_mul_f32 v34 /*v290*/, v232, v129 :: v_dual_mul_f32 v35 /*v291*/, v234, v131
	s_set_vgpr_msb 0                        ;  msbs: dst=0 src0=0 src1=0 src2=0
	v_dual_mul_f32 v129, v233, v129 :: v_dual_fma_f32 v77, v186, v98, -v77
	v_dual_fmac_f32 v75, v189, v100 :: v_dual_add_f32 v73, 0, v73
	v_dual_mul_f32 v89, v191, v103 :: v_dual_mul_f32 v91, v193, v105
	s_wait_loadcnt_dscnt 0x904
	s_set_vgpr_msb 1                        ;  msbs: dst=0 src0=1 src1=0 src2=0
	v_mul_f32_e32 v98, v2 /*v258*/, v155
	s_set_vgpr_msb 0                        ;  msbs: dst=0 src0=0 src1=0 src2=0
	v_dual_fma_f32 v79, v188, v100, -v79 :: v_dual_add_f32 v77, 0, v77
	v_dual_fmac_f32 v81, v191, v102 :: v_dual_add_f32 v73, v73, v75
	v_dual_mul_f32 v85, v198, v107 :: v_dual_mul_f32 v87, v200, v109
	s_delay_alu instid0(VALU_DEP_3) | instskip(SKIP_1) | instid1(VALU_DEP_4)
	v_dual_fma_f32 v89, v190, v102, -v89 :: v_dual_add_f32 v75, v77, v79
	v_fmac_f32_e32 v83, v193, v104
	v_dual_fma_f32 v79, v192, v104, -v91 :: v_dual_add_f32 v73, v73, v81
	v_dual_mul_f32 v93, v199, v107 :: v_dual_mul_f32 v95, v201, v109
	s_delay_alu instid0(VALU_DEP_4) | instskip(NEXT) | instid1(VALU_DEP_3)
	v_add_f32_e32 v75, v75, v89
	v_dual_fmac_f32 v85, v199, v106 :: v_dual_add_f32 v73, v73, v83
	v_dual_mul_f32 v97, v202, v111 :: v_dual_mul_f32 v101, v204, v113
	s_delay_alu instid0(VALU_DEP_3) | instskip(SKIP_1) | instid1(VALU_DEP_4)
	v_dual_fma_f32 v89, v198, v106, -v93 :: v_dual_add_f32 v75, v75, v79
	v_fmac_f32_e32 v87, v201, v108
	v_dual_fma_f32 v83, v200, v108, -v95 :: v_dual_add_f32 v73, v73, v85
	v_dual_mul_f32 v99, v203, v111 :: v_dual_mul_f32 v107, v205, v113
	s_delay_alu instid0(VALU_DEP_4) | instskip(NEXT) | instid1(VALU_DEP_3)
	v_add_f32_e32 v75, v75, v89
	v_dual_fmac_f32 v97, v203, v110 :: v_dual_add_f32 v73, v73, v87
	v_dual_mul_f32 v103, v214, v115 :: v_dual_mul_f32 v105, v216, v117
	v_dual_mul_f32 v109, v215, v115 :: v_dual_mul_f32 v111, v217, v117
	s_delay_alu instid0(VALU_DEP_4) | instskip(SKIP_1) | instid1(VALU_DEP_4)
	v_dual_fma_f32 v89, v202, v110, -v99 :: v_dual_add_f32 v75, v75, v83
	v_dual_fmac_f32 v101, v205, v112 :: v_dual_fma_f32 v87, v204, v112, -v107
	v_dual_add_f32 v73, v73, v97 :: v_dual_fmac_f32 v103, v215, v114
	s_delay_alu instid0(VALU_DEP_3) | instskip(SKIP_1) | instid1(VALU_DEP_2)
	v_dual_add_f32 v75, v75, v89 :: v_dual_fma_f32 v89, v214, v114, -v109
	v_dual_mul_f32 v113, v218, v119 :: v_dual_mul_f32 v115, v220, v121
	v_dual_add_f32 v73, v73, v101 :: v_dual_add_f32 v75, v75, v87
	s_wait_loadcnt 0x5
	v_dual_mul_f32 v101, v194, v171 :: v_dual_fmac_f32 v105, v217, v116
	s_delay_alu instid0(VALU_DEP_2) | instskip(SKIP_2) | instid1(VALU_DEP_3)
	v_dual_fma_f32 v87, v216, v116, -v111 :: v_dual_add_f32 v73, v73, v103
	v_dual_mul_f32 v117, v219, v119 :: v_dual_mul_f32 v119, v221, v121
	v_add_f32_e32 v75, v75, v89
	v_dual_mul_f32 v89, v235, v131 :: v_dual_add_f32 v73, v73, v105
	v_dual_fmac_f32 v113, v219, v118 :: v_dual_mul_f32 v121, v226, v123
	s_delay_alu instid0(VALU_DEP_4) | instskip(NEXT) | instid1(VALU_DEP_4)
	v_dual_mul_f32 v123, v227, v123 :: v_dual_fma_f32 v91, v218, v118, -v117
	v_dual_add_f32 v75, v75, v87 :: v_dual_fmac_f32 v115, v221, v120
	v_dual_mul_f32 v87, v237, v133 :: v_dual_fma_f32 v93, v220, v120, -v119
	s_delay_alu instid0(VALU_DEP_4)
	v_add_f32_e32 v73, v73, v113
	s_set_vgpr_msb 64                       ;  msbs: dst=1 src0=0 src1=0 src2=0
	v_dual_mul_f32 v32 /*v288*/, v228, v125 :: v_dual_mul_f32 v33 /*v289*/, v230, v127
	s_set_vgpr_msb 0                        ;  msbs: dst=0 src0=0 src1=0 src2=0
	v_dual_mul_f32 v125, v229, v125 :: v_dual_mul_f32 v127, v231, v127
	v_dual_add_f32 v75, v75, v91 :: v_dual_fma_f32 v95, v226, v122, -v123
	v_dual_fmac_f32 v121, v227, v122 :: v_dual_add_f32 v73, v73, v115
	s_set_vgpr_msb 64                       ;  msbs: dst=1 src0=0 src1=0 src2=0
	v_dual_fmac_f32 v32 /*v288*/, v229, v124 :: v_dual_fmac_f32 v33 /*v289*/, v231, v126
	s_set_vgpr_msb 0                        ;  msbs: dst=0 src0=0 src1=0 src2=0
	v_dual_add_f32 v75, v75, v93 :: v_dual_fma_f32 v97, v228, v124, -v125
	v_add_f32_e32 v73, v73, v121
	s_set_vgpr_msb 64                       ;  msbs: dst=1 src0=0 src1=0 src2=0
	v_dual_fmac_f32 v34 /*v290*/, v233, v128 :: v_dual_fmac_f32 v35 /*v291*/, v235, v130
	s_set_vgpr_msb 0                        ;  msbs: dst=0 src0=0 src1=0 src2=0
	v_add_f32_e32 v75, v75, v95
	s_set_vgpr_msb 64                       ;  msbs: dst=1 src0=0 src1=0 src2=0
	v_dual_mul_f32 v36 /*v292*/, v236, v133 :: v_dual_mul_f32 v37 /*v293*/, v238, v135
	s_set_vgpr_msb 4                        ;  msbs: dst=0 src0=0 src1=1 src2=0
	v_add_f32_e32 v73, v73, v32 /*v288*/
	s_set_vgpr_msb 0                        ;  msbs: dst=0 src0=0 src1=0 src2=0
	v_dual_mul_f32 v95, v243, v139 :: v_dual_fma_f32 v102, v230, v126, -v127
	v_dual_add_f32 v75, v75, v97 :: v_dual_fma_f32 v103, v232, v128, -v129
	s_set_vgpr_msb 4                        ;  msbs: dst=0 src0=0 src1=1 src2=0
	v_add_f32_e32 v73, v73, v33 /*v289*/
	s_set_vgpr_msb 0                        ;  msbs: dst=0 src0=0 src1=0 src2=0
	v_mul_f32_e32 v97, v245, v141
	s_set_vgpr_msb 64                       ;  msbs: dst=1 src0=0 src1=0 src2=0
	v_dual_fmac_f32 v36 /*v292*/, v237, v132 :: v_dual_fmac_f32 v37 /*v293*/, v239, v134
	s_set_vgpr_msb 0                        ;  msbs: dst=0 src0=0 src1=0 src2=0
	v_add_f32_e32 v75, v75, v102
	s_set_vgpr_msb 4                        ;  msbs: dst=0 src0=0 src1=1 src2=0
	v_add_f32_e32 v73, v73, v34 /*v290*/
	s_set_vgpr_msb 64                       ;  msbs: dst=1 src0=0 src1=0 src2=0
	v_dual_mul_f32 v38 /*v294*/, v240, v137 :: v_dual_mul_f32 v39 /*v295*/, v242, v139
	s_set_vgpr_msb 0                        ;  msbs: dst=0 src0=0 src1=0 src2=0
	v_dual_mul_f32 v102, v247, v143 :: v_dual_fma_f32 v89, v234, v130, -v89
	s_set_vgpr_msb 4                        ;  msbs: dst=0 src0=0 src1=1 src2=0
	v_add_f32_e32 v73, v73, v35 /*v291*/
	s_set_vgpr_msb 0                        ;  msbs: dst=0 src0=0 src1=0 src2=0
	v_dual_add_f32 v75, v75, v103 :: v_dual_mul_f32 v103, v249, v145
	v_dual_mul_f32 v91, v239, v135 :: v_dual_mul_f32 v93, v241, v137
	s_set_vgpr_msb 4                        ;  msbs: dst=0 src0=0 src1=1 src2=0
	v_add_f32_e32 v73, v73, v36 /*v292*/
	s_set_vgpr_msb 0                        ;  msbs: dst=0 src0=0 src1=0 src2=0
	v_dual_fma_f32 v87, v236, v132, -v87 :: v_dual_add_f32 v75, v75, v89
	s_set_vgpr_msb 64                       ;  msbs: dst=1 src0=0 src1=0 src2=0
	v_dual_fmac_f32 v38 /*v294*/, v241, v136 :: v_dual_fmac_f32 v39 /*v295*/, v243, v138
	s_set_vgpr_msb 4                        ;  msbs: dst=0 src0=0 src1=1 src2=0
	v_add_f32_e32 v73, v73, v37 /*v293*/
	s_set_vgpr_msb 64                       ;  msbs: dst=1 src0=0 src1=0 src2=0
	v_dual_mul_f32 v40 /*v296*/, v244, v141 :: v_dual_mul_f32 v41 /*v297*/, v246, v143
	s_set_vgpr_msb 0                        ;  msbs: dst=0 src0=0 src1=0 src2=0
	v_dual_mul_f32 v89, v251, v147 :: v_dual_fma_f32 v91, v238, v134, -v91
	v_dual_add_f32 v75, v75, v87 :: v_dual_mul_f32 v87, v253, v149
	s_set_vgpr_msb 4                        ;  msbs: dst=0 src0=0 src1=1 src2=0
	v_add_f32_e32 v73, v73, v38 /*v294*/
	s_set_vgpr_msb 0                        ;  msbs: dst=0 src0=0 src1=0 src2=0
	v_fma_f32 v93, v240, v136, -v93
	s_set_vgpr_msb 64                       ;  msbs: dst=1 src0=0 src1=0 src2=0
	v_dual_fmac_f32 v40 /*v296*/, v245, v140 :: v_dual_fmac_f32 v41 /*v297*/, v247, v142
	s_set_vgpr_msb 0                        ;  msbs: dst=0 src0=0 src1=0 src2=0
	v_add_f32_e32 v75, v75, v91
	s_set_vgpr_msb 4                        ;  msbs: dst=0 src0=0 src1=1 src2=0
	v_add_f32_e32 v73, v73, v39 /*v295*/
	s_set_vgpr_msb 64                       ;  msbs: dst=1 src0=0 src1=0 src2=0
	v_dual_mul_f32 v42 /*v298*/, v248, v145 :: v_dual_mul_f32 v43 /*v299*/, v250, v147
	s_set_vgpr_msb 0                        ;  msbs: dst=0 src0=0 src1=0 src2=0
	v_dual_mul_f32 v91, v255, v151 :: v_dual_fma_f32 v95, v242, v138, -v95
	v_dual_add_f32 v75, v75, v93 :: v_dual_fma_f32 v97, v244, v140, -v97
	s_set_vgpr_msb 4                        ;  msbs: dst=0 src0=0 src1=1 src2=0
	v_add_f32_e32 v73, v73, v40 /*v296*/
	s_set_vgpr_msb 64                       ;  msbs: dst=1 src0=0 src1=0 src2=0
	v_dual_fmac_f32 v42 /*v298*/, v249, v144 :: v_dual_fmac_f32 v43 /*v299*/, v251, v146
	s_set_vgpr_msb 0                        ;  msbs: dst=0 src0=0 src1=0 src2=0
	v_dual_add_f32 v75, v75, v95 :: v_dual_fma_f32 v102, v246, v142, -v102
	s_set_vgpr_msb 4                        ;  msbs: dst=0 src0=0 src1=1 src2=0
	v_add_f32_e32 v73, v73, v41 /*v297*/
	s_set_vgpr_msb 64                       ;  msbs: dst=1 src0=0 src1=0 src2=0
	v_dual_mul_f32 v44 /*v300*/, v252, v149 :: v_dual_mul_f32 v45 /*v301*/, v254, v151
	s_set_vgpr_msb 0                        ;  msbs: dst=0 src0=0 src1=0 src2=0
	v_dual_add_f32 v75, v75, v97 :: v_dual_fma_f32 v103, v248, v144, -v103
	s_set_vgpr_msb 4                        ;  msbs: dst=0 src0=0 src1=1 src2=0
	v_add_f32_e32 v73, v73, v42 /*v298*/
	s_set_vgpr_msb 64                       ;  msbs: dst=1 src0=0 src1=0 src2=0
	v_dual_fmac_f32 v44 /*v300*/, v253, v148 :: v_dual_fmac_f32 v45 /*v301*/, v255, v150
	s_set_vgpr_msb 0                        ;  msbs: dst=0 src0=0 src1=0 src2=0
	v_dual_add_f32 v75, v75, v102 :: v_dual_fma_f32 v87, v252, v148, -v87
	s_set_vgpr_msb 4                        ;  msbs: dst=0 src0=0 src1=1 src2=0
	v_add_f32_e32 v73, v73, v43 /*v299*/
	s_set_vgpr_msb 0x41                     ;  msbs: dst=1 src0=1 src1=0 src2=0
	v_mul_f32_e32 v46 /*v302*/, v0 /*v256*/, v153
	s_set_vgpr_msb 0                        ;  msbs: dst=0 src0=0 src1=0 src2=0
	v_dual_fma_f32 v89, v250, v146, -v89 :: v_dual_add_f32 v75, v75, v103
	s_wait_dscnt 0x1
	s_set_vgpr_msb 1                        ;  msbs: dst=0 src0=1 src1=0 src2=0
	v_dual_mul_f32 v99, v16 /*v272*/, v169 :: v_dual_mul_f32 v95, v3 /*v259*/, v155
	s_set_vgpr_msb 4                        ;  msbs: dst=0 src0=0 src1=1 src2=0
	v_add_f32_e32 v73, v73, v44 /*v300*/
	s_set_vgpr_msb 0x41                     ;  msbs: dst=1 src0=1 src1=0 src2=0
	v_fmac_f32_e32 v46 /*v302*/, v1 /*v257*/, v152
	s_set_vgpr_msb 0                        ;  msbs: dst=0 src0=0 src1=0 src2=0
	v_dual_add_f32 v75, v75, v89 :: v_dual_fma_f32 v91, v254, v150, -v91
	s_set_vgpr_msb 1                        ;  msbs: dst=0 src0=1 src1=0 src2=0
	v_dual_mul_f32 v100, v4 /*v260*/, v157 :: v_dual_mul_f32 v77, v6 /*v262*/, v159
	s_set_vgpr_msb 4                        ;  msbs: dst=0 src0=0 src1=1 src2=0
	v_add_f32_e32 v73, v73, v45 /*v301*/
	s_set_vgpr_msb 1                        ;  msbs: dst=0 src0=1 src1=0 src2=0
	v_dual_mul_f32 v93, v1 /*v257*/, v153 :: v_dual_mul_f32 v102, v7 /*v263*/, v159
	v_dual_fmac_f32 v98, v3 /*v259*/, v154 :: v_dual_fma_f32 v95, v2 /*v258*/, v154, -v95
	s_set_vgpr_msb 4                        ;  msbs: dst=0 src0=0 src1=1 src2=0
	v_add_f32_e32 v73, v73, v46 /*v302*/
	s_set_vgpr_msb 0                        ;  msbs: dst=0 src0=0 src1=0 src2=0
	v_add_f32_e32 v75, v75, v87
	s_set_vgpr_msb 1                        ;  msbs: dst=0 src0=1 src1=0 src2=0
	v_dual_mul_f32 v103, v9 /*v265*/, v161 :: v_dual_fma_f32 v93, v0 /*v256*/, v152, -v93
	v_dual_fmac_f32 v100, v5 /*v261*/, v156 :: v_dual_fmac_f32 v77, v7 /*v263*/, v158
	s_set_vgpr_msb 0                        ;  msbs: dst=0 src0=0 src1=0 src2=0
	v_dual_add_f32 v73, v73, v98 :: v_dual_add_f32 v75, v75, v91
	s_set_vgpr_msb 1                        ;  msbs: dst=0 src0=1 src1=0 src2=0
	v_dual_mul_f32 v81, v8 /*v264*/, v161 :: v_dual_mul_f32 v79, v10 /*v266*/, v163
	v_dual_mul_f32 v97, v5 /*v261*/, v157 :: v_dual_mul_f32 v89, v11 /*v267*/, v163
	s_set_vgpr_msb 0                        ;  msbs: dst=0 src0=0 src1=0 src2=0
	v_dual_add_f32 v73, v73, v100 :: v_dual_add_f32 v75, v75, v93
	v_mov_b32_e32 v100, v173
	s_set_vgpr_msb 1                        ;  msbs: dst=0 src0=1 src1=0 src2=0
	v_dual_mul_f32 v93, v17 /*v273*/, v169 :: v_dual_fma_f32 v97, v4 /*v260*/, v156, -v97
	v_dual_fma_f32 v98, v6 /*v262*/, v158, -v102 :: v_dual_fmac_f32 v81, v9 /*v265*/, v160
	s_set_vgpr_msb 0                        ;  msbs: dst=0 src0=0 src1=0 src2=0
	v_dual_add_f32 v75, v75, v95 :: v_dual_add_f32 v73, v73, v77
	s_set_vgpr_msb 1                        ;  msbs: dst=0 src0=1 src1=0 src2=0
	v_dual_mul_f32 v85, v12 /*v268*/, v165 :: v_dual_mul_f32 v83, v14 /*v270*/, v167
	s_set_vgpr_msb 0                        ;  msbs: dst=0 src0=0 src1=0 src2=0
	v_mul_f32_e32 v95, v195, v171
	s_wait_loadcnt 0x4
	v_dual_add_f32 v75, v75, v97 :: v_dual_mov_b32 v104, v177
	s_set_vgpr_msb 1                        ;  msbs: dst=0 src0=1 src1=0 src2=0
	v_dual_fmac_f32 v79, v11 /*v267*/, v162 :: v_dual_fmac_f32 v85, v13 /*v269*/, v164
	s_set_vgpr_msb 0                        ;  msbs: dst=0 src0=0 src1=0 src2=0
	v_add_f32_e32 v73, v73, v81
	s_set_vgpr_msb 1                        ;  msbs: dst=0 src0=1 src1=0 src2=0
	v_dual_fma_f32 v97, v8 /*v264*/, v160, -v103 :: v_dual_fma_f32 v77, v10 /*v266*/, v162, -v89
	s_set_vgpr_msb 0                        ;  msbs: dst=0 src0=0 src1=0 src2=0
	v_add_f32_e32 v75, v75, v98
	s_set_vgpr_msb 1                        ;  msbs: dst=0 src0=1 src1=0 src2=0
	v_dual_mul_f32 v87, v13 /*v269*/, v165 :: v_dual_mul_f32 v91, v15 /*v271*/, v167
	s_set_vgpr_msb 0                        ;  msbs: dst=0 src0=0 src1=0 src2=0
	v_add_f32_e32 v73, v73, v79
	s_set_vgpr_msb 1                        ;  msbs: dst=0 src0=1 src1=0 src2=0
	v_dual_fmac_f32 v83, v15 /*v271*/, v166 :: v_dual_fma_f32 v98, v16 /*v272*/, v168, -v93
	v_pk_mul_f32 v[108:109], v[24:25] /*v[280:281]*/, v[100:101] op_sel_hi:[1,0]
	s_set_vgpr_msb 0                        ;  msbs: dst=0 src0=0 src1=0 src2=0
	v_dual_fmac_f32 v101, v195, v170 :: v_dual_add_f32 v73, v73, v85
	v_add_f32_e32 v75, v75, v97
	s_set_vgpr_msb 1                        ;  msbs: dst=0 src0=1 src1=0 src2=0
	v_fma_f32 v81, v12 /*v268*/, v164, -v87
	s_wait_loadcnt 0x3
	s_set_vgpr_msb 0                        ;  msbs: dst=0 src0=0 src1=0 src2=0
	v_mov_b32_e32 v112, v181
	s_set_vgpr_msb 1                        ;  msbs: dst=0 src0=1 src1=0 src2=0
	v_dual_fmac_f32 v99, v17 /*v273*/, v168 :: v_dual_ashrrev_i32 v79, 31, v78
	s_set_vgpr_msb 0                        ;  msbs: dst=0 src0=0 src1=0 src2=0
	v_dual_add_f32 v111, v73, v83 :: v_dual_add_f32 v75, v75, v77
	s_set_vgpr_msb 1                        ;  msbs: dst=0 src0=1 src1=0 src2=0
	v_dual_fma_f32 v77, v14 /*v270*/, v166, -v91 :: v_dual_ashrrev_i32 v73, 31, v72
	s_set_vgpr_msb 0                        ;  msbs: dst=0 src0=0 src1=0 src2=0
	v_fma_f32 v100, v194, v170, -v95
	v_pk_mul_f32 v[102:103], v[206:207], v[174:175] op_sel:[1,1] op_sel_hi:[0,1]
	v_add_f32_e32 v75, v75, v81
	v_pk_fma_f32 v[114:115], v[196:197], v[172:173], v[108:109] op_sel_hi:[1,0,1]
	v_pk_fma_f32 v[108:109], v[196:197], v[172:173], v[108:109] neg_lo:[0,0,1] neg_hi:[0,0,1]
	s_set_vgpr_msb 1                        ;  msbs: dst=0 src0=1 src1=0 src2=0
	v_pk_mul_f32 v[104:105], v[26:27] /*v[282:283]*/, v[104:105] op_sel_hi:[1,0]
	s_set_vgpr_msb 0                        ;  msbs: dst=0 src0=0 src1=0 src2=0
	v_pk_mul_f32 v[106:107], v[210:211], v[178:179] op_sel:[1,1] op_sel_hi:[0,1]
	v_add_f32_e32 v110, v75, v77
	v_mov_b32_e32 v109, v115
	s_set_vgpr_msb 1                        ;  msbs: dst=0 src0=1 src1=0 src2=0
	v_pk_mul_f32 v[112:113], v[28:29] /*v[284:285]*/, v[112:113] op_sel_hi:[1,0]
	v_dual_ashrrev_i32 v75, 31, v74 :: v_dual_ashrrev_i32 v81, 31, v80
	v_ashrrev_i32_e32 v83, 31, v82
	s_set_vgpr_msb 0                        ;  msbs: dst=0 src0=0 src1=0 src2=0
	v_pk_add_f32 v[98:99], v[110:111], v[98:99]
	v_pk_fma_f32 v[110:111], v[206:207], v[174:175], v[102:103] op_sel_hi:[1,0,1]
	v_pk_fma_f32 v[102:103], v[206:207], v[174:175], v[102:103] neg_lo:[0,0,1] neg_hi:[0,0,1]
	v_dual_ashrrev_i32 v85, 31, v84 :: v_dual_ashrrev_i32 v87, 31, v86
	s_delay_alu instid0(VALU_DEP_4) | instskip(NEXT) | instid1(VALU_DEP_4)
	v_pk_add_f32 v[98:99], v[98:99], v[100:101]
	v_mov_b32_e32 v103, v111
	v_pk_fma_f32 v[110:111], v[208:209], v[176:177], v[104:105] op_sel_hi:[1,0,1]
	v_pk_fma_f32 v[104:105], v[208:209], v[176:177], v[104:105] neg_lo:[0,0,1] neg_hi:[0,0,1]
	s_wait_loadcnt 0x2
	v_pk_mul_f32 v[100:101], v[222:223], v[182:183] op_sel:[1,1] op_sel_hi:[0,1]
	v_pk_add_f32 v[98:99], v[98:99], v[108:109]
	v_pk_fma_f32 v[108:109], v[210:211], v[178:179], v[106:107] op_sel_hi:[1,0,1]
	v_mov_b32_e32 v105, v111
	v_pk_fma_f32 v[106:107], v[210:211], v[178:179], v[106:107] neg_lo:[0,0,1] neg_hi:[0,0,1]
	v_pk_fma_f32 v[110:111], v[212:213], v[180:181], v[112:113] neg_lo:[0,0,1] neg_hi:[0,0,1]
	v_pk_add_f32 v[98:99], v[98:99], v[102:103]
	v_dual_mov_b32 v102, v185 :: v_dual_mov_b32 v107, v109
	v_pk_fma_f32 v[108:109], v[212:213], v[180:181], v[112:113] op_sel_hi:[1,0,1]
	v_dual_ashrrev_i32 v89, 31, v88 :: v_dual_ashrrev_i32 v91, 31, v90
	s_delay_alu instid0(VALU_DEP_4)
	v_pk_add_f32 v[98:99], v[98:99], v[104:105]
	v_pk_fma_f32 v[104:105], v[222:223], v[182:183], v[100:101] op_sel_hi:[1,0,1]
	s_set_vgpr_msb 1                        ;  msbs: dst=0 src0=1 src1=0 src2=0
	v_pk_mul_f32 v[102:103], v[30:31] /*v[286:287]*/, v[102:103] op_sel_hi:[1,0]
	s_set_vgpr_msb 0                        ;  msbs: dst=0 src0=0 src1=0 src2=0
	v_mov_b32_e32 v111, v109
	v_pk_fma_f32 v[100:101], v[222:223], v[182:183], v[100:101] neg_lo:[0,0,1] neg_hi:[0,0,1]
	v_pk_add_f32 v[98:99], v[98:99], v[106:107]
	v_mov_b32_e32 v101, v105
	v_pk_fma_f32 v[104:105], v[224:225], v[184:185], v[102:103] op_sel_hi:[1,0,1]
	s_wait_loadcnt_dscnt 0x100
	s_set_vgpr_msb 5                        ;  msbs: dst=0 src0=1 src1=1 src2=0
	v_pk_mul_f32 v[106:107], v[22:23] /*v[278:279]*/, v[18:19] /*v[274:275]*/ op_sel:[1,1] op_sel_hi:[0,1]
	s_set_vgpr_msb 0                        ;  msbs: dst=0 src0=0 src1=0 src2=0
	v_pk_fma_f32 v[102:103], v[224:225], v[184:185], v[102:103] neg_lo:[0,0,1] neg_hi:[0,0,1]
	v_pk_add_f32 v[98:99], v[98:99], v[110:111]
	v_dual_ashrrev_i32 v93, 31, v92 :: v_dual_ashrrev_i32 v95, 31, v94
	v_mov_b32_e32 v103, v105
	s_set_vgpr_msb 5                        ;  msbs: dst=0 src0=1 src1=1 src2=0
	v_pk_fma_f32 v[104:105], v[22:23] /*v[278:279]*/, v[18:19] /*v[274:275]*/, v[106:107] neg_lo:[0,0,1] neg_hi:[0,0,1]
	s_set_vgpr_msb 0                        ;  msbs: dst=0 src0=0 src1=0 src2=0
	v_pk_add_f32 v[98:99], v[98:99], v[100:101]
	s_set_vgpr_msb 5                        ;  msbs: dst=0 src0=1 src1=1 src2=0
	v_pk_fma_f32 v[100:101], v[22:23] /*v[278:279]*/, v[18:19] /*v[274:275]*/, v[106:107] op_sel_hi:[1,0,1]
	s_set_vgpr_msb 0                        ;  msbs: dst=0 src0=0 src1=0 src2=0
	v_ashrrev_i32_e32 v77, 31, v76
	v_pk_add_f32 v[98:99], v[98:99], v[102:103]
	s_delay_alu instid0(VALU_DEP_3) | instskip(NEXT) | instid1(VALU_DEP_1)
	v_mov_b32_e32 v105, v101
	v_pk_add_f32 v[98:99], v[98:99], v[104:105]
	s_wait_loadcnt 0x0
	s_set_vgpr_msb 1                        ;  msbs: dst=0 src0=1 src1=0 src2=0
	s_delay_alu instid0(VALU_DEP_1)
	v_pk_add_f32 v[98:99], v[20:21] /*v[276:277]*/, v[98:99] neg_lo:[0,1] neg_hi:[0,1]
	scratch_store_b64 off, v[98:99], off offset:8
	s_wait_xcnt 0x0
	v_cmpx_ne_u32_e32 0, v0
	s_set_vgpr_msb 0                        ;  msbs: dst=0 src0=0 src1=0 src2=0
	s_cbranch_execz .LBB46_295
; %bb.294:
	scratch_load_b64 v[98:99], off, off
	v_mov_b64_e32 v[100:101], 0
	scratch_store_b64 off, v[100:101], off
	s_wait_loadcnt 0x0
	ds_store_b64 v1, v[98:99]
.LBB46_295:
	s_wait_xcnt 0x0
	s_or_b32 exec_lo, exec_lo, s0
	s_wait_storecnt_dscnt 0x0
	s_barrier_signal -1
	s_barrier_wait -1
	s_clause 0x17
	scratch_load_b128 v[98:101], off, off offset:8
	scratch_load_b128 v[102:105], off, off offset:24
	;; [unrolled: 1-line block ×23, first 2 shown]
	scratch_load_b64 v[0:1], off, off
	ds_load_2addr_b64 v[190:193], v96 offset0:49 offset1:50
	ds_load_2addr_b64 v[194:197], v96 offset0:51 offset1:52
	;; [unrolled: 1-line block ×17, first 2 shown]
	s_set_vgpr_msb 64                       ;  msbs: dst=1 src0=0 src1=0 src2=0
	ds_load_2addr_b64 v[2:5] /*v[258:261]*/, v96 offset0:73 offset1:74
	ds_load_2addr_b64 v[6:9] /*v[262:265]*/, v96 offset0:75 offset1:76
	;; [unrolled: 1-line block ×6, first 2 shown]
	s_wait_dscnt 0x13
	s_set_vgpr_msb 0                        ;  msbs: dst=0 src0=0 src1=0 src2=0
	v_dual_mov_b32 v96, v205 :: v_dual_mov_b32 v97, v204
	s_wait_dscnt 0x12
	s_set_vgpr_msb 64                       ;  msbs: dst=1 src0=0 src1=0 src2=0
	v_dual_mov_b32 v26 /*v282*/, v209 :: v_dual_mov_b32 v27 /*v283*/, v208
	s_wait_dscnt 0xf
	v_dual_mov_b32 v28 /*v284*/, v221 :: v_dual_mov_b32 v29 /*v285*/, v220
	s_wait_dscnt 0xe
	v_dual_mov_b32 v30 /*v286*/, v225 :: v_dual_mov_b32 v31 /*v287*/, v224
	s_and_b32 vcc_lo, exec_lo, s18
	s_wait_loadcnt 0x17
	v_dual_mul_f32 v32 /*v288*/, v190, v99 :: v_dual_mul_f32 v34 /*v290*/, v192, v101
	s_set_vgpr_msb 0                        ;  msbs: dst=0 src0=0 src1=0 src2=0
	v_dual_mul_f32 v99, v191, v99 :: v_dual_mul_f32 v101, v193, v101
	s_wait_loadcnt 0x14
	s_set_vgpr_msb 64                       ;  msbs: dst=1 src0=0 src1=0 src2=0
	v_dual_mul_f32 v40 /*v296*/, v214, v111 :: v_dual_mul_f32 v41 /*v297*/, v216, v113
	s_set_vgpr_msb 0                        ;  msbs: dst=0 src0=0 src1=0 src2=0
	v_mul_f32_e32 v111, v215, v111
	s_set_vgpr_msb 64                       ;  msbs: dst=1 src0=0 src1=0 src2=0
	v_dual_mul_f32 v36 /*v292*/, v194, v103 :: v_dual_mul_f32 v37 /*v293*/, v196, v105
	s_set_vgpr_msb 0                        ;  msbs: dst=0 src0=0 src1=0 src2=0
	v_dual_mul_f32 v103, v195, v103 :: v_dual_mul_f32 v105, v197, v105
	s_set_vgpr_msb 64                       ;  msbs: dst=1 src0=0 src1=0 src2=0
	s_delay_alu instid0(VALU_DEP_2)
	v_dual_fmac_f32 v34 /*v290*/, v193, v100 :: v_dual_fmac_f32 v36 /*v292*/, v195, v102
	v_dual_mul_f32 v38 /*v294*/, v210, v107 :: v_dual_mul_f32 v39 /*v295*/, v212, v109
	v_fmac_f32_e32 v32 /*v288*/, v191, v98
	s_set_vgpr_msb 0                        ;  msbs: dst=0 src0=0 src1=0 src2=0
	v_dual_fma_f32 v98, v190, v98, -v99 :: v_dual_mul_f32 v99, v217, v113
	v_fma_f32 v100, v192, v100, -v101
	s_wait_loadcnt 0x5
	s_set_vgpr_msb 64                       ;  msbs: dst=1 src0=0 src1=0 src2=0
	v_mul_f32_e32 v33 /*v289*/, v198, v171
	s_wait_dscnt 0xd
	s_set_vgpr_msb 0                        ;  msbs: dst=0 src0=0 src1=0 src2=0
	v_dual_mul_f32 v113, v227, v115 :: v_dual_add_f32 v98, 0, v98
	v_dual_fma_f32 v102, v194, v102, -v103 :: v_dual_mul_f32 v107, v211, v107
	v_mul_f32_e32 v109, v213, v109
	s_set_vgpr_msb 64                       ;  msbs: dst=1 src0=0 src1=0 src2=0
	v_dual_fmac_f32 v37 /*v293*/, v197, v104 :: v_dual_fmac_f32 v38 /*v294*/, v211, v106
	s_set_vgpr_msb 0                        ;  msbs: dst=0 src0=0 src1=0 src2=0
	v_dual_add_f32 v98, v98, v100 :: v_dual_mul_f32 v100, v229, v117
	v_dual_fma_f32 v103, v196, v104, -v105 :: v_dual_fma_f32 v104, v210, v106, -v107
	v_fma_f32 v106, v214, v110, -v111
	s_delay_alu instid0(VALU_DEP_3)
	v_add_f32_e32 v98, v98, v102
	v_fma_f32 v107, v226, v114, -v113
	s_wait_dscnt 0xc
	v_dual_fma_f32 v105, v212, v108, -v109 :: v_dual_mul_f32 v102, v231, v119
	s_set_vgpr_msb 64                       ;  msbs: dst=1 src0=0 src1=0 src2=0
	v_dual_fmac_f32 v39 /*v295*/, v213, v108 :: v_dual_fmac_f32 v40 /*v296*/, v215, v110
	s_set_vgpr_msb 0                        ;  msbs: dst=0 src0=0 src1=0 src2=0
	v_dual_add_f32 v98, v98, v103 :: v_dual_mul_f32 v103, v233, v121
	s_set_vgpr_msb 4                        ;  msbs: dst=0 src0=0 src1=1 src2=0
	v_add_f32_e32 v101, 0, v32 /*v288*/
	s_set_vgpr_msb 64                       ;  msbs: dst=1 src0=0 src1=0 src2=0
	v_dual_mul_f32 v42 /*v298*/, v226, v115 :: v_dual_mul_f32 v43 /*v299*/, v228, v117
	s_wait_dscnt 0xb
	s_set_vgpr_msb 0                        ;  msbs: dst=0 src0=0 src1=0 src2=0
	v_dual_add_f32 v98, v98, v104 :: v_dual_mul_f32 v104, v235, v123
	v_fma_f32 v99, v216, v112, -v99
	s_set_vgpr_msb 64                       ;  msbs: dst=1 src0=0 src1=0 src2=0
	v_dual_fmac_f32 v41 /*v297*/, v217, v112 :: v_dual_fmac_f32 v42 /*v298*/, v227, v114
	s_set_vgpr_msb 0                        ;  msbs: dst=0 src0=0 src1=0 src2=0
	v_add_f32_e32 v98, v98, v105
	v_dual_mul_f32 v105, v237, v125 :: v_dual_fma_f32 v104, v234, v122, -v104
	s_set_vgpr_msb 64                       ;  msbs: dst=1 src0=0 src1=0 src2=0
	v_dual_mul_f32 v44 /*v300*/, v230, v119 :: v_dual_mul_f32 v45 /*v301*/, v232, v121
	s_wait_dscnt 0xa
	s_set_vgpr_msb 0                        ;  msbs: dst=0 src0=0 src1=0 src2=0
	v_dual_add_f32 v98, v98, v106 :: v_dual_mul_f32 v106, v239, v127
	v_fma_f32 v100, v228, v116, -v100
	s_set_vgpr_msb 64                       ;  msbs: dst=1 src0=0 src1=0 src2=0
	v_dual_fmac_f32 v43 /*v299*/, v229, v116 :: v_dual_fmac_f32 v44 /*v300*/, v231, v118
	s_set_vgpr_msb 0                        ;  msbs: dst=0 src0=0 src1=0 src2=0
	v_dual_add_f32 v98, v98, v99 :: v_dual_mul_f32 v99, v241, v129
	v_fma_f32 v102, v230, v118, -v102
	v_fma_f32 v106, v238, v126, -v106
	s_set_vgpr_msb 64                       ;  msbs: dst=1 src0=0 src1=0 src2=0
	v_dual_mul_f32 v46 /*v302*/, v234, v123 :: v_dual_mul_f32 v47 /*v303*/, v236, v125
	s_set_vgpr_msb 0                        ;  msbs: dst=0 src0=0 src1=0 src2=0
	v_add_f32_e32 v98, v98, v107
	s_wait_dscnt 0x9
	v_mul_f32_e32 v107, v243, v131
	s_set_vgpr_msb 64                       ;  msbs: dst=1 src0=0 src1=0 src2=0
	v_dual_fmac_f32 v45 /*v301*/, v233, v120 :: v_dual_fmac_f32 v46 /*v302*/, v235, v122
	v_dual_mul_f32 v48 /*v304*/, v238, v127 :: v_dual_mul_f32 v49 /*v305*/, v240, v129
	s_set_vgpr_msb 0                        ;  msbs: dst=0 src0=0 src1=0 src2=0
	v_add_f32_e32 v98, v98, v100
	v_dual_fma_f32 v103, v232, v120, -v103 :: v_dual_mul_f32 v100, v245, v133
	v_dual_fma_f32 v107, v242, v130, -v107 :: v_dual_fma_f32 v105, v236, v124, -v105
	s_wait_dscnt 0x8
	s_delay_alu instid0(VALU_DEP_3) | instskip(NEXT) | instid1(VALU_DEP_3)
	v_dual_add_f32 v98, v98, v102 :: v_dual_mul_f32 v102, v247, v135
	v_fma_f32 v100, v244, v132, -v100
	s_set_vgpr_msb 64                       ;  msbs: dst=1 src0=0 src1=0 src2=0
	v_dual_fmac_f32 v47 /*v303*/, v237, v124 :: v_dual_fmac_f32 v48 /*v304*/, v239, v126
	s_set_vgpr_msb 0                        ;  msbs: dst=0 src0=0 src1=0 src2=0
	v_dual_add_f32 v98, v98, v103 :: v_dual_mul_f32 v103, v249, v137
	v_fma_f32 v102, v246, v134, -v102
	s_set_vgpr_msb 64                       ;  msbs: dst=1 src0=0 src1=0 src2=0
	v_dual_mul_f32 v50 /*v306*/, v242, v131 :: v_dual_mul_f32 v51 /*v307*/, v244, v133
	s_wait_dscnt 0x7
	s_set_vgpr_msb 0                        ;  msbs: dst=0 src0=0 src1=0 src2=0
	v_dual_add_f32 v98, v98, v104 :: v_dual_mul_f32 v104, v251, v139
	v_fma_f32 v99, v240, v128, -v99
	s_set_vgpr_msb 64                       ;  msbs: dst=1 src0=0 src1=0 src2=0
	v_dual_fmac_f32 v49 /*v305*/, v241, v128 :: v_dual_fmac_f32 v50 /*v306*/, v243, v130
	s_set_vgpr_msb 0                        ;  msbs: dst=0 src0=0 src1=0 src2=0
	v_add_f32_e32 v98, v98, v105
	v_dual_mul_f32 v105, v253, v141 :: v_dual_fma_f32 v104, v250, v138, -v104
	s_set_vgpr_msb 64                       ;  msbs: dst=1 src0=0 src1=0 src2=0
	v_dual_mul_f32 v52 /*v308*/, v246, v135 :: v_dual_mul_f32 v53 /*v309*/, v248, v137
	s_wait_dscnt 0x6
	s_set_vgpr_msb 0                        ;  msbs: dst=0 src0=0 src1=0 src2=0
	v_dual_add_f32 v98, v98, v106 :: v_dual_mul_f32 v106, v255, v143
	v_fma_f32 v103, v248, v136, -v103
	s_set_vgpr_msb 64                       ;  msbs: dst=1 src0=0 src1=0 src2=0
	v_dual_fmac_f32 v51 /*v307*/, v245, v132 :: v_dual_fmac_f32 v52 /*v308*/, v247, v134
	s_set_vgpr_msb 0                        ;  msbs: dst=0 src0=0 src1=0 src2=0
	v_dual_add_f32 v98, v98, v99 :: v_dual_fma_f32 v105, v252, v140, -v105
	s_set_vgpr_msb 1                        ;  msbs: dst=0 src0=1 src1=0 src2=0
	v_mul_f32_e32 v99, v1 /*v257*/, v145
	s_set_vgpr_msb 0                        ;  msbs: dst=0 src0=0 src1=0 src2=0
	v_dual_fma_f32 v106, v254, v142, -v106 :: v_dual_mul_f32 v111, v201, v173
	v_add_f32_e32 v98, v98, v107
	s_wait_dscnt 0x5
	s_set_vgpr_msb 1                        ;  msbs: dst=0 src0=1 src1=0 src2=0
	v_mul_f32_e32 v107, v3 /*v259*/, v147
	s_set_vgpr_msb 64                       ;  msbs: dst=1 src0=0 src1=0 src2=0
	v_dual_mul_f32 v54 /*v310*/, v250, v139 :: v_dual_mul_f32 v55 /*v311*/, v252, v141
	v_fmac_f32_e32 v53 /*v309*/, v249, v136
	s_set_vgpr_msb 0                        ;  msbs: dst=0 src0=0 src1=0 src2=0
	v_add_f32_e32 v98, v98, v100
	s_set_vgpr_msb 1                        ;  msbs: dst=0 src0=1 src1=0 src2=0
	v_mul_f32_e32 v100, v5 /*v261*/, v149
	s_set_vgpr_msb 64                       ;  msbs: dst=1 src0=0 src1=0 src2=0
	v_dual_fmac_f32 v54 /*v310*/, v251, v138 :: v_dual_mul_f32 v56 /*v312*/, v254, v143
	v_mul_f32_e32 v35 /*v291*/, v200, v173
	s_set_vgpr_msb 0                        ;  msbs: dst=0 src0=0 src1=0 src2=0
	v_add_f32_e32 v98, v98, v102
	s_wait_dscnt 0x4
	s_set_vgpr_msb 1                        ;  msbs: dst=0 src0=1 src1=0 src2=0
	v_mul_f32_e32 v102, v7 /*v263*/, v151
	s_set_vgpr_msb 64                       ;  msbs: dst=1 src0=0 src1=0 src2=0
	v_dual_fmac_f32 v55 /*v311*/, v253, v140 :: v_dual_fmac_f32 v56 /*v312*/, v255, v142
	s_set_vgpr_msb 0x41                     ;  msbs: dst=1 src0=1 src1=0 src2=0
	v_dual_mul_f32 v57 /*v313*/, v0 /*v256*/, v145 :: v_dual_mul_f32 v58 /*v314*/, v2 /*v258*/, v147
	s_set_vgpr_msb 0                        ;  msbs: dst=0 src0=0 src1=0 src2=0
	v_add_f32_e32 v98, v98, v103
	s_set_vgpr_msb 1                        ;  msbs: dst=0 src0=1 src1=0 src2=0
	v_mul_f32_e32 v103, v9 /*v265*/, v153
	s_wait_dscnt 0x0
	s_set_vgpr_msb 0x41                     ;  msbs: dst=1 src0=1 src1=0 src2=0
	v_dual_mul_f32 v69 /*v325*/, v24 /*v280*/, v169 :: v_dual_fmac_f32 v57 /*v313*/, v1 /*v257*/, v144
	s_set_vgpr_msb 1                        ;  msbs: dst=0 src0=1 src1=0 src2=0
	v_fma_f32 v99, v0 /*v256*/, v144, -v99
	s_set_vgpr_msb 0                        ;  msbs: dst=0 src0=0 src1=0 src2=0
	v_add_f32_e32 v98, v98, v104
	s_set_vgpr_msb 1                        ;  msbs: dst=0 src0=1 src1=0 src2=0
	v_dual_mul_f32 v104, v11 /*v267*/, v155 :: v_dual_mul_f32 v108, v21 /*v277*/, v165
	v_dual_fma_f32 v107, v2 /*v258*/, v146, -v107 :: v_dual_mul_f32 v109, v23 /*v279*/, v167
	s_set_vgpr_msb 0                        ;  msbs: dst=0 src0=0 src1=0 src2=0
	v_add_f32_e32 v98, v98, v105
	s_set_vgpr_msb 1                        ;  msbs: dst=0 src0=1 src1=0 src2=0
	v_mul_f32_e32 v105, v13 /*v269*/, v157
	v_dual_mul_f32 v110, v25 /*v281*/, v169 :: v_dual_fma_f32 v100, v4 /*v260*/, v148, -v100
	s_set_vgpr_msb 0x41                     ;  msbs: dst=1 src0=1 src1=0 src2=0
	v_dual_mul_f32 v59 /*v315*/, v4 /*v260*/, v149 :: v_dual_mul_f32 v60 /*v316*/, v6 /*v262*/, v151
	s_set_vgpr_msb 0                        ;  msbs: dst=0 src0=0 src1=0 src2=0
	v_add_f32_e32 v98, v98, v106
	s_set_vgpr_msb 1                        ;  msbs: dst=0 src0=1 src1=0 src2=0
	v_dual_mul_f32 v106, v15 /*v271*/, v159 :: v_dual_fma_f32 v102, v6 /*v262*/, v150, -v102
	s_set_vgpr_msb 0x41                     ;  msbs: dst=1 src0=1 src1=0 src2=0
	v_dual_fmac_f32 v58 /*v314*/, v3 /*v259*/, v146 :: v_dual_fmac_f32 v59 /*v315*/, v5 /*v261*/, v148
	s_set_vgpr_msb 0                        ;  msbs: dst=0 src0=0 src1=0 src2=0
	v_add_f32_e32 v98, v98, v99
	s_set_vgpr_msb 1                        ;  msbs: dst=0 src0=1 src1=0 src2=0
	v_mul_f32_e32 v99, v17 /*v273*/, v161
	s_set_vgpr_msb 0x41                     ;  msbs: dst=1 src0=1 src1=0 src2=0
	v_dual_mul_f32 v61 /*v317*/, v8 /*v264*/, v153 :: v_dual_mul_f32 v62 /*v318*/, v10 /*v266*/, v155
	v_fmac_f32_e32 v60 /*v316*/, v7 /*v263*/, v150
	s_set_vgpr_msb 0                        ;  msbs: dst=0 src0=0 src1=0 src2=0
	v_add_f32_e32 v98, v98, v107
	s_set_vgpr_msb 1                        ;  msbs: dst=0 src0=1 src1=0 src2=0
	v_mul_f32_e32 v107, v19 /*v275*/, v163
	s_set_vgpr_msb 0x41                     ;  msbs: dst=1 src0=1 src1=0 src2=0
	v_dual_fmac_f32 v61 /*v317*/, v9 /*v265*/, v152 :: v_dual_mul_f32 v63 /*v319*/, v12 /*v268*/, v157
	v_mul_f32_e32 v64 /*v320*/, v14 /*v270*/, v159
	s_set_vgpr_msb 0                        ;  msbs: dst=0 src0=0 src1=0 src2=0
	v_add_f32_e32 v98, v98, v100
	s_set_vgpr_msb 1                        ;  msbs: dst=0 src0=1 src1=0 src2=0
	v_fma_f32 v100, v8 /*v264*/, v152, -v103
	v_fma_f32 v103, v18 /*v274*/, v162, -v107
	s_set_vgpr_msb 0x41                     ;  msbs: dst=1 src0=1 src1=0 src2=0
	v_dual_fmac_f32 v62 /*v318*/, v11 /*v267*/, v154 :: v_dual_fmac_f32 v63 /*v319*/, v13 /*v269*/, v156
	s_set_vgpr_msb 0                        ;  msbs: dst=0 src0=0 src1=0 src2=0
	v_add_f32_e32 v98, v98, v102
	s_set_vgpr_msb 1                        ;  msbs: dst=0 src0=1 src1=0 src2=0
	v_fma_f32 v102, v10 /*v266*/, v154, -v104
	v_fma_f32 v104, v20 /*v276*/, v164, -v108
	s_set_vgpr_msb 0x41                     ;  msbs: dst=1 src0=1 src1=0 src2=0
	v_dual_mul_f32 v65 /*v321*/, v16 /*v272*/, v161 :: v_dual_mul_f32 v66 /*v322*/, v18 /*v274*/, v163
	s_set_vgpr_msb 0                        ;  msbs: dst=0 src0=0 src1=0 src2=0
	v_add_f32_e32 v98, v98, v100
	s_set_vgpr_msb 1                        ;  msbs: dst=0 src0=1 src1=0 src2=0
	v_fma_f32 v100, v12 /*v268*/, v156, -v105
	v_dual_fma_f32 v107, v22 /*v278*/, v166, -v109 :: v_dual_fma_f32 v108, v24 /*v280*/, v168, -v110
	s_set_vgpr_msb 0                        ;  msbs: dst=0 src0=0 src1=0 src2=0
	v_dual_mul_f32 v105, v199, v171 :: v_dual_add_f32 v98, v98, v102
	s_set_vgpr_msb 1                        ;  msbs: dst=0 src0=1 src1=0 src2=0
	v_fma_f32 v102, v14 /*v270*/, v158, -v106
	s_set_vgpr_msb 0x41                     ;  msbs: dst=1 src0=1 src1=0 src2=0
	v_dual_fmac_f32 v64 /*v320*/, v15 /*v271*/, v158 :: v_dual_fmac_f32 v65 /*v321*/, v17 /*v273*/, v160
	s_set_vgpr_msb 64                       ;  msbs: dst=1 src0=0 src1=0 src2=0
	v_fma_f32 v32 /*v288*/, v198, v170, -v105
	s_set_vgpr_msb 0                        ;  msbs: dst=0 src0=0 src1=0 src2=0
	v_add_f32_e32 v98, v98, v100
	s_set_vgpr_msb 1                        ;  msbs: dst=0 src0=1 src1=0 src2=0
	v_fma_f32 v100, v16 /*v272*/, v160, -v99
	s_set_vgpr_msb 0x41                     ;  msbs: dst=1 src0=1 src1=0 src2=0
	v_dual_mul_f32 v67 /*v323*/, v20 /*v276*/, v165 :: v_dual_mul_f32 v68 /*v324*/, v22 /*v278*/, v167
	v_fmac_f32_e32 v66 /*v322*/, v19 /*v275*/, v162
	s_set_vgpr_msb 0                        ;  msbs: dst=0 src0=0 src1=0 src2=0
	v_add_f32_e32 v102, v98, v102
	s_wait_loadcnt 0x4
	v_pk_mul_f32 v[98:99], v[202:203], v[174:175] op_sel:[1,1] op_sel_hi:[0,1]
	s_set_vgpr_msb 0x41                     ;  msbs: dst=1 src0=1 src1=0 src2=0
	v_dual_fmac_f32 v67 /*v323*/, v21 /*v277*/, v164 :: v_dual_fmac_f32 v68 /*v324*/, v23 /*v279*/, v166
	v_fmac_f32_e32 v69 /*v325*/, v25 /*v281*/, v168
	s_set_vgpr_msb 0                        ;  msbs: dst=0 src0=0 src1=0 src2=0
	v_dual_add_f32 v102, v102, v100 :: v_dual_mov_b32 v100, v177
	s_set_vgpr_msb 4                        ;  msbs: dst=0 src0=0 src1=1 src2=0
	v_add_f32_e32 v101, v101, v34 /*v290*/
	s_set_vgpr_msb 64                       ;  msbs: dst=1 src0=0 src1=0 src2=0
	v_fma_f32 v34 /*v290*/, v200, v172, -v111
	v_dual_fmac_f32 v33 /*v289*/, v199, v170 :: v_dual_fmac_f32 v35 /*v291*/, v201, v172
	s_set_vgpr_msb 0                        ;  msbs: dst=0 src0=0 src1=0 src2=0
	v_add_f32_e32 v106, v102, v103
	s_wait_loadcnt 0x3
	v_pk_mul_f32 v[102:103], v[206:207], v[178:179] op_sel:[1,1] op_sel_hi:[0,1]
	s_delay_alu instid0(VALU_DEP_2) | instskip(NEXT) | instid1(VALU_DEP_2)
	v_dual_add_f32 v106, v106, v104 :: v_dual_mov_b32 v104, v181
	v_pk_fma_f32 v[112:113], v[206:207], v[178:179], v[102:103] op_sel_hi:[1,0,1]
	v_pk_fma_f32 v[102:103], v[206:207], v[178:179], v[102:103] neg_lo:[0,0,1] neg_hi:[0,0,1]
	s_delay_alu instid0(VALU_DEP_3)
	v_add_f32_e32 v110, v106, v107
	s_set_vgpr_msb 1                        ;  msbs: dst=0 src0=1 src1=0 src2=0
	v_pk_mul_f32 v[104:105], v[26:27] /*v[282:283]*/, v[104:105] op_sel_hi:[1,0]
	s_wait_loadcnt 0x2
	s_set_vgpr_msb 0                        ;  msbs: dst=0 src0=0 src1=0 src2=0
	v_pk_mul_f32 v[106:107], v[218:219], v[182:183] op_sel:[1,1] op_sel_hi:[0,1]
	v_dual_mov_b32 v103, v113 :: v_dual_add_f32 v108, v110, v108
	v_pk_fma_f32 v[110:111], v[202:203], v[174:175], v[98:99] op_sel_hi:[1,0,1]
	v_pk_fma_f32 v[98:99], v[202:203], v[174:175], v[98:99] neg_lo:[0,0,1] neg_hi:[0,0,1]
	s_set_vgpr_msb 4                        ;  msbs: dst=0 src0=0 src1=1 src2=0
	s_delay_alu instid0(VALU_DEP_2) | instskip(NEXT) | instid1(VALU_DEP_1)
	v_dual_mov_b32 v99, v111 :: v_dual_add_f32 v101, v101, v36 /*v292*/
	v_add_f32_e32 v101, v101, v37 /*v293*/
	s_delay_alu instid0(VALU_DEP_1) | instskip(NEXT) | instid1(VALU_DEP_1)
	v_add_f32_e32 v101, v101, v38 /*v294*/
	v_add_f32_e32 v101, v101, v39 /*v295*/
	s_delay_alu instid0(VALU_DEP_1) | instskip(NEXT) | instid1(VALU_DEP_1)
	v_add_f32_e32 v101, v101, v40 /*v296*/
	;; [unrolled: 3-line block ×16, first 2 shown]
	v_add_f32_e32 v109, v101, v69 /*v325*/
	s_set_vgpr_msb 0                        ;  msbs: dst=0 src0=0 src1=0 src2=0
	v_pk_mul_f32 v[96:97], v[96:97], v[100:101] op_sel_hi:[1,0]
	s_set_vgpr_msb 4                        ;  msbs: dst=0 src0=0 src1=1 src2=0
	s_delay_alu instid0(VALU_DEP_2) | instskip(SKIP_1) | instid1(VALU_DEP_2)
	v_pk_add_f32 v[100:101], v[108:109], v[32:33] /*v[288:289]*/
	s_set_vgpr_msb 0                        ;  msbs: dst=0 src0=0 src1=0 src2=0
	v_pk_fma_f32 v[110:111], v[204:205], v[176:177], v[96:97] op_sel_hi:[1,0,1]
	v_pk_fma_f32 v[96:97], v[204:205], v[176:177], v[96:97] neg_lo:[0,0,1] neg_hi:[0,0,1]
	v_mov_b32_e32 v108, v185
	s_set_vgpr_msb 4                        ;  msbs: dst=0 src0=0 src1=1 src2=0
	v_pk_add_f32 v[100:101], v[100:101], v[34:35] /*v[290:291]*/
	v_mov_b32_e32 v97, v111
	s_set_vgpr_msb 0                        ;  msbs: dst=0 src0=0 src1=0 src2=0
	v_pk_fma_f32 v[110:111], v[208:209], v[180:181], v[104:105] op_sel_hi:[1,0,1]
	v_pk_fma_f32 v[104:105], v[208:209], v[180:181], v[104:105] neg_lo:[0,0,1] neg_hi:[0,0,1]
	s_set_vgpr_msb 1                        ;  msbs: dst=0 src0=1 src1=0 src2=0
	v_pk_mul_f32 v[108:109], v[28:29] /*v[284:285]*/, v[108:109] op_sel_hi:[1,0]
	s_set_vgpr_msb 0                        ;  msbs: dst=0 src0=0 src1=0 src2=0
	v_pk_add_f32 v[98:99], v[100:101], v[98:99]
	s_wait_loadcnt 0x1
	v_pk_mul_f32 v[100:101], v[222:223], v[186:187] op_sel:[1,1] op_sel_hi:[0,1]
	v_mov_b32_e32 v105, v111
	s_delay_alu instid0(VALU_DEP_3) | instskip(SKIP_2) | instid1(VALU_DEP_3)
	v_pk_add_f32 v[96:97], v[98:99], v[96:97]
	v_pk_fma_f32 v[98:99], v[218:219], v[182:183], v[106:107] op_sel_hi:[1,0,1]
	v_mov_b32_e32 v98, v189
	v_pk_add_f32 v[96:97], v[96:97], v[102:103]
	v_pk_fma_f32 v[102:103], v[218:219], v[182:183], v[106:107] neg_lo:[0,0,1] neg_hi:[0,0,1]
	s_delay_alu instid0(VALU_DEP_4)
	v_mov_b32_e32 v103, v99
	v_pk_fma_f32 v[106:107], v[220:221], v[184:185], v[108:109] op_sel_hi:[1,0,1]
	v_pk_fma_f32 v[108:109], v[220:221], v[184:185], v[108:109] neg_lo:[0,0,1] neg_hi:[0,0,1]
	v_pk_add_f32 v[96:97], v[96:97], v[104:105]
	v_pk_fma_f32 v[104:105], v[222:223], v[186:187], v[100:101] op_sel_hi:[1,0,1]
	s_set_vgpr_msb 1                        ;  msbs: dst=0 src0=1 src1=0 src2=0
	v_pk_mul_f32 v[98:99], v[30:31] /*v[286:287]*/, v[98:99] op_sel_hi:[1,0]
	s_set_vgpr_msb 0                        ;  msbs: dst=0 src0=0 src1=0 src2=0
	v_mov_b32_e32 v109, v107
	v_pk_fma_f32 v[100:101], v[222:223], v[186:187], v[100:101] neg_lo:[0,0,1] neg_hi:[0,0,1]
	v_pk_add_f32 v[96:97], v[96:97], v[102:103]
	v_mov_b32_e32 v101, v105
	v_pk_fma_f32 v[102:103], v[224:225], v[188:189], v[98:99] op_sel_hi:[1,0,1]
	v_pk_fma_f32 v[98:99], v[224:225], v[188:189], v[98:99] neg_lo:[0,0,1] neg_hi:[0,0,1]
	s_delay_alu instid0(VALU_DEP_4) | instskip(NEXT) | instid1(VALU_DEP_3)
	v_pk_add_f32 v[96:97], v[96:97], v[108:109]
	v_mov_b32_e32 v99, v103
	s_delay_alu instid0(VALU_DEP_2) | instskip(NEXT) | instid1(VALU_DEP_1)
	v_pk_add_f32 v[96:97], v[96:97], v[100:101]
	v_pk_add_f32 v[96:97], v[96:97], v[98:99]
	s_wait_loadcnt 0x0
	s_delay_alu instid0(VALU_DEP_1)
	v_pk_add_f32 v[0:1], v[0:1], v[96:97] neg_lo:[0,1] neg_hi:[0,1]
	scratch_store_b64 off, v[0:1], off
	s_cbranch_vccz .LBB46_388
; %bb.296:
	s_wait_xcnt 0x0
	v_mov_b32_e32 v0, 0
	global_load_b32 v1, v0, s[2:3] offset:180
	s_wait_loadcnt 0x0
	v_cmp_ne_u32_e32 vcc_lo, 46, v1
	s_cbranch_vccz .LBB46_298
; %bb.297:
	v_lshlrev_b32_e32 v1, 3, v1
	scratch_load_b64 v[96:97], v1, off offset:-8
	scratch_load_b64 v[98:99], off, off offset:360
	s_wait_loadcnt 0x1
	scratch_store_b64 off, v[96:97], off offset:360
	s_wait_loadcnt 0x0
	scratch_store_b64 v1, v[98:99], off offset:-8
.LBB46_298:
	global_load_b32 v0, v0, s[2:3] offset:176
	s_wait_loadcnt 0x0
	v_cmp_eq_u32_e32 vcc_lo, 45, v0
	s_cbranch_vccnz .LBB46_300
; %bb.299:
	s_wait_xcnt 0x0
	v_lshlrev_b32_e32 v0, 3, v0
	s_delay_alu instid0(VALU_DEP_1)
	v_mov_b32_e32 v98, v0
	scratch_load_b64 v[0:1], v98, off offset:-8
	scratch_load_b64 v[96:97], off, off offset:352
	s_wait_loadcnt 0x1
	scratch_store_b64 off, v[0:1], off offset:352
	s_wait_loadcnt 0x0
	scratch_store_b64 v98, v[96:97], off offset:-8
.LBB46_300:
	s_wait_xcnt 0x0
	v_mov_b32_e32 v0, 0
	global_load_b32 v1, v0, s[2:3] offset:172
	s_wait_loadcnt 0x0
	v_cmp_eq_u32_e32 vcc_lo, 44, v1
	s_cbranch_vccnz .LBB46_302
; %bb.301:
	v_lshlrev_b32_e32 v1, 3, v1
	scratch_load_b64 v[96:97], v1, off offset:-8
	scratch_load_b64 v[98:99], off, off offset:344
	s_wait_loadcnt 0x1
	scratch_store_b64 off, v[96:97], off offset:344
	s_wait_loadcnt 0x0
	scratch_store_b64 v1, v[98:99], off offset:-8
.LBB46_302:
	global_load_b32 v0, v0, s[2:3] offset:168
	s_wait_loadcnt 0x0
	v_cmp_eq_u32_e32 vcc_lo, 43, v0
	s_cbranch_vccnz .LBB46_304
; %bb.303:
	s_wait_xcnt 0x0
	v_lshlrev_b32_e32 v0, 3, v0
	s_delay_alu instid0(VALU_DEP_1)
	v_mov_b32_e32 v98, v0
	scratch_load_b64 v[0:1], v98, off offset:-8
	scratch_load_b64 v[96:97], off, off offset:336
	s_wait_loadcnt 0x1
	scratch_store_b64 off, v[0:1], off offset:336
	s_wait_loadcnt 0x0
	scratch_store_b64 v98, v[96:97], off offset:-8
.LBB46_304:
	s_wait_xcnt 0x0
	v_mov_b32_e32 v0, 0
	global_load_b32 v1, v0, s[2:3] offset:164
	s_wait_loadcnt 0x0
	v_cmp_eq_u32_e32 vcc_lo, 42, v1
	s_cbranch_vccnz .LBB46_306
; %bb.305:
	v_lshlrev_b32_e32 v1, 3, v1
	scratch_load_b64 v[96:97], v1, off offset:-8
	scratch_load_b64 v[98:99], off, off offset:328
	s_wait_loadcnt 0x1
	scratch_store_b64 off, v[96:97], off offset:328
	s_wait_loadcnt 0x0
	scratch_store_b64 v1, v[98:99], off offset:-8
.LBB46_306:
	;; [unrolled: 31-line block ×22, first 2 shown]
	global_load_b32 v96, v0, s[2:3]
	scratch_load_b64 v[0:1], off, off
	s_wait_loadcnt 0x1
	v_cmp_eq_u32_e32 vcc_lo, 1, v96
	s_cbranch_vccnz .LBB46_388
; %bb.387:
	v_lshlrev_b32_e32 v96, 3, v96
	s_delay_alu instid0(VALU_DEP_1)
	v_mov_b32_e32 v98, v96
	scratch_load_b64 v[96:97], v98, off offset:-8
	s_wait_loadcnt 0x0
	scratch_store_b64 off, v[96:97], off
	scratch_store_b64 v98, v[0:1], off offset:-8
	scratch_load_b64 v[0:1], off, off
.LBB46_388:
	v_lshl_add_u64 v[96:97], v[4:5], 3, s[4:5]
	v_lshl_add_u64 v[98:99], v[6:7], 3, s[4:5]
	;; [unrolled: 1-line block ×4, first 2 shown]
	s_clause 0x16
	scratch_load_b128 v[92:95], off, off offset:8
	scratch_load_b128 v[100:103], off, off offset:24
	;; [unrolled: 1-line block ×23, first 2 shown]
	v_lshl_add_u64 v[10:11], v[10:11], 3, s[4:5]
	v_lshl_add_u64 v[12:13], v[12:13], 3, s[4:5]
	;; [unrolled: 1-line block ×41, first 2 shown]
	s_wait_loadcnt 0x17
	global_store_b64 v[2:3], v[0:1], off
	s_wait_loadcnt 0x16
	s_clause 0x1
	global_store_b64 v[8:9], v[92:93], off
	global_store_b64 v[96:97], v[94:95], off
	s_wait_loadcnt 0x15
	s_clause 0x1
	global_store_b64 v[98:99], v[100:101], off
	global_store_b64 v[10:11], v[102:103], off
	s_wait_loadcnt 0x14
	s_clause 0x1
	global_store_b64 v[12:13], v[104:105], off
	global_store_b64 v[14:15], v[106:107], off
	s_wait_loadcnt 0x13
	s_clause 0x1
	global_store_b64 v[16:17], v[108:109], off
	global_store_b64 v[18:19], v[110:111], off
	s_wait_loadcnt 0x12
	s_clause 0x1
	global_store_b64 v[20:21], v[112:113], off
	global_store_b64 v[22:23], v[114:115], off
	s_wait_loadcnt 0x11
	s_clause 0x1
	global_store_b64 v[24:25], v[116:117], off
	global_store_b64 v[26:27], v[118:119], off
	s_wait_loadcnt 0x10
	s_clause 0x1
	global_store_b64 v[28:29], v[120:121], off
	global_store_b64 v[30:31], v[122:123], off
	s_wait_loadcnt 0xf
	s_clause 0x1
	global_store_b64 v[32:33], v[124:125], off
	global_store_b64 v[34:35], v[126:127], off
	s_wait_loadcnt 0xe
	s_clause 0x1
	global_store_b64 v[36:37], v[128:129], off
	global_store_b64 v[38:39], v[130:131], off
	s_wait_loadcnt 0xd
	s_clause 0x1
	global_store_b64 v[40:41], v[132:133], off
	global_store_b64 v[42:43], v[134:135], off
	s_wait_loadcnt 0xc
	s_clause 0x1
	global_store_b64 v[44:45], v[136:137], off
	global_store_b64 v[46:47], v[138:139], off
	s_wait_loadcnt 0xb
	s_clause 0x1
	global_store_b64 v[48:49], v[140:141], off
	global_store_b64 v[50:51], v[142:143], off
	s_wait_loadcnt 0xa
	s_clause 0x1
	global_store_b64 v[52:53], v[144:145], off
	global_store_b64 v[54:55], v[146:147], off
	s_wait_loadcnt 0x9
	s_clause 0x1
	global_store_b64 v[56:57], v[148:149], off
	global_store_b64 v[58:59], v[150:151], off
	s_wait_loadcnt 0x8
	s_clause 0x1
	global_store_b64 v[60:61], v[152:153], off
	global_store_b64 v[62:63], v[154:155], off
	s_wait_loadcnt 0x7
	s_clause 0x1
	global_store_b64 v[64:65], v[156:157], off
	global_store_b64 v[66:67], v[158:159], off
	s_wait_loadcnt 0x6
	s_clause 0x1
	global_store_b64 v[68:69], v[160:161], off
	global_store_b64 v[70:71], v[162:163], off
	s_wait_loadcnt 0x5
	s_clause 0x1
	global_store_b64 v[72:73], v[164:165], off
	global_store_b64 v[74:75], v[166:167], off
	s_wait_loadcnt 0x4
	s_clause 0x1
	global_store_b64 v[76:77], v[168:169], off
	global_store_b64 v[78:79], v[170:171], off
	s_wait_loadcnt 0x3
	s_clause 0x1
	global_store_b64 v[80:81], v[172:173], off
	global_store_b64 v[82:83], v[174:175], off
	s_wait_loadcnt 0x2
	s_clause 0x1
	global_store_b64 v[84:85], v[176:177], off
	global_store_b64 v[86:87], v[178:179], off
	s_wait_loadcnt 0x1
	s_clause 0x1
	global_store_b64 v[88:89], v[180:181], off
	global_store_b64 v[90:91], v[182:183], off
	s_wait_loadcnt 0x0
	s_clause 0x1
	global_store_b64 v[4:5], v[184:185], off
	global_store_b64 v[6:7], v[186:187], off
	s_sendmsg sendmsg(MSG_DEALLOC_VGPRS)
	s_endpgm
	.section	.rodata,"a",@progbits
	.p2align	6, 0x0
	.amdhsa_kernel _ZN9rocsolver6v33100L18getri_kernel_smallILi47E19rocblas_complex_numIfEPS3_EEvT1_iilPiilS6_bb
		.amdhsa_group_segment_fixed_size 760
		.amdhsa_private_segment_fixed_size 384
		.amdhsa_kernarg_size 60
		.amdhsa_user_sgpr_count 2
		.amdhsa_user_sgpr_dispatch_ptr 0
		.amdhsa_user_sgpr_queue_ptr 0
		.amdhsa_user_sgpr_kernarg_segment_ptr 1
		.amdhsa_user_sgpr_dispatch_id 0
		.amdhsa_user_sgpr_kernarg_preload_length 0
		.amdhsa_user_sgpr_kernarg_preload_offset 0
		.amdhsa_user_sgpr_private_segment_size 0
		.amdhsa_wavefront_size32 1
		.amdhsa_uses_dynamic_stack 0
		.amdhsa_enable_private_segment 1
		.amdhsa_system_sgpr_workgroup_id_x 1
		.amdhsa_system_sgpr_workgroup_id_y 0
		.amdhsa_system_sgpr_workgroup_id_z 0
		.amdhsa_system_sgpr_workgroup_info 0
		.amdhsa_system_vgpr_workitem_id 0
		.amdhsa_next_free_vgpr 326
		.amdhsa_next_free_sgpr 19
		.amdhsa_named_barrier_count 0
		.amdhsa_reserve_vcc 1
		.amdhsa_float_round_mode_32 0
		.amdhsa_float_round_mode_16_64 0
		.amdhsa_float_denorm_mode_32 3
		.amdhsa_float_denorm_mode_16_64 3
		.amdhsa_fp16_overflow 0
		.amdhsa_memory_ordered 1
		.amdhsa_forward_progress 1
		.amdhsa_inst_pref_size 255
		.amdhsa_round_robin_scheduling 0
		.amdhsa_exception_fp_ieee_invalid_op 0
		.amdhsa_exception_fp_denorm_src 0
		.amdhsa_exception_fp_ieee_div_zero 0
		.amdhsa_exception_fp_ieee_overflow 0
		.amdhsa_exception_fp_ieee_underflow 0
		.amdhsa_exception_fp_ieee_inexact 0
		.amdhsa_exception_int_div_zero 0
	.end_amdhsa_kernel
	.section	.text._ZN9rocsolver6v33100L18getri_kernel_smallILi47E19rocblas_complex_numIfEPS3_EEvT1_iilPiilS6_bb,"axG",@progbits,_ZN9rocsolver6v33100L18getri_kernel_smallILi47E19rocblas_complex_numIfEPS3_EEvT1_iilPiilS6_bb,comdat
.Lfunc_end46:
	.size	_ZN9rocsolver6v33100L18getri_kernel_smallILi47E19rocblas_complex_numIfEPS3_EEvT1_iilPiilS6_bb, .Lfunc_end46-_ZN9rocsolver6v33100L18getri_kernel_smallILi47E19rocblas_complex_numIfEPS3_EEvT1_iilPiilS6_bb
                                        ; -- End function
	.set _ZN9rocsolver6v33100L18getri_kernel_smallILi47E19rocblas_complex_numIfEPS3_EEvT1_iilPiilS6_bb.num_vgpr, 326
	.set _ZN9rocsolver6v33100L18getri_kernel_smallILi47E19rocblas_complex_numIfEPS3_EEvT1_iilPiilS6_bb.num_agpr, 0
	.set _ZN9rocsolver6v33100L18getri_kernel_smallILi47E19rocblas_complex_numIfEPS3_EEvT1_iilPiilS6_bb.numbered_sgpr, 19
	.set _ZN9rocsolver6v33100L18getri_kernel_smallILi47E19rocblas_complex_numIfEPS3_EEvT1_iilPiilS6_bb.num_named_barrier, 0
	.set _ZN9rocsolver6v33100L18getri_kernel_smallILi47E19rocblas_complex_numIfEPS3_EEvT1_iilPiilS6_bb.private_seg_size, 384
	.set _ZN9rocsolver6v33100L18getri_kernel_smallILi47E19rocblas_complex_numIfEPS3_EEvT1_iilPiilS6_bb.uses_vcc, 1
	.set _ZN9rocsolver6v33100L18getri_kernel_smallILi47E19rocblas_complex_numIfEPS3_EEvT1_iilPiilS6_bb.uses_flat_scratch, 1
	.set _ZN9rocsolver6v33100L18getri_kernel_smallILi47E19rocblas_complex_numIfEPS3_EEvT1_iilPiilS6_bb.has_dyn_sized_stack, 0
	.set _ZN9rocsolver6v33100L18getri_kernel_smallILi47E19rocblas_complex_numIfEPS3_EEvT1_iilPiilS6_bb.has_recursion, 0
	.set _ZN9rocsolver6v33100L18getri_kernel_smallILi47E19rocblas_complex_numIfEPS3_EEvT1_iilPiilS6_bb.has_indirect_call, 0
	.section	.AMDGPU.csdata,"",@progbits
; Kernel info:
; codeLenInByte = 84024
; TotalNumSgprs: 21
; NumVgprs: 326
; ScratchSize: 384
; MemoryBound: 0
; FloatMode: 240
; IeeeMode: 1
; LDSByteSize: 760 bytes/workgroup (compile time only)
; SGPRBlocks: 0
; VGPRBlocks: 20
; NumSGPRsForWavesPerEU: 21
; NumVGPRsForWavesPerEU: 326
; NamedBarCnt: 0
; Occupancy: 3
; WaveLimiterHint : 1
; COMPUTE_PGM_RSRC2:SCRATCH_EN: 1
; COMPUTE_PGM_RSRC2:USER_SGPR: 2
; COMPUTE_PGM_RSRC2:TRAP_HANDLER: 0
; COMPUTE_PGM_RSRC2:TGID_X_EN: 1
; COMPUTE_PGM_RSRC2:TGID_Y_EN: 0
; COMPUTE_PGM_RSRC2:TGID_Z_EN: 0
; COMPUTE_PGM_RSRC2:TIDIG_COMP_CNT: 0
	.section	.text._ZN9rocsolver6v33100L18getri_kernel_smallILi48E19rocblas_complex_numIfEPS3_EEvT1_iilPiilS6_bb,"axG",@progbits,_ZN9rocsolver6v33100L18getri_kernel_smallILi48E19rocblas_complex_numIfEPS3_EEvT1_iilPiilS6_bb,comdat
	.globl	_ZN9rocsolver6v33100L18getri_kernel_smallILi48E19rocblas_complex_numIfEPS3_EEvT1_iilPiilS6_bb ; -- Begin function _ZN9rocsolver6v33100L18getri_kernel_smallILi48E19rocblas_complex_numIfEPS3_EEvT1_iilPiilS6_bb
	.p2align	8
	.type	_ZN9rocsolver6v33100L18getri_kernel_smallILi48E19rocblas_complex_numIfEPS3_EEvT1_iilPiilS6_bb,@function
_ZN9rocsolver6v33100L18getri_kernel_smallILi48E19rocblas_complex_numIfEPS3_EEvT1_iilPiilS6_bb: ; @_ZN9rocsolver6v33100L18getri_kernel_smallILi48E19rocblas_complex_numIfEPS3_EEvT1_iilPiilS6_bb
; %bb.0:
	s_mov_b32 s2, exec_lo
	v_cmpx_gt_u32_e32 48, v0
	s_cbranch_execz .LBB47_206
; %bb.1:
	s_clause 0x2
	s_load_b32 s2, s[0:1], 0x38
	s_load_b128 s[12:15], s[0:1], 0x10
	s_load_b128 s[4:7], s[0:1], 0x28
	s_getreg_b32 s9, hwreg(HW_REG_IB_STS2, 6, 4)
	s_wait_kmcnt 0x0
	s_bitcmp1_b32 s2, 8
	s_cselect_b32 s18, -1, 0
	s_bfe_u32 s3, ttmp6, 0x4000c
	s_and_b32 s8, ttmp6, 15
	s_add_co_i32 s3, s3, 1
	s_delay_alu instid0(SALU_CYCLE_1) | instskip(NEXT) | instid1(SALU_CYCLE_1)
	s_mul_i32 s3, ttmp9, s3
	s_add_co_i32 s8, s8, s3
	s_cmp_eq_u32 s9, 0
	s_cselect_b32 s16, ttmp9, s8
	s_bfe_u32 s2, s2, 0x10008
	s_ashr_i32 s17, s16, 31
	s_cmp_eq_u32 s2, 0
                                        ; implicit-def: $sgpr2_sgpr3
	s_cbranch_scc1 .LBB47_3
; %bb.2:
	s_load_b32 s2, s[0:1], 0x20
	s_mul_u64 s[4:5], s[4:5], s[16:17]
	s_delay_alu instid0(SALU_CYCLE_1) | instskip(NEXT) | instid1(SALU_CYCLE_1)
	s_lshl_b64 s[4:5], s[4:5], 2
	s_add_nc_u64 s[4:5], s[14:15], s[4:5]
	s_wait_kmcnt 0x0
	s_ashr_i32 s3, s2, 31
	s_delay_alu instid0(SALU_CYCLE_1) | instskip(NEXT) | instid1(SALU_CYCLE_1)
	s_lshl_b64 s[2:3], s[2:3], 2
	s_add_nc_u64 s[2:3], s[4:5], s[2:3]
.LBB47_3:
	s_clause 0x1
	s_load_b128 s[8:11], s[0:1], 0x0
	s_load_b32 s14, s[0:1], 0x38
	s_wait_xcnt 0x0
	s_mul_u64 s[0:1], s[12:13], s[16:17]
	v_mov_b32_e32 v99, 0
	s_lshl_b64 s[0:1], s[0:1], 3
	s_wait_kmcnt 0x0
	v_add3_u32 v4, s11, s11, v0
	s_ashr_i32 s5, s10, 31
	s_mov_b32 s4, s10
	s_add_nc_u64 s[0:1], s[8:9], s[0:1]
	s_lshl_b64 s[4:5], s[4:5], 3
	v_add_nc_u32_e32 v8, s11, v4
	s_add_nc_u64 s[4:5], s[0:1], s[4:5]
	s_ashr_i32 s1, s11, 31
	s_mov_b32 s0, s11
	s_bitcmp0_b32 s14, 0
	v_add_nc_u32_e32 v10, s11, v8
	s_delay_alu instid0(VALU_DEP_1) | instskip(NEXT) | instid1(VALU_DEP_1)
	v_add_nc_u32_e32 v12, s11, v10
	v_add_nc_u32_e32 v14, s11, v12
	s_delay_alu instid0(VALU_DEP_1) | instskip(NEXT) | instid1(VALU_DEP_1)
	v_add_nc_u32_e32 v16, s11, v14
	;; [unrolled: 3-line block ×14, first 2 shown]
	v_add_nc_u32_e32 v66, s11, v64
	s_delay_alu instid0(VALU_DEP_1) | instskip(NEXT) | instid1(VALU_DEP_1)
	v_dual_lshlrev_b32 v98, 3, v0 :: v_dual_add_nc_u32 v68, s11, v66
	v_add_nc_u64_e32 v[2:3], s[4:5], v[98:99]
	s_delay_alu instid0(VALU_DEP_2) | instskip(NEXT) | instid1(VALU_DEP_2)
	v_add_nc_u32_e32 v70, s11, v68
	v_lshl_add_u64 v[6:7], s[0:1], 3, v[2:3]
	s_mov_b32 s1, -1
	s_delay_alu instid0(VALU_DEP_2)
	v_add_nc_u32_e32 v72, s11, v70
	s_clause 0x9
	global_load_b64 v[100:101], v0, s[4:5] scale_offset
	global_load_b64 v[102:103], v[6:7], off
	global_load_b64 v[104:105], v4, s[4:5] scale_offset
	global_load_b64 v[106:107], v8, s[4:5] scale_offset
	;; [unrolled: 1-line block ×8, first 2 shown]
	v_add_nc_u32_e32 v74, s11, v72
	s_clause 0xf
	global_load_b64 v[120:121], v22, s[4:5] scale_offset
	global_load_b64 v[122:123], v24, s[4:5] scale_offset
	;; [unrolled: 1-line block ×16, first 2 shown]
	v_add_nc_u32_e32 v76, s11, v74
	s_clause 0x7
	global_load_b64 v[152:153], v54, s[4:5] scale_offset
	global_load_b64 v[154:155], v56, s[4:5] scale_offset
	;; [unrolled: 1-line block ×8, first 2 shown]
	v_add_nc_u32_e32 v78, s11, v76
	s_delay_alu instid0(VALU_DEP_1)
	v_add_nc_u32_e32 v80, s11, v78
	s_clause 0x3
	global_load_b64 v[168:169], v70, s[4:5] scale_offset
	global_load_b64 v[170:171], v72, s[4:5] scale_offset
	global_load_b64 v[172:173], v74, s[4:5] scale_offset
	global_load_b64 v[174:175], v76, s[4:5] scale_offset
	v_add_nc_u32_e32 v82, s11, v80
	s_delay_alu instid0(VALU_DEP_1) | instskip(NEXT) | instid1(VALU_DEP_1)
	v_add_nc_u32_e32 v84, s11, v82
	v_add_nc_u32_e32 v86, s11, v84
	s_delay_alu instid0(VALU_DEP_1)
	v_add_nc_u32_e32 v88, s11, v86
	s_clause 0x3
	global_load_b64 v[176:177], v78, s[4:5] scale_offset
	global_load_b64 v[178:179], v80, s[4:5] scale_offset
	;; [unrolled: 1-line block ×4, first 2 shown]
	v_add_nc_u32_e32 v90, s11, v88
	s_delay_alu instid0(VALU_DEP_1) | instskip(NEXT) | instid1(VALU_DEP_1)
	v_add_nc_u32_e32 v92, s11, v90
	v_add_nc_u32_e32 v94, s11, v92
	s_delay_alu instid0(VALU_DEP_1)
	v_add_nc_u32_e32 v96, s11, v94
	s_clause 0x5
	global_load_b64 v[184:185], v86, s[4:5] scale_offset
	global_load_b64 v[186:187], v88, s[4:5] scale_offset
	;; [unrolled: 1-line block ×6, first 2 shown]
	s_wait_loadcnt 0x2e
	scratch_store_b128 off, v[100:103], off
	s_wait_loadcnt 0x2c
	scratch_store_b128 off, v[104:107], off offset:16
	s_wait_loadcnt 0x2a
	scratch_store_b128 off, v[108:111], off offset:32
	;; [unrolled: 2-line block ×23, first 2 shown]
	s_cbranch_scc1 .LBB47_204
; %bb.4:
	v_cmp_eq_u32_e64 s0, 0, v0
	s_wait_xcnt 0x0
	s_and_saveexec_b32 s1, s0
; %bb.5:
	v_mov_b32_e32 v1, 0
	ds_store_b32 v1, v1 offset:768
; %bb.6:
	s_or_b32 exec_lo, exec_lo, s1
	s_wait_storecnt_dscnt 0x0
	s_barrier_signal -1
	s_barrier_wait -1
	scratch_load_b64 v[100:101], v0, off scale_offset
	s_wait_loadcnt 0x0
	v_cmp_eq_f32_e32 vcc_lo, 0, v100
	v_cmp_eq_f32_e64 s1, 0, v101
	s_and_b32 s1, vcc_lo, s1
	s_delay_alu instid0(SALU_CYCLE_1)
	s_and_saveexec_b32 s8, s1
	s_cbranch_execz .LBB47_10
; %bb.7:
	v_mov_b32_e32 v1, 0
	s_mov_b32 s9, 0
	ds_load_b32 v5, v1 offset:768
	s_wait_dscnt 0x0
	v_readfirstlane_b32 s1, v5
	v_add_nc_u32_e32 v5, 1, v0
	s_cmp_eq_u32 s1, 0
	s_delay_alu instid0(VALU_DEP_1) | instskip(SKIP_1) | instid1(SALU_CYCLE_1)
	v_cmp_gt_i32_e32 vcc_lo, s1, v5
	s_cselect_b32 s10, -1, 0
	s_or_b32 s10, s10, vcc_lo
	s_delay_alu instid0(SALU_CYCLE_1)
	s_and_b32 exec_lo, exec_lo, s10
	s_cbranch_execz .LBB47_10
; %bb.8:
	v_mov_b32_e32 v9, s1
.LBB47_9:                               ; =>This Inner Loop Header: Depth=1
	ds_cmpstore_rtn_b32 v9, v1, v5, v9 offset:768
	s_wait_dscnt 0x0
	v_cmp_ne_u32_e32 vcc_lo, 0, v9
	v_cmp_le_i32_e64 s1, v9, v5
	s_and_b32 s1, vcc_lo, s1
	s_delay_alu instid0(SALU_CYCLE_1) | instskip(NEXT) | instid1(SALU_CYCLE_1)
	s_and_b32 s1, exec_lo, s1
	s_or_b32 s9, s1, s9
	s_delay_alu instid0(SALU_CYCLE_1)
	s_and_not1_b32 exec_lo, exec_lo, s9
	s_cbranch_execnz .LBB47_9
.LBB47_10:
	s_or_b32 exec_lo, exec_lo, s8
	v_mov_b32_e32 v1, 0
	s_barrier_signal -1
	s_barrier_wait -1
	ds_load_b32 v5, v1 offset:768
	s_and_saveexec_b32 s1, s0
	s_cbranch_execz .LBB47_12
; %bb.11:
	s_lshl_b64 s[8:9], s[16:17], 2
	s_delay_alu instid0(SALU_CYCLE_1)
	s_add_nc_u64 s[8:9], s[6:7], s[8:9]
	s_wait_dscnt 0x0
	global_store_b32 v1, v5, s[8:9]
.LBB47_12:
	s_wait_xcnt 0x0
	s_or_b32 exec_lo, exec_lo, s1
	s_wait_dscnt 0x0
	v_cmp_ne_u32_e32 vcc_lo, 0, v5
	s_mov_b32 s1, 0
	s_cbranch_vccnz .LBB47_204
; %bb.13:
	v_lshl_add_u32 v5, v0, 3, 0
                                        ; implicit-def: $vgpr103
                                        ; implicit-def: $vgpr104
	scratch_load_b64 v[100:101], v5, off
	s_wait_loadcnt 0x0
	v_cmp_ngt_f32_e64 s1, |v100|, |v101|
	s_wait_xcnt 0x0
	s_and_saveexec_b32 s8, s1
	s_delay_alu instid0(SALU_CYCLE_1)
	s_xor_b32 s1, exec_lo, s8
	s_cbranch_execz .LBB47_15
; %bb.14:
	v_div_scale_f32 v1, null, v101, v101, v100
	v_div_scale_f32 v13, vcc_lo, v100, v101, v100
	s_delay_alu instid0(VALU_DEP_2) | instskip(SKIP_1) | instid1(TRANS32_DEP_1)
	v_rcp_f32_e32 v9, v1
	v_nop
	v_fma_f32 v11, -v1, v9, 1.0
	s_delay_alu instid0(VALU_DEP_1) | instskip(NEXT) | instid1(VALU_DEP_1)
	v_fmac_f32_e32 v9, v11, v9
	v_mul_f32_e32 v11, v13, v9
	s_delay_alu instid0(VALU_DEP_1) | instskip(NEXT) | instid1(VALU_DEP_1)
	v_fma_f32 v15, -v1, v11, v13
	v_fmac_f32_e32 v11, v15, v9
	s_delay_alu instid0(VALU_DEP_1) | instskip(NEXT) | instid1(VALU_DEP_1)
	v_fma_f32 v1, -v1, v11, v13
	v_div_fmas_f32 v1, v1, v9, v11
	s_delay_alu instid0(VALU_DEP_1) | instskip(NEXT) | instid1(VALU_DEP_1)
	v_div_fixup_f32 v1, v1, v101, v100
	v_fmac_f32_e32 v101, v100, v1
	s_delay_alu instid0(VALU_DEP_1) | instskip(NEXT) | instid1(VALU_DEP_1)
	v_div_scale_f32 v9, null, v101, v101, -1.0
	v_rcp_f32_e32 v11, v9
	v_nop
	s_delay_alu instid0(TRANS32_DEP_1) | instskip(NEXT) | instid1(VALU_DEP_1)
	v_fma_f32 v13, -v9, v11, 1.0
	v_fmac_f32_e32 v11, v13, v11
	v_div_scale_f32 v13, vcc_lo, -1.0, v101, -1.0
	s_delay_alu instid0(VALU_DEP_1) | instskip(NEXT) | instid1(VALU_DEP_1)
	v_mul_f32_e32 v15, v13, v11
	v_fma_f32 v17, -v9, v15, v13
	s_delay_alu instid0(VALU_DEP_1) | instskip(NEXT) | instid1(VALU_DEP_1)
	v_fmac_f32_e32 v15, v17, v11
	v_fma_f32 v9, -v9, v15, v13
	s_delay_alu instid0(VALU_DEP_1) | instskip(NEXT) | instid1(VALU_DEP_1)
	v_div_fmas_f32 v9, v9, v11, v15
	v_div_fixup_f32 v103, v9, v101, -1.0
                                        ; implicit-def: $vgpr100_vgpr101
	s_delay_alu instid0(VALU_DEP_1) | instskip(NEXT) | instid1(VALU_DEP_1)
	v_mul_f32_e32 v104, v1, v103
	v_xor_b32_e32 v102, 0x80000000, v104
.LBB47_15:
	s_and_not1_saveexec_b32 s1, s1
	s_cbranch_execz .LBB47_17
; %bb.16:
	v_div_scale_f32 v1, null, v100, v100, v101
	v_div_scale_f32 v13, vcc_lo, v101, v100, v101
	s_delay_alu instid0(VALU_DEP_2) | instskip(SKIP_1) | instid1(TRANS32_DEP_1)
	v_rcp_f32_e32 v9, v1
	v_nop
	v_fma_f32 v11, -v1, v9, 1.0
	s_delay_alu instid0(VALU_DEP_1) | instskip(NEXT) | instid1(VALU_DEP_1)
	v_fmac_f32_e32 v9, v11, v9
	v_mul_f32_e32 v11, v13, v9
	s_delay_alu instid0(VALU_DEP_1) | instskip(NEXT) | instid1(VALU_DEP_1)
	v_fma_f32 v15, -v1, v11, v13
	v_fmac_f32_e32 v11, v15, v9
	s_delay_alu instid0(VALU_DEP_1) | instskip(NEXT) | instid1(VALU_DEP_1)
	v_fma_f32 v1, -v1, v11, v13
	v_div_fmas_f32 v1, v1, v9, v11
	s_delay_alu instid0(VALU_DEP_1) | instskip(NEXT) | instid1(VALU_DEP_1)
	v_div_fixup_f32 v1, v1, v100, v101
	v_fmac_f32_e32 v100, v101, v1
	s_delay_alu instid0(VALU_DEP_1) | instskip(SKIP_1) | instid1(VALU_DEP_2)
	v_div_scale_f32 v9, null, v100, v100, 1.0
	v_div_scale_f32 v15, vcc_lo, 1.0, v100, 1.0
	v_rcp_f32_e32 v11, v9
	v_nop
	s_delay_alu instid0(TRANS32_DEP_1) | instskip(NEXT) | instid1(VALU_DEP_1)
	v_fma_f32 v13, -v9, v11, 1.0
	v_fmac_f32_e32 v11, v13, v11
	s_delay_alu instid0(VALU_DEP_1) | instskip(NEXT) | instid1(VALU_DEP_1)
	v_mul_f32_e32 v13, v15, v11
	v_fma_f32 v17, -v9, v13, v15
	s_delay_alu instid0(VALU_DEP_1) | instskip(NEXT) | instid1(VALU_DEP_1)
	v_fmac_f32_e32 v13, v17, v11
	v_fma_f32 v9, -v9, v13, v15
	s_delay_alu instid0(VALU_DEP_1) | instskip(NEXT) | instid1(VALU_DEP_1)
	v_div_fmas_f32 v9, v9, v11, v13
	v_div_fixup_f32 v102, v9, v100, 1.0
	s_delay_alu instid0(VALU_DEP_1)
	v_xor_b32_e32 v104, 0x80000000, v102
	v_mul_f32_e64 v103, v1, -v102
.LBB47_17:
	s_or_b32 exec_lo, exec_lo, s1
	scratch_store_b64 v5, v[102:103], off
	scratch_load_b64 v[100:101], off, off offset:8
	v_xor_b32_e32 v105, 0x80000000, v103
	v_add_nc_u32_e32 v1, 0x180, v98
	s_wait_loadcnt 0x0
	ds_store_2addr_b64 v98, v[104:105], v[100:101] offset1:48
	s_wait_storecnt_dscnt 0x0
	s_barrier_signal -1
	s_barrier_wait -1
	s_wait_xcnt 0x0
	s_and_saveexec_b32 s1, s0
	s_cbranch_execz .LBB47_19
; %bb.18:
	scratch_load_b64 v[100:101], v5, off
	ds_load_b64 v[102:103], v1
	s_wait_loadcnt_dscnt 0x0
	v_pk_mul_f32 v[106:107], v[102:103], v[100:101] op_sel:[1,1] op_sel_hi:[0,1]
	s_delay_alu instid0(VALU_DEP_1) | instskip(SKIP_2) | instid1(VALU_DEP_3)
	v_pk_fma_f32 v[108:109], v[102:103], v[100:101], v[106:107] op_sel_hi:[1,0,1]
	v_mov_b32_e32 v9, 0
	v_pk_fma_f32 v[100:101], v[102:103], v[100:101], v[106:107] neg_lo:[0,0,1] neg_hi:[0,0,1]
	v_mov_b32_e32 v101, v109
	ds_load_b64 v[104:105], v9 offset:8
	v_pk_add_f32 v[100:101], v[100:101], 0 op_sel_hi:[1,0]
	s_wait_dscnt 0x0
	s_delay_alu instid0(VALU_DEP_1) | instskip(NEXT) | instid1(VALU_DEP_1)
	v_pk_mul_f32 v[102:103], v[100:101], v[104:105] op_sel:[1,1] op_sel_hi:[0,1]
	v_pk_fma_f32 v[106:107], v[100:101], v[104:105], v[102:103] op_sel_hi:[1,0,1]
	v_pk_fma_f32 v[100:101], v[100:101], v[104:105], v[102:103] neg_lo:[0,0,1] neg_hi:[0,0,1]
	s_delay_alu instid0(VALU_DEP_2)
	v_mov_b32_e32 v101, v107
	scratch_store_b64 off, v[100:101], off offset:8
.LBB47_19:
	s_wait_xcnt 0x0
	s_or_b32 exec_lo, exec_lo, s1
	s_wait_storecnt 0x0
	s_barrier_signal -1
	s_barrier_wait -1
	scratch_load_b64 v[100:101], off, off offset:16
	s_mov_b32 s1, exec_lo
	s_wait_loadcnt 0x0
	ds_store_b64 v1, v[100:101]
	s_wait_dscnt 0x0
	s_barrier_signal -1
	s_barrier_wait -1
	v_cmpx_gt_u32_e32 2, v0
	s_cbranch_execz .LBB47_23
; %bb.20:
	scratch_load_b64 v[100:101], v5, off
	ds_load_b64 v[102:103], v1
	s_wait_loadcnt_dscnt 0x0
	v_pk_mul_f32 v[104:105], v[102:103], v[100:101] op_sel:[1,1] op_sel_hi:[0,1]
	s_delay_alu instid0(VALU_DEP_1) | instskip(SKIP_1) | instid1(VALU_DEP_2)
	v_pk_fma_f32 v[106:107], v[102:103], v[100:101], v[104:105] op_sel_hi:[1,0,1]
	v_pk_fma_f32 v[100:101], v[102:103], v[100:101], v[104:105] neg_lo:[0,0,1] neg_hi:[0,0,1]
	v_mov_b32_e32 v101, v107
	s_delay_alu instid0(VALU_DEP_1)
	v_pk_add_f32 v[100:101], v[100:101], 0 op_sel_hi:[1,0]
	s_and_saveexec_b32 s8, s0
	s_cbranch_execz .LBB47_22
; %bb.21:
	scratch_load_b64 v[102:103], off, off offset:8
	v_mov_b32_e32 v5, 0
	ds_load_b64 v[104:105], v5 offset:392
	s_wait_loadcnt_dscnt 0x0
	v_pk_mul_f32 v[106:107], v[104:105], v[102:103] op_sel:[1,1] op_sel_hi:[0,1]
	s_delay_alu instid0(VALU_DEP_1) | instskip(SKIP_1) | instid1(VALU_DEP_2)
	v_pk_fma_f32 v[108:109], v[104:105], v[102:103], v[106:107] op_sel_hi:[1,0,1]
	v_pk_fma_f32 v[102:103], v[104:105], v[102:103], v[106:107] neg_lo:[0,0,1] neg_hi:[0,0,1]
	v_mov_b32_e32 v103, v109
	s_delay_alu instid0(VALU_DEP_1)
	v_pk_add_f32 v[100:101], v[100:101], v[102:103]
.LBB47_22:
	s_or_b32 exec_lo, exec_lo, s8
	v_mov_b32_e32 v5, 0
	ds_load_b64 v[102:103], v5 offset:16
	s_wait_dscnt 0x0
	v_pk_mul_f32 v[104:105], v[100:101], v[102:103] op_sel:[1,1] op_sel_hi:[0,1]
	s_delay_alu instid0(VALU_DEP_1) | instskip(SKIP_1) | instid1(VALU_DEP_2)
	v_pk_fma_f32 v[106:107], v[100:101], v[102:103], v[104:105] op_sel_hi:[1,0,1]
	v_pk_fma_f32 v[100:101], v[100:101], v[102:103], v[104:105] neg_lo:[0,0,1] neg_hi:[0,0,1]
	v_mov_b32_e32 v101, v107
	scratch_store_b64 off, v[100:101], off offset:16
.LBB47_23:
	s_wait_xcnt 0x0
	s_or_b32 exec_lo, exec_lo, s1
	s_wait_storecnt 0x0
	s_barrier_signal -1
	s_barrier_wait -1
	scratch_load_b64 v[100:101], off, off offset:24
	v_add_nc_u32_e32 v5, -1, v0
	s_mov_b32 s0, exec_lo
	s_wait_loadcnt 0x0
	ds_store_b64 v1, v[100:101]
	s_wait_dscnt 0x0
	s_barrier_signal -1
	s_barrier_wait -1
	v_cmpx_gt_u32_e32 3, v0
	s_cbranch_execz .LBB47_27
; %bb.24:
	v_dual_mov_b32 v100, 0 :: v_dual_add_nc_u32 v9, -1, v0
	v_add_nc_u32_e32 v11, 0x180, v98
	v_mov_b32_e32 v13, v98
	s_mov_b32 s1, 0
	s_delay_alu instid0(VALU_DEP_3)
	v_mov_b32_e32 v101, v100
.LBB47_25:                              ; =>This Inner Loop Header: Depth=1
	scratch_load_b64 v[102:103], v13, off
	ds_load_b64 v[104:105], v11
	s_wait_xcnt 0x0
	v_dual_add_nc_u32 v11, 8, v11 :: v_dual_add_nc_u32 v13, 8, v13
	s_wait_loadcnt_dscnt 0x0
	v_pk_mul_f32 v[106:107], v[104:105], v[102:103] op_sel:[1,1] op_sel_hi:[0,1]
	s_delay_alu instid0(VALU_DEP_1) | instskip(SKIP_2) | instid1(VALU_DEP_3)
	v_pk_fma_f32 v[108:109], v[104:105], v[102:103], v[106:107] op_sel_hi:[1,0,1]
	v_add_nc_u32_e32 v9, 1, v9
	v_pk_fma_f32 v[102:103], v[104:105], v[102:103], v[106:107] neg_lo:[0,0,1] neg_hi:[0,0,1]
	v_mov_b32_e32 v103, v109
	s_delay_alu instid0(VALU_DEP_3) | instskip(NEXT) | instid1(VALU_DEP_2)
	v_cmp_lt_u32_e32 vcc_lo, 1, v9
	v_pk_add_f32 v[100:101], v[100:101], v[102:103]
	s_or_b32 s1, vcc_lo, s1
	s_delay_alu instid0(SALU_CYCLE_1)
	s_and_not1_b32 exec_lo, exec_lo, s1
	s_cbranch_execnz .LBB47_25
; %bb.26:
	s_or_b32 exec_lo, exec_lo, s1
	v_mov_b32_e32 v9, 0
	ds_load_b64 v[102:103], v9 offset:24
	s_wait_dscnt 0x0
	v_pk_mul_f32 v[104:105], v[100:101], v[102:103] op_sel:[1,1] op_sel_hi:[0,1]
	s_delay_alu instid0(VALU_DEP_1) | instskip(SKIP_1) | instid1(VALU_DEP_2)
	v_pk_fma_f32 v[106:107], v[100:101], v[102:103], v[104:105] op_sel_hi:[1,0,1]
	v_pk_fma_f32 v[100:101], v[100:101], v[102:103], v[104:105] neg_lo:[0,0,1] neg_hi:[0,0,1]
	v_mov_b32_e32 v101, v107
	scratch_store_b64 off, v[100:101], off offset:24
.LBB47_27:
	s_wait_xcnt 0x0
	s_or_b32 exec_lo, exec_lo, s0
	s_wait_storecnt 0x0
	s_barrier_signal -1
	s_barrier_wait -1
	scratch_load_b64 v[100:101], off, off offset:32
	s_mov_b32 s0, exec_lo
	s_wait_loadcnt 0x0
	ds_store_b64 v1, v[100:101]
	s_wait_dscnt 0x0
	s_barrier_signal -1
	s_barrier_wait -1
	v_cmpx_gt_u32_e32 4, v0
	s_cbranch_execz .LBB47_31
; %bb.28:
	v_dual_mov_b32 v100, 0 :: v_dual_add_nc_u32 v9, -1, v0
	v_add_nc_u32_e32 v11, 0x180, v98
	v_mov_b32_e32 v13, v98
	s_mov_b32 s1, 0
	s_delay_alu instid0(VALU_DEP_3)
	v_mov_b32_e32 v101, v100
.LBB47_29:                              ; =>This Inner Loop Header: Depth=1
	scratch_load_b64 v[102:103], v13, off
	ds_load_b64 v[104:105], v11
	s_wait_xcnt 0x0
	v_dual_add_nc_u32 v11, 8, v11 :: v_dual_add_nc_u32 v13, 8, v13
	s_wait_loadcnt_dscnt 0x0
	v_pk_mul_f32 v[106:107], v[104:105], v[102:103] op_sel:[1,1] op_sel_hi:[0,1]
	s_delay_alu instid0(VALU_DEP_1) | instskip(SKIP_2) | instid1(VALU_DEP_3)
	v_pk_fma_f32 v[108:109], v[104:105], v[102:103], v[106:107] op_sel_hi:[1,0,1]
	v_add_nc_u32_e32 v9, 1, v9
	v_pk_fma_f32 v[102:103], v[104:105], v[102:103], v[106:107] neg_lo:[0,0,1] neg_hi:[0,0,1]
	v_mov_b32_e32 v103, v109
	s_delay_alu instid0(VALU_DEP_3) | instskip(NEXT) | instid1(VALU_DEP_2)
	v_cmp_lt_u32_e32 vcc_lo, 2, v9
	v_pk_add_f32 v[100:101], v[100:101], v[102:103]
	s_or_b32 s1, vcc_lo, s1
	s_delay_alu instid0(SALU_CYCLE_1)
	s_and_not1_b32 exec_lo, exec_lo, s1
	s_cbranch_execnz .LBB47_29
; %bb.30:
	s_or_b32 exec_lo, exec_lo, s1
	v_mov_b32_e32 v9, 0
	ds_load_b64 v[102:103], v9 offset:32
	s_wait_dscnt 0x0
	v_pk_mul_f32 v[104:105], v[100:101], v[102:103] op_sel:[1,1] op_sel_hi:[0,1]
	s_delay_alu instid0(VALU_DEP_1) | instskip(SKIP_1) | instid1(VALU_DEP_2)
	v_pk_fma_f32 v[106:107], v[100:101], v[102:103], v[104:105] op_sel_hi:[1,0,1]
	v_pk_fma_f32 v[100:101], v[100:101], v[102:103], v[104:105] neg_lo:[0,0,1] neg_hi:[0,0,1]
	v_mov_b32_e32 v101, v107
	scratch_store_b64 off, v[100:101], off offset:32
.LBB47_31:
	s_wait_xcnt 0x0
	s_or_b32 exec_lo, exec_lo, s0
	s_wait_storecnt 0x0
	s_barrier_signal -1
	s_barrier_wait -1
	scratch_load_b64 v[100:101], off, off offset:40
	;; [unrolled: 52-line block ×19, first 2 shown]
	s_mov_b32 s0, exec_lo
	s_wait_loadcnt 0x0
	ds_store_b64 v1, v[100:101]
	s_wait_dscnt 0x0
	s_barrier_signal -1
	s_barrier_wait -1
	v_cmpx_gt_u32_e32 22, v0
	s_cbranch_execz .LBB47_103
; %bb.100:
	v_dual_mov_b32 v100, 0 :: v_dual_add_nc_u32 v9, -1, v0
	v_add_nc_u32_e32 v11, 0x180, v98
	v_mov_b32_e32 v13, v98
	s_mov_b32 s1, 0
	s_delay_alu instid0(VALU_DEP_3)
	v_mov_b32_e32 v101, v100
.LBB47_101:                             ; =>This Inner Loop Header: Depth=1
	scratch_load_b64 v[102:103], v13, off
	ds_load_b64 v[104:105], v11
	s_wait_xcnt 0x0
	v_dual_add_nc_u32 v11, 8, v11 :: v_dual_add_nc_u32 v13, 8, v13
	s_wait_loadcnt_dscnt 0x0
	v_pk_mul_f32 v[106:107], v[104:105], v[102:103] op_sel:[1,1] op_sel_hi:[0,1]
	s_delay_alu instid0(VALU_DEP_1) | instskip(SKIP_2) | instid1(VALU_DEP_3)
	v_pk_fma_f32 v[108:109], v[104:105], v[102:103], v[106:107] op_sel_hi:[1,0,1]
	v_add_nc_u32_e32 v9, 1, v9
	v_pk_fma_f32 v[102:103], v[104:105], v[102:103], v[106:107] neg_lo:[0,0,1] neg_hi:[0,0,1]
	v_mov_b32_e32 v103, v109
	s_delay_alu instid0(VALU_DEP_3) | instskip(NEXT) | instid1(VALU_DEP_2)
	v_cmp_lt_u32_e32 vcc_lo, 20, v9
	v_pk_add_f32 v[100:101], v[100:101], v[102:103]
	s_or_b32 s1, vcc_lo, s1
	s_delay_alu instid0(SALU_CYCLE_1)
	s_and_not1_b32 exec_lo, exec_lo, s1
	s_cbranch_execnz .LBB47_101
; %bb.102:
	s_or_b32 exec_lo, exec_lo, s1
	v_mov_b32_e32 v9, 0
	ds_load_b64 v[102:103], v9 offset:176
	s_wait_dscnt 0x0
	v_pk_mul_f32 v[104:105], v[100:101], v[102:103] op_sel:[1,1] op_sel_hi:[0,1]
	s_delay_alu instid0(VALU_DEP_1) | instskip(SKIP_1) | instid1(VALU_DEP_2)
	v_pk_fma_f32 v[106:107], v[100:101], v[102:103], v[104:105] op_sel_hi:[1,0,1]
	v_pk_fma_f32 v[100:101], v[100:101], v[102:103], v[104:105] neg_lo:[0,0,1] neg_hi:[0,0,1]
	v_mov_b32_e32 v101, v107
	scratch_store_b64 off, v[100:101], off offset:176
.LBB47_103:
	s_wait_xcnt 0x0
	s_or_b32 exec_lo, exec_lo, s0
	s_wait_storecnt 0x0
	s_barrier_signal -1
	s_barrier_wait -1
	scratch_load_b64 v[100:101], off, off offset:184
	s_mov_b32 s0, exec_lo
	s_wait_loadcnt 0x0
	ds_store_b64 v1, v[100:101]
	s_wait_dscnt 0x0
	s_barrier_signal -1
	s_barrier_wait -1
	v_cmpx_gt_u32_e32 23, v0
	s_cbranch_execz .LBB47_107
; %bb.104:
	v_dual_mov_b32 v100, 0 :: v_dual_add_nc_u32 v9, -1, v0
	v_add_nc_u32_e32 v11, 0x180, v98
	v_mov_b32_e32 v13, v98
	s_mov_b32 s1, 0
	s_delay_alu instid0(VALU_DEP_3)
	v_mov_b32_e32 v101, v100
.LBB47_105:                             ; =>This Inner Loop Header: Depth=1
	scratch_load_b64 v[102:103], v13, off
	ds_load_b64 v[104:105], v11
	s_wait_xcnt 0x0
	v_dual_add_nc_u32 v11, 8, v11 :: v_dual_add_nc_u32 v13, 8, v13
	s_wait_loadcnt_dscnt 0x0
	v_pk_mul_f32 v[106:107], v[104:105], v[102:103] op_sel:[1,1] op_sel_hi:[0,1]
	s_delay_alu instid0(VALU_DEP_1) | instskip(SKIP_2) | instid1(VALU_DEP_3)
	v_pk_fma_f32 v[108:109], v[104:105], v[102:103], v[106:107] op_sel_hi:[1,0,1]
	v_add_nc_u32_e32 v9, 1, v9
	v_pk_fma_f32 v[102:103], v[104:105], v[102:103], v[106:107] neg_lo:[0,0,1] neg_hi:[0,0,1]
	v_mov_b32_e32 v103, v109
	s_delay_alu instid0(VALU_DEP_3) | instskip(NEXT) | instid1(VALU_DEP_2)
	v_cmp_lt_u32_e32 vcc_lo, 21, v9
	v_pk_add_f32 v[100:101], v[100:101], v[102:103]
	s_or_b32 s1, vcc_lo, s1
	s_delay_alu instid0(SALU_CYCLE_1)
	s_and_not1_b32 exec_lo, exec_lo, s1
	s_cbranch_execnz .LBB47_105
; %bb.106:
	s_or_b32 exec_lo, exec_lo, s1
	v_mov_b32_e32 v9, 0
	ds_load_b64 v[102:103], v9 offset:184
	s_wait_dscnt 0x0
	v_pk_mul_f32 v[104:105], v[100:101], v[102:103] op_sel:[1,1] op_sel_hi:[0,1]
	s_delay_alu instid0(VALU_DEP_1) | instskip(SKIP_1) | instid1(VALU_DEP_2)
	v_pk_fma_f32 v[106:107], v[100:101], v[102:103], v[104:105] op_sel_hi:[1,0,1]
	v_pk_fma_f32 v[100:101], v[100:101], v[102:103], v[104:105] neg_lo:[0,0,1] neg_hi:[0,0,1]
	v_mov_b32_e32 v101, v107
	scratch_store_b64 off, v[100:101], off offset:184
.LBB47_107:
	s_wait_xcnt 0x0
	s_or_b32 exec_lo, exec_lo, s0
	s_wait_storecnt 0x0
	s_barrier_signal -1
	s_barrier_wait -1
	scratch_load_b64 v[100:101], off, off offset:192
	;; [unrolled: 52-line block ×25, first 2 shown]
	s_mov_b32 s0, exec_lo
	s_wait_loadcnt 0x0
	ds_store_b64 v1, v[100:101]
	s_wait_dscnt 0x0
	s_barrier_signal -1
	s_barrier_wait -1
	v_cmpx_ne_u32_e32 47, v0
	s_cbranch_execz .LBB47_203
; %bb.200:
	v_dual_mov_b32 v100, 0 :: v_dual_mov_b32 v9, v98
	s_mov_b32 s1, 0
	s_delay_alu instid0(VALU_DEP_1)
	v_mov_b32_e32 v101, v100
.LBB47_201:                             ; =>This Inner Loop Header: Depth=1
	scratch_load_b64 v[98:99], v9, off
	ds_load_b64 v[102:103], v1
	v_add_nc_u32_e32 v1, 8, v1
	s_wait_xcnt 0x0
	v_add_nc_u32_e32 v9, 8, v9
	s_wait_loadcnt_dscnt 0x0
	v_pk_mul_f32 v[104:105], v[102:103], v[98:99] op_sel:[1,1] op_sel_hi:[0,1]
	s_delay_alu instid0(VALU_DEP_1) | instskip(SKIP_2) | instid1(VALU_DEP_3)
	v_pk_fma_f32 v[106:107], v[102:103], v[98:99], v[104:105] op_sel_hi:[1,0,1]
	v_add_nc_u32_e32 v5, 1, v5
	v_pk_fma_f32 v[98:99], v[102:103], v[98:99], v[104:105] neg_lo:[0,0,1] neg_hi:[0,0,1]
	v_mov_b32_e32 v99, v107
	s_delay_alu instid0(VALU_DEP_3) | instskip(NEXT) | instid1(VALU_DEP_2)
	v_cmp_lt_u32_e32 vcc_lo, 45, v5
	v_pk_add_f32 v[100:101], v[100:101], v[98:99]
	s_or_b32 s1, vcc_lo, s1
	s_delay_alu instid0(SALU_CYCLE_1)
	s_and_not1_b32 exec_lo, exec_lo, s1
	s_cbranch_execnz .LBB47_201
; %bb.202:
	s_or_b32 exec_lo, exec_lo, s1
	v_mov_b32_e32 v1, 0
	ds_load_b64 v[98:99], v1 offset:376
	s_wait_dscnt 0x0
	v_pk_mul_f32 v[102:103], v[100:101], v[98:99] op_sel:[1,1] op_sel_hi:[0,1]
	s_delay_alu instid0(VALU_DEP_1) | instskip(SKIP_1) | instid1(VALU_DEP_2)
	v_pk_fma_f32 v[104:105], v[100:101], v[98:99], v[102:103] op_sel_hi:[1,0,1]
	v_pk_fma_f32 v[98:99], v[100:101], v[98:99], v[102:103] neg_lo:[0,0,1] neg_hi:[0,0,1]
	v_mov_b32_e32 v99, v105
	scratch_store_b64 off, v[98:99], off offset:376
.LBB47_203:
	s_wait_xcnt 0x0
	s_or_b32 exec_lo, exec_lo, s0
	s_mov_b32 s1, -1
	s_wait_storecnt 0x0
	s_barrier_signal -1
	s_barrier_wait -1
.LBB47_204:
	s_and_b32 vcc_lo, exec_lo, s1
	s_cbranch_vccz .LBB47_206
; %bb.205:
	v_mov_b32_e32 v1, 0
	s_lshl_b64 s[0:1], s[16:17], 2
	s_delay_alu instid0(SALU_CYCLE_1)
	s_add_nc_u64 s[0:1], s[6:7], s[0:1]
	global_load_b32 v1, v1, s[0:1]
	s_wait_loadcnt 0x0
	v_cmp_ne_u32_e32 vcc_lo, 0, v1
	s_cbranch_vccz .LBB47_207
.LBB47_206:
	s_sendmsg sendmsg(MSG_DEALLOC_VGPRS)
	s_endpgm
.LBB47_207:
	s_wait_xcnt 0x0
	v_lshl_add_u32 v1, v0, 3, 0x180
	s_mov_b32 s0, exec_lo
	v_cmpx_eq_u32_e32 47, v0
	s_cbranch_execz .LBB47_209
; %bb.208:
	scratch_load_b64 v[98:99], off, off offset:368
	v_mov_b64_e32 v[100:101], 0
	scratch_store_b64 off, v[100:101], off offset:368
	s_wait_loadcnt 0x0
	ds_store_b64 v1, v[98:99]
.LBB47_209:
	s_wait_xcnt 0x0
	s_or_b32 exec_lo, exec_lo, s0
	s_wait_storecnt_dscnt 0x0
	s_barrier_signal -1
	s_barrier_wait -1
	s_clause 0x1
	scratch_load_b64 v[98:99], off, off offset:376
	scratch_load_b64 v[100:101], off, off offset:368
	v_mov_b32_e32 v5, 0
	s_mov_b32 s0, exec_lo
	ds_load_b64 v[102:103], v5 offset:760
	s_wait_loadcnt_dscnt 0x100
	v_pk_mul_f32 v[104:105], v[102:103], v[98:99] op_sel:[1,1] op_sel_hi:[0,1]
	s_delay_alu instid0(VALU_DEP_1) | instskip(SKIP_1) | instid1(VALU_DEP_2)
	v_pk_fma_f32 v[106:107], v[102:103], v[98:99], v[104:105] op_sel_hi:[1,0,1]
	v_pk_fma_f32 v[98:99], v[102:103], v[98:99], v[104:105] neg_lo:[0,0,1] neg_hi:[0,0,1]
	v_mov_b32_e32 v99, v107
	s_delay_alu instid0(VALU_DEP_1) | instskip(SKIP_1) | instid1(VALU_DEP_1)
	v_pk_add_f32 v[98:99], v[98:99], 0 op_sel_hi:[1,0]
	s_wait_loadcnt 0x0
	v_pk_add_f32 v[98:99], v[100:101], v[98:99] neg_lo:[0,1] neg_hi:[0,1]
	scratch_store_b64 off, v[98:99], off offset:368
	s_wait_xcnt 0x0
	v_cmpx_lt_u32_e32 45, v0
	s_cbranch_execz .LBB47_211
; %bb.210:
	scratch_load_b64 v[98:99], off, off offset:360
	v_mov_b64_e32 v[100:101], 0
	scratch_store_b64 off, v[100:101], off offset:360
	s_wait_loadcnt 0x0
	ds_store_b64 v1, v[98:99]
.LBB47_211:
	s_wait_xcnt 0x0
	s_or_b32 exec_lo, exec_lo, s0
	s_wait_storecnt_dscnt 0x0
	s_barrier_signal -1
	s_barrier_wait -1
	s_clause 0x1
	scratch_load_b128 v[98:101], off, off offset:368
	scratch_load_b64 v[106:107], off, off offset:360
	ds_load_b128 v[102:105], v5 offset:752
	s_mov_b32 s0, exec_lo
	s_wait_dscnt 0x0
	v_dual_mov_b32 v108, v105 :: v_dual_mov_b32 v109, v104
	s_wait_loadcnt 0x1
	v_pk_mul_f32 v[110:111], v[102:103], v[98:99] op_sel:[1,1] op_sel_hi:[0,1]
	s_delay_alu instid0(VALU_DEP_1) | instskip(SKIP_2) | instid1(VALU_DEP_3)
	v_pk_fma_f32 v[114:115], v[102:103], v[98:99], v[110:111] op_sel_hi:[1,0,1]
	v_mov_b32_e32 v112, v101
	v_pk_fma_f32 v[98:99], v[102:103], v[98:99], v[110:111] neg_lo:[0,0,1] neg_hi:[0,0,1]
	v_mov_b32_e32 v99, v115
	s_delay_alu instid0(VALU_DEP_3) | instskip(NEXT) | instid1(VALU_DEP_2)
	v_pk_mul_f32 v[108:109], v[108:109], v[112:113] op_sel_hi:[1,0]
	v_pk_add_f32 v[98:99], v[98:99], 0 op_sel_hi:[1,0]
	s_delay_alu instid0(VALU_DEP_2) | instskip(SKIP_1) | instid1(VALU_DEP_2)
	v_pk_fma_f32 v[102:103], v[104:105], v[100:101], v[108:109] op_sel_hi:[1,0,1]
	v_pk_fma_f32 v[100:101], v[104:105], v[100:101], v[108:109] neg_lo:[0,0,1] neg_hi:[0,0,1]
	v_mov_b32_e32 v101, v103
	s_delay_alu instid0(VALU_DEP_1) | instskip(SKIP_1) | instid1(VALU_DEP_1)
	v_pk_add_f32 v[98:99], v[98:99], v[100:101]
	s_wait_loadcnt 0x0
	v_pk_add_f32 v[98:99], v[106:107], v[98:99] neg_lo:[0,1] neg_hi:[0,1]
	scratch_store_b64 off, v[98:99], off offset:360
	s_wait_xcnt 0x0
	v_cmpx_lt_u32_e32 44, v0
	s_cbranch_execz .LBB47_213
; %bb.212:
	scratch_load_b64 v[98:99], off, off offset:352
	v_mov_b64_e32 v[100:101], 0
	scratch_store_b64 off, v[100:101], off offset:352
	s_wait_loadcnt 0x0
	ds_store_b64 v1, v[98:99]
.LBB47_213:
	s_wait_xcnt 0x0
	s_or_b32 exec_lo, exec_lo, s0
	s_wait_storecnt_dscnt 0x0
	s_barrier_signal -1
	s_barrier_wait -1
	s_clause 0x2
	scratch_load_b128 v[98:101], off, off offset:360
	scratch_load_b64 v[106:107], off, off offset:376
	scratch_load_b64 v[108:109], off, off offset:352
	v_mov_b32_e32 v5, 0
	ds_load_2addr_b64 v[102:105], v5 offset0:93 offset1:94
	ds_load_b64 v[110:111], v5 offset:760
	s_mov_b32 s0, exec_lo
	s_wait_dscnt 0x1
	v_dual_mov_b32 v112, v105 :: v_dual_mov_b32 v113, v104
	s_wait_loadcnt 0x2
	v_mov_b32_e32 v116, v101
	v_pk_mul_f32 v[114:115], v[102:103], v[98:99] op_sel:[1,1] op_sel_hi:[0,1]
	s_delay_alu instid0(VALU_DEP_2) | instskip(NEXT) | instid1(VALU_DEP_2)
	v_pk_mul_f32 v[112:113], v[112:113], v[116:117] op_sel_hi:[1,0]
	v_pk_fma_f32 v[118:119], v[102:103], v[98:99], v[114:115] op_sel_hi:[1,0,1]
	v_pk_fma_f32 v[98:99], v[102:103], v[98:99], v[114:115] neg_lo:[0,0,1] neg_hi:[0,0,1]
	s_wait_loadcnt_dscnt 0x100
	v_pk_mul_f32 v[114:115], v[110:111], v[106:107] op_sel:[1,1] op_sel_hi:[0,1]
	v_pk_fma_f32 v[102:103], v[104:105], v[100:101], v[112:113] op_sel_hi:[1,0,1]
	v_mov_b32_e32 v99, v119
	v_pk_fma_f32 v[100:101], v[104:105], v[100:101], v[112:113] neg_lo:[0,0,1] neg_hi:[0,0,1]
	s_delay_alu instid0(VALU_DEP_4) | instskip(NEXT) | instid1(VALU_DEP_4)
	v_pk_fma_f32 v[104:105], v[110:111], v[106:107], v[114:115] neg_lo:[0,0,1] neg_hi:[0,0,1]
	v_mov_b32_e32 v101, v103
	s_delay_alu instid0(VALU_DEP_4) | instskip(SKIP_1) | instid1(VALU_DEP_2)
	v_pk_add_f32 v[98:99], v[98:99], 0 op_sel_hi:[1,0]
	v_pk_fma_f32 v[102:103], v[110:111], v[106:107], v[114:115] op_sel_hi:[1,0,1]
	v_pk_add_f32 v[98:99], v[98:99], v[100:101]
	s_delay_alu instid0(VALU_DEP_2) | instskip(NEXT) | instid1(VALU_DEP_1)
	v_mov_b32_e32 v105, v103
	v_pk_add_f32 v[98:99], v[98:99], v[104:105]
	s_wait_loadcnt 0x0
	s_delay_alu instid0(VALU_DEP_1)
	v_pk_add_f32 v[98:99], v[108:109], v[98:99] neg_lo:[0,1] neg_hi:[0,1]
	scratch_store_b64 off, v[98:99], off offset:352
	s_wait_xcnt 0x0
	v_cmpx_lt_u32_e32 43, v0
	s_cbranch_execz .LBB47_215
; %bb.214:
	scratch_load_b64 v[98:99], off, off offset:344
	v_mov_b64_e32 v[100:101], 0
	scratch_store_b64 off, v[100:101], off offset:344
	s_wait_loadcnt 0x0
	ds_store_b64 v1, v[98:99]
.LBB47_215:
	s_wait_xcnt 0x0
	s_or_b32 exec_lo, exec_lo, s0
	s_wait_storecnt_dscnt 0x0
	s_barrier_signal -1
	s_barrier_wait -1
	s_clause 0x2
	scratch_load_b128 v[98:101], off, off offset:352
	scratch_load_b128 v[102:105], off, off offset:368
	scratch_load_b64 v[114:115], off, off offset:344
	ds_load_b128 v[106:109], v5 offset:736
	ds_load_b128 v[110:113], v5 offset:752
	s_mov_b32 s0, exec_lo
	s_wait_dscnt 0x1
	v_dual_mov_b32 v116, v109 :: v_dual_mov_b32 v117, v108
	s_wait_loadcnt_dscnt 0x200
	v_dual_mov_b32 v122, v113 :: v_dual_mov_b32 v120, v101
	v_pk_mul_f32 v[118:119], v[106:107], v[98:99] op_sel:[1,1] op_sel_hi:[0,1]
	s_delay_alu instid0(VALU_DEP_2) | instskip(NEXT) | instid1(VALU_DEP_2)
	v_pk_mul_f32 v[116:117], v[116:117], v[120:121] op_sel_hi:[1,0]
	v_pk_fma_f32 v[124:125], v[106:107], v[98:99], v[118:119] op_sel_hi:[1,0,1]
	v_pk_fma_f32 v[98:99], v[106:107], v[98:99], v[118:119] neg_lo:[0,0,1] neg_hi:[0,0,1]
	v_mov_b32_e32 v123, v112
	s_wait_loadcnt 0x1
	v_pk_mul_f32 v[120:121], v[110:111], v[102:103] op_sel:[1,1] op_sel_hi:[0,1]
	v_pk_fma_f32 v[106:107], v[108:109], v[100:101], v[116:117] op_sel_hi:[1,0,1]
	v_dual_mov_b32 v99, v125 :: v_dual_mov_b32 v106, v105
	v_pk_fma_f32 v[100:101], v[108:109], v[100:101], v[116:117] neg_lo:[0,0,1] neg_hi:[0,0,1]
	s_delay_alu instid0(VALU_DEP_4) | instskip(NEXT) | instid1(VALU_DEP_4)
	v_pk_fma_f32 v[118:119], v[110:111], v[102:103], v[120:121] op_sel_hi:[1,0,1]
	v_mov_b32_e32 v101, v107
	s_delay_alu instid0(VALU_DEP_4) | instskip(SKIP_2) | instid1(VALU_DEP_3)
	v_pk_add_f32 v[98:99], v[98:99], 0 op_sel_hi:[1,0]
	v_pk_mul_f32 v[106:107], v[122:123], v[106:107] op_sel_hi:[1,0]
	v_pk_fma_f32 v[102:103], v[110:111], v[102:103], v[120:121] neg_lo:[0,0,1] neg_hi:[0,0,1]
	v_pk_add_f32 v[98:99], v[98:99], v[100:101]
	s_delay_alu instid0(VALU_DEP_3) | instskip(SKIP_2) | instid1(VALU_DEP_3)
	v_pk_fma_f32 v[100:101], v[112:113], v[104:105], v[106:107] op_sel_hi:[1,0,1]
	v_mov_b32_e32 v103, v119
	v_pk_fma_f32 v[104:105], v[112:113], v[104:105], v[106:107] neg_lo:[0,0,1] neg_hi:[0,0,1]
	v_mov_b32_e32 v105, v101
	s_delay_alu instid0(VALU_DEP_3) | instskip(NEXT) | instid1(VALU_DEP_1)
	v_pk_add_f32 v[98:99], v[98:99], v[102:103]
	v_pk_add_f32 v[98:99], v[98:99], v[104:105]
	s_wait_loadcnt 0x0
	s_delay_alu instid0(VALU_DEP_1)
	v_pk_add_f32 v[98:99], v[114:115], v[98:99] neg_lo:[0,1] neg_hi:[0,1]
	scratch_store_b64 off, v[98:99], off offset:344
	s_wait_xcnt 0x0
	v_cmpx_lt_u32_e32 42, v0
	s_cbranch_execz .LBB47_217
; %bb.216:
	scratch_load_b64 v[98:99], off, off offset:336
	v_mov_b64_e32 v[100:101], 0
	scratch_store_b64 off, v[100:101], off offset:336
	s_wait_loadcnt 0x0
	ds_store_b64 v1, v[98:99]
.LBB47_217:
	s_wait_xcnt 0x0
	s_or_b32 exec_lo, exec_lo, s0
	s_wait_storecnt_dscnt 0x0
	s_barrier_signal -1
	s_barrier_wait -1
	s_clause 0x3
	scratch_load_b128 v[98:101], off, off offset:344
	scratch_load_b128 v[102:105], off, off offset:360
	scratch_load_b64 v[114:115], off, off offset:376
	scratch_load_b64 v[116:117], off, off offset:336
	v_mov_b32_e32 v5, 0
	ds_load_2addr_b64 v[106:109], v5 offset0:91 offset1:92
	ds_load_2addr_b64 v[110:113], v5 offset0:93 offset1:94
	s_mov_b32 s0, exec_lo
	s_wait_dscnt 0x1
	v_dual_mov_b32 v118, v109 :: v_dual_mov_b32 v119, v108
	ds_load_b64 v[124:125], v5 offset:760
	s_wait_dscnt 0x1
	v_dual_mov_b32 v126, v113 :: v_dual_mov_b32 v127, v112
	s_wait_loadcnt 0x3
	v_pk_mul_f32 v[120:121], v[106:107], v[98:99] op_sel:[1,1] op_sel_hi:[0,1]
	v_mov_b32_e32 v122, v101
	s_delay_alu instid0(VALU_DEP_2) | instskip(NEXT) | instid1(VALU_DEP_2)
	v_pk_fma_f32 v[128:129], v[106:107], v[98:99], v[120:121] op_sel_hi:[1,0,1]
	v_pk_mul_f32 v[118:119], v[118:119], v[122:123] op_sel_hi:[1,0]
	v_pk_fma_f32 v[98:99], v[106:107], v[98:99], v[120:121] neg_lo:[0,0,1] neg_hi:[0,0,1]
	s_wait_loadcnt 0x2
	v_pk_mul_f32 v[122:123], v[110:111], v[102:103] op_sel:[1,1] op_sel_hi:[0,1]
	v_dual_mov_b32 v128, v105 :: v_dual_mov_b32 v99, v129
	v_pk_fma_f32 v[106:107], v[108:109], v[100:101], v[118:119] op_sel_hi:[1,0,1]
	v_pk_fma_f32 v[100:101], v[108:109], v[100:101], v[118:119] neg_lo:[0,0,1] neg_hi:[0,0,1]
	s_delay_alu instid0(VALU_DEP_4) | instskip(NEXT) | instid1(VALU_DEP_4)
	v_pk_fma_f32 v[120:121], v[110:111], v[102:103], v[122:123] op_sel_hi:[1,0,1]
	v_pk_mul_f32 v[126:127], v[126:127], v[128:129] op_sel_hi:[1,0]
	v_pk_add_f32 v[98:99], v[98:99], 0 op_sel_hi:[1,0]
	v_mov_b32_e32 v101, v107
	v_pk_fma_f32 v[102:103], v[110:111], v[102:103], v[122:123] neg_lo:[0,0,1] neg_hi:[0,0,1]
	v_mov_b32_e32 v103, v121
	v_pk_fma_f32 v[106:107], v[112:113], v[104:105], v[126:127] op_sel_hi:[1,0,1]
	v_pk_fma_f32 v[104:105], v[112:113], v[104:105], v[126:127] neg_lo:[0,0,1] neg_hi:[0,0,1]
	v_pk_add_f32 v[98:99], v[98:99], v[100:101]
	s_wait_loadcnt_dscnt 0x100
	v_pk_mul_f32 v[100:101], v[124:125], v[114:115] op_sel:[1,1] op_sel_hi:[0,1]
	s_delay_alu instid0(VALU_DEP_2) | instskip(NEXT) | instid1(VALU_DEP_2)
	v_pk_add_f32 v[98:99], v[98:99], v[102:103]
	v_pk_fma_f32 v[102:103], v[124:125], v[114:115], v[100:101] op_sel_hi:[1,0,1]
	v_mov_b32_e32 v105, v107
	v_pk_fma_f32 v[100:101], v[124:125], v[114:115], v[100:101] neg_lo:[0,0,1] neg_hi:[0,0,1]
	s_delay_alu instid0(VALU_DEP_3) | instskip(NEXT) | instid1(VALU_DEP_3)
	v_mov_b32_e32 v101, v103
	v_pk_add_f32 v[98:99], v[98:99], v[104:105]
	s_delay_alu instid0(VALU_DEP_1) | instskip(SKIP_1) | instid1(VALU_DEP_1)
	v_pk_add_f32 v[98:99], v[98:99], v[100:101]
	s_wait_loadcnt 0x0
	v_pk_add_f32 v[98:99], v[116:117], v[98:99] neg_lo:[0,1] neg_hi:[0,1]
	scratch_store_b64 off, v[98:99], off offset:336
	s_wait_xcnt 0x0
	v_cmpx_lt_u32_e32 41, v0
	s_cbranch_execz .LBB47_219
; %bb.218:
	scratch_load_b64 v[98:99], off, off offset:328
	v_mov_b64_e32 v[100:101], 0
	scratch_store_b64 off, v[100:101], off offset:328
	s_wait_loadcnt 0x0
	ds_store_b64 v1, v[98:99]
.LBB47_219:
	s_wait_xcnt 0x0
	s_or_b32 exec_lo, exec_lo, s0
	s_wait_storecnt_dscnt 0x0
	s_barrier_signal -1
	s_barrier_wait -1
	s_clause 0x3
	scratch_load_b128 v[98:101], off, off offset:336
	scratch_load_b128 v[102:105], off, off offset:352
	scratch_load_b128 v[106:109], off, off offset:368
	scratch_load_b64 v[122:123], off, off offset:328
	ds_load_b128 v[110:113], v5 offset:720
	ds_load_b128 v[114:117], v5 offset:736
	;; [unrolled: 1-line block ×3, first 2 shown]
	s_mov_b32 s0, exec_lo
	s_wait_dscnt 0x2
	v_dual_mov_b32 v124, v113 :: v_dual_mov_b32 v125, v112
	s_wait_dscnt 0x1
	v_dual_mov_b32 v126, v117 :: v_dual_mov_b32 v127, v116
	;; [unrolled: 2-line block ×3, first 2 shown]
	s_wait_loadcnt 0x3
	v_pk_mul_f32 v[128:129], v[110:111], v[98:99] op_sel:[1,1] op_sel_hi:[0,1]
	v_mov_b32_e32 v130, v101
	s_delay_alu instid0(VALU_DEP_2) | instskip(NEXT) | instid1(VALU_DEP_2)
	v_pk_fma_f32 v[134:135], v[110:111], v[98:99], v[128:129] op_sel_hi:[1,0,1]
	v_pk_mul_f32 v[124:125], v[124:125], v[130:131] op_sel_hi:[1,0]
	v_pk_fma_f32 v[98:99], v[110:111], v[98:99], v[128:129] neg_lo:[0,0,1] neg_hi:[0,0,1]
	s_wait_loadcnt 0x2
	v_pk_mul_f32 v[130:131], v[114:115], v[102:103] op_sel:[1,1] op_sel_hi:[0,1]
	v_mov_b32_e32 v134, v105
	v_pk_fma_f32 v[110:111], v[112:113], v[100:101], v[124:125] op_sel_hi:[1,0,1]
	v_mov_b32_e32 v99, v135
	v_pk_fma_f32 v[100:101], v[112:113], v[100:101], v[124:125] neg_lo:[0,0,1] neg_hi:[0,0,1]
	v_pk_fma_f32 v[128:129], v[114:115], v[102:103], v[130:131] op_sel_hi:[1,0,1]
	v_pk_mul_f32 v[126:127], v[126:127], v[134:135] op_sel_hi:[1,0]
	v_mov_b32_e32 v101, v111
	v_pk_add_f32 v[98:99], v[98:99], 0 op_sel_hi:[1,0]
	v_pk_fma_f32 v[102:103], v[114:115], v[102:103], v[130:131] neg_lo:[0,0,1] neg_hi:[0,0,1]
	s_wait_loadcnt 0x1
	v_pk_mul_f32 v[110:111], v[118:119], v[106:107] op_sel:[1,1] op_sel_hi:[0,1]
	v_mov_b32_e32 v103, v129
	v_pk_fma_f32 v[112:113], v[116:117], v[104:105], v[126:127] op_sel_hi:[1,0,1]
	v_pk_add_f32 v[98:99], v[98:99], v[100:101]
	v_mov_b32_e32 v100, v109
	v_pk_fma_f32 v[104:105], v[116:117], v[104:105], v[126:127] neg_lo:[0,0,1] neg_hi:[0,0,1]
	v_pk_fma_f32 v[114:115], v[118:119], v[106:107], v[110:111] op_sel_hi:[1,0,1]
	v_mov_b32_e32 v105, v113
	v_pk_add_f32 v[98:99], v[98:99], v[102:103]
	v_pk_mul_f32 v[100:101], v[132:133], v[100:101] op_sel_hi:[1,0]
	v_pk_fma_f32 v[102:103], v[118:119], v[106:107], v[110:111] neg_lo:[0,0,1] neg_hi:[0,0,1]
	v_mov_b32_e32 v103, v115
	s_delay_alu instid0(VALU_DEP_4) | instskip(NEXT) | instid1(VALU_DEP_4)
	v_pk_add_f32 v[98:99], v[98:99], v[104:105]
	v_pk_fma_f32 v[104:105], v[120:121], v[108:109], v[100:101] op_sel_hi:[1,0,1]
	v_pk_fma_f32 v[100:101], v[120:121], v[108:109], v[100:101] neg_lo:[0,0,1] neg_hi:[0,0,1]
	s_delay_alu instid0(VALU_DEP_3) | instskip(NEXT) | instid1(VALU_DEP_3)
	v_pk_add_f32 v[98:99], v[98:99], v[102:103]
	v_mov_b32_e32 v101, v105
	s_delay_alu instid0(VALU_DEP_1) | instskip(SKIP_1) | instid1(VALU_DEP_1)
	v_pk_add_f32 v[98:99], v[98:99], v[100:101]
	s_wait_loadcnt 0x0
	v_pk_add_f32 v[98:99], v[122:123], v[98:99] neg_lo:[0,1] neg_hi:[0,1]
	scratch_store_b64 off, v[98:99], off offset:328
	s_wait_xcnt 0x0
	v_cmpx_lt_u32_e32 40, v0
	s_cbranch_execz .LBB47_221
; %bb.220:
	scratch_load_b64 v[98:99], off, off offset:320
	v_mov_b64_e32 v[100:101], 0
	scratch_store_b64 off, v[100:101], off offset:320
	s_wait_loadcnt 0x0
	ds_store_b64 v1, v[98:99]
.LBB47_221:
	s_wait_xcnt 0x0
	s_or_b32 exec_lo, exec_lo, s0
	s_wait_storecnt_dscnt 0x0
	s_barrier_signal -1
	s_barrier_wait -1
	s_clause 0x4
	scratch_load_b128 v[98:101], off, off offset:328
	scratch_load_b128 v[102:105], off, off offset:344
	;; [unrolled: 1-line block ×3, first 2 shown]
	scratch_load_b64 v[122:123], off, off offset:376
	scratch_load_b64 v[124:125], off, off offset:320
	v_mov_b32_e32 v5, 0
	ds_load_2addr_b64 v[110:113], v5 offset0:89 offset1:90
	ds_load_2addr_b64 v[114:117], v5 offset0:91 offset1:92
	;; [unrolled: 1-line block ×3, first 2 shown]
	ds_load_b64 v[126:127], v5 offset:760
	s_mov_b32 s0, exec_lo
	s_wait_dscnt 0x3
	v_dual_mov_b32 v128, v113 :: v_dual_mov_b32 v129, v112
	s_wait_dscnt 0x2
	v_dual_mov_b32 v130, v117 :: v_dual_mov_b32 v131, v116
	;; [unrolled: 2-line block ×3, first 2 shown]
	s_wait_loadcnt 0x4
	v_pk_mul_f32 v[132:133], v[110:111], v[98:99] op_sel:[1,1] op_sel_hi:[0,1]
	v_mov_b32_e32 v134, v101
	s_wait_loadcnt 0x3
	v_pk_mul_f32 v[138:139], v[114:115], v[102:103] op_sel:[1,1] op_sel_hi:[0,1]
	s_wait_loadcnt 0x2
	v_pk_mul_f32 v[142:143], v[118:119], v[106:107] op_sel:[1,1] op_sel_hi:[0,1]
	v_pk_fma_f32 v[140:141], v[110:111], v[98:99], v[132:133] op_sel_hi:[1,0,1]
	v_pk_mul_f32 v[128:129], v[128:129], v[134:135] op_sel_hi:[1,0]
	v_pk_fma_f32 v[98:99], v[110:111], v[98:99], v[132:133] neg_lo:[0,0,1] neg_hi:[0,0,1]
	v_mov_b32_e32 v134, v105
	v_pk_fma_f32 v[132:133], v[114:115], v[102:103], v[138:139] op_sel_hi:[1,0,1]
	v_mov_b32_e32 v99, v141
	v_pk_fma_f32 v[110:111], v[112:113], v[100:101], v[128:129] op_sel_hi:[1,0,1]
	v_pk_fma_f32 v[100:101], v[112:113], v[100:101], v[128:129] neg_lo:[0,0,1] neg_hi:[0,0,1]
	v_pk_mul_f32 v[130:131], v[130:131], v[134:135] op_sel_hi:[1,0]
	v_pk_fma_f32 v[102:103], v[114:115], v[102:103], v[138:139] neg_lo:[0,0,1] neg_hi:[0,0,1]
	v_pk_add_f32 v[98:99], v[98:99], 0 op_sel_hi:[1,0]
	v_dual_mov_b32 v101, v111 :: v_dual_mov_b32 v110, v109
	s_delay_alu instid0(VALU_DEP_4) | instskip(SKIP_2) | instid1(VALU_DEP_4)
	v_pk_fma_f32 v[112:113], v[116:117], v[104:105], v[130:131] op_sel_hi:[1,0,1]
	v_mov_b32_e32 v103, v133
	v_pk_fma_f32 v[104:105], v[116:117], v[104:105], v[130:131] neg_lo:[0,0,1] neg_hi:[0,0,1]
	v_pk_add_f32 v[98:99], v[98:99], v[100:101]
	v_pk_fma_f32 v[100:101], v[118:119], v[106:107], v[142:143] op_sel_hi:[1,0,1]
	v_pk_mul_f32 v[110:111], v[136:137], v[110:111] op_sel_hi:[1,0]
	v_mov_b32_e32 v105, v113
	s_delay_alu instid0(VALU_DEP_4)
	v_pk_add_f32 v[98:99], v[98:99], v[102:103]
	v_pk_fma_f32 v[102:103], v[118:119], v[106:107], v[142:143] neg_lo:[0,0,1] neg_hi:[0,0,1]
	v_mov_b32_e32 v103, v101
	v_pk_fma_f32 v[100:101], v[120:121], v[108:109], v[110:111] op_sel_hi:[1,0,1]
	v_pk_fma_f32 v[106:107], v[120:121], v[108:109], v[110:111] neg_lo:[0,0,1] neg_hi:[0,0,1]
	v_pk_add_f32 v[98:99], v[98:99], v[104:105]
	s_wait_loadcnt_dscnt 0x100
	v_pk_mul_f32 v[104:105], v[126:127], v[122:123] op_sel:[1,1] op_sel_hi:[0,1]
	v_mov_b32_e32 v107, v101
	s_delay_alu instid0(VALU_DEP_3) | instskip(NEXT) | instid1(VALU_DEP_3)
	v_pk_add_f32 v[98:99], v[98:99], v[102:103]
	v_pk_fma_f32 v[100:101], v[126:127], v[122:123], v[104:105] op_sel_hi:[1,0,1]
	v_pk_fma_f32 v[102:103], v[126:127], v[122:123], v[104:105] neg_lo:[0,0,1] neg_hi:[0,0,1]
	s_delay_alu instid0(VALU_DEP_3) | instskip(NEXT) | instid1(VALU_DEP_3)
	v_pk_add_f32 v[98:99], v[98:99], v[106:107]
	v_mov_b32_e32 v103, v101
	s_delay_alu instid0(VALU_DEP_1) | instskip(SKIP_1) | instid1(VALU_DEP_1)
	v_pk_add_f32 v[98:99], v[98:99], v[102:103]
	s_wait_loadcnt 0x0
	v_pk_add_f32 v[98:99], v[124:125], v[98:99] neg_lo:[0,1] neg_hi:[0,1]
	scratch_store_b64 off, v[98:99], off offset:320
	s_wait_xcnt 0x0
	v_cmpx_lt_u32_e32 39, v0
	s_cbranch_execz .LBB47_223
; %bb.222:
	scratch_load_b64 v[98:99], off, off offset:312
	v_mov_b64_e32 v[100:101], 0
	scratch_store_b64 off, v[100:101], off offset:312
	s_wait_loadcnt 0x0
	ds_store_b64 v1, v[98:99]
.LBB47_223:
	s_wait_xcnt 0x0
	s_or_b32 exec_lo, exec_lo, s0
	s_wait_storecnt_dscnt 0x0
	s_barrier_signal -1
	s_barrier_wait -1
	s_clause 0x4
	scratch_load_b128 v[98:101], off, off offset:320
	scratch_load_b128 v[102:105], off, off offset:336
	;; [unrolled: 1-line block ×4, first 2 shown]
	scratch_load_b64 v[130:131], off, off offset:312
	ds_load_b128 v[114:117], v5 offset:704
	ds_load_b128 v[118:121], v5 offset:720
	;; [unrolled: 1-line block ×4, first 2 shown]
	s_mov_b32 s0, exec_lo
	s_wait_dscnt 0x3
	v_dual_mov_b32 v132, v117 :: v_dual_mov_b32 v133, v116
	s_wait_dscnt 0x2
	v_dual_mov_b32 v134, v121 :: v_dual_mov_b32 v135, v120
	;; [unrolled: 2-line block ×3, first 2 shown]
	v_dual_mov_b32 v137, v124 :: v_dual_mov_b32 v142, v129
	s_wait_loadcnt 0x4
	v_mov_b32_e32 v140, v101
	v_pk_mul_f32 v[138:139], v[114:115], v[98:99] op_sel:[1,1] op_sel_hi:[0,1]
	s_wait_loadcnt 0x3
	v_pk_mul_f32 v[144:145], v[118:119], v[102:103] op_sel:[1,1] op_sel_hi:[0,1]
	s_wait_loadcnt 0x2
	v_pk_mul_f32 v[148:149], v[122:123], v[106:107] op_sel:[1,1] op_sel_hi:[0,1]
	v_pk_mul_f32 v[132:133], v[132:133], v[140:141] op_sel_hi:[1,0]
	v_pk_fma_f32 v[146:147], v[114:115], v[98:99], v[138:139] op_sel_hi:[1,0,1]
	v_pk_fma_f32 v[98:99], v[114:115], v[98:99], v[138:139] neg_lo:[0,0,1] neg_hi:[0,0,1]
	v_mov_b32_e32 v140, v105
	v_pk_fma_f32 v[138:139], v[118:119], v[102:103], v[144:145] op_sel_hi:[1,0,1]
	v_pk_fma_f32 v[114:115], v[116:117], v[100:101], v[132:133] op_sel_hi:[1,0,1]
	v_mov_b32_e32 v99, v147
	v_pk_fma_f32 v[100:101], v[116:117], v[100:101], v[132:133] neg_lo:[0,0,1] neg_hi:[0,0,1]
	v_pk_mul_f32 v[134:135], v[134:135], v[140:141] op_sel_hi:[1,0]
	s_delay_alu instid0(VALU_DEP_4) | instskip(NEXT) | instid1(VALU_DEP_4)
	v_dual_mov_b32 v114, v109 :: v_dual_mov_b32 v101, v115
	v_pk_add_f32 v[98:99], v[98:99], 0 op_sel_hi:[1,0]
	v_pk_fma_f32 v[102:103], v[118:119], v[102:103], v[144:145] neg_lo:[0,0,1] neg_hi:[0,0,1]
	v_mov_b32_e32 v103, v139
	v_pk_fma_f32 v[116:117], v[120:121], v[104:105], v[134:135] op_sel_hi:[1,0,1]
	v_pk_mul_f32 v[114:115], v[136:137], v[114:115] op_sel_hi:[1,0]
	v_pk_add_f32 v[98:99], v[98:99], v[100:101]
	v_pk_fma_f32 v[100:101], v[122:123], v[106:107], v[148:149] op_sel_hi:[1,0,1]
	v_pk_fma_f32 v[104:105], v[120:121], v[104:105], v[134:135] neg_lo:[0,0,1] neg_hi:[0,0,1]
	v_mov_b32_e32 v105, v117
	v_pk_fma_f32 v[106:107], v[122:123], v[106:107], v[148:149] neg_lo:[0,0,1] neg_hi:[0,0,1]
	v_pk_add_f32 v[98:99], v[98:99], v[102:103]
	v_mov_b32_e32 v107, v101
	v_pk_fma_f32 v[100:101], v[124:125], v[108:109], v[114:115] op_sel_hi:[1,0,1]
	s_wait_loadcnt 0x1
	v_pk_mul_f32 v[102:103], v[126:127], v[110:111] op_sel:[1,1] op_sel_hi:[0,1]
	v_mov_b32_e32 v100, v113
	v_pk_add_f32 v[98:99], v[98:99], v[104:105]
	v_pk_fma_f32 v[108:109], v[124:125], v[108:109], v[114:115] neg_lo:[0,0,1] neg_hi:[0,0,1]
	v_mov_b32_e32 v109, v101
	v_pk_fma_f32 v[104:105], v[126:127], v[110:111], v[102:103] op_sel_hi:[1,0,1]
	v_pk_mul_f32 v[100:101], v[142:143], v[100:101] op_sel_hi:[1,0]
	v_pk_add_f32 v[98:99], v[98:99], v[106:107]
	v_pk_fma_f32 v[102:103], v[126:127], v[110:111], v[102:103] neg_lo:[0,0,1] neg_hi:[0,0,1]
	s_delay_alu instid0(VALU_DEP_4) | instskip(NEXT) | instid1(VALU_DEP_4)
	v_mov_b32_e32 v103, v105
	v_pk_fma_f32 v[104:105], v[128:129], v[112:113], v[100:101] op_sel_hi:[1,0,1]
	s_delay_alu instid0(VALU_DEP_4) | instskip(SKIP_1) | instid1(VALU_DEP_3)
	v_pk_add_f32 v[98:99], v[98:99], v[108:109]
	v_pk_fma_f32 v[100:101], v[128:129], v[112:113], v[100:101] neg_lo:[0,0,1] neg_hi:[0,0,1]
	v_mov_b32_e32 v101, v105
	s_delay_alu instid0(VALU_DEP_3) | instskip(NEXT) | instid1(VALU_DEP_1)
	v_pk_add_f32 v[98:99], v[98:99], v[102:103]
	v_pk_add_f32 v[98:99], v[98:99], v[100:101]
	s_wait_loadcnt 0x0
	s_delay_alu instid0(VALU_DEP_1)
	v_pk_add_f32 v[98:99], v[130:131], v[98:99] neg_lo:[0,1] neg_hi:[0,1]
	scratch_store_b64 off, v[98:99], off offset:312
	s_wait_xcnt 0x0
	v_cmpx_lt_u32_e32 38, v0
	s_cbranch_execz .LBB47_225
; %bb.224:
	scratch_load_b64 v[98:99], off, off offset:304
	v_mov_b64_e32 v[100:101], 0
	scratch_store_b64 off, v[100:101], off offset:304
	s_wait_loadcnt 0x0
	ds_store_b64 v1, v[98:99]
.LBB47_225:
	s_wait_xcnt 0x0
	s_or_b32 exec_lo, exec_lo, s0
	s_wait_storecnt_dscnt 0x0
	s_barrier_signal -1
	s_barrier_wait -1
	s_clause 0x5
	scratch_load_b128 v[98:101], off, off offset:312
	scratch_load_b128 v[102:105], off, off offset:328
	;; [unrolled: 1-line block ×4, first 2 shown]
	scratch_load_b64 v[130:131], off, off offset:376
	scratch_load_b64 v[132:133], off, off offset:304
	v_mov_b32_e32 v5, 0
	ds_load_2addr_b64 v[114:117], v5 offset0:87 offset1:88
	ds_load_2addr_b64 v[118:121], v5 offset0:89 offset1:90
	;; [unrolled: 1-line block ×4, first 2 shown]
	ds_load_b64 v[134:135], v5 offset:760
	s_mov_b32 s0, exec_lo
	s_wait_dscnt 0x4
	v_dual_mov_b32 v136, v117 :: v_dual_mov_b32 v137, v116
	s_wait_dscnt 0x1
	v_dual_mov_b32 v138, v121 :: v_dual_mov_b32 v143, v128
	v_dual_mov_b32 v139, v120 :: v_dual_mov_b32 v140, v125
	;; [unrolled: 1-line block ×3, first 2 shown]
	s_wait_loadcnt 0x5
	v_dual_mov_b32 v144, v101 :: v_dual_mul_f32 v145, v114, v99
	v_mul_f32_e32 v9, v115, v99
	s_wait_loadcnt 0x4
	v_pk_mul_f32 v[146:147], v[118:119], v[102:103] op_sel:[1,1] op_sel_hi:[0,1]
	v_mov_b32_e32 v148, v105
	s_wait_loadcnt 0x3
	v_pk_mul_f32 v[150:151], v[122:123], v[106:107] op_sel:[1,1] op_sel_hi:[0,1]
	v_pk_mul_f32 v[136:137], v[136:137], v[144:145] op_sel_hi:[1,0]
	v_fmac_f32_e32 v145, v115, v98
	v_dual_fma_f32 v144, v114, v98, -v9 :: v_dual_mov_b32 v98, v109
	v_pk_fma_f32 v[152:153], v[118:119], v[102:103], v[146:147] op_sel_hi:[1,0,1]
	s_delay_alu instid0(VALU_DEP_4)
	v_pk_fma_f32 v[114:115], v[116:117], v[100:101], v[136:137] op_sel_hi:[1,0,1]
	v_pk_fma_f32 v[100:101], v[116:117], v[100:101], v[136:137] neg_lo:[0,0,1] neg_hi:[0,0,1]
	v_pk_mul_f32 v[138:139], v[138:139], v[148:149] op_sel_hi:[1,0]
	v_pk_add_f32 v[144:145], v[144:145], 0 op_sel_hi:[1,0]
	v_pk_fma_f32 v[102:103], v[118:119], v[102:103], v[146:147] neg_lo:[0,0,1] neg_hi:[0,0,1]
	v_dual_mov_b32 v101, v115 :: v_dual_mov_b32 v103, v153
	s_delay_alu instid0(VALU_DEP_4) | instskip(SKIP_2) | instid1(VALU_DEP_4)
	v_pk_fma_f32 v[116:117], v[120:121], v[104:105], v[138:139] op_sel_hi:[1,0,1]
	v_pk_fma_f32 v[104:105], v[120:121], v[104:105], v[138:139] neg_lo:[0,0,1] neg_hi:[0,0,1]
	v_pk_fma_f32 v[118:119], v[122:123], v[106:107], v[150:151] op_sel_hi:[1,0,1]
	v_pk_add_f32 v[100:101], v[144:145], v[100:101]
	v_pk_mul_f32 v[98:99], v[140:141], v[98:99] op_sel_hi:[1,0]
	v_mov_b32_e32 v105, v117
	v_pk_fma_f32 v[106:107], v[122:123], v[106:107], v[150:151] neg_lo:[0,0,1] neg_hi:[0,0,1]
	s_wait_loadcnt 0x2
	v_pk_mul_f32 v[114:115], v[126:127], v[110:111] op_sel:[1,1] op_sel_hi:[0,1]
	v_pk_add_f32 v[100:101], v[100:101], v[102:103]
	v_mov_b32_e32 v102, v113
	v_pk_fma_f32 v[116:117], v[124:125], v[108:109], v[98:99] op_sel_hi:[1,0,1]
	v_mov_b32_e32 v107, v119
	v_pk_fma_f32 v[98:99], v[124:125], v[108:109], v[98:99] neg_lo:[0,0,1] neg_hi:[0,0,1]
	v_pk_add_f32 v[100:101], v[100:101], v[104:105]
	v_pk_fma_f32 v[104:105], v[126:127], v[110:111], v[114:115] op_sel_hi:[1,0,1]
	v_pk_mul_f32 v[102:103], v[142:143], v[102:103] op_sel_hi:[1,0]
	v_mov_b32_e32 v99, v117
	s_delay_alu instid0(VALU_DEP_4)
	v_pk_add_f32 v[100:101], v[100:101], v[106:107]
	v_pk_fma_f32 v[106:107], v[126:127], v[110:111], v[114:115] neg_lo:[0,0,1] neg_hi:[0,0,1]
	v_mov_b32_e32 v107, v105
	v_pk_fma_f32 v[104:105], v[128:129], v[112:113], v[102:103] op_sel_hi:[1,0,1]
	v_pk_fma_f32 v[102:103], v[128:129], v[112:113], v[102:103] neg_lo:[0,0,1] neg_hi:[0,0,1]
	v_pk_add_f32 v[98:99], v[100:101], v[98:99]
	s_wait_loadcnt_dscnt 0x100
	v_pk_mul_f32 v[100:101], v[134:135], v[130:131] op_sel:[1,1] op_sel_hi:[0,1]
	v_mov_b32_e32 v103, v105
	s_delay_alu instid0(VALU_DEP_3) | instskip(NEXT) | instid1(VALU_DEP_3)
	v_pk_add_f32 v[98:99], v[98:99], v[106:107]
	v_pk_fma_f32 v[104:105], v[134:135], v[130:131], v[100:101] op_sel_hi:[1,0,1]
	v_pk_fma_f32 v[100:101], v[134:135], v[130:131], v[100:101] neg_lo:[0,0,1] neg_hi:[0,0,1]
	s_delay_alu instid0(VALU_DEP_3) | instskip(NEXT) | instid1(VALU_DEP_3)
	v_pk_add_f32 v[98:99], v[98:99], v[102:103]
	v_mov_b32_e32 v101, v105
	s_delay_alu instid0(VALU_DEP_1) | instskip(SKIP_1) | instid1(VALU_DEP_1)
	v_pk_add_f32 v[98:99], v[98:99], v[100:101]
	s_wait_loadcnt 0x0
	v_pk_add_f32 v[98:99], v[132:133], v[98:99] neg_lo:[0,1] neg_hi:[0,1]
	scratch_store_b64 off, v[98:99], off offset:304
	s_wait_xcnt 0x0
	v_cmpx_lt_u32_e32 37, v0
	s_cbranch_execz .LBB47_227
; %bb.226:
	scratch_load_b64 v[98:99], off, off offset:296
	v_mov_b64_e32 v[100:101], 0
	scratch_store_b64 off, v[100:101], off offset:296
	s_wait_loadcnt 0x0
	ds_store_b64 v1, v[98:99]
.LBB47_227:
	s_wait_xcnt 0x0
	s_or_b32 exec_lo, exec_lo, s0
	s_wait_storecnt_dscnt 0x0
	s_barrier_signal -1
	s_barrier_wait -1
	s_clause 0x5
	scratch_load_b128 v[98:101], off, off offset:304
	scratch_load_b128 v[102:105], off, off offset:320
	;; [unrolled: 1-line block ×5, first 2 shown]
	scratch_load_b64 v[138:139], off, off offset:296
	ds_load_b128 v[118:121], v5 offset:704
	ds_load_b128 v[122:125], v5 offset:720
	;; [unrolled: 1-line block ×5, first 2 shown]
	s_mov_b32 s0, exec_lo
	s_wait_dscnt 0x4
	v_dual_mov_b32 v140, v121 :: v_dual_mov_b32 v141, v120
	s_wait_dscnt 0x3
	v_dual_mov_b32 v142, v125 :: v_dual_mov_b32 v143, v124
	;; [unrolled: 2-line block ×4, first 2 shown]
	s_wait_loadcnt_dscnt 0x500
	v_dual_mul_f32 v149, v134, v99 :: v_dual_mul_f32 v151, v136, v101
	v_dual_mul_f32 v5, v135, v99 :: v_dual_mul_f32 v9, v137, v101
	s_wait_loadcnt 0x4
	v_pk_mul_f32 v[152:153], v[118:119], v[102:103] op_sel:[1,1] op_sel_hi:[0,1]
	s_wait_loadcnt 0x3
	v_dual_mov_b32 v154, v105 :: v_dual_mov_b32 v158, v109
	v_dual_fmac_f32 v149, v135, v98 :: v_dual_fmac_f32 v151, v137, v100
	v_fma_f32 v148, v134, v98, -v5
	v_fma_f32 v150, v136, v100, -v9
	v_pk_fma_f32 v[98:99], v[118:119], v[102:103], v[152:153] op_sel_hi:[1,0,1]
	v_pk_mul_f32 v[100:101], v[140:141], v[154:155] op_sel_hi:[1,0]
	v_pk_fma_f32 v[102:103], v[118:119], v[102:103], v[152:153] neg_lo:[0,0,1] neg_hi:[0,0,1]
	v_pk_mul_f32 v[156:157], v[122:123], v[106:107] op_sel:[1,1] op_sel_hi:[0,1]
	v_pk_mul_f32 v[140:141], v[142:143], v[158:159] op_sel_hi:[1,0]
	v_mov_b32_e32 v103, v99
	v_pk_add_f32 v[134:135], v[148:149], 0 op_sel_hi:[1,0]
	v_pk_fma_f32 v[98:99], v[120:121], v[104:105], v[100:101] op_sel_hi:[1,0,1]
	v_pk_fma_f32 v[100:101], v[120:121], v[104:105], v[100:101] neg_lo:[0,0,1] neg_hi:[0,0,1]
	s_wait_loadcnt 0x2
	v_pk_mul_f32 v[136:137], v[126:127], v[110:111] op_sel:[1,1] op_sel_hi:[0,1]
	v_pk_fma_f32 v[104:105], v[122:123], v[106:107], v[156:157] neg_lo:[0,0,1] neg_hi:[0,0,1]
	v_mov_b32_e32 v101, v99
	v_pk_add_f32 v[118:119], v[134:135], v[150:151]
	v_pk_fma_f32 v[134:135], v[122:123], v[106:107], v[156:157] op_sel_hi:[1,0,1]
	v_pk_fma_f32 v[106:107], v[124:125], v[108:109], v[140:141] op_sel_hi:[1,0,1]
	v_pk_fma_f32 v[108:109], v[124:125], v[108:109], v[140:141] neg_lo:[0,0,1] neg_hi:[0,0,1]
	s_delay_alu instid0(VALU_DEP_4) | instskip(NEXT) | instid1(VALU_DEP_4)
	v_pk_add_f32 v[98:99], v[118:119], v[102:103]
	v_dual_mov_b32 v102, v113 :: v_dual_mov_b32 v105, v135
	s_delay_alu instid0(VALU_DEP_2) | instskip(SKIP_1) | instid1(VALU_DEP_3)
	v_pk_add_f32 v[98:99], v[98:99], v[100:101]
	v_pk_fma_f32 v[100:101], v[126:127], v[110:111], v[136:137] op_sel_hi:[1,0,1]
	v_pk_mul_f32 v[102:103], v[144:145], v[102:103] op_sel_hi:[1,0]
	v_mov_b32_e32 v109, v107
	v_pk_fma_f32 v[106:107], v[126:127], v[110:111], v[136:137] neg_lo:[0,0,1] neg_hi:[0,0,1]
	v_pk_add_f32 v[98:99], v[98:99], v[104:105]
	v_mov_b32_e32 v107, v101
	v_pk_fma_f32 v[100:101], v[128:129], v[112:113], v[102:103] op_sel_hi:[1,0,1]
	s_wait_loadcnt 0x1
	v_pk_mul_f32 v[104:105], v[130:131], v[114:115] op_sel:[1,1] op_sel_hi:[0,1]
	v_mov_b32_e32 v100, v117
	v_pk_add_f32 v[98:99], v[98:99], v[108:109]
	v_pk_fma_f32 v[102:103], v[128:129], v[112:113], v[102:103] neg_lo:[0,0,1] neg_hi:[0,0,1]
	v_mov_b32_e32 v103, v101
	v_pk_fma_f32 v[108:109], v[130:131], v[114:115], v[104:105] op_sel_hi:[1,0,1]
	v_pk_mul_f32 v[100:101], v[146:147], v[100:101] op_sel_hi:[1,0]
	v_pk_add_f32 v[98:99], v[98:99], v[106:107]
	v_pk_fma_f32 v[104:105], v[130:131], v[114:115], v[104:105] neg_lo:[0,0,1] neg_hi:[0,0,1]
	s_delay_alu instid0(VALU_DEP_2) | instskip(NEXT) | instid1(VALU_DEP_4)
	v_pk_add_f32 v[98:99], v[98:99], v[102:103]
	v_pk_fma_f32 v[102:103], v[132:133], v[116:117], v[100:101] op_sel_hi:[1,0,1]
	v_mov_b32_e32 v105, v109
	v_pk_fma_f32 v[100:101], v[132:133], v[116:117], v[100:101] neg_lo:[0,0,1] neg_hi:[0,0,1]
	s_delay_alu instid0(VALU_DEP_3) | instskip(NEXT) | instid1(VALU_DEP_3)
	v_mov_b32_e32 v101, v103
	v_pk_add_f32 v[98:99], v[98:99], v[104:105]
	s_delay_alu instid0(VALU_DEP_1) | instskip(SKIP_1) | instid1(VALU_DEP_1)
	v_pk_add_f32 v[98:99], v[98:99], v[100:101]
	s_wait_loadcnt 0x0
	v_pk_add_f32 v[98:99], v[138:139], v[98:99] neg_lo:[0,1] neg_hi:[0,1]
	scratch_store_b64 off, v[98:99], off offset:296
	s_wait_xcnt 0x0
	v_cmpx_lt_u32_e32 36, v0
	s_cbranch_execz .LBB47_229
; %bb.228:
	scratch_load_b64 v[98:99], off, off offset:288
	v_mov_b64_e32 v[100:101], 0
	scratch_store_b64 off, v[100:101], off offset:288
	s_wait_loadcnt 0x0
	ds_store_b64 v1, v[98:99]
.LBB47_229:
	s_wait_xcnt 0x0
	s_or_b32 exec_lo, exec_lo, s0
	s_wait_storecnt_dscnt 0x0
	s_barrier_signal -1
	s_barrier_wait -1
	s_clause 0x6
	scratch_load_b128 v[98:101], off, off offset:296
	scratch_load_b128 v[102:105], off, off offset:312
	;; [unrolled: 1-line block ×5, first 2 shown]
	scratch_load_b64 v[138:139], off, off offset:376
	scratch_load_b64 v[140:141], off, off offset:288
	v_mov_b32_e32 v5, 0
	ds_load_2addr_b64 v[118:121], v5 offset0:87 offset1:88
	ds_load_2addr_b64 v[122:125], v5 offset0:89 offset1:90
	;; [unrolled: 1-line block ×5, first 2 shown]
	ds_load_b64 v[142:143], v5 offset:760
	s_mov_b32 s0, exec_lo
	s_wait_dscnt 0x5
	v_dual_mov_b32 v144, v121 :: v_dual_mov_b32 v145, v120
	s_wait_dscnt 0x2
	v_dual_mov_b32 v146, v125 :: v_dual_mov_b32 v151, v132
	v_dual_mov_b32 v147, v124 :: v_dual_mov_b32 v148, v129
	;; [unrolled: 1-line block ×3, first 2 shown]
	s_wait_loadcnt_dscnt 0x601
	v_dual_mul_f32 v9, v134, v99 :: v_dual_mul_f32 v11, v135, v99
	v_dual_mul_f32 v13, v137, v101 :: v_dual_mul_f32 v153, v136, v101
	s_wait_loadcnt 0x5
	v_dual_mul_f32 v155, v118, v103 :: v_dual_mul_f32 v15, v119, v103
	s_wait_loadcnt 0x4
	v_dual_mov_b32 v154, v105 :: v_dual_mov_b32 v158, v109
	v_dual_fmac_f32 v9, v135, v98 :: v_dual_fma_f32 v11, v134, v98, -v11
	v_fmac_f32_e32 v153, v137, v100
	v_pk_mul_f32 v[156:157], v[122:123], v[106:107] op_sel:[1,1] op_sel_hi:[0,1]
	s_delay_alu instid0(VALU_DEP_3)
	v_dual_fma_f32 v152, v136, v100, -v13 :: v_dual_add_f32 v101, 0, v9
	v_pk_mul_f32 v[98:99], v[144:145], v[154:155] op_sel_hi:[1,0]
	s_wait_loadcnt 0x3
	v_dual_add_f32 v100, 0, v11 :: v_dual_mov_b32 v134, v113
	v_fmac_f32_e32 v155, v119, v102
	v_fma_f32 v154, v118, v102, -v15
	v_pk_fma_f32 v[102:103], v[120:121], v[104:105], v[98:99] op_sel_hi:[1,0,1]
	s_delay_alu instid0(VALU_DEP_4) | instskip(SKIP_4) | instid1(VALU_DEP_4)
	v_pk_add_f32 v[100:101], v[100:101], v[152:153]
	v_pk_fma_f32 v[118:119], v[122:123], v[106:107], v[156:157] op_sel_hi:[1,0,1]
	v_pk_fma_f32 v[98:99], v[120:121], v[104:105], v[98:99] neg_lo:[0,0,1] neg_hi:[0,0,1]
	v_pk_fma_f32 v[104:105], v[122:123], v[106:107], v[156:157] neg_lo:[0,0,1] neg_hi:[0,0,1]
	v_pk_mul_f32 v[136:137], v[146:147], v[158:159] op_sel_hi:[1,0]
	v_dual_mov_b32 v99, v103 :: v_dual_mov_b32 v105, v119
	v_pk_add_f32 v[100:101], v[100:101], v[154:155]
	v_pk_mul_f32 v[160:161], v[126:127], v[110:111] op_sel:[1,1] op_sel_hi:[0,1]
	s_delay_alu instid0(VALU_DEP_4)
	v_pk_fma_f32 v[106:107], v[124:125], v[108:109], v[136:137] op_sel_hi:[1,0,1]
	v_pk_fma_f32 v[108:109], v[124:125], v[108:109], v[136:137] neg_lo:[0,0,1] neg_hi:[0,0,1]
	v_pk_mul_f32 v[118:119], v[148:149], v[134:135] op_sel_hi:[1,0]
	v_pk_add_f32 v[98:99], v[100:101], v[98:99]
	v_pk_fma_f32 v[100:101], v[126:127], v[110:111], v[160:161] op_sel_hi:[1,0,1]
	s_wait_loadcnt 0x2
	v_dual_mov_b32 v109, v107 :: v_dual_mov_b32 v100, v117
	v_pk_mul_f32 v[102:103], v[130:131], v[114:115] op_sel:[1,1] op_sel_hi:[0,1]
	v_pk_add_f32 v[98:99], v[98:99], v[104:105]
	v_pk_fma_f32 v[104:105], v[126:127], v[110:111], v[160:161] neg_lo:[0,0,1] neg_hi:[0,0,1]
	v_pk_fma_f32 v[106:107], v[128:129], v[112:113], v[118:119] op_sel_hi:[1,0,1]
	v_mov_b32_e32 v105, v101
	v_pk_fma_f32 v[110:111], v[128:129], v[112:113], v[118:119] neg_lo:[0,0,1] neg_hi:[0,0,1]
	v_pk_add_f32 v[98:99], v[98:99], v[108:109]
	v_pk_fma_f32 v[108:109], v[130:131], v[114:115], v[102:103] op_sel_hi:[1,0,1]
	v_pk_mul_f32 v[100:101], v[150:151], v[100:101] op_sel_hi:[1,0]
	v_mov_b32_e32 v111, v107
	v_pk_fma_f32 v[102:103], v[130:131], v[114:115], v[102:103] neg_lo:[0,0,1] neg_hi:[0,0,1]
	v_pk_add_f32 v[98:99], v[98:99], v[104:105]
	s_wait_loadcnt_dscnt 0x100
	v_pk_mul_f32 v[106:107], v[142:143], v[138:139] op_sel:[1,1] op_sel_hi:[0,1]
	v_pk_fma_f32 v[104:105], v[132:133], v[116:117], v[100:101] op_sel_hi:[1,0,1]
	v_mov_b32_e32 v103, v109
	v_pk_fma_f32 v[100:101], v[132:133], v[116:117], v[100:101] neg_lo:[0,0,1] neg_hi:[0,0,1]
	v_pk_add_f32 v[98:99], v[98:99], v[110:111]
	s_delay_alu instid0(VALU_DEP_4) | instskip(SKIP_1) | instid1(VALU_DEP_3)
	v_mov_b32_e32 v101, v105
	v_pk_fma_f32 v[104:105], v[142:143], v[138:139], v[106:107] neg_lo:[0,0,1] neg_hi:[0,0,1]
	v_pk_add_f32 v[98:99], v[98:99], v[102:103]
	v_pk_fma_f32 v[102:103], v[142:143], v[138:139], v[106:107] op_sel_hi:[1,0,1]
	s_delay_alu instid0(VALU_DEP_2) | instskip(NEXT) | instid1(VALU_DEP_2)
	v_pk_add_f32 v[98:99], v[98:99], v[100:101]
	v_mov_b32_e32 v105, v103
	s_delay_alu instid0(VALU_DEP_1) | instskip(SKIP_1) | instid1(VALU_DEP_1)
	v_pk_add_f32 v[98:99], v[98:99], v[104:105]
	s_wait_loadcnt 0x0
	v_pk_add_f32 v[98:99], v[140:141], v[98:99] neg_lo:[0,1] neg_hi:[0,1]
	scratch_store_b64 off, v[98:99], off offset:288
	s_wait_xcnt 0x0
	v_cmpx_lt_u32_e32 35, v0
	s_cbranch_execz .LBB47_231
; %bb.230:
	scratch_load_b64 v[98:99], off, off offset:280
	v_mov_b64_e32 v[100:101], 0
	scratch_store_b64 off, v[100:101], off offset:280
	s_wait_loadcnt 0x0
	ds_store_b64 v1, v[98:99]
.LBB47_231:
	s_wait_xcnt 0x0
	s_or_b32 exec_lo, exec_lo, s0
	s_wait_storecnt_dscnt 0x0
	s_barrier_signal -1
	s_barrier_wait -1
	s_clause 0x6
	scratch_load_b128 v[98:101], off, off offset:288
	scratch_load_b128 v[102:105], off, off offset:304
	;; [unrolled: 1-line block ×6, first 2 shown]
	scratch_load_b64 v[146:147], off, off offset:280
	ds_load_b128 v[122:125], v5 offset:704
	ds_load_b128 v[126:129], v5 offset:720
	ds_load_b128 v[130:133], v5 offset:736
	ds_load_b128 v[134:137], v5 offset:752
	ds_load_b128 v[138:141], v5 offset:672
	ds_load_b128 v[142:145], v5 offset:688
	s_mov_b32 s0, exec_lo
	s_wait_dscnt 0x5
	v_dual_mov_b32 v148, v125 :: v_dual_mov_b32 v149, v124
	s_wait_dscnt 0x4
	v_dual_mov_b32 v150, v129 :: v_dual_mov_b32 v151, v128
	;; [unrolled: 2-line block ×4, first 2 shown]
	s_wait_loadcnt_dscnt 0x601
	v_dual_mul_f32 v5, v138, v99 :: v_dual_mul_f32 v9, v140, v101
	v_dual_mul_f32 v11, v139, v99 :: v_dual_mul_f32 v13, v141, v101
	s_wait_loadcnt 0x4
	s_delay_alu instid0(VALU_DEP_2)
	v_dual_mov_b32 v162, v109 :: v_dual_fmac_f32 v5, v139, v98
	s_wait_dscnt 0x0
	v_dual_mul_f32 v157, v142, v103 :: v_dual_mul_f32 v159, v144, v105
	v_dual_fma_f32 v11, v138, v98, -v11 :: v_dual_fmac_f32 v9, v141, v100
	v_dual_mul_f32 v15, v143, v103 :: v_dual_mul_f32 v17, v145, v105
	v_dual_fma_f32 v13, v140, v100, -v13 :: v_dual_add_f32 v5, 0, v5
	s_wait_loadcnt 0x3
	s_delay_alu instid0(VALU_DEP_3) | instskip(SKIP_3) | instid1(VALU_DEP_4)
	v_dual_add_f32 v11, 0, v11 :: v_dual_mov_b32 v100, v113
	v_pk_mul_f32 v[160:161], v[122:123], v[106:107] op_sel:[1,1] op_sel_hi:[0,1]
	v_dual_fmac_f32 v157, v143, v102 :: v_dual_fma_f32 v156, v142, v102, -v15
	v_dual_add_f32 v103, v5, v9 :: v_dual_fma_f32 v158, v144, v104, -v17
	v_dual_add_f32 v102, v11, v13 :: v_dual_fmac_f32 v159, v145, v104
	s_delay_alu instid0(VALU_DEP_4) | instskip(SKIP_2) | instid1(VALU_DEP_4)
	v_pk_fma_f32 v[104:105], v[122:123], v[106:107], v[160:161] op_sel_hi:[1,0,1]
	v_pk_mul_f32 v[138:139], v[148:149], v[162:163] op_sel_hi:[1,0]
	v_pk_fma_f32 v[106:107], v[122:123], v[106:107], v[160:161] neg_lo:[0,0,1] neg_hi:[0,0,1]
	v_pk_add_f32 v[102:103], v[102:103], v[156:157]
	v_pk_mul_f32 v[98:99], v[126:127], v[110:111] op_sel:[1,1] op_sel_hi:[0,1]
	v_mov_b32_e32 v107, v105
	v_pk_fma_f32 v[104:105], v[124:125], v[108:109], v[138:139] op_sel_hi:[1,0,1]
	v_pk_fma_f32 v[108:109], v[124:125], v[108:109], v[138:139] neg_lo:[0,0,1] neg_hi:[0,0,1]
	v_pk_add_f32 v[102:103], v[102:103], v[158:159]
	v_pk_fma_f32 v[122:123], v[126:127], v[110:111], v[98:99] op_sel_hi:[1,0,1]
	v_pk_mul_f32 v[100:101], v[150:151], v[100:101] op_sel_hi:[1,0]
	v_mov_b32_e32 v109, v105
	v_pk_fma_f32 v[98:99], v[126:127], v[110:111], v[98:99] neg_lo:[0,0,1] neg_hi:[0,0,1]
	v_pk_add_f32 v[102:103], v[102:103], v[106:107]
	s_wait_loadcnt 0x2
	v_pk_mul_f32 v[140:141], v[130:131], v[114:115] op_sel:[1,1] op_sel_hi:[0,1]
	v_dual_mov_b32 v104, v117 :: v_dual_mov_b32 v99, v123
	v_pk_fma_f32 v[106:107], v[128:129], v[112:113], v[100:101] op_sel_hi:[1,0,1]
	v_pk_add_f32 v[102:103], v[102:103], v[108:109]
	v_pk_fma_f32 v[100:101], v[128:129], v[112:113], v[100:101] neg_lo:[0,0,1] neg_hi:[0,0,1]
	v_pk_fma_f32 v[108:109], v[130:131], v[114:115], v[140:141] op_sel_hi:[1,0,1]
	v_pk_mul_f32 v[104:105], v[152:153], v[104:105] op_sel_hi:[1,0]
	v_mov_b32_e32 v101, v107
	v_pk_add_f32 v[98:99], v[102:103], v[98:99]
	v_pk_fma_f32 v[106:107], v[130:131], v[114:115], v[140:141] neg_lo:[0,0,1] neg_hi:[0,0,1]
	s_wait_loadcnt 0x1
	v_pk_mul_f32 v[102:103], v[134:135], v[118:119] op_sel:[1,1] op_sel_hi:[0,1]
	v_mov_b32_e32 v107, v109
	v_pk_fma_f32 v[108:109], v[132:133], v[116:117], v[104:105] op_sel_hi:[1,0,1]
	v_pk_add_f32 v[98:99], v[98:99], v[100:101]
	v_mov_b32_e32 v100, v121
	v_pk_fma_f32 v[104:105], v[132:133], v[116:117], v[104:105] neg_lo:[0,0,1] neg_hi:[0,0,1]
	v_pk_fma_f32 v[110:111], v[134:135], v[118:119], v[102:103] op_sel_hi:[1,0,1]
	v_mov_b32_e32 v105, v109
	v_pk_add_f32 v[98:99], v[98:99], v[106:107]
	v_pk_mul_f32 v[100:101], v[154:155], v[100:101] op_sel_hi:[1,0]
	v_pk_fma_f32 v[102:103], v[134:135], v[118:119], v[102:103] neg_lo:[0,0,1] neg_hi:[0,0,1]
	s_delay_alu instid0(VALU_DEP_3) | instskip(NEXT) | instid1(VALU_DEP_3)
	v_pk_add_f32 v[98:99], v[98:99], v[104:105]
	v_pk_fma_f32 v[104:105], v[136:137], v[120:121], v[100:101] op_sel_hi:[1,0,1]
	v_mov_b32_e32 v103, v111
	v_pk_fma_f32 v[100:101], v[136:137], v[120:121], v[100:101] neg_lo:[0,0,1] neg_hi:[0,0,1]
	s_delay_alu instid0(VALU_DEP_3) | instskip(NEXT) | instid1(VALU_DEP_3)
	v_mov_b32_e32 v101, v105
	v_pk_add_f32 v[98:99], v[98:99], v[102:103]
	s_delay_alu instid0(VALU_DEP_1) | instskip(SKIP_1) | instid1(VALU_DEP_1)
	v_pk_add_f32 v[98:99], v[98:99], v[100:101]
	s_wait_loadcnt 0x0
	v_pk_add_f32 v[98:99], v[146:147], v[98:99] neg_lo:[0,1] neg_hi:[0,1]
	scratch_store_b64 off, v[98:99], off offset:280
	s_wait_xcnt 0x0
	v_cmpx_lt_u32_e32 34, v0
	s_cbranch_execz .LBB47_233
; %bb.232:
	scratch_load_b64 v[98:99], off, off offset:272
	v_mov_b64_e32 v[100:101], 0
	scratch_store_b64 off, v[100:101], off offset:272
	s_wait_loadcnt 0x0
	ds_store_b64 v1, v[98:99]
.LBB47_233:
	s_wait_xcnt 0x0
	s_or_b32 exec_lo, exec_lo, s0
	s_wait_storecnt_dscnt 0x0
	s_barrier_signal -1
	s_barrier_wait -1
	s_clause 0x7
	scratch_load_b128 v[98:101], off, off offset:280
	scratch_load_b128 v[102:105], off, off offset:296
	;; [unrolled: 1-line block ×6, first 2 shown]
	scratch_load_b64 v[146:147], off, off offset:376
	scratch_load_b64 v[148:149], off, off offset:272
	v_mov_b32_e32 v5, 0
	ds_load_2addr_b64 v[122:125], v5 offset0:87 offset1:88
	ds_load_2addr_b64 v[126:129], v5 offset0:89 offset1:90
	ds_load_2addr_b64 v[130:133], v5 offset0:91 offset1:92
	ds_load_2addr_b64 v[134:137], v5 offset0:93 offset1:94
	ds_load_2addr_b64 v[138:141], v5 offset0:83 offset1:84
	ds_load_2addr_b64 v[142:145], v5 offset0:85 offset1:86
	ds_load_b64 v[150:151], v5 offset:760
	s_mov_b32 s0, exec_lo
	s_wait_dscnt 0x6
	v_dual_mov_b32 v152, v125 :: v_dual_mov_b32 v153, v124
	s_wait_dscnt 0x3
	v_dual_mov_b32 v154, v129 :: v_dual_mov_b32 v159, v136
	v_dual_mov_b32 v155, v128 :: v_dual_mov_b32 v156, v133
	;; [unrolled: 1-line block ×3, first 2 shown]
	s_wait_loadcnt_dscnt 0x702
	v_dual_mul_f32 v9, v138, v99 :: v_dual_mul_f32 v15, v139, v99
	v_dual_mul_f32 v17, v141, v101 :: v_dual_mul_f32 v11, v140, v101
	s_wait_loadcnt_dscnt 0x601
	s_delay_alu instid0(VALU_DEP_2) | instskip(NEXT) | instid1(VALU_DEP_3)
	v_dual_mul_f32 v13, v142, v103 :: v_dual_fmac_f32 v9, v139, v98
	v_dual_fma_f32 v15, v138, v98, -v15 :: v_dual_mul_f32 v19, v143, v103
	v_mul_f32_e32 v21, v145, v105
	s_wait_loadcnt 0x4
	v_dual_mov_b32 v98, v113 :: v_dual_fma_f32 v17, v140, v100, -v17
	v_dual_fmac_f32 v11, v141, v100 :: v_dual_add_f32 v9, 0, v9
	v_dual_add_f32 v15, 0, v15 :: v_dual_fmac_f32 v13, v143, v102
	v_dual_mul_f32 v161, v144, v105 :: v_dual_mul_f32 v163, v122, v107
	v_dual_mul_f32 v23, v123, v107 :: v_dual_mov_b32 v162, v109
	s_delay_alu instid0(VALU_DEP_4) | instskip(NEXT) | instid1(VALU_DEP_3)
	v_dual_fma_f32 v19, v142, v102, -v19 :: v_dual_add_f32 v9, v9, v11
	v_dual_add_f32 v11, v15, v17 :: v_dual_fmac_f32 v161, v145, v104
	v_pk_mul_f32 v[164:165], v[126:127], v[110:111] op_sel:[1,1] op_sel_hi:[0,1]
	s_delay_alu instid0(VALU_DEP_3)
	v_dual_fma_f32 v160, v144, v104, -v21 :: v_dual_add_f32 v105, v9, v13
	v_pk_mul_f32 v[102:103], v[152:153], v[162:163] op_sel_hi:[1,0]
	s_wait_loadcnt 0x3
	v_dual_add_f32 v104, v11, v19 :: v_dual_mov_b32 v138, v117
	v_fmac_f32_e32 v163, v123, v106
	v_fma_f32 v162, v122, v106, -v23
	v_pk_fma_f32 v[106:107], v[124:125], v[108:109], v[102:103] op_sel_hi:[1,0,1]
	s_delay_alu instid0(VALU_DEP_4) | instskip(SKIP_4) | instid1(VALU_DEP_4)
	v_pk_add_f32 v[104:105], v[104:105], v[160:161]
	v_pk_fma_f32 v[122:123], v[126:127], v[110:111], v[164:165] op_sel_hi:[1,0,1]
	v_pk_fma_f32 v[102:103], v[124:125], v[108:109], v[102:103] neg_lo:[0,0,1] neg_hi:[0,0,1]
	v_pk_fma_f32 v[108:109], v[126:127], v[110:111], v[164:165] neg_lo:[0,0,1] neg_hi:[0,0,1]
	v_pk_mul_f32 v[98:99], v[154:155], v[98:99] op_sel_hi:[1,0]
	v_dual_mov_b32 v103, v107 :: v_dual_mov_b32 v109, v123
	v_pk_add_f32 v[104:105], v[104:105], v[162:163]
	v_pk_mul_f32 v[100:101], v[130:131], v[114:115] op_sel:[1,1] op_sel_hi:[0,1]
	s_delay_alu instid0(VALU_DEP_4)
	v_pk_fma_f32 v[110:111], v[128:129], v[112:113], v[98:99] op_sel_hi:[1,0,1]
	v_pk_fma_f32 v[98:99], v[128:129], v[112:113], v[98:99] neg_lo:[0,0,1] neg_hi:[0,0,1]
	v_pk_mul_f32 v[122:123], v[156:157], v[138:139] op_sel_hi:[1,0]
	v_pk_add_f32 v[102:103], v[104:105], v[102:103]
	v_pk_fma_f32 v[104:105], v[130:131], v[114:115], v[100:101] op_sel_hi:[1,0,1]
	s_wait_loadcnt 0x2
	v_dual_mov_b32 v99, v111 :: v_dual_mov_b32 v104, v121
	v_pk_fma_f32 v[100:101], v[130:131], v[114:115], v[100:101] neg_lo:[0,0,1] neg_hi:[0,0,1]
	v_pk_add_f32 v[102:103], v[102:103], v[108:109]
	v_pk_mul_f32 v[106:107], v[134:135], v[118:119] op_sel:[1,1] op_sel_hi:[0,1]
	v_pk_fma_f32 v[108:109], v[132:133], v[116:117], v[122:123] op_sel_hi:[1,0,1]
	v_mov_b32_e32 v101, v105
	v_pk_fma_f32 v[110:111], v[132:133], v[116:117], v[122:123] neg_lo:[0,0,1] neg_hi:[0,0,1]
	v_pk_add_f32 v[98:99], v[102:103], v[98:99]
	v_pk_fma_f32 v[102:103], v[134:135], v[118:119], v[106:107] op_sel_hi:[1,0,1]
	v_pk_mul_f32 v[104:105], v[158:159], v[104:105] op_sel_hi:[1,0]
	v_mov_b32_e32 v111, v109
	s_delay_alu instid0(VALU_DEP_4)
	v_pk_add_f32 v[98:99], v[98:99], v[100:101]
	v_pk_fma_f32 v[100:101], v[134:135], v[118:119], v[106:107] neg_lo:[0,0,1] neg_hi:[0,0,1]
	v_mov_b32_e32 v101, v103
	v_pk_fma_f32 v[102:103], v[136:137], v[120:121], v[104:105] op_sel_hi:[1,0,1]
	s_wait_loadcnt_dscnt 0x100
	v_pk_mul_f32 v[106:107], v[150:151], v[146:147] op_sel:[1,1] op_sel_hi:[0,1]
	v_pk_add_f32 v[98:99], v[98:99], v[110:111]
	v_pk_fma_f32 v[104:105], v[136:137], v[120:121], v[104:105] neg_lo:[0,0,1] neg_hi:[0,0,1]
	v_mov_b32_e32 v105, v103
	s_delay_alu instid0(VALU_DEP_4) | instskip(NEXT) | instid1(VALU_DEP_4)
	v_pk_fma_f32 v[102:103], v[150:151], v[146:147], v[106:107] neg_lo:[0,0,1] neg_hi:[0,0,1]
	v_pk_add_f32 v[98:99], v[98:99], v[100:101]
	v_pk_fma_f32 v[100:101], v[150:151], v[146:147], v[106:107] op_sel_hi:[1,0,1]
	s_delay_alu instid0(VALU_DEP_2) | instskip(NEXT) | instid1(VALU_DEP_2)
	v_pk_add_f32 v[98:99], v[98:99], v[104:105]
	v_mov_b32_e32 v103, v101
	s_delay_alu instid0(VALU_DEP_1) | instskip(SKIP_1) | instid1(VALU_DEP_1)
	v_pk_add_f32 v[98:99], v[98:99], v[102:103]
	s_wait_loadcnt 0x0
	v_pk_add_f32 v[98:99], v[148:149], v[98:99] neg_lo:[0,1] neg_hi:[0,1]
	scratch_store_b64 off, v[98:99], off offset:272
	s_wait_xcnt 0x0
	v_cmpx_lt_u32_e32 33, v0
	s_cbranch_execz .LBB47_235
; %bb.234:
	scratch_load_b64 v[98:99], off, off offset:264
	v_mov_b64_e32 v[100:101], 0
	scratch_store_b64 off, v[100:101], off offset:264
	s_wait_loadcnt 0x0
	ds_store_b64 v1, v[98:99]
.LBB47_235:
	s_wait_xcnt 0x0
	s_or_b32 exec_lo, exec_lo, s0
	s_wait_storecnt_dscnt 0x0
	s_barrier_signal -1
	s_barrier_wait -1
	s_clause 0x7
	scratch_load_b128 v[98:101], off, off offset:272
	scratch_load_b128 v[102:105], off, off offset:288
	;; [unrolled: 1-line block ×7, first 2 shown]
	scratch_load_b64 v[154:155], off, off offset:264
	ds_load_b128 v[126:129], v5 offset:704
	ds_load_b128 v[130:133], v5 offset:720
	;; [unrolled: 1-line block ×7, first 2 shown]
	s_mov_b32 s0, exec_lo
	s_wait_dscnt 0x6
	v_dual_mov_b32 v156, v129 :: v_dual_mov_b32 v157, v128
	s_wait_dscnt 0x5
	v_dual_mov_b32 v158, v133 :: v_dual_mov_b32 v159, v132
	;; [unrolled: 2-line block ×4, first 2 shown]
	s_wait_loadcnt_dscnt 0x702
	v_dual_mul_f32 v5, v142, v99 :: v_dual_mul_f32 v9, v144, v101
	v_dual_mul_f32 v15, v143, v99 :: v_dual_mul_f32 v17, v145, v101
	s_wait_loadcnt_dscnt 0x601
	v_dual_mul_f32 v11, v146, v103 :: v_dual_mul_f32 v13, v148, v105
	s_delay_alu instid0(VALU_DEP_2) | instskip(SKIP_1) | instid1(VALU_DEP_2)
	v_dual_fmac_f32 v5, v143, v98 :: v_dual_fma_f32 v15, v142, v98, -v15
	v_dual_mul_f32 v19, v147, v103 :: v_dual_mul_f32 v21, v149, v105
	v_dual_fmac_f32 v9, v145, v100 :: v_dual_add_f32 v5, 0, v5
	s_delay_alu instid0(VALU_DEP_3) | instskip(SKIP_2) | instid1(VALU_DEP_3)
	v_dual_fma_f32 v17, v144, v100, -v17 :: v_dual_add_f32 v15, 0, v15
	s_wait_loadcnt 0x4
	v_dual_mov_b32 v100, v113 :: v_dual_fmac_f32 v11, v147, v102
	v_dual_fma_f32 v19, v146, v102, -v19 :: v_dual_add_f32 v5, v5, v9
	s_delay_alu instid0(VALU_DEP_3)
	v_dual_add_f32 v9, v15, v17 :: v_dual_fmac_f32 v13, v149, v104
	s_wait_dscnt 0x0
	v_dual_mul_f32 v165, v150, v107 :: v_dual_mul_f32 v167, v152, v109
	v_dual_mul_f32 v23, v151, v107 :: v_dual_mul_f32 v25, v153, v109
	v_pk_mul_f32 v[98:99], v[126:127], v[110:111] op_sel:[1,1] op_sel_hi:[0,1]
	s_wait_loadcnt 0x3
	v_pk_mul_f32 v[102:103], v[130:131], v[114:115] op_sel:[1,1] op_sel_hi:[0,1]
	v_dual_fma_f32 v15, v148, v104, -v21 :: v_dual_add_f32 v5, v5, v11
	v_dual_add_f32 v9, v9, v19 :: v_dual_fmac_f32 v165, v151, v106
	v_dual_mov_b32 v104, v117 :: v_dual_fma_f32 v164, v150, v106, -v23
	s_delay_alu instid0(VALU_DEP_3)
	v_dual_add_f32 v107, v5, v13 :: v_dual_fma_f32 v166, v152, v108, -v25
	v_fmac_f32_e32 v167, v153, v108
	v_pk_fma_f32 v[108:109], v[126:127], v[110:111], v[98:99] op_sel_hi:[1,0,1]
	v_pk_fma_f32 v[98:99], v[126:127], v[110:111], v[98:99] neg_lo:[0,0,1] neg_hi:[0,0,1]
	v_pk_fma_f32 v[110:111], v[130:131], v[114:115], v[102:103] op_sel_hi:[1,0,1]
	v_add_f32_e32 v106, v9, v15
	v_pk_fma_f32 v[102:103], v[130:131], v[114:115], v[102:103] neg_lo:[0,0,1] neg_hi:[0,0,1]
	v_pk_mul_f32 v[100:101], v[156:157], v[100:101] op_sel_hi:[1,0]
	s_delay_alu instid0(VALU_DEP_4) | instskip(NEXT) | instid1(VALU_DEP_4)
	v_dual_mov_b32 v99, v109 :: v_dual_mov_b32 v103, v111
	v_pk_add_f32 v[106:107], v[106:107], v[164:165]
	v_pk_mul_f32 v[104:105], v[158:159], v[104:105] op_sel_hi:[1,0]
	s_delay_alu instid0(VALU_DEP_4)
	v_pk_fma_f32 v[108:109], v[128:129], v[112:113], v[100:101] op_sel_hi:[1,0,1]
	v_pk_fma_f32 v[100:101], v[128:129], v[112:113], v[100:101] neg_lo:[0,0,1] neg_hi:[0,0,1]
	s_wait_loadcnt 0x2
	v_pk_mul_f32 v[142:143], v[134:135], v[118:119] op_sel:[1,1] op_sel_hi:[0,1]
	v_pk_add_f32 v[106:107], v[106:107], v[166:167]
	v_mov_b32_e32 v101, v109
	v_pk_fma_f32 v[108:109], v[132:133], v[116:117], v[104:105] op_sel_hi:[1,0,1]
	v_pk_fma_f32 v[104:105], v[132:133], v[116:117], v[104:105] neg_lo:[0,0,1] neg_hi:[0,0,1]
	s_delay_alu instid0(VALU_DEP_4) | instskip(NEXT) | instid1(VALU_DEP_3)
	v_pk_add_f32 v[98:99], v[106:107], v[98:99]
	v_dual_mov_b32 v106, v121 :: v_dual_mov_b32 v105, v109
	v_pk_fma_f32 v[108:109], v[134:135], v[118:119], v[142:143] neg_lo:[0,0,1] neg_hi:[0,0,1]
	s_delay_alu instid0(VALU_DEP_3) | instskip(SKIP_1) | instid1(VALU_DEP_4)
	v_pk_add_f32 v[98:99], v[98:99], v[100:101]
	v_pk_fma_f32 v[100:101], v[134:135], v[118:119], v[142:143] op_sel_hi:[1,0,1]
	v_pk_mul_f32 v[106:107], v[160:161], v[106:107] op_sel_hi:[1,0]
	s_delay_alu instid0(VALU_DEP_3) | instskip(NEXT) | instid1(VALU_DEP_3)
	v_pk_add_f32 v[98:99], v[98:99], v[102:103]
	v_mov_b32_e32 v109, v101
	s_delay_alu instid0(VALU_DEP_3)
	v_pk_fma_f32 v[100:101], v[136:137], v[120:121], v[106:107] op_sel_hi:[1,0,1]
	s_wait_loadcnt 0x1
	v_pk_mul_f32 v[102:103], v[138:139], v[122:123] op_sel:[1,1] op_sel_hi:[0,1]
	v_mov_b32_e32 v100, v125
	v_pk_add_f32 v[98:99], v[98:99], v[104:105]
	v_pk_fma_f32 v[106:107], v[136:137], v[120:121], v[106:107] neg_lo:[0,0,1] neg_hi:[0,0,1]
	s_delay_alu instid0(VALU_DEP_4) | instskip(SKIP_1) | instid1(VALU_DEP_4)
	v_pk_fma_f32 v[104:105], v[138:139], v[122:123], v[102:103] op_sel_hi:[1,0,1]
	v_mov_b32_e32 v107, v101
	v_pk_add_f32 v[98:99], v[98:99], v[108:109]
	v_pk_mul_f32 v[100:101], v[162:163], v[100:101] op_sel_hi:[1,0]
	v_pk_fma_f32 v[102:103], v[138:139], v[122:123], v[102:103] neg_lo:[0,0,1] neg_hi:[0,0,1]
	v_mov_b32_e32 v103, v105
	s_delay_alu instid0(VALU_DEP_4) | instskip(NEXT) | instid1(VALU_DEP_4)
	v_pk_add_f32 v[98:99], v[98:99], v[106:107]
	v_pk_fma_f32 v[104:105], v[140:141], v[124:125], v[100:101] op_sel_hi:[1,0,1]
	v_pk_fma_f32 v[100:101], v[140:141], v[124:125], v[100:101] neg_lo:[0,0,1] neg_hi:[0,0,1]
	s_delay_alu instid0(VALU_DEP_3) | instskip(NEXT) | instid1(VALU_DEP_3)
	v_pk_add_f32 v[98:99], v[98:99], v[102:103]
	v_mov_b32_e32 v101, v105
	s_delay_alu instid0(VALU_DEP_1) | instskip(SKIP_1) | instid1(VALU_DEP_1)
	v_pk_add_f32 v[98:99], v[98:99], v[100:101]
	s_wait_loadcnt 0x0
	v_pk_add_f32 v[98:99], v[154:155], v[98:99] neg_lo:[0,1] neg_hi:[0,1]
	scratch_store_b64 off, v[98:99], off offset:264
	s_wait_xcnt 0x0
	v_cmpx_lt_u32_e32 32, v0
	s_cbranch_execz .LBB47_237
; %bb.236:
	scratch_load_b64 v[98:99], off, off offset:256
	v_mov_b64_e32 v[100:101], 0
	scratch_store_b64 off, v[100:101], off offset:256
	s_wait_loadcnt 0x0
	ds_store_b64 v1, v[98:99]
.LBB47_237:
	s_wait_xcnt 0x0
	s_or_b32 exec_lo, exec_lo, s0
	s_wait_storecnt_dscnt 0x0
	s_barrier_signal -1
	s_barrier_wait -1
	s_clause 0x8
	scratch_load_b128 v[98:101], off, off offset:264
	scratch_load_b128 v[102:105], off, off offset:280
	;; [unrolled: 1-line block ×7, first 2 shown]
	scratch_load_b64 v[154:155], off, off offset:376
	scratch_load_b64 v[156:157], off, off offset:256
	v_mov_b32_e32 v5, 0
	ds_load_2addr_b64 v[126:129], v5 offset0:87 offset1:88
	ds_load_2addr_b64 v[130:133], v5 offset0:89 offset1:90
	;; [unrolled: 1-line block ×7, first 2 shown]
	ds_load_b64 v[158:159], v5 offset:760
	s_mov_b32 s0, exec_lo
	s_wait_dscnt 0x7
	v_dual_mov_b32 v160, v129 :: v_dual_mov_b32 v161, v128
	s_wait_dscnt 0x4
	v_dual_mov_b32 v162, v133 :: v_dual_mov_b32 v167, v140
	v_dual_mov_b32 v163, v132 :: v_dual_mov_b32 v164, v137
	;; [unrolled: 1-line block ×3, first 2 shown]
	s_wait_loadcnt_dscnt 0x803
	v_dual_mul_f32 v9, v142, v99 :: v_dual_mul_f32 v19, v143, v99
	v_dual_mul_f32 v21, v145, v101 :: v_dual_mul_f32 v11, v144, v101
	s_wait_loadcnt_dscnt 0x702
	v_mul_f32_e32 v13, v146, v103
	s_wait_loadcnt 0x5
	v_dual_mul_f32 v31, v127, v111 :: v_dual_fma_f32 v19, v142, v98, -v19
	v_dual_fmac_f32 v9, v143, v98 :: v_dual_mov_b32 v98, v113
	v_dual_mul_f32 v23, v147, v103 :: v_dual_mul_f32 v25, v149, v105
	v_dual_fmac_f32 v11, v145, v100 :: v_dual_fma_f32 v21, v144, v100, -v21
	s_delay_alu instid0(VALU_DEP_3) | instskip(SKIP_3) | instid1(VALU_DEP_3)
	v_dual_add_f32 v9, 0, v9 :: v_dual_add_f32 v19, 0, v19
	s_wait_dscnt 0x1
	v_dual_mul_f32 v15, v148, v105 :: v_dual_mul_f32 v17, v150, v107
	v_dual_fmac_f32 v13, v147, v102 :: v_dual_fma_f32 v23, v146, v102, -v23
	v_dual_add_f32 v9, v9, v11 :: v_dual_add_f32 v11, v19, v21
	v_dual_mul_f32 v27, v151, v107 :: v_dual_mul_f32 v29, v153, v109
	s_wait_loadcnt 0x4
	v_dual_mov_b32 v102, v117 :: v_dual_fma_f32 v19, v148, v104, -v25
	s_delay_alu instid0(VALU_DEP_3) | instskip(SKIP_2) | instid1(VALU_DEP_2)
	v_dual_fmac_f32 v15, v149, v104 :: v_dual_add_f32 v11, v11, v23
	v_dual_add_f32 v9, v9, v13 :: v_dual_fmac_f32 v17, v151, v106
	v_dual_mul_f32 v169, v152, v109 :: v_dual_mul_f32 v171, v126, v111
	v_dual_fma_f32 v13, v150, v106, -v27 :: v_dual_add_f32 v9, v9, v15
	s_delay_alu instid0(VALU_DEP_2) | instskip(SKIP_1) | instid1(VALU_DEP_3)
	v_dual_add_f32 v11, v11, v19 :: v_dual_fmac_f32 v169, v153, v108
	v_pk_mul_f32 v[100:101], v[130:131], v[114:115] op_sel:[1,1] op_sel_hi:[0,1]
	v_dual_fma_f32 v168, v152, v108, -v29 :: v_dual_add_f32 v107, v9, v17
	v_pk_mul_f32 v[98:99], v[160:161], v[98:99] op_sel_hi:[1,0]
	s_wait_loadcnt 0x3
	v_dual_add_f32 v106, v11, v13 :: v_dual_mov_b32 v108, v121
	v_fmac_f32_e32 v171, v127, v110
	v_fma_f32 v170, v126, v110, -v31
	v_pk_fma_f32 v[110:111], v[128:129], v[112:113], v[98:99] op_sel_hi:[1,0,1]
	s_delay_alu instid0(VALU_DEP_4) | instskip(SKIP_4) | instid1(VALU_DEP_4)
	v_pk_add_f32 v[106:107], v[106:107], v[168:169]
	v_pk_fma_f32 v[126:127], v[130:131], v[114:115], v[100:101] op_sel_hi:[1,0,1]
	v_pk_fma_f32 v[98:99], v[128:129], v[112:113], v[98:99] neg_lo:[0,0,1] neg_hi:[0,0,1]
	v_pk_fma_f32 v[100:101], v[130:131], v[114:115], v[100:101] neg_lo:[0,0,1] neg_hi:[0,0,1]
	v_pk_mul_f32 v[102:103], v[162:163], v[102:103] op_sel_hi:[1,0]
	v_dual_mov_b32 v99, v111 :: v_dual_mov_b32 v101, v127
	v_pk_add_f32 v[106:107], v[106:107], v[170:171]
	v_pk_mul_f32 v[104:105], v[134:135], v[118:119] op_sel:[1,1] op_sel_hi:[0,1]
	s_delay_alu instid0(VALU_DEP_4)
	v_pk_fma_f32 v[112:113], v[132:133], v[116:117], v[102:103] op_sel_hi:[1,0,1]
	v_pk_fma_f32 v[102:103], v[132:133], v[116:117], v[102:103] neg_lo:[0,0,1] neg_hi:[0,0,1]
	v_pk_mul_f32 v[108:109], v[164:165], v[108:109] op_sel_hi:[1,0]
	v_pk_add_f32 v[98:99], v[106:107], v[98:99]
	v_pk_fma_f32 v[106:107], v[134:135], v[118:119], v[104:105] op_sel_hi:[1,0,1]
	v_mov_b32_e32 v103, v113
	v_pk_fma_f32 v[104:105], v[134:135], v[118:119], v[104:105] neg_lo:[0,0,1] neg_hi:[0,0,1]
	s_wait_loadcnt 0x2
	v_pk_mul_f32 v[110:111], v[138:139], v[122:123] op_sel:[1,1] op_sel_hi:[0,1]
	v_pk_add_f32 v[98:99], v[98:99], v[100:101]
	v_dual_mov_b32 v100, v125 :: v_dual_mov_b32 v105, v107
	v_pk_fma_f32 v[106:107], v[136:137], v[120:121], v[108:109] op_sel_hi:[1,0,1]
	v_pk_fma_f32 v[108:109], v[136:137], v[120:121], v[108:109] neg_lo:[0,0,1] neg_hi:[0,0,1]
	s_delay_alu instid0(VALU_DEP_4)
	v_pk_add_f32 v[98:99], v[98:99], v[102:103]
	v_pk_fma_f32 v[102:103], v[138:139], v[122:123], v[110:111] op_sel_hi:[1,0,1]
	v_pk_mul_f32 v[100:101], v[166:167], v[100:101] op_sel_hi:[1,0]
	v_mov_b32_e32 v109, v107
	s_wait_loadcnt_dscnt 0x100
	v_pk_mul_f32 v[106:107], v[158:159], v[154:155] op_sel:[1,1] op_sel_hi:[0,1]
	v_pk_add_f32 v[98:99], v[98:99], v[104:105]
	v_pk_fma_f32 v[104:105], v[138:139], v[122:123], v[110:111] neg_lo:[0,0,1] neg_hi:[0,0,1]
	v_mov_b32_e32 v105, v103
	v_pk_fma_f32 v[102:103], v[140:141], v[124:125], v[100:101] op_sel_hi:[1,0,1]
	v_pk_fma_f32 v[100:101], v[140:141], v[124:125], v[100:101] neg_lo:[0,0,1] neg_hi:[0,0,1]
	v_pk_add_f32 v[98:99], v[98:99], v[108:109]
	s_delay_alu instid0(VALU_DEP_3) | instskip(SKIP_1) | instid1(VALU_DEP_3)
	v_mov_b32_e32 v101, v103
	v_pk_fma_f32 v[102:103], v[158:159], v[154:155], v[106:107] op_sel_hi:[1,0,1]
	v_pk_add_f32 v[98:99], v[98:99], v[104:105]
	v_pk_fma_f32 v[104:105], v[158:159], v[154:155], v[106:107] neg_lo:[0,0,1] neg_hi:[0,0,1]
	s_delay_alu instid0(VALU_DEP_3) | instskip(NEXT) | instid1(VALU_DEP_3)
	v_mov_b32_e32 v105, v103
	v_pk_add_f32 v[98:99], v[98:99], v[100:101]
	s_delay_alu instid0(VALU_DEP_1) | instskip(SKIP_1) | instid1(VALU_DEP_1)
	v_pk_add_f32 v[98:99], v[98:99], v[104:105]
	s_wait_loadcnt 0x0
	v_pk_add_f32 v[98:99], v[156:157], v[98:99] neg_lo:[0,1] neg_hi:[0,1]
	scratch_store_b64 off, v[98:99], off offset:256
	s_wait_xcnt 0x0
	v_cmpx_lt_u32_e32 31, v0
	s_cbranch_execz .LBB47_239
; %bb.238:
	scratch_load_b64 v[98:99], off, off offset:248
	v_mov_b64_e32 v[100:101], 0
	scratch_store_b64 off, v[100:101], off offset:248
	s_wait_loadcnt 0x0
	ds_store_b64 v1, v[98:99]
.LBB47_239:
	s_wait_xcnt 0x0
	s_or_b32 exec_lo, exec_lo, s0
	s_wait_storecnt_dscnt 0x0
	s_barrier_signal -1
	s_barrier_wait -1
	s_clause 0x8
	scratch_load_b128 v[98:101], off, off offset:256
	scratch_load_b128 v[102:105], off, off offset:272
	scratch_load_b128 v[106:109], off, off offset:288
	scratch_load_b128 v[110:113], off, off offset:304
	scratch_load_b128 v[114:117], off, off offset:320
	scratch_load_b128 v[118:121], off, off offset:336
	scratch_load_b128 v[122:125], off, off offset:352
	scratch_load_b128 v[126:129], off, off offset:368
	scratch_load_b64 v[162:163], off, off offset:248
	ds_load_b128 v[130:133], v5 offset:704
	ds_load_b128 v[134:137], v5 offset:720
	;; [unrolled: 1-line block ×8, first 2 shown]
	s_mov_b32 s0, exec_lo
	s_wait_dscnt 0x7
	v_dual_mov_b32 v164, v133 :: v_dual_mov_b32 v165, v132
	s_wait_dscnt 0x6
	v_dual_mov_b32 v166, v137 :: v_dual_mov_b32 v167, v136
	;; [unrolled: 2-line block ×4, first 2 shown]
	s_wait_loadcnt_dscnt 0x803
	v_dual_mul_f32 v5, v146, v99 :: v_dual_mul_f32 v9, v148, v101
	v_dual_mul_f32 v19, v147, v99 :: v_dual_mul_f32 v21, v149, v101
	s_wait_loadcnt_dscnt 0x702
	v_dual_mul_f32 v11, v150, v103 :: v_dual_mul_f32 v13, v152, v105
	s_delay_alu instid0(VALU_DEP_2) | instskip(SKIP_3) | instid1(VALU_DEP_3)
	v_dual_fmac_f32 v5, v147, v98 :: v_dual_fma_f32 v19, v146, v98, -v19
	v_dual_mul_f32 v23, v151, v103 :: v_dual_mul_f32 v25, v153, v105
	s_wait_loadcnt_dscnt 0x500
	v_dual_mul_f32 v31, v159, v111 :: v_dual_fmac_f32 v9, v149, v100
	v_dual_fma_f32 v21, v148, v100, -v21 :: v_dual_add_f32 v5, 0, v5
	v_dual_add_f32 v19, 0, v19 :: v_dual_mul_f32 v33, v161, v113
	v_fmac_f32_e32 v11, v151, v102
	s_delay_alu instid0(VALU_DEP_3) | instskip(NEXT) | instid1(VALU_DEP_3)
	v_dual_fma_f32 v23, v150, v102, -v23 :: v_dual_add_f32 v5, v5, v9
	v_dual_add_f32 v9, v19, v21 :: v_dual_mul_f32 v15, v154, v107
	v_dual_mul_f32 v17, v156, v109 :: v_dual_mul_f32 v27, v155, v107
	v_mul_f32_e32 v29, v157, v109
	s_delay_alu instid0(VALU_DEP_3) | instskip(SKIP_1) | instid1(VALU_DEP_4)
	v_dual_fmac_f32 v13, v153, v104 :: v_dual_fmac_f32 v15, v155, v106
	v_dual_fma_f32 v19, v152, v104, -v25 :: v_dual_add_f32 v5, v5, v11
	v_dual_add_f32 v9, v9, v23 :: v_dual_fma_f32 v11, v154, v106, -v27
	v_dual_mul_f32 v173, v158, v111 :: v_dual_mul_f32 v175, v160, v113
	s_delay_alu instid0(VALU_DEP_3) | instskip(NEXT) | instid1(VALU_DEP_3)
	v_add_f32_e32 v5, v5, v13
	v_dual_add_f32 v9, v9, v19 :: v_dual_fma_f32 v172, v158, v110, -v31
	s_wait_loadcnt 0x4
	v_dual_mov_b32 v100, v117 :: v_dual_fma_f32 v13, v156, v108, -v29
	v_fmac_f32_e32 v17, v157, v108
	s_delay_alu instid0(VALU_DEP_3) | instskip(SKIP_2) | instid1(VALU_DEP_3)
	v_dual_add_f32 v9, v9, v11 :: v_dual_fmac_f32 v173, v159, v110
	v_dual_add_f32 v5, v5, v15 :: v_dual_fma_f32 v174, v160, v112, -v33
	v_pk_mul_f32 v[98:99], v[130:131], v[114:115] op_sel:[1,1] op_sel_hi:[0,1]
	v_add_f32_e32 v106, v9, v13
	v_fmac_f32_e32 v175, v161, v112
	s_delay_alu instid0(VALU_DEP_4)
	v_add_f32_e32 v107, v5, v17
	v_pk_mul_f32 v[100:101], v[164:165], v[100:101] op_sel_hi:[1,0]
	v_pk_fma_f32 v[108:109], v[130:131], v[114:115], v[98:99] op_sel_hi:[1,0,1]
	v_pk_fma_f32 v[98:99], v[130:131], v[114:115], v[98:99] neg_lo:[0,0,1] neg_hi:[0,0,1]
	s_wait_loadcnt 0x3
	v_pk_mul_f32 v[102:103], v[134:135], v[118:119] op_sel:[1,1] op_sel_hi:[0,1]
	v_pk_add_f32 v[106:107], v[106:107], v[172:173]
	v_dual_mov_b32 v104, v121 :: v_dual_mov_b32 v99, v109
	v_pk_fma_f32 v[108:109], v[132:133], v[116:117], v[100:101] op_sel_hi:[1,0,1]
	v_pk_fma_f32 v[100:101], v[132:133], v[116:117], v[100:101] neg_lo:[0,0,1] neg_hi:[0,0,1]
	s_delay_alu instid0(VALU_DEP_4)
	v_pk_add_f32 v[106:107], v[106:107], v[174:175]
	v_pk_fma_f32 v[112:113], v[134:135], v[118:119], v[102:103] op_sel_hi:[1,0,1]
	v_pk_mul_f32 v[104:105], v[166:167], v[104:105] op_sel_hi:[1,0]
	v_mov_b32_e32 v101, v109
	s_wait_loadcnt 0x2
	v_pk_mul_f32 v[110:111], v[138:139], v[122:123] op_sel:[1,1] op_sel_hi:[0,1]
	v_pk_add_f32 v[98:99], v[106:107], v[98:99]
	v_mov_b32_e32 v106, v125
	v_pk_fma_f32 v[102:103], v[134:135], v[118:119], v[102:103] neg_lo:[0,0,1] neg_hi:[0,0,1]
	v_pk_fma_f32 v[108:109], v[136:137], v[120:121], v[104:105] op_sel_hi:[1,0,1]
	v_mov_b32_e32 v103, v113
	v_pk_add_f32 v[98:99], v[98:99], v[100:101]
	v_pk_fma_f32 v[100:101], v[138:139], v[122:123], v[110:111] op_sel_hi:[1,0,1]
	v_pk_mul_f32 v[106:107], v[168:169], v[106:107] op_sel_hi:[1,0]
	v_pk_fma_f32 v[104:105], v[136:137], v[120:121], v[104:105] neg_lo:[0,0,1] neg_hi:[0,0,1]
	v_mov_b32_e32 v105, v109
	v_pk_add_f32 v[98:99], v[98:99], v[102:103]
	v_pk_fma_f32 v[108:109], v[138:139], v[122:123], v[110:111] neg_lo:[0,0,1] neg_hi:[0,0,1]
	v_mov_b32_e32 v109, v101
	v_pk_fma_f32 v[100:101], v[140:141], v[124:125], v[106:107] op_sel_hi:[1,0,1]
	s_wait_loadcnt 0x1
	v_pk_mul_f32 v[102:103], v[142:143], v[126:127] op_sel:[1,1] op_sel_hi:[0,1]
	v_pk_add_f32 v[98:99], v[98:99], v[104:105]
	v_mov_b32_e32 v100, v129
	v_pk_fma_f32 v[106:107], v[140:141], v[124:125], v[106:107] neg_lo:[0,0,1] neg_hi:[0,0,1]
	s_delay_alu instid0(VALU_DEP_4)
	v_pk_fma_f32 v[104:105], v[142:143], v[126:127], v[102:103] op_sel_hi:[1,0,1]
	v_mov_b32_e32 v107, v101
	v_pk_add_f32 v[98:99], v[98:99], v[108:109]
	v_pk_mul_f32 v[100:101], v[170:171], v[100:101] op_sel_hi:[1,0]
	v_pk_fma_f32 v[102:103], v[142:143], v[126:127], v[102:103] neg_lo:[0,0,1] neg_hi:[0,0,1]
	v_mov_b32_e32 v103, v105
	s_delay_alu instid0(VALU_DEP_4) | instskip(NEXT) | instid1(VALU_DEP_4)
	v_pk_add_f32 v[98:99], v[98:99], v[106:107]
	v_pk_fma_f32 v[104:105], v[144:145], v[128:129], v[100:101] op_sel_hi:[1,0,1]
	v_pk_fma_f32 v[100:101], v[144:145], v[128:129], v[100:101] neg_lo:[0,0,1] neg_hi:[0,0,1]
	s_delay_alu instid0(VALU_DEP_3) | instskip(NEXT) | instid1(VALU_DEP_3)
	v_pk_add_f32 v[98:99], v[98:99], v[102:103]
	v_mov_b32_e32 v101, v105
	s_delay_alu instid0(VALU_DEP_1) | instskip(SKIP_1) | instid1(VALU_DEP_1)
	v_pk_add_f32 v[98:99], v[98:99], v[100:101]
	s_wait_loadcnt 0x0
	v_pk_add_f32 v[98:99], v[162:163], v[98:99] neg_lo:[0,1] neg_hi:[0,1]
	scratch_store_b64 off, v[98:99], off offset:248
	s_wait_xcnt 0x0
	v_cmpx_lt_u32_e32 30, v0
	s_cbranch_execz .LBB47_241
; %bb.240:
	scratch_load_b64 v[98:99], off, off offset:240
	v_mov_b64_e32 v[100:101], 0
	scratch_store_b64 off, v[100:101], off offset:240
	s_wait_loadcnt 0x0
	ds_store_b64 v1, v[98:99]
.LBB47_241:
	s_wait_xcnt 0x0
	s_or_b32 exec_lo, exec_lo, s0
	s_wait_storecnt_dscnt 0x0
	s_barrier_signal -1
	s_barrier_wait -1
	s_clause 0x9
	scratch_load_b128 v[98:101], off, off offset:248
	scratch_load_b128 v[102:105], off, off offset:264
	;; [unrolled: 1-line block ×8, first 2 shown]
	scratch_load_b64 v[162:163], off, off offset:376
	scratch_load_b64 v[164:165], off, off offset:240
	v_mov_b32_e32 v5, 0
	ds_load_2addr_b64 v[130:133], v5 offset0:87 offset1:88
	ds_load_2addr_b64 v[134:137], v5 offset0:89 offset1:90
	;; [unrolled: 1-line block ×8, first 2 shown]
	ds_load_b64 v[166:167], v5 offset:760
	s_mov_b32 s0, exec_lo
	s_wait_dscnt 0x8
	v_dual_mov_b32 v168, v133 :: v_dual_mov_b32 v169, v132
	s_wait_dscnt 0x5
	v_dual_mov_b32 v170, v137 :: v_dual_mov_b32 v175, v144
	v_dual_mov_b32 v171, v136 :: v_dual_mov_b32 v172, v141
	;; [unrolled: 1-line block ×3, first 2 shown]
	s_wait_loadcnt_dscnt 0x904
	v_dual_mul_f32 v9, v146, v99 :: v_dual_mul_f32 v23, v147, v99
	v_dual_mul_f32 v25, v149, v101 :: v_dual_mul_f32 v11, v148, v101
	s_wait_loadcnt_dscnt 0x803
	v_mul_f32_e32 v13, v150, v103
	s_wait_loadcnt_dscnt 0x601
	v_dual_mul_f32 v35, v159, v111 :: v_dual_fma_f32 v23, v146, v98, -v23
	v_dual_fmac_f32 v9, v147, v98 :: v_dual_mul_f32 v37, v161, v113
	v_dual_mul_f32 v27, v151, v103 :: v_dual_mul_f32 v29, v153, v105
	v_dual_fmac_f32 v11, v149, v100 :: v_dual_fma_f32 v25, v148, v100, -v25
	s_delay_alu instid0(VALU_DEP_3) | instskip(SKIP_3) | instid1(VALU_DEP_3)
	v_dual_add_f32 v9, 0, v9 :: v_dual_add_f32 v23, 0, v23
	v_dual_mul_f32 v15, v152, v105 :: v_dual_mul_f32 v17, v154, v107
	s_wait_loadcnt 0x5
	v_dual_mul_f32 v39, v131, v115 :: v_dual_fma_f32 v27, v150, v102, -v27
	v_dual_fmac_f32 v13, v151, v102 :: v_dual_add_f32 v9, v9, v11
	v_dual_add_f32 v11, v23, v25 :: v_dual_mov_b32 v98, v117
	v_dual_mul_f32 v31, v155, v107 :: v_dual_mul_f32 v33, v157, v109
	v_dual_fmac_f32 v15, v153, v104 :: v_dual_fma_f32 v23, v152, v104, -v29
	s_delay_alu instid0(VALU_DEP_3) | instskip(SKIP_1) | instid1(VALU_DEP_4)
	v_dual_add_f32 v9, v9, v13 :: v_dual_add_f32 v11, v11, v27
	v_dual_mul_f32 v19, v156, v109 :: v_dual_mul_f32 v21, v158, v111
	v_dual_fmac_f32 v17, v155, v106 :: v_dual_fma_f32 v13, v154, v106, -v31
	s_delay_alu instid0(VALU_DEP_3) | instskip(SKIP_3) | instid1(VALU_DEP_3)
	v_dual_add_f32 v9, v9, v15 :: v_dual_fma_f32 v15, v156, v108, -v33
	s_wait_loadcnt 0x4
	v_dual_add_f32 v11, v11, v23 :: v_dual_mov_b32 v102, v121
	v_fmac_f32_e32 v19, v157, v108
	v_dual_add_f32 v9, v9, v17 :: v_dual_fmac_f32 v21, v159, v110
	s_delay_alu instid0(VALU_DEP_3) | instskip(SKIP_1) | instid1(VALU_DEP_3)
	v_add_f32_e32 v11, v11, v13
	v_dual_mul_f32 v177, v160, v113 :: v_dual_mul_f32 v179, v130, v115
	v_dual_fma_f32 v13, v158, v110, -v35 :: v_dual_add_f32 v9, v9, v19
	s_delay_alu instid0(VALU_DEP_2) | instskip(SKIP_1) | instid1(VALU_DEP_3)
	v_dual_add_f32 v11, v11, v15 :: v_dual_fmac_f32 v177, v161, v112
	v_pk_mul_f32 v[100:101], v[134:135], v[118:119] op_sel:[1,1] op_sel_hi:[0,1]
	v_dual_fma_f32 v176, v160, v112, -v37 :: v_dual_add_f32 v107, v9, v21
	v_pk_mul_f32 v[98:99], v[168:169], v[98:99] op_sel_hi:[1,0]
	s_wait_loadcnt 0x3
	v_dual_add_f32 v106, v11, v13 :: v_dual_mov_b32 v108, v125
	v_pk_fma_f32 v[112:113], v[134:135], v[118:119], v[100:101] op_sel_hi:[1,0,1]
	v_fmac_f32_e32 v179, v131, v114
	v_pk_fma_f32 v[110:111], v[132:133], v[116:117], v[98:99] op_sel_hi:[1,0,1]
	v_fma_f32 v178, v130, v114, -v39
	v_pk_add_f32 v[106:107], v[106:107], v[176:177]
	v_pk_fma_f32 v[98:99], v[132:133], v[116:117], v[98:99] neg_lo:[0,0,1] neg_hi:[0,0,1]
	v_pk_fma_f32 v[100:101], v[134:135], v[118:119], v[100:101] neg_lo:[0,0,1] neg_hi:[0,0,1]
	v_pk_mul_f32 v[102:103], v[170:171], v[102:103] op_sel_hi:[1,0]
	v_dual_mov_b32 v99, v111 :: v_dual_mov_b32 v101, v113
	v_pk_add_f32 v[106:107], v[106:107], v[178:179]
	v_pk_mul_f32 v[104:105], v[138:139], v[122:123] op_sel:[1,1] op_sel_hi:[0,1]
	s_delay_alu instid0(VALU_DEP_4)
	v_pk_fma_f32 v[112:113], v[136:137], v[120:121], v[102:103] op_sel_hi:[1,0,1]
	v_pk_fma_f32 v[102:103], v[136:137], v[120:121], v[102:103] neg_lo:[0,0,1] neg_hi:[0,0,1]
	v_pk_mul_f32 v[108:109], v[172:173], v[108:109] op_sel_hi:[1,0]
	v_pk_add_f32 v[98:99], v[106:107], v[98:99]
	v_pk_fma_f32 v[106:107], v[138:139], v[122:123], v[104:105] op_sel_hi:[1,0,1]
	v_mov_b32_e32 v103, v113
	v_pk_fma_f32 v[104:105], v[138:139], v[122:123], v[104:105] neg_lo:[0,0,1] neg_hi:[0,0,1]
	s_wait_loadcnt 0x2
	v_pk_mul_f32 v[110:111], v[142:143], v[126:127] op_sel:[1,1] op_sel_hi:[0,1]
	v_pk_add_f32 v[98:99], v[98:99], v[100:101]
	v_dual_mov_b32 v100, v129 :: v_dual_mov_b32 v105, v107
	v_pk_fma_f32 v[106:107], v[140:141], v[124:125], v[108:109] op_sel_hi:[1,0,1]
	v_pk_fma_f32 v[108:109], v[140:141], v[124:125], v[108:109] neg_lo:[0,0,1] neg_hi:[0,0,1]
	s_delay_alu instid0(VALU_DEP_4)
	v_pk_add_f32 v[98:99], v[98:99], v[102:103]
	v_pk_fma_f32 v[102:103], v[142:143], v[126:127], v[110:111] op_sel_hi:[1,0,1]
	v_pk_mul_f32 v[100:101], v[174:175], v[100:101] op_sel_hi:[1,0]
	v_mov_b32_e32 v109, v107
	s_wait_loadcnt_dscnt 0x100
	v_pk_mul_f32 v[106:107], v[166:167], v[162:163] op_sel:[1,1] op_sel_hi:[0,1]
	v_pk_add_f32 v[98:99], v[98:99], v[104:105]
	v_pk_fma_f32 v[104:105], v[142:143], v[126:127], v[110:111] neg_lo:[0,0,1] neg_hi:[0,0,1]
	v_mov_b32_e32 v105, v103
	v_pk_fma_f32 v[102:103], v[144:145], v[128:129], v[100:101] op_sel_hi:[1,0,1]
	v_pk_fma_f32 v[100:101], v[144:145], v[128:129], v[100:101] neg_lo:[0,0,1] neg_hi:[0,0,1]
	v_pk_add_f32 v[98:99], v[98:99], v[108:109]
	s_delay_alu instid0(VALU_DEP_3) | instskip(SKIP_1) | instid1(VALU_DEP_3)
	v_mov_b32_e32 v101, v103
	v_pk_fma_f32 v[102:103], v[166:167], v[162:163], v[106:107] op_sel_hi:[1,0,1]
	v_pk_add_f32 v[98:99], v[98:99], v[104:105]
	v_pk_fma_f32 v[104:105], v[166:167], v[162:163], v[106:107] neg_lo:[0,0,1] neg_hi:[0,0,1]
	s_delay_alu instid0(VALU_DEP_3) | instskip(NEXT) | instid1(VALU_DEP_3)
	v_mov_b32_e32 v105, v103
	v_pk_add_f32 v[98:99], v[98:99], v[100:101]
	s_delay_alu instid0(VALU_DEP_1) | instskip(SKIP_1) | instid1(VALU_DEP_1)
	v_pk_add_f32 v[98:99], v[98:99], v[104:105]
	s_wait_loadcnt 0x0
	v_pk_add_f32 v[98:99], v[164:165], v[98:99] neg_lo:[0,1] neg_hi:[0,1]
	scratch_store_b64 off, v[98:99], off offset:240
	s_wait_xcnt 0x0
	v_cmpx_lt_u32_e32 29, v0
	s_cbranch_execz .LBB47_243
; %bb.242:
	scratch_load_b64 v[98:99], off, off offset:232
	v_mov_b64_e32 v[100:101], 0
	scratch_store_b64 off, v[100:101], off offset:232
	s_wait_loadcnt 0x0
	ds_store_b64 v1, v[98:99]
.LBB47_243:
	s_wait_xcnt 0x0
	s_or_b32 exec_lo, exec_lo, s0
	s_wait_storecnt_dscnt 0x0
	s_barrier_signal -1
	s_barrier_wait -1
	s_clause 0x9
	scratch_load_b128 v[98:101], off, off offset:240
	scratch_load_b128 v[102:105], off, off offset:256
	;; [unrolled: 1-line block ×9, first 2 shown]
	scratch_load_b64 v[170:171], off, off offset:232
	ds_load_b128 v[134:137], v5 offset:704
	ds_load_b128 v[138:141], v5 offset:720
	;; [unrolled: 1-line block ×9, first 2 shown]
	s_mov_b32 s0, exec_lo
	s_wait_dscnt 0x8
	v_dual_mov_b32 v172, v137 :: v_dual_mov_b32 v173, v136
	s_wait_dscnt 0x7
	v_dual_mov_b32 v174, v141 :: v_dual_mov_b32 v175, v140
	;; [unrolled: 2-line block ×4, first 2 shown]
	s_wait_loadcnt_dscnt 0x904
	v_dual_mul_f32 v5, v150, v99 :: v_dual_mul_f32 v9, v152, v101
	v_dual_mul_f32 v23, v151, v99 :: v_dual_mul_f32 v25, v153, v101
	s_wait_loadcnt_dscnt 0x803
	v_dual_mul_f32 v11, v154, v103 :: v_dual_mul_f32 v13, v156, v105
	s_delay_alu instid0(VALU_DEP_2) | instskip(SKIP_3) | instid1(VALU_DEP_3)
	v_dual_fmac_f32 v5, v151, v98 :: v_dual_fma_f32 v23, v150, v98, -v23
	v_dual_mul_f32 v27, v155, v103 :: v_dual_mul_f32 v29, v157, v105
	s_wait_loadcnt_dscnt 0x601
	v_dual_mul_f32 v35, v163, v111 :: v_dual_fmac_f32 v9, v153, v100
	v_dual_fma_f32 v25, v152, v100, -v25 :: v_dual_add_f32 v5, 0, v5
	v_dual_add_f32 v23, 0, v23 :: v_dual_mul_f32 v37, v165, v113
	v_fmac_f32_e32 v11, v155, v102
	s_delay_alu instid0(VALU_DEP_3) | instskip(NEXT) | instid1(VALU_DEP_3)
	v_dual_fma_f32 v27, v154, v102, -v27 :: v_dual_add_f32 v5, v5, v9
	v_dual_add_f32 v9, v23, v25 :: v_dual_mul_f32 v15, v158, v107
	v_dual_mul_f32 v17, v160, v109 :: v_dual_mul_f32 v31, v159, v107
	s_wait_loadcnt_dscnt 0x500
	v_dual_mul_f32 v33, v161, v109 :: v_dual_mul_f32 v23, v167, v115
	v_fmac_f32_e32 v13, v157, v104
	v_dual_fma_f32 v25, v156, v104, -v29 :: v_dual_add_f32 v5, v5, v11
	v_dual_add_f32 v9, v9, v27 :: v_dual_fmac_f32 v15, v159, v106
	v_dual_mul_f32 v19, v162, v111 :: v_dual_mul_f32 v21, v164, v113
	v_dual_mul_f32 v11, v169, v117 :: v_dual_fma_f32 v27, v158, v106, -v31
	s_delay_alu instid0(VALU_DEP_4) | instskip(NEXT) | instid1(VALU_DEP_3)
	v_dual_add_f32 v5, v5, v13 :: v_dual_fma_f32 v13, v160, v108, -v33
	v_dual_add_f32 v9, v9, v25 :: v_dual_fmac_f32 v19, v163, v110
	v_dual_mul_f32 v181, v166, v115 :: v_dual_mul_f32 v183, v168, v117
	v_fmac_f32_e32 v17, v161, v108
	s_delay_alu instid0(VALU_DEP_4) | instskip(NEXT) | instid1(VALU_DEP_3)
	v_add_f32_e32 v5, v5, v15
	v_dual_add_f32 v9, v9, v27 :: v_dual_fmac_f32 v181, v167, v114
	v_dual_fma_f32 v15, v162, v110, -v35 :: v_dual_fmac_f32 v21, v165, v112
	s_delay_alu instid0(VALU_DEP_2)
	v_dual_fma_f32 v180, v166, v114, -v23 :: v_dual_add_f32 v9, v9, v13
	v_fma_f32 v182, v168, v116, -v11
	v_dual_fma_f32 v13, v164, v112, -v37 :: v_dual_add_f32 v5, v5, v17
	s_wait_loadcnt 0x4
	v_pk_mul_f32 v[98:99], v[134:135], v[118:119] op_sel:[1,1] op_sel_hi:[0,1]
	v_add_f32_e32 v9, v9, v15
	s_wait_loadcnt 0x3
	v_dual_mov_b32 v100, v121 :: v_dual_mov_b32 v104, v125
	v_add_f32_e32 v5, v5, v19
	v_fmac_f32_e32 v183, v169, v116
	v_add_f32_e32 v106, v9, v13
	v_pk_fma_f32 v[108:109], v[134:135], v[118:119], v[98:99] op_sel_hi:[1,0,1]
	v_pk_mul_f32 v[100:101], v[172:173], v[100:101] op_sel_hi:[1,0]
	v_add_f32_e32 v107, v5, v21
	v_pk_fma_f32 v[98:99], v[134:135], v[118:119], v[98:99] neg_lo:[0,0,1] neg_hi:[0,0,1]
	v_pk_mul_f32 v[102:103], v[138:139], v[122:123] op_sel:[1,1] op_sel_hi:[0,1]
	v_mov_b32_e32 v99, v109
	v_pk_fma_f32 v[108:109], v[136:137], v[120:121], v[100:101] op_sel_hi:[1,0,1]
	v_pk_add_f32 v[106:107], v[106:107], v[180:181]
	v_pk_fma_f32 v[100:101], v[136:137], v[120:121], v[100:101] neg_lo:[0,0,1] neg_hi:[0,0,1]
	v_pk_fma_f32 v[112:113], v[138:139], v[122:123], v[102:103] op_sel_hi:[1,0,1]
	v_pk_mul_f32 v[104:105], v[174:175], v[104:105] op_sel_hi:[1,0]
	v_mov_b32_e32 v101, v109
	v_pk_add_f32 v[106:107], v[106:107], v[182:183]
	s_wait_loadcnt 0x2
	v_pk_mul_f32 v[110:111], v[142:143], v[126:127] op_sel:[1,1] op_sel_hi:[0,1]
	v_pk_fma_f32 v[102:103], v[138:139], v[122:123], v[102:103] neg_lo:[0,0,1] neg_hi:[0,0,1]
	v_mov_b32_e32 v103, v113
	v_pk_fma_f32 v[108:109], v[140:141], v[124:125], v[104:105] op_sel_hi:[1,0,1]
	v_pk_add_f32 v[98:99], v[106:107], v[98:99]
	v_mov_b32_e32 v106, v129
	v_pk_fma_f32 v[104:105], v[140:141], v[124:125], v[104:105] neg_lo:[0,0,1] neg_hi:[0,0,1]
	s_delay_alu instid0(VALU_DEP_3) | instskip(SKIP_1) | instid1(VALU_DEP_4)
	v_pk_add_f32 v[98:99], v[98:99], v[100:101]
	v_pk_fma_f32 v[100:101], v[142:143], v[126:127], v[110:111] op_sel_hi:[1,0,1]
	v_pk_mul_f32 v[106:107], v[176:177], v[106:107] op_sel_hi:[1,0]
	v_mov_b32_e32 v105, v109
	v_pk_fma_f32 v[108:109], v[142:143], v[126:127], v[110:111] neg_lo:[0,0,1] neg_hi:[0,0,1]
	v_pk_add_f32 v[98:99], v[98:99], v[102:103]
	v_mov_b32_e32 v109, v101
	v_pk_fma_f32 v[100:101], v[144:145], v[128:129], v[106:107] op_sel_hi:[1,0,1]
	s_wait_loadcnt 0x1
	v_pk_mul_f32 v[102:103], v[146:147], v[130:131] op_sel:[1,1] op_sel_hi:[0,1]
	v_mov_b32_e32 v100, v133
	v_pk_add_f32 v[98:99], v[98:99], v[104:105]
	v_pk_fma_f32 v[106:107], v[144:145], v[128:129], v[106:107] neg_lo:[0,0,1] neg_hi:[0,0,1]
	v_mov_b32_e32 v107, v101
	v_pk_fma_f32 v[104:105], v[146:147], v[130:131], v[102:103] op_sel_hi:[1,0,1]
	v_pk_mul_f32 v[100:101], v[178:179], v[100:101] op_sel_hi:[1,0]
	v_pk_add_f32 v[98:99], v[98:99], v[108:109]
	v_pk_fma_f32 v[102:103], v[146:147], v[130:131], v[102:103] neg_lo:[0,0,1] neg_hi:[0,0,1]
	s_delay_alu instid0(VALU_DEP_4) | instskip(NEXT) | instid1(VALU_DEP_4)
	v_mov_b32_e32 v103, v105
	v_pk_fma_f32 v[104:105], v[148:149], v[132:133], v[100:101] op_sel_hi:[1,0,1]
	s_delay_alu instid0(VALU_DEP_4) | instskip(SKIP_1) | instid1(VALU_DEP_3)
	v_pk_add_f32 v[98:99], v[98:99], v[106:107]
	v_pk_fma_f32 v[100:101], v[148:149], v[132:133], v[100:101] neg_lo:[0,0,1] neg_hi:[0,0,1]
	v_mov_b32_e32 v101, v105
	s_delay_alu instid0(VALU_DEP_3) | instskip(NEXT) | instid1(VALU_DEP_1)
	v_pk_add_f32 v[98:99], v[98:99], v[102:103]
	v_pk_add_f32 v[98:99], v[98:99], v[100:101]
	s_wait_loadcnt 0x0
	s_delay_alu instid0(VALU_DEP_1)
	v_pk_add_f32 v[98:99], v[170:171], v[98:99] neg_lo:[0,1] neg_hi:[0,1]
	scratch_store_b64 off, v[98:99], off offset:232
	s_wait_xcnt 0x0
	v_cmpx_lt_u32_e32 28, v0
	s_cbranch_execz .LBB47_245
; %bb.244:
	scratch_load_b64 v[98:99], off, off offset:224
	v_mov_b64_e32 v[100:101], 0
	scratch_store_b64 off, v[100:101], off offset:224
	s_wait_loadcnt 0x0
	ds_store_b64 v1, v[98:99]
.LBB47_245:
	s_wait_xcnt 0x0
	s_or_b32 exec_lo, exec_lo, s0
	s_wait_storecnt_dscnt 0x0
	s_barrier_signal -1
	s_barrier_wait -1
	s_clause 0xa
	scratch_load_b128 v[98:101], off, off offset:232
	scratch_load_b128 v[102:105], off, off offset:248
	;; [unrolled: 1-line block ×9, first 2 shown]
	scratch_load_b64 v[170:171], off, off offset:376
	scratch_load_b64 v[172:173], off, off offset:224
	v_mov_b32_e32 v5, 0
	ds_load_2addr_b64 v[134:137], v5 offset0:87 offset1:88
	ds_load_2addr_b64 v[138:141], v5 offset0:89 offset1:90
	;; [unrolled: 1-line block ×9, first 2 shown]
	ds_load_b64 v[174:175], v5 offset:760
	s_mov_b32 s0, exec_lo
	s_wait_dscnt 0x9
	v_dual_mov_b32 v176, v137 :: v_dual_mov_b32 v177, v136
	s_wait_dscnt 0x6
	v_dual_mov_b32 v178, v141 :: v_dual_mov_b32 v183, v148
	v_dual_mov_b32 v179, v140 :: v_dual_mov_b32 v180, v145
	;; [unrolled: 1-line block ×3, first 2 shown]
	s_wait_loadcnt_dscnt 0xa05
	v_dual_mul_f32 v9, v150, v99 :: v_dual_mul_f32 v27, v151, v99
	v_dual_mul_f32 v29, v153, v101 :: v_dual_mul_f32 v11, v152, v101
	s_wait_loadcnt_dscnt 0x904
	v_mul_f32_e32 v13, v154, v103
	s_wait_loadcnt_dscnt 0x702
	v_dual_mul_f32 v39, v163, v111 :: v_dual_fma_f32 v27, v150, v98, -v27
	v_dual_fmac_f32 v9, v151, v98 :: v_dual_mul_f32 v41, v165, v113
	v_dual_mul_f32 v31, v155, v103 :: v_dual_mul_f32 v33, v157, v105
	v_dual_fmac_f32 v11, v153, v100 :: v_dual_fma_f32 v29, v152, v100, -v29
	s_delay_alu instid0(VALU_DEP_3) | instskip(SKIP_3) | instid1(VALU_DEP_3)
	v_dual_add_f32 v9, 0, v9 :: v_dual_add_f32 v27, 0, v27
	v_dual_mul_f32 v15, v156, v105 :: v_dual_mul_f32 v17, v158, v107
	s_wait_loadcnt_dscnt 0x601
	v_dual_mul_f32 v43, v167, v115 :: v_dual_fma_f32 v31, v154, v102, -v31
	v_dual_fmac_f32 v13, v155, v102 :: v_dual_add_f32 v9, v9, v11
	s_delay_alu instid0(VALU_DEP_3) | instskip(SKIP_2) | instid1(VALU_DEP_3)
	v_dual_add_f32 v11, v27, v29 :: v_dual_fmac_f32 v15, v157, v104
	v_dual_mul_f32 v35, v159, v107 :: v_dual_mul_f32 v37, v161, v109
	v_dual_mul_f32 v27, v169, v117 :: v_dual_fma_f32 v29, v156, v104, -v33
	v_dual_add_f32 v9, v9, v13 :: v_dual_add_f32 v11, v11, v31
	v_dual_mul_f32 v19, v160, v109 :: v_dual_mul_f32 v21, v162, v111
	s_wait_loadcnt 0x5
	v_dual_mul_f32 v13, v135, v119 :: v_dual_fma_f32 v31, v158, v106, -v35
	s_delay_alu instid0(VALU_DEP_3) | instskip(SKIP_2) | instid1(VALU_DEP_2)
	v_dual_fmac_f32 v17, v159, v106 :: v_dual_add_f32 v9, v9, v15
	v_dual_add_f32 v11, v11, v29 :: v_dual_mov_b32 v98, v121
	v_dual_fmac_f32 v19, v161, v108 :: v_dual_fma_f32 v15, v160, v108, -v37
	v_dual_add_f32 v9, v9, v17 :: v_dual_add_f32 v11, v11, v31
	v_dual_mul_f32 v23, v164, v113 :: v_dual_mul_f32 v25, v166, v115
	v_dual_fmac_f32 v21, v163, v110 :: v_dual_fma_f32 v17, v162, v110, -v39
	s_delay_alu instid0(VALU_DEP_3) | instskip(SKIP_3) | instid1(VALU_DEP_3)
	v_add_f32_e32 v9, v9, v19
	s_wait_loadcnt 0x4
	v_dual_add_f32 v11, v11, v15 :: v_dual_mov_b32 v102, v125
	v_dual_fmac_f32 v23, v165, v112 :: v_dual_fma_f32 v15, v164, v112, -v41
	v_dual_add_f32 v9, v9, v21 :: v_dual_fmac_f32 v25, v167, v114
	s_delay_alu instid0(VALU_DEP_3) | instskip(SKIP_1) | instid1(VALU_DEP_3)
	v_add_f32_e32 v11, v11, v17
	v_dual_mul_f32 v185, v168, v117 :: v_dual_mul_f32 v187, v134, v119
	v_dual_fma_f32 v17, v166, v114, -v43 :: v_dual_add_f32 v9, v9, v23
	s_delay_alu instid0(VALU_DEP_2) | instskip(SKIP_2) | instid1(VALU_DEP_4)
	v_dual_add_f32 v11, v11, v15 :: v_dual_fmac_f32 v185, v169, v116
	v_fma_f32 v184, v168, v116, -v27
	v_pk_mul_f32 v[98:99], v[176:177], v[98:99] op_sel_hi:[1,0]
	v_add_f32_e32 v107, v9, v25
	s_wait_loadcnt 0x3
	v_dual_add_f32 v106, v11, v17 :: v_dual_mov_b32 v108, v129
	v_pk_mul_f32 v[100:101], v[138:139], v[122:123] op_sel:[1,1] op_sel_hi:[0,1]
	v_dual_fmac_f32 v187, v135, v118 :: v_dual_fma_f32 v186, v134, v118, -v13
	v_pk_fma_f32 v[110:111], v[136:137], v[120:121], v[98:99] op_sel_hi:[1,0,1]
	s_delay_alu instid0(VALU_DEP_4)
	v_pk_add_f32 v[106:107], v[106:107], v[184:185]
	v_pk_fma_f32 v[98:99], v[136:137], v[120:121], v[98:99] neg_lo:[0,0,1] neg_hi:[0,0,1]
	v_pk_fma_f32 v[112:113], v[138:139], v[122:123], v[100:101] op_sel_hi:[1,0,1]
	v_pk_mul_f32 v[102:103], v[178:179], v[102:103] op_sel_hi:[1,0]
	v_mov_b32_e32 v99, v111
	v_pk_add_f32 v[106:107], v[106:107], v[186:187]
	v_pk_fma_f32 v[100:101], v[138:139], v[122:123], v[100:101] neg_lo:[0,0,1] neg_hi:[0,0,1]
	v_pk_mul_f32 v[104:105], v[142:143], v[126:127] op_sel:[1,1] op_sel_hi:[0,1]
	v_mov_b32_e32 v101, v113
	v_pk_fma_f32 v[112:113], v[140:141], v[124:125], v[102:103] op_sel_hi:[1,0,1]
	v_pk_add_f32 v[98:99], v[106:107], v[98:99]
	v_pk_fma_f32 v[102:103], v[140:141], v[124:125], v[102:103] neg_lo:[0,0,1] neg_hi:[0,0,1]
	v_pk_fma_f32 v[106:107], v[142:143], v[126:127], v[104:105] op_sel_hi:[1,0,1]
	v_pk_mul_f32 v[108:109], v[180:181], v[108:109] op_sel_hi:[1,0]
	v_mov_b32_e32 v103, v113
	v_pk_add_f32 v[98:99], v[98:99], v[100:101]
	v_pk_fma_f32 v[104:105], v[142:143], v[126:127], v[104:105] neg_lo:[0,0,1] neg_hi:[0,0,1]
	s_wait_loadcnt 0x2
	v_pk_mul_f32 v[110:111], v[146:147], v[130:131] op_sel:[1,1] op_sel_hi:[0,1]
	v_dual_mov_b32 v100, v133 :: v_dual_mov_b32 v105, v107
	v_pk_fma_f32 v[106:107], v[144:145], v[128:129], v[108:109] op_sel_hi:[1,0,1]
	v_pk_add_f32 v[98:99], v[98:99], v[102:103]
	v_pk_fma_f32 v[108:109], v[144:145], v[128:129], v[108:109] neg_lo:[0,0,1] neg_hi:[0,0,1]
	v_pk_fma_f32 v[102:103], v[146:147], v[130:131], v[110:111] op_sel_hi:[1,0,1]
	v_pk_mul_f32 v[100:101], v[182:183], v[100:101] op_sel_hi:[1,0]
	v_mov_b32_e32 v109, v107
	v_pk_add_f32 v[98:99], v[98:99], v[104:105]
	v_pk_fma_f32 v[104:105], v[146:147], v[130:131], v[110:111] neg_lo:[0,0,1] neg_hi:[0,0,1]
	v_mov_b32_e32 v105, v103
	v_pk_fma_f32 v[102:103], v[148:149], v[132:133], v[100:101] op_sel_hi:[1,0,1]
	s_wait_loadcnt_dscnt 0x100
	v_pk_mul_f32 v[106:107], v[174:175], v[170:171] op_sel:[1,1] op_sel_hi:[0,1]
	v_pk_add_f32 v[98:99], v[98:99], v[108:109]
	v_pk_fma_f32 v[100:101], v[148:149], v[132:133], v[100:101] neg_lo:[0,0,1] neg_hi:[0,0,1]
	v_mov_b32_e32 v101, v103
	s_delay_alu instid0(VALU_DEP_4) | instskip(NEXT) | instid1(VALU_DEP_4)
	v_pk_fma_f32 v[102:103], v[174:175], v[170:171], v[106:107] op_sel_hi:[1,0,1]
	v_pk_add_f32 v[98:99], v[98:99], v[104:105]
	v_pk_fma_f32 v[104:105], v[174:175], v[170:171], v[106:107] neg_lo:[0,0,1] neg_hi:[0,0,1]
	s_delay_alu instid0(VALU_DEP_3) | instskip(NEXT) | instid1(VALU_DEP_3)
	v_mov_b32_e32 v105, v103
	v_pk_add_f32 v[98:99], v[98:99], v[100:101]
	s_delay_alu instid0(VALU_DEP_1) | instskip(SKIP_1) | instid1(VALU_DEP_1)
	v_pk_add_f32 v[98:99], v[98:99], v[104:105]
	s_wait_loadcnt 0x0
	v_pk_add_f32 v[98:99], v[172:173], v[98:99] neg_lo:[0,1] neg_hi:[0,1]
	scratch_store_b64 off, v[98:99], off offset:224
	s_wait_xcnt 0x0
	v_cmpx_lt_u32_e32 27, v0
	s_cbranch_execz .LBB47_247
; %bb.246:
	scratch_load_b64 v[98:99], off, off offset:216
	v_mov_b64_e32 v[100:101], 0
	scratch_store_b64 off, v[100:101], off offset:216
	s_wait_loadcnt 0x0
	ds_store_b64 v1, v[98:99]
.LBB47_247:
	s_wait_xcnt 0x0
	s_or_b32 exec_lo, exec_lo, s0
	s_wait_storecnt_dscnt 0x0
	s_barrier_signal -1
	s_barrier_wait -1
	s_clause 0xa
	scratch_load_b128 v[98:101], off, off offset:224
	scratch_load_b128 v[102:105], off, off offset:240
	;; [unrolled: 1-line block ×10, first 2 shown]
	scratch_load_b64 v[178:179], off, off offset:216
	ds_load_b128 v[138:141], v5 offset:704
	ds_load_b128 v[142:145], v5 offset:720
	;; [unrolled: 1-line block ×10, first 2 shown]
	s_mov_b32 s0, exec_lo
	s_wait_dscnt 0x9
	v_dual_mov_b32 v180, v141 :: v_dual_mov_b32 v181, v140
	s_wait_dscnt 0x8
	v_dual_mov_b32 v182, v145 :: v_dual_mov_b32 v183, v144
	;; [unrolled: 2-line block ×4, first 2 shown]
	s_wait_loadcnt_dscnt 0xa05
	v_dual_mul_f32 v5, v154, v99 :: v_dual_mul_f32 v9, v156, v101
	v_dual_mul_f32 v27, v155, v99 :: v_dual_mul_f32 v29, v157, v101
	s_wait_loadcnt_dscnt 0x904
	v_dual_mul_f32 v11, v158, v103 :: v_dual_mul_f32 v13, v160, v105
	s_delay_alu instid0(VALU_DEP_2) | instskip(SKIP_3) | instid1(VALU_DEP_3)
	v_dual_fmac_f32 v5, v155, v98 :: v_dual_fma_f32 v27, v154, v98, -v27
	v_dual_mul_f32 v31, v159, v103 :: v_dual_mul_f32 v33, v161, v105
	s_wait_loadcnt_dscnt 0x702
	v_dual_mul_f32 v39, v167, v111 :: v_dual_fmac_f32 v9, v157, v100
	v_dual_fma_f32 v29, v156, v100, -v29 :: v_dual_add_f32 v5, 0, v5
	v_dual_add_f32 v27, 0, v27 :: v_dual_mul_f32 v41, v169, v113
	v_fmac_f32_e32 v11, v159, v102
	s_delay_alu instid0(VALU_DEP_3) | instskip(NEXT) | instid1(VALU_DEP_3)
	v_dual_fma_f32 v31, v158, v102, -v31 :: v_dual_add_f32 v5, v5, v9
	v_dual_add_f32 v9, v27, v29 :: v_dual_mul_f32 v15, v162, v107
	v_dual_mul_f32 v17, v164, v109 :: v_dual_mul_f32 v35, v163, v107
	s_wait_loadcnt_dscnt 0x601
	v_dual_mul_f32 v37, v165, v109 :: v_dual_mul_f32 v27, v171, v115
	v_fmac_f32_e32 v13, v161, v104
	v_dual_fma_f32 v29, v160, v104, -v33 :: v_dual_add_f32 v5, v5, v11
	v_dual_add_f32 v9, v9, v31 :: v_dual_fmac_f32 v15, v163, v106
	v_dual_mul_f32 v11, v173, v117 :: v_dual_fma_f32 v31, v162, v106, -v35
	s_wait_loadcnt_dscnt 0x500
	s_delay_alu instid0(VALU_DEP_3) | instskip(NEXT) | instid1(VALU_DEP_3)
	v_dual_add_f32 v5, v5, v13 :: v_dual_mul_f32 v13, v175, v119
	v_dual_add_f32 v9, v9, v29 :: v_dual_fma_f32 v29, v164, v108, -v37
	v_dual_mul_f32 v19, v166, v111 :: v_dual_mul_f32 v21, v168, v113
	v_fmac_f32_e32 v17, v165, v108
	s_delay_alu instid0(VALU_DEP_4) | instskip(NEXT) | instid1(VALU_DEP_3)
	v_add_f32_e32 v5, v5, v15
	v_dual_add_f32 v9, v9, v31 :: v_dual_fmac_f32 v19, v167, v110
	v_fma_f32 v31, v166, v110, -v39
	v_dual_mul_f32 v23, v170, v115 :: v_dual_mul_f32 v25, v172, v117
	s_delay_alu instid0(VALU_DEP_4) | instskip(NEXT) | instid1(VALU_DEP_4)
	v_dual_add_f32 v5, v5, v17 :: v_dual_fma_f32 v17, v168, v112, -v41
	v_dual_add_f32 v9, v9, v29 :: v_dual_fma_f32 v11, v172, v116, -v11
	v_dual_mul_f32 v189, v174, v119 :: v_dual_mul_f32 v191, v176, v121
	v_fmac_f32_e32 v21, v169, v112
	s_delay_alu instid0(VALU_DEP_4) | instskip(NEXT) | instid1(VALU_DEP_4)
	v_add_f32_e32 v5, v5, v19
	v_dual_add_f32 v9, v9, v31 :: v_dual_fma_f32 v188, v174, v118, -v13
	v_dual_mul_f32 v15, v177, v121 :: v_dual_fmac_f32 v23, v171, v114
	s_delay_alu instid0(VALU_DEP_2) | instskip(NEXT) | instid1(VALU_DEP_4)
	v_dual_fma_f32 v19, v170, v114, -v27 :: v_dual_add_f32 v9, v9, v17
	v_dual_fmac_f32 v189, v175, v118 :: v_dual_add_f32 v5, v5, v21
	s_delay_alu instid0(VALU_DEP_3) | instskip(SKIP_1) | instid1(VALU_DEP_4)
	v_fma_f32 v190, v176, v120, -v15
	v_fmac_f32_e32 v25, v173, v116
	v_add_f32_e32 v9, v9, v19
	s_wait_loadcnt 0x4
	v_pk_mul_f32 v[98:99], v[138:139], v[122:123] op_sel:[1,1] op_sel_hi:[0,1]
	v_add_f32_e32 v5, v5, v23
	s_wait_loadcnt 0x3
	v_dual_mov_b32 v100, v125 :: v_dual_mov_b32 v104, v129
	v_add_f32_e32 v106, v9, v11
	v_fmac_f32_e32 v191, v177, v120
	v_add_f32_e32 v107, v5, v25
	v_pk_fma_f32 v[108:109], v[138:139], v[122:123], v[98:99] op_sel_hi:[1,0,1]
	v_pk_mul_f32 v[100:101], v[180:181], v[100:101] op_sel_hi:[1,0]
	v_pk_fma_f32 v[98:99], v[138:139], v[122:123], v[98:99] neg_lo:[0,0,1] neg_hi:[0,0,1]
	v_pk_mul_f32 v[102:103], v[142:143], v[126:127] op_sel:[1,1] op_sel_hi:[0,1]
	v_pk_add_f32 v[106:107], v[106:107], v[188:189]
	v_mov_b32_e32 v99, v109
	v_pk_fma_f32 v[108:109], v[140:141], v[124:125], v[100:101] op_sel_hi:[1,0,1]
	v_pk_fma_f32 v[100:101], v[140:141], v[124:125], v[100:101] neg_lo:[0,0,1] neg_hi:[0,0,1]
	v_pk_fma_f32 v[112:113], v[142:143], v[126:127], v[102:103] op_sel_hi:[1,0,1]
	v_pk_add_f32 v[106:107], v[106:107], v[190:191]
	v_pk_mul_f32 v[104:105], v[182:183], v[104:105] op_sel_hi:[1,0]
	v_mov_b32_e32 v101, v109
	s_wait_loadcnt 0x2
	v_pk_mul_f32 v[110:111], v[146:147], v[130:131] op_sel:[1,1] op_sel_hi:[0,1]
	v_pk_fma_f32 v[102:103], v[142:143], v[126:127], v[102:103] neg_lo:[0,0,1] neg_hi:[0,0,1]
	v_pk_add_f32 v[98:99], v[106:107], v[98:99]
	v_dual_mov_b32 v106, v133 :: v_dual_mov_b32 v103, v113
	v_pk_fma_f32 v[108:109], v[144:145], v[128:129], v[104:105] op_sel_hi:[1,0,1]
	v_pk_fma_f32 v[104:105], v[144:145], v[128:129], v[104:105] neg_lo:[0,0,1] neg_hi:[0,0,1]
	s_delay_alu instid0(VALU_DEP_4)
	v_pk_add_f32 v[98:99], v[98:99], v[100:101]
	v_pk_fma_f32 v[100:101], v[146:147], v[130:131], v[110:111] op_sel_hi:[1,0,1]
	v_pk_mul_f32 v[106:107], v[184:185], v[106:107] op_sel_hi:[1,0]
	v_mov_b32_e32 v105, v109
	v_pk_fma_f32 v[108:109], v[146:147], v[130:131], v[110:111] neg_lo:[0,0,1] neg_hi:[0,0,1]
	v_pk_add_f32 v[98:99], v[98:99], v[102:103]
	v_mov_b32_e32 v109, v101
	v_pk_fma_f32 v[100:101], v[148:149], v[132:133], v[106:107] op_sel_hi:[1,0,1]
	s_wait_loadcnt 0x1
	v_pk_mul_f32 v[102:103], v[150:151], v[134:135] op_sel:[1,1] op_sel_hi:[0,1]
	v_mov_b32_e32 v100, v137
	v_pk_add_f32 v[98:99], v[98:99], v[104:105]
	v_pk_fma_f32 v[106:107], v[148:149], v[132:133], v[106:107] neg_lo:[0,0,1] neg_hi:[0,0,1]
	v_mov_b32_e32 v107, v101
	v_pk_fma_f32 v[104:105], v[150:151], v[134:135], v[102:103] op_sel_hi:[1,0,1]
	v_pk_mul_f32 v[100:101], v[186:187], v[100:101] op_sel_hi:[1,0]
	v_pk_add_f32 v[98:99], v[98:99], v[108:109]
	v_pk_fma_f32 v[102:103], v[150:151], v[134:135], v[102:103] neg_lo:[0,0,1] neg_hi:[0,0,1]
	s_delay_alu instid0(VALU_DEP_4) | instskip(NEXT) | instid1(VALU_DEP_4)
	v_mov_b32_e32 v103, v105
	v_pk_fma_f32 v[104:105], v[152:153], v[136:137], v[100:101] op_sel_hi:[1,0,1]
	s_delay_alu instid0(VALU_DEP_4) | instskip(SKIP_1) | instid1(VALU_DEP_3)
	v_pk_add_f32 v[98:99], v[98:99], v[106:107]
	v_pk_fma_f32 v[100:101], v[152:153], v[136:137], v[100:101] neg_lo:[0,0,1] neg_hi:[0,0,1]
	v_mov_b32_e32 v101, v105
	s_delay_alu instid0(VALU_DEP_3) | instskip(NEXT) | instid1(VALU_DEP_1)
	v_pk_add_f32 v[98:99], v[98:99], v[102:103]
	v_pk_add_f32 v[98:99], v[98:99], v[100:101]
	s_wait_loadcnt 0x0
	s_delay_alu instid0(VALU_DEP_1)
	v_pk_add_f32 v[98:99], v[178:179], v[98:99] neg_lo:[0,1] neg_hi:[0,1]
	scratch_store_b64 off, v[98:99], off offset:216
	s_wait_xcnt 0x0
	v_cmpx_lt_u32_e32 26, v0
	s_cbranch_execz .LBB47_249
; %bb.248:
	scratch_load_b64 v[98:99], off, off offset:208
	v_mov_b64_e32 v[100:101], 0
	scratch_store_b64 off, v[100:101], off offset:208
	s_wait_loadcnt 0x0
	ds_store_b64 v1, v[98:99]
.LBB47_249:
	s_wait_xcnt 0x0
	s_or_b32 exec_lo, exec_lo, s0
	s_wait_storecnt_dscnt 0x0
	s_barrier_signal -1
	s_barrier_wait -1
	s_clause 0xb
	scratch_load_b128 v[98:101], off, off offset:216
	scratch_load_b128 v[102:105], off, off offset:232
	;; [unrolled: 1-line block ×10, first 2 shown]
	scratch_load_b64 v[178:179], off, off offset:376
	scratch_load_b64 v[180:181], off, off offset:208
	v_mov_b32_e32 v5, 0
	ds_load_2addr_b64 v[138:141], v5 offset0:87 offset1:88
	ds_load_2addr_b64 v[142:145], v5 offset0:89 offset1:90
	;; [unrolled: 1-line block ×10, first 2 shown]
	ds_load_b64 v[182:183], v5 offset:760
	s_mov_b32 s0, exec_lo
	s_wait_dscnt 0xa
	v_dual_mov_b32 v184, v141 :: v_dual_mov_b32 v185, v140
	s_wait_dscnt 0x7
	v_dual_mov_b32 v186, v145 :: v_dual_mov_b32 v191, v152
	v_dual_mov_b32 v187, v144 :: v_dual_mov_b32 v188, v149
	;; [unrolled: 1-line block ×3, first 2 shown]
	s_wait_loadcnt_dscnt 0xb06
	v_dual_mul_f32 v9, v154, v99 :: v_dual_mul_f32 v31, v155, v99
	v_dual_mul_f32 v33, v157, v101 :: v_dual_mul_f32 v11, v156, v101
	s_wait_loadcnt_dscnt 0xa05
	v_mul_f32_e32 v13, v158, v103
	s_wait_loadcnt_dscnt 0x803
	v_dual_mul_f32 v43, v167, v111 :: v_dual_fma_f32 v31, v154, v98, -v31
	v_dual_fmac_f32 v9, v155, v98 :: v_dual_mul_f32 v45, v169, v113
	v_dual_mul_f32 v35, v159, v103 :: v_dual_mul_f32 v37, v161, v105
	v_dual_fmac_f32 v11, v157, v100 :: v_dual_fma_f32 v33, v156, v100, -v33
	s_delay_alu instid0(VALU_DEP_3) | instskip(SKIP_3) | instid1(VALU_DEP_3)
	v_dual_add_f32 v9, 0, v9 :: v_dual_add_f32 v31, 0, v31
	v_dual_mul_f32 v15, v160, v105 :: v_dual_mul_f32 v17, v162, v107
	s_wait_loadcnt_dscnt 0x702
	v_dual_mul_f32 v47, v171, v115 :: v_dual_fma_f32 v35, v158, v102, -v35
	v_dual_fmac_f32 v13, v159, v102 :: v_dual_add_f32 v9, v9, v11
	s_delay_alu instid0(VALU_DEP_3) | instskip(SKIP_2) | instid1(VALU_DEP_3)
	v_dual_add_f32 v11, v31, v33 :: v_dual_fmac_f32 v15, v161, v104
	v_dual_mul_f32 v39, v163, v107 :: v_dual_mul_f32 v41, v165, v109
	v_dual_mul_f32 v31, v173, v117 :: v_dual_fma_f32 v33, v160, v104, -v37
	v_dual_add_f32 v9, v9, v13 :: v_dual_add_f32 v11, v11, v35
	v_dual_mul_f32 v19, v164, v109 :: v_dual_mul_f32 v21, v166, v111
	s_wait_loadcnt_dscnt 0x601
	v_dual_mul_f32 v13, v175, v119 :: v_dual_fma_f32 v35, v162, v106, -v39
	s_delay_alu instid0(VALU_DEP_3) | instskip(NEXT) | instid1(VALU_DEP_3)
	v_dual_fmac_f32 v17, v163, v106 :: v_dual_add_f32 v9, v9, v15
	v_dual_add_f32 v11, v11, v33 :: v_dual_fmac_f32 v19, v165, v108
	v_dual_mul_f32 v15, v177, v121 :: v_dual_fma_f32 v33, v164, v108, -v41
	s_delay_alu instid0(VALU_DEP_2) | instskip(SKIP_3) | instid1(VALU_DEP_3)
	v_dual_add_f32 v9, v9, v17 :: v_dual_add_f32 v11, v11, v35
	v_dual_mul_f32 v23, v168, v113 :: v_dual_mul_f32 v25, v170, v115
	s_wait_loadcnt 0x5
	v_dual_mul_f32 v17, v139, v123 :: v_dual_fma_f32 v35, v166, v110, -v43
	v_dual_fmac_f32 v21, v167, v110 :: v_dual_add_f32 v9, v9, v19
	v_dual_add_f32 v11, v11, v33 :: v_dual_mov_b32 v98, v125
	v_dual_fmac_f32 v23, v169, v112 :: v_dual_fma_f32 v19, v168, v112, -v45
	s_delay_alu instid0(VALU_DEP_2) | instskip(SKIP_2) | instid1(VALU_DEP_3)
	v_dual_add_f32 v9, v9, v21 :: v_dual_add_f32 v11, v11, v35
	v_dual_mul_f32 v27, v172, v117 :: v_dual_mul_f32 v29, v174, v119
	v_dual_fmac_f32 v25, v171, v114 :: v_dual_fma_f32 v21, v170, v114, -v47
	v_add_f32_e32 v9, v9, v23
	s_wait_loadcnt 0x4
	v_dual_add_f32 v11, v11, v19 :: v_dual_mov_b32 v102, v129
	v_fmac_f32_e32 v27, v173, v116
	s_delay_alu instid0(VALU_DEP_3) | instskip(SKIP_1) | instid1(VALU_DEP_4)
	v_dual_fma_f32 v19, v172, v116, -v31 :: v_dual_add_f32 v9, v9, v25
	v_fmac_f32_e32 v29, v175, v118
	v_add_f32_e32 v11, v11, v21
	v_dual_mul_f32 v193, v176, v121 :: v_dual_mul_f32 v195, v138, v123
	s_delay_alu instid0(VALU_DEP_4) | instskip(NEXT) | instid1(VALU_DEP_2)
	v_dual_fma_f32 v13, v174, v118, -v13 :: v_dual_add_f32 v9, v9, v27
	v_dual_add_f32 v11, v11, v19 :: v_dual_fmac_f32 v193, v177, v120
	v_fma_f32 v192, v176, v120, -v15
	v_pk_mul_f32 v[98:99], v[184:185], v[98:99] op_sel_hi:[1,0]
	s_delay_alu instid0(VALU_DEP_4)
	v_add_f32_e32 v107, v9, v29
	s_wait_loadcnt 0x3
	v_dual_add_f32 v106, v11, v13 :: v_dual_mov_b32 v108, v133
	v_pk_mul_f32 v[100:101], v[142:143], v[126:127] op_sel:[1,1] op_sel_hi:[0,1]
	v_dual_fmac_f32 v195, v139, v122 :: v_dual_fma_f32 v194, v138, v122, -v17
	v_pk_fma_f32 v[110:111], v[140:141], v[124:125], v[98:99] op_sel_hi:[1,0,1]
	s_delay_alu instid0(VALU_DEP_4)
	v_pk_add_f32 v[106:107], v[106:107], v[192:193]
	v_pk_fma_f32 v[98:99], v[140:141], v[124:125], v[98:99] neg_lo:[0,0,1] neg_hi:[0,0,1]
	v_pk_fma_f32 v[112:113], v[142:143], v[126:127], v[100:101] op_sel_hi:[1,0,1]
	v_pk_mul_f32 v[102:103], v[186:187], v[102:103] op_sel_hi:[1,0]
	v_mov_b32_e32 v99, v111
	v_pk_add_f32 v[106:107], v[106:107], v[194:195]
	v_pk_fma_f32 v[100:101], v[142:143], v[126:127], v[100:101] neg_lo:[0,0,1] neg_hi:[0,0,1]
	v_pk_mul_f32 v[104:105], v[146:147], v[130:131] op_sel:[1,1] op_sel_hi:[0,1]
	v_mov_b32_e32 v101, v113
	v_pk_fma_f32 v[112:113], v[144:145], v[128:129], v[102:103] op_sel_hi:[1,0,1]
	v_pk_add_f32 v[98:99], v[106:107], v[98:99]
	v_pk_fma_f32 v[102:103], v[144:145], v[128:129], v[102:103] neg_lo:[0,0,1] neg_hi:[0,0,1]
	v_pk_fma_f32 v[106:107], v[146:147], v[130:131], v[104:105] op_sel_hi:[1,0,1]
	v_pk_mul_f32 v[108:109], v[188:189], v[108:109] op_sel_hi:[1,0]
	v_mov_b32_e32 v103, v113
	v_pk_add_f32 v[98:99], v[98:99], v[100:101]
	v_pk_fma_f32 v[104:105], v[146:147], v[130:131], v[104:105] neg_lo:[0,0,1] neg_hi:[0,0,1]
	s_wait_loadcnt 0x2
	v_pk_mul_f32 v[110:111], v[150:151], v[134:135] op_sel:[1,1] op_sel_hi:[0,1]
	v_dual_mov_b32 v100, v137 :: v_dual_mov_b32 v105, v107
	v_pk_fma_f32 v[106:107], v[148:149], v[132:133], v[108:109] op_sel_hi:[1,0,1]
	v_pk_add_f32 v[98:99], v[98:99], v[102:103]
	v_pk_fma_f32 v[108:109], v[148:149], v[132:133], v[108:109] neg_lo:[0,0,1] neg_hi:[0,0,1]
	v_pk_fma_f32 v[102:103], v[150:151], v[134:135], v[110:111] op_sel_hi:[1,0,1]
	v_pk_mul_f32 v[100:101], v[190:191], v[100:101] op_sel_hi:[1,0]
	v_mov_b32_e32 v109, v107
	v_pk_add_f32 v[98:99], v[98:99], v[104:105]
	v_pk_fma_f32 v[104:105], v[150:151], v[134:135], v[110:111] neg_lo:[0,0,1] neg_hi:[0,0,1]
	v_mov_b32_e32 v105, v103
	v_pk_fma_f32 v[102:103], v[152:153], v[136:137], v[100:101] op_sel_hi:[1,0,1]
	s_wait_loadcnt_dscnt 0x100
	v_pk_mul_f32 v[106:107], v[182:183], v[178:179] op_sel:[1,1] op_sel_hi:[0,1]
	v_pk_add_f32 v[98:99], v[98:99], v[108:109]
	v_pk_fma_f32 v[100:101], v[152:153], v[136:137], v[100:101] neg_lo:[0,0,1] neg_hi:[0,0,1]
	v_mov_b32_e32 v101, v103
	s_delay_alu instid0(VALU_DEP_4) | instskip(NEXT) | instid1(VALU_DEP_4)
	v_pk_fma_f32 v[102:103], v[182:183], v[178:179], v[106:107] op_sel_hi:[1,0,1]
	v_pk_add_f32 v[98:99], v[98:99], v[104:105]
	v_pk_fma_f32 v[104:105], v[182:183], v[178:179], v[106:107] neg_lo:[0,0,1] neg_hi:[0,0,1]
	s_delay_alu instid0(VALU_DEP_3) | instskip(NEXT) | instid1(VALU_DEP_3)
	v_mov_b32_e32 v105, v103
	v_pk_add_f32 v[98:99], v[98:99], v[100:101]
	s_delay_alu instid0(VALU_DEP_1) | instskip(SKIP_1) | instid1(VALU_DEP_1)
	v_pk_add_f32 v[98:99], v[98:99], v[104:105]
	s_wait_loadcnt 0x0
	v_pk_add_f32 v[98:99], v[180:181], v[98:99] neg_lo:[0,1] neg_hi:[0,1]
	scratch_store_b64 off, v[98:99], off offset:208
	s_wait_xcnt 0x0
	v_cmpx_lt_u32_e32 25, v0
	s_cbranch_execz .LBB47_251
; %bb.250:
	scratch_load_b64 v[98:99], off, off offset:200
	v_mov_b64_e32 v[100:101], 0
	scratch_store_b64 off, v[100:101], off offset:200
	s_wait_loadcnt 0x0
	ds_store_b64 v1, v[98:99]
.LBB47_251:
	s_wait_xcnt 0x0
	s_or_b32 exec_lo, exec_lo, s0
	s_wait_storecnt_dscnt 0x0
	s_barrier_signal -1
	s_barrier_wait -1
	s_clause 0xb
	scratch_load_b128 v[98:101], off, off offset:208
	scratch_load_b128 v[102:105], off, off offset:224
	;; [unrolled: 1-line block ×11, first 2 shown]
	scratch_load_b64 v[186:187], off, off offset:200
	ds_load_b128 v[142:145], v5 offset:704
	ds_load_b128 v[146:149], v5 offset:720
	;; [unrolled: 1-line block ×11, first 2 shown]
	s_mov_b32 s0, exec_lo
	s_wait_dscnt 0xa
	v_dual_mov_b32 v188, v145 :: v_dual_mov_b32 v189, v144
	s_wait_dscnt 0x9
	v_dual_mov_b32 v190, v149 :: v_dual_mov_b32 v191, v148
	s_wait_dscnt 0x8
	v_dual_mov_b32 v192, v153 :: v_dual_mov_b32 v193, v152
	s_wait_dscnt 0x7
	v_dual_mov_b32 v194, v157 :: v_dual_mov_b32 v195, v156
	s_wait_loadcnt_dscnt 0xb06
	v_dual_mul_f32 v5, v158, v99 :: v_dual_mul_f32 v9, v160, v101
	v_dual_mul_f32 v31, v159, v99 :: v_dual_mul_f32 v33, v161, v101
	s_wait_loadcnt_dscnt 0xa05
	v_dual_mul_f32 v11, v162, v103 :: v_dual_mul_f32 v13, v164, v105
	s_delay_alu instid0(VALU_DEP_2) | instskip(SKIP_3) | instid1(VALU_DEP_3)
	v_dual_fmac_f32 v5, v159, v98 :: v_dual_fma_f32 v31, v158, v98, -v31
	v_dual_mul_f32 v35, v163, v103 :: v_dual_mul_f32 v37, v165, v105
	s_wait_loadcnt_dscnt 0x803
	v_dual_mul_f32 v43, v171, v111 :: v_dual_fmac_f32 v9, v161, v100
	v_dual_fma_f32 v33, v160, v100, -v33 :: v_dual_add_f32 v5, 0, v5
	v_dual_add_f32 v31, 0, v31 :: v_dual_mul_f32 v45, v173, v113
	v_fmac_f32_e32 v11, v163, v102
	s_delay_alu instid0(VALU_DEP_3) | instskip(NEXT) | instid1(VALU_DEP_3)
	v_dual_fma_f32 v35, v162, v102, -v35 :: v_dual_add_f32 v5, v5, v9
	v_dual_add_f32 v9, v31, v33 :: v_dual_mul_f32 v15, v166, v107
	v_dual_mul_f32 v17, v168, v109 :: v_dual_mul_f32 v39, v167, v107
	v_dual_mul_f32 v41, v169, v109 :: v_dual_fma_f32 v33, v164, v104, -v37
	s_delay_alu instid0(VALU_DEP_4) | instskip(NEXT) | instid1(VALU_DEP_4)
	v_add_f32_e32 v5, v5, v11
	v_dual_add_f32 v9, v9, v35 :: v_dual_fmac_f32 v15, v167, v106
	s_wait_loadcnt_dscnt 0x702
	v_dual_mul_f32 v31, v175, v115 :: v_dual_fmac_f32 v13, v165, v104
	v_dual_mul_f32 v11, v177, v117 :: v_dual_fma_f32 v35, v166, v106, -v39
	s_delay_alu instid0(VALU_DEP_3) | instskip(SKIP_1) | instid1(VALU_DEP_3)
	v_dual_add_f32 v9, v9, v33 :: v_dual_fma_f32 v33, v168, v108, -v41
	s_wait_loadcnt_dscnt 0x601
	v_dual_add_f32 v5, v5, v13 :: v_dual_mul_f32 v13, v179, v119
	v_dual_mul_f32 v19, v170, v111 :: v_dual_mul_f32 v21, v172, v113
	s_delay_alu instid0(VALU_DEP_3) | instskip(SKIP_1) | instid1(VALU_DEP_4)
	v_add_f32_e32 v9, v9, v35
	v_fmac_f32_e32 v17, v169, v108
	v_dual_add_f32 v5, v5, v15 :: v_dual_fma_f32 v35, v170, v110, -v43
	v_dual_mul_f32 v23, v174, v115 :: v_dual_mul_f32 v25, v176, v117
	s_delay_alu instid0(VALU_DEP_4) | instskip(NEXT) | instid1(VALU_DEP_3)
	v_dual_add_f32 v9, v9, v33 :: v_dual_fma_f32 v31, v174, v114, -v31
	v_dual_fmac_f32 v19, v171, v110 :: v_dual_add_f32 v5, v5, v17
	s_delay_alu instid0(VALU_DEP_3) | instskip(NEXT) | instid1(VALU_DEP_3)
	v_dual_fmac_f32 v23, v175, v114 :: v_dual_fma_f32 v33, v172, v112, -v45
	v_dual_add_f32 v9, v9, v35 :: v_dual_fma_f32 v13, v178, v118, -v13
	v_dual_mul_f32 v27, v178, v119 :: v_dual_mul_f32 v29, v180, v121
	s_wait_loadcnt_dscnt 0x500
	v_dual_mul_f32 v15, v181, v121 :: v_dual_mul_f32 v17, v183, v123
	s_delay_alu instid0(VALU_DEP_2) | instskip(SKIP_1) | instid1(VALU_DEP_3)
	v_dual_fmac_f32 v21, v173, v112 :: v_dual_fmac_f32 v27, v179, v118
	v_dual_add_f32 v5, v5, v19 :: v_dual_fma_f32 v11, v176, v116, -v11
	v_dual_add_f32 v9, v9, v33 :: v_dual_fma_f32 v196, v182, v122, -v17
	v_dual_mul_f32 v197, v182, v123 :: v_dual_mul_f32 v199, v184, v125
	s_delay_alu instid0(VALU_DEP_3) | instskip(NEXT) | instid1(VALU_DEP_3)
	v_add_f32_e32 v5, v5, v21
	v_add_f32_e32 v9, v9, v31
	v_mul_f32_e32 v19, v185, v125
	v_fmac_f32_e32 v25, v177, v116
	v_fmac_f32_e32 v197, v183, v122
	;; [unrolled: 1-line block ×3, first 2 shown]
	v_dual_add_f32 v9, v9, v11 :: v_dual_fma_f32 v11, v180, v120, -v15
	v_dual_add_f32 v5, v5, v23 :: v_dual_fma_f32 v198, v184, v124, -v19
	s_wait_loadcnt 0x4
	v_pk_mul_f32 v[98:99], v[142:143], v[126:127] op_sel:[1,1] op_sel_hi:[0,1]
	s_delay_alu instid0(VALU_DEP_3)
	v_add_f32_e32 v9, v9, v13
	s_wait_loadcnt 0x3
	v_dual_mov_b32 v100, v129 :: v_dual_mov_b32 v104, v133
	v_add_f32_e32 v5, v5, v25
	v_fmac_f32_e32 v199, v185, v124
	v_add_f32_e32 v106, v9, v11
	v_pk_fma_f32 v[108:109], v[142:143], v[126:127], v[98:99] op_sel_hi:[1,0,1]
	v_pk_mul_f32 v[100:101], v[188:189], v[100:101] op_sel_hi:[1,0]
	v_add_f32_e32 v5, v5, v27
	v_pk_fma_f32 v[98:99], v[142:143], v[126:127], v[98:99] neg_lo:[0,0,1] neg_hi:[0,0,1]
	v_pk_mul_f32 v[102:103], v[146:147], v[130:131] op_sel:[1,1] op_sel_hi:[0,1]
	v_mov_b32_e32 v99, v109
	v_pk_fma_f32 v[108:109], v[144:145], v[128:129], v[100:101] op_sel_hi:[1,0,1]
	v_add_f32_e32 v107, v5, v29
	v_pk_fma_f32 v[100:101], v[144:145], v[128:129], v[100:101] neg_lo:[0,0,1] neg_hi:[0,0,1]
	v_pk_fma_f32 v[112:113], v[146:147], v[130:131], v[102:103] op_sel_hi:[1,0,1]
	v_pk_mul_f32 v[104:105], v[190:191], v[104:105] op_sel_hi:[1,0]
	v_mov_b32_e32 v101, v109
	v_pk_add_f32 v[106:107], v[106:107], v[196:197]
	s_wait_loadcnt 0x2
	v_pk_mul_f32 v[110:111], v[150:151], v[134:135] op_sel:[1,1] op_sel_hi:[0,1]
	v_pk_fma_f32 v[102:103], v[146:147], v[130:131], v[102:103] neg_lo:[0,0,1] neg_hi:[0,0,1]
	v_mov_b32_e32 v103, v113
	v_pk_fma_f32 v[108:109], v[148:149], v[132:133], v[104:105] op_sel_hi:[1,0,1]
	v_pk_add_f32 v[106:107], v[106:107], v[198:199]
	v_pk_fma_f32 v[104:105], v[148:149], v[132:133], v[104:105] neg_lo:[0,0,1] neg_hi:[0,0,1]
	s_delay_alu instid0(VALU_DEP_2) | instskip(SKIP_1) | instid1(VALU_DEP_2)
	v_pk_add_f32 v[98:99], v[106:107], v[98:99]
	v_mov_b32_e32 v106, v137
	v_pk_add_f32 v[98:99], v[98:99], v[100:101]
	v_pk_fma_f32 v[100:101], v[150:151], v[134:135], v[110:111] op_sel_hi:[1,0,1]
	s_delay_alu instid0(VALU_DEP_3)
	v_pk_mul_f32 v[106:107], v[192:193], v[106:107] op_sel_hi:[1,0]
	v_mov_b32_e32 v105, v109
	v_pk_fma_f32 v[108:109], v[150:151], v[134:135], v[110:111] neg_lo:[0,0,1] neg_hi:[0,0,1]
	v_pk_add_f32 v[98:99], v[98:99], v[102:103]
	v_mov_b32_e32 v109, v101
	v_pk_fma_f32 v[100:101], v[152:153], v[136:137], v[106:107] op_sel_hi:[1,0,1]
	s_wait_loadcnt 0x1
	v_pk_mul_f32 v[102:103], v[154:155], v[138:139] op_sel:[1,1] op_sel_hi:[0,1]
	v_mov_b32_e32 v100, v141
	v_pk_add_f32 v[98:99], v[98:99], v[104:105]
	v_pk_fma_f32 v[106:107], v[152:153], v[136:137], v[106:107] neg_lo:[0,0,1] neg_hi:[0,0,1]
	v_mov_b32_e32 v107, v101
	v_pk_fma_f32 v[104:105], v[154:155], v[138:139], v[102:103] op_sel_hi:[1,0,1]
	v_pk_mul_f32 v[100:101], v[194:195], v[100:101] op_sel_hi:[1,0]
	v_pk_add_f32 v[98:99], v[98:99], v[108:109]
	v_pk_fma_f32 v[102:103], v[154:155], v[138:139], v[102:103] neg_lo:[0,0,1] neg_hi:[0,0,1]
	s_delay_alu instid0(VALU_DEP_4) | instskip(NEXT) | instid1(VALU_DEP_4)
	v_mov_b32_e32 v103, v105
	v_pk_fma_f32 v[104:105], v[156:157], v[140:141], v[100:101] op_sel_hi:[1,0,1]
	s_delay_alu instid0(VALU_DEP_4) | instskip(SKIP_1) | instid1(VALU_DEP_3)
	v_pk_add_f32 v[98:99], v[98:99], v[106:107]
	v_pk_fma_f32 v[100:101], v[156:157], v[140:141], v[100:101] neg_lo:[0,0,1] neg_hi:[0,0,1]
	v_mov_b32_e32 v101, v105
	s_delay_alu instid0(VALU_DEP_3) | instskip(NEXT) | instid1(VALU_DEP_1)
	v_pk_add_f32 v[98:99], v[98:99], v[102:103]
	v_pk_add_f32 v[98:99], v[98:99], v[100:101]
	s_wait_loadcnt 0x0
	s_delay_alu instid0(VALU_DEP_1)
	v_pk_add_f32 v[98:99], v[186:187], v[98:99] neg_lo:[0,1] neg_hi:[0,1]
	scratch_store_b64 off, v[98:99], off offset:200
	s_wait_xcnt 0x0
	v_cmpx_lt_u32_e32 24, v0
	s_cbranch_execz .LBB47_253
; %bb.252:
	scratch_load_b64 v[98:99], off, off offset:192
	v_mov_b64_e32 v[100:101], 0
	scratch_store_b64 off, v[100:101], off offset:192
	s_wait_loadcnt 0x0
	ds_store_b64 v1, v[98:99]
.LBB47_253:
	s_wait_xcnt 0x0
	s_or_b32 exec_lo, exec_lo, s0
	s_wait_storecnt_dscnt 0x0
	s_barrier_signal -1
	s_barrier_wait -1
	s_clause 0xc
	scratch_load_b128 v[98:101], off, off offset:200
	scratch_load_b128 v[102:105], off, off offset:216
	;; [unrolled: 1-line block ×11, first 2 shown]
	scratch_load_b64 v[186:187], off, off offset:376
	scratch_load_b64 v[188:189], off, off offset:192
	v_mov_b32_e32 v5, 0
	ds_load_2addr_b64 v[142:145], v5 offset0:87 offset1:88
	ds_load_2addr_b64 v[146:149], v5 offset0:89 offset1:90
	ds_load_2addr_b64 v[150:153], v5 offset0:91 offset1:92
	ds_load_2addr_b64 v[154:157], v5 offset0:93 offset1:94
	ds_load_2addr_b64 v[158:161], v5 offset0:73 offset1:74
	ds_load_2addr_b64 v[162:165], v5 offset0:75 offset1:76
	ds_load_2addr_b64 v[166:169], v5 offset0:77 offset1:78
	ds_load_2addr_b64 v[170:173], v5 offset0:79 offset1:80
	ds_load_2addr_b64 v[174:177], v5 offset0:81 offset1:82
	ds_load_2addr_b64 v[178:181], v5 offset0:85 offset1:86
	ds_load_2addr_b64 v[182:185], v5 offset0:83 offset1:84
	ds_load_b64 v[190:191], v5 offset:760
	s_mov_b32 s0, exec_lo
	s_wait_dscnt 0xb
	v_dual_mov_b32 v192, v145 :: v_dual_mov_b32 v193, v144
	s_wait_dscnt 0x8
	v_dual_mov_b32 v194, v149 :: v_dual_mov_b32 v199, v156
	v_dual_mov_b32 v195, v148 :: v_dual_mov_b32 v196, v153
	;; [unrolled: 1-line block ×3, first 2 shown]
	s_wait_loadcnt_dscnt 0xc07
	v_dual_mul_f32 v9, v158, v99 :: v_dual_mul_f32 v35, v159, v99
	v_dual_mul_f32 v37, v161, v101 :: v_dual_mul_f32 v11, v160, v101
	s_wait_loadcnt_dscnt 0xb06
	v_mul_f32_e32 v13, v162, v103
	s_wait_loadcnt_dscnt 0x904
	v_dual_mul_f32 v47, v171, v111 :: v_dual_fma_f32 v35, v158, v98, -v35
	v_dual_fmac_f32 v9, v159, v98 :: v_dual_mul_f32 v49, v173, v113
	v_dual_mul_f32 v39, v163, v103 :: v_dual_mul_f32 v41, v165, v105
	v_dual_fmac_f32 v11, v161, v100 :: v_dual_fma_f32 v37, v160, v100, -v37
	s_delay_alu instid0(VALU_DEP_3) | instskip(SKIP_3) | instid1(VALU_DEP_3)
	v_dual_add_f32 v9, 0, v9 :: v_dual_add_f32 v35, 0, v35
	v_dual_mul_f32 v15, v164, v105 :: v_dual_mul_f32 v17, v166, v107
	s_wait_loadcnt_dscnt 0x803
	v_dual_mul_f32 v51, v175, v115 :: v_dual_fma_f32 v39, v162, v102, -v39
	v_dual_fmac_f32 v13, v163, v102 :: v_dual_add_f32 v9, v9, v11
	s_delay_alu instid0(VALU_DEP_3) | instskip(SKIP_2) | instid1(VALU_DEP_3)
	v_dual_add_f32 v11, v35, v37 :: v_dual_fmac_f32 v15, v165, v104
	v_dual_mul_f32 v43, v167, v107 :: v_dual_mul_f32 v45, v169, v109
	v_dual_mul_f32 v35, v177, v117 :: v_dual_fma_f32 v37, v164, v104, -v41
	v_dual_add_f32 v9, v9, v13 :: v_dual_add_f32 v11, v11, v39
	v_dual_mul_f32 v19, v168, v109 :: v_dual_mul_f32 v21, v170, v111
	s_wait_loadcnt_dscnt 0x701
	v_dual_mul_f32 v13, v183, v119 :: v_dual_fma_f32 v39, v166, v106, -v43
	s_delay_alu instid0(VALU_DEP_3) | instskip(NEXT) | instid1(VALU_DEP_3)
	v_dual_fmac_f32 v17, v167, v106 :: v_dual_add_f32 v9, v9, v15
	v_dual_add_f32 v11, v11, v37 :: v_dual_fmac_f32 v19, v169, v108
	v_dual_mul_f32 v15, v185, v121 :: v_dual_fma_f32 v37, v168, v108, -v45
	s_delay_alu instid0(VALU_DEP_2) | instskip(SKIP_3) | instid1(VALU_DEP_3)
	v_dual_add_f32 v9, v9, v17 :: v_dual_add_f32 v11, v11, v39
	v_dual_mul_f32 v23, v172, v113 :: v_dual_mul_f32 v25, v174, v115
	s_wait_loadcnt 0x6
	v_dual_mul_f32 v17, v179, v123 :: v_dual_fma_f32 v39, v170, v110, -v47
	v_dual_fmac_f32 v21, v171, v110 :: v_dual_add_f32 v9, v9, v19
	s_delay_alu instid0(VALU_DEP_3) | instskip(SKIP_1) | instid1(VALU_DEP_2)
	v_dual_add_f32 v11, v11, v37 :: v_dual_fmac_f32 v23, v173, v112
	v_dual_mul_f32 v19, v181, v125 :: v_dual_fma_f32 v37, v172, v112, -v49
	v_dual_add_f32 v9, v9, v21 :: v_dual_add_f32 v11, v11, v39
	v_dual_mul_f32 v27, v176, v117 :: v_dual_mul_f32 v29, v182, v119
	s_wait_loadcnt 0x5
	v_dual_mul_f32 v21, v143, v127 :: v_dual_fma_f32 v39, v174, v114, -v51
	s_delay_alu instid0(VALU_DEP_3) | instskip(SKIP_2) | instid1(VALU_DEP_3)
	v_dual_fmac_f32 v25, v175, v114 :: v_dual_add_f32 v9, v9, v23
	v_dual_add_f32 v11, v11, v37 :: v_dual_mov_b32 v98, v129
	v_fmac_f32_e32 v27, v177, v116
	v_dual_fma_f32 v23, v176, v116, -v35 :: v_dual_add_f32 v9, v9, v25
	s_delay_alu instid0(VALU_DEP_3) | instskip(SKIP_1) | instid1(VALU_DEP_3)
	v_dual_add_f32 v11, v11, v39 :: v_dual_mul_f32 v31, v184, v121
	v_dual_mul_f32 v33, v178, v123 :: v_dual_fmac_f32 v29, v183, v118
	v_dual_add_f32 v9, v9, v27 :: v_dual_fma_f32 v13, v182, v118, -v13
	s_wait_loadcnt 0x4
	s_delay_alu instid0(VALU_DEP_3) | instskip(SKIP_3) | instid1(VALU_DEP_4)
	v_dual_add_f32 v11, v11, v23 :: v_dual_mov_b32 v102, v133
	v_fma_f32 v15, v184, v120, -v15
	v_fmac_f32_e32 v31, v185, v120
	v_dual_add_f32 v9, v9, v29 :: v_dual_fmac_f32 v33, v179, v122
	v_add_f32_e32 v11, v11, v13
	v_dual_mul_f32 v201, v180, v125 :: v_dual_mul_f32 v203, v142, v127
	s_delay_alu instid0(VALU_DEP_3) | instskip(NEXT) | instid1(VALU_DEP_2)
	v_dual_fma_f32 v13, v178, v122, -v17 :: v_dual_add_f32 v9, v9, v31
	v_dual_add_f32 v11, v11, v15 :: v_dual_fmac_f32 v201, v181, v124
	v_fma_f32 v200, v180, v124, -v19
	v_pk_mul_f32 v[98:99], v[192:193], v[98:99] op_sel_hi:[1,0]
	s_delay_alu instid0(VALU_DEP_4)
	v_add_f32_e32 v107, v9, v33
	s_wait_loadcnt 0x3
	v_dual_add_f32 v106, v11, v13 :: v_dual_mov_b32 v108, v137
	v_pk_mul_f32 v[100:101], v[146:147], v[130:131] op_sel:[1,1] op_sel_hi:[0,1]
	v_dual_fmac_f32 v203, v143, v126 :: v_dual_fma_f32 v202, v142, v126, -v21
	v_pk_fma_f32 v[110:111], v[144:145], v[128:129], v[98:99] op_sel_hi:[1,0,1]
	s_delay_alu instid0(VALU_DEP_4)
	v_pk_add_f32 v[106:107], v[106:107], v[200:201]
	v_pk_fma_f32 v[98:99], v[144:145], v[128:129], v[98:99] neg_lo:[0,0,1] neg_hi:[0,0,1]
	v_pk_fma_f32 v[112:113], v[146:147], v[130:131], v[100:101] op_sel_hi:[1,0,1]
	v_pk_mul_f32 v[102:103], v[194:195], v[102:103] op_sel_hi:[1,0]
	v_mov_b32_e32 v99, v111
	v_pk_add_f32 v[106:107], v[106:107], v[202:203]
	v_pk_fma_f32 v[100:101], v[146:147], v[130:131], v[100:101] neg_lo:[0,0,1] neg_hi:[0,0,1]
	v_pk_mul_f32 v[104:105], v[150:151], v[134:135] op_sel:[1,1] op_sel_hi:[0,1]
	v_mov_b32_e32 v101, v113
	v_pk_fma_f32 v[112:113], v[148:149], v[132:133], v[102:103] op_sel_hi:[1,0,1]
	v_pk_add_f32 v[98:99], v[106:107], v[98:99]
	v_pk_fma_f32 v[102:103], v[148:149], v[132:133], v[102:103] neg_lo:[0,0,1] neg_hi:[0,0,1]
	v_pk_fma_f32 v[106:107], v[150:151], v[134:135], v[104:105] op_sel_hi:[1,0,1]
	v_pk_mul_f32 v[108:109], v[196:197], v[108:109] op_sel_hi:[1,0]
	v_mov_b32_e32 v103, v113
	v_pk_add_f32 v[98:99], v[98:99], v[100:101]
	v_pk_fma_f32 v[104:105], v[150:151], v[134:135], v[104:105] neg_lo:[0,0,1] neg_hi:[0,0,1]
	s_wait_loadcnt 0x2
	v_pk_mul_f32 v[110:111], v[154:155], v[138:139] op_sel:[1,1] op_sel_hi:[0,1]
	v_dual_mov_b32 v100, v141 :: v_dual_mov_b32 v105, v107
	v_pk_fma_f32 v[106:107], v[152:153], v[136:137], v[108:109] op_sel_hi:[1,0,1]
	v_pk_add_f32 v[98:99], v[98:99], v[102:103]
	v_pk_fma_f32 v[108:109], v[152:153], v[136:137], v[108:109] neg_lo:[0,0,1] neg_hi:[0,0,1]
	v_pk_fma_f32 v[102:103], v[154:155], v[138:139], v[110:111] op_sel_hi:[1,0,1]
	v_pk_mul_f32 v[100:101], v[198:199], v[100:101] op_sel_hi:[1,0]
	v_mov_b32_e32 v109, v107
	v_pk_add_f32 v[98:99], v[98:99], v[104:105]
	v_pk_fma_f32 v[104:105], v[154:155], v[138:139], v[110:111] neg_lo:[0,0,1] neg_hi:[0,0,1]
	v_mov_b32_e32 v105, v103
	v_pk_fma_f32 v[102:103], v[156:157], v[140:141], v[100:101] op_sel_hi:[1,0,1]
	s_wait_loadcnt_dscnt 0x100
	v_pk_mul_f32 v[106:107], v[190:191], v[186:187] op_sel:[1,1] op_sel_hi:[0,1]
	v_pk_add_f32 v[98:99], v[98:99], v[108:109]
	v_pk_fma_f32 v[100:101], v[156:157], v[140:141], v[100:101] neg_lo:[0,0,1] neg_hi:[0,0,1]
	v_mov_b32_e32 v101, v103
	s_delay_alu instid0(VALU_DEP_4) | instskip(NEXT) | instid1(VALU_DEP_4)
	v_pk_fma_f32 v[102:103], v[190:191], v[186:187], v[106:107] op_sel_hi:[1,0,1]
	v_pk_add_f32 v[98:99], v[98:99], v[104:105]
	v_pk_fma_f32 v[104:105], v[190:191], v[186:187], v[106:107] neg_lo:[0,0,1] neg_hi:[0,0,1]
	s_delay_alu instid0(VALU_DEP_3) | instskip(NEXT) | instid1(VALU_DEP_3)
	v_mov_b32_e32 v105, v103
	v_pk_add_f32 v[98:99], v[98:99], v[100:101]
	s_delay_alu instid0(VALU_DEP_1) | instskip(SKIP_1) | instid1(VALU_DEP_1)
	v_pk_add_f32 v[98:99], v[98:99], v[104:105]
	s_wait_loadcnt 0x0
	v_pk_add_f32 v[98:99], v[188:189], v[98:99] neg_lo:[0,1] neg_hi:[0,1]
	scratch_store_b64 off, v[98:99], off offset:192
	s_wait_xcnt 0x0
	v_cmpx_lt_u32_e32 23, v0
	s_cbranch_execz .LBB47_255
; %bb.254:
	scratch_load_b64 v[98:99], off, off offset:184
	v_mov_b64_e32 v[100:101], 0
	scratch_store_b64 off, v[100:101], off offset:184
	s_wait_loadcnt 0x0
	ds_store_b64 v1, v[98:99]
.LBB47_255:
	s_wait_xcnt 0x0
	s_or_b32 exec_lo, exec_lo, s0
	s_wait_storecnt_dscnt 0x0
	s_barrier_signal -1
	s_barrier_wait -1
	s_clause 0xc
	scratch_load_b128 v[98:101], off, off offset:192
	scratch_load_b128 v[102:105], off, off offset:208
	;; [unrolled: 1-line block ×12, first 2 shown]
	scratch_load_b64 v[194:195], off, off offset:184
	ds_load_b128 v[146:149], v5 offset:704
	ds_load_b128 v[150:153], v5 offset:720
	;; [unrolled: 1-line block ×12, first 2 shown]
	s_mov_b32 s0, exec_lo
	s_wait_dscnt 0xb
	v_dual_mov_b32 v196, v149 :: v_dual_mov_b32 v197, v148
	s_wait_dscnt 0xa
	v_dual_mov_b32 v198, v153 :: v_dual_mov_b32 v199, v152
	;; [unrolled: 2-line block ×4, first 2 shown]
	s_wait_loadcnt_dscnt 0xc07
	v_dual_mul_f32 v5, v162, v99 :: v_dual_mul_f32 v9, v164, v101
	v_dual_mul_f32 v35, v163, v99 :: v_dual_mul_f32 v37, v165, v101
	s_wait_loadcnt_dscnt 0xb06
	v_dual_mul_f32 v11, v166, v103 :: v_dual_mul_f32 v13, v168, v105
	s_delay_alu instid0(VALU_DEP_2) | instskip(SKIP_3) | instid1(VALU_DEP_3)
	v_dual_fmac_f32 v5, v163, v98 :: v_dual_fma_f32 v35, v162, v98, -v35
	v_dual_mul_f32 v39, v167, v103 :: v_dual_mul_f32 v41, v169, v105
	s_wait_loadcnt_dscnt 0x904
	v_dual_mul_f32 v47, v175, v111 :: v_dual_fmac_f32 v9, v165, v100
	v_dual_fma_f32 v37, v164, v100, -v37 :: v_dual_add_f32 v5, 0, v5
	v_dual_add_f32 v35, 0, v35 :: v_dual_mul_f32 v49, v177, v113
	v_fmac_f32_e32 v11, v167, v102
	s_delay_alu instid0(VALU_DEP_3) | instskip(NEXT) | instid1(VALU_DEP_3)
	v_dual_fma_f32 v39, v166, v102, -v39 :: v_dual_add_f32 v5, v5, v9
	v_dual_add_f32 v9, v35, v37 :: v_dual_mul_f32 v15, v170, v107
	v_dual_mul_f32 v17, v172, v109 :: v_dual_mul_f32 v43, v171, v107
	v_dual_mul_f32 v45, v173, v109 :: v_dual_fma_f32 v37, v168, v104, -v41
	s_delay_alu instid0(VALU_DEP_4) | instskip(NEXT) | instid1(VALU_DEP_4)
	v_add_f32_e32 v5, v5, v11
	v_dual_add_f32 v9, v9, v39 :: v_dual_fmac_f32 v15, v171, v106
	s_wait_loadcnt_dscnt 0x803
	v_dual_mul_f32 v35, v179, v115 :: v_dual_fmac_f32 v13, v169, v104
	v_dual_mul_f32 v11, v181, v117 :: v_dual_fma_f32 v39, v170, v106, -v43
	s_delay_alu instid0(VALU_DEP_3) | instskip(SKIP_1) | instid1(VALU_DEP_3)
	v_dual_add_f32 v9, v9, v37 :: v_dual_fma_f32 v37, v172, v108, -v45
	s_wait_loadcnt_dscnt 0x702
	v_dual_add_f32 v5, v5, v13 :: v_dual_mul_f32 v13, v183, v119
	v_dual_mul_f32 v19, v174, v111 :: v_dual_mul_f32 v21, v176, v113
	s_delay_alu instid0(VALU_DEP_3) | instskip(SKIP_1) | instid1(VALU_DEP_4)
	v_add_f32_e32 v9, v9, v39
	v_fmac_f32_e32 v17, v173, v108
	v_dual_add_f32 v5, v5, v15 :: v_dual_fma_f32 v39, v174, v110, -v47
	v_dual_mul_f32 v23, v178, v115 :: v_dual_mul_f32 v25, v180, v117
	s_delay_alu instid0(VALU_DEP_4) | instskip(NEXT) | instid1(VALU_DEP_3)
	v_dual_add_f32 v9, v9, v37 :: v_dual_fma_f32 v35, v178, v114, -v35
	v_dual_fmac_f32 v19, v175, v110 :: v_dual_add_f32 v5, v5, v17
	s_delay_alu instid0(VALU_DEP_3) | instskip(NEXT) | instid1(VALU_DEP_3)
	v_dual_fmac_f32 v23, v179, v114 :: v_dual_fma_f32 v37, v176, v112, -v49
	v_dual_add_f32 v9, v9, v39 :: v_dual_fma_f32 v13, v182, v118, -v13
	v_dual_mul_f32 v27, v182, v119 :: v_dual_mul_f32 v29, v184, v121
	s_wait_loadcnt_dscnt 0x601
	v_dual_mul_f32 v31, v186, v123 :: v_dual_mul_f32 v33, v188, v125
	s_delay_alu instid0(VALU_DEP_2) | instskip(SKIP_1) | instid1(VALU_DEP_3)
	v_dual_fmac_f32 v21, v177, v112 :: v_dual_fmac_f32 v27, v183, v118
	v_dual_add_f32 v5, v5, v19 :: v_dual_fma_f32 v11, v180, v116, -v11
	v_dual_add_f32 v9, v9, v37 :: v_dual_fmac_f32 v31, v187, v122
	v_dual_mul_f32 v15, v185, v121 :: v_dual_mul_f32 v17, v187, v123
	v_mul_f32_e32 v19, v189, v125
	s_wait_loadcnt_dscnt 0x500
	v_dual_add_f32 v5, v5, v21 :: v_dual_mul_f32 v21, v191, v127
	v_add_f32_e32 v9, v9, v35
	v_dual_mul_f32 v205, v190, v127 :: v_dual_mul_f32 v207, v192, v129
	v_fmac_f32_e32 v25, v181, v116
	v_fmac_f32_e32 v29, v185, v120
	s_delay_alu instid0(VALU_DEP_4)
	v_dual_add_f32 v9, v9, v11 :: v_dual_fma_f32 v11, v184, v120, -v15
	v_add_f32_e32 v5, v5, v23
	v_dual_mul_f32 v23, v193, v129 :: v_dual_fmac_f32 v205, v191, v126
	v_fma_f32 v204, v190, v126, -v21
	v_fmac_f32_e32 v33, v189, v124
	s_wait_loadcnt 0x4
	v_pk_mul_f32 v[98:99], v[146:147], v[130:131] op_sel:[1,1] op_sel_hi:[0,1]
	v_dual_fma_f32 v206, v192, v128, -v23 :: v_dual_add_f32 v9, v9, v13
	v_dual_fma_f32 v13, v186, v122, -v17 :: v_dual_add_f32 v5, v5, v25
	s_wait_loadcnt 0x3
	v_dual_mov_b32 v100, v133 :: v_dual_mov_b32 v104, v137
	s_delay_alu instid0(VALU_DEP_3) | instskip(NEXT) | instid1(VALU_DEP_3)
	v_dual_add_f32 v9, v9, v11 :: v_dual_fma_f32 v11, v188, v124, -v19
	v_add_f32_e32 v5, v5, v27
	v_fmac_f32_e32 v207, v193, v128
	v_pk_fma_f32 v[108:109], v[146:147], v[130:131], v[98:99] op_sel_hi:[1,0,1]
	s_delay_alu instid0(VALU_DEP_4)
	v_add_f32_e32 v9, v9, v13
	v_pk_mul_f32 v[100:101], v[196:197], v[100:101] op_sel_hi:[1,0]
	v_add_f32_e32 v5, v5, v29
	v_pk_fma_f32 v[98:99], v[146:147], v[130:131], v[98:99] neg_lo:[0,0,1] neg_hi:[0,0,1]
	v_pk_mul_f32 v[102:103], v[150:151], v[134:135] op_sel:[1,1] op_sel_hi:[0,1]
	v_add_f32_e32 v106, v9, v11
	v_mov_b32_e32 v99, v109
	v_add_f32_e32 v5, v5, v31
	v_pk_fma_f32 v[108:109], v[148:149], v[132:133], v[100:101] op_sel_hi:[1,0,1]
	v_pk_fma_f32 v[100:101], v[148:149], v[132:133], v[100:101] neg_lo:[0,0,1] neg_hi:[0,0,1]
	v_pk_fma_f32 v[112:113], v[150:151], v[134:135], v[102:103] op_sel_hi:[1,0,1]
	v_pk_mul_f32 v[104:105], v[198:199], v[104:105] op_sel_hi:[1,0]
	v_add_f32_e32 v107, v5, v33
	v_mov_b32_e32 v101, v109
	s_wait_loadcnt 0x2
	v_pk_mul_f32 v[110:111], v[154:155], v[138:139] op_sel:[1,1] op_sel_hi:[0,1]
	v_pk_fma_f32 v[102:103], v[150:151], v[134:135], v[102:103] neg_lo:[0,0,1] neg_hi:[0,0,1]
	v_mov_b32_e32 v103, v113
	v_pk_add_f32 v[106:107], v[106:107], v[204:205]
	v_pk_fma_f32 v[108:109], v[152:153], v[136:137], v[104:105] op_sel_hi:[1,0,1]
	v_pk_fma_f32 v[104:105], v[152:153], v[136:137], v[104:105] neg_lo:[0,0,1] neg_hi:[0,0,1]
	s_delay_alu instid0(VALU_DEP_3) | instskip(NEXT) | instid1(VALU_DEP_1)
	v_pk_add_f32 v[106:107], v[106:107], v[206:207]
	v_pk_add_f32 v[98:99], v[106:107], v[98:99]
	v_mov_b32_e32 v106, v141
	s_delay_alu instid0(VALU_DEP_2) | instskip(SKIP_1) | instid1(VALU_DEP_3)
	v_pk_add_f32 v[98:99], v[98:99], v[100:101]
	v_pk_fma_f32 v[100:101], v[154:155], v[138:139], v[110:111] op_sel_hi:[1,0,1]
	v_pk_mul_f32 v[106:107], v[200:201], v[106:107] op_sel_hi:[1,0]
	v_mov_b32_e32 v105, v109
	v_pk_fma_f32 v[108:109], v[154:155], v[138:139], v[110:111] neg_lo:[0,0,1] neg_hi:[0,0,1]
	v_pk_add_f32 v[98:99], v[98:99], v[102:103]
	v_mov_b32_e32 v109, v101
	v_pk_fma_f32 v[100:101], v[156:157], v[140:141], v[106:107] op_sel_hi:[1,0,1]
	s_wait_loadcnt 0x1
	v_pk_mul_f32 v[102:103], v[158:159], v[142:143] op_sel:[1,1] op_sel_hi:[0,1]
	v_mov_b32_e32 v100, v145
	v_pk_add_f32 v[98:99], v[98:99], v[104:105]
	v_pk_fma_f32 v[106:107], v[156:157], v[140:141], v[106:107] neg_lo:[0,0,1] neg_hi:[0,0,1]
	v_mov_b32_e32 v107, v101
	v_pk_fma_f32 v[104:105], v[158:159], v[142:143], v[102:103] op_sel_hi:[1,0,1]
	v_pk_mul_f32 v[100:101], v[202:203], v[100:101] op_sel_hi:[1,0]
	v_pk_add_f32 v[98:99], v[98:99], v[108:109]
	v_pk_fma_f32 v[102:103], v[158:159], v[142:143], v[102:103] neg_lo:[0,0,1] neg_hi:[0,0,1]
	s_delay_alu instid0(VALU_DEP_4) | instskip(NEXT) | instid1(VALU_DEP_4)
	v_mov_b32_e32 v103, v105
	v_pk_fma_f32 v[104:105], v[160:161], v[144:145], v[100:101] op_sel_hi:[1,0,1]
	s_delay_alu instid0(VALU_DEP_4) | instskip(SKIP_1) | instid1(VALU_DEP_3)
	v_pk_add_f32 v[98:99], v[98:99], v[106:107]
	v_pk_fma_f32 v[100:101], v[160:161], v[144:145], v[100:101] neg_lo:[0,0,1] neg_hi:[0,0,1]
	v_mov_b32_e32 v101, v105
	s_delay_alu instid0(VALU_DEP_3) | instskip(NEXT) | instid1(VALU_DEP_1)
	v_pk_add_f32 v[98:99], v[98:99], v[102:103]
	v_pk_add_f32 v[98:99], v[98:99], v[100:101]
	s_wait_loadcnt 0x0
	s_delay_alu instid0(VALU_DEP_1)
	v_pk_add_f32 v[98:99], v[194:195], v[98:99] neg_lo:[0,1] neg_hi:[0,1]
	scratch_store_b64 off, v[98:99], off offset:184
	s_wait_xcnt 0x0
	v_cmpx_lt_u32_e32 22, v0
	s_cbranch_execz .LBB47_257
; %bb.256:
	scratch_load_b64 v[98:99], off, off offset:176
	v_mov_b64_e32 v[100:101], 0
	scratch_store_b64 off, v[100:101], off offset:176
	s_wait_loadcnt 0x0
	ds_store_b64 v1, v[98:99]
.LBB47_257:
	s_wait_xcnt 0x0
	s_or_b32 exec_lo, exec_lo, s0
	s_wait_storecnt_dscnt 0x0
	s_barrier_signal -1
	s_barrier_wait -1
	s_clause 0xd
	scratch_load_b128 v[98:101], off, off offset:184
	scratch_load_b128 v[102:105], off, off offset:200
	;; [unrolled: 1-line block ×12, first 2 shown]
	scratch_load_b64 v[194:195], off, off offset:376
	scratch_load_b64 v[196:197], off, off offset:176
	v_mov_b32_e32 v5, 0
	ds_load_2addr_b64 v[146:149], v5 offset0:87 offset1:88
	ds_load_2addr_b64 v[150:153], v5 offset0:89 offset1:90
	;; [unrolled: 1-line block ×12, first 2 shown]
	ds_load_b64 v[198:199], v5 offset:760
	s_mov_b32 s0, exec_lo
	s_wait_dscnt 0xc
	v_dual_mov_b32 v200, v149 :: v_dual_mov_b32 v201, v148
	s_wait_dscnt 0x9
	v_dual_mov_b32 v202, v153 :: v_dual_mov_b32 v207, v160
	v_dual_mov_b32 v203, v152 :: v_dual_mov_b32 v204, v157
	;; [unrolled: 1-line block ×3, first 2 shown]
	s_wait_loadcnt_dscnt 0xd08
	v_dual_mul_f32 v9, v162, v99 :: v_dual_mul_f32 v39, v163, v99
	v_dual_mul_f32 v41, v165, v101 :: v_dual_mul_f32 v11, v164, v101
	s_wait_loadcnt_dscnt 0xc07
	v_mul_f32_e32 v13, v166, v103
	s_wait_loadcnt_dscnt 0xa05
	v_dual_mul_f32 v51, v175, v111 :: v_dual_fma_f32 v39, v162, v98, -v39
	v_dual_fmac_f32 v9, v163, v98 :: v_dual_mul_f32 v53, v177, v113
	v_dual_mul_f32 v43, v167, v103 :: v_dual_mul_f32 v45, v169, v105
	v_dual_fmac_f32 v11, v165, v100 :: v_dual_fma_f32 v41, v164, v100, -v41
	s_delay_alu instid0(VALU_DEP_3) | instskip(SKIP_3) | instid1(VALU_DEP_3)
	v_dual_add_f32 v9, 0, v9 :: v_dual_add_f32 v39, 0, v39
	v_dual_mul_f32 v15, v168, v105 :: v_dual_mul_f32 v17, v170, v107
	s_wait_loadcnt_dscnt 0x904
	v_dual_mul_f32 v55, v179, v115 :: v_dual_fma_f32 v43, v166, v102, -v43
	v_dual_fmac_f32 v13, v167, v102 :: v_dual_add_f32 v9, v9, v11
	s_delay_alu instid0(VALU_DEP_3) | instskip(SKIP_2) | instid1(VALU_DEP_3)
	v_dual_add_f32 v11, v39, v41 :: v_dual_fmac_f32 v15, v169, v104
	v_dual_mul_f32 v47, v171, v107 :: v_dual_mul_f32 v49, v173, v109
	v_dual_mul_f32 v39, v181, v117 :: v_dual_fma_f32 v41, v168, v104, -v45
	v_dual_add_f32 v9, v9, v13 :: v_dual_add_f32 v11, v11, v43
	v_dual_mul_f32 v19, v172, v109 :: v_dual_mul_f32 v21, v174, v111
	s_wait_loadcnt_dscnt 0x803
	v_dual_mul_f32 v13, v183, v119 :: v_dual_fma_f32 v43, v170, v106, -v47
	s_delay_alu instid0(VALU_DEP_3) | instskip(NEXT) | instid1(VALU_DEP_3)
	v_dual_fmac_f32 v17, v171, v106 :: v_dual_add_f32 v9, v9, v15
	v_dual_add_f32 v11, v11, v41 :: v_dual_fmac_f32 v19, v173, v108
	v_dual_mul_f32 v15, v185, v121 :: v_dual_fma_f32 v41, v172, v108, -v49
	s_delay_alu instid0(VALU_DEP_2) | instskip(SKIP_3) | instid1(VALU_DEP_3)
	v_dual_add_f32 v9, v9, v17 :: v_dual_add_f32 v11, v11, v43
	v_dual_mul_f32 v23, v176, v113 :: v_dual_mul_f32 v25, v178, v115
	s_wait_loadcnt_dscnt 0x702
	v_dual_mul_f32 v17, v187, v123 :: v_dual_fma_f32 v43, v174, v110, -v51
	v_dual_fmac_f32 v21, v175, v110 :: v_dual_add_f32 v9, v9, v19
	s_delay_alu instid0(VALU_DEP_3) | instskip(SKIP_1) | instid1(VALU_DEP_2)
	v_dual_add_f32 v11, v11, v41 :: v_dual_fmac_f32 v23, v177, v112
	v_dual_mul_f32 v19, v189, v125 :: v_dual_fma_f32 v41, v176, v112, -v53
	v_dual_add_f32 v9, v9, v21 :: v_dual_add_f32 v11, v11, v43
	v_dual_mul_f32 v27, v180, v117 :: v_dual_mul_f32 v29, v182, v119
	s_wait_loadcnt_dscnt 0x601
	v_dual_mul_f32 v21, v191, v127 :: v_dual_fma_f32 v43, v178, v114, -v55
	s_delay_alu instid0(VALU_DEP_3) | instskip(NEXT) | instid1(VALU_DEP_3)
	v_dual_fmac_f32 v25, v179, v114 :: v_dual_add_f32 v9, v9, v23
	v_dual_add_f32 v11, v11, v41 :: v_dual_fmac_f32 v27, v181, v116
	v_dual_mul_f32 v23, v193, v129 :: v_dual_fma_f32 v39, v180, v116, -v39
	s_delay_alu instid0(VALU_DEP_2) | instskip(SKIP_3) | instid1(VALU_DEP_3)
	v_dual_add_f32 v9, v9, v25 :: v_dual_add_f32 v11, v11, v43
	v_dual_mul_f32 v31, v184, v121 :: v_dual_mul_f32 v33, v186, v123
	s_wait_loadcnt 0x5
	v_dual_mul_f32 v25, v147, v131 :: v_dual_fma_f32 v13, v182, v118, -v13
	v_dual_fmac_f32 v29, v183, v118 :: v_dual_add_f32 v9, v9, v27
	v_dual_add_f32 v11, v11, v39 :: v_dual_mov_b32 v98, v133
	v_fmac_f32_e32 v31, v185, v120
	s_delay_alu instid0(VALU_DEP_3) | instskip(NEXT) | instid1(VALU_DEP_3)
	v_dual_fma_f32 v15, v184, v120, -v15 :: v_dual_add_f32 v9, v9, v29
	v_add_f32_e32 v11, v11, v13
	v_dual_mul_f32 v35, v188, v125 :: v_dual_mul_f32 v37, v190, v127
	s_delay_alu instid0(VALU_DEP_3) | instskip(NEXT) | instid1(VALU_DEP_3)
	v_dual_fmac_f32 v33, v187, v122 :: v_dual_add_f32 v9, v9, v31
	v_dual_fma_f32 v13, v186, v122, -v17 :: v_dual_add_f32 v11, v11, v15
	s_wait_loadcnt 0x4
	v_dual_mov_b32 v102, v137 :: v_dual_fma_f32 v15, v188, v124, -v19
	v_fmac_f32_e32 v35, v189, v124
	v_dual_add_f32 v9, v9, v33 :: v_dual_fmac_f32 v37, v191, v126
	v_add_f32_e32 v11, v11, v13
	v_dual_mul_f32 v209, v192, v129 :: v_dual_mul_f32 v211, v146, v131
	s_delay_alu instid0(VALU_DEP_3) | instskip(NEXT) | instid1(VALU_DEP_2)
	v_dual_fma_f32 v13, v190, v126, -v21 :: v_dual_add_f32 v9, v9, v35
	v_dual_add_f32 v11, v11, v15 :: v_dual_fmac_f32 v209, v193, v128
	v_fma_f32 v208, v192, v128, -v23
	v_pk_mul_f32 v[98:99], v[200:201], v[98:99] op_sel_hi:[1,0]
	s_delay_alu instid0(VALU_DEP_4)
	v_add_f32_e32 v107, v9, v37
	s_wait_loadcnt 0x3
	v_dual_add_f32 v106, v11, v13 :: v_dual_mov_b32 v108, v141
	v_pk_mul_f32 v[100:101], v[150:151], v[134:135] op_sel:[1,1] op_sel_hi:[0,1]
	v_dual_fmac_f32 v211, v147, v130 :: v_dual_fma_f32 v210, v146, v130, -v25
	v_pk_fma_f32 v[110:111], v[148:149], v[132:133], v[98:99] op_sel_hi:[1,0,1]
	s_delay_alu instid0(VALU_DEP_4)
	v_pk_add_f32 v[106:107], v[106:107], v[208:209]
	v_pk_fma_f32 v[98:99], v[148:149], v[132:133], v[98:99] neg_lo:[0,0,1] neg_hi:[0,0,1]
	v_pk_fma_f32 v[112:113], v[150:151], v[134:135], v[100:101] op_sel_hi:[1,0,1]
	v_pk_mul_f32 v[102:103], v[202:203], v[102:103] op_sel_hi:[1,0]
	v_mov_b32_e32 v99, v111
	v_pk_add_f32 v[106:107], v[106:107], v[210:211]
	v_pk_fma_f32 v[100:101], v[150:151], v[134:135], v[100:101] neg_lo:[0,0,1] neg_hi:[0,0,1]
	v_pk_mul_f32 v[104:105], v[154:155], v[138:139] op_sel:[1,1] op_sel_hi:[0,1]
	v_mov_b32_e32 v101, v113
	v_pk_fma_f32 v[112:113], v[152:153], v[136:137], v[102:103] op_sel_hi:[1,0,1]
	v_pk_add_f32 v[98:99], v[106:107], v[98:99]
	v_pk_fma_f32 v[102:103], v[152:153], v[136:137], v[102:103] neg_lo:[0,0,1] neg_hi:[0,0,1]
	v_pk_fma_f32 v[106:107], v[154:155], v[138:139], v[104:105] op_sel_hi:[1,0,1]
	v_pk_mul_f32 v[108:109], v[204:205], v[108:109] op_sel_hi:[1,0]
	v_mov_b32_e32 v103, v113
	v_pk_add_f32 v[98:99], v[98:99], v[100:101]
	v_pk_fma_f32 v[104:105], v[154:155], v[138:139], v[104:105] neg_lo:[0,0,1] neg_hi:[0,0,1]
	s_wait_loadcnt 0x2
	v_pk_mul_f32 v[110:111], v[158:159], v[142:143] op_sel:[1,1] op_sel_hi:[0,1]
	v_dual_mov_b32 v100, v145 :: v_dual_mov_b32 v105, v107
	v_pk_fma_f32 v[106:107], v[156:157], v[140:141], v[108:109] op_sel_hi:[1,0,1]
	v_pk_add_f32 v[98:99], v[98:99], v[102:103]
	v_pk_fma_f32 v[108:109], v[156:157], v[140:141], v[108:109] neg_lo:[0,0,1] neg_hi:[0,0,1]
	v_pk_fma_f32 v[102:103], v[158:159], v[142:143], v[110:111] op_sel_hi:[1,0,1]
	v_pk_mul_f32 v[100:101], v[206:207], v[100:101] op_sel_hi:[1,0]
	v_mov_b32_e32 v109, v107
	v_pk_add_f32 v[98:99], v[98:99], v[104:105]
	v_pk_fma_f32 v[104:105], v[158:159], v[142:143], v[110:111] neg_lo:[0,0,1] neg_hi:[0,0,1]
	v_mov_b32_e32 v105, v103
	v_pk_fma_f32 v[102:103], v[160:161], v[144:145], v[100:101] op_sel_hi:[1,0,1]
	s_wait_loadcnt_dscnt 0x100
	v_pk_mul_f32 v[106:107], v[198:199], v[194:195] op_sel:[1,1] op_sel_hi:[0,1]
	v_pk_add_f32 v[98:99], v[98:99], v[108:109]
	v_pk_fma_f32 v[100:101], v[160:161], v[144:145], v[100:101] neg_lo:[0,0,1] neg_hi:[0,0,1]
	v_mov_b32_e32 v101, v103
	s_delay_alu instid0(VALU_DEP_4) | instskip(NEXT) | instid1(VALU_DEP_4)
	v_pk_fma_f32 v[102:103], v[198:199], v[194:195], v[106:107] op_sel_hi:[1,0,1]
	v_pk_add_f32 v[98:99], v[98:99], v[104:105]
	v_pk_fma_f32 v[104:105], v[198:199], v[194:195], v[106:107] neg_lo:[0,0,1] neg_hi:[0,0,1]
	s_delay_alu instid0(VALU_DEP_3) | instskip(NEXT) | instid1(VALU_DEP_3)
	v_mov_b32_e32 v105, v103
	v_pk_add_f32 v[98:99], v[98:99], v[100:101]
	s_delay_alu instid0(VALU_DEP_1) | instskip(SKIP_1) | instid1(VALU_DEP_1)
	v_pk_add_f32 v[98:99], v[98:99], v[104:105]
	s_wait_loadcnt 0x0
	v_pk_add_f32 v[98:99], v[196:197], v[98:99] neg_lo:[0,1] neg_hi:[0,1]
	scratch_store_b64 off, v[98:99], off offset:176
	s_wait_xcnt 0x0
	v_cmpx_lt_u32_e32 21, v0
	s_cbranch_execz .LBB47_259
; %bb.258:
	scratch_load_b64 v[98:99], off, off offset:168
	v_mov_b64_e32 v[100:101], 0
	scratch_store_b64 off, v[100:101], off offset:168
	s_wait_loadcnt 0x0
	ds_store_b64 v1, v[98:99]
.LBB47_259:
	s_wait_xcnt 0x0
	s_or_b32 exec_lo, exec_lo, s0
	s_wait_storecnt_dscnt 0x0
	s_barrier_signal -1
	s_barrier_wait -1
	s_clause 0xd
	scratch_load_b128 v[98:101], off, off offset:176
	scratch_load_b128 v[102:105], off, off offset:192
	;; [unrolled: 1-line block ×13, first 2 shown]
	scratch_load_b64 v[202:203], off, off offset:168
	ds_load_b128 v[150:153], v5 offset:704
	ds_load_b128 v[154:157], v5 offset:720
	;; [unrolled: 1-line block ×13, first 2 shown]
	s_mov_b32 s0, exec_lo
	s_wait_dscnt 0xc
	v_dual_mov_b32 v204, v153 :: v_dual_mov_b32 v205, v152
	s_wait_dscnt 0xb
	v_dual_mov_b32 v206, v157 :: v_dual_mov_b32 v207, v156
	;; [unrolled: 2-line block ×4, first 2 shown]
	s_wait_loadcnt_dscnt 0xd08
	v_dual_mul_f32 v5, v166, v99 :: v_dual_mul_f32 v9, v168, v101
	v_dual_mul_f32 v39, v167, v99 :: v_dual_mul_f32 v41, v169, v101
	s_wait_loadcnt_dscnt 0xc07
	v_dual_mul_f32 v11, v170, v103 :: v_dual_mul_f32 v13, v172, v105
	s_delay_alu instid0(VALU_DEP_2) | instskip(SKIP_3) | instid1(VALU_DEP_3)
	v_dual_fmac_f32 v5, v167, v98 :: v_dual_fma_f32 v39, v166, v98, -v39
	v_dual_mul_f32 v43, v171, v103 :: v_dual_mul_f32 v45, v173, v105
	s_wait_loadcnt_dscnt 0xa05
	v_dual_mul_f32 v51, v179, v111 :: v_dual_fmac_f32 v9, v169, v100
	v_dual_fma_f32 v41, v168, v100, -v41 :: v_dual_add_f32 v5, 0, v5
	v_dual_add_f32 v39, 0, v39 :: v_dual_mul_f32 v53, v181, v113
	v_fmac_f32_e32 v11, v171, v102
	s_delay_alu instid0(VALU_DEP_3) | instskip(NEXT) | instid1(VALU_DEP_3)
	v_dual_fma_f32 v43, v170, v102, -v43 :: v_dual_add_f32 v5, v5, v9
	v_dual_add_f32 v9, v39, v41 :: v_dual_mul_f32 v15, v174, v107
	v_dual_mul_f32 v17, v176, v109 :: v_dual_mul_f32 v47, v175, v107
	v_dual_mul_f32 v49, v177, v109 :: v_dual_fma_f32 v41, v172, v104, -v45
	s_delay_alu instid0(VALU_DEP_4) | instskip(NEXT) | instid1(VALU_DEP_4)
	v_add_f32_e32 v5, v5, v11
	v_dual_add_f32 v9, v9, v43 :: v_dual_fmac_f32 v15, v175, v106
	s_wait_loadcnt_dscnt 0x903
	v_dual_mul_f32 v39, v187, v115 :: v_dual_fmac_f32 v13, v173, v104
	v_dual_mul_f32 v11, v189, v117 :: v_dual_fma_f32 v43, v174, v106, -v47
	s_delay_alu instid0(VALU_DEP_3) | instskip(SKIP_1) | instid1(VALU_DEP_3)
	v_dual_add_f32 v9, v9, v41 :: v_dual_fma_f32 v41, v176, v108, -v49
	s_wait_loadcnt_dscnt 0x802
	v_dual_add_f32 v5, v5, v13 :: v_dual_mul_f32 v13, v191, v119
	v_dual_mul_f32 v19, v178, v111 :: v_dual_mul_f32 v21, v180, v113
	s_delay_alu instid0(VALU_DEP_3) | instskip(SKIP_1) | instid1(VALU_DEP_4)
	v_add_f32_e32 v9, v9, v43
	v_fmac_f32_e32 v17, v177, v108
	v_dual_add_f32 v5, v5, v15 :: v_dual_fma_f32 v43, v178, v110, -v51
	v_dual_mul_f32 v23, v186, v115 :: v_dual_mul_f32 v25, v188, v117
	s_delay_alu instid0(VALU_DEP_4) | instskip(NEXT) | instid1(VALU_DEP_3)
	v_dual_add_f32 v9, v9, v41 :: v_dual_fma_f32 v39, v186, v114, -v39
	v_dual_fmac_f32 v19, v179, v110 :: v_dual_add_f32 v5, v5, v17
	s_delay_alu instid0(VALU_DEP_3) | instskip(NEXT) | instid1(VALU_DEP_3)
	v_dual_fmac_f32 v23, v187, v114 :: v_dual_fma_f32 v41, v180, v112, -v53
	v_dual_add_f32 v9, v9, v43 :: v_dual_fma_f32 v13, v190, v118, -v13
	v_dual_mul_f32 v27, v190, v119 :: v_dual_mul_f32 v29, v192, v121
	s_wait_loadcnt_dscnt 0x701
	v_dual_mul_f32 v15, v193, v121 :: v_dual_mul_f32 v17, v195, v123
	s_delay_alu instid0(VALU_DEP_2) | instskip(SKIP_1) | instid1(VALU_DEP_3)
	v_dual_fmac_f32 v21, v181, v112 :: v_dual_fmac_f32 v27, v191, v118
	v_dual_add_f32 v5, v5, v19 :: v_dual_fma_f32 v11, v188, v116, -v11
	v_dual_add_f32 v9, v9, v41 :: v_dual_fma_f32 v15, v192, v120, -v15
	v_mul_f32_e32 v19, v197, v125
	s_wait_loadcnt_dscnt 0x600
	s_delay_alu instid0(VALU_DEP_3) | instskip(NEXT) | instid1(VALU_DEP_3)
	v_dual_add_f32 v5, v5, v21 :: v_dual_mul_f32 v21, v199, v127
	v_add_f32_e32 v9, v9, v39
	v_dual_mul_f32 v31, v194, v123 :: v_dual_mul_f32 v33, v196, v125
	s_wait_loadcnt 0x5
	v_dual_mul_f32 v213, v182, v131 :: v_dual_mul_f32 v215, v184, v133
	s_delay_alu instid0(VALU_DEP_3) | instskip(NEXT) | instid1(VALU_DEP_3)
	v_add_f32_e32 v9, v9, v11
	v_dual_fmac_f32 v25, v189, v116 :: v_dual_fmac_f32 v31, v195, v122
	v_mul_f32_e32 v11, v183, v131
	v_dual_add_f32 v5, v5, v23 :: v_dual_fma_f32 v17, v194, v122, -v17
	s_delay_alu instid0(VALU_DEP_4) | instskip(SKIP_1) | instid1(VALU_DEP_3)
	v_add_f32_e32 v9, v9, v13
	v_dual_mul_f32 v13, v185, v133 :: v_dual_fmac_f32 v215, v185, v132
	v_add_f32_e32 v5, v5, v25
	v_dual_fmac_f32 v29, v193, v120 :: v_dual_fma_f32 v212, v182, v130, -v11
	s_delay_alu instid0(VALU_DEP_3) | instskip(SKIP_2) | instid1(VALU_DEP_3)
	v_dual_fma_f32 v214, v184, v132, -v13 :: v_dual_add_f32 v9, v9, v15
	v_dual_fmac_f32 v213, v183, v130 :: v_dual_mul_f32 v35, v198, v127
	v_dual_mul_f32 v37, v200, v129 :: v_dual_fmac_f32 v33, v197, v124
	v_dual_add_f32 v9, v9, v17 :: v_dual_fma_f32 v17, v198, v126, -v21
	v_dual_add_f32 v5, v5, v27 :: v_dual_fma_f32 v15, v196, v124, -v19
	s_delay_alu instid0(VALU_DEP_4) | instskip(NEXT) | instid1(VALU_DEP_4)
	v_dual_mul_f32 v23, v201, v129 :: v_dual_fmac_f32 v35, v199, v126
	v_fmac_f32_e32 v37, v201, v128
	s_delay_alu instid0(VALU_DEP_3) | instskip(NEXT) | instid1(VALU_DEP_3)
	v_add_f32_e32 v5, v5, v29
	v_dual_add_f32 v9, v9, v15 :: v_dual_fma_f32 v15, v200, v128, -v23
	s_wait_loadcnt 0x4
	v_pk_mul_f32 v[98:99], v[150:151], v[134:135] op_sel:[1,1] op_sel_hi:[0,1]
	s_wait_loadcnt 0x3
	v_dual_mov_b32 v100, v137 :: v_dual_mov_b32 v104, v141
	v_add_f32_e32 v5, v5, v31
	v_add_f32_e32 v9, v9, v17
	v_pk_fma_f32 v[108:109], v[150:151], v[134:135], v[98:99] op_sel_hi:[1,0,1]
	s_delay_alu instid0(VALU_DEP_4)
	v_pk_mul_f32 v[100:101], v[204:205], v[100:101] op_sel_hi:[1,0]
	v_pk_fma_f32 v[98:99], v[150:151], v[134:135], v[98:99] neg_lo:[0,0,1] neg_hi:[0,0,1]
	v_add_f32_e32 v5, v5, v33
	v_add_f32_e32 v106, v9, v15
	v_pk_mul_f32 v[102:103], v[154:155], v[138:139] op_sel:[1,1] op_sel_hi:[0,1]
	v_mov_b32_e32 v99, v109
	v_pk_fma_f32 v[108:109], v[152:153], v[136:137], v[100:101] op_sel_hi:[1,0,1]
	v_add_f32_e32 v5, v5, v35
	v_pk_fma_f32 v[100:101], v[152:153], v[136:137], v[100:101] neg_lo:[0,0,1] neg_hi:[0,0,1]
	v_pk_fma_f32 v[112:113], v[154:155], v[138:139], v[102:103] op_sel_hi:[1,0,1]
	v_pk_mul_f32 v[104:105], v[206:207], v[104:105] op_sel_hi:[1,0]
	v_mov_b32_e32 v101, v109
	v_add_f32_e32 v107, v5, v37
	s_wait_loadcnt 0x2
	v_pk_mul_f32 v[110:111], v[158:159], v[142:143] op_sel:[1,1] op_sel_hi:[0,1]
	v_pk_fma_f32 v[102:103], v[154:155], v[138:139], v[102:103] neg_lo:[0,0,1] neg_hi:[0,0,1]
	v_mov_b32_e32 v103, v113
	v_pk_fma_f32 v[108:109], v[156:157], v[140:141], v[104:105] op_sel_hi:[1,0,1]
	v_pk_add_f32 v[106:107], v[106:107], v[212:213]
	v_pk_fma_f32 v[104:105], v[156:157], v[140:141], v[104:105] neg_lo:[0,0,1] neg_hi:[0,0,1]
	s_delay_alu instid0(VALU_DEP_2) | instskip(NEXT) | instid1(VALU_DEP_1)
	v_pk_add_f32 v[106:107], v[106:107], v[214:215]
	v_pk_add_f32 v[98:99], v[106:107], v[98:99]
	v_mov_b32_e32 v106, v145
	s_delay_alu instid0(VALU_DEP_2) | instskip(SKIP_1) | instid1(VALU_DEP_3)
	v_pk_add_f32 v[98:99], v[98:99], v[100:101]
	v_pk_fma_f32 v[100:101], v[158:159], v[142:143], v[110:111] op_sel_hi:[1,0,1]
	v_pk_mul_f32 v[106:107], v[208:209], v[106:107] op_sel_hi:[1,0]
	v_mov_b32_e32 v105, v109
	v_pk_fma_f32 v[108:109], v[158:159], v[142:143], v[110:111] neg_lo:[0,0,1] neg_hi:[0,0,1]
	v_pk_add_f32 v[98:99], v[98:99], v[102:103]
	v_mov_b32_e32 v109, v101
	v_pk_fma_f32 v[100:101], v[160:161], v[144:145], v[106:107] op_sel_hi:[1,0,1]
	s_wait_loadcnt 0x1
	v_pk_mul_f32 v[102:103], v[162:163], v[146:147] op_sel:[1,1] op_sel_hi:[0,1]
	v_mov_b32_e32 v100, v149
	v_pk_add_f32 v[98:99], v[98:99], v[104:105]
	v_pk_fma_f32 v[106:107], v[160:161], v[144:145], v[106:107] neg_lo:[0,0,1] neg_hi:[0,0,1]
	v_mov_b32_e32 v107, v101
	v_pk_fma_f32 v[104:105], v[162:163], v[146:147], v[102:103] op_sel_hi:[1,0,1]
	v_pk_mul_f32 v[100:101], v[210:211], v[100:101] op_sel_hi:[1,0]
	v_pk_add_f32 v[98:99], v[98:99], v[108:109]
	v_pk_fma_f32 v[102:103], v[162:163], v[146:147], v[102:103] neg_lo:[0,0,1] neg_hi:[0,0,1]
	s_delay_alu instid0(VALU_DEP_4) | instskip(NEXT) | instid1(VALU_DEP_4)
	v_mov_b32_e32 v103, v105
	v_pk_fma_f32 v[104:105], v[164:165], v[148:149], v[100:101] op_sel_hi:[1,0,1]
	s_delay_alu instid0(VALU_DEP_4) | instskip(SKIP_1) | instid1(VALU_DEP_3)
	v_pk_add_f32 v[98:99], v[98:99], v[106:107]
	v_pk_fma_f32 v[100:101], v[164:165], v[148:149], v[100:101] neg_lo:[0,0,1] neg_hi:[0,0,1]
	v_mov_b32_e32 v101, v105
	s_delay_alu instid0(VALU_DEP_3) | instskip(NEXT) | instid1(VALU_DEP_1)
	v_pk_add_f32 v[98:99], v[98:99], v[102:103]
	v_pk_add_f32 v[98:99], v[98:99], v[100:101]
	s_wait_loadcnt 0x0
	s_delay_alu instid0(VALU_DEP_1)
	v_pk_add_f32 v[98:99], v[202:203], v[98:99] neg_lo:[0,1] neg_hi:[0,1]
	scratch_store_b64 off, v[98:99], off offset:168
	s_wait_xcnt 0x0
	v_cmpx_lt_u32_e32 20, v0
	s_cbranch_execz .LBB47_261
; %bb.260:
	scratch_load_b64 v[98:99], off, off offset:160
	v_mov_b64_e32 v[100:101], 0
	scratch_store_b64 off, v[100:101], off offset:160
	s_wait_loadcnt 0x0
	ds_store_b64 v1, v[98:99]
.LBB47_261:
	s_wait_xcnt 0x0
	s_or_b32 exec_lo, exec_lo, s0
	s_wait_storecnt_dscnt 0x0
	s_barrier_signal -1
	s_barrier_wait -1
	s_clause 0xe
	scratch_load_b128 v[98:101], off, off offset:168
	scratch_load_b128 v[102:105], off, off offset:184
	;; [unrolled: 1-line block ×13, first 2 shown]
	scratch_load_b64 v[202:203], off, off offset:376
	scratch_load_b64 v[204:205], off, off offset:160
	v_mov_b32_e32 v5, 0
	ds_load_2addr_b64 v[150:153], v5 offset0:87 offset1:88
	ds_load_2addr_b64 v[154:157], v5 offset0:89 offset1:90
	;; [unrolled: 1-line block ×13, first 2 shown]
	ds_load_b64 v[206:207], v5 offset:760
	s_mov_b32 s0, exec_lo
	s_wait_dscnt 0xd
	v_dual_mov_b32 v208, v153 :: v_dual_mov_b32 v209, v152
	s_wait_dscnt 0xa
	v_dual_mov_b32 v210, v157 :: v_dual_mov_b32 v215, v164
	v_dual_mov_b32 v211, v156 :: v_dual_mov_b32 v212, v161
	;; [unrolled: 1-line block ×3, first 2 shown]
	s_wait_loadcnt_dscnt 0xe09
	v_dual_mul_f32 v9, v166, v99 :: v_dual_mul_f32 v43, v167, v99
	v_dual_mul_f32 v45, v169, v101 :: v_dual_mul_f32 v11, v168, v101
	s_wait_loadcnt_dscnt 0xd08
	v_mul_f32_e32 v13, v170, v103
	s_wait_loadcnt_dscnt 0xb05
	v_dual_mul_f32 v55, v183, v111 :: v_dual_fma_f32 v43, v166, v98, -v43
	v_dual_fmac_f32 v9, v167, v98 :: v_dual_mul_f32 v57, v185, v113
	v_dual_mul_f32 v47, v171, v103 :: v_dual_mul_f32 v49, v173, v105
	v_dual_fmac_f32 v11, v169, v100 :: v_dual_fma_f32 v45, v168, v100, -v45
	s_delay_alu instid0(VALU_DEP_3) | instskip(SKIP_3) | instid1(VALU_DEP_3)
	v_dual_add_f32 v9, 0, v9 :: v_dual_add_f32 v43, 0, v43
	v_dual_mul_f32 v15, v172, v105 :: v_dual_mul_f32 v17, v174, v107
	s_wait_loadcnt_dscnt 0xa04
	v_dual_mul_f32 v59, v187, v115 :: v_dual_fma_f32 v47, v170, v102, -v47
	v_dual_fmac_f32 v13, v171, v102 :: v_dual_add_f32 v9, v9, v11
	s_delay_alu instid0(VALU_DEP_3) | instskip(SKIP_2) | instid1(VALU_DEP_3)
	v_dual_add_f32 v11, v43, v45 :: v_dual_fmac_f32 v15, v173, v104
	v_dual_mul_f32 v51, v175, v107 :: v_dual_mul_f32 v53, v177, v109
	v_dual_mul_f32 v43, v189, v117 :: v_dual_fma_f32 v45, v172, v104, -v49
	v_dual_add_f32 v9, v9, v13 :: v_dual_add_f32 v11, v11, v47
	v_dual_mul_f32 v19, v176, v109 :: v_dual_mul_f32 v21, v182, v111
	s_wait_loadcnt_dscnt 0x903
	v_dual_mul_f32 v13, v191, v119 :: v_dual_fma_f32 v47, v174, v106, -v51
	s_delay_alu instid0(VALU_DEP_3) | instskip(NEXT) | instid1(VALU_DEP_3)
	v_dual_fmac_f32 v17, v175, v106 :: v_dual_add_f32 v9, v9, v15
	v_dual_add_f32 v11, v11, v45 :: v_dual_fmac_f32 v19, v177, v108
	v_dual_mul_f32 v15, v193, v121 :: v_dual_fma_f32 v45, v176, v108, -v53
	s_delay_alu instid0(VALU_DEP_2) | instskip(SKIP_3) | instid1(VALU_DEP_3)
	v_dual_add_f32 v9, v9, v17 :: v_dual_add_f32 v11, v11, v47
	v_dual_mul_f32 v23, v184, v113 :: v_dual_mul_f32 v25, v186, v115
	s_wait_loadcnt_dscnt 0x802
	v_dual_mul_f32 v17, v195, v123 :: v_dual_fma_f32 v47, v182, v110, -v55
	v_dual_fmac_f32 v21, v183, v110 :: v_dual_add_f32 v9, v9, v19
	s_delay_alu instid0(VALU_DEP_3) | instskip(SKIP_1) | instid1(VALU_DEP_2)
	v_dual_add_f32 v11, v11, v45 :: v_dual_fmac_f32 v23, v185, v112
	v_dual_mul_f32 v19, v197, v125 :: v_dual_fma_f32 v45, v184, v112, -v57
	v_dual_add_f32 v9, v9, v21 :: v_dual_add_f32 v11, v11, v47
	v_dual_mul_f32 v27, v188, v117 :: v_dual_mul_f32 v29, v190, v119
	s_wait_loadcnt_dscnt 0x701
	v_dual_mul_f32 v21, v199, v127 :: v_dual_fma_f32 v47, v186, v114, -v59
	s_delay_alu instid0(VALU_DEP_3) | instskip(NEXT) | instid1(VALU_DEP_3)
	v_dual_fmac_f32 v25, v187, v114 :: v_dual_add_f32 v9, v9, v23
	v_dual_add_f32 v11, v11, v45 :: v_dual_fmac_f32 v27, v189, v116
	v_dual_mul_f32 v23, v201, v129 :: v_dual_fma_f32 v43, v188, v116, -v43
	s_delay_alu instid0(VALU_DEP_2) | instskip(SKIP_3) | instid1(VALU_DEP_3)
	v_dual_add_f32 v9, v9, v25 :: v_dual_add_f32 v11, v11, v47
	v_dual_mul_f32 v31, v192, v121 :: v_dual_mul_f32 v33, v194, v123
	s_wait_loadcnt 0x6
	v_dual_mul_f32 v25, v179, v131 :: v_dual_fma_f32 v13, v190, v118, -v13
	v_dual_fmac_f32 v29, v191, v118 :: v_dual_add_f32 v9, v9, v27
	v_dual_add_f32 v11, v11, v43 :: v_dual_mul_f32 v27, v181, v133
	v_fmac_f32_e32 v31, v193, v120
	s_delay_alu instid0(VALU_DEP_3) | instskip(NEXT) | instid1(VALU_DEP_3)
	v_dual_fma_f32 v15, v192, v120, -v15 :: v_dual_add_f32 v9, v9, v29
	v_add_f32_e32 v11, v11, v13
	v_dual_mul_f32 v35, v196, v125 :: v_dual_mul_f32 v37, v198, v127
	s_wait_loadcnt 0x5
	v_dual_mul_f32 v13, v151, v135 :: v_dual_fma_f32 v17, v194, v122, -v17
	v_dual_fmac_f32 v33, v195, v122 :: v_dual_add_f32 v9, v9, v31
	v_dual_add_f32 v11, v11, v15 :: v_dual_mov_b32 v98, v137
	v_fmac_f32_e32 v35, v197, v124
	s_delay_alu instid0(VALU_DEP_3) | instskip(NEXT) | instid1(VALU_DEP_3)
	v_dual_fma_f32 v15, v196, v124, -v19 :: v_dual_add_f32 v9, v9, v33
	v_add_f32_e32 v11, v11, v17
	v_dual_mul_f32 v39, v200, v129 :: v_dual_mul_f32 v41, v178, v131
	s_delay_alu instid0(VALU_DEP_3) | instskip(NEXT) | instid1(VALU_DEP_3)
	v_dual_fmac_f32 v37, v199, v126 :: v_dual_add_f32 v9, v9, v35
	v_dual_fma_f32 v17, v198, v126, -v21 :: v_dual_add_f32 v11, v11, v15
	s_wait_loadcnt 0x4
	v_dual_mov_b32 v102, v141 :: v_dual_fma_f32 v15, v200, v128, -v23
	v_fmac_f32_e32 v39, v201, v128
	v_dual_add_f32 v9, v9, v37 :: v_dual_fmac_f32 v41, v179, v130
	v_add_f32_e32 v11, v11, v17
	v_dual_mul_f32 v217, v180, v133 :: v_dual_mul_f32 v219, v150, v135
	s_delay_alu instid0(VALU_DEP_3) | instskip(NEXT) | instid1(VALU_DEP_2)
	v_dual_fma_f32 v17, v178, v130, -v25 :: v_dual_add_f32 v9, v9, v39
	v_dual_add_f32 v11, v11, v15 :: v_dual_fmac_f32 v217, v181, v132
	v_fma_f32 v216, v180, v132, -v27
	v_pk_mul_f32 v[98:99], v[208:209], v[98:99] op_sel_hi:[1,0]
	s_delay_alu instid0(VALU_DEP_4)
	v_add_f32_e32 v107, v9, v41
	s_wait_loadcnt 0x3
	v_dual_add_f32 v106, v11, v17 :: v_dual_mov_b32 v108, v145
	v_pk_mul_f32 v[100:101], v[154:155], v[138:139] op_sel:[1,1] op_sel_hi:[0,1]
	v_dual_fmac_f32 v219, v151, v134 :: v_dual_fma_f32 v218, v150, v134, -v13
	v_pk_fma_f32 v[110:111], v[152:153], v[136:137], v[98:99] op_sel_hi:[1,0,1]
	s_delay_alu instid0(VALU_DEP_4)
	v_pk_add_f32 v[106:107], v[106:107], v[216:217]
	v_pk_fma_f32 v[98:99], v[152:153], v[136:137], v[98:99] neg_lo:[0,0,1] neg_hi:[0,0,1]
	v_pk_fma_f32 v[112:113], v[154:155], v[138:139], v[100:101] op_sel_hi:[1,0,1]
	v_pk_mul_f32 v[102:103], v[210:211], v[102:103] op_sel_hi:[1,0]
	v_mov_b32_e32 v99, v111
	v_pk_add_f32 v[106:107], v[106:107], v[218:219]
	v_pk_fma_f32 v[100:101], v[154:155], v[138:139], v[100:101] neg_lo:[0,0,1] neg_hi:[0,0,1]
	v_pk_mul_f32 v[104:105], v[158:159], v[142:143] op_sel:[1,1] op_sel_hi:[0,1]
	v_mov_b32_e32 v101, v113
	v_pk_fma_f32 v[112:113], v[156:157], v[140:141], v[102:103] op_sel_hi:[1,0,1]
	v_pk_add_f32 v[98:99], v[106:107], v[98:99]
	v_pk_fma_f32 v[102:103], v[156:157], v[140:141], v[102:103] neg_lo:[0,0,1] neg_hi:[0,0,1]
	v_pk_fma_f32 v[106:107], v[158:159], v[142:143], v[104:105] op_sel_hi:[1,0,1]
	v_pk_mul_f32 v[108:109], v[212:213], v[108:109] op_sel_hi:[1,0]
	v_mov_b32_e32 v103, v113
	v_pk_add_f32 v[98:99], v[98:99], v[100:101]
	v_pk_fma_f32 v[104:105], v[158:159], v[142:143], v[104:105] neg_lo:[0,0,1] neg_hi:[0,0,1]
	s_wait_loadcnt 0x2
	v_pk_mul_f32 v[110:111], v[162:163], v[146:147] op_sel:[1,1] op_sel_hi:[0,1]
	v_dual_mov_b32 v100, v149 :: v_dual_mov_b32 v105, v107
	v_pk_fma_f32 v[106:107], v[160:161], v[144:145], v[108:109] op_sel_hi:[1,0,1]
	v_pk_add_f32 v[98:99], v[98:99], v[102:103]
	v_pk_fma_f32 v[108:109], v[160:161], v[144:145], v[108:109] neg_lo:[0,0,1] neg_hi:[0,0,1]
	v_pk_fma_f32 v[102:103], v[162:163], v[146:147], v[110:111] op_sel_hi:[1,0,1]
	v_pk_mul_f32 v[100:101], v[214:215], v[100:101] op_sel_hi:[1,0]
	v_mov_b32_e32 v109, v107
	v_pk_add_f32 v[98:99], v[98:99], v[104:105]
	v_pk_fma_f32 v[104:105], v[162:163], v[146:147], v[110:111] neg_lo:[0,0,1] neg_hi:[0,0,1]
	v_mov_b32_e32 v105, v103
	v_pk_fma_f32 v[102:103], v[164:165], v[148:149], v[100:101] op_sel_hi:[1,0,1]
	s_wait_loadcnt_dscnt 0x100
	v_pk_mul_f32 v[106:107], v[206:207], v[202:203] op_sel:[1,1] op_sel_hi:[0,1]
	v_pk_add_f32 v[98:99], v[98:99], v[108:109]
	v_pk_fma_f32 v[100:101], v[164:165], v[148:149], v[100:101] neg_lo:[0,0,1] neg_hi:[0,0,1]
	v_mov_b32_e32 v101, v103
	s_delay_alu instid0(VALU_DEP_4) | instskip(NEXT) | instid1(VALU_DEP_4)
	v_pk_fma_f32 v[102:103], v[206:207], v[202:203], v[106:107] op_sel_hi:[1,0,1]
	v_pk_add_f32 v[98:99], v[98:99], v[104:105]
	v_pk_fma_f32 v[104:105], v[206:207], v[202:203], v[106:107] neg_lo:[0,0,1] neg_hi:[0,0,1]
	s_delay_alu instid0(VALU_DEP_3) | instskip(NEXT) | instid1(VALU_DEP_3)
	v_mov_b32_e32 v105, v103
	v_pk_add_f32 v[98:99], v[98:99], v[100:101]
	s_delay_alu instid0(VALU_DEP_1) | instskip(SKIP_1) | instid1(VALU_DEP_1)
	v_pk_add_f32 v[98:99], v[98:99], v[104:105]
	s_wait_loadcnt 0x0
	v_pk_add_f32 v[98:99], v[204:205], v[98:99] neg_lo:[0,1] neg_hi:[0,1]
	scratch_store_b64 off, v[98:99], off offset:160
	s_wait_xcnt 0x0
	v_cmpx_lt_u32_e32 19, v0
	s_cbranch_execz .LBB47_263
; %bb.262:
	scratch_load_b64 v[98:99], off, off offset:152
	v_mov_b64_e32 v[100:101], 0
	scratch_store_b64 off, v[100:101], off offset:152
	s_wait_loadcnt 0x0
	ds_store_b64 v1, v[98:99]
.LBB47_263:
	s_wait_xcnt 0x0
	s_or_b32 exec_lo, exec_lo, s0
	s_wait_storecnt_dscnt 0x0
	s_barrier_signal -1
	s_barrier_wait -1
	s_clause 0xe
	scratch_load_b128 v[98:101], off, off offset:160
	scratch_load_b128 v[102:105], off, off offset:176
	;; [unrolled: 1-line block ×14, first 2 shown]
	scratch_load_b64 v[210:211], off, off offset:152
	ds_load_b128 v[154:157], v5 offset:704
	ds_load_b128 v[158:161], v5 offset:720
	;; [unrolled: 1-line block ×14, first 2 shown]
	s_mov_b32 s0, exec_lo
	s_wait_dscnt 0xd
	v_dual_mov_b32 v212, v157 :: v_dual_mov_b32 v213, v156
	s_wait_dscnt 0xc
	v_dual_mov_b32 v214, v161 :: v_dual_mov_b32 v215, v160
	;; [unrolled: 2-line block ×4, first 2 shown]
	s_wait_loadcnt_dscnt 0xe09
	v_dual_mul_f32 v5, v170, v99 :: v_dual_mul_f32 v9, v172, v101
	v_dual_mul_f32 v43, v171, v99 :: v_dual_mul_f32 v45, v173, v101
	s_wait_loadcnt_dscnt 0xd08
	v_dual_mul_f32 v11, v174, v103 :: v_dual_mul_f32 v13, v176, v105
	s_delay_alu instid0(VALU_DEP_2) | instskip(SKIP_3) | instid1(VALU_DEP_3)
	v_dual_fmac_f32 v5, v171, v98 :: v_dual_fma_f32 v43, v170, v98, -v43
	v_dual_mul_f32 v47, v175, v103 :: v_dual_mul_f32 v49, v177, v105
	s_wait_loadcnt_dscnt 0xb06
	v_dual_mul_f32 v55, v183, v111 :: v_dual_fmac_f32 v9, v173, v100
	v_dual_fma_f32 v45, v172, v100, -v45 :: v_dual_add_f32 v5, 0, v5
	v_dual_add_f32 v43, 0, v43 :: v_dual_mul_f32 v57, v185, v113
	v_fmac_f32_e32 v11, v175, v102
	s_delay_alu instid0(VALU_DEP_3) | instskip(NEXT) | instid1(VALU_DEP_3)
	v_dual_fma_f32 v47, v174, v102, -v47 :: v_dual_add_f32 v5, v5, v9
	v_dual_add_f32 v9, v43, v45 :: v_dual_mul_f32 v15, v178, v107
	v_dual_mul_f32 v17, v180, v109 :: v_dual_mul_f32 v51, v179, v107
	v_dual_mul_f32 v53, v181, v109 :: v_dual_fma_f32 v45, v176, v104, -v49
	s_delay_alu instid0(VALU_DEP_4) | instskip(NEXT) | instid1(VALU_DEP_4)
	v_add_f32_e32 v5, v5, v11
	v_dual_add_f32 v9, v9, v47 :: v_dual_fmac_f32 v15, v179, v106
	s_wait_loadcnt_dscnt 0xa05
	v_dual_mul_f32 v43, v187, v115 :: v_dual_fmac_f32 v13, v177, v104
	v_dual_mul_f32 v11, v189, v117 :: v_dual_fma_f32 v47, v178, v106, -v51
	s_delay_alu instid0(VALU_DEP_3) | instskip(SKIP_1) | instid1(VALU_DEP_3)
	v_dual_add_f32 v9, v9, v45 :: v_dual_fma_f32 v45, v180, v108, -v53
	s_wait_loadcnt_dscnt 0x904
	v_dual_add_f32 v5, v5, v13 :: v_dual_mul_f32 v13, v191, v119
	v_dual_mul_f32 v19, v182, v111 :: v_dual_mul_f32 v21, v184, v113
	s_delay_alu instid0(VALU_DEP_3) | instskip(SKIP_1) | instid1(VALU_DEP_4)
	v_add_f32_e32 v9, v9, v47
	v_fmac_f32_e32 v17, v181, v108
	v_dual_add_f32 v5, v5, v15 :: v_dual_fma_f32 v47, v182, v110, -v55
	v_dual_mul_f32 v23, v186, v115 :: v_dual_mul_f32 v25, v188, v117
	s_delay_alu instid0(VALU_DEP_4) | instskip(NEXT) | instid1(VALU_DEP_3)
	v_dual_add_f32 v9, v9, v45 :: v_dual_fma_f32 v43, v186, v114, -v43
	v_dual_fmac_f32 v19, v183, v110 :: v_dual_add_f32 v5, v5, v17
	s_delay_alu instid0(VALU_DEP_3) | instskip(NEXT) | instid1(VALU_DEP_3)
	v_dual_fmac_f32 v23, v187, v114 :: v_dual_fma_f32 v45, v184, v112, -v57
	v_dual_add_f32 v9, v9, v47 :: v_dual_fma_f32 v13, v190, v118, -v13
	v_dual_mul_f32 v27, v190, v119 :: v_dual_mul_f32 v29, v192, v121
	s_wait_loadcnt_dscnt 0x803
	v_dual_mul_f32 v15, v193, v121 :: v_dual_mul_f32 v17, v195, v123
	s_delay_alu instid0(VALU_DEP_2) | instskip(SKIP_1) | instid1(VALU_DEP_3)
	v_dual_fmac_f32 v21, v185, v112 :: v_dual_fmac_f32 v27, v191, v118
	v_dual_add_f32 v5, v5, v19 :: v_dual_fma_f32 v11, v188, v116, -v11
	v_dual_add_f32 v9, v9, v45 :: v_dual_fma_f32 v15, v192, v120, -v15
	v_mul_f32_e32 v19, v197, v125
	s_wait_loadcnt_dscnt 0x702
	s_delay_alu instid0(VALU_DEP_3) | instskip(NEXT) | instid1(VALU_DEP_3)
	v_dual_add_f32 v5, v5, v21 :: v_dual_mul_f32 v21, v199, v127
	v_add_f32_e32 v9, v9, v43
	v_dual_mul_f32 v31, v194, v123 :: v_dual_mul_f32 v33, v196, v125
	v_fma_f32 v19, v196, v124, -v19
	v_fmac_f32_e32 v25, v189, v116
	s_delay_alu instid0(VALU_DEP_4) | instskip(SKIP_3) | instid1(VALU_DEP_3)
	v_dual_add_f32 v9, v9, v11 :: v_dual_fma_f32 v21, v198, v126, -v21
	s_wait_loadcnt_dscnt 0x601
	v_mul_f32_e32 v11, v203, v131
	v_dual_add_f32 v5, v5, v23 :: v_dual_fma_f32 v17, v194, v122, -v17
	v_dual_add_f32 v9, v9, v13 :: v_dual_mul_f32 v35, v198, v127
	s_wait_loadcnt_dscnt 0x500
	v_dual_mul_f32 v37, v200, v129 :: v_dual_mul_f32 v221, v206, v135
	v_dual_mul_f32 v223, v208, v137 :: v_dual_fmac_f32 v31, v195, v122
	s_delay_alu instid0(VALU_DEP_3) | instskip(SKIP_1) | instid1(VALU_DEP_4)
	v_dual_add_f32 v5, v5, v25 :: v_dual_fmac_f32 v35, v199, v126
	v_dual_fma_f32 v11, v202, v130, -v11 :: v_dual_add_f32 v9, v9, v15
	v_dual_fmac_f32 v221, v207, v134 :: v_dual_mul_f32 v39, v202, v131
	v_mul_f32_e32 v41, v204, v133
	v_dual_mul_f32 v23, v201, v129 :: v_dual_mul_f32 v15, v207, v135
	s_delay_alu instid0(VALU_DEP_3) | instskip(SKIP_4) | instid1(VALU_DEP_3)
	v_dual_fmac_f32 v29, v193, v120 :: v_dual_fmac_f32 v39, v203, v130
	v_add_f32_e32 v5, v5, v27
	v_add_f32_e32 v9, v9, v17
	v_dual_mul_f32 v13, v205, v133 :: v_dual_fmac_f32 v41, v205, v132
	v_dual_fmac_f32 v33, v197, v124 :: v_dual_fma_f32 v220, v206, v134, -v15
	v_dual_add_f32 v9, v9, v19 :: v_dual_fma_f32 v19, v200, v128, -v23
	s_delay_alu instid0(VALU_DEP_3) | instskip(SKIP_2) | instid1(VALU_DEP_3)
	v_dual_add_f32 v5, v5, v29 :: v_dual_fma_f32 v13, v204, v132, -v13
	v_dual_mul_f32 v17, v209, v137 :: v_dual_fmac_f32 v223, v209, v136
	v_fmac_f32_e32 v37, v201, v128
	v_add_f32_e32 v5, v5, v31
	s_delay_alu instid0(VALU_DEP_3)
	v_dual_add_f32 v9, v9, v21 :: v_dual_fma_f32 v222, v208, v136, -v17
	s_wait_loadcnt 0x4
	v_pk_mul_f32 v[98:99], v[154:155], v[138:139] op_sel:[1,1] op_sel_hi:[0,1]
	s_wait_loadcnt 0x3
	v_dual_mov_b32 v100, v141 :: v_dual_mov_b32 v104, v145
	v_add_f32_e32 v5, v5, v33
	v_add_f32_e32 v9, v9, v19
	v_pk_fma_f32 v[108:109], v[154:155], v[138:139], v[98:99] op_sel_hi:[1,0,1]
	s_delay_alu instid0(VALU_DEP_4)
	v_pk_mul_f32 v[100:101], v[212:213], v[100:101] op_sel_hi:[1,0]
	v_pk_fma_f32 v[98:99], v[154:155], v[138:139], v[98:99] neg_lo:[0,0,1] neg_hi:[0,0,1]
	v_add_f32_e32 v5, v5, v35
	v_add_f32_e32 v9, v9, v11
	v_pk_mul_f32 v[102:103], v[158:159], v[142:143] op_sel:[1,1] op_sel_hi:[0,1]
	v_mov_b32_e32 v99, v109
	v_pk_fma_f32 v[108:109], v[156:157], v[140:141], v[100:101] op_sel_hi:[1,0,1]
	v_add_f32_e32 v5, v5, v37
	v_add_f32_e32 v106, v9, v13
	v_pk_fma_f32 v[100:101], v[156:157], v[140:141], v[100:101] neg_lo:[0,0,1] neg_hi:[0,0,1]
	v_pk_fma_f32 v[112:113], v[158:159], v[142:143], v[102:103] op_sel_hi:[1,0,1]
	v_pk_mul_f32 v[104:105], v[214:215], v[104:105] op_sel_hi:[1,0]
	v_add_f32_e32 v5, v5, v39
	v_mov_b32_e32 v101, v109
	s_wait_loadcnt 0x2
	v_pk_mul_f32 v[110:111], v[162:163], v[146:147] op_sel:[1,1] op_sel_hi:[0,1]
	v_pk_fma_f32 v[102:103], v[158:159], v[142:143], v[102:103] neg_lo:[0,0,1] neg_hi:[0,0,1]
	v_mov_b32_e32 v103, v113
	v_add_f32_e32 v107, v5, v41
	v_pk_fma_f32 v[108:109], v[160:161], v[144:145], v[104:105] op_sel_hi:[1,0,1]
	v_pk_fma_f32 v[104:105], v[160:161], v[144:145], v[104:105] neg_lo:[0,0,1] neg_hi:[0,0,1]
	s_delay_alu instid0(VALU_DEP_3) | instskip(NEXT) | instid1(VALU_DEP_1)
	v_pk_add_f32 v[106:107], v[106:107], v[220:221]
	v_pk_add_f32 v[106:107], v[106:107], v[222:223]
	s_delay_alu instid0(VALU_DEP_1) | instskip(SKIP_1) | instid1(VALU_DEP_2)
	v_pk_add_f32 v[98:99], v[106:107], v[98:99]
	v_mov_b32_e32 v106, v149
	v_pk_add_f32 v[98:99], v[98:99], v[100:101]
	v_pk_fma_f32 v[100:101], v[162:163], v[146:147], v[110:111] op_sel_hi:[1,0,1]
	s_delay_alu instid0(VALU_DEP_3)
	v_pk_mul_f32 v[106:107], v[216:217], v[106:107] op_sel_hi:[1,0]
	v_mov_b32_e32 v105, v109
	v_pk_fma_f32 v[108:109], v[162:163], v[146:147], v[110:111] neg_lo:[0,0,1] neg_hi:[0,0,1]
	v_pk_add_f32 v[98:99], v[98:99], v[102:103]
	v_mov_b32_e32 v109, v101
	v_pk_fma_f32 v[100:101], v[164:165], v[148:149], v[106:107] op_sel_hi:[1,0,1]
	s_wait_loadcnt 0x1
	v_pk_mul_f32 v[102:103], v[166:167], v[150:151] op_sel:[1,1] op_sel_hi:[0,1]
	v_mov_b32_e32 v100, v153
	v_pk_add_f32 v[98:99], v[98:99], v[104:105]
	v_pk_fma_f32 v[106:107], v[164:165], v[148:149], v[106:107] neg_lo:[0,0,1] neg_hi:[0,0,1]
	v_mov_b32_e32 v107, v101
	v_pk_fma_f32 v[104:105], v[166:167], v[150:151], v[102:103] op_sel_hi:[1,0,1]
	v_pk_mul_f32 v[100:101], v[218:219], v[100:101] op_sel_hi:[1,0]
	v_pk_add_f32 v[98:99], v[98:99], v[108:109]
	v_pk_fma_f32 v[102:103], v[166:167], v[150:151], v[102:103] neg_lo:[0,0,1] neg_hi:[0,0,1]
	s_delay_alu instid0(VALU_DEP_4) | instskip(NEXT) | instid1(VALU_DEP_4)
	v_mov_b32_e32 v103, v105
	v_pk_fma_f32 v[104:105], v[168:169], v[152:153], v[100:101] op_sel_hi:[1,0,1]
	s_delay_alu instid0(VALU_DEP_4) | instskip(SKIP_1) | instid1(VALU_DEP_3)
	v_pk_add_f32 v[98:99], v[98:99], v[106:107]
	v_pk_fma_f32 v[100:101], v[168:169], v[152:153], v[100:101] neg_lo:[0,0,1] neg_hi:[0,0,1]
	v_mov_b32_e32 v101, v105
	s_delay_alu instid0(VALU_DEP_3) | instskip(NEXT) | instid1(VALU_DEP_1)
	v_pk_add_f32 v[98:99], v[98:99], v[102:103]
	v_pk_add_f32 v[98:99], v[98:99], v[100:101]
	s_wait_loadcnt 0x0
	s_delay_alu instid0(VALU_DEP_1)
	v_pk_add_f32 v[98:99], v[210:211], v[98:99] neg_lo:[0,1] neg_hi:[0,1]
	scratch_store_b64 off, v[98:99], off offset:152
	s_wait_xcnt 0x0
	v_cmpx_lt_u32_e32 18, v0
	s_cbranch_execz .LBB47_265
; %bb.264:
	scratch_load_b64 v[98:99], off, off offset:144
	v_mov_b64_e32 v[100:101], 0
	scratch_store_b64 off, v[100:101], off offset:144
	s_wait_loadcnt 0x0
	ds_store_b64 v1, v[98:99]
.LBB47_265:
	s_wait_xcnt 0x0
	s_or_b32 exec_lo, exec_lo, s0
	s_wait_storecnt_dscnt 0x0
	s_barrier_signal -1
	s_barrier_wait -1
	s_clause 0xf
	scratch_load_b128 v[98:101], off, off offset:152
	scratch_load_b128 v[102:105], off, off offset:168
	;; [unrolled: 1-line block ×14, first 2 shown]
	scratch_load_b64 v[210:211], off, off offset:376
	scratch_load_b64 v[212:213], off, off offset:144
	v_mov_b32_e32 v5, 0
	ds_load_2addr_b64 v[154:157], v5 offset0:87 offset1:88
	ds_load_2addr_b64 v[158:161], v5 offset0:89 offset1:90
	;; [unrolled: 1-line block ×14, first 2 shown]
	ds_load_b64 v[214:215], v5 offset:760
	s_mov_b32 s0, exec_lo
	s_wait_dscnt 0xe
	v_dual_mov_b32 v216, v157 :: v_dual_mov_b32 v217, v156
	s_wait_dscnt 0xb
	v_dual_mov_b32 v218, v161 :: v_dual_mov_b32 v223, v168
	v_dual_mov_b32 v219, v160 :: v_dual_mov_b32 v220, v165
	;; [unrolled: 1-line block ×3, first 2 shown]
	s_wait_loadcnt_dscnt 0xf0a
	v_dual_mul_f32 v9, v170, v99 :: v_dual_mul_f32 v47, v171, v99
	v_dual_mul_f32 v49, v173, v101 :: v_dual_mul_f32 v11, v172, v101
	s_wait_loadcnt_dscnt 0xe09
	v_mul_f32_e32 v13, v174, v103
	s_wait_loadcnt_dscnt 0xc07
	v_dual_mul_f32 v59, v183, v111 :: v_dual_fma_f32 v47, v170, v98, -v47
	v_dual_fmac_f32 v9, v171, v98 :: v_dual_mul_f32 v61, v185, v113
	v_dual_mul_f32 v51, v175, v103 :: v_dual_mul_f32 v53, v177, v105
	v_dual_fmac_f32 v11, v173, v100 :: v_dual_fma_f32 v49, v172, v100, -v49
	s_delay_alu instid0(VALU_DEP_3) | instskip(SKIP_3) | instid1(VALU_DEP_3)
	v_dual_add_f32 v9, 0, v9 :: v_dual_add_f32 v47, 0, v47
	v_dual_mul_f32 v15, v176, v105 :: v_dual_mul_f32 v17, v178, v107
	s_wait_loadcnt_dscnt 0xb06
	v_dual_mul_f32 v63, v187, v115 :: v_dual_fma_f32 v51, v174, v102, -v51
	v_dual_fmac_f32 v13, v175, v102 :: v_dual_add_f32 v9, v9, v11
	s_delay_alu instid0(VALU_DEP_3) | instskip(SKIP_2) | instid1(VALU_DEP_3)
	v_dual_add_f32 v11, v47, v49 :: v_dual_fmac_f32 v15, v177, v104
	v_dual_mul_f32 v55, v179, v107 :: v_dual_mul_f32 v57, v181, v109
	v_dual_mul_f32 v47, v189, v117 :: v_dual_fma_f32 v49, v176, v104, -v53
	v_dual_add_f32 v9, v9, v13 :: v_dual_add_f32 v11, v11, v51
	v_dual_mul_f32 v19, v180, v109 :: v_dual_mul_f32 v21, v182, v111
	s_wait_loadcnt_dscnt 0xa05
	v_dual_mul_f32 v13, v191, v119 :: v_dual_fma_f32 v51, v178, v106, -v55
	s_delay_alu instid0(VALU_DEP_3) | instskip(NEXT) | instid1(VALU_DEP_3)
	v_dual_fmac_f32 v17, v179, v106 :: v_dual_add_f32 v9, v9, v15
	v_dual_add_f32 v11, v11, v49 :: v_dual_fmac_f32 v19, v181, v108
	v_dual_mul_f32 v15, v193, v121 :: v_dual_fma_f32 v49, v180, v108, -v57
	s_delay_alu instid0(VALU_DEP_2) | instskip(SKIP_3) | instid1(VALU_DEP_3)
	v_dual_add_f32 v9, v9, v17 :: v_dual_add_f32 v11, v11, v51
	v_dual_mul_f32 v23, v184, v113 :: v_dual_mul_f32 v25, v186, v115
	s_wait_loadcnt_dscnt 0x904
	v_dual_mul_f32 v17, v195, v123 :: v_dual_fma_f32 v51, v182, v110, -v59
	v_dual_fmac_f32 v21, v183, v110 :: v_dual_add_f32 v9, v9, v19
	s_delay_alu instid0(VALU_DEP_3) | instskip(SKIP_1) | instid1(VALU_DEP_2)
	v_dual_add_f32 v11, v11, v49 :: v_dual_fmac_f32 v23, v185, v112
	v_dual_mul_f32 v19, v197, v125 :: v_dual_fma_f32 v49, v184, v112, -v61
	v_dual_add_f32 v9, v9, v21 :: v_dual_add_f32 v11, v11, v51
	v_dual_mul_f32 v27, v188, v117 :: v_dual_mul_f32 v29, v190, v119
	s_wait_loadcnt_dscnt 0x803
	v_dual_mul_f32 v21, v199, v127 :: v_dual_fma_f32 v51, v186, v114, -v63
	s_delay_alu instid0(VALU_DEP_3) | instskip(NEXT) | instid1(VALU_DEP_3)
	v_dual_fmac_f32 v25, v187, v114 :: v_dual_add_f32 v9, v9, v23
	v_dual_add_f32 v11, v11, v49 :: v_dual_fmac_f32 v27, v189, v116
	v_dual_mul_f32 v23, v201, v129 :: v_dual_fma_f32 v47, v188, v116, -v47
	s_delay_alu instid0(VALU_DEP_2) | instskip(SKIP_3) | instid1(VALU_DEP_3)
	v_dual_add_f32 v9, v9, v25 :: v_dual_add_f32 v11, v11, v51
	v_dual_mul_f32 v31, v192, v121 :: v_dual_mul_f32 v33, v194, v123
	s_wait_loadcnt_dscnt 0x702
	v_dual_mul_f32 v25, v203, v131 :: v_dual_fma_f32 v13, v190, v118, -v13
	v_dual_fmac_f32 v29, v191, v118 :: v_dual_add_f32 v9, v9, v27
	v_dual_add_f32 v11, v11, v47 :: v_dual_mul_f32 v27, v205, v133
	v_fmac_f32_e32 v31, v193, v120
	s_delay_alu instid0(VALU_DEP_3) | instskip(NEXT) | instid1(VALU_DEP_3)
	v_dual_fma_f32 v15, v192, v120, -v15 :: v_dual_add_f32 v9, v9, v29
	v_add_f32_e32 v11, v11, v13
	v_dual_mul_f32 v35, v196, v125 :: v_dual_mul_f32 v37, v198, v127
	s_wait_loadcnt_dscnt 0x601
	v_dual_mul_f32 v13, v207, v135 :: v_dual_fma_f32 v17, v194, v122, -v17
	v_dual_fmac_f32 v33, v195, v122 :: v_dual_add_f32 v9, v9, v31
	v_dual_add_f32 v11, v11, v15 :: v_dual_mul_f32 v15, v209, v137
	v_fmac_f32_e32 v35, v197, v124
	s_delay_alu instid0(VALU_DEP_3) | instskip(NEXT) | instid1(VALU_DEP_3)
	v_dual_fma_f32 v19, v196, v124, -v19 :: v_dual_add_f32 v9, v9, v33
	v_add_f32_e32 v11, v11, v17
	v_dual_mul_f32 v39, v200, v129 :: v_dual_mul_f32 v41, v202, v131
	s_wait_loadcnt 0x5
	v_dual_mul_f32 v17, v155, v139 :: v_dual_fma_f32 v21, v198, v126, -v21
	v_dual_fmac_f32 v37, v199, v126 :: v_dual_add_f32 v9, v9, v35
	v_dual_add_f32 v11, v11, v19 :: v_dual_mov_b32 v98, v141
	v_fmac_f32_e32 v39, v201, v128
	s_delay_alu instid0(VALU_DEP_3) | instskip(NEXT) | instid1(VALU_DEP_3)
	v_dual_fma_f32 v19, v200, v128, -v23 :: v_dual_add_f32 v9, v9, v37
	v_add_f32_e32 v11, v11, v21
	v_dual_mul_f32 v43, v204, v133 :: v_dual_mul_f32 v45, v206, v135
	s_delay_alu instid0(VALU_DEP_3) | instskip(NEXT) | instid1(VALU_DEP_3)
	v_dual_fmac_f32 v41, v203, v130 :: v_dual_add_f32 v9, v9, v39
	v_dual_fma_f32 v21, v202, v130, -v25 :: v_dual_add_f32 v11, v11, v19
	s_wait_loadcnt 0x4
	v_dual_mov_b32 v102, v145 :: v_dual_fma_f32 v19, v204, v132, -v27
	v_fmac_f32_e32 v43, v205, v132
	v_dual_add_f32 v9, v9, v41 :: v_dual_fmac_f32 v45, v207, v134
	v_add_f32_e32 v11, v11, v21
	v_dual_mul_f32 v225, v208, v137 :: v_dual_mul_f32 v227, v154, v139
	s_delay_alu instid0(VALU_DEP_3) | instskip(NEXT) | instid1(VALU_DEP_2)
	v_dual_fma_f32 v13, v206, v134, -v13 :: v_dual_add_f32 v9, v9, v43
	v_dual_add_f32 v11, v11, v19 :: v_dual_fmac_f32 v225, v209, v136
	v_fma_f32 v224, v208, v136, -v15
	v_pk_mul_f32 v[98:99], v[216:217], v[98:99] op_sel_hi:[1,0]
	s_delay_alu instid0(VALU_DEP_4)
	v_add_f32_e32 v107, v9, v45
	s_wait_loadcnt 0x3
	v_dual_add_f32 v106, v11, v13 :: v_dual_mov_b32 v108, v149
	v_pk_mul_f32 v[100:101], v[158:159], v[142:143] op_sel:[1,1] op_sel_hi:[0,1]
	v_dual_fmac_f32 v227, v155, v138 :: v_dual_fma_f32 v226, v154, v138, -v17
	v_pk_fma_f32 v[110:111], v[156:157], v[140:141], v[98:99] op_sel_hi:[1,0,1]
	s_delay_alu instid0(VALU_DEP_4)
	v_pk_add_f32 v[106:107], v[106:107], v[224:225]
	v_pk_fma_f32 v[98:99], v[156:157], v[140:141], v[98:99] neg_lo:[0,0,1] neg_hi:[0,0,1]
	v_pk_fma_f32 v[112:113], v[158:159], v[142:143], v[100:101] op_sel_hi:[1,0,1]
	v_pk_mul_f32 v[102:103], v[218:219], v[102:103] op_sel_hi:[1,0]
	v_mov_b32_e32 v99, v111
	v_pk_add_f32 v[106:107], v[106:107], v[226:227]
	v_pk_fma_f32 v[100:101], v[158:159], v[142:143], v[100:101] neg_lo:[0,0,1] neg_hi:[0,0,1]
	v_pk_mul_f32 v[104:105], v[162:163], v[146:147] op_sel:[1,1] op_sel_hi:[0,1]
	v_mov_b32_e32 v101, v113
	v_pk_fma_f32 v[112:113], v[160:161], v[144:145], v[102:103] op_sel_hi:[1,0,1]
	v_pk_add_f32 v[98:99], v[106:107], v[98:99]
	v_pk_fma_f32 v[102:103], v[160:161], v[144:145], v[102:103] neg_lo:[0,0,1] neg_hi:[0,0,1]
	v_pk_fma_f32 v[106:107], v[162:163], v[146:147], v[104:105] op_sel_hi:[1,0,1]
	v_pk_mul_f32 v[108:109], v[220:221], v[108:109] op_sel_hi:[1,0]
	v_mov_b32_e32 v103, v113
	v_pk_add_f32 v[98:99], v[98:99], v[100:101]
	v_pk_fma_f32 v[104:105], v[162:163], v[146:147], v[104:105] neg_lo:[0,0,1] neg_hi:[0,0,1]
	s_wait_loadcnt 0x2
	v_pk_mul_f32 v[110:111], v[166:167], v[150:151] op_sel:[1,1] op_sel_hi:[0,1]
	v_dual_mov_b32 v100, v153 :: v_dual_mov_b32 v105, v107
	v_pk_fma_f32 v[106:107], v[164:165], v[148:149], v[108:109] op_sel_hi:[1,0,1]
	v_pk_add_f32 v[98:99], v[98:99], v[102:103]
	v_pk_fma_f32 v[108:109], v[164:165], v[148:149], v[108:109] neg_lo:[0,0,1] neg_hi:[0,0,1]
	v_pk_fma_f32 v[102:103], v[166:167], v[150:151], v[110:111] op_sel_hi:[1,0,1]
	v_pk_mul_f32 v[100:101], v[222:223], v[100:101] op_sel_hi:[1,0]
	v_mov_b32_e32 v109, v107
	v_pk_add_f32 v[98:99], v[98:99], v[104:105]
	v_pk_fma_f32 v[104:105], v[166:167], v[150:151], v[110:111] neg_lo:[0,0,1] neg_hi:[0,0,1]
	v_mov_b32_e32 v105, v103
	v_pk_fma_f32 v[102:103], v[168:169], v[152:153], v[100:101] op_sel_hi:[1,0,1]
	s_wait_loadcnt_dscnt 0x100
	v_pk_mul_f32 v[106:107], v[214:215], v[210:211] op_sel:[1,1] op_sel_hi:[0,1]
	v_pk_add_f32 v[98:99], v[98:99], v[108:109]
	v_pk_fma_f32 v[100:101], v[168:169], v[152:153], v[100:101] neg_lo:[0,0,1] neg_hi:[0,0,1]
	v_mov_b32_e32 v101, v103
	s_delay_alu instid0(VALU_DEP_4) | instskip(NEXT) | instid1(VALU_DEP_4)
	v_pk_fma_f32 v[102:103], v[214:215], v[210:211], v[106:107] op_sel_hi:[1,0,1]
	v_pk_add_f32 v[98:99], v[98:99], v[104:105]
	v_pk_fma_f32 v[104:105], v[214:215], v[210:211], v[106:107] neg_lo:[0,0,1] neg_hi:[0,0,1]
	s_delay_alu instid0(VALU_DEP_3) | instskip(NEXT) | instid1(VALU_DEP_3)
	v_mov_b32_e32 v105, v103
	v_pk_add_f32 v[98:99], v[98:99], v[100:101]
	s_delay_alu instid0(VALU_DEP_1) | instskip(SKIP_1) | instid1(VALU_DEP_1)
	v_pk_add_f32 v[98:99], v[98:99], v[104:105]
	s_wait_loadcnt 0x0
	v_pk_add_f32 v[98:99], v[212:213], v[98:99] neg_lo:[0,1] neg_hi:[0,1]
	scratch_store_b64 off, v[98:99], off offset:144
	s_wait_xcnt 0x0
	v_cmpx_lt_u32_e32 17, v0
	s_cbranch_execz .LBB47_267
; %bb.266:
	scratch_load_b64 v[98:99], off, off offset:136
	v_mov_b64_e32 v[100:101], 0
	scratch_store_b64 off, v[100:101], off offset:136
	s_wait_loadcnt 0x0
	ds_store_b64 v1, v[98:99]
.LBB47_267:
	s_wait_xcnt 0x0
	s_or_b32 exec_lo, exec_lo, s0
	s_wait_storecnt_dscnt 0x0
	s_barrier_signal -1
	s_barrier_wait -1
	s_clause 0xf
	scratch_load_b128 v[98:101], off, off offset:144
	scratch_load_b128 v[102:105], off, off offset:160
	;; [unrolled: 1-line block ×15, first 2 shown]
	scratch_load_b64 v[218:219], off, off offset:136
	ds_load_b128 v[158:161], v5 offset:704
	ds_load_b128 v[162:165], v5 offset:720
	;; [unrolled: 1-line block ×15, first 2 shown]
	s_mov_b32 s0, exec_lo
	s_wait_dscnt 0xe
	v_dual_mov_b32 v220, v161 :: v_dual_mov_b32 v221, v160
	s_wait_dscnt 0xd
	v_dual_mov_b32 v222, v165 :: v_dual_mov_b32 v223, v164
	;; [unrolled: 2-line block ×4, first 2 shown]
	s_wait_loadcnt_dscnt 0xf0a
	v_dual_mul_f32 v5, v174, v99 :: v_dual_mul_f32 v9, v176, v101
	v_dual_mul_f32 v47, v175, v99 :: v_dual_mul_f32 v49, v177, v101
	s_wait_loadcnt_dscnt 0xe09
	v_dual_mul_f32 v11, v178, v103 :: v_dual_mul_f32 v13, v180, v105
	s_delay_alu instid0(VALU_DEP_2) | instskip(SKIP_3) | instid1(VALU_DEP_3)
	v_dual_fmac_f32 v5, v175, v98 :: v_dual_fma_f32 v47, v174, v98, -v47
	v_dual_mul_f32 v51, v179, v103 :: v_dual_mul_f32 v53, v181, v105
	s_wait_loadcnt_dscnt 0xc06
	v_dual_mul_f32 v59, v191, v111 :: v_dual_fmac_f32 v9, v177, v100
	v_dual_fma_f32 v49, v176, v100, -v49 :: v_dual_add_f32 v5, 0, v5
	v_dual_add_f32 v47, 0, v47 :: v_dual_mul_f32 v61, v193, v113
	v_fmac_f32_e32 v11, v179, v102
	s_delay_alu instid0(VALU_DEP_3) | instskip(NEXT) | instid1(VALU_DEP_3)
	v_dual_fma_f32 v51, v178, v102, -v51 :: v_dual_add_f32 v5, v5, v9
	v_dual_add_f32 v9, v47, v49 :: v_dual_mul_f32 v15, v186, v107
	v_dual_mul_f32 v17, v188, v109 :: v_dual_mul_f32 v55, v187, v107
	v_dual_mul_f32 v57, v189, v109 :: v_dual_fma_f32 v49, v180, v104, -v53
	s_delay_alu instid0(VALU_DEP_4) | instskip(NEXT) | instid1(VALU_DEP_4)
	v_add_f32_e32 v5, v5, v11
	v_dual_add_f32 v9, v9, v51 :: v_dual_fmac_f32 v15, v187, v106
	s_wait_loadcnt_dscnt 0xb05
	v_dual_mul_f32 v47, v195, v115 :: v_dual_fmac_f32 v13, v181, v104
	v_dual_mul_f32 v11, v197, v117 :: v_dual_fma_f32 v51, v186, v106, -v55
	s_delay_alu instid0(VALU_DEP_3) | instskip(SKIP_1) | instid1(VALU_DEP_3)
	v_dual_add_f32 v9, v9, v49 :: v_dual_fma_f32 v49, v188, v108, -v57
	s_wait_loadcnt_dscnt 0xa04
	v_dual_add_f32 v5, v5, v13 :: v_dual_mul_f32 v13, v199, v119
	v_dual_mul_f32 v19, v190, v111 :: v_dual_mul_f32 v21, v192, v113
	s_delay_alu instid0(VALU_DEP_3) | instskip(SKIP_1) | instid1(VALU_DEP_4)
	v_add_f32_e32 v9, v9, v51
	v_fmac_f32_e32 v17, v189, v108
	v_dual_add_f32 v5, v5, v15 :: v_dual_fma_f32 v51, v190, v110, -v59
	v_dual_mul_f32 v23, v194, v115 :: v_dual_mul_f32 v25, v196, v117
	s_delay_alu instid0(VALU_DEP_4) | instskip(NEXT) | instid1(VALU_DEP_3)
	v_dual_add_f32 v9, v9, v49 :: v_dual_fma_f32 v47, v194, v114, -v47
	v_dual_fmac_f32 v19, v191, v110 :: v_dual_add_f32 v5, v5, v17
	s_delay_alu instid0(VALU_DEP_3) | instskip(NEXT) | instid1(VALU_DEP_3)
	v_dual_fmac_f32 v23, v195, v114 :: v_dual_fma_f32 v49, v192, v112, -v61
	v_dual_add_f32 v9, v9, v51 :: v_dual_fma_f32 v13, v198, v118, -v13
	v_dual_mul_f32 v27, v198, v119 :: v_dual_mul_f32 v29, v200, v121
	s_wait_loadcnt_dscnt 0x903
	v_dual_mul_f32 v15, v201, v121 :: v_dual_mul_f32 v17, v203, v123
	s_delay_alu instid0(VALU_DEP_2) | instskip(SKIP_1) | instid1(VALU_DEP_3)
	v_dual_fmac_f32 v21, v193, v112 :: v_dual_fmac_f32 v27, v199, v118
	v_dual_add_f32 v5, v5, v19 :: v_dual_fma_f32 v11, v196, v116, -v11
	v_dual_add_f32 v9, v9, v49 :: v_dual_fma_f32 v15, v200, v120, -v15
	v_mul_f32_e32 v19, v205, v125
	s_wait_loadcnt_dscnt 0x802
	s_delay_alu instid0(VALU_DEP_3) | instskip(NEXT) | instid1(VALU_DEP_3)
	v_dual_add_f32 v5, v5, v21 :: v_dual_mul_f32 v21, v207, v127
	v_add_f32_e32 v9, v9, v47
	s_wait_loadcnt_dscnt 0x701
	v_dual_mul_f32 v39, v210, v131 :: v_dual_mul_f32 v41, v212, v133
	s_delay_alu instid0(VALU_DEP_3) | instskip(NEXT) | instid1(VALU_DEP_3)
	v_dual_fma_f32 v19, v204, v124, -v19 :: v_dual_fma_f32 v21, v206, v126, -v21
	v_add_f32_e32 v9, v9, v11
	s_wait_loadcnt_dscnt 0x600
	v_dual_mul_f32 v43, v214, v135 :: v_dual_mul_f32 v45, v216, v137
	v_mul_f32_e32 v11, v211, v131
	v_dual_add_f32 v5, v5, v23 :: v_dual_fma_f32 v17, v202, v122, -v17
	v_dual_add_f32 v9, v9, v13 :: v_dual_fmac_f32 v39, v211, v130
	v_dual_mul_f32 v31, v202, v123 :: v_dual_mul_f32 v33, v204, v125
	s_wait_loadcnt 0x5
	v_dual_mul_f32 v229, v182, v139 :: v_dual_mul_f32 v231, v184, v141
	s_delay_alu instid0(VALU_DEP_3) | instskip(NEXT) | instid1(VALU_DEP_3)
	v_dual_add_f32 v9, v9, v15 :: v_dual_fmac_f32 v43, v215, v134
	v_dual_fmac_f32 v25, v197, v116 :: v_dual_fmac_f32 v31, v203, v122
	v_dual_mul_f32 v35, v206, v127 :: v_dual_mul_f32 v37, v208, v129
	s_delay_alu instid0(VALU_DEP_3) | instskip(SKIP_1) | instid1(VALU_DEP_3)
	v_dual_add_f32 v9, v9, v17 :: v_dual_fmac_f32 v229, v183, v138
	v_dual_mul_f32 v23, v209, v129 :: v_dual_mul_f32 v15, v215, v135
	v_dual_add_f32 v5, v5, v25 :: v_dual_fmac_f32 v35, v207, v126
	s_delay_alu instid0(VALU_DEP_3) | instskip(SKIP_1) | instid1(VALU_DEP_3)
	v_add_f32_e32 v9, v9, v19
	v_dual_fmac_f32 v29, v201, v120 :: v_dual_mul_f32 v19, v183, v139
	v_dual_add_f32 v5, v5, v27 :: v_dual_fma_f32 v23, v208, v128, -v23
	s_delay_alu instid0(VALU_DEP_3) | instskip(SKIP_1) | instid1(VALU_DEP_3)
	v_add_f32_e32 v9, v9, v21
	v_dual_mul_f32 v13, v213, v133 :: v_dual_fma_f32 v11, v210, v130, -v11
	v_add_f32_e32 v5, v5, v29
	v_fmac_f32_e32 v33, v205, v124
	s_delay_alu instid0(VALU_DEP_4) | instskip(SKIP_1) | instid1(VALU_DEP_4)
	v_add_f32_e32 v9, v9, v23
	v_dual_mul_f32 v17, v217, v137 :: v_dual_fmac_f32 v45, v217, v136
	v_dual_fma_f32 v13, v212, v132, -v13 :: v_dual_add_f32 v5, v5, v31
	s_delay_alu instid0(VALU_DEP_3) | instskip(SKIP_2) | instid1(VALU_DEP_3)
	v_dual_add_f32 v9, v9, v11 :: v_dual_fma_f32 v11, v214, v134, -v15
	v_dual_fmac_f32 v37, v209, v128 :: v_dual_fma_f32 v228, v182, v138, -v19
	v_fmac_f32_e32 v41, v213, v132
	v_dual_add_f32 v9, v9, v13 :: v_dual_fma_f32 v13, v216, v136, -v17
	v_add_f32_e32 v5, v5, v33
	v_dual_mul_f32 v21, v185, v141 :: v_dual_fmac_f32 v231, v185, v140
	s_delay_alu instid0(VALU_DEP_3)
	v_add_f32_e32 v9, v9, v11
	s_wait_loadcnt 0x4
	v_pk_mul_f32 v[98:99], v[158:159], v[142:143] op_sel:[1,1] op_sel_hi:[0,1]
	v_add_f32_e32 v5, v5, v35
	s_wait_loadcnt 0x3
	v_dual_mov_b32 v100, v145 :: v_dual_mov_b32 v104, v149
	v_dual_add_f32 v106, v9, v13 :: v_dual_fma_f32 v230, v184, v140, -v21
	s_delay_alu instid0(VALU_DEP_3) | instskip(SKIP_1) | instid1(VALU_DEP_4)
	v_add_f32_e32 v5, v5, v37
	v_pk_fma_f32 v[108:109], v[158:159], v[142:143], v[98:99] op_sel_hi:[1,0,1]
	v_pk_mul_f32 v[100:101], v[220:221], v[100:101] op_sel_hi:[1,0]
	v_pk_fma_f32 v[98:99], v[158:159], v[142:143], v[98:99] neg_lo:[0,0,1] neg_hi:[0,0,1]
	v_pk_mul_f32 v[102:103], v[162:163], v[146:147] op_sel:[1,1] op_sel_hi:[0,1]
	v_add_f32_e32 v5, v5, v39
	v_mov_b32_e32 v99, v109
	v_pk_fma_f32 v[108:109], v[160:161], v[144:145], v[100:101] op_sel_hi:[1,0,1]
	v_pk_fma_f32 v[100:101], v[160:161], v[144:145], v[100:101] neg_lo:[0,0,1] neg_hi:[0,0,1]
	v_pk_fma_f32 v[112:113], v[162:163], v[146:147], v[102:103] op_sel_hi:[1,0,1]
	v_add_f32_e32 v5, v5, v41
	v_pk_mul_f32 v[104:105], v[222:223], v[104:105] op_sel_hi:[1,0]
	v_mov_b32_e32 v101, v109
	s_wait_loadcnt 0x2
	v_pk_mul_f32 v[110:111], v[166:167], v[150:151] op_sel:[1,1] op_sel_hi:[0,1]
	v_pk_fma_f32 v[102:103], v[162:163], v[146:147], v[102:103] neg_lo:[0,0,1] neg_hi:[0,0,1]
	v_add_f32_e32 v5, v5, v43
	v_mov_b32_e32 v103, v113
	v_pk_fma_f32 v[108:109], v[164:165], v[148:149], v[104:105] op_sel_hi:[1,0,1]
	v_pk_fma_f32 v[104:105], v[164:165], v[148:149], v[104:105] neg_lo:[0,0,1] neg_hi:[0,0,1]
	s_delay_alu instid0(VALU_DEP_4) | instskip(NEXT) | instid1(VALU_DEP_1)
	v_add_f32_e32 v107, v5, v45
	v_pk_add_f32 v[106:107], v[106:107], v[228:229]
	s_delay_alu instid0(VALU_DEP_1) | instskip(NEXT) | instid1(VALU_DEP_1)
	v_pk_add_f32 v[106:107], v[106:107], v[230:231]
	v_pk_add_f32 v[98:99], v[106:107], v[98:99]
	v_mov_b32_e32 v106, v153
	s_delay_alu instid0(VALU_DEP_2) | instskip(SKIP_1) | instid1(VALU_DEP_3)
	v_pk_add_f32 v[98:99], v[98:99], v[100:101]
	v_pk_fma_f32 v[100:101], v[166:167], v[150:151], v[110:111] op_sel_hi:[1,0,1]
	v_pk_mul_f32 v[106:107], v[224:225], v[106:107] op_sel_hi:[1,0]
	v_mov_b32_e32 v105, v109
	v_pk_fma_f32 v[108:109], v[166:167], v[150:151], v[110:111] neg_lo:[0,0,1] neg_hi:[0,0,1]
	v_pk_add_f32 v[98:99], v[98:99], v[102:103]
	v_mov_b32_e32 v109, v101
	v_pk_fma_f32 v[100:101], v[168:169], v[152:153], v[106:107] op_sel_hi:[1,0,1]
	s_wait_loadcnt 0x1
	v_pk_mul_f32 v[102:103], v[170:171], v[154:155] op_sel:[1,1] op_sel_hi:[0,1]
	v_mov_b32_e32 v100, v157
	v_pk_add_f32 v[98:99], v[98:99], v[104:105]
	v_pk_fma_f32 v[106:107], v[168:169], v[152:153], v[106:107] neg_lo:[0,0,1] neg_hi:[0,0,1]
	v_mov_b32_e32 v107, v101
	v_pk_fma_f32 v[104:105], v[170:171], v[154:155], v[102:103] op_sel_hi:[1,0,1]
	v_pk_mul_f32 v[100:101], v[226:227], v[100:101] op_sel_hi:[1,0]
	v_pk_add_f32 v[98:99], v[98:99], v[108:109]
	v_pk_fma_f32 v[102:103], v[170:171], v[154:155], v[102:103] neg_lo:[0,0,1] neg_hi:[0,0,1]
	s_delay_alu instid0(VALU_DEP_4) | instskip(NEXT) | instid1(VALU_DEP_4)
	v_mov_b32_e32 v103, v105
	v_pk_fma_f32 v[104:105], v[172:173], v[156:157], v[100:101] op_sel_hi:[1,0,1]
	s_delay_alu instid0(VALU_DEP_4) | instskip(SKIP_1) | instid1(VALU_DEP_3)
	v_pk_add_f32 v[98:99], v[98:99], v[106:107]
	v_pk_fma_f32 v[100:101], v[172:173], v[156:157], v[100:101] neg_lo:[0,0,1] neg_hi:[0,0,1]
	v_mov_b32_e32 v101, v105
	s_delay_alu instid0(VALU_DEP_3) | instskip(NEXT) | instid1(VALU_DEP_1)
	v_pk_add_f32 v[98:99], v[98:99], v[102:103]
	v_pk_add_f32 v[98:99], v[98:99], v[100:101]
	s_wait_loadcnt 0x0
	s_delay_alu instid0(VALU_DEP_1)
	v_pk_add_f32 v[98:99], v[218:219], v[98:99] neg_lo:[0,1] neg_hi:[0,1]
	scratch_store_b64 off, v[98:99], off offset:136
	s_wait_xcnt 0x0
	v_cmpx_lt_u32_e32 16, v0
	s_cbranch_execz .LBB47_269
; %bb.268:
	scratch_load_b64 v[98:99], off, off offset:128
	v_mov_b64_e32 v[100:101], 0
	scratch_store_b64 off, v[100:101], off offset:128
	s_wait_loadcnt 0x0
	ds_store_b64 v1, v[98:99]
.LBB47_269:
	s_wait_xcnt 0x0
	s_or_b32 exec_lo, exec_lo, s0
	s_wait_storecnt_dscnt 0x0
	s_barrier_signal -1
	s_barrier_wait -1
	s_clause 0x10
	scratch_load_b128 v[98:101], off, off offset:136
	scratch_load_b128 v[102:105], off, off offset:152
	;; [unrolled: 1-line block ×15, first 2 shown]
	scratch_load_b64 v[218:219], off, off offset:376
	scratch_load_b64 v[220:221], off, off offset:128
	v_mov_b32_e32 v5, 0
	ds_load_2addr_b64 v[158:161], v5 offset0:87 offset1:88
	ds_load_2addr_b64 v[162:165], v5 offset0:89 offset1:90
	;; [unrolled: 1-line block ×15, first 2 shown]
	ds_load_b64 v[222:223], v5 offset:760
	s_mov_b32 s0, exec_lo
	s_wait_dscnt 0xf
	v_dual_mov_b32 v224, v161 :: v_dual_mov_b32 v225, v160
	s_wait_dscnt 0xc
	v_dual_mov_b32 v226, v165 :: v_dual_mov_b32 v231, v172
	v_dual_mov_b32 v227, v164 :: v_dual_mov_b32 v228, v169
	;; [unrolled: 1-line block ×3, first 2 shown]
	s_wait_loadcnt_dscnt 0x100b
	v_dual_mul_f32 v9, v174, v99 :: v_dual_mul_f32 v51, v175, v99
	v_dual_mul_f32 v53, v177, v101 :: v_dual_mul_f32 v11, v176, v101
	s_wait_loadcnt_dscnt 0xf09
	v_mul_f32_e32 v13, v182, v103
	s_wait_loadcnt_dscnt 0xd07
	v_dual_mul_f32 v63, v191, v111 :: v_dual_fma_f32 v51, v174, v98, -v51
	v_dual_fmac_f32 v9, v175, v98 :: v_dual_mul_f32 v65, v193, v113
	v_dual_mul_f32 v55, v183, v103 :: v_dual_mul_f32 v57, v185, v105
	v_dual_fmac_f32 v11, v177, v100 :: v_dual_fma_f32 v53, v176, v100, -v53
	s_delay_alu instid0(VALU_DEP_3) | instskip(SKIP_3) | instid1(VALU_DEP_3)
	v_dual_add_f32 v9, 0, v9 :: v_dual_add_f32 v51, 0, v51
	v_dual_mul_f32 v15, v184, v105 :: v_dual_mul_f32 v17, v186, v107
	s_wait_loadcnt_dscnt 0xc06
	v_dual_mul_f32 v67, v195, v115 :: v_dual_fma_f32 v55, v182, v102, -v55
	v_dual_fmac_f32 v13, v183, v102 :: v_dual_add_f32 v9, v9, v11
	s_delay_alu instid0(VALU_DEP_3) | instskip(SKIP_2) | instid1(VALU_DEP_3)
	v_dual_add_f32 v11, v51, v53 :: v_dual_fmac_f32 v15, v185, v104
	v_dual_mul_f32 v59, v187, v107 :: v_dual_mul_f32 v61, v189, v109
	v_dual_mul_f32 v51, v197, v117 :: v_dual_fma_f32 v53, v184, v104, -v57
	v_dual_add_f32 v9, v9, v13 :: v_dual_add_f32 v11, v11, v55
	v_dual_mul_f32 v19, v188, v109 :: v_dual_mul_f32 v21, v190, v111
	s_wait_loadcnt_dscnt 0xb05
	v_dual_mul_f32 v13, v199, v119 :: v_dual_fma_f32 v55, v186, v106, -v59
	s_delay_alu instid0(VALU_DEP_3) | instskip(NEXT) | instid1(VALU_DEP_3)
	v_dual_fmac_f32 v17, v187, v106 :: v_dual_add_f32 v9, v9, v15
	v_dual_add_f32 v11, v11, v53 :: v_dual_fmac_f32 v19, v189, v108
	v_dual_mul_f32 v15, v201, v121 :: v_dual_fma_f32 v53, v188, v108, -v61
	s_delay_alu instid0(VALU_DEP_2) | instskip(SKIP_3) | instid1(VALU_DEP_3)
	v_dual_add_f32 v9, v9, v17 :: v_dual_add_f32 v11, v11, v55
	v_dual_mul_f32 v23, v192, v113 :: v_dual_mul_f32 v25, v194, v115
	s_wait_loadcnt_dscnt 0xa04
	v_dual_mul_f32 v17, v203, v123 :: v_dual_fma_f32 v55, v190, v110, -v63
	v_dual_fmac_f32 v21, v191, v110 :: v_dual_add_f32 v9, v9, v19
	s_delay_alu instid0(VALU_DEP_3) | instskip(SKIP_1) | instid1(VALU_DEP_2)
	v_dual_add_f32 v11, v11, v53 :: v_dual_fmac_f32 v23, v193, v112
	v_dual_mul_f32 v19, v205, v125 :: v_dual_fma_f32 v53, v192, v112, -v65
	v_dual_add_f32 v9, v9, v21 :: v_dual_add_f32 v11, v11, v55
	v_dual_mul_f32 v27, v196, v117 :: v_dual_mul_f32 v29, v198, v119
	s_wait_loadcnt_dscnt 0x903
	v_dual_mul_f32 v21, v207, v127 :: v_dual_fma_f32 v55, v194, v114, -v67
	s_delay_alu instid0(VALU_DEP_3) | instskip(NEXT) | instid1(VALU_DEP_3)
	v_dual_fmac_f32 v25, v195, v114 :: v_dual_add_f32 v9, v9, v23
	v_dual_add_f32 v11, v11, v53 :: v_dual_fmac_f32 v27, v197, v116
	v_dual_mul_f32 v23, v209, v129 :: v_dual_fma_f32 v51, v196, v116, -v51
	s_delay_alu instid0(VALU_DEP_2) | instskip(SKIP_3) | instid1(VALU_DEP_3)
	v_dual_add_f32 v9, v9, v25 :: v_dual_add_f32 v11, v11, v55
	v_dual_mul_f32 v31, v200, v121 :: v_dual_mul_f32 v33, v202, v123
	s_wait_loadcnt_dscnt 0x802
	v_dual_mul_f32 v25, v211, v131 :: v_dual_fma_f32 v13, v198, v118, -v13
	v_dual_fmac_f32 v29, v199, v118 :: v_dual_add_f32 v9, v9, v27
	v_dual_add_f32 v11, v11, v51 :: v_dual_mul_f32 v27, v213, v133
	v_fmac_f32_e32 v31, v201, v120
	s_delay_alu instid0(VALU_DEP_3) | instskip(NEXT) | instid1(VALU_DEP_3)
	v_dual_fma_f32 v15, v200, v120, -v15 :: v_dual_add_f32 v9, v9, v29
	v_add_f32_e32 v11, v11, v13
	v_dual_mul_f32 v35, v204, v125 :: v_dual_mul_f32 v37, v206, v127
	s_wait_loadcnt_dscnt 0x701
	v_dual_mul_f32 v13, v215, v135 :: v_dual_fma_f32 v17, v202, v122, -v17
	v_dual_fmac_f32 v33, v203, v122 :: v_dual_add_f32 v9, v9, v31
	v_dual_add_f32 v11, v11, v15 :: v_dual_mul_f32 v15, v217, v137
	v_fmac_f32_e32 v35, v205, v124
	s_delay_alu instid0(VALU_DEP_3) | instskip(NEXT) | instid1(VALU_DEP_3)
	v_dual_fma_f32 v19, v204, v124, -v19 :: v_dual_add_f32 v9, v9, v33
	v_add_f32_e32 v11, v11, v17
	v_dual_mul_f32 v39, v208, v129 :: v_dual_mul_f32 v41, v210, v131
	s_wait_loadcnt 0x6
	v_dual_mul_f32 v17, v179, v139 :: v_dual_fma_f32 v21, v206, v126, -v21
	v_dual_fmac_f32 v37, v207, v126 :: v_dual_add_f32 v9, v9, v35
	v_dual_add_f32 v11, v11, v19 :: v_dual_mul_f32 v19, v181, v141
	v_fmac_f32_e32 v39, v209, v128
	s_delay_alu instid0(VALU_DEP_3) | instskip(NEXT) | instid1(VALU_DEP_3)
	v_dual_fma_f32 v23, v208, v128, -v23 :: v_dual_add_f32 v9, v9, v37
	v_add_f32_e32 v11, v11, v21
	v_dual_mul_f32 v43, v212, v133 :: v_dual_mul_f32 v45, v214, v135
	s_wait_loadcnt 0x5
	v_dual_mul_f32 v21, v159, v143 :: v_dual_fma_f32 v25, v210, v130, -v25
	v_dual_fmac_f32 v41, v211, v130 :: v_dual_add_f32 v9, v9, v39
	v_dual_add_f32 v11, v11, v23 :: v_dual_mov_b32 v98, v145
	v_fmac_f32_e32 v43, v213, v132
	s_delay_alu instid0(VALU_DEP_3) | instskip(NEXT) | instid1(VALU_DEP_3)
	v_dual_fma_f32 v23, v212, v132, -v27 :: v_dual_add_f32 v9, v9, v41
	v_add_f32_e32 v11, v11, v25
	v_dual_mul_f32 v47, v216, v137 :: v_dual_mul_f32 v49, v178, v139
	s_delay_alu instid0(VALU_DEP_3) | instskip(NEXT) | instid1(VALU_DEP_3)
	v_dual_fmac_f32 v45, v215, v134 :: v_dual_add_f32 v9, v9, v43
	v_dual_fma_f32 v13, v214, v134, -v13 :: v_dual_add_f32 v11, v11, v23
	s_wait_loadcnt 0x4
	v_dual_mov_b32 v102, v149 :: v_dual_fma_f32 v15, v216, v136, -v15
	v_fmac_f32_e32 v47, v217, v136
	v_dual_add_f32 v9, v9, v45 :: v_dual_fmac_f32 v49, v179, v138
	v_add_f32_e32 v11, v11, v13
	v_dual_mul_f32 v233, v180, v141 :: v_dual_mul_f32 v235, v158, v143
	s_delay_alu instid0(VALU_DEP_3) | instskip(NEXT) | instid1(VALU_DEP_2)
	v_dual_fma_f32 v13, v178, v138, -v17 :: v_dual_add_f32 v9, v9, v47
	v_dual_add_f32 v11, v11, v15 :: v_dual_fmac_f32 v233, v181, v140
	v_fma_f32 v232, v180, v140, -v19
	v_pk_mul_f32 v[98:99], v[224:225], v[98:99] op_sel_hi:[1,0]
	s_delay_alu instid0(VALU_DEP_4)
	v_add_f32_e32 v107, v9, v49
	s_wait_loadcnt 0x3
	v_dual_add_f32 v106, v11, v13 :: v_dual_mov_b32 v108, v153
	v_pk_mul_f32 v[100:101], v[162:163], v[146:147] op_sel:[1,1] op_sel_hi:[0,1]
	v_dual_fmac_f32 v235, v159, v142 :: v_dual_fma_f32 v234, v158, v142, -v21
	v_pk_fma_f32 v[110:111], v[160:161], v[144:145], v[98:99] op_sel_hi:[1,0,1]
	s_delay_alu instid0(VALU_DEP_4)
	v_pk_add_f32 v[106:107], v[106:107], v[232:233]
	v_pk_fma_f32 v[98:99], v[160:161], v[144:145], v[98:99] neg_lo:[0,0,1] neg_hi:[0,0,1]
	v_pk_fma_f32 v[112:113], v[162:163], v[146:147], v[100:101] op_sel_hi:[1,0,1]
	v_pk_mul_f32 v[102:103], v[226:227], v[102:103] op_sel_hi:[1,0]
	v_mov_b32_e32 v99, v111
	v_pk_add_f32 v[106:107], v[106:107], v[234:235]
	v_pk_fma_f32 v[100:101], v[162:163], v[146:147], v[100:101] neg_lo:[0,0,1] neg_hi:[0,0,1]
	v_pk_mul_f32 v[104:105], v[166:167], v[150:151] op_sel:[1,1] op_sel_hi:[0,1]
	v_mov_b32_e32 v101, v113
	v_pk_fma_f32 v[112:113], v[164:165], v[148:149], v[102:103] op_sel_hi:[1,0,1]
	v_pk_add_f32 v[98:99], v[106:107], v[98:99]
	v_pk_fma_f32 v[102:103], v[164:165], v[148:149], v[102:103] neg_lo:[0,0,1] neg_hi:[0,0,1]
	v_pk_fma_f32 v[106:107], v[166:167], v[150:151], v[104:105] op_sel_hi:[1,0,1]
	v_pk_mul_f32 v[108:109], v[228:229], v[108:109] op_sel_hi:[1,0]
	v_mov_b32_e32 v103, v113
	v_pk_add_f32 v[98:99], v[98:99], v[100:101]
	v_pk_fma_f32 v[104:105], v[166:167], v[150:151], v[104:105] neg_lo:[0,0,1] neg_hi:[0,0,1]
	s_wait_loadcnt 0x2
	v_pk_mul_f32 v[110:111], v[170:171], v[154:155] op_sel:[1,1] op_sel_hi:[0,1]
	v_dual_mov_b32 v100, v157 :: v_dual_mov_b32 v105, v107
	v_pk_fma_f32 v[106:107], v[168:169], v[152:153], v[108:109] op_sel_hi:[1,0,1]
	v_pk_add_f32 v[98:99], v[98:99], v[102:103]
	v_pk_fma_f32 v[108:109], v[168:169], v[152:153], v[108:109] neg_lo:[0,0,1] neg_hi:[0,0,1]
	v_pk_fma_f32 v[102:103], v[170:171], v[154:155], v[110:111] op_sel_hi:[1,0,1]
	v_pk_mul_f32 v[100:101], v[230:231], v[100:101] op_sel_hi:[1,0]
	v_mov_b32_e32 v109, v107
	v_pk_add_f32 v[98:99], v[98:99], v[104:105]
	v_pk_fma_f32 v[104:105], v[170:171], v[154:155], v[110:111] neg_lo:[0,0,1] neg_hi:[0,0,1]
	v_mov_b32_e32 v105, v103
	v_pk_fma_f32 v[102:103], v[172:173], v[156:157], v[100:101] op_sel_hi:[1,0,1]
	s_wait_loadcnt_dscnt 0x100
	v_pk_mul_f32 v[106:107], v[222:223], v[218:219] op_sel:[1,1] op_sel_hi:[0,1]
	v_pk_add_f32 v[98:99], v[98:99], v[108:109]
	v_pk_fma_f32 v[100:101], v[172:173], v[156:157], v[100:101] neg_lo:[0,0,1] neg_hi:[0,0,1]
	v_mov_b32_e32 v101, v103
	s_delay_alu instid0(VALU_DEP_4) | instskip(NEXT) | instid1(VALU_DEP_4)
	v_pk_fma_f32 v[102:103], v[222:223], v[218:219], v[106:107] op_sel_hi:[1,0,1]
	v_pk_add_f32 v[98:99], v[98:99], v[104:105]
	v_pk_fma_f32 v[104:105], v[222:223], v[218:219], v[106:107] neg_lo:[0,0,1] neg_hi:[0,0,1]
	s_delay_alu instid0(VALU_DEP_3) | instskip(NEXT) | instid1(VALU_DEP_3)
	v_mov_b32_e32 v105, v103
	v_pk_add_f32 v[98:99], v[98:99], v[100:101]
	s_delay_alu instid0(VALU_DEP_1) | instskip(SKIP_1) | instid1(VALU_DEP_1)
	v_pk_add_f32 v[98:99], v[98:99], v[104:105]
	s_wait_loadcnt 0x0
	v_pk_add_f32 v[98:99], v[220:221], v[98:99] neg_lo:[0,1] neg_hi:[0,1]
	scratch_store_b64 off, v[98:99], off offset:128
	s_wait_xcnt 0x0
	v_cmpx_lt_u32_e32 15, v0
	s_cbranch_execz .LBB47_271
; %bb.270:
	scratch_load_b64 v[98:99], off, off offset:120
	v_mov_b64_e32 v[100:101], 0
	scratch_store_b64 off, v[100:101], off offset:120
	s_wait_loadcnt 0x0
	ds_store_b64 v1, v[98:99]
.LBB47_271:
	s_wait_xcnt 0x0
	s_or_b32 exec_lo, exec_lo, s0
	s_wait_storecnt_dscnt 0x0
	s_barrier_signal -1
	s_barrier_wait -1
	s_clause 0x10
	scratch_load_b128 v[98:101], off, off offset:128
	scratch_load_b128 v[102:105], off, off offset:144
	;; [unrolled: 1-line block ×16, first 2 shown]
	scratch_load_b64 v[226:227], off, off offset:120
	ds_load_b128 v[162:165], v5 offset:704
	ds_load_b128 v[166:169], v5 offset:720
	;; [unrolled: 1-line block ×16, first 2 shown]
	s_mov_b32 s0, exec_lo
	s_wait_dscnt 0xf
	v_dual_mov_b32 v228, v165 :: v_dual_mov_b32 v229, v164
	s_wait_dscnt 0xe
	v_dual_mov_b32 v230, v169 :: v_dual_mov_b32 v231, v168
	;; [unrolled: 2-line block ×4, first 2 shown]
	s_wait_loadcnt_dscnt 0x100b
	v_dual_mul_f32 v5, v178, v99 :: v_dual_mul_f32 v9, v180, v101
	v_dual_mul_f32 v51, v179, v99 :: v_dual_mul_f32 v53, v181, v101
	s_wait_loadcnt_dscnt 0xf0a
	v_dual_mul_f32 v11, v182, v103 :: v_dual_mul_f32 v13, v184, v105
	s_delay_alu instid0(VALU_DEP_2) | instskip(SKIP_3) | instid1(VALU_DEP_3)
	v_dual_fmac_f32 v5, v179, v98 :: v_dual_fma_f32 v51, v178, v98, -v51
	v_dual_mul_f32 v55, v183, v103 :: v_dual_mul_f32 v57, v185, v105
	s_wait_loadcnt_dscnt 0xd08
	v_dual_mul_f32 v63, v191, v111 :: v_dual_fmac_f32 v9, v181, v100
	v_dual_fma_f32 v53, v180, v100, -v53 :: v_dual_add_f32 v5, 0, v5
	v_dual_add_f32 v51, 0, v51 :: v_dual_mul_f32 v65, v193, v113
	v_fmac_f32_e32 v11, v183, v102
	s_delay_alu instid0(VALU_DEP_3) | instskip(NEXT) | instid1(VALU_DEP_3)
	v_dual_fma_f32 v55, v182, v102, -v55 :: v_dual_add_f32 v5, v5, v9
	v_dual_add_f32 v9, v51, v53 :: v_dual_mul_f32 v15, v186, v107
	v_dual_mul_f32 v17, v188, v109 :: v_dual_mul_f32 v59, v187, v107
	v_dual_mul_f32 v61, v189, v109 :: v_dual_fma_f32 v53, v184, v104, -v57
	s_delay_alu instid0(VALU_DEP_4) | instskip(NEXT) | instid1(VALU_DEP_4)
	v_add_f32_e32 v5, v5, v11
	v_dual_add_f32 v9, v9, v55 :: v_dual_fmac_f32 v15, v187, v106
	s_wait_loadcnt_dscnt 0xc07
	v_dual_mul_f32 v51, v195, v115 :: v_dual_fmac_f32 v13, v185, v104
	v_dual_mul_f32 v11, v197, v117 :: v_dual_fma_f32 v55, v186, v106, -v59
	s_delay_alu instid0(VALU_DEP_3) | instskip(SKIP_1) | instid1(VALU_DEP_3)
	v_dual_add_f32 v9, v9, v53 :: v_dual_fma_f32 v53, v188, v108, -v61
	s_wait_loadcnt_dscnt 0xb06
	v_dual_add_f32 v5, v5, v13 :: v_dual_mul_f32 v13, v199, v119
	v_dual_mul_f32 v19, v190, v111 :: v_dual_mul_f32 v21, v192, v113
	s_delay_alu instid0(VALU_DEP_3) | instskip(SKIP_1) | instid1(VALU_DEP_4)
	v_add_f32_e32 v9, v9, v55
	v_fmac_f32_e32 v17, v189, v108
	v_dual_add_f32 v5, v5, v15 :: v_dual_fma_f32 v55, v190, v110, -v63
	v_dual_mul_f32 v23, v194, v115 :: v_dual_mul_f32 v25, v196, v117
	s_delay_alu instid0(VALU_DEP_4) | instskip(NEXT) | instid1(VALU_DEP_3)
	v_dual_add_f32 v9, v9, v53 :: v_dual_fma_f32 v51, v194, v114, -v51
	v_dual_fmac_f32 v19, v191, v110 :: v_dual_add_f32 v5, v5, v17
	s_delay_alu instid0(VALU_DEP_3) | instskip(NEXT) | instid1(VALU_DEP_3)
	v_dual_fmac_f32 v23, v195, v114 :: v_dual_fma_f32 v53, v192, v112, -v65
	v_dual_add_f32 v9, v9, v55 :: v_dual_fma_f32 v13, v198, v118, -v13
	v_dual_mul_f32 v27, v198, v119 :: v_dual_mul_f32 v29, v200, v121
	s_wait_loadcnt_dscnt 0xa05
	v_dual_mul_f32 v15, v201, v121 :: v_dual_mul_f32 v17, v203, v123
	s_delay_alu instid0(VALU_DEP_2) | instskip(SKIP_1) | instid1(VALU_DEP_3)
	v_dual_fmac_f32 v21, v193, v112 :: v_dual_fmac_f32 v27, v199, v118
	v_dual_add_f32 v5, v5, v19 :: v_dual_fma_f32 v11, v196, v116, -v11
	v_dual_add_f32 v9, v9, v53 :: v_dual_fma_f32 v15, v200, v120, -v15
	v_mul_f32_e32 v19, v205, v125
	s_wait_loadcnt_dscnt 0x904
	s_delay_alu instid0(VALU_DEP_3) | instskip(NEXT) | instid1(VALU_DEP_3)
	v_dual_add_f32 v5, v5, v21 :: v_dual_mul_f32 v21, v207, v127
	v_add_f32_e32 v9, v9, v51
	s_wait_loadcnt_dscnt 0x803
	v_dual_mul_f32 v39, v210, v131 :: v_dual_mul_f32 v41, v212, v133
	s_delay_alu instid0(VALU_DEP_3) | instskip(NEXT) | instid1(VALU_DEP_3)
	v_dual_fma_f32 v19, v204, v124, -v19 :: v_dual_fma_f32 v21, v206, v126, -v21
	v_add_f32_e32 v9, v9, v11
	v_mul_f32_e32 v11, v211, v131
	v_dual_add_f32 v5, v5, v23 :: v_dual_fma_f32 v17, v202, v122, -v17
	s_delay_alu instid0(VALU_DEP_3) | instskip(NEXT) | instid1(VALU_DEP_3)
	v_dual_fmac_f32 v39, v211, v130 :: v_dual_add_f32 v9, v9, v13
	v_dual_mul_f32 v13, v213, v133 :: v_dual_fma_f32 v11, v210, v130, -v11
	v_dual_mul_f32 v31, v202, v123 :: v_dual_mul_f32 v33, v204, v125
	s_delay_alu instid0(VALU_DEP_2) | instskip(NEXT) | instid1(VALU_DEP_2)
	v_dual_add_f32 v9, v9, v15 :: v_dual_fma_f32 v13, v212, v132, -v13
	v_dual_fmac_f32 v25, v197, v116 :: v_dual_fmac_f32 v31, v203, v122
	v_dual_mul_f32 v35, v206, v127 :: v_dual_mul_f32 v37, v208, v129
	s_delay_alu instid0(VALU_DEP_3) | instskip(SKIP_2) | instid1(VALU_DEP_3)
	v_add_f32_e32 v9, v9, v17
	s_wait_loadcnt_dscnt 0x702
	v_dual_mul_f32 v23, v209, v129 :: v_dual_mul_f32 v15, v215, v135
	v_dual_add_f32 v5, v5, v25 :: v_dual_fmac_f32 v35, v207, v126
	s_delay_alu instid0(VALU_DEP_3) | instskip(SKIP_4) | instid1(VALU_DEP_3)
	v_add_f32_e32 v9, v9, v19
	s_wait_loadcnt_dscnt 0x500
	v_dual_mul_f32 v237, v222, v143 :: v_dual_mul_f32 v239, v224, v145
	v_dual_fmac_f32 v29, v201, v120 :: v_dual_mul_f32 v19, v219, v139
	v_dual_add_f32 v5, v5, v27 :: v_dual_fma_f32 v23, v208, v128, -v23
	v_dual_add_f32 v9, v9, v21 :: v_dual_fmac_f32 v237, v223, v142
	v_dual_mul_f32 v43, v214, v135 :: v_dual_mul_f32 v45, v216, v137
	s_delay_alu instid0(VALU_DEP_3) | instskip(NEXT) | instid1(VALU_DEP_3)
	v_add_f32_e32 v5, v5, v29
	v_add_f32_e32 v9, v9, v23
	s_delay_alu instid0(VALU_DEP_3) | instskip(SKIP_1) | instid1(VALU_DEP_4)
	v_dual_fmac_f32 v33, v205, v124 :: v_dual_fmac_f32 v43, v215, v134
	v_mul_f32_e32 v23, v223, v143
	v_dual_add_f32 v5, v5, v31 :: v_dual_fma_f32 v15, v214, v134, -v15
	s_delay_alu instid0(VALU_DEP_4) | instskip(SKIP_2) | instid1(VALU_DEP_2)
	v_add_f32_e32 v9, v9, v11
	v_dual_mul_f32 v47, v218, v139 :: v_dual_mul_f32 v49, v220, v141
	v_dual_mul_f32 v17, v217, v137 :: v_dual_fmac_f32 v45, v217, v136
	v_dual_add_f32 v5, v5, v33 :: v_dual_fmac_f32 v47, v219, v138
	s_delay_alu instid0(VALU_DEP_4) | instskip(SKIP_2) | instid1(VALU_DEP_4)
	v_add_f32_e32 v9, v9, v13
	v_dual_fmac_f32 v37, v209, v128 :: v_dual_fma_f32 v236, v222, v142, -v23
	v_dual_mul_f32 v21, v221, v141 :: v_dual_fmac_f32 v49, v221, v140
	v_dual_add_f32 v5, v5, v35 :: v_dual_fma_f32 v13, v216, v136, -v17
	s_delay_alu instid0(VALU_DEP_4) | instskip(SKIP_2) | instid1(VALU_DEP_3)
	v_add_f32_e32 v9, v9, v15
	v_dual_mul_f32 v11, v225, v145 :: v_dual_fmac_f32 v239, v225, v144
	v_dual_fmac_f32 v41, v213, v132 :: v_dual_fma_f32 v15, v218, v138, -v19
	v_dual_add_f32 v9, v9, v13 :: v_dual_fma_f32 v13, v220, v140, -v21
	s_delay_alu instid0(VALU_DEP_3) | instskip(SKIP_2) | instid1(VALU_DEP_3)
	v_dual_add_f32 v5, v5, v37 :: v_dual_fma_f32 v238, v224, v144, -v11
	s_wait_loadcnt 0x4
	v_pk_mul_f32 v[98:99], v[162:163], v[146:147] op_sel:[1,1] op_sel_hi:[0,1]
	v_add_f32_e32 v9, v9, v15
	s_wait_loadcnt 0x3
	v_dual_mov_b32 v100, v149 :: v_dual_mov_b32 v104, v153
	v_add_f32_e32 v5, v5, v39
	v_pk_fma_f32 v[108:109], v[162:163], v[146:147], v[98:99] op_sel_hi:[1,0,1]
	v_add_f32_e32 v106, v9, v13
	s_delay_alu instid0(VALU_DEP_4)
	v_pk_mul_f32 v[100:101], v[228:229], v[100:101] op_sel_hi:[1,0]
	v_pk_fma_f32 v[98:99], v[162:163], v[146:147], v[98:99] neg_lo:[0,0,1] neg_hi:[0,0,1]
	v_add_f32_e32 v5, v5, v41
	v_pk_mul_f32 v[102:103], v[166:167], v[150:151] op_sel:[1,1] op_sel_hi:[0,1]
	v_mov_b32_e32 v99, v109
	v_pk_fma_f32 v[108:109], v[164:165], v[148:149], v[100:101] op_sel_hi:[1,0,1]
	v_pk_fma_f32 v[100:101], v[164:165], v[148:149], v[100:101] neg_lo:[0,0,1] neg_hi:[0,0,1]
	v_add_f32_e32 v5, v5, v43
	v_pk_fma_f32 v[112:113], v[166:167], v[150:151], v[102:103] op_sel_hi:[1,0,1]
	v_pk_mul_f32 v[104:105], v[230:231], v[104:105] op_sel_hi:[1,0]
	v_mov_b32_e32 v101, v109
	s_wait_loadcnt 0x2
	v_pk_mul_f32 v[110:111], v[170:171], v[154:155] op_sel:[1,1] op_sel_hi:[0,1]
	v_add_f32_e32 v5, v5, v45
	v_pk_fma_f32 v[102:103], v[166:167], v[150:151], v[102:103] neg_lo:[0,0,1] neg_hi:[0,0,1]
	v_mov_b32_e32 v103, v113
	v_pk_fma_f32 v[108:109], v[168:169], v[152:153], v[104:105] op_sel_hi:[1,0,1]
	v_pk_fma_f32 v[104:105], v[168:169], v[152:153], v[104:105] neg_lo:[0,0,1] neg_hi:[0,0,1]
	v_add_f32_e32 v5, v5, v47
	s_delay_alu instid0(VALU_DEP_1) | instskip(NEXT) | instid1(VALU_DEP_1)
	v_add_f32_e32 v107, v5, v49
	v_pk_add_f32 v[106:107], v[106:107], v[236:237]
	s_delay_alu instid0(VALU_DEP_1) | instskip(NEXT) | instid1(VALU_DEP_1)
	v_pk_add_f32 v[106:107], v[106:107], v[238:239]
	v_pk_add_f32 v[98:99], v[106:107], v[98:99]
	v_mov_b32_e32 v106, v157
	s_delay_alu instid0(VALU_DEP_2) | instskip(SKIP_1) | instid1(VALU_DEP_3)
	v_pk_add_f32 v[98:99], v[98:99], v[100:101]
	v_pk_fma_f32 v[100:101], v[170:171], v[154:155], v[110:111] op_sel_hi:[1,0,1]
	v_pk_mul_f32 v[106:107], v[232:233], v[106:107] op_sel_hi:[1,0]
	v_mov_b32_e32 v105, v109
	v_pk_fma_f32 v[108:109], v[170:171], v[154:155], v[110:111] neg_lo:[0,0,1] neg_hi:[0,0,1]
	v_pk_add_f32 v[98:99], v[98:99], v[102:103]
	v_mov_b32_e32 v109, v101
	v_pk_fma_f32 v[100:101], v[172:173], v[156:157], v[106:107] op_sel_hi:[1,0,1]
	s_wait_loadcnt 0x1
	v_pk_mul_f32 v[102:103], v[174:175], v[158:159] op_sel:[1,1] op_sel_hi:[0,1]
	v_mov_b32_e32 v100, v161
	v_pk_add_f32 v[98:99], v[98:99], v[104:105]
	v_pk_fma_f32 v[106:107], v[172:173], v[156:157], v[106:107] neg_lo:[0,0,1] neg_hi:[0,0,1]
	v_mov_b32_e32 v107, v101
	v_pk_fma_f32 v[104:105], v[174:175], v[158:159], v[102:103] op_sel_hi:[1,0,1]
	v_pk_mul_f32 v[100:101], v[234:235], v[100:101] op_sel_hi:[1,0]
	v_pk_add_f32 v[98:99], v[98:99], v[108:109]
	v_pk_fma_f32 v[102:103], v[174:175], v[158:159], v[102:103] neg_lo:[0,0,1] neg_hi:[0,0,1]
	s_delay_alu instid0(VALU_DEP_4) | instskip(NEXT) | instid1(VALU_DEP_4)
	v_mov_b32_e32 v103, v105
	v_pk_fma_f32 v[104:105], v[176:177], v[160:161], v[100:101] op_sel_hi:[1,0,1]
	s_delay_alu instid0(VALU_DEP_4) | instskip(SKIP_1) | instid1(VALU_DEP_3)
	v_pk_add_f32 v[98:99], v[98:99], v[106:107]
	v_pk_fma_f32 v[100:101], v[176:177], v[160:161], v[100:101] neg_lo:[0,0,1] neg_hi:[0,0,1]
	v_mov_b32_e32 v101, v105
	s_delay_alu instid0(VALU_DEP_3) | instskip(NEXT) | instid1(VALU_DEP_1)
	v_pk_add_f32 v[98:99], v[98:99], v[102:103]
	v_pk_add_f32 v[98:99], v[98:99], v[100:101]
	s_wait_loadcnt 0x0
	s_delay_alu instid0(VALU_DEP_1)
	v_pk_add_f32 v[98:99], v[226:227], v[98:99] neg_lo:[0,1] neg_hi:[0,1]
	scratch_store_b64 off, v[98:99], off offset:120
	s_wait_xcnt 0x0
	v_cmpx_lt_u32_e32 14, v0
	s_cbranch_execz .LBB47_273
; %bb.272:
	scratch_load_b64 v[98:99], off, off offset:112
	v_mov_b64_e32 v[100:101], 0
	scratch_store_b64 off, v[100:101], off offset:112
	s_wait_loadcnt 0x0
	ds_store_b64 v1, v[98:99]
.LBB47_273:
	s_wait_xcnt 0x0
	s_or_b32 exec_lo, exec_lo, s0
	s_wait_storecnt_dscnt 0x0
	s_barrier_signal -1
	s_barrier_wait -1
	s_clause 0x11
	scratch_load_b128 v[98:101], off, off offset:120
	scratch_load_b128 v[102:105], off, off offset:136
	;; [unrolled: 1-line block ×16, first 2 shown]
	scratch_load_b64 v[226:227], off, off offset:376
	scratch_load_b64 v[228:229], off, off offset:112
	v_mov_b32_e32 v5, 0
	ds_load_2addr_b64 v[162:165], v5 offset0:87 offset1:88
	ds_load_2addr_b64 v[166:169], v5 offset0:89 offset1:90
	ds_load_2addr_b64 v[170:173], v5 offset0:91 offset1:92
	ds_load_2addr_b64 v[174:177], v5 offset0:93 offset1:94
	ds_load_2addr_b64 v[178:181], v5 offset0:63 offset1:64
	ds_load_2addr_b64 v[182:185], v5 offset0:65 offset1:66
	ds_load_2addr_b64 v[186:189], v5 offset0:67 offset1:68
	ds_load_2addr_b64 v[190:193], v5 offset0:69 offset1:70
	ds_load_2addr_b64 v[194:197], v5 offset0:71 offset1:72
	ds_load_2addr_b64 v[198:201], v5 offset0:73 offset1:74
	ds_load_2addr_b64 v[202:205], v5 offset0:75 offset1:76
	ds_load_2addr_b64 v[206:209], v5 offset0:77 offset1:78
	ds_load_2addr_b64 v[210:213], v5 offset0:79 offset1:80
	ds_load_2addr_b64 v[214:217], v5 offset0:81 offset1:82
	ds_load_2addr_b64 v[218:221], v5 offset0:83 offset1:84
	ds_load_2addr_b64 v[222:225], v5 offset0:85 offset1:86
	ds_load_b64 v[230:231], v5 offset:760
	s_mov_b32 s0, exec_lo
	s_wait_dscnt 0x10
	v_dual_mov_b32 v232, v165 :: v_dual_mov_b32 v233, v164
	s_wait_dscnt 0xd
	v_dual_mov_b32 v234, v169 :: v_dual_mov_b32 v239, v176
	v_dual_mov_b32 v235, v168 :: v_dual_mov_b32 v236, v173
	;; [unrolled: 1-line block ×3, first 2 shown]
	s_wait_loadcnt_dscnt 0x110c
	v_dual_mul_f32 v9, v178, v99 :: v_dual_mul_f32 v55, v179, v99
	v_dual_mul_f32 v57, v181, v101 :: v_dual_mul_f32 v11, v180, v101
	s_wait_loadcnt_dscnt 0x100b
	v_mul_f32_e32 v13, v182, v103
	s_wait_loadcnt_dscnt 0xe09
	v_dual_mul_f32 v67, v191, v111 :: v_dual_fma_f32 v55, v178, v98, -v55
	v_dual_fmac_f32 v9, v179, v98 :: v_dual_mul_f32 v69, v193, v113
	v_dual_mul_f32 v59, v183, v103 :: v_dual_mul_f32 v61, v185, v105
	v_dual_fmac_f32 v11, v181, v100 :: v_dual_fma_f32 v57, v180, v100, -v57
	s_delay_alu instid0(VALU_DEP_3) | instskip(SKIP_3) | instid1(VALU_DEP_3)
	v_dual_add_f32 v9, 0, v9 :: v_dual_add_f32 v55, 0, v55
	v_dual_mul_f32 v15, v184, v105 :: v_dual_mul_f32 v17, v186, v107
	s_wait_loadcnt_dscnt 0xd08
	v_dual_mul_f32 v71, v195, v115 :: v_dual_fma_f32 v59, v182, v102, -v59
	v_dual_fmac_f32 v13, v183, v102 :: v_dual_add_f32 v9, v9, v11
	s_delay_alu instid0(VALU_DEP_3) | instskip(SKIP_2) | instid1(VALU_DEP_3)
	v_dual_add_f32 v11, v55, v57 :: v_dual_fmac_f32 v15, v185, v104
	v_dual_mul_f32 v63, v187, v107 :: v_dual_mul_f32 v65, v189, v109
	v_dual_mul_f32 v55, v197, v117 :: v_dual_fma_f32 v57, v184, v104, -v61
	v_dual_add_f32 v9, v9, v13 :: v_dual_add_f32 v11, v11, v59
	v_dual_mul_f32 v19, v188, v109 :: v_dual_mul_f32 v21, v190, v111
	s_wait_loadcnt_dscnt 0xc07
	v_dual_mul_f32 v13, v199, v119 :: v_dual_fma_f32 v59, v186, v106, -v63
	s_delay_alu instid0(VALU_DEP_3) | instskip(NEXT) | instid1(VALU_DEP_3)
	v_dual_fmac_f32 v17, v187, v106 :: v_dual_add_f32 v9, v9, v15
	v_dual_add_f32 v11, v11, v57 :: v_dual_fmac_f32 v19, v189, v108
	v_dual_mul_f32 v15, v201, v121 :: v_dual_fma_f32 v57, v188, v108, -v65
	s_delay_alu instid0(VALU_DEP_2) | instskip(SKIP_3) | instid1(VALU_DEP_3)
	v_dual_add_f32 v9, v9, v17 :: v_dual_add_f32 v11, v11, v59
	v_dual_mul_f32 v23, v192, v113 :: v_dual_mul_f32 v25, v194, v115
	s_wait_loadcnt_dscnt 0xb06
	v_dual_mul_f32 v17, v203, v123 :: v_dual_fma_f32 v59, v190, v110, -v67
	v_dual_fmac_f32 v21, v191, v110 :: v_dual_add_f32 v9, v9, v19
	s_delay_alu instid0(VALU_DEP_3) | instskip(SKIP_1) | instid1(VALU_DEP_2)
	v_dual_add_f32 v11, v11, v57 :: v_dual_fmac_f32 v23, v193, v112
	v_dual_mul_f32 v19, v205, v125 :: v_dual_fma_f32 v57, v192, v112, -v69
	v_dual_add_f32 v9, v9, v21 :: v_dual_add_f32 v11, v11, v59
	v_dual_mul_f32 v27, v196, v117 :: v_dual_mul_f32 v29, v198, v119
	s_wait_loadcnt_dscnt 0xa05
	v_dual_mul_f32 v21, v207, v127 :: v_dual_fma_f32 v59, v194, v114, -v71
	s_delay_alu instid0(VALU_DEP_3) | instskip(NEXT) | instid1(VALU_DEP_3)
	v_dual_fmac_f32 v25, v195, v114 :: v_dual_add_f32 v9, v9, v23
	v_dual_add_f32 v11, v11, v57 :: v_dual_fmac_f32 v27, v197, v116
	v_dual_mul_f32 v23, v209, v129 :: v_dual_fma_f32 v55, v196, v116, -v55
	s_delay_alu instid0(VALU_DEP_2) | instskip(SKIP_3) | instid1(VALU_DEP_3)
	v_dual_add_f32 v9, v9, v25 :: v_dual_add_f32 v11, v11, v59
	v_dual_mul_f32 v31, v200, v121 :: v_dual_mul_f32 v33, v202, v123
	s_wait_loadcnt_dscnt 0x904
	v_dual_mul_f32 v25, v211, v131 :: v_dual_fma_f32 v13, v198, v118, -v13
	v_dual_fmac_f32 v29, v199, v118 :: v_dual_add_f32 v9, v9, v27
	v_dual_add_f32 v11, v11, v55 :: v_dual_mul_f32 v27, v213, v133
	v_fmac_f32_e32 v31, v201, v120
	s_delay_alu instid0(VALU_DEP_3) | instskip(NEXT) | instid1(VALU_DEP_3)
	v_dual_fma_f32 v15, v200, v120, -v15 :: v_dual_add_f32 v9, v9, v29
	v_add_f32_e32 v11, v11, v13
	v_dual_mul_f32 v35, v204, v125 :: v_dual_mul_f32 v37, v206, v127
	s_wait_loadcnt_dscnt 0x803
	v_dual_mul_f32 v13, v215, v135 :: v_dual_fma_f32 v17, v202, v122, -v17
	v_dual_fmac_f32 v33, v203, v122 :: v_dual_add_f32 v9, v9, v31
	v_dual_add_f32 v11, v11, v15 :: v_dual_mul_f32 v15, v217, v137
	v_fmac_f32_e32 v35, v205, v124
	s_delay_alu instid0(VALU_DEP_3) | instskip(NEXT) | instid1(VALU_DEP_3)
	v_dual_fma_f32 v19, v204, v124, -v19 :: v_dual_add_f32 v9, v9, v33
	v_add_f32_e32 v11, v11, v17
	;; [unrolled: 9-line block ×4, first 2 shown]
	v_dual_mul_f32 v47, v216, v137 :: v_dual_mul_f32 v49, v218, v139
	s_wait_loadcnt 0x5
	v_dual_mul_f32 v25, v163, v147 :: v_dual_fma_f32 v13, v214, v134, -v13
	v_dual_fmac_f32 v45, v215, v134 :: v_dual_add_f32 v9, v9, v43
	v_dual_add_f32 v11, v11, v27 :: v_dual_mov_b32 v98, v149
	v_fmac_f32_e32 v47, v217, v136
	s_delay_alu instid0(VALU_DEP_3) | instskip(NEXT) | instid1(VALU_DEP_3)
	v_dual_fma_f32 v15, v216, v136, -v15 :: v_dual_add_f32 v9, v9, v45
	v_add_f32_e32 v11, v11, v13
	v_dual_mul_f32 v51, v220, v141 :: v_dual_mul_f32 v53, v222, v143
	s_delay_alu instid0(VALU_DEP_3) | instskip(NEXT) | instid1(VALU_DEP_3)
	v_dual_fmac_f32 v49, v219, v138 :: v_dual_add_f32 v9, v9, v47
	v_dual_fma_f32 v13, v218, v138, -v17 :: v_dual_add_f32 v11, v11, v15
	s_wait_loadcnt 0x4
	v_dual_mov_b32 v102, v153 :: v_dual_fma_f32 v15, v220, v140, -v19
	v_fmac_f32_e32 v51, v221, v140
	v_dual_add_f32 v9, v9, v49 :: v_dual_fmac_f32 v53, v223, v142
	v_add_f32_e32 v11, v11, v13
	v_dual_mul_f32 v241, v224, v145 :: v_dual_mul_f32 v243, v162, v147
	s_delay_alu instid0(VALU_DEP_3) | instskip(NEXT) | instid1(VALU_DEP_2)
	v_dual_fma_f32 v13, v222, v142, -v21 :: v_dual_add_f32 v9, v9, v51
	v_dual_add_f32 v11, v11, v15 :: v_dual_fmac_f32 v241, v225, v144
	v_fma_f32 v240, v224, v144, -v23
	v_pk_mul_f32 v[98:99], v[232:233], v[98:99] op_sel_hi:[1,0]
	s_delay_alu instid0(VALU_DEP_4)
	v_add_f32_e32 v107, v9, v53
	s_wait_loadcnt 0x3
	v_dual_add_f32 v106, v11, v13 :: v_dual_mov_b32 v108, v157
	v_pk_mul_f32 v[100:101], v[166:167], v[150:151] op_sel:[1,1] op_sel_hi:[0,1]
	v_dual_fmac_f32 v243, v163, v146 :: v_dual_fma_f32 v242, v162, v146, -v25
	v_pk_fma_f32 v[110:111], v[164:165], v[148:149], v[98:99] op_sel_hi:[1,0,1]
	s_delay_alu instid0(VALU_DEP_4)
	v_pk_add_f32 v[106:107], v[106:107], v[240:241]
	v_pk_fma_f32 v[98:99], v[164:165], v[148:149], v[98:99] neg_lo:[0,0,1] neg_hi:[0,0,1]
	v_pk_fma_f32 v[112:113], v[166:167], v[150:151], v[100:101] op_sel_hi:[1,0,1]
	v_pk_mul_f32 v[102:103], v[234:235], v[102:103] op_sel_hi:[1,0]
	v_mov_b32_e32 v99, v111
	v_pk_add_f32 v[106:107], v[106:107], v[242:243]
	v_pk_fma_f32 v[100:101], v[166:167], v[150:151], v[100:101] neg_lo:[0,0,1] neg_hi:[0,0,1]
	v_pk_mul_f32 v[104:105], v[170:171], v[154:155] op_sel:[1,1] op_sel_hi:[0,1]
	v_mov_b32_e32 v101, v113
	v_pk_fma_f32 v[112:113], v[168:169], v[152:153], v[102:103] op_sel_hi:[1,0,1]
	v_pk_add_f32 v[98:99], v[106:107], v[98:99]
	v_pk_fma_f32 v[102:103], v[168:169], v[152:153], v[102:103] neg_lo:[0,0,1] neg_hi:[0,0,1]
	v_pk_fma_f32 v[106:107], v[170:171], v[154:155], v[104:105] op_sel_hi:[1,0,1]
	v_pk_mul_f32 v[108:109], v[236:237], v[108:109] op_sel_hi:[1,0]
	v_mov_b32_e32 v103, v113
	v_pk_add_f32 v[98:99], v[98:99], v[100:101]
	v_pk_fma_f32 v[104:105], v[170:171], v[154:155], v[104:105] neg_lo:[0,0,1] neg_hi:[0,0,1]
	s_wait_loadcnt 0x2
	v_pk_mul_f32 v[110:111], v[174:175], v[158:159] op_sel:[1,1] op_sel_hi:[0,1]
	v_dual_mov_b32 v100, v161 :: v_dual_mov_b32 v105, v107
	v_pk_fma_f32 v[106:107], v[172:173], v[156:157], v[108:109] op_sel_hi:[1,0,1]
	v_pk_add_f32 v[98:99], v[98:99], v[102:103]
	v_pk_fma_f32 v[108:109], v[172:173], v[156:157], v[108:109] neg_lo:[0,0,1] neg_hi:[0,0,1]
	v_pk_fma_f32 v[102:103], v[174:175], v[158:159], v[110:111] op_sel_hi:[1,0,1]
	v_pk_mul_f32 v[100:101], v[238:239], v[100:101] op_sel_hi:[1,0]
	v_mov_b32_e32 v109, v107
	v_pk_add_f32 v[98:99], v[98:99], v[104:105]
	v_pk_fma_f32 v[104:105], v[174:175], v[158:159], v[110:111] neg_lo:[0,0,1] neg_hi:[0,0,1]
	v_mov_b32_e32 v105, v103
	v_pk_fma_f32 v[102:103], v[176:177], v[160:161], v[100:101] op_sel_hi:[1,0,1]
	s_wait_loadcnt_dscnt 0x100
	v_pk_mul_f32 v[106:107], v[230:231], v[226:227] op_sel:[1,1] op_sel_hi:[0,1]
	v_pk_add_f32 v[98:99], v[98:99], v[108:109]
	v_pk_fma_f32 v[100:101], v[176:177], v[160:161], v[100:101] neg_lo:[0,0,1] neg_hi:[0,0,1]
	v_mov_b32_e32 v101, v103
	s_delay_alu instid0(VALU_DEP_4) | instskip(NEXT) | instid1(VALU_DEP_4)
	v_pk_fma_f32 v[102:103], v[230:231], v[226:227], v[106:107] op_sel_hi:[1,0,1]
	v_pk_add_f32 v[98:99], v[98:99], v[104:105]
	v_pk_fma_f32 v[104:105], v[230:231], v[226:227], v[106:107] neg_lo:[0,0,1] neg_hi:[0,0,1]
	s_delay_alu instid0(VALU_DEP_3) | instskip(NEXT) | instid1(VALU_DEP_3)
	v_mov_b32_e32 v105, v103
	v_pk_add_f32 v[98:99], v[98:99], v[100:101]
	s_delay_alu instid0(VALU_DEP_1) | instskip(SKIP_1) | instid1(VALU_DEP_1)
	v_pk_add_f32 v[98:99], v[98:99], v[104:105]
	s_wait_loadcnt 0x0
	v_pk_add_f32 v[98:99], v[228:229], v[98:99] neg_lo:[0,1] neg_hi:[0,1]
	scratch_store_b64 off, v[98:99], off offset:112
	s_wait_xcnt 0x0
	v_cmpx_lt_u32_e32 13, v0
	s_cbranch_execz .LBB47_275
; %bb.274:
	scratch_load_b64 v[98:99], off, off offset:104
	v_mov_b64_e32 v[100:101], 0
	scratch_store_b64 off, v[100:101], off offset:104
	s_wait_loadcnt 0x0
	ds_store_b64 v1, v[98:99]
.LBB47_275:
	s_wait_xcnt 0x0
	s_or_b32 exec_lo, exec_lo, s0
	s_wait_storecnt_dscnt 0x0
	s_barrier_signal -1
	s_barrier_wait -1
	s_clause 0x11
	scratch_load_b128 v[98:101], off, off offset:112
	scratch_load_b128 v[102:105], off, off offset:128
	;; [unrolled: 1-line block ×17, first 2 shown]
	scratch_load_b64 v[234:235], off, off offset:104
	ds_load_b128 v[166:169], v5 offset:704
	ds_load_b128 v[170:173], v5 offset:720
	;; [unrolled: 1-line block ×17, first 2 shown]
	s_mov_b32 s0, exec_lo
	s_wait_dscnt 0x10
	v_dual_mov_b32 v236, v169 :: v_dual_mov_b32 v237, v168
	s_wait_dscnt 0xf
	v_dual_mov_b32 v238, v173 :: v_dual_mov_b32 v239, v172
	;; [unrolled: 2-line block ×4, first 2 shown]
	s_wait_loadcnt_dscnt 0x110b
	v_dual_mul_f32 v5, v186, v99 :: v_dual_mul_f32 v9, v188, v101
	v_dual_mul_f32 v55, v187, v99 :: v_dual_mul_f32 v57, v189, v101
	s_wait_loadcnt_dscnt 0x100a
	v_dual_mul_f32 v11, v190, v103 :: v_dual_mul_f32 v13, v192, v105
	s_delay_alu instid0(VALU_DEP_2) | instskip(SKIP_3) | instid1(VALU_DEP_3)
	v_dual_fmac_f32 v5, v187, v98 :: v_dual_fma_f32 v55, v186, v98, -v55
	v_dual_mul_f32 v59, v191, v103 :: v_dual_mul_f32 v61, v193, v105
	s_wait_loadcnt_dscnt 0xe08
	v_dual_mul_f32 v67, v199, v111 :: v_dual_fmac_f32 v9, v189, v100
	v_dual_fma_f32 v57, v188, v100, -v57 :: v_dual_add_f32 v5, 0, v5
	v_dual_add_f32 v55, 0, v55 :: v_dual_mul_f32 v69, v201, v113
	v_fmac_f32_e32 v11, v191, v102
	s_delay_alu instid0(VALU_DEP_3) | instskip(NEXT) | instid1(VALU_DEP_3)
	v_dual_fma_f32 v59, v190, v102, -v59 :: v_dual_add_f32 v5, v5, v9
	v_dual_add_f32 v9, v55, v57 :: v_dual_mul_f32 v15, v194, v107
	v_dual_mul_f32 v17, v196, v109 :: v_dual_mul_f32 v63, v195, v107
	v_dual_mul_f32 v65, v197, v109 :: v_dual_fma_f32 v57, v192, v104, -v61
	s_delay_alu instid0(VALU_DEP_4) | instskip(NEXT) | instid1(VALU_DEP_4)
	v_add_f32_e32 v5, v5, v11
	v_dual_add_f32 v9, v9, v59 :: v_dual_fmac_f32 v15, v195, v106
	s_wait_loadcnt_dscnt 0xd07
	v_dual_mul_f32 v55, v203, v115 :: v_dual_fmac_f32 v13, v193, v104
	v_dual_mul_f32 v11, v205, v117 :: v_dual_fma_f32 v59, v194, v106, -v63
	s_delay_alu instid0(VALU_DEP_3) | instskip(SKIP_1) | instid1(VALU_DEP_3)
	v_dual_add_f32 v9, v9, v57 :: v_dual_fma_f32 v57, v196, v108, -v65
	s_wait_loadcnt_dscnt 0xc06
	v_dual_add_f32 v5, v5, v13 :: v_dual_mul_f32 v13, v207, v119
	v_dual_mul_f32 v19, v198, v111 :: v_dual_mul_f32 v21, v200, v113
	s_delay_alu instid0(VALU_DEP_3) | instskip(SKIP_1) | instid1(VALU_DEP_4)
	v_add_f32_e32 v9, v9, v59
	v_fmac_f32_e32 v17, v197, v108
	v_dual_add_f32 v5, v5, v15 :: v_dual_fma_f32 v59, v198, v110, -v67
	v_dual_mul_f32 v23, v202, v115 :: v_dual_mul_f32 v25, v204, v117
	s_delay_alu instid0(VALU_DEP_4) | instskip(NEXT) | instid1(VALU_DEP_3)
	v_dual_add_f32 v9, v9, v57 :: v_dual_fma_f32 v55, v202, v114, -v55
	v_dual_fmac_f32 v19, v199, v110 :: v_dual_add_f32 v5, v5, v17
	s_delay_alu instid0(VALU_DEP_3) | instskip(NEXT) | instid1(VALU_DEP_3)
	v_dual_fmac_f32 v23, v203, v114 :: v_dual_fma_f32 v57, v200, v112, -v69
	v_dual_add_f32 v9, v9, v59 :: v_dual_fma_f32 v13, v206, v118, -v13
	v_dual_mul_f32 v27, v206, v119 :: v_dual_mul_f32 v29, v208, v121
	s_wait_loadcnt_dscnt 0xb05
	v_dual_mul_f32 v15, v209, v121 :: v_dual_mul_f32 v17, v211, v123
	s_delay_alu instid0(VALU_DEP_2) | instskip(SKIP_1) | instid1(VALU_DEP_3)
	v_dual_fmac_f32 v21, v201, v112 :: v_dual_fmac_f32 v27, v207, v118
	v_dual_add_f32 v5, v5, v19 :: v_dual_fma_f32 v11, v204, v116, -v11
	v_dual_add_f32 v9, v9, v57 :: v_dual_fma_f32 v15, v208, v120, -v15
	v_mul_f32_e32 v19, v213, v125
	s_wait_loadcnt_dscnt 0xa04
	s_delay_alu instid0(VALU_DEP_3) | instskip(NEXT) | instid1(VALU_DEP_3)
	v_dual_add_f32 v5, v5, v21 :: v_dual_mul_f32 v21, v215, v127
	v_add_f32_e32 v9, v9, v55
	s_wait_loadcnt_dscnt 0x903
	v_dual_mul_f32 v39, v218, v131 :: v_dual_mul_f32 v41, v220, v133
	s_delay_alu instid0(VALU_DEP_3) | instskip(NEXT) | instid1(VALU_DEP_3)
	v_dual_fma_f32 v19, v212, v124, -v19 :: v_dual_fma_f32 v21, v214, v126, -v21
	v_add_f32_e32 v9, v9, v11
	v_mul_f32_e32 v11, v219, v131
	v_dual_add_f32 v5, v5, v23 :: v_dual_fma_f32 v17, v210, v122, -v17
	s_delay_alu instid0(VALU_DEP_3) | instskip(NEXT) | instid1(VALU_DEP_3)
	v_dual_fmac_f32 v39, v219, v130 :: v_dual_add_f32 v9, v9, v13
	v_dual_mul_f32 v13, v221, v133 :: v_dual_fma_f32 v11, v218, v130, -v11
	v_dual_mul_f32 v31, v210, v123 :: v_dual_mul_f32 v33, v212, v125
	s_delay_alu instid0(VALU_DEP_2) | instskip(NEXT) | instid1(VALU_DEP_2)
	v_dual_add_f32 v9, v9, v15 :: v_dual_fma_f32 v13, v220, v132, -v13
	v_dual_fmac_f32 v25, v205, v116 :: v_dual_fmac_f32 v31, v211, v122
	v_dual_mul_f32 v35, v214, v127 :: v_dual_mul_f32 v37, v216, v129
	s_wait_loadcnt_dscnt 0x701
	s_delay_alu instid0(VALU_DEP_3) | instskip(SKIP_3) | instid1(VALU_DEP_4)
	v_dual_add_f32 v9, v9, v17 :: v_dual_mul_f32 v47, v226, v139
	v_mul_f32_e32 v49, v228, v141
	v_dual_mul_f32 v23, v217, v129 :: v_dual_mul_f32 v15, v223, v135
	v_dual_add_f32 v5, v5, v25 :: v_dual_fmac_f32 v35, v215, v126
	v_dual_add_f32 v9, v9, v19 :: v_dual_fmac_f32 v47, v227, v138
	s_wait_loadcnt_dscnt 0x600
	v_dual_mul_f32 v51, v230, v143 :: v_dual_mul_f32 v53, v232, v145
	v_dual_fmac_f32 v29, v209, v120 :: v_dual_mul_f32 v19, v227, v139
	v_dual_add_f32 v5, v5, v27 :: v_dual_fma_f32 v23, v216, v128, -v23
	s_delay_alu instid0(VALU_DEP_3) | instskip(SKIP_1) | instid1(VALU_DEP_3)
	v_dual_add_f32 v9, v9, v21 :: v_dual_fmac_f32 v51, v231, v142
	v_dual_mul_f32 v43, v222, v135 :: v_dual_mul_f32 v45, v224, v137
	v_add_f32_e32 v5, v5, v29
	s_delay_alu instid0(VALU_DEP_3) | instskip(NEXT) | instid1(VALU_DEP_3)
	v_add_f32_e32 v9, v9, v23
	v_dual_fmac_f32 v33, v213, v124 :: v_dual_fmac_f32 v43, v223, v134
	v_mul_f32_e32 v23, v231, v143
	s_delay_alu instid0(VALU_DEP_4) | instskip(NEXT) | instid1(VALU_DEP_4)
	v_dual_add_f32 v5, v5, v31 :: v_dual_fma_f32 v15, v222, v134, -v15
	v_add_f32_e32 v9, v9, v11
	v_dual_mul_f32 v17, v225, v137 :: v_dual_fmac_f32 v45, v225, v136
	s_delay_alu instid0(VALU_DEP_3) | instskip(SKIP_1) | instid1(VALU_DEP_4)
	v_add_f32_e32 v5, v5, v33
	v_dual_fmac_f32 v37, v217, v128 :: v_dual_fma_f32 v19, v226, v138, -v19
	v_add_f32_e32 v9, v9, v13
	v_dual_mul_f32 v21, v229, v141 :: v_dual_fmac_f32 v49, v229, v140
	s_delay_alu instid0(VALU_DEP_4) | instskip(NEXT) | instid1(VALU_DEP_3)
	v_dual_fma_f32 v17, v224, v136, -v17 :: v_dual_add_f32 v5, v5, v35
	v_add_f32_e32 v9, v9, v15
	s_wait_loadcnt 0x5
	v_dual_mul_f32 v245, v182, v147 :: v_dual_mul_f32 v247, v184, v149
	v_fmac_f32_e32 v41, v221, v132
	v_mul_f32_e32 v15, v185, v149
	v_dual_add_f32 v9, v9, v17 :: v_dual_fma_f32 v17, v228, v140, -v21
	s_delay_alu instid0(VALU_DEP_4) | instskip(SKIP_1) | instid1(VALU_DEP_3)
	v_dual_add_f32 v5, v5, v37 :: v_dual_fmac_f32 v245, v183, v146
	v_fmac_f32_e32 v247, v185, v148
	v_dual_add_f32 v9, v9, v19 :: v_dual_fma_f32 v19, v230, v142, -v23
	s_delay_alu instid0(VALU_DEP_3) | instskip(SKIP_1) | instid1(VALU_DEP_3)
	v_dual_add_f32 v5, v5, v39 :: v_dual_fma_f32 v246, v184, v148, -v15
	v_dual_mul_f32 v11, v233, v145 :: v_dual_fmac_f32 v53, v233, v144
	v_add_f32_e32 v9, v9, v17
	s_delay_alu instid0(VALU_DEP_3) | instskip(NEXT) | instid1(VALU_DEP_3)
	v_dual_add_f32 v5, v5, v41 :: v_dual_mul_f32 v13, v183, v147
	v_fma_f32 v11, v232, v144, -v11
	s_wait_loadcnt 0x4
	v_pk_mul_f32 v[98:99], v[166:167], v[150:151] op_sel:[1,1] op_sel_hi:[0,1]
	v_add_f32_e32 v9, v9, v19
	v_add_f32_e32 v5, v5, v43
	s_wait_loadcnt 0x3
	v_dual_mov_b32 v100, v153 :: v_dual_mov_b32 v104, v157
	s_delay_alu instid0(VALU_DEP_3) | instskip(NEXT) | instid1(VALU_DEP_3)
	v_dual_fma_f32 v244, v182, v146, -v13 :: v_dual_add_f32 v106, v9, v11
	v_add_f32_e32 v5, v5, v45
	v_pk_fma_f32 v[108:109], v[166:167], v[150:151], v[98:99] op_sel_hi:[1,0,1]
	s_delay_alu instid0(VALU_DEP_4)
	v_pk_mul_f32 v[100:101], v[236:237], v[100:101] op_sel_hi:[1,0]
	v_pk_fma_f32 v[98:99], v[166:167], v[150:151], v[98:99] neg_lo:[0,0,1] neg_hi:[0,0,1]
	v_pk_mul_f32 v[102:103], v[170:171], v[154:155] op_sel:[1,1] op_sel_hi:[0,1]
	v_add_f32_e32 v5, v5, v47
	v_mov_b32_e32 v99, v109
	v_pk_fma_f32 v[108:109], v[168:169], v[152:153], v[100:101] op_sel_hi:[1,0,1]
	v_pk_fma_f32 v[100:101], v[168:169], v[152:153], v[100:101] neg_lo:[0,0,1] neg_hi:[0,0,1]
	v_pk_fma_f32 v[112:113], v[170:171], v[154:155], v[102:103] op_sel_hi:[1,0,1]
	v_add_f32_e32 v5, v5, v49
	v_pk_mul_f32 v[104:105], v[238:239], v[104:105] op_sel_hi:[1,0]
	v_mov_b32_e32 v101, v109
	s_wait_loadcnt 0x2
	v_pk_mul_f32 v[110:111], v[174:175], v[158:159] op_sel:[1,1] op_sel_hi:[0,1]
	v_pk_fma_f32 v[102:103], v[170:171], v[154:155], v[102:103] neg_lo:[0,0,1] neg_hi:[0,0,1]
	v_add_f32_e32 v5, v5, v51
	v_mov_b32_e32 v103, v113
	v_pk_fma_f32 v[108:109], v[172:173], v[156:157], v[104:105] op_sel_hi:[1,0,1]
	v_pk_fma_f32 v[104:105], v[172:173], v[156:157], v[104:105] neg_lo:[0,0,1] neg_hi:[0,0,1]
	s_delay_alu instid0(VALU_DEP_4) | instskip(NEXT) | instid1(VALU_DEP_1)
	v_add_f32_e32 v107, v5, v53
	v_pk_add_f32 v[106:107], v[106:107], v[244:245]
	s_delay_alu instid0(VALU_DEP_1) | instskip(NEXT) | instid1(VALU_DEP_1)
	v_pk_add_f32 v[106:107], v[106:107], v[246:247]
	v_pk_add_f32 v[98:99], v[106:107], v[98:99]
	v_mov_b32_e32 v106, v161
	s_delay_alu instid0(VALU_DEP_2) | instskip(SKIP_1) | instid1(VALU_DEP_3)
	v_pk_add_f32 v[98:99], v[98:99], v[100:101]
	v_pk_fma_f32 v[100:101], v[174:175], v[158:159], v[110:111] op_sel_hi:[1,0,1]
	v_pk_mul_f32 v[106:107], v[240:241], v[106:107] op_sel_hi:[1,0]
	v_mov_b32_e32 v105, v109
	v_pk_fma_f32 v[108:109], v[174:175], v[158:159], v[110:111] neg_lo:[0,0,1] neg_hi:[0,0,1]
	v_pk_add_f32 v[98:99], v[98:99], v[102:103]
	v_mov_b32_e32 v109, v101
	v_pk_fma_f32 v[100:101], v[176:177], v[160:161], v[106:107] op_sel_hi:[1,0,1]
	s_wait_loadcnt 0x1
	v_pk_mul_f32 v[102:103], v[178:179], v[162:163] op_sel:[1,1] op_sel_hi:[0,1]
	v_mov_b32_e32 v100, v165
	v_pk_add_f32 v[98:99], v[98:99], v[104:105]
	v_pk_fma_f32 v[106:107], v[176:177], v[160:161], v[106:107] neg_lo:[0,0,1] neg_hi:[0,0,1]
	v_mov_b32_e32 v107, v101
	v_pk_fma_f32 v[104:105], v[178:179], v[162:163], v[102:103] op_sel_hi:[1,0,1]
	v_pk_mul_f32 v[100:101], v[242:243], v[100:101] op_sel_hi:[1,0]
	v_pk_add_f32 v[98:99], v[98:99], v[108:109]
	v_pk_fma_f32 v[102:103], v[178:179], v[162:163], v[102:103] neg_lo:[0,0,1] neg_hi:[0,0,1]
	s_delay_alu instid0(VALU_DEP_4) | instskip(NEXT) | instid1(VALU_DEP_4)
	v_mov_b32_e32 v103, v105
	v_pk_fma_f32 v[104:105], v[180:181], v[164:165], v[100:101] op_sel_hi:[1,0,1]
	s_delay_alu instid0(VALU_DEP_4) | instskip(SKIP_1) | instid1(VALU_DEP_3)
	v_pk_add_f32 v[98:99], v[98:99], v[106:107]
	v_pk_fma_f32 v[100:101], v[180:181], v[164:165], v[100:101] neg_lo:[0,0,1] neg_hi:[0,0,1]
	v_mov_b32_e32 v101, v105
	s_delay_alu instid0(VALU_DEP_3) | instskip(NEXT) | instid1(VALU_DEP_1)
	v_pk_add_f32 v[98:99], v[98:99], v[102:103]
	v_pk_add_f32 v[98:99], v[98:99], v[100:101]
	s_wait_loadcnt 0x0
	s_delay_alu instid0(VALU_DEP_1)
	v_pk_add_f32 v[98:99], v[234:235], v[98:99] neg_lo:[0,1] neg_hi:[0,1]
	scratch_store_b64 off, v[98:99], off offset:104
	s_wait_xcnt 0x0
	v_cmpx_lt_u32_e32 12, v0
	s_cbranch_execz .LBB47_277
; %bb.276:
	scratch_load_b64 v[98:99], off, off offset:96
	v_mov_b64_e32 v[100:101], 0
	scratch_store_b64 off, v[100:101], off offset:96
	s_wait_loadcnt 0x0
	ds_store_b64 v1, v[98:99]
.LBB47_277:
	s_wait_xcnt 0x0
	s_or_b32 exec_lo, exec_lo, s0
	s_wait_storecnt_dscnt 0x0
	s_barrier_signal -1
	s_barrier_wait -1
	s_clause 0x12
	scratch_load_b128 v[98:101], off, off offset:104
	scratch_load_b128 v[102:105], off, off offset:120
	;; [unrolled: 1-line block ×17, first 2 shown]
	scratch_load_b64 v[234:235], off, off offset:376
	scratch_load_b64 v[236:237], off, off offset:96
	v_mov_b32_e32 v5, 0
	ds_load_2addr_b64 v[166:169], v5 offset0:87 offset1:88
	ds_load_2addr_b64 v[170:173], v5 offset0:89 offset1:90
	;; [unrolled: 1-line block ×17, first 2 shown]
	ds_load_b64 v[238:239], v5 offset:760
	s_mov_b32 s0, exec_lo
	s_wait_dscnt 0x11
	v_dual_mov_b32 v240, v169 :: v_dual_mov_b32 v241, v168
	s_wait_dscnt 0x10
	v_dual_mov_b32 v242, v173 :: v_dual_mov_b32 v243, v172
	;; [unrolled: 2-line block ×3, first 2 shown]
	v_dual_mov_b32 v245, v176 :: v_dual_mov_b32 v246, v185
	s_wait_loadcnt_dscnt 0x120c
	v_dual_mul_f32 v9, v186, v99 :: v_dual_mul_f32 v59, v187, v99
	v_dual_mul_f32 v61, v189, v101 :: v_dual_mul_f32 v11, v188, v101
	s_wait_loadcnt_dscnt 0x110b
	v_mul_f32_e32 v13, v190, v103
	s_wait_loadcnt_dscnt 0xf09
	v_dual_mul_f32 v71, v199, v111 :: v_dual_fma_f32 v59, v186, v98, -v59
	v_dual_fmac_f32 v9, v187, v98 :: v_dual_mul_f32 v73, v201, v113
	v_dual_mul_f32 v63, v191, v103 :: v_dual_mul_f32 v65, v193, v105
	v_dual_fmac_f32 v11, v189, v100 :: v_dual_fma_f32 v61, v188, v100, -v61
	s_delay_alu instid0(VALU_DEP_3) | instskip(SKIP_3) | instid1(VALU_DEP_3)
	v_dual_add_f32 v9, 0, v9 :: v_dual_add_f32 v59, 0, v59
	v_dual_mul_f32 v15, v192, v105 :: v_dual_mul_f32 v17, v194, v107
	s_wait_loadcnt_dscnt 0xe08
	v_dual_mul_f32 v75, v203, v115 :: v_dual_fma_f32 v63, v190, v102, -v63
	v_dual_fmac_f32 v13, v191, v102 :: v_dual_add_f32 v9, v9, v11
	s_delay_alu instid0(VALU_DEP_3) | instskip(SKIP_2) | instid1(VALU_DEP_3)
	v_dual_add_f32 v11, v59, v61 :: v_dual_fmac_f32 v15, v193, v104
	v_dual_mul_f32 v67, v195, v107 :: v_dual_mul_f32 v69, v197, v109
	v_dual_mul_f32 v59, v205, v117 :: v_dual_fma_f32 v61, v192, v104, -v65
	v_dual_add_f32 v9, v9, v13 :: v_dual_add_f32 v11, v11, v63
	v_dual_mul_f32 v19, v196, v109 :: v_dual_mul_f32 v21, v198, v111
	s_wait_loadcnt_dscnt 0xd07
	v_dual_mul_f32 v13, v207, v119 :: v_dual_fma_f32 v63, v194, v106, -v67
	s_delay_alu instid0(VALU_DEP_3) | instskip(NEXT) | instid1(VALU_DEP_3)
	v_dual_fmac_f32 v17, v195, v106 :: v_dual_add_f32 v9, v9, v15
	v_dual_add_f32 v11, v11, v61 :: v_dual_fmac_f32 v19, v197, v108
	v_dual_mul_f32 v15, v209, v121 :: v_dual_fma_f32 v61, v196, v108, -v69
	s_delay_alu instid0(VALU_DEP_2) | instskip(SKIP_3) | instid1(VALU_DEP_3)
	v_dual_add_f32 v9, v9, v17 :: v_dual_add_f32 v11, v11, v63
	v_dual_mul_f32 v23, v200, v113 :: v_dual_mul_f32 v25, v202, v115
	s_wait_loadcnt_dscnt 0xc06
	v_dual_mul_f32 v17, v211, v123 :: v_dual_fma_f32 v63, v198, v110, -v71
	v_dual_fmac_f32 v21, v199, v110 :: v_dual_add_f32 v9, v9, v19
	s_delay_alu instid0(VALU_DEP_3) | instskip(SKIP_1) | instid1(VALU_DEP_2)
	v_dual_add_f32 v11, v11, v61 :: v_dual_fmac_f32 v23, v201, v112
	v_dual_mul_f32 v19, v213, v125 :: v_dual_fma_f32 v61, v200, v112, -v73
	v_dual_add_f32 v9, v9, v21 :: v_dual_add_f32 v11, v11, v63
	v_dual_mul_f32 v27, v204, v117 :: v_dual_mul_f32 v29, v206, v119
	s_wait_loadcnt_dscnt 0xb05
	v_dual_mul_f32 v21, v215, v127 :: v_dual_fma_f32 v63, v202, v114, -v75
	s_delay_alu instid0(VALU_DEP_3) | instskip(NEXT) | instid1(VALU_DEP_3)
	v_dual_fmac_f32 v25, v203, v114 :: v_dual_add_f32 v9, v9, v23
	v_dual_add_f32 v11, v11, v61 :: v_dual_fmac_f32 v27, v205, v116
	v_dual_mul_f32 v23, v217, v129 :: v_dual_fma_f32 v59, v204, v116, -v59
	s_delay_alu instid0(VALU_DEP_2) | instskip(SKIP_3) | instid1(VALU_DEP_3)
	v_dual_add_f32 v9, v9, v25 :: v_dual_add_f32 v11, v11, v63
	v_dual_mul_f32 v31, v208, v121 :: v_dual_mul_f32 v33, v210, v123
	s_wait_loadcnt_dscnt 0xa04
	v_dual_mul_f32 v25, v219, v131 :: v_dual_fma_f32 v13, v206, v118, -v13
	v_dual_fmac_f32 v29, v207, v118 :: v_dual_add_f32 v9, v9, v27
	v_dual_add_f32 v11, v11, v59 :: v_dual_mul_f32 v27, v221, v133
	v_fmac_f32_e32 v31, v209, v120
	s_delay_alu instid0(VALU_DEP_3) | instskip(NEXT) | instid1(VALU_DEP_3)
	v_dual_fma_f32 v15, v208, v120, -v15 :: v_dual_add_f32 v9, v9, v29
	v_add_f32_e32 v11, v11, v13
	v_dual_mul_f32 v35, v212, v125 :: v_dual_mul_f32 v37, v214, v127
	s_wait_loadcnt_dscnt 0x903
	v_dual_mul_f32 v13, v223, v135 :: v_dual_fma_f32 v17, v210, v122, -v17
	v_dual_fmac_f32 v33, v211, v122 :: v_dual_add_f32 v9, v9, v31
	v_dual_add_f32 v11, v11, v15 :: v_dual_mul_f32 v15, v225, v137
	v_fmac_f32_e32 v35, v213, v124
	s_delay_alu instid0(VALU_DEP_3) | instskip(NEXT) | instid1(VALU_DEP_3)
	v_dual_fma_f32 v19, v212, v124, -v19 :: v_dual_add_f32 v9, v9, v33
	v_add_f32_e32 v11, v11, v17
	;; [unrolled: 9-line block ×4, first 2 shown]
	v_dual_mul_f32 v47, v224, v137 :: v_dual_mul_f32 v49, v226, v139
	s_wait_loadcnt 0x6
	v_dual_mul_f32 v25, v179, v147 :: v_dual_fma_f32 v13, v222, v134, -v13
	v_dual_fmac_f32 v45, v223, v134 :: v_dual_add_f32 v9, v9, v43
	v_dual_add_f32 v11, v11, v27 :: v_dual_mul_f32 v27, v181, v149
	v_fmac_f32_e32 v47, v225, v136
	s_delay_alu instid0(VALU_DEP_3) | instskip(NEXT) | instid1(VALU_DEP_3)
	v_dual_fma_f32 v15, v224, v136, -v15 :: v_dual_add_f32 v9, v9, v45
	v_add_f32_e32 v11, v11, v13
	v_dual_mul_f32 v51, v228, v141 :: v_dual_mul_f32 v53, v230, v143
	s_wait_loadcnt 0x5
	v_dual_mul_f32 v13, v167, v151 :: v_dual_fma_f32 v17, v226, v138, -v17
	v_dual_fmac_f32 v49, v227, v138 :: v_dual_add_f32 v9, v9, v47
	v_dual_add_f32 v11, v11, v15 :: v_dual_mov_b32 v98, v153
	v_fmac_f32_e32 v51, v229, v140
	s_delay_alu instid0(VALU_DEP_3) | instskip(NEXT) | instid1(VALU_DEP_3)
	v_dual_fma_f32 v15, v228, v140, -v19 :: v_dual_add_f32 v9, v9, v49
	v_add_f32_e32 v11, v11, v17
	v_dual_mul_f32 v55, v232, v145 :: v_dual_mul_f32 v57, v178, v147
	s_delay_alu instid0(VALU_DEP_3) | instskip(NEXT) | instid1(VALU_DEP_3)
	v_dual_fmac_f32 v53, v231, v142 :: v_dual_add_f32 v9, v9, v51
	v_dual_fma_f32 v17, v230, v142, -v21 :: v_dual_add_f32 v11, v11, v15
	s_wait_loadcnt 0x4
	v_dual_mov_b32 v102, v157 :: v_dual_fma_f32 v15, v232, v144, -v23
	v_fmac_f32_e32 v55, v233, v144
	v_dual_add_f32 v9, v9, v53 :: v_dual_fmac_f32 v57, v179, v146
	v_add_f32_e32 v11, v11, v17
	v_dual_mul_f32 v249, v180, v149 :: v_dual_mul_f32 v251, v166, v151
	s_delay_alu instid0(VALU_DEP_3) | instskip(NEXT) | instid1(VALU_DEP_2)
	v_dual_fma_f32 v17, v178, v146, -v25 :: v_dual_add_f32 v9, v9, v55
	v_dual_add_f32 v11, v11, v15 :: v_dual_fmac_f32 v249, v181, v148
	v_fma_f32 v248, v180, v148, -v27
	v_pk_mul_f32 v[98:99], v[240:241], v[98:99] op_sel_hi:[1,0]
	s_delay_alu instid0(VALU_DEP_4)
	v_add_f32_e32 v107, v9, v57
	s_wait_loadcnt 0x3
	v_dual_add_f32 v106, v11, v17 :: v_dual_mov_b32 v108, v161
	v_pk_mul_f32 v[100:101], v[170:171], v[154:155] op_sel:[1,1] op_sel_hi:[0,1]
	v_dual_fmac_f32 v251, v167, v150 :: v_dual_fma_f32 v250, v166, v150, -v13
	v_pk_fma_f32 v[110:111], v[168:169], v[152:153], v[98:99] op_sel_hi:[1,0,1]
	s_delay_alu instid0(VALU_DEP_4)
	v_pk_add_f32 v[106:107], v[106:107], v[248:249]
	v_pk_fma_f32 v[98:99], v[168:169], v[152:153], v[98:99] neg_lo:[0,0,1] neg_hi:[0,0,1]
	v_pk_fma_f32 v[112:113], v[170:171], v[154:155], v[100:101] op_sel_hi:[1,0,1]
	v_pk_mul_f32 v[102:103], v[242:243], v[102:103] op_sel_hi:[1,0]
	v_mov_b32_e32 v99, v111
	v_pk_add_f32 v[106:107], v[106:107], v[250:251]
	v_pk_fma_f32 v[100:101], v[170:171], v[154:155], v[100:101] neg_lo:[0,0,1] neg_hi:[0,0,1]
	v_pk_mul_f32 v[104:105], v[174:175], v[158:159] op_sel:[1,1] op_sel_hi:[0,1]
	v_mov_b32_e32 v101, v113
	v_pk_fma_f32 v[112:113], v[172:173], v[156:157], v[102:103] op_sel_hi:[1,0,1]
	v_pk_add_f32 v[98:99], v[106:107], v[98:99]
	v_pk_fma_f32 v[102:103], v[172:173], v[156:157], v[102:103] neg_lo:[0,0,1] neg_hi:[0,0,1]
	v_pk_fma_f32 v[106:107], v[174:175], v[158:159], v[104:105] op_sel_hi:[1,0,1]
	v_pk_mul_f32 v[108:109], v[244:245], v[108:109] op_sel_hi:[1,0]
	v_mov_b32_e32 v103, v113
	v_pk_add_f32 v[98:99], v[98:99], v[100:101]
	v_pk_fma_f32 v[104:105], v[174:175], v[158:159], v[104:105] neg_lo:[0,0,1] neg_hi:[0,0,1]
	s_wait_loadcnt 0x2
	v_pk_mul_f32 v[110:111], v[182:183], v[162:163] op_sel:[1,1] op_sel_hi:[0,1]
	v_dual_mov_b32 v100, v165 :: v_dual_mov_b32 v105, v107
	v_pk_fma_f32 v[106:107], v[176:177], v[160:161], v[108:109] op_sel_hi:[1,0,1]
	v_pk_add_f32 v[98:99], v[98:99], v[102:103]
	v_pk_fma_f32 v[108:109], v[176:177], v[160:161], v[108:109] neg_lo:[0,0,1] neg_hi:[0,0,1]
	v_pk_fma_f32 v[102:103], v[182:183], v[162:163], v[110:111] op_sel_hi:[1,0,1]
	v_pk_mul_f32 v[100:101], v[246:247], v[100:101] op_sel_hi:[1,0]
	v_mov_b32_e32 v109, v107
	v_pk_add_f32 v[98:99], v[98:99], v[104:105]
	v_pk_fma_f32 v[104:105], v[182:183], v[162:163], v[110:111] neg_lo:[0,0,1] neg_hi:[0,0,1]
	v_mov_b32_e32 v105, v103
	v_pk_fma_f32 v[102:103], v[184:185], v[164:165], v[100:101] op_sel_hi:[1,0,1]
	s_wait_loadcnt_dscnt 0x100
	v_pk_mul_f32 v[106:107], v[238:239], v[234:235] op_sel:[1,1] op_sel_hi:[0,1]
	v_pk_add_f32 v[98:99], v[98:99], v[108:109]
	v_pk_fma_f32 v[100:101], v[184:185], v[164:165], v[100:101] neg_lo:[0,0,1] neg_hi:[0,0,1]
	v_mov_b32_e32 v101, v103
	s_delay_alu instid0(VALU_DEP_4) | instskip(NEXT) | instid1(VALU_DEP_4)
	v_pk_fma_f32 v[102:103], v[238:239], v[234:235], v[106:107] op_sel_hi:[1,0,1]
	v_pk_add_f32 v[98:99], v[98:99], v[104:105]
	v_pk_fma_f32 v[104:105], v[238:239], v[234:235], v[106:107] neg_lo:[0,0,1] neg_hi:[0,0,1]
	s_delay_alu instid0(VALU_DEP_3) | instskip(NEXT) | instid1(VALU_DEP_3)
	v_mov_b32_e32 v105, v103
	v_pk_add_f32 v[98:99], v[98:99], v[100:101]
	s_delay_alu instid0(VALU_DEP_1) | instskip(SKIP_1) | instid1(VALU_DEP_1)
	v_pk_add_f32 v[98:99], v[98:99], v[104:105]
	s_wait_loadcnt 0x0
	v_pk_add_f32 v[98:99], v[236:237], v[98:99] neg_lo:[0,1] neg_hi:[0,1]
	scratch_store_b64 off, v[98:99], off offset:96
	s_wait_xcnt 0x0
	v_cmpx_lt_u32_e32 11, v0
	s_cbranch_execz .LBB47_279
; %bb.278:
	scratch_load_b64 v[98:99], off, off offset:88
	v_mov_b64_e32 v[100:101], 0
	scratch_store_b64 off, v[100:101], off offset:88
	s_wait_loadcnt 0x0
	ds_store_b64 v1, v[98:99]
.LBB47_279:
	s_wait_xcnt 0x0
	s_or_b32 exec_lo, exec_lo, s0
	s_wait_storecnt_dscnt 0x0
	s_barrier_signal -1
	s_barrier_wait -1
	s_clause 0x12
	scratch_load_b128 v[98:101], off, off offset:96
	scratch_load_b128 v[102:105], off, off offset:112
	;; [unrolled: 1-line block ×18, first 2 shown]
	scratch_load_b64 v[242:243], off, off offset:88
	ds_load_b128 v[170:173], v5 offset:704
	ds_load_b128 v[174:177], v5 offset:720
	;; [unrolled: 1-line block ×18, first 2 shown]
	s_mov_b32 s0, exec_lo
	s_wait_dscnt 0x11
	v_dual_mov_b32 v244, v173 :: v_dual_mov_b32 v245, v172
	s_wait_dscnt 0x10
	v_dual_mov_b32 v246, v177 :: v_dual_mov_b32 v247, v176
	;; [unrolled: 2-line block ×4, first 2 shown]
	s_wait_loadcnt_dscnt 0x120d
	v_dual_mul_f32 v5, v186, v99 :: v_dual_mul_f32 v9, v188, v101
	v_dual_mul_f32 v59, v187, v99 :: v_dual_mul_f32 v61, v189, v101
	s_wait_loadcnt_dscnt 0x110c
	v_dual_mul_f32 v11, v190, v103 :: v_dual_mul_f32 v13, v192, v105
	s_delay_alu instid0(VALU_DEP_2) | instskip(SKIP_3) | instid1(VALU_DEP_3)
	v_dual_fmac_f32 v5, v187, v98 :: v_dual_fma_f32 v59, v186, v98, -v59
	v_dual_mul_f32 v63, v191, v103 :: v_dual_mul_f32 v65, v193, v105
	s_wait_loadcnt_dscnt 0xf0a
	v_dual_mul_f32 v71, v199, v111 :: v_dual_fmac_f32 v9, v189, v100
	v_dual_fma_f32 v61, v188, v100, -v61 :: v_dual_add_f32 v5, 0, v5
	v_dual_add_f32 v59, 0, v59 :: v_dual_mul_f32 v73, v201, v113
	v_fmac_f32_e32 v11, v191, v102
	s_delay_alu instid0(VALU_DEP_3) | instskip(NEXT) | instid1(VALU_DEP_3)
	v_dual_fma_f32 v63, v190, v102, -v63 :: v_dual_add_f32 v5, v5, v9
	v_dual_add_f32 v9, v59, v61 :: v_dual_mul_f32 v15, v194, v107
	v_dual_mul_f32 v17, v196, v109 :: v_dual_mul_f32 v67, v195, v107
	v_dual_mul_f32 v69, v197, v109 :: v_dual_fma_f32 v61, v192, v104, -v65
	s_delay_alu instid0(VALU_DEP_4) | instskip(NEXT) | instid1(VALU_DEP_4)
	v_add_f32_e32 v5, v5, v11
	v_dual_add_f32 v9, v9, v63 :: v_dual_fmac_f32 v15, v195, v106
	s_wait_loadcnt_dscnt 0xe09
	v_dual_mul_f32 v59, v203, v115 :: v_dual_fmac_f32 v13, v193, v104
	v_dual_mul_f32 v11, v205, v117 :: v_dual_fma_f32 v63, v194, v106, -v67
	s_delay_alu instid0(VALU_DEP_3) | instskip(SKIP_1) | instid1(VALU_DEP_3)
	v_dual_add_f32 v9, v9, v61 :: v_dual_fma_f32 v61, v196, v108, -v69
	s_wait_loadcnt_dscnt 0xd08
	v_dual_add_f32 v5, v5, v13 :: v_dual_mul_f32 v13, v207, v119
	v_dual_mul_f32 v19, v198, v111 :: v_dual_mul_f32 v21, v200, v113
	s_delay_alu instid0(VALU_DEP_3) | instskip(SKIP_1) | instid1(VALU_DEP_4)
	v_add_f32_e32 v9, v9, v63
	v_fmac_f32_e32 v17, v197, v108
	v_dual_add_f32 v5, v5, v15 :: v_dual_fma_f32 v63, v198, v110, -v71
	v_dual_mul_f32 v23, v202, v115 :: v_dual_mul_f32 v25, v204, v117
	s_delay_alu instid0(VALU_DEP_4) | instskip(NEXT) | instid1(VALU_DEP_3)
	v_dual_add_f32 v9, v9, v61 :: v_dual_fma_f32 v59, v202, v114, -v59
	v_dual_fmac_f32 v19, v199, v110 :: v_dual_add_f32 v5, v5, v17
	s_delay_alu instid0(VALU_DEP_3) | instskip(NEXT) | instid1(VALU_DEP_3)
	v_dual_fmac_f32 v23, v203, v114 :: v_dual_fma_f32 v61, v200, v112, -v73
	v_dual_add_f32 v9, v9, v63 :: v_dual_fma_f32 v13, v206, v118, -v13
	v_dual_mul_f32 v27, v206, v119 :: v_dual_mul_f32 v29, v208, v121
	s_wait_loadcnt_dscnt 0xc07
	v_dual_mul_f32 v15, v209, v121 :: v_dual_mul_f32 v17, v211, v123
	s_delay_alu instid0(VALU_DEP_2) | instskip(SKIP_1) | instid1(VALU_DEP_3)
	v_dual_fmac_f32 v21, v201, v112 :: v_dual_fmac_f32 v27, v207, v118
	v_dual_add_f32 v5, v5, v19 :: v_dual_fma_f32 v11, v204, v116, -v11
	v_dual_add_f32 v9, v9, v61 :: v_dual_fma_f32 v15, v208, v120, -v15
	v_mul_f32_e32 v19, v213, v125
	s_wait_loadcnt_dscnt 0xb06
	s_delay_alu instid0(VALU_DEP_3) | instskip(NEXT) | instid1(VALU_DEP_3)
	v_dual_add_f32 v5, v5, v21 :: v_dual_mul_f32 v21, v215, v127
	v_add_f32_e32 v9, v9, v59
	s_wait_loadcnt_dscnt 0xa05
	v_dual_mul_f32 v39, v218, v131 :: v_dual_mul_f32 v41, v220, v133
	s_delay_alu instid0(VALU_DEP_3) | instskip(NEXT) | instid1(VALU_DEP_3)
	v_dual_fma_f32 v19, v212, v124, -v19 :: v_dual_fma_f32 v21, v214, v126, -v21
	v_add_f32_e32 v9, v9, v11
	v_mul_f32_e32 v11, v219, v131
	v_dual_add_f32 v5, v5, v23 :: v_dual_fma_f32 v17, v210, v122, -v17
	s_delay_alu instid0(VALU_DEP_3) | instskip(NEXT) | instid1(VALU_DEP_3)
	v_dual_fmac_f32 v39, v219, v130 :: v_dual_add_f32 v9, v9, v13
	v_dual_mul_f32 v13, v221, v133 :: v_dual_fma_f32 v11, v218, v130, -v11
	v_dual_mul_f32 v31, v210, v123 :: v_dual_mul_f32 v33, v212, v125
	s_delay_alu instid0(VALU_DEP_2) | instskip(NEXT) | instid1(VALU_DEP_2)
	v_dual_add_f32 v9, v9, v15 :: v_dual_fma_f32 v13, v220, v132, -v13
	v_dual_fmac_f32 v25, v205, v116 :: v_dual_fmac_f32 v31, v211, v122
	v_dual_mul_f32 v35, v214, v127 :: v_dual_mul_f32 v37, v216, v129
	s_wait_loadcnt_dscnt 0x803
	s_delay_alu instid0(VALU_DEP_3) | instskip(SKIP_3) | instid1(VALU_DEP_4)
	v_dual_add_f32 v9, v9, v17 :: v_dual_mul_f32 v47, v226, v139
	v_mul_f32_e32 v49, v228, v141
	v_dual_mul_f32 v23, v217, v129 :: v_dual_mul_f32 v15, v223, v135
	v_dual_add_f32 v5, v5, v25 :: v_dual_fmac_f32 v35, v215, v126
	v_dual_add_f32 v9, v9, v19 :: v_dual_fmac_f32 v47, v227, v138
	v_dual_fmac_f32 v29, v209, v120 :: v_dual_mul_f32 v19, v227, v139
	s_delay_alu instid0(VALU_DEP_3) | instskip(NEXT) | instid1(VALU_DEP_3)
	v_dual_add_f32 v5, v5, v27 :: v_dual_fma_f32 v23, v216, v128, -v23
	v_dual_add_f32 v9, v9, v21 :: v_dual_mul_f32 v43, v222, v135
	v_mul_f32_e32 v45, v224, v137
	s_wait_loadcnt_dscnt 0x500
	s_delay_alu instid0(VALU_DEP_3) | instskip(NEXT) | instid1(VALU_DEP_3)
	v_dual_add_f32 v5, v5, v29 :: v_dual_mul_f32 v253, v238, v151
	v_dual_mul_f32 v255, v240, v153 :: v_dual_add_f32 v9, v9, v23
	v_dual_mul_f32 v23, v231, v143 :: v_dual_fmac_f32 v33, v213, v124
	s_delay_alu instid0(VALU_DEP_3) | instskip(SKIP_1) | instid1(VALU_DEP_3)
	v_dual_fmac_f32 v43, v223, v134 :: v_dual_add_f32 v5, v5, v31
	v_fma_f32 v15, v222, v134, -v15
	v_dual_fma_f32 v23, v230, v142, -v23 :: v_dual_add_f32 v9, v9, v11
	v_dual_mul_f32 v17, v225, v137 :: v_dual_fmac_f32 v45, v225, v136
	s_delay_alu instid0(VALU_DEP_4) | instskip(NEXT) | instid1(VALU_DEP_2)
	v_dual_add_f32 v5, v5, v33 :: v_dual_fmac_f32 v253, v239, v150
	v_dual_add_f32 v9, v9, v13 :: v_dual_fma_f32 v17, v224, v136, -v17
	v_dual_fmac_f32 v37, v217, v128 :: v_dual_fma_f32 v19, v226, v138, -v19
	v_dual_mul_f32 v21, v229, v141 :: v_dual_fmac_f32 v49, v229, v140
	s_delay_alu instid0(VALU_DEP_3) | instskip(SKIP_2) | instid1(VALU_DEP_3)
	v_add_f32_e32 v9, v9, v15
	v_add_f32_e32 v5, v5, v35
	v_dual_mul_f32 v51, v230, v143 :: v_dual_mul_f32 v53, v232, v145
	v_dual_fma_f32 v21, v228, v140, -v21 :: v_dual_add_f32 v9, v9, v17
	s_delay_alu instid0(VALU_DEP_2) | instskip(SKIP_1) | instid1(VALU_DEP_3)
	v_dual_add_f32 v5, v5, v37 :: v_dual_fmac_f32 v51, v231, v142
	v_dual_mul_f32 v55, v234, v147 :: v_dual_mul_f32 v57, v236, v149
	v_add_f32_e32 v9, v9, v19
	v_fmac_f32_e32 v41, v221, v132
	v_dual_mul_f32 v11, v233, v145 :: v_dual_fmac_f32 v53, v233, v144
	v_add_f32_e32 v5, v5, v39
	s_delay_alu instid0(VALU_DEP_4) | instskip(SKIP_1) | instid1(VALU_DEP_4)
	v_add_f32_e32 v9, v9, v21
	v_dual_mul_f32 v15, v237, v149 :: v_dual_fmac_f32 v57, v237, v148
	v_fma_f32 v11, v232, v144, -v11
	s_delay_alu instid0(VALU_DEP_4) | instskip(NEXT) | instid1(VALU_DEP_4)
	v_dual_fmac_f32 v55, v235, v146 :: v_dual_add_f32 v5, v5, v41
	v_add_f32_e32 v9, v9, v23
	v_mul_f32_e32 v17, v239, v151
	v_dual_mul_f32 v13, v235, v147 :: v_dual_mul_f32 v19, v241, v153
	v_fmac_f32_e32 v255, v241, v152
	s_delay_alu instid0(VALU_DEP_4) | instskip(NEXT) | instid1(VALU_DEP_4)
	v_dual_add_f32 v9, v9, v11 :: v_dual_fma_f32 v11, v236, v148, -v15
	v_dual_add_f32 v5, v5, v43 :: v_dual_fma_f32 v252, v238, v150, -v17
	s_delay_alu instid0(VALU_DEP_4)
	v_fma_f32 v13, v234, v146, -v13
	s_wait_loadcnt 0x4
	v_pk_mul_f32 v[98:99], v[170:171], v[154:155] op_sel:[1,1] op_sel_hi:[0,1]
	s_wait_loadcnt 0x3
	v_dual_mov_b32 v100, v157 :: v_dual_mov_b32 v104, v161
	v_add_f32_e32 v5, v5, v45
	v_dual_add_f32 v9, v9, v13 :: v_dual_fma_f32 v254, v240, v152, -v19
	v_pk_fma_f32 v[108:109], v[170:171], v[154:155], v[98:99] op_sel_hi:[1,0,1]
	s_delay_alu instid0(VALU_DEP_4) | instskip(NEXT) | instid1(VALU_DEP_4)
	v_pk_mul_f32 v[100:101], v[244:245], v[100:101] op_sel_hi:[1,0]
	v_add_f32_e32 v5, v5, v47
	s_delay_alu instid0(VALU_DEP_4)
	v_add_f32_e32 v106, v9, v11
	v_pk_fma_f32 v[98:99], v[170:171], v[154:155], v[98:99] neg_lo:[0,0,1] neg_hi:[0,0,1]
	v_pk_mul_f32 v[102:103], v[174:175], v[158:159] op_sel:[1,1] op_sel_hi:[0,1]
	v_mov_b32_e32 v99, v109
	v_add_f32_e32 v5, v5, v49
	v_pk_fma_f32 v[108:109], v[172:173], v[156:157], v[100:101] op_sel_hi:[1,0,1]
	v_pk_fma_f32 v[100:101], v[172:173], v[156:157], v[100:101] neg_lo:[0,0,1] neg_hi:[0,0,1]
	v_pk_fma_f32 v[112:113], v[174:175], v[158:159], v[102:103] op_sel_hi:[1,0,1]
	v_pk_mul_f32 v[104:105], v[246:247], v[104:105] op_sel_hi:[1,0]
	v_add_f32_e32 v5, v5, v51
	v_mov_b32_e32 v101, v109
	s_wait_loadcnt 0x2
	v_pk_mul_f32 v[110:111], v[178:179], v[162:163] op_sel:[1,1] op_sel_hi:[0,1]
	v_pk_fma_f32 v[102:103], v[174:175], v[158:159], v[102:103] neg_lo:[0,0,1] neg_hi:[0,0,1]
	v_mov_b32_e32 v103, v113
	v_add_f32_e32 v5, v5, v53
	v_pk_fma_f32 v[108:109], v[176:177], v[160:161], v[104:105] op_sel_hi:[1,0,1]
	v_pk_fma_f32 v[104:105], v[176:177], v[160:161], v[104:105] neg_lo:[0,0,1] neg_hi:[0,0,1]
	s_delay_alu instid0(VALU_DEP_3) | instskip(NEXT) | instid1(VALU_DEP_1)
	v_add_f32_e32 v5, v5, v55
	v_add_f32_e32 v107, v5, v57
	s_delay_alu instid0(VALU_DEP_1) | instskip(NEXT) | instid1(VALU_DEP_1)
	v_pk_add_f32 v[106:107], v[106:107], v[252:253]
	v_pk_add_f32 v[106:107], v[106:107], v[254:255]
	s_delay_alu instid0(VALU_DEP_1) | instskip(SKIP_1) | instid1(VALU_DEP_2)
	v_pk_add_f32 v[98:99], v[106:107], v[98:99]
	v_mov_b32_e32 v106, v165
	v_pk_add_f32 v[98:99], v[98:99], v[100:101]
	v_pk_fma_f32 v[100:101], v[178:179], v[162:163], v[110:111] op_sel_hi:[1,0,1]
	s_delay_alu instid0(VALU_DEP_3)
	v_pk_mul_f32 v[106:107], v[248:249], v[106:107] op_sel_hi:[1,0]
	v_mov_b32_e32 v105, v109
	v_pk_fma_f32 v[108:109], v[178:179], v[162:163], v[110:111] neg_lo:[0,0,1] neg_hi:[0,0,1]
	v_pk_add_f32 v[98:99], v[98:99], v[102:103]
	v_mov_b32_e32 v109, v101
	v_pk_fma_f32 v[100:101], v[180:181], v[164:165], v[106:107] op_sel_hi:[1,0,1]
	s_wait_loadcnt 0x1
	v_pk_mul_f32 v[102:103], v[182:183], v[166:167] op_sel:[1,1] op_sel_hi:[0,1]
	v_mov_b32_e32 v100, v169
	v_pk_add_f32 v[98:99], v[98:99], v[104:105]
	v_pk_fma_f32 v[106:107], v[180:181], v[164:165], v[106:107] neg_lo:[0,0,1] neg_hi:[0,0,1]
	v_mov_b32_e32 v107, v101
	v_pk_fma_f32 v[104:105], v[182:183], v[166:167], v[102:103] op_sel_hi:[1,0,1]
	v_pk_mul_f32 v[100:101], v[250:251], v[100:101] op_sel_hi:[1,0]
	v_pk_add_f32 v[98:99], v[98:99], v[108:109]
	v_pk_fma_f32 v[102:103], v[182:183], v[166:167], v[102:103] neg_lo:[0,0,1] neg_hi:[0,0,1]
	s_delay_alu instid0(VALU_DEP_4) | instskip(NEXT) | instid1(VALU_DEP_4)
	v_mov_b32_e32 v103, v105
	v_pk_fma_f32 v[104:105], v[184:185], v[168:169], v[100:101] op_sel_hi:[1,0,1]
	s_delay_alu instid0(VALU_DEP_4) | instskip(SKIP_1) | instid1(VALU_DEP_3)
	v_pk_add_f32 v[98:99], v[98:99], v[106:107]
	v_pk_fma_f32 v[100:101], v[184:185], v[168:169], v[100:101] neg_lo:[0,0,1] neg_hi:[0,0,1]
	v_mov_b32_e32 v101, v105
	s_delay_alu instid0(VALU_DEP_3) | instskip(NEXT) | instid1(VALU_DEP_1)
	v_pk_add_f32 v[98:99], v[98:99], v[102:103]
	v_pk_add_f32 v[98:99], v[98:99], v[100:101]
	s_wait_loadcnt 0x0
	s_delay_alu instid0(VALU_DEP_1)
	v_pk_add_f32 v[98:99], v[242:243], v[98:99] neg_lo:[0,1] neg_hi:[0,1]
	scratch_store_b64 off, v[98:99], off offset:88
	s_wait_xcnt 0x0
	v_cmpx_lt_u32_e32 10, v0
	s_cbranch_execz .LBB47_281
; %bb.280:
	scratch_load_b64 v[98:99], off, off offset:80
	v_mov_b64_e32 v[100:101], 0
	scratch_store_b64 off, v[100:101], off offset:80
	s_wait_loadcnt 0x0
	ds_store_b64 v1, v[98:99]
.LBB47_281:
	s_wait_xcnt 0x0
	s_or_b32 exec_lo, exec_lo, s0
	s_wait_storecnt_dscnt 0x0
	s_barrier_signal -1
	s_barrier_wait -1
	s_clause 0x13
	scratch_load_b128 v[98:101], off, off offset:88
	scratch_load_b128 v[102:105], off, off offset:104
	;; [unrolled: 1-line block ×18, first 2 shown]
	scratch_load_b64 v[242:243], off, off offset:376
	scratch_load_b64 v[244:245], off, off offset:80
	v_mov_b32_e32 v5, 0
	ds_load_2addr_b64 v[170:173], v5 offset0:87 offset1:88
	ds_load_2addr_b64 v[174:177], v5 offset0:89 offset1:90
	;; [unrolled: 1-line block ×18, first 2 shown]
	ds_load_b64 v[246:247], v5 offset:760
	s_mov_b32 s0, exec_lo
	s_wait_dscnt 0x12
	v_dual_mov_b32 v248, v173 :: v_dual_mov_b32 v249, v172
	s_wait_dscnt 0x11
	v_dual_mov_b32 v250, v177 :: v_dual_mov_b32 v251, v176
	;; [unrolled: 2-line block ×3, first 2 shown]
	v_dual_mov_b32 v253, v180 :: v_dual_mov_b32 v254, v193
	s_wait_loadcnt 0x13
	v_dual_mul_f32 v9, v182, v99 :: v_dual_mul_f32 v63, v183, v99
	v_dual_mul_f32 v65, v185, v101 :: v_dual_mul_f32 v11, v184, v101
	s_wait_loadcnt 0x12
	v_mul_f32_e32 v13, v186, v103
	s_wait_loadcnt_dscnt 0x100b
	v_dual_mul_f32 v75, v199, v111 :: v_dual_fma_f32 v63, v182, v98, -v63
	v_dual_fmac_f32 v9, v183, v98 :: v_dual_mul_f32 v77, v201, v113
	v_dual_mul_f32 v67, v187, v103 :: v_dual_mul_f32 v69, v189, v105
	v_dual_fmac_f32 v11, v185, v100 :: v_dual_fma_f32 v65, v184, v100, -v65
	s_delay_alu instid0(VALU_DEP_3) | instskip(SKIP_3) | instid1(VALU_DEP_3)
	v_dual_add_f32 v9, 0, v9 :: v_dual_add_f32 v63, 0, v63
	v_dual_mul_f32 v15, v188, v105 :: v_dual_mul_f32 v17, v194, v107
	s_wait_loadcnt_dscnt 0xf0a
	v_dual_mul_f32 v79, v203, v115 :: v_dual_fma_f32 v67, v186, v102, -v67
	v_dual_fmac_f32 v13, v187, v102 :: v_dual_add_f32 v9, v9, v11
	s_delay_alu instid0(VALU_DEP_3) | instskip(SKIP_2) | instid1(VALU_DEP_3)
	v_dual_add_f32 v11, v63, v65 :: v_dual_fmac_f32 v15, v189, v104
	v_dual_mul_f32 v71, v195, v107 :: v_dual_mul_f32 v73, v197, v109
	v_dual_mul_f32 v63, v205, v117 :: v_dual_fma_f32 v65, v188, v104, -v69
	v_dual_add_f32 v9, v9, v13 :: v_dual_add_f32 v11, v11, v67
	v_dual_mul_f32 v19, v196, v109 :: v_dual_mul_f32 v21, v198, v111
	s_wait_loadcnt_dscnt 0xe09
	v_dual_mul_f32 v13, v207, v119 :: v_dual_fma_f32 v67, v194, v106, -v71
	s_delay_alu instid0(VALU_DEP_3) | instskip(NEXT) | instid1(VALU_DEP_3)
	v_dual_fmac_f32 v17, v195, v106 :: v_dual_add_f32 v9, v9, v15
	v_dual_add_f32 v11, v11, v65 :: v_dual_fmac_f32 v19, v197, v108
	v_dual_mul_f32 v15, v209, v121 :: v_dual_fma_f32 v65, v196, v108, -v73
	s_delay_alu instid0(VALU_DEP_2) | instskip(SKIP_3) | instid1(VALU_DEP_3)
	v_dual_add_f32 v9, v9, v17 :: v_dual_add_f32 v11, v11, v67
	v_dual_mul_f32 v23, v200, v113 :: v_dual_mul_f32 v25, v202, v115
	s_wait_loadcnt_dscnt 0xd08
	v_dual_mul_f32 v17, v211, v123 :: v_dual_fma_f32 v67, v198, v110, -v75
	v_dual_fmac_f32 v21, v199, v110 :: v_dual_add_f32 v9, v9, v19
	s_delay_alu instid0(VALU_DEP_3) | instskip(SKIP_1) | instid1(VALU_DEP_2)
	v_dual_add_f32 v11, v11, v65 :: v_dual_fmac_f32 v23, v201, v112
	v_dual_mul_f32 v19, v213, v125 :: v_dual_fma_f32 v65, v200, v112, -v77
	v_dual_add_f32 v9, v9, v21 :: v_dual_add_f32 v11, v11, v67
	v_dual_mul_f32 v27, v204, v117 :: v_dual_mul_f32 v29, v206, v119
	s_wait_loadcnt_dscnt 0xc07
	v_dual_mul_f32 v21, v215, v127 :: v_dual_fma_f32 v67, v202, v114, -v79
	s_delay_alu instid0(VALU_DEP_3) | instskip(NEXT) | instid1(VALU_DEP_3)
	v_dual_fmac_f32 v25, v203, v114 :: v_dual_add_f32 v9, v9, v23
	v_dual_add_f32 v11, v11, v65 :: v_dual_fmac_f32 v27, v205, v116
	v_dual_mul_f32 v23, v217, v129 :: v_dual_fma_f32 v63, v204, v116, -v63
	s_delay_alu instid0(VALU_DEP_2) | instskip(SKIP_3) | instid1(VALU_DEP_3)
	v_dual_add_f32 v9, v9, v25 :: v_dual_add_f32 v11, v11, v67
	v_dual_mul_f32 v31, v208, v121 :: v_dual_mul_f32 v33, v210, v123
	s_wait_loadcnt_dscnt 0xb06
	v_dual_mul_f32 v25, v219, v131 :: v_dual_fma_f32 v13, v206, v118, -v13
	v_dual_fmac_f32 v29, v207, v118 :: v_dual_add_f32 v9, v9, v27
	v_dual_add_f32 v11, v11, v63 :: v_dual_mul_f32 v27, v221, v133
	v_fmac_f32_e32 v31, v209, v120
	s_delay_alu instid0(VALU_DEP_3) | instskip(NEXT) | instid1(VALU_DEP_3)
	v_dual_fma_f32 v15, v208, v120, -v15 :: v_dual_add_f32 v9, v9, v29
	v_add_f32_e32 v11, v11, v13
	v_dual_mul_f32 v35, v212, v125 :: v_dual_mul_f32 v37, v214, v127
	s_wait_loadcnt_dscnt 0xa05
	v_dual_mul_f32 v13, v223, v135 :: v_dual_fma_f32 v17, v210, v122, -v17
	v_dual_fmac_f32 v33, v211, v122 :: v_dual_add_f32 v9, v9, v31
	v_dual_add_f32 v11, v11, v15 :: v_dual_mul_f32 v15, v225, v137
	v_fmac_f32_e32 v35, v213, v124
	s_delay_alu instid0(VALU_DEP_3) | instskip(NEXT) | instid1(VALU_DEP_3)
	v_dual_fma_f32 v19, v212, v124, -v19 :: v_dual_add_f32 v9, v9, v33
	v_add_f32_e32 v11, v11, v17
	;; [unrolled: 9-line block ×6, first 2 shown]
	v_dual_mul_f32 v55, v232, v145 :: v_dual_mul_f32 v57, v234, v147
	s_wait_loadcnt 0x5
	v_dual_mul_f32 v17, v171, v155 :: v_dual_fma_f32 v21, v230, v142, -v21
	v_dual_fmac_f32 v53, v231, v142 :: v_dual_add_f32 v9, v9, v51
	v_dual_add_f32 v11, v11, v19 :: v_dual_mov_b32 v98, v157
	v_fmac_f32_e32 v55, v233, v144
	s_delay_alu instid0(VALU_DEP_3) | instskip(NEXT) | instid1(VALU_DEP_3)
	v_dual_fma_f32 v19, v232, v144, -v23 :: v_dual_add_f32 v9, v9, v53
	v_add_f32_e32 v11, v11, v21
	v_dual_mul_f32 v59, v236, v149 :: v_dual_mul_f32 v61, v238, v151
	s_delay_alu instid0(VALU_DEP_3) | instskip(NEXT) | instid1(VALU_DEP_3)
	v_dual_fmac_f32 v57, v235, v146 :: v_dual_add_f32 v9, v9, v55
	v_dual_fma_f32 v21, v234, v146, -v25 :: v_dual_add_f32 v11, v11, v19
	s_wait_loadcnt 0x4
	v_dual_mov_b32 v102, v161 :: v_dual_fma_f32 v19, v236, v148, -v27
	v_fmac_f32_e32 v59, v237, v148
	v_dual_add_f32 v9, v9, v57 :: v_dual_fmac_f32 v61, v239, v150
	v_add_f32_e32 v11, v11, v21
	s_set_vgpr_msb 64                       ;  msbs: dst=1 src0=0 src1=0 src2=0
	v_dual_mul_f32 v1 /*v257*/, v240, v153 :: v_dual_mul_f32 v3 /*v259*/, v170, v155
	s_set_vgpr_msb 0                        ;  msbs: dst=0 src0=0 src1=0 src2=0
	v_dual_fma_f32 v13, v238, v150, -v13 :: v_dual_add_f32 v9, v9, v59
	v_add_f32_e32 v11, v11, v19
	s_set_vgpr_msb 64                       ;  msbs: dst=1 src0=0 src1=0 src2=0
	v_dual_fmac_f32 v1 /*v257*/, v241, v152 :: v_dual_fmac_f32 v3 /*v259*/, v171, v154
	v_dual_fma_f32 v0 /*v256*/, v240, v152, -v15 :: v_dual_fma_f32 v2 /*v258*/, v170, v154, -v17
	s_set_vgpr_msb 0                        ;  msbs: dst=0 src0=0 src1=0 src2=0
	v_pk_mul_f32 v[98:99], v[248:249], v[98:99] op_sel_hi:[1,0]
	v_add_f32_e32 v107, v9, v61
	s_wait_loadcnt 0x3
	v_dual_add_f32 v106, v11, v13 :: v_dual_mov_b32 v108, v165
	v_pk_mul_f32 v[100:101], v[174:175], v[158:159] op_sel:[1,1] op_sel_hi:[0,1]
	v_pk_fma_f32 v[110:111], v[172:173], v[156:157], v[98:99] op_sel_hi:[1,0,1]
	v_pk_fma_f32 v[98:99], v[172:173], v[156:157], v[98:99] neg_lo:[0,0,1] neg_hi:[0,0,1]
	s_set_vgpr_msb 4                        ;  msbs: dst=0 src0=0 src1=1 src2=0
	v_pk_add_f32 v[106:107], v[106:107], v[0:1] /*v[256:257]*/
	s_set_vgpr_msb 0                        ;  msbs: dst=0 src0=0 src1=0 src2=0
	v_pk_mul_f32 v[102:103], v[250:251], v[102:103] op_sel_hi:[1,0]
	v_pk_fma_f32 v[112:113], v[174:175], v[158:159], v[100:101] op_sel_hi:[1,0,1]
	v_mov_b32_e32 v99, v111
	v_pk_fma_f32 v[100:101], v[174:175], v[158:159], v[100:101] neg_lo:[0,0,1] neg_hi:[0,0,1]
	s_set_vgpr_msb 4                        ;  msbs: dst=0 src0=0 src1=1 src2=0
	v_pk_add_f32 v[106:107], v[106:107], v[2:3] /*v[258:259]*/
	s_set_vgpr_msb 0                        ;  msbs: dst=0 src0=0 src1=0 src2=0
	v_pk_mul_f32 v[104:105], v[178:179], v[162:163] op_sel:[1,1] op_sel_hi:[0,1]
	v_mov_b32_e32 v101, v113
	v_pk_fma_f32 v[112:113], v[176:177], v[160:161], v[102:103] op_sel_hi:[1,0,1]
	v_pk_fma_f32 v[102:103], v[176:177], v[160:161], v[102:103] neg_lo:[0,0,1] neg_hi:[0,0,1]
	v_pk_add_f32 v[98:99], v[106:107], v[98:99]
	v_pk_fma_f32 v[106:107], v[178:179], v[162:163], v[104:105] op_sel_hi:[1,0,1]
	v_pk_mul_f32 v[108:109], v[252:253], v[108:109] op_sel_hi:[1,0]
	v_mov_b32_e32 v103, v113
	v_pk_fma_f32 v[104:105], v[178:179], v[162:163], v[104:105] neg_lo:[0,0,1] neg_hi:[0,0,1]
	v_pk_add_f32 v[98:99], v[98:99], v[100:101]
	s_wait_loadcnt 0x2
	v_pk_mul_f32 v[110:111], v[190:191], v[166:167] op_sel:[1,1] op_sel_hi:[0,1]
	v_dual_mov_b32 v100, v169 :: v_dual_mov_b32 v105, v107
	v_pk_fma_f32 v[106:107], v[180:181], v[164:165], v[108:109] op_sel_hi:[1,0,1]
	v_pk_add_f32 v[98:99], v[98:99], v[102:103]
	v_pk_fma_f32 v[108:109], v[180:181], v[164:165], v[108:109] neg_lo:[0,0,1] neg_hi:[0,0,1]
	v_pk_fma_f32 v[102:103], v[190:191], v[166:167], v[110:111] op_sel_hi:[1,0,1]
	v_pk_mul_f32 v[100:101], v[254:255], v[100:101] op_sel_hi:[1,0]
	v_mov_b32_e32 v109, v107
	v_pk_add_f32 v[98:99], v[98:99], v[104:105]
	v_pk_fma_f32 v[104:105], v[190:191], v[166:167], v[110:111] neg_lo:[0,0,1] neg_hi:[0,0,1]
	v_mov_b32_e32 v105, v103
	v_pk_fma_f32 v[102:103], v[192:193], v[168:169], v[100:101] op_sel_hi:[1,0,1]
	s_wait_loadcnt_dscnt 0x100
	v_pk_mul_f32 v[106:107], v[246:247], v[242:243] op_sel:[1,1] op_sel_hi:[0,1]
	v_pk_add_f32 v[98:99], v[98:99], v[108:109]
	v_pk_fma_f32 v[100:101], v[192:193], v[168:169], v[100:101] neg_lo:[0,0,1] neg_hi:[0,0,1]
	v_mov_b32_e32 v101, v103
	s_delay_alu instid0(VALU_DEP_4) | instskip(NEXT) | instid1(VALU_DEP_4)
	v_pk_fma_f32 v[102:103], v[246:247], v[242:243], v[106:107] op_sel_hi:[1,0,1]
	v_pk_add_f32 v[98:99], v[98:99], v[104:105]
	v_pk_fma_f32 v[104:105], v[246:247], v[242:243], v[106:107] neg_lo:[0,0,1] neg_hi:[0,0,1]
	s_delay_alu instid0(VALU_DEP_3) | instskip(NEXT) | instid1(VALU_DEP_3)
	v_mov_b32_e32 v105, v103
	v_pk_add_f32 v[98:99], v[98:99], v[100:101]
	s_delay_alu instid0(VALU_DEP_1) | instskip(SKIP_1) | instid1(VALU_DEP_1)
	v_pk_add_f32 v[98:99], v[98:99], v[104:105]
	s_wait_loadcnt 0x0
	v_pk_add_f32 v[98:99], v[244:245], v[98:99] neg_lo:[0,1] neg_hi:[0,1]
	scratch_store_b64 off, v[98:99], off offset:80
	s_wait_xcnt 0x0
	v_cmpx_lt_u32_e32 9, v0
	s_cbranch_execz .LBB47_283
; %bb.282:
	scratch_load_b64 v[98:99], off, off offset:72
	v_mov_b64_e32 v[100:101], 0
	scratch_store_b64 off, v[100:101], off offset:72
	s_wait_loadcnt 0x0
	ds_store_b64 v1, v[98:99]
.LBB47_283:
	s_wait_xcnt 0x0
	s_or_b32 exec_lo, exec_lo, s0
	s_wait_storecnt_dscnt 0x0
	s_barrier_signal -1
	s_barrier_wait -1
	s_clause 0x13
	scratch_load_b128 v[98:101], off, off offset:80
	scratch_load_b128 v[102:105], off, off offset:96
	;; [unrolled: 1-line block ×19, first 2 shown]
	scratch_load_b64 v[250:251], off, off offset:72
	ds_load_b128 v[174:177], v5 offset:704
	ds_load_b128 v[178:181], v5 offset:720
	ds_load_b128 v[182:185], v5 offset:688
	ds_load_b128 v[186:189], v5 offset:736
	ds_load_b128 v[190:193], v5 offset:752
	ds_load_b128 v[194:197], v5 offset:464
	ds_load_b128 v[198:201], v5 offset:480
	ds_load_b128 v[202:205], v5 offset:496
	ds_load_b128 v[206:209], v5 offset:512
	ds_load_b128 v[210:213], v5 offset:528
	ds_load_b128 v[214:217], v5 offset:544
	ds_load_b128 v[218:221], v5 offset:560
	ds_load_b128 v[222:225], v5 offset:576
	ds_load_b128 v[226:229], v5 offset:592
	ds_load_b128 v[230:233], v5 offset:608
	ds_load_b128 v[234:237], v5 offset:624
	ds_load_b128 v[238:241], v5 offset:640
	ds_load_b128 v[242:245], v5 offset:656
	ds_load_b128 v[246:249], v5 offset:672
	s_mov_b32 s0, exec_lo
	s_wait_dscnt 0x12
	v_dual_mov_b32 v252, v177 :: v_dual_mov_b32 v253, v176
	s_wait_dscnt 0x11
	v_dual_mov_b32 v254, v181 :: v_dual_mov_b32 v255, v180
	s_wait_dscnt 0xf
	s_set_vgpr_msb 64                       ;  msbs: dst=1 src0=0 src1=0 src2=0
	v_dual_mov_b32 v0 /*v256*/, v189 :: v_dual_mov_b32 v1 /*v257*/, v188
	s_wait_dscnt 0xe
	v_dual_mov_b32 v2 /*v258*/, v193 :: v_dual_mov_b32 v3 /*v259*/, v192
	s_wait_loadcnt_dscnt 0x130d
	s_set_vgpr_msb 0                        ;  msbs: dst=0 src0=0 src1=0 src2=0
	v_dual_mul_f32 v5, v194, v99 :: v_dual_mul_f32 v9, v196, v101
	v_dual_mul_f32 v63, v195, v99 :: v_dual_mul_f32 v65, v197, v101
	s_wait_loadcnt_dscnt 0x120c
	v_dual_mul_f32 v11, v198, v103 :: v_dual_mul_f32 v13, v200, v105
	s_delay_alu instid0(VALU_DEP_2) | instskip(SKIP_3) | instid1(VALU_DEP_3)
	v_dual_fmac_f32 v5, v195, v98 :: v_dual_fma_f32 v63, v194, v98, -v63
	v_dual_mul_f32 v67, v199, v103 :: v_dual_mul_f32 v69, v201, v105
	s_wait_loadcnt_dscnt 0x100a
	v_dual_mul_f32 v75, v207, v111 :: v_dual_fmac_f32 v9, v197, v100
	v_dual_fma_f32 v65, v196, v100, -v65 :: v_dual_add_f32 v5, 0, v5
	v_dual_add_f32 v63, 0, v63 :: v_dual_mul_f32 v77, v209, v113
	v_fmac_f32_e32 v11, v199, v102
	s_delay_alu instid0(VALU_DEP_3) | instskip(NEXT) | instid1(VALU_DEP_3)
	v_dual_fma_f32 v67, v198, v102, -v67 :: v_dual_add_f32 v5, v5, v9
	v_dual_add_f32 v9, v63, v65 :: v_dual_mul_f32 v15, v202, v107
	v_dual_mul_f32 v17, v204, v109 :: v_dual_mul_f32 v71, v203, v107
	v_dual_mul_f32 v73, v205, v109 :: v_dual_fma_f32 v65, v200, v104, -v69
	s_delay_alu instid0(VALU_DEP_4) | instskip(NEXT) | instid1(VALU_DEP_4)
	v_add_f32_e32 v5, v5, v11
	v_dual_add_f32 v9, v9, v67 :: v_dual_fmac_f32 v15, v203, v106
	s_wait_loadcnt_dscnt 0xf09
	v_dual_mul_f32 v63, v211, v115 :: v_dual_fmac_f32 v13, v201, v104
	v_dual_mul_f32 v11, v213, v117 :: v_dual_fma_f32 v67, v202, v106, -v71
	s_delay_alu instid0(VALU_DEP_3) | instskip(SKIP_1) | instid1(VALU_DEP_3)
	v_dual_add_f32 v9, v9, v65 :: v_dual_fma_f32 v65, v204, v108, -v73
	s_wait_loadcnt_dscnt 0xe08
	v_dual_add_f32 v5, v5, v13 :: v_dual_mul_f32 v13, v215, v119
	v_dual_mul_f32 v19, v206, v111 :: v_dual_mul_f32 v21, v208, v113
	s_delay_alu instid0(VALU_DEP_3) | instskip(SKIP_1) | instid1(VALU_DEP_4)
	v_add_f32_e32 v9, v9, v67
	v_fmac_f32_e32 v17, v205, v108
	v_dual_add_f32 v5, v5, v15 :: v_dual_fma_f32 v67, v206, v110, -v75
	v_dual_mul_f32 v23, v210, v115 :: v_dual_mul_f32 v25, v212, v117
	s_delay_alu instid0(VALU_DEP_4) | instskip(NEXT) | instid1(VALU_DEP_3)
	v_dual_add_f32 v9, v9, v65 :: v_dual_fma_f32 v63, v210, v114, -v63
	v_dual_fmac_f32 v19, v207, v110 :: v_dual_add_f32 v5, v5, v17
	s_delay_alu instid0(VALU_DEP_3) | instskip(NEXT) | instid1(VALU_DEP_3)
	v_dual_fmac_f32 v23, v211, v114 :: v_dual_fma_f32 v65, v208, v112, -v77
	v_dual_add_f32 v9, v9, v67 :: v_dual_fma_f32 v13, v214, v118, -v13
	v_dual_mul_f32 v27, v214, v119 :: v_dual_mul_f32 v29, v216, v121
	s_wait_loadcnt_dscnt 0xd07
	v_dual_mul_f32 v15, v217, v121 :: v_dual_mul_f32 v17, v219, v123
	s_delay_alu instid0(VALU_DEP_2) | instskip(SKIP_1) | instid1(VALU_DEP_3)
	v_dual_fmac_f32 v21, v209, v112 :: v_dual_fmac_f32 v27, v215, v118
	v_dual_add_f32 v5, v5, v19 :: v_dual_fma_f32 v11, v212, v116, -v11
	v_dual_add_f32 v9, v9, v65 :: v_dual_fma_f32 v15, v216, v120, -v15
	v_mul_f32_e32 v19, v221, v125
	s_wait_loadcnt_dscnt 0xc06
	s_delay_alu instid0(VALU_DEP_3) | instskip(NEXT) | instid1(VALU_DEP_3)
	v_dual_add_f32 v5, v5, v21 :: v_dual_mul_f32 v21, v223, v127
	v_add_f32_e32 v9, v9, v63
	s_wait_loadcnt_dscnt 0xb05
	v_dual_mul_f32 v39, v226, v131 :: v_dual_mul_f32 v41, v228, v133
	s_delay_alu instid0(VALU_DEP_3) | instskip(NEXT) | instid1(VALU_DEP_3)
	v_dual_fma_f32 v19, v220, v124, -v19 :: v_dual_fma_f32 v21, v222, v126, -v21
	v_add_f32_e32 v9, v9, v11
	v_mul_f32_e32 v11, v227, v131
	v_dual_add_f32 v5, v5, v23 :: v_dual_fma_f32 v17, v218, v122, -v17
	s_delay_alu instid0(VALU_DEP_3) | instskip(NEXT) | instid1(VALU_DEP_3)
	v_dual_fmac_f32 v39, v227, v130 :: v_dual_add_f32 v9, v9, v13
	v_dual_mul_f32 v13, v229, v133 :: v_dual_fma_f32 v11, v226, v130, -v11
	v_dual_mul_f32 v31, v218, v123 :: v_dual_mul_f32 v33, v220, v125
	s_delay_alu instid0(VALU_DEP_2) | instskip(NEXT) | instid1(VALU_DEP_2)
	v_dual_add_f32 v9, v9, v15 :: v_dual_fma_f32 v13, v228, v132, -v13
	v_dual_fmac_f32 v25, v213, v116 :: v_dual_fmac_f32 v31, v219, v122
	v_dual_mul_f32 v35, v222, v127 :: v_dual_mul_f32 v37, v224, v129
	s_wait_loadcnt_dscnt 0x903
	s_delay_alu instid0(VALU_DEP_3) | instskip(SKIP_3) | instid1(VALU_DEP_4)
	v_dual_add_f32 v9, v9, v17 :: v_dual_mul_f32 v47, v234, v139
	v_mul_f32_e32 v49, v236, v141
	v_dual_mul_f32 v23, v225, v129 :: v_dual_mul_f32 v15, v231, v135
	v_dual_add_f32 v5, v5, v25 :: v_dual_fmac_f32 v35, v223, v126
	v_dual_add_f32 v9, v9, v19 :: v_dual_fmac_f32 v47, v235, v138
	v_dual_fmac_f32 v29, v217, v120 :: v_dual_mul_f32 v19, v235, v139
	s_delay_alu instid0(VALU_DEP_3) | instskip(SKIP_1) | instid1(VALU_DEP_3)
	v_dual_add_f32 v5, v5, v27 :: v_dual_fma_f32 v23, v224, v128, -v23
	s_wait_loadcnt_dscnt 0x701
	v_dual_add_f32 v9, v9, v21 :: v_dual_mul_f32 v55, v242, v147
	v_mul_f32_e32 v57, v244, v149
	s_delay_alu instid0(VALU_DEP_3) | instskip(NEXT) | instid1(VALU_DEP_3)
	v_dual_add_f32 v5, v5, v29 :: v_dual_mul_f32 v43, v230, v135
	v_dual_mul_f32 v45, v232, v137 :: v_dual_add_f32 v9, v9, v23
	v_dual_mul_f32 v23, v239, v143 :: v_dual_fmac_f32 v33, v221, v124
	s_delay_alu instid0(VALU_DEP_3) | instskip(SKIP_1) | instid1(VALU_DEP_3)
	v_dual_fmac_f32 v43, v231, v134 :: v_dual_add_f32 v5, v5, v31
	v_fma_f32 v15, v230, v134, -v15
	v_dual_fma_f32 v23, v238, v142, -v23 :: v_dual_add_f32 v9, v9, v11
	v_dual_fmac_f32 v55, v243, v146 :: v_dual_mul_f32 v17, v233, v137
	v_fmac_f32_e32 v45, v233, v136
	v_add_f32_e32 v5, v5, v33
	s_delay_alu instid0(VALU_DEP_4) | instskip(SKIP_3) | instid1(VALU_DEP_4)
	v_add_f32_e32 v9, v9, v13
	v_dual_fmac_f32 v37, v225, v128 :: v_dual_fma_f32 v19, v234, v138, -v19
	v_dual_fma_f32 v17, v232, v136, -v17 :: v_dual_mul_f32 v21, v237, v141
	v_fmac_f32_e32 v49, v237, v140
	v_add_f32_e32 v9, v9, v15
	v_add_f32_e32 v5, v5, v35
	v_dual_mul_f32 v51, v238, v143 :: v_dual_mul_f32 v53, v240, v145
	s_delay_alu instid0(VALU_DEP_3) | instskip(NEXT) | instid1(VALU_DEP_2)
	v_dual_fma_f32 v21, v236, v140, -v21 :: v_dual_add_f32 v9, v9, v17
	v_dual_add_f32 v5, v5, v37 :: v_dual_fmac_f32 v51, v239, v142
	v_fmac_f32_e32 v41, v229, v132
	s_delay_alu instid0(VALU_DEP_4) | instskip(NEXT) | instid1(VALU_DEP_4)
	v_dual_mul_f32 v11, v241, v145 :: v_dual_fmac_f32 v53, v241, v144
	v_add_f32_e32 v9, v9, v19
	s_delay_alu instid0(VALU_DEP_4) | instskip(NEXT) | instid1(VALU_DEP_3)
	v_add_f32_e32 v5, v5, v39
	v_dual_mul_f32 v13, v243, v147 :: v_dual_fma_f32 v11, v240, v144, -v11
	s_wait_loadcnt_dscnt 0x600
	v_dual_mul_f32 v59, v246, v151 :: v_dual_mul_f32 v61, v248, v153
	s_wait_loadcnt 0x5
	v_dual_add_f32 v9, v9, v21 :: v_dual_mul_f32 v21, v183, v155
	v_dual_add_f32 v5, v5, v41 :: v_dual_fma_f32 v13, v242, v146, -v13
	v_dual_mul_f32 v15, v245, v149 :: v_dual_fmac_f32 v57, v245, v148
	s_delay_alu instid0(VALU_DEP_3) | instskip(NEXT) | instid1(VALU_DEP_3)
	v_add_f32_e32 v9, v9, v23
	v_dual_add_f32 v5, v5, v43 :: v_dual_fmac_f32 v59, v247, v150
	v_dual_mul_f32 v19, v249, v153 :: v_dual_fmac_f32 v61, v249, v152
	s_delay_alu instid0(VALU_DEP_3) | instskip(NEXT) | instid1(VALU_DEP_3)
	v_add_f32_e32 v9, v9, v11
	v_dual_add_f32 v5, v5, v45 :: v_dual_fma_f32 v11, v244, v148, -v15
	v_mul_f32_e32 v17, v247, v151
	s_set_vgpr_msb 64                       ;  msbs: dst=1 src0=0 src1=0 src2=0
	v_dual_mul_f32 v5 /*v261*/, v182, v155 :: v_dual_mul_f32 v7 /*v263*/, v184, v157
	s_set_vgpr_msb 0                        ;  msbs: dst=0 src0=0 src1=0 src2=0
	v_add_f32_e32 v9, v9, v13
	v_dual_mul_f32 v23, v185, v157 :: v_dual_fma_f32 v13, v246, v150, -v17
	s_wait_loadcnt 0x4
	v_pk_mul_f32 v[98:99], v[174:175], v[158:159] op_sel:[1,1] op_sel_hi:[0,1]
	s_wait_loadcnt 0x3
	v_dual_mov_b32 v100, v161 :: v_dual_mov_b32 v104, v165
	v_dual_add_f32 v9, v9, v11 :: v_dual_fma_f32 v11, v248, v152, -v19
	v_add_f32_e32 v5, v5, v47
	s_set_vgpr_msb 64                       ;  msbs: dst=1 src0=0 src1=0 src2=0
	v_dual_fmac_f32 v5 /*v261*/, v183, v154 :: v_dual_fmac_f32 v7 /*v263*/, v185, v156
	s_set_vgpr_msb 0                        ;  msbs: dst=0 src0=0 src1=0 src2=0
	v_add_f32_e32 v9, v9, v13
	s_set_vgpr_msb 64                       ;  msbs: dst=1 src0=0 src1=0 src2=0
	v_dual_fma_f32 v4 /*v260*/, v182, v154, -v21 :: v_dual_fma_f32 v6 /*v262*/, v184, v156, -v23
	s_set_vgpr_msb 0                        ;  msbs: dst=0 src0=0 src1=0 src2=0
	v_add_f32_e32 v5, v5, v49
	v_pk_fma_f32 v[108:109], v[174:175], v[158:159], v[98:99] op_sel_hi:[1,0,1]
	v_add_f32_e32 v106, v9, v11
	v_pk_mul_f32 v[100:101], v[252:253], v[100:101] op_sel_hi:[1,0]
	v_pk_fma_f32 v[98:99], v[174:175], v[158:159], v[98:99] neg_lo:[0,0,1] neg_hi:[0,0,1]
	v_add_f32_e32 v5, v5, v51
	v_pk_mul_f32 v[102:103], v[178:179], v[162:163] op_sel:[1,1] op_sel_hi:[0,1]
	v_mov_b32_e32 v99, v109
	v_pk_fma_f32 v[108:109], v[176:177], v[160:161], v[100:101] op_sel_hi:[1,0,1]
	v_pk_fma_f32 v[100:101], v[176:177], v[160:161], v[100:101] neg_lo:[0,0,1] neg_hi:[0,0,1]
	v_add_f32_e32 v5, v5, v53
	v_pk_fma_f32 v[112:113], v[178:179], v[162:163], v[102:103] op_sel_hi:[1,0,1]
	v_pk_mul_f32 v[104:105], v[254:255], v[104:105] op_sel_hi:[1,0]
	v_mov_b32_e32 v101, v109
	s_wait_loadcnt 0x2
	v_pk_mul_f32 v[110:111], v[186:187], v[166:167] op_sel:[1,1] op_sel_hi:[0,1]
	v_add_f32_e32 v5, v5, v55
	v_pk_fma_f32 v[102:103], v[178:179], v[162:163], v[102:103] neg_lo:[0,0,1] neg_hi:[0,0,1]
	v_mov_b32_e32 v103, v113
	v_pk_fma_f32 v[108:109], v[180:181], v[164:165], v[104:105] op_sel_hi:[1,0,1]
	v_pk_fma_f32 v[104:105], v[180:181], v[164:165], v[104:105] neg_lo:[0,0,1] neg_hi:[0,0,1]
	v_add_f32_e32 v5, v5, v57
	s_delay_alu instid0(VALU_DEP_1) | instskip(NEXT) | instid1(VALU_DEP_1)
	v_add_f32_e32 v5, v5, v59
	v_add_f32_e32 v107, v5, v61
	s_set_vgpr_msb 4                        ;  msbs: dst=0 src0=0 src1=1 src2=0
	s_delay_alu instid0(VALU_DEP_1) | instskip(NEXT) | instid1(VALU_DEP_1)
	v_pk_add_f32 v[106:107], v[106:107], v[4:5] /*v[260:261]*/
	v_pk_add_f32 v[106:107], v[106:107], v[6:7] /*v[262:263]*/
	s_set_vgpr_msb 0                        ;  msbs: dst=0 src0=0 src1=0 src2=0
	s_delay_alu instid0(VALU_DEP_1) | instskip(SKIP_1) | instid1(VALU_DEP_2)
	v_pk_add_f32 v[98:99], v[106:107], v[98:99]
	v_mov_b32_e32 v106, v169
	v_pk_add_f32 v[98:99], v[98:99], v[100:101]
	v_pk_fma_f32 v[100:101], v[186:187], v[166:167], v[110:111] op_sel_hi:[1,0,1]
	s_set_vgpr_msb 1                        ;  msbs: dst=0 src0=1 src1=0 src2=0
	s_delay_alu instid0(VALU_DEP_3)
	v_pk_mul_f32 v[106:107], v[0:1] /*v[256:257]*/, v[106:107] op_sel_hi:[1,0]
	s_set_vgpr_msb 0                        ;  msbs: dst=0 src0=0 src1=0 src2=0
	v_mov_b32_e32 v105, v109
	v_pk_fma_f32 v[108:109], v[186:187], v[166:167], v[110:111] neg_lo:[0,0,1] neg_hi:[0,0,1]
	v_pk_add_f32 v[98:99], v[98:99], v[102:103]
	v_mov_b32_e32 v109, v101
	v_pk_fma_f32 v[100:101], v[188:189], v[168:169], v[106:107] op_sel_hi:[1,0,1]
	s_wait_loadcnt 0x1
	v_pk_mul_f32 v[102:103], v[190:191], v[170:171] op_sel:[1,1] op_sel_hi:[0,1]
	v_mov_b32_e32 v100, v173
	v_pk_add_f32 v[98:99], v[98:99], v[104:105]
	v_pk_fma_f32 v[106:107], v[188:189], v[168:169], v[106:107] neg_lo:[0,0,1] neg_hi:[0,0,1]
	v_mov_b32_e32 v107, v101
	v_pk_fma_f32 v[104:105], v[190:191], v[170:171], v[102:103] op_sel_hi:[1,0,1]
	s_set_vgpr_msb 1                        ;  msbs: dst=0 src0=1 src1=0 src2=0
	v_pk_mul_f32 v[100:101], v[2:3] /*v[258:259]*/, v[100:101] op_sel_hi:[1,0]
	s_set_vgpr_msb 0                        ;  msbs: dst=0 src0=0 src1=0 src2=0
	v_pk_add_f32 v[98:99], v[98:99], v[108:109]
	v_pk_fma_f32 v[102:103], v[190:191], v[170:171], v[102:103] neg_lo:[0,0,1] neg_hi:[0,0,1]
	v_mov_b32_e32 v103, v105
	v_pk_fma_f32 v[104:105], v[192:193], v[172:173], v[100:101] op_sel_hi:[1,0,1]
	s_delay_alu instid0(VALU_DEP_4) | instskip(SKIP_1) | instid1(VALU_DEP_3)
	v_pk_add_f32 v[98:99], v[98:99], v[106:107]
	v_pk_fma_f32 v[100:101], v[192:193], v[172:173], v[100:101] neg_lo:[0,0,1] neg_hi:[0,0,1]
	v_mov_b32_e32 v101, v105
	s_delay_alu instid0(VALU_DEP_3) | instskip(NEXT) | instid1(VALU_DEP_1)
	v_pk_add_f32 v[98:99], v[98:99], v[102:103]
	v_pk_add_f32 v[98:99], v[98:99], v[100:101]
	s_wait_loadcnt 0x0
	s_delay_alu instid0(VALU_DEP_1)
	v_pk_add_f32 v[98:99], v[250:251], v[98:99] neg_lo:[0,1] neg_hi:[0,1]
	scratch_store_b64 off, v[98:99], off offset:72
	s_wait_xcnt 0x0
	v_cmpx_lt_u32_e32 8, v0
	s_cbranch_execz .LBB47_285
; %bb.284:
	scratch_load_b64 v[98:99], off, off offset:64
	v_mov_b64_e32 v[100:101], 0
	scratch_store_b64 off, v[100:101], off offset:64
	s_wait_loadcnt 0x0
	ds_store_b64 v1, v[98:99]
.LBB47_285:
	s_wait_xcnt 0x0
	s_or_b32 exec_lo, exec_lo, s0
	s_wait_storecnt_dscnt 0x0
	s_barrier_signal -1
	s_barrier_wait -1
	s_clause 0x14
	scratch_load_b128 v[98:101], off, off offset:72
	scratch_load_b128 v[102:105], off, off offset:88
	;; [unrolled: 1-line block ×19, first 2 shown]
	scratch_load_b64 v[250:251], off, off offset:376
	scratch_load_b64 v[252:253], off, off offset:64
	v_mov_b32_e32 v5, 0
	ds_load_2addr_b64 v[174:177], v5 offset0:87 offset1:88
	ds_load_2addr_b64 v[178:181], v5 offset0:85 offset1:86
	;; [unrolled: 1-line block ×19, first 2 shown]
	ds_load_b64 v[254:255], v5 offset:760
	s_wait_dscnt 0x13
	s_set_vgpr_msb 64                       ;  msbs: dst=1 src0=0 src1=0 src2=0
	v_dual_mov_b32 v0 /*v256*/, v177 :: v_dual_mov_b32 v1 /*v257*/, v176
	s_wait_dscnt 0x11
	v_dual_mov_b32 v2 /*v258*/, v185 :: v_dual_mov_b32 v3 /*v259*/, v184
	s_wait_dscnt 0x10
	;; [unrolled: 2-line block ×3, first 2 shown]
	v_dual_mov_b32 v6 /*v262*/, v201 :: v_dual_mov_b32 v7 /*v263*/, v200
	s_mov_b32 s0, exec_lo
	s_wait_loadcnt 0x14
	s_set_vgpr_msb 0                        ;  msbs: dst=0 src0=0 src1=0 src2=0
	v_dual_mul_f32 v9, v190, v99 :: v_dual_mul_f32 v67, v191, v99
	v_dual_mul_f32 v69, v193, v101 :: v_dual_mul_f32 v11, v192, v101
	s_wait_loadcnt 0x13
	v_mul_f32_e32 v13, v194, v103
	s_wait_loadcnt_dscnt 0x110b
	v_dual_mul_f32 v79, v207, v111 :: v_dual_fma_f32 v67, v190, v98, -v67
	v_dual_fmac_f32 v9, v191, v98 :: v_dual_mul_f32 v81, v209, v113
	v_dual_mul_f32 v71, v195, v103 :: v_dual_mul_f32 v73, v197, v105
	v_dual_fmac_f32 v11, v193, v100 :: v_dual_fma_f32 v69, v192, v100, -v69
	s_delay_alu instid0(VALU_DEP_3) | instskip(SKIP_3) | instid1(VALU_DEP_3)
	v_dual_add_f32 v9, 0, v9 :: v_dual_add_f32 v67, 0, v67
	v_dual_mul_f32 v15, v196, v105 :: v_dual_mul_f32 v17, v202, v107
	s_wait_loadcnt_dscnt 0x100a
	v_dual_mul_f32 v83, v211, v115 :: v_dual_fma_f32 v71, v194, v102, -v71
	v_dual_fmac_f32 v13, v195, v102 :: v_dual_add_f32 v9, v9, v11
	s_delay_alu instid0(VALU_DEP_3) | instskip(SKIP_2) | instid1(VALU_DEP_3)
	v_dual_add_f32 v11, v67, v69 :: v_dual_fmac_f32 v15, v197, v104
	v_dual_mul_f32 v75, v203, v107 :: v_dual_mul_f32 v77, v205, v109
	v_dual_mul_f32 v67, v213, v117 :: v_dual_fma_f32 v69, v196, v104, -v73
	v_dual_add_f32 v9, v9, v13 :: v_dual_add_f32 v11, v11, v71
	v_dual_mul_f32 v19, v204, v109 :: v_dual_mul_f32 v21, v206, v111
	s_wait_loadcnt_dscnt 0xf09
	v_dual_mul_f32 v13, v215, v119 :: v_dual_fma_f32 v71, v202, v106, -v75
	s_delay_alu instid0(VALU_DEP_3) | instskip(NEXT) | instid1(VALU_DEP_3)
	v_dual_fmac_f32 v17, v203, v106 :: v_dual_add_f32 v9, v9, v15
	v_dual_add_f32 v11, v11, v69 :: v_dual_fmac_f32 v19, v205, v108
	v_dual_mul_f32 v15, v217, v121 :: v_dual_fma_f32 v69, v204, v108, -v77
	s_delay_alu instid0(VALU_DEP_2) | instskip(SKIP_3) | instid1(VALU_DEP_3)
	v_dual_add_f32 v9, v9, v17 :: v_dual_add_f32 v11, v11, v71
	v_dual_mul_f32 v23, v208, v113 :: v_dual_mul_f32 v25, v210, v115
	s_wait_loadcnt_dscnt 0xe08
	v_dual_mul_f32 v17, v219, v123 :: v_dual_fma_f32 v71, v206, v110, -v79
	v_dual_fmac_f32 v21, v207, v110 :: v_dual_add_f32 v9, v9, v19
	s_delay_alu instid0(VALU_DEP_3) | instskip(SKIP_1) | instid1(VALU_DEP_2)
	v_dual_add_f32 v11, v11, v69 :: v_dual_fmac_f32 v23, v209, v112
	v_dual_mul_f32 v19, v221, v125 :: v_dual_fma_f32 v69, v208, v112, -v81
	v_dual_add_f32 v9, v9, v21 :: v_dual_add_f32 v11, v11, v71
	v_dual_mul_f32 v27, v212, v117 :: v_dual_mul_f32 v29, v214, v119
	s_wait_loadcnt_dscnt 0xd07
	v_dual_mul_f32 v21, v223, v127 :: v_dual_fma_f32 v71, v210, v114, -v83
	s_delay_alu instid0(VALU_DEP_3) | instskip(NEXT) | instid1(VALU_DEP_3)
	v_dual_fmac_f32 v25, v211, v114 :: v_dual_add_f32 v9, v9, v23
	v_dual_add_f32 v11, v11, v69 :: v_dual_fmac_f32 v27, v213, v116
	v_dual_mul_f32 v23, v225, v129 :: v_dual_fma_f32 v67, v212, v116, -v67
	s_delay_alu instid0(VALU_DEP_2) | instskip(SKIP_3) | instid1(VALU_DEP_3)
	v_dual_add_f32 v9, v9, v25 :: v_dual_add_f32 v11, v11, v71
	v_dual_mul_f32 v31, v216, v121 :: v_dual_mul_f32 v33, v218, v123
	s_wait_loadcnt_dscnt 0xc06
	v_dual_mul_f32 v25, v227, v131 :: v_dual_fma_f32 v13, v214, v118, -v13
	v_dual_fmac_f32 v29, v215, v118 :: v_dual_add_f32 v9, v9, v27
	v_dual_add_f32 v11, v11, v67 :: v_dual_mul_f32 v27, v229, v133
	v_fmac_f32_e32 v31, v217, v120
	s_delay_alu instid0(VALU_DEP_3) | instskip(NEXT) | instid1(VALU_DEP_3)
	v_dual_fma_f32 v15, v216, v120, -v15 :: v_dual_add_f32 v9, v9, v29
	v_add_f32_e32 v11, v11, v13
	v_dual_mul_f32 v35, v220, v125 :: v_dual_mul_f32 v37, v222, v127
	s_wait_loadcnt_dscnt 0xb05
	v_dual_mul_f32 v13, v231, v135 :: v_dual_fma_f32 v17, v218, v122, -v17
	v_dual_fmac_f32 v33, v219, v122 :: v_dual_add_f32 v9, v9, v31
	v_dual_add_f32 v11, v11, v15 :: v_dual_mul_f32 v15, v233, v137
	v_fmac_f32_e32 v35, v221, v124
	s_delay_alu instid0(VALU_DEP_3) | instskip(NEXT) | instid1(VALU_DEP_3)
	v_dual_fma_f32 v19, v220, v124, -v19 :: v_dual_add_f32 v9, v9, v33
	v_add_f32_e32 v11, v11, v17
	;; [unrolled: 9-line block ×6, first 2 shown]
	v_dual_mul_f32 v55, v240, v145 :: v_dual_mul_f32 v57, v242, v147
	s_wait_loadcnt 0x6
	v_dual_mul_f32 v17, v179, v155 :: v_dual_fma_f32 v21, v238, v142, -v21
	v_dual_fmac_f32 v53, v239, v142 :: v_dual_add_f32 v9, v9, v51
	v_dual_add_f32 v11, v11, v19 :: v_dual_mul_f32 v19, v181, v157
	v_fmac_f32_e32 v55, v241, v144
	s_delay_alu instid0(VALU_DEP_3) | instskip(NEXT) | instid1(VALU_DEP_3)
	v_dual_fma_f32 v23, v240, v144, -v23 :: v_dual_add_f32 v9, v9, v53
	v_add_f32_e32 v11, v11, v21
	v_dual_mul_f32 v59, v244, v149 :: v_dual_mul_f32 v61, v246, v151
	s_wait_loadcnt 0x5
	v_dual_mul_f32 v21, v175, v159 :: v_dual_fma_f32 v25, v242, v146, -v25
	v_dual_fmac_f32 v57, v243, v146 :: v_dual_add_f32 v9, v9, v55
	v_dual_add_f32 v11, v11, v23 :: v_dual_mov_b32 v98, v161
	v_fmac_f32_e32 v59, v245, v148
	s_delay_alu instid0(VALU_DEP_3) | instskip(NEXT) | instid1(VALU_DEP_3)
	v_dual_fma_f32 v23, v244, v148, -v27 :: v_dual_add_f32 v9, v9, v57
	v_add_f32_e32 v11, v11, v25
	v_dual_mul_f32 v63, v248, v153 :: v_dual_mul_f32 v65, v178, v155
	s_delay_alu instid0(VALU_DEP_3) | instskip(NEXT) | instid1(VALU_DEP_3)
	v_dual_fmac_f32 v61, v247, v150 :: v_dual_add_f32 v9, v9, v59
	v_dual_fma_f32 v13, v246, v150, -v13 :: v_dual_add_f32 v11, v11, v23
	s_wait_loadcnt 0x4
	v_dual_mov_b32 v102, v165 :: v_dual_fma_f32 v15, v248, v152, -v15
	v_fmac_f32_e32 v63, v249, v152
	v_dual_add_f32 v9, v9, v61 :: v_dual_fmac_f32 v65, v179, v154
	v_add_f32_e32 v11, v11, v13
	s_set_vgpr_msb 64                       ;  msbs: dst=1 src0=0 src1=0 src2=0
	v_dual_mul_f32 v9 /*v265*/, v180, v157 :: v_dual_mul_f32 v11 /*v267*/, v174, v159
	s_set_vgpr_msb 0                        ;  msbs: dst=0 src0=0 src1=0 src2=0
	v_dual_fma_f32 v13, v178, v154, -v17 :: v_dual_add_f32 v9, v9, v63
	v_add_f32_e32 v11, v11, v15
	s_set_vgpr_msb 64                       ;  msbs: dst=1 src0=0 src1=0 src2=0
	v_dual_fmac_f32 v9 /*v265*/, v181, v156 :: v_dual_fmac_f32 v11 /*v267*/, v175, v158
	v_dual_fma_f32 v8 /*v264*/, v180, v156, -v19 :: v_dual_fma_f32 v10 /*v266*/, v174, v158, -v21
	s_set_vgpr_msb 1                        ;  msbs: dst=0 src0=1 src1=0 src2=0
	v_pk_mul_f32 v[98:99], v[0:1] /*v[256:257]*/, v[98:99] op_sel_hi:[1,0]
	s_set_vgpr_msb 0                        ;  msbs: dst=0 src0=0 src1=0 src2=0
	v_add_f32_e32 v107, v9, v65
	s_wait_loadcnt 0x3
	v_dual_add_f32 v106, v11, v13 :: v_dual_mov_b32 v108, v169
	v_pk_mul_f32 v[100:101], v[182:183], v[162:163] op_sel:[1,1] op_sel_hi:[0,1]
	v_pk_fma_f32 v[110:111], v[176:177], v[160:161], v[98:99] op_sel_hi:[1,0,1]
	v_pk_fma_f32 v[98:99], v[176:177], v[160:161], v[98:99] neg_lo:[0,0,1] neg_hi:[0,0,1]
	s_set_vgpr_msb 4                        ;  msbs: dst=0 src0=0 src1=1 src2=0
	v_pk_add_f32 v[106:107], v[106:107], v[8:9] /*v[264:265]*/
	s_set_vgpr_msb 1                        ;  msbs: dst=0 src0=1 src1=0 src2=0
	v_pk_mul_f32 v[102:103], v[2:3] /*v[258:259]*/, v[102:103] op_sel_hi:[1,0]
	s_set_vgpr_msb 0                        ;  msbs: dst=0 src0=0 src1=0 src2=0
	v_pk_fma_f32 v[112:113], v[182:183], v[162:163], v[100:101] op_sel_hi:[1,0,1]
	v_mov_b32_e32 v99, v111
	v_pk_fma_f32 v[100:101], v[182:183], v[162:163], v[100:101] neg_lo:[0,0,1] neg_hi:[0,0,1]
	s_set_vgpr_msb 4                        ;  msbs: dst=0 src0=0 src1=1 src2=0
	v_pk_add_f32 v[106:107], v[106:107], v[10:11] /*v[266:267]*/
	s_set_vgpr_msb 0                        ;  msbs: dst=0 src0=0 src1=0 src2=0
	v_pk_mul_f32 v[104:105], v[186:187], v[166:167] op_sel:[1,1] op_sel_hi:[0,1]
	v_mov_b32_e32 v101, v113
	v_pk_fma_f32 v[112:113], v[184:185], v[164:165], v[102:103] op_sel_hi:[1,0,1]
	v_pk_fma_f32 v[102:103], v[184:185], v[164:165], v[102:103] neg_lo:[0,0,1] neg_hi:[0,0,1]
	v_pk_add_f32 v[98:99], v[106:107], v[98:99]
	v_pk_fma_f32 v[106:107], v[186:187], v[166:167], v[104:105] op_sel_hi:[1,0,1]
	s_set_vgpr_msb 1                        ;  msbs: dst=0 src0=1 src1=0 src2=0
	v_pk_mul_f32 v[108:109], v[4:5] /*v[260:261]*/, v[108:109] op_sel_hi:[1,0]
	s_set_vgpr_msb 0                        ;  msbs: dst=0 src0=0 src1=0 src2=0
	v_mov_b32_e32 v103, v113
	v_pk_fma_f32 v[104:105], v[186:187], v[166:167], v[104:105] neg_lo:[0,0,1] neg_hi:[0,0,1]
	v_pk_add_f32 v[98:99], v[98:99], v[100:101]
	s_wait_loadcnt 0x2
	v_pk_mul_f32 v[110:111], v[198:199], v[170:171] op_sel:[1,1] op_sel_hi:[0,1]
	v_dual_mov_b32 v100, v173 :: v_dual_mov_b32 v105, v107
	v_pk_fma_f32 v[106:107], v[188:189], v[168:169], v[108:109] op_sel_hi:[1,0,1]
	v_pk_add_f32 v[98:99], v[98:99], v[102:103]
	v_pk_fma_f32 v[108:109], v[188:189], v[168:169], v[108:109] neg_lo:[0,0,1] neg_hi:[0,0,1]
	v_pk_fma_f32 v[102:103], v[198:199], v[170:171], v[110:111] op_sel_hi:[1,0,1]
	s_set_vgpr_msb 1                        ;  msbs: dst=0 src0=1 src1=0 src2=0
	v_pk_mul_f32 v[100:101], v[6:7] /*v[262:263]*/, v[100:101] op_sel_hi:[1,0]
	s_set_vgpr_msb 0                        ;  msbs: dst=0 src0=0 src1=0 src2=0
	v_mov_b32_e32 v109, v107
	v_pk_add_f32 v[98:99], v[98:99], v[104:105]
	v_pk_fma_f32 v[104:105], v[198:199], v[170:171], v[110:111] neg_lo:[0,0,1] neg_hi:[0,0,1]
	v_mov_b32_e32 v105, v103
	v_pk_fma_f32 v[102:103], v[200:201], v[172:173], v[100:101] op_sel_hi:[1,0,1]
	s_wait_loadcnt_dscnt 0x100
	v_pk_mul_f32 v[106:107], v[254:255], v[250:251] op_sel:[1,1] op_sel_hi:[0,1]
	v_pk_add_f32 v[98:99], v[98:99], v[108:109]
	v_pk_fma_f32 v[100:101], v[200:201], v[172:173], v[100:101] neg_lo:[0,0,1] neg_hi:[0,0,1]
	v_mov_b32_e32 v101, v103
	s_delay_alu instid0(VALU_DEP_4) | instskip(NEXT) | instid1(VALU_DEP_4)
	v_pk_fma_f32 v[102:103], v[254:255], v[250:251], v[106:107] op_sel_hi:[1,0,1]
	v_pk_add_f32 v[98:99], v[98:99], v[104:105]
	v_pk_fma_f32 v[104:105], v[254:255], v[250:251], v[106:107] neg_lo:[0,0,1] neg_hi:[0,0,1]
	s_delay_alu instid0(VALU_DEP_3) | instskip(NEXT) | instid1(VALU_DEP_3)
	v_mov_b32_e32 v105, v103
	v_pk_add_f32 v[98:99], v[98:99], v[100:101]
	s_delay_alu instid0(VALU_DEP_1) | instskip(SKIP_1) | instid1(VALU_DEP_1)
	v_pk_add_f32 v[98:99], v[98:99], v[104:105]
	s_wait_loadcnt 0x0
	v_pk_add_f32 v[98:99], v[252:253], v[98:99] neg_lo:[0,1] neg_hi:[0,1]
	scratch_store_b64 off, v[98:99], off offset:64
	s_wait_xcnt 0x0
	v_cmpx_lt_u32_e32 7, v0
	s_cbranch_execz .LBB47_287
; %bb.286:
	scratch_load_b64 v[98:99], off, off offset:56
	v_mov_b64_e32 v[100:101], 0
	scratch_store_b64 off, v[100:101], off offset:56
	s_wait_loadcnt 0x0
	ds_store_b64 v1, v[98:99]
.LBB47_287:
	s_wait_xcnt 0x0
	s_or_b32 exec_lo, exec_lo, s0
	s_wait_storecnt_dscnt 0x0
	s_barrier_signal -1
	s_barrier_wait -1
	s_clause 0x15
	scratch_load_b128 v[98:101], off, off offset:64
	scratch_load_b128 v[102:105], off, off offset:80
	;; [unrolled: 1-line block ×20, first 2 shown]
	s_set_vgpr_msb 64                       ;  msbs: dst=1 src0=0 src1=0 src2=0
	scratch_load_b64 v[2:3] /*v[258:259]*/, off, off offset:56
	s_set_vgpr_msb 0                        ;  msbs: dst=0 src0=0 src1=0 src2=0
	ds_load_b128 v[178:181], v5 offset:704
	ds_load_b128 v[182:185], v5 offset:720
	;; [unrolled: 1-line block ×20, first 2 shown]
	s_wait_dscnt 0x13
	s_set_vgpr_msb 64                       ;  msbs: dst=1 src0=0 src1=0 src2=0
	v_dual_mov_b32 v4 /*v260*/, v181 :: v_dual_mov_b32 v5 /*v261*/, v180
	s_wait_dscnt 0x12
	v_dual_mov_b32 v6 /*v262*/, v185 :: v_dual_mov_b32 v7 /*v263*/, v184
	s_wait_dscnt 0xf
	;; [unrolled: 2-line block ×3, first 2 shown]
	v_dual_mov_b32 v10 /*v266*/, v201 :: v_dual_mov_b32 v11 /*v267*/, v200
	s_mov_b32 s0, exec_lo
	s_wait_loadcnt 0x14
	s_set_vgpr_msb 0                        ;  msbs: dst=0 src0=0 src1=0 src2=0
	v_dual_mul_f32 v5, v186, v99 :: v_dual_mul_f32 v9, v188, v101
	v_dual_mul_f32 v67, v187, v99 :: v_dual_mul_f32 v69, v189, v101
	s_wait_loadcnt 0x13
	v_dual_mul_f32 v11, v190, v103 :: v_dual_mul_f32 v13, v192, v105
	s_delay_alu instid0(VALU_DEP_2) | instskip(SKIP_3) | instid1(VALU_DEP_3)
	v_dual_fmac_f32 v5, v187, v98 :: v_dual_fma_f32 v67, v186, v98, -v67
	v_dual_mul_f32 v71, v191, v103 :: v_dual_mul_f32 v73, v193, v105
	s_wait_loadcnt_dscnt 0x110c
	v_dual_mul_f32 v79, v207, v111 :: v_dual_fmac_f32 v9, v189, v100
	v_dual_fma_f32 v69, v188, v100, -v69 :: v_dual_add_f32 v5, 0, v5
	v_dual_add_f32 v67, 0, v67 :: v_dual_mul_f32 v81, v209, v113
	v_fmac_f32_e32 v11, v191, v102
	s_delay_alu instid0(VALU_DEP_3) | instskip(NEXT) | instid1(VALU_DEP_3)
	v_dual_fma_f32 v71, v190, v102, -v71 :: v_dual_add_f32 v5, v5, v9
	v_dual_add_f32 v9, v67, v69 :: v_dual_mul_f32 v15, v202, v107
	v_dual_mul_f32 v17, v204, v109 :: v_dual_mul_f32 v75, v203, v107
	v_dual_mul_f32 v77, v205, v109 :: v_dual_fma_f32 v69, v192, v104, -v73
	s_delay_alu instid0(VALU_DEP_4) | instskip(NEXT) | instid1(VALU_DEP_4)
	v_add_f32_e32 v5, v5, v11
	v_dual_add_f32 v9, v9, v71 :: v_dual_fmac_f32 v15, v203, v106
	s_wait_loadcnt_dscnt 0x100b
	v_dual_mul_f32 v67, v211, v115 :: v_dual_fmac_f32 v13, v193, v104
	v_dual_mul_f32 v11, v213, v117 :: v_dual_fma_f32 v71, v202, v106, -v75
	s_delay_alu instid0(VALU_DEP_3) | instskip(SKIP_1) | instid1(VALU_DEP_3)
	v_dual_add_f32 v9, v9, v69 :: v_dual_fma_f32 v69, v204, v108, -v77
	s_wait_loadcnt_dscnt 0xf0a
	v_dual_add_f32 v5, v5, v13 :: v_dual_mul_f32 v13, v215, v119
	v_dual_mul_f32 v19, v206, v111 :: v_dual_mul_f32 v21, v208, v113
	s_delay_alu instid0(VALU_DEP_3) | instskip(SKIP_1) | instid1(VALU_DEP_4)
	v_add_f32_e32 v9, v9, v71
	v_fmac_f32_e32 v17, v205, v108
	v_dual_add_f32 v5, v5, v15 :: v_dual_fma_f32 v71, v206, v110, -v79
	v_dual_mul_f32 v23, v210, v115 :: v_dual_mul_f32 v25, v212, v117
	s_delay_alu instid0(VALU_DEP_4) | instskip(NEXT) | instid1(VALU_DEP_3)
	v_dual_add_f32 v9, v9, v69 :: v_dual_fma_f32 v67, v210, v114, -v67
	v_dual_fmac_f32 v19, v207, v110 :: v_dual_add_f32 v5, v5, v17
	s_delay_alu instid0(VALU_DEP_3) | instskip(NEXT) | instid1(VALU_DEP_3)
	v_dual_fmac_f32 v23, v211, v114 :: v_dual_fma_f32 v69, v208, v112, -v81
	v_dual_add_f32 v9, v9, v71 :: v_dual_fma_f32 v13, v214, v118, -v13
	v_dual_mul_f32 v27, v214, v119 :: v_dual_mul_f32 v29, v216, v121
	s_wait_loadcnt_dscnt 0xe09
	v_dual_mul_f32 v15, v217, v121 :: v_dual_mul_f32 v17, v219, v123
	s_delay_alu instid0(VALU_DEP_2) | instskip(SKIP_1) | instid1(VALU_DEP_3)
	v_dual_fmac_f32 v21, v209, v112 :: v_dual_fmac_f32 v27, v215, v118
	v_dual_add_f32 v5, v5, v19 :: v_dual_fma_f32 v11, v212, v116, -v11
	v_dual_add_f32 v9, v9, v69 :: v_dual_fma_f32 v15, v216, v120, -v15
	v_mul_f32_e32 v19, v221, v125
	s_wait_loadcnt_dscnt 0xd08
	s_delay_alu instid0(VALU_DEP_3) | instskip(NEXT) | instid1(VALU_DEP_3)
	v_dual_add_f32 v5, v5, v21 :: v_dual_mul_f32 v21, v223, v127
	v_add_f32_e32 v9, v9, v67
	s_wait_loadcnt_dscnt 0xc07
	v_dual_mul_f32 v39, v226, v131 :: v_dual_mul_f32 v41, v228, v133
	s_delay_alu instid0(VALU_DEP_3) | instskip(NEXT) | instid1(VALU_DEP_3)
	v_dual_fma_f32 v19, v220, v124, -v19 :: v_dual_fma_f32 v21, v222, v126, -v21
	v_add_f32_e32 v9, v9, v11
	v_mul_f32_e32 v11, v227, v131
	v_dual_add_f32 v5, v5, v23 :: v_dual_fma_f32 v17, v218, v122, -v17
	s_delay_alu instid0(VALU_DEP_3) | instskip(NEXT) | instid1(VALU_DEP_3)
	v_dual_fmac_f32 v39, v227, v130 :: v_dual_add_f32 v9, v9, v13
	v_dual_mul_f32 v13, v229, v133 :: v_dual_fma_f32 v11, v226, v130, -v11
	v_dual_mul_f32 v31, v218, v123 :: v_dual_mul_f32 v33, v220, v125
	s_delay_alu instid0(VALU_DEP_2) | instskip(NEXT) | instid1(VALU_DEP_2)
	v_dual_add_f32 v9, v9, v15 :: v_dual_fma_f32 v13, v228, v132, -v13
	v_dual_fmac_f32 v25, v213, v116 :: v_dual_fmac_f32 v31, v219, v122
	v_dual_mul_f32 v35, v222, v127 :: v_dual_mul_f32 v37, v224, v129
	s_wait_loadcnt_dscnt 0xa05
	s_delay_alu instid0(VALU_DEP_3) | instskip(SKIP_3) | instid1(VALU_DEP_4)
	v_dual_add_f32 v9, v9, v17 :: v_dual_mul_f32 v47, v234, v139
	v_mul_f32_e32 v49, v236, v141
	v_dual_mul_f32 v23, v225, v129 :: v_dual_mul_f32 v15, v231, v135
	v_dual_add_f32 v5, v5, v25 :: v_dual_fmac_f32 v35, v223, v126
	v_dual_add_f32 v9, v9, v19 :: v_dual_fmac_f32 v47, v235, v138
	v_dual_fmac_f32 v29, v217, v120 :: v_dual_mul_f32 v19, v235, v139
	s_delay_alu instid0(VALU_DEP_3) | instskip(SKIP_1) | instid1(VALU_DEP_3)
	v_dual_add_f32 v5, v5, v27 :: v_dual_fma_f32 v23, v224, v128, -v23
	s_wait_loadcnt_dscnt 0x803
	v_dual_add_f32 v9, v9, v21 :: v_dual_mul_f32 v55, v242, v147
	v_mul_f32_e32 v57, v244, v149
	s_delay_alu instid0(VALU_DEP_3) | instskip(NEXT) | instid1(VALU_DEP_3)
	v_dual_add_f32 v5, v5, v29 :: v_dual_mul_f32 v43, v230, v135
	v_dual_mul_f32 v45, v232, v137 :: v_dual_add_f32 v9, v9, v23
	v_dual_mul_f32 v23, v239, v143 :: v_dual_fmac_f32 v33, v221, v124
	s_delay_alu instid0(VALU_DEP_3) | instskip(SKIP_1) | instid1(VALU_DEP_3)
	v_dual_fmac_f32 v43, v231, v134 :: v_dual_add_f32 v5, v5, v31
	v_fma_f32 v15, v230, v134, -v15
	v_dual_fma_f32 v23, v238, v142, -v23 :: v_dual_add_f32 v9, v9, v11
	v_dual_fmac_f32 v55, v243, v146 :: v_dual_mul_f32 v17, v233, v137
	s_wait_loadcnt_dscnt 0x702
	v_dual_fmac_f32 v45, v233, v136 :: v_dual_mul_f32 v59, v246, v151
	v_mul_f32_e32 v61, v248, v153
	v_add_f32_e32 v9, v9, v13
	v_dual_add_f32 v5, v5, v33 :: v_dual_fma_f32 v17, v232, v136, -v17
	v_dual_fmac_f32 v37, v225, v128 :: v_dual_fma_f32 v19, v234, v138, -v19
	s_delay_alu instid0(VALU_DEP_3) | instskip(SKIP_1) | instid1(VALU_DEP_4)
	v_dual_add_f32 v9, v9, v15 :: v_dual_fmac_f32 v59, v247, v150
	v_dual_mul_f32 v21, v237, v141 :: v_dual_fmac_f32 v49, v237, v140
	v_add_f32_e32 v5, v5, v35
	s_delay_alu instid0(VALU_DEP_3) | instskip(SKIP_1) | instid1(VALU_DEP_3)
	v_dual_add_f32 v9, v9, v17 :: v_dual_mul_f32 v51, v238, v143
	v_mul_f32_e32 v53, v240, v145
	v_dual_fma_f32 v21, v236, v140, -v21 :: v_dual_add_f32 v5, v5, v37
	s_delay_alu instid0(VALU_DEP_3) | instskip(SKIP_1) | instid1(VALU_DEP_4)
	v_add_f32_e32 v9, v9, v19
	v_fmac_f32_e32 v41, v229, v132
	v_dual_mul_f32 v11, v241, v145 :: v_dual_fmac_f32 v53, v241, v144
	s_delay_alu instid0(VALU_DEP_4) | instskip(NEXT) | instid1(VALU_DEP_4)
	v_dual_fmac_f32 v51, v239, v142 :: v_dual_add_f32 v5, v5, v39
	v_dual_add_f32 v9, v9, v21 :: v_dual_mul_f32 v13, v243, v147
	s_wait_loadcnt_dscnt 0x601
	s_delay_alu instid0(VALU_DEP_3) | instskip(NEXT) | instid1(VALU_DEP_3)
	v_dual_mul_f32 v21, v251, v155 :: v_dual_fma_f32 v11, v240, v144, -v11
	v_add_f32_e32 v5, v5, v41
	s_delay_alu instid0(VALU_DEP_3) | instskip(SKIP_1) | instid1(VALU_DEP_3)
	v_add_f32_e32 v9, v9, v23
	v_dual_mul_f32 v15, v245, v149 :: v_dual_fmac_f32 v57, v245, v148
	v_dual_fma_f32 v13, v242, v146, -v13 :: v_dual_add_f32 v5, v5, v43
	s_delay_alu instid0(VALU_DEP_3) | instskip(NEXT) | instid1(VALU_DEP_3)
	v_add_f32_e32 v9, v9, v11
	v_dual_mul_f32 v17, v247, v151 :: v_dual_fma_f32 v15, v244, v148, -v15
	v_dual_mul_f32 v63, v250, v155 :: v_dual_mul_f32 v65, v252, v157
	s_delay_alu instid0(VALU_DEP_2) | instskip(NEXT) | instid1(VALU_DEP_4)
	v_dual_add_f32 v5, v5, v45 :: v_dual_fma_f32 v17, v246, v150, -v17
	v_add_f32_e32 v9, v9, v13
	v_dual_mul_f32 v19, v249, v153 :: v_dual_fmac_f32 v61, v249, v152
	s_delay_alu instid0(VALU_DEP_3) | instskip(NEXT) | instid1(VALU_DEP_3)
	v_dual_add_f32 v5, v5, v47 :: v_dual_fmac_f32 v63, v251, v154
	v_add_f32_e32 v9, v9, v15
	v_dual_mul_f32 v23, v253, v157 :: v_dual_fmac_f32 v65, v253, v156
	s_delay_alu instid0(VALU_DEP_3) | instskip(NEXT) | instid1(VALU_DEP_3)
	v_dual_add_f32 v5, v5, v49 :: v_dual_fma_f32 v15, v248, v152, -v19
	v_dual_add_f32 v9, v9, v17 :: v_dual_fma_f32 v17, v250, v154, -v21
	s_wait_loadcnt_dscnt 0x500
	v_mul_f32_e32 v11, v255, v159
	s_set_vgpr_msb 64                       ;  msbs: dst=1 src0=0 src1=0 src2=0
	v_mul_f32_e32 v13 /*v269*/, v254, v159
	s_set_vgpr_msb 1                        ;  msbs: dst=0 src0=1 src1=0 src2=0
	v_mul_f32_e32 v13, v1 /*v257*/, v161
	s_set_vgpr_msb 0                        ;  msbs: dst=0 src0=0 src1=0 src2=0
	v_dual_add_f32 v9, v9, v15 :: v_dual_fma_f32 v15, v252, v156, -v23
	v_add_f32_e32 v5, v5, v51
	s_set_vgpr_msb 0x41                     ;  msbs: dst=1 src0=1 src1=0 src2=0
	v_dual_mul_f32 v15 /*v271*/, v0 /*v256*/, v161 :: v_dual_fma_f32 v14 /*v270*/, v0 /*v256*/, v160, -v13
	s_set_vgpr_msb 0                        ;  msbs: dst=0 src0=0 src1=0 src2=0
	v_add_f32_e32 v9, v9, v17
	s_wait_loadcnt 0x4
	v_pk_mul_f32 v[98:99], v[178:179], v[162:163] op_sel:[1,1] op_sel_hi:[0,1]
	v_add_f32_e32 v5, v5, v53
	s_wait_loadcnt 0x3
	v_dual_mov_b32 v100, v165 :: v_dual_mov_b32 v104, v169
	s_set_vgpr_msb 64                       ;  msbs: dst=1 src0=0 src1=0 src2=0
	v_fma_f32 v12 /*v268*/, v254, v158, -v11
	v_fmac_f32_e32 v13 /*v269*/, v255, v158
	s_set_vgpr_msb 0                        ;  msbs: dst=0 src0=0 src1=0 src2=0
	v_add_f32_e32 v5, v5, v55
	v_add_f32_e32 v106, v9, v15
	s_set_vgpr_msb 0x41                     ;  msbs: dst=1 src0=1 src1=0 src2=0
	v_fmac_f32_e32 v15 /*v271*/, v1 /*v257*/, v160
	s_set_vgpr_msb 0                        ;  msbs: dst=0 src0=0 src1=0 src2=0
	v_pk_fma_f32 v[108:109], v[178:179], v[162:163], v[98:99] op_sel_hi:[1,0,1]
	s_set_vgpr_msb 1                        ;  msbs: dst=0 src0=1 src1=0 src2=0
	v_pk_mul_f32 v[100:101], v[4:5] /*v[260:261]*/, v[100:101] op_sel_hi:[1,0]
	s_set_vgpr_msb 0                        ;  msbs: dst=0 src0=0 src1=0 src2=0
	v_add_f32_e32 v5, v5, v57
	v_pk_fma_f32 v[98:99], v[178:179], v[162:163], v[98:99] neg_lo:[0,0,1] neg_hi:[0,0,1]
	v_pk_mul_f32 v[102:103], v[182:183], v[166:167] op_sel:[1,1] op_sel_hi:[0,1]
	v_mov_b32_e32 v99, v109
	v_pk_fma_f32 v[108:109], v[180:181], v[164:165], v[100:101] op_sel_hi:[1,0,1]
	v_add_f32_e32 v5, v5, v59
	v_pk_fma_f32 v[100:101], v[180:181], v[164:165], v[100:101] neg_lo:[0,0,1] neg_hi:[0,0,1]
	v_pk_fma_f32 v[112:113], v[182:183], v[166:167], v[102:103] op_sel_hi:[1,0,1]
	s_set_vgpr_msb 1                        ;  msbs: dst=0 src0=1 src1=0 src2=0
	v_pk_mul_f32 v[104:105], v[6:7] /*v[262:263]*/, v[104:105] op_sel_hi:[1,0]
	s_set_vgpr_msb 0                        ;  msbs: dst=0 src0=0 src1=0 src2=0
	v_mov_b32_e32 v101, v109
	v_add_f32_e32 v5, v5, v61
	s_wait_loadcnt 0x2
	v_pk_mul_f32 v[110:111], v[194:195], v[170:171] op_sel:[1,1] op_sel_hi:[0,1]
	v_pk_fma_f32 v[102:103], v[182:183], v[166:167], v[102:103] neg_lo:[0,0,1] neg_hi:[0,0,1]
	v_mov_b32_e32 v103, v113
	v_pk_fma_f32 v[108:109], v[184:185], v[168:169], v[104:105] op_sel_hi:[1,0,1]
	v_add_f32_e32 v5, v5, v63
	v_pk_fma_f32 v[104:105], v[184:185], v[168:169], v[104:105] neg_lo:[0,0,1] neg_hi:[0,0,1]
	s_delay_alu instid0(VALU_DEP_2) | instskip(SKIP_1) | instid1(VALU_DEP_1)
	v_add_f32_e32 v107, v5, v65
	s_set_vgpr_msb 4                        ;  msbs: dst=0 src0=0 src1=1 src2=0
	v_pk_add_f32 v[106:107], v[106:107], v[12:13] /*v[268:269]*/
	s_delay_alu instid0(VALU_DEP_1) | instskip(SKIP_1) | instid1(VALU_DEP_1)
	v_pk_add_f32 v[106:107], v[106:107], v[14:15] /*v[270:271]*/
	s_set_vgpr_msb 0                        ;  msbs: dst=0 src0=0 src1=0 src2=0
	v_pk_add_f32 v[98:99], v[106:107], v[98:99]
	v_mov_b32_e32 v106, v173
	s_delay_alu instid0(VALU_DEP_2) | instskip(SKIP_2) | instid1(VALU_DEP_3)
	v_pk_add_f32 v[98:99], v[98:99], v[100:101]
	v_pk_fma_f32 v[100:101], v[194:195], v[170:171], v[110:111] op_sel_hi:[1,0,1]
	s_set_vgpr_msb 1                        ;  msbs: dst=0 src0=1 src1=0 src2=0
	v_pk_mul_f32 v[106:107], v[8:9] /*v[264:265]*/, v[106:107] op_sel_hi:[1,0]
	s_set_vgpr_msb 0                        ;  msbs: dst=0 src0=0 src1=0 src2=0
	v_mov_b32_e32 v105, v109
	v_pk_fma_f32 v[108:109], v[194:195], v[170:171], v[110:111] neg_lo:[0,0,1] neg_hi:[0,0,1]
	v_pk_add_f32 v[98:99], v[98:99], v[102:103]
	v_mov_b32_e32 v109, v101
	v_pk_fma_f32 v[100:101], v[196:197], v[172:173], v[106:107] op_sel_hi:[1,0,1]
	s_wait_loadcnt 0x1
	v_pk_mul_f32 v[102:103], v[198:199], v[174:175] op_sel:[1,1] op_sel_hi:[0,1]
	v_mov_b32_e32 v100, v177
	v_pk_add_f32 v[98:99], v[98:99], v[104:105]
	v_pk_fma_f32 v[106:107], v[196:197], v[172:173], v[106:107] neg_lo:[0,0,1] neg_hi:[0,0,1]
	v_mov_b32_e32 v107, v101
	v_pk_fma_f32 v[104:105], v[198:199], v[174:175], v[102:103] op_sel_hi:[1,0,1]
	s_set_vgpr_msb 1                        ;  msbs: dst=0 src0=1 src1=0 src2=0
	v_pk_mul_f32 v[100:101], v[10:11] /*v[266:267]*/, v[100:101] op_sel_hi:[1,0]
	s_set_vgpr_msb 0                        ;  msbs: dst=0 src0=0 src1=0 src2=0
	v_pk_add_f32 v[98:99], v[98:99], v[108:109]
	v_pk_fma_f32 v[102:103], v[198:199], v[174:175], v[102:103] neg_lo:[0,0,1] neg_hi:[0,0,1]
	v_mov_b32_e32 v103, v105
	v_pk_fma_f32 v[104:105], v[200:201], v[176:177], v[100:101] op_sel_hi:[1,0,1]
	s_delay_alu instid0(VALU_DEP_4) | instskip(SKIP_1) | instid1(VALU_DEP_3)
	v_pk_add_f32 v[98:99], v[98:99], v[106:107]
	v_pk_fma_f32 v[100:101], v[200:201], v[176:177], v[100:101] neg_lo:[0,0,1] neg_hi:[0,0,1]
	v_mov_b32_e32 v101, v105
	s_delay_alu instid0(VALU_DEP_3) | instskip(NEXT) | instid1(VALU_DEP_1)
	v_pk_add_f32 v[98:99], v[98:99], v[102:103]
	v_pk_add_f32 v[98:99], v[98:99], v[100:101]
	s_wait_loadcnt 0x0
	s_set_vgpr_msb 1                        ;  msbs: dst=0 src0=1 src1=0 src2=0
	s_delay_alu instid0(VALU_DEP_1)
	v_pk_add_f32 v[98:99], v[2:3] /*v[258:259]*/, v[98:99] neg_lo:[0,1] neg_hi:[0,1]
	scratch_store_b64 off, v[98:99], off offset:56
	s_wait_xcnt 0x0
	v_cmpx_lt_u32_e32 6, v0
	s_set_vgpr_msb 0                        ;  msbs: dst=0 src0=0 src1=0 src2=0
	s_cbranch_execz .LBB47_289
; %bb.288:
	scratch_load_b64 v[98:99], off, off offset:48
	v_mov_b64_e32 v[100:101], 0
	scratch_store_b64 off, v[100:101], off offset:48
	s_wait_loadcnt 0x0
	ds_store_b64 v1, v[98:99]
.LBB47_289:
	s_wait_xcnt 0x0
	s_or_b32 exec_lo, exec_lo, s0
	s_wait_storecnt_dscnt 0x0
	s_barrier_signal -1
	s_barrier_wait -1
	s_clause 0x10
	scratch_load_b128 v[102:105], off, off offset:56
	scratch_load_b128 v[110:113], off, off offset:72
	;; [unrolled: 1-line block ×17, first 2 shown]
	v_mov_b32_e32 v5, 0
	s_mov_b32 s0, exec_lo
	ds_load_2addr_b64 v[98:101], v5 offset0:55 offset1:56
	ds_load_2addr_b64 v[106:109], v5 offset0:57 offset1:58
	s_wait_loadcnt_dscnt 0x1001
	v_mul_f32_e32 v9, v98, v103
	ds_load_2addr_b64 v[210:213], v5 offset0:83 offset1:84
	ds_load_2addr_b64 v[218:221], v5 offset0:85 offset1:86
	v_mul_f32_e32 v11, v100, v105
	ds_load_2addr_b64 v[114:117], v5 offset0:59 offset1:60
	ds_load_2addr_b64 v[122:125], v5 offset0:61 offset1:62
	v_fmac_f32_e32 v9, v99, v102
	ds_load_2addr_b64 v[226:229], v5 offset0:87 offset1:88
	v_fmac_f32_e32 v11, v101, v104
	ds_load_2addr_b64 v[130:133], v5 offset0:63 offset1:64
	ds_load_2addr_b64 v[138:141], v5 offset0:65 offset1:66
	v_add_f32_e32 v9, 0, v9
	ds_load_2addr_b64 v[146:149], v5 offset0:67 offset1:68
	ds_load_2addr_b64 v[154:157], v5 offset0:69 offset1:70
	;; [unrolled: 1-line block ×4, first 2 shown]
	v_add_f32_e32 v9, v9, v11
	s_wait_loadcnt_dscnt 0xf0b
	v_mul_f32_e32 v11, v106, v111
	ds_load_2addr_b64 v[178:181], v5 offset0:75 offset1:76
	ds_load_2addr_b64 v[186:189], v5 offset0:77 offset1:78
	;; [unrolled: 1-line block ×4, first 2 shown]
	s_wait_loadcnt_dscnt 0xd0d
	v_dual_mul_f32 v249, v220, v225 :: v_dual_fmac_f32 v11, v107, v110
	s_clause 0x3
	scratch_load_b128 v[234:237], off, off offset:328
	scratch_load_b128 v[238:241], off, off offset:344
	;; [unrolled: 1-line block ×3, first 2 shown]
	scratch_load_b64 v[252:253], off, off offset:376
	s_wait_loadcnt_dscnt 0xe0a
	v_mul_f32_e32 v251, v226, v231
	v_dual_add_f32 v9, v9, v11 :: v_dual_mul_f32 v11, v108, v113
	s_delay_alu instid0(VALU_DEP_2) | instskip(NEXT) | instid1(VALU_DEP_2)
	v_dual_fmac_f32 v249, v221, v224 :: v_dual_fmac_f32 v251, v227, v230
	v_fmac_f32_e32 v11, v109, v112
	s_delay_alu instid0(VALU_DEP_1) | instskip(SKIP_1) | instid1(VALU_DEP_1)
	v_add_f32_e32 v9, v9, v11
	v_mul_f32_e32 v11, v114, v119
	v_fmac_f32_e32 v11, v115, v118
	s_delay_alu instid0(VALU_DEP_1) | instskip(NEXT) | instid1(VALU_DEP_1)
	v_dual_add_f32 v9, v9, v11 :: v_dual_mul_f32 v11, v116, v121
	v_fmac_f32_e32 v11, v117, v120
	s_delay_alu instid0(VALU_DEP_1) | instskip(SKIP_1) | instid1(VALU_DEP_1)
	v_add_f32_e32 v9, v9, v11
	v_mul_f32_e32 v11, v122, v127
	v_fmac_f32_e32 v11, v123, v126
	s_delay_alu instid0(VALU_DEP_1) | instskip(NEXT) | instid1(VALU_DEP_1)
	v_dual_add_f32 v9, v9, v11 :: v_dual_mul_f32 v11, v124, v129
	v_fmac_f32_e32 v11, v125, v128
	s_delay_alu instid0(VALU_DEP_1) | instskip(SKIP_2) | instid1(VALU_DEP_1)
	v_add_f32_e32 v9, v9, v11
	s_wait_loadcnt_dscnt 0xd09
	v_mul_f32_e32 v11, v130, v135
	v_fmac_f32_e32 v11, v131, v134
	s_delay_alu instid0(VALU_DEP_1) | instskip(NEXT) | instid1(VALU_DEP_1)
	v_dual_add_f32 v9, v9, v11 :: v_dual_mul_f32 v11, v132, v137
	v_fmac_f32_e32 v11, v133, v136
	s_delay_alu instid0(VALU_DEP_1) | instskip(SKIP_2) | instid1(VALU_DEP_1)
	v_add_f32_e32 v9, v9, v11
	s_wait_loadcnt_dscnt 0xc08
	;; [unrolled: 8-line block ×10, first 2 shown]
	v_mul_f32_e32 v11, v202, v207
	v_fmac_f32_e32 v11, v203, v206
	s_delay_alu instid0(VALU_DEP_1) | instskip(NEXT) | instid1(VALU_DEP_1)
	v_dual_add_f32 v9, v9, v11 :: v_dual_mul_f32 v11, v204, v209
	v_fmac_f32_e32 v11, v205, v208
	s_delay_alu instid0(VALU_DEP_1) | instskip(SKIP_1) | instid1(VALU_DEP_1)
	v_add_f32_e32 v9, v9, v11
	v_mul_f32_e32 v11, v210, v215
	v_fmac_f32_e32 v11, v211, v214
	s_delay_alu instid0(VALU_DEP_1) | instskip(NEXT) | instid1(VALU_DEP_1)
	v_dual_add_f32 v9, v9, v11 :: v_dual_mul_f32 v11, v212, v217
	v_fmac_f32_e32 v11, v213, v216
	s_delay_alu instid0(VALU_DEP_1) | instskip(SKIP_1) | instid1(VALU_DEP_1)
	v_add_f32_e32 v9, v9, v11
	v_mul_f32_e32 v11, v218, v223
	v_fmac_f32_e32 v11, v219, v222
	s_delay_alu instid0(VALU_DEP_1) | instskip(SKIP_1) | instid1(VALU_DEP_1)
	v_add_f32_e32 v247, v9, v11
	v_dual_mul_f32 v9, v99, v103 :: v_dual_mul_f32 v11, v101, v105
	v_dual_fma_f32 v9, v98, v102, -v9 :: v_dual_fma_f32 v11, v100, v104, -v11
	s_delay_alu instid0(VALU_DEP_1) | instskip(NEXT) | instid1(VALU_DEP_1)
	v_add_f32_e32 v9, 0, v9
	v_add_f32_e32 v9, v9, v11
	v_mul_f32_e32 v11, v107, v111
	s_delay_alu instid0(VALU_DEP_1) | instskip(NEXT) | instid1(VALU_DEP_1)
	v_fma_f32 v11, v106, v110, -v11
	v_add_f32_e32 v9, v9, v11
	v_mul_f32_e32 v11, v109, v113
	s_delay_alu instid0(VALU_DEP_1)
	v_fma_f32 v11, v108, v112, -v11
	ds_load_2addr_b64 v[98:101], v5 offset0:89 offset1:90
	ds_load_2addr_b64 v[102:105], v5 offset0:91 offset1:92
	;; [unrolled: 1-line block ×3, first 2 shown]
	ds_load_b64 v[110:111], v5 offset:760
	v_add_f32_e32 v9, v9, v11
	v_dual_mul_f32 v11, v115, v119 :: v_dual_mov_b32 v115, v228
	s_delay_alu instid0(VALU_DEP_1) | instskip(NEXT) | instid1(VALU_DEP_1)
	v_dual_fma_f32 v11, v114, v118, -v11 :: v_dual_mov_b32 v114, v229
	v_add_f32_e32 v9, v9, v11
	v_mul_f32_e32 v11, v117, v121
	s_delay_alu instid0(VALU_DEP_1) | instskip(NEXT) | instid1(VALU_DEP_1)
	v_dual_fma_f32 v11, v116, v120, -v11 :: v_dual_mov_b32 v116, v233
	v_add_f32_e32 v9, v9, v11
	v_mul_f32_e32 v11, v123, v127
	s_delay_alu instid0(VALU_DEP_3) | instskip(NEXT) | instid1(VALU_DEP_2)
	v_pk_mul_f32 v[114:115], v[114:115], v[116:117] op_sel_hi:[1,0]
	v_fma_f32 v11, v122, v126, -v11
	s_delay_alu instid0(VALU_DEP_2) | instskip(SKIP_1) | instid1(VALU_DEP_3)
	v_pk_fma_f32 v[116:117], v[228:229], v[232:233], v[114:115] neg_lo:[0,0,1] neg_hi:[0,0,1]
	v_pk_fma_f32 v[114:115], v[228:229], v[232:233], v[114:115] op_sel_hi:[1,0,1]
	v_add_f32_e32 v9, v9, v11
	s_delay_alu instid0(VALU_DEP_2) | instskip(SKIP_2) | instid1(VALU_DEP_2)
	v_dual_mul_f32 v11, v125, v129 :: v_dual_mov_b32 v117, v115
	s_wait_loadcnt_dscnt 0x303
	v_pk_mul_f32 v[114:115], v[98:99], v[234:235] op_sel:[1,1] op_sel_hi:[0,1]
	v_fma_f32 v11, v124, v128, -v11
	s_delay_alu instid0(VALU_DEP_1) | instskip(SKIP_1) | instid1(VALU_DEP_1)
	v_add_f32_e32 v9, v9, v11
	v_mul_f32_e32 v11, v131, v135
	v_fma_f32 v11, v130, v134, -v11
	s_delay_alu instid0(VALU_DEP_1) | instskip(SKIP_1) | instid1(VALU_DEP_1)
	v_add_f32_e32 v9, v9, v11
	v_mul_f32_e32 v11, v133, v137
	;; [unrolled: 4-line block ×24, first 2 shown]
	v_dual_fma_f32 v248, v220, v224, -v9 :: v_dual_mul_f32 v9, v227, v231
	s_delay_alu instid0(VALU_DEP_1) | instskip(NEXT) | instid1(VALU_DEP_2)
	v_pk_add_f32 v[112:113], v[246:247], v[248:249]
	v_fma_f32 v250, v226, v230, -v9
	s_delay_alu instid0(VALU_DEP_1) | instskip(NEXT) | instid1(VALU_DEP_1)
	v_pk_add_f32 v[112:113], v[112:113], v[250:251]
	v_pk_add_f32 v[112:113], v[112:113], v[116:117]
	v_pk_fma_f32 v[116:117], v[98:99], v[234:235], v[114:115] neg_lo:[0,0,1] neg_hi:[0,0,1]
	v_pk_fma_f32 v[98:99], v[98:99], v[234:235], v[114:115] op_sel_hi:[1,0,1]
	s_delay_alu instid0(VALU_DEP_1) | instskip(NEXT) | instid1(VALU_DEP_1)
	v_dual_mov_b32 v114, v237 :: v_dual_mov_b32 v117, v99
	v_pk_add_f32 v[98:99], v[112:113], v[116:117]
	v_dual_mov_b32 v112, v101 :: v_dual_mov_b32 v113, v100
	s_delay_alu instid0(VALU_DEP_1) | instskip(NEXT) | instid1(VALU_DEP_1)
	v_pk_mul_f32 v[112:113], v[112:113], v[114:115] op_sel_hi:[1,0]
	v_pk_fma_f32 v[114:115], v[100:101], v[236:237], v[112:113] neg_lo:[0,0,1] neg_hi:[0,0,1]
	v_pk_fma_f32 v[100:101], v[100:101], v[236:237], v[112:113] op_sel_hi:[1,0,1]
	s_delay_alu instid0(VALU_DEP_1) | instskip(SKIP_2) | instid1(VALU_DEP_2)
	v_mov_b32_e32 v115, v101
	s_wait_loadcnt_dscnt 0x202
	v_pk_mul_f32 v[100:101], v[102:103], v[238:239] op_sel:[1,1] op_sel_hi:[0,1]
	v_pk_add_f32 v[98:99], v[98:99], v[114:115]
	s_delay_alu instid0(VALU_DEP_2) | instskip(SKIP_2) | instid1(VALU_DEP_2)
	v_pk_fma_f32 v[112:113], v[102:103], v[238:239], v[100:101] neg_lo:[0,0,1] neg_hi:[0,0,1]
	v_pk_fma_f32 v[100:101], v[102:103], v[238:239], v[100:101] op_sel_hi:[1,0,1]
	v_dual_mov_b32 v100, v105 :: v_dual_mov_b32 v102, v241
	v_dual_mov_b32 v113, v101 :: v_dual_mov_b32 v101, v104
	s_delay_alu instid0(VALU_DEP_1) | instskip(NEXT) | instid1(VALU_DEP_2)
	v_pk_add_f32 v[98:99], v[98:99], v[112:113]
	v_pk_mul_f32 v[100:101], v[100:101], v[102:103] op_sel_hi:[1,0]
	s_delay_alu instid0(VALU_DEP_1) | instskip(SKIP_1) | instid1(VALU_DEP_1)
	v_pk_fma_f32 v[102:103], v[104:105], v[240:241], v[100:101] neg_lo:[0,0,1] neg_hi:[0,0,1]
	v_pk_fma_f32 v[100:101], v[104:105], v[240:241], v[100:101] op_sel_hi:[1,0,1]
	v_mov_b32_e32 v103, v101
	s_wait_loadcnt_dscnt 0x101
	v_pk_mul_f32 v[100:101], v[106:107], v[242:243] op_sel:[1,1] op_sel_hi:[0,1]
	s_delay_alu instid0(VALU_DEP_2) | instskip(NEXT) | instid1(VALU_DEP_2)
	v_pk_add_f32 v[98:99], v[98:99], v[102:103]
	v_pk_fma_f32 v[102:103], v[106:107], v[242:243], v[100:101] neg_lo:[0,0,1] neg_hi:[0,0,1]
	v_pk_fma_f32 v[100:101], v[106:107], v[242:243], v[100:101] op_sel_hi:[1,0,1]
	s_delay_alu instid0(VALU_DEP_1) | instskip(SKIP_1) | instid1(VALU_DEP_2)
	v_dual_mov_b32 v100, v109 :: v_dual_mov_b32 v103, v101
	v_mov_b32_e32 v101, v108
	v_pk_add_f32 v[98:99], v[98:99], v[102:103]
	v_mov_b32_e32 v102, v245
	s_delay_alu instid0(VALU_DEP_1) | instskip(NEXT) | instid1(VALU_DEP_1)
	v_pk_mul_f32 v[100:101], v[100:101], v[102:103] op_sel_hi:[1,0]
	v_pk_fma_f32 v[102:103], v[108:109], v[244:245], v[100:101] neg_lo:[0,0,1] neg_hi:[0,0,1]
	v_pk_fma_f32 v[100:101], v[108:109], v[244:245], v[100:101] op_sel_hi:[1,0,1]
	s_delay_alu instid0(VALU_DEP_1) | instskip(SKIP_2) | instid1(VALU_DEP_2)
	v_mov_b32_e32 v103, v101
	s_wait_loadcnt_dscnt 0x0
	v_pk_mul_f32 v[100:101], v[110:111], v[252:253] op_sel:[1,1] op_sel_hi:[0,1]
	v_pk_add_f32 v[98:99], v[98:99], v[102:103]
	s_delay_alu instid0(VALU_DEP_2) | instskip(SKIP_1) | instid1(VALU_DEP_1)
	v_pk_fma_f32 v[102:103], v[110:111], v[252:253], v[100:101] neg_lo:[0,0,1] neg_hi:[0,0,1]
	v_pk_fma_f32 v[100:101], v[110:111], v[252:253], v[100:101] op_sel_hi:[1,0,1]
	v_mov_b32_e32 v103, v101
	scratch_load_b64 v[100:101], off, off offset:48
	v_pk_add_f32 v[98:99], v[98:99], v[102:103]
	s_wait_loadcnt 0x0
	s_delay_alu instid0(VALU_DEP_1)
	v_pk_add_f32 v[98:99], v[100:101], v[98:99] neg_lo:[0,1] neg_hi:[0,1]
	scratch_store_b64 off, v[98:99], off offset:48
	s_wait_xcnt 0x0
	v_cmpx_lt_u32_e32 5, v0
	s_cbranch_execz .LBB47_291
; %bb.290:
	scratch_load_b64 v[98:99], off, off offset:40
	v_mov_b64_e32 v[100:101], 0
	scratch_store_b64 off, v[100:101], off offset:40
	s_wait_loadcnt 0x0
	ds_store_b64 v1, v[98:99]
.LBB47_291:
	s_wait_xcnt 0x0
	s_or_b32 exec_lo, exec_lo, s0
	s_wait_storecnt_dscnt 0x0
	s_barrier_signal -1
	s_barrier_wait -1
	ds_load_b128 v[98:101], v5 offset:432
	ds_load_b128 v[102:105], v5 offset:448
	;; [unrolled: 1-line block ×4, first 2 shown]
	s_clause 0x10
	scratch_load_b128 v[114:117], off, off offset:48
	scratch_load_b128 v[118:121], off, off offset:64
	;; [unrolled: 1-line block ×17, first 2 shown]
	ds_load_b128 v[226:229], v5 offset:688
	ds_load_b128 v[130:133], v5 offset:496
	ds_load_b128 v[138:141], v5 offset:512
	ds_load_b128 v[146:149], v5 offset:528
	ds_load_b128 v[154:157], v5 offset:544
	ds_load_b128 v[162:165], v5 offset:560
	ds_load_b128 v[170:173], v5 offset:576
	ds_load_b128 v[178:181], v5 offset:592
	ds_load_b128 v[186:189], v5 offset:608
	ds_load_b128 v[194:197], v5 offset:624
	ds_load_b128 v[202:205], v5 offset:640
	ds_load_b128 v[210:213], v5 offset:656
	ds_load_b128 v[218:221], v5 offset:672
	s_clause 0x3
	scratch_load_b128 v[234:237], off, off offset:320
	scratch_load_b128 v[238:241], off, off offset:336
	;; [unrolled: 1-line block ×4, first 2 shown]
	s_mov_b32 s0, exec_lo
	s_wait_loadcnt_dscnt 0x1410
	v_dual_mul_f32 v9, v98, v115 :: v_dual_mul_f32 v11, v100, v117
	s_wait_loadcnt_dscnt 0x100c
	s_delay_alu instid0(VALU_DEP_1) | instskip(NEXT) | instid1(VALU_DEP_2)
	v_dual_mul_f32 v253, v226, v231 :: v_dual_fmac_f32 v9, v99, v114
	v_dual_fmac_f32 v11, v101, v116 :: v_dual_mul_f32 v255, v228, v233
	s_delay_alu instid0(VALU_DEP_2) | instskip(NEXT) | instid1(VALU_DEP_2)
	v_dual_fmac_f32 v253, v227, v230 :: v_dual_add_f32 v9, 0, v9
	v_fmac_f32_e32 v255, v229, v232
	s_delay_alu instid0(VALU_DEP_2) | instskip(SKIP_1) | instid1(VALU_DEP_1)
	v_add_f32_e32 v9, v9, v11
	v_mul_f32_e32 v11, v102, v119
	v_fmac_f32_e32 v11, v103, v118
	s_delay_alu instid0(VALU_DEP_1) | instskip(NEXT) | instid1(VALU_DEP_1)
	v_dual_add_f32 v9, v9, v11 :: v_dual_mul_f32 v11, v104, v121
	v_fmac_f32_e32 v11, v105, v120
	s_delay_alu instid0(VALU_DEP_1) | instskip(SKIP_1) | instid1(VALU_DEP_1)
	v_add_f32_e32 v9, v9, v11
	v_mul_f32_e32 v11, v106, v123
	v_fmac_f32_e32 v11, v107, v122
	s_delay_alu instid0(VALU_DEP_1) | instskip(NEXT) | instid1(VALU_DEP_1)
	v_dual_add_f32 v9, v9, v11 :: v_dual_mul_f32 v11, v108, v125
	v_fmac_f32_e32 v11, v109, v124
	s_delay_alu instid0(VALU_DEP_1) | instskip(SKIP_1) | instid1(VALU_DEP_1)
	v_add_f32_e32 v9, v9, v11
	v_mul_f32_e32 v11, v110, v127
	v_fmac_f32_e32 v11, v111, v126
	s_delay_alu instid0(VALU_DEP_1) | instskip(NEXT) | instid1(VALU_DEP_1)
	v_dual_add_f32 v9, v9, v11 :: v_dual_mul_f32 v11, v112, v129
	v_fmac_f32_e32 v11, v113, v128
	s_delay_alu instid0(VALU_DEP_1) | instskip(SKIP_2) | instid1(VALU_DEP_1)
	v_add_f32_e32 v9, v9, v11
	s_wait_loadcnt_dscnt 0xf0b
	v_mul_f32_e32 v11, v130, v135
	v_fmac_f32_e32 v11, v131, v134
	s_delay_alu instid0(VALU_DEP_1) | instskip(NEXT) | instid1(VALU_DEP_1)
	v_dual_add_f32 v9, v9, v11 :: v_dual_mul_f32 v11, v132, v137
	v_fmac_f32_e32 v11, v133, v136
	s_delay_alu instid0(VALU_DEP_1) | instskip(SKIP_2) | instid1(VALU_DEP_1)
	v_add_f32_e32 v9, v9, v11
	s_wait_loadcnt_dscnt 0xe0a
	;; [unrolled: 8-line block ×12, first 2 shown]
	v_mul_f32_e32 v11, v218, v223
	v_fmac_f32_e32 v11, v219, v222
	s_delay_alu instid0(VALU_DEP_1) | instskip(NEXT) | instid1(VALU_DEP_1)
	v_dual_add_f32 v9, v9, v11 :: v_dual_mul_f32 v11, v220, v225
	v_fmac_f32_e32 v11, v221, v224
	s_delay_alu instid0(VALU_DEP_1) | instskip(SKIP_1) | instid1(VALU_DEP_1)
	v_add_f32_e32 v251, v9, v11
	v_dual_mul_f32 v9, v99, v115 :: v_dual_mul_f32 v11, v101, v117
	v_dual_fma_f32 v9, v98, v114, -v9 :: v_dual_fma_f32 v11, v100, v116, -v11
	s_delay_alu instid0(VALU_DEP_1) | instskip(NEXT) | instid1(VALU_DEP_1)
	v_add_f32_e32 v9, 0, v9
	v_add_f32_e32 v9, v9, v11
	v_mul_f32_e32 v11, v103, v119
	s_delay_alu instid0(VALU_DEP_1) | instskip(NEXT) | instid1(VALU_DEP_1)
	v_fma_f32 v11, v102, v118, -v11
	v_add_f32_e32 v9, v9, v11
	v_mul_f32_e32 v11, v105, v121
	s_delay_alu instid0(VALU_DEP_1) | instskip(NEXT) | instid1(VALU_DEP_1)
	v_fma_f32 v11, v104, v120, -v11
	;; [unrolled: 4-line block ×5, first 2 shown]
	v_add_f32_e32 v9, v9, v11
	v_mul_f32_e32 v11, v113, v129
	s_delay_alu instid0(VALU_DEP_1)
	v_fma_f32 v11, v112, v128, -v11
	ds_load_b128 v[98:101], v5 offset:704
	ds_load_b128 v[102:105], v5 offset:720
	;; [unrolled: 1-line block ×4, first 2 shown]
	v_add_f32_e32 v9, v9, v11
	v_mul_f32_e32 v11, v131, v135
	s_delay_alu instid0(VALU_DEP_1) | instskip(NEXT) | instid1(VALU_DEP_1)
	v_fma_f32 v11, v130, v134, -v11
	v_add_f32_e32 v9, v9, v11
	v_mul_f32_e32 v11, v133, v137
	s_wait_loadcnt_dscnt 0x303
	v_pk_mul_f32 v[116:117], v[98:99], v[234:235] op_sel:[1,1] op_sel_hi:[0,1]
	s_delay_alu instid0(VALU_DEP_2) | instskip(NEXT) | instid1(VALU_DEP_2)
	v_fma_f32 v11, v132, v136, -v11
	v_pk_fma_f32 v[118:119], v[98:99], v[234:235], v[116:117] neg_lo:[0,0,1] neg_hi:[0,0,1]
	v_pk_fma_f32 v[98:99], v[98:99], v[234:235], v[116:117] op_sel_hi:[1,0,1]
	v_mov_b32_e32 v116, v237
	s_delay_alu instid0(VALU_DEP_4) | instskip(SKIP_1) | instid1(VALU_DEP_1)
	v_add_f32_e32 v9, v9, v11
	v_mul_f32_e32 v11, v139, v143
	v_dual_mov_b32 v119, v99 :: v_dual_fma_f32 v11, v138, v142, -v11
	s_delay_alu instid0(VALU_DEP_1) | instskip(SKIP_1) | instid1(VALU_DEP_1)
	v_add_f32_e32 v9, v9, v11
	v_mul_f32_e32 v11, v141, v145
	v_fma_f32 v11, v140, v144, -v11
	s_delay_alu instid0(VALU_DEP_1) | instskip(SKIP_1) | instid1(VALU_DEP_1)
	v_add_f32_e32 v9, v9, v11
	v_mul_f32_e32 v11, v147, v151
	v_fma_f32 v11, v146, v150, -v11
	s_delay_alu instid0(VALU_DEP_1) | instskip(SKIP_1) | instid1(VALU_DEP_1)
	v_add_f32_e32 v9, v9, v11
	v_mul_f32_e32 v11, v149, v153
	v_fma_f32 v11, v148, v152, -v11
	s_delay_alu instid0(VALU_DEP_1) | instskip(SKIP_1) | instid1(VALU_DEP_1)
	v_add_f32_e32 v9, v9, v11
	v_mul_f32_e32 v11, v155, v159
	v_fma_f32 v11, v154, v158, -v11
	s_delay_alu instid0(VALU_DEP_1) | instskip(SKIP_1) | instid1(VALU_DEP_1)
	v_add_f32_e32 v9, v9, v11
	v_mul_f32_e32 v11, v157, v161
	v_fma_f32 v11, v156, v160, -v11
	s_delay_alu instid0(VALU_DEP_1) | instskip(SKIP_1) | instid1(VALU_DEP_1)
	v_add_f32_e32 v9, v9, v11
	v_mul_f32_e32 v11, v163, v167
	v_fma_f32 v11, v162, v166, -v11
	s_delay_alu instid0(VALU_DEP_1) | instskip(SKIP_1) | instid1(VALU_DEP_1)
	v_add_f32_e32 v9, v9, v11
	v_mul_f32_e32 v11, v165, v169
	v_fma_f32 v11, v164, v168, -v11
	s_delay_alu instid0(VALU_DEP_1) | instskip(SKIP_1) | instid1(VALU_DEP_1)
	v_add_f32_e32 v9, v9, v11
	v_mul_f32_e32 v11, v171, v175
	v_fma_f32 v11, v170, v174, -v11
	s_delay_alu instid0(VALU_DEP_1) | instskip(SKIP_1) | instid1(VALU_DEP_1)
	v_add_f32_e32 v9, v9, v11
	v_mul_f32_e32 v11, v173, v177
	v_fma_f32 v11, v172, v176, -v11
	s_delay_alu instid0(VALU_DEP_1) | instskip(SKIP_1) | instid1(VALU_DEP_1)
	v_add_f32_e32 v9, v9, v11
	v_mul_f32_e32 v11, v179, v183
	v_fma_f32 v11, v178, v182, -v11
	s_delay_alu instid0(VALU_DEP_1) | instskip(SKIP_1) | instid1(VALU_DEP_1)
	v_add_f32_e32 v9, v9, v11
	v_mul_f32_e32 v11, v181, v185
	v_fma_f32 v11, v180, v184, -v11
	s_delay_alu instid0(VALU_DEP_1) | instskip(SKIP_1) | instid1(VALU_DEP_1)
	v_add_f32_e32 v9, v9, v11
	v_mul_f32_e32 v11, v187, v191
	v_fma_f32 v11, v186, v190, -v11
	s_delay_alu instid0(VALU_DEP_1) | instskip(SKIP_1) | instid1(VALU_DEP_1)
	v_add_f32_e32 v9, v9, v11
	v_mul_f32_e32 v11, v189, v193
	v_fma_f32 v11, v188, v192, -v11
	s_delay_alu instid0(VALU_DEP_1) | instskip(SKIP_1) | instid1(VALU_DEP_1)
	v_add_f32_e32 v9, v9, v11
	v_mul_f32_e32 v11, v195, v199
	v_fma_f32 v11, v194, v198, -v11
	s_delay_alu instid0(VALU_DEP_1) | instskip(SKIP_1) | instid1(VALU_DEP_1)
	v_add_f32_e32 v9, v9, v11
	v_mul_f32_e32 v11, v197, v201
	v_fma_f32 v11, v196, v200, -v11
	s_delay_alu instid0(VALU_DEP_1) | instskip(SKIP_1) | instid1(VALU_DEP_1)
	v_add_f32_e32 v9, v9, v11
	v_mul_f32_e32 v11, v203, v207
	v_fma_f32 v11, v202, v206, -v11
	s_delay_alu instid0(VALU_DEP_1) | instskip(SKIP_1) | instid1(VALU_DEP_1)
	v_add_f32_e32 v9, v9, v11
	v_mul_f32_e32 v11, v205, v209
	v_fma_f32 v11, v204, v208, -v11
	s_delay_alu instid0(VALU_DEP_1) | instskip(SKIP_1) | instid1(VALU_DEP_1)
	v_add_f32_e32 v9, v9, v11
	v_mul_f32_e32 v11, v211, v215
	v_fma_f32 v11, v210, v214, -v11
	s_delay_alu instid0(VALU_DEP_1) | instskip(SKIP_1) | instid1(VALU_DEP_1)
	v_add_f32_e32 v9, v9, v11
	v_mul_f32_e32 v11, v213, v217
	v_fma_f32 v11, v212, v216, -v11
	s_delay_alu instid0(VALU_DEP_1) | instskip(SKIP_1) | instid1(VALU_DEP_1)
	v_add_f32_e32 v9, v9, v11
	v_mul_f32_e32 v11, v219, v223
	v_fma_f32 v11, v218, v222, -v11
	s_delay_alu instid0(VALU_DEP_1) | instskip(SKIP_1) | instid1(VALU_DEP_1)
	v_add_f32_e32 v9, v9, v11
	v_mul_f32_e32 v11, v221, v225
	v_fma_f32 v11, v220, v224, -v11
	s_delay_alu instid0(VALU_DEP_1) | instskip(SKIP_1) | instid1(VALU_DEP_1)
	v_add_f32_e32 v250, v9, v11
	v_mul_f32_e32 v9, v227, v231
	v_dual_fma_f32 v252, v226, v230, -v9 :: v_dual_mul_f32 v9, v229, v233
	s_delay_alu instid0(VALU_DEP_1) | instskip(NEXT) | instid1(VALU_DEP_2)
	v_pk_add_f32 v[114:115], v[250:251], v[252:253]
	v_fma_f32 v254, v228, v232, -v9
	s_delay_alu instid0(VALU_DEP_1) | instskip(NEXT) | instid1(VALU_DEP_1)
	v_pk_add_f32 v[114:115], v[114:115], v[254:255]
	v_pk_add_f32 v[98:99], v[114:115], v[118:119]
	v_dual_mov_b32 v114, v101 :: v_dual_mov_b32 v115, v100
	s_delay_alu instid0(VALU_DEP_1) | instskip(NEXT) | instid1(VALU_DEP_1)
	v_pk_mul_f32 v[114:115], v[114:115], v[116:117] op_sel_hi:[1,0]
	v_pk_fma_f32 v[116:117], v[100:101], v[236:237], v[114:115] neg_lo:[0,0,1] neg_hi:[0,0,1]
	v_pk_fma_f32 v[100:101], v[100:101], v[236:237], v[114:115] op_sel_hi:[1,0,1]
	s_delay_alu instid0(VALU_DEP_1) | instskip(SKIP_2) | instid1(VALU_DEP_2)
	v_mov_b32_e32 v117, v101
	s_wait_loadcnt_dscnt 0x202
	v_pk_mul_f32 v[100:101], v[102:103], v[238:239] op_sel:[1,1] op_sel_hi:[0,1]
	v_pk_add_f32 v[98:99], v[98:99], v[116:117]
	s_delay_alu instid0(VALU_DEP_2) | instskip(SKIP_2) | instid1(VALU_DEP_2)
	v_pk_fma_f32 v[114:115], v[102:103], v[238:239], v[100:101] neg_lo:[0,0,1] neg_hi:[0,0,1]
	v_pk_fma_f32 v[100:101], v[102:103], v[238:239], v[100:101] op_sel_hi:[1,0,1]
	v_dual_mov_b32 v100, v105 :: v_dual_mov_b32 v102, v241
	v_dual_mov_b32 v115, v101 :: v_dual_mov_b32 v101, v104
	s_delay_alu instid0(VALU_DEP_1) | instskip(NEXT) | instid1(VALU_DEP_2)
	v_pk_add_f32 v[98:99], v[98:99], v[114:115]
	v_pk_mul_f32 v[100:101], v[100:101], v[102:103] op_sel_hi:[1,0]
	s_delay_alu instid0(VALU_DEP_1) | instskip(SKIP_1) | instid1(VALU_DEP_1)
	v_pk_fma_f32 v[102:103], v[104:105], v[240:241], v[100:101] neg_lo:[0,0,1] neg_hi:[0,0,1]
	v_pk_fma_f32 v[100:101], v[104:105], v[240:241], v[100:101] op_sel_hi:[1,0,1]
	v_mov_b32_e32 v103, v101
	s_wait_loadcnt_dscnt 0x101
	v_pk_mul_f32 v[100:101], v[106:107], v[242:243] op_sel:[1,1] op_sel_hi:[0,1]
	s_delay_alu instid0(VALU_DEP_2) | instskip(NEXT) | instid1(VALU_DEP_2)
	v_pk_add_f32 v[98:99], v[98:99], v[102:103]
	v_pk_fma_f32 v[102:103], v[106:107], v[242:243], v[100:101] neg_lo:[0,0,1] neg_hi:[0,0,1]
	v_pk_fma_f32 v[100:101], v[106:107], v[242:243], v[100:101] op_sel_hi:[1,0,1]
	s_delay_alu instid0(VALU_DEP_1) | instskip(SKIP_1) | instid1(VALU_DEP_2)
	v_dual_mov_b32 v100, v109 :: v_dual_mov_b32 v103, v101
	v_mov_b32_e32 v101, v108
	v_pk_add_f32 v[98:99], v[98:99], v[102:103]
	v_mov_b32_e32 v102, v245
	s_delay_alu instid0(VALU_DEP_1) | instskip(NEXT) | instid1(VALU_DEP_1)
	v_pk_mul_f32 v[100:101], v[100:101], v[102:103] op_sel_hi:[1,0]
	v_pk_fma_f32 v[102:103], v[108:109], v[244:245], v[100:101] neg_lo:[0,0,1] neg_hi:[0,0,1]
	v_pk_fma_f32 v[100:101], v[108:109], v[244:245], v[100:101] op_sel_hi:[1,0,1]
	s_delay_alu instid0(VALU_DEP_1) | instskip(SKIP_2) | instid1(VALU_DEP_2)
	v_mov_b32_e32 v103, v101
	s_wait_loadcnt_dscnt 0x0
	v_pk_mul_f32 v[100:101], v[110:111], v[246:247] op_sel:[1,1] op_sel_hi:[0,1]
	v_pk_add_f32 v[98:99], v[98:99], v[102:103]
	s_delay_alu instid0(VALU_DEP_2) | instskip(SKIP_1) | instid1(VALU_DEP_1)
	v_pk_fma_f32 v[102:103], v[110:111], v[246:247], v[100:101] neg_lo:[0,0,1] neg_hi:[0,0,1]
	v_pk_fma_f32 v[100:101], v[110:111], v[246:247], v[100:101] op_sel_hi:[1,0,1]
	v_dual_mov_b32 v100, v113 :: v_dual_mov_b32 v103, v101
	v_mov_b32_e32 v101, v112
	s_delay_alu instid0(VALU_DEP_2) | instskip(SKIP_1) | instid1(VALU_DEP_1)
	v_pk_add_f32 v[98:99], v[98:99], v[102:103]
	v_mov_b32_e32 v102, v249
	v_pk_mul_f32 v[100:101], v[100:101], v[102:103] op_sel_hi:[1,0]
	s_delay_alu instid0(VALU_DEP_1) | instskip(SKIP_1) | instid1(VALU_DEP_1)
	v_pk_fma_f32 v[102:103], v[112:113], v[248:249], v[100:101] neg_lo:[0,0,1] neg_hi:[0,0,1]
	v_pk_fma_f32 v[100:101], v[112:113], v[248:249], v[100:101] op_sel_hi:[1,0,1]
	v_mov_b32_e32 v103, v101
	scratch_load_b64 v[100:101], off, off offset:40
	v_pk_add_f32 v[98:99], v[98:99], v[102:103]
	s_wait_loadcnt 0x0
	s_delay_alu instid0(VALU_DEP_1)
	v_pk_add_f32 v[98:99], v[100:101], v[98:99] neg_lo:[0,1] neg_hi:[0,1]
	scratch_store_b64 off, v[98:99], off offset:40
	s_wait_xcnt 0x0
	v_cmpx_lt_u32_e32 4, v0
	s_cbranch_execz .LBB47_293
; %bb.292:
	scratch_load_b64 v[98:99], off, off offset:32
	v_mov_b64_e32 v[100:101], 0
	scratch_store_b64 off, v[100:101], off offset:32
	s_wait_loadcnt 0x0
	ds_store_b64 v1, v[98:99]
.LBB47_293:
	s_wait_xcnt 0x0
	s_or_b32 exec_lo, exec_lo, s0
	s_wait_storecnt_dscnt 0x0
	s_barrier_signal -1
	s_barrier_wait -1
	s_clause 0xf
	scratch_load_b128 v[102:105], off, off offset:40
	scratch_load_b128 v[110:113], off, off offset:56
	scratch_load_b128 v[118:121], off, off offset:72
	scratch_load_b128 v[126:129], off, off offset:88
	scratch_load_b128 v[134:137], off, off offset:104
	scratch_load_b128 v[142:145], off, off offset:120
	scratch_load_b128 v[150:153], off, off offset:136
	scratch_load_b128 v[158:161], off, off offset:152
	scratch_load_b128 v[166:169], off, off offset:168
	scratch_load_b128 v[174:177], off, off offset:184
	scratch_load_b128 v[182:185], off, off offset:200
	scratch_load_b128 v[190:193], off, off offset:216
	scratch_load_b128 v[198:201], off, off offset:232
	scratch_load_b128 v[206:209], off, off offset:248
	scratch_load_b128 v[214:217], off, off offset:264
	scratch_load_b128 v[222:225], off, off offset:280
	v_mov_b32_e32 v5, 0
	s_clause 0x1
	scratch_load_b128 v[230:233], off, off offset:296
	scratch_load_b128 v[238:241], off, off offset:312
	s_mov_b32 s0, exec_lo
	ds_load_2addr_b64 v[98:101], v5 offset0:53 offset1:54
	ds_load_2addr_b64 v[106:109], v5 offset0:55 offset1:56
	s_wait_loadcnt_dscnt 0x1101
	v_dual_mul_f32 v9, v98, v103 :: v_dual_mul_f32 v11, v100, v105
	ds_load_2addr_b64 v[114:117], v5 offset0:57 offset1:58
	ds_load_2addr_b64 v[122:125], v5 offset0:59 offset1:60
	;; [unrolled: 1-line block ×4, first 2 shown]
	v_dual_fmac_f32 v9, v99, v102 :: v_dual_fmac_f32 v11, v101, v104
	ds_load_2addr_b64 v[130:133], v5 offset0:61 offset1:62
	ds_load_2addr_b64 v[138:141], v5 offset0:63 offset1:64
	;; [unrolled: 1-line block ×4, first 2 shown]
	v_add_f32_e32 v9, 0, v9
	ds_load_2addr_b64 v[162:165], v5 offset0:69 offset1:70
	ds_load_2addr_b64 v[170:173], v5 offset0:71 offset1:72
	;; [unrolled: 1-line block ×4, first 2 shown]
	v_add_f32_e32 v9, v9, v11
	s_wait_loadcnt_dscnt 0x100c
	v_mul_f32_e32 v11, v106, v111
	ds_load_2addr_b64 v[194:197], v5 offset0:77 offset1:78
	ds_load_2addr_b64 v[202:205], v5 offset0:79 offset1:80
	;; [unrolled: 1-line block ×4, first 2 shown]
	v_fmac_f32_e32 v11, v107, v110
	s_clause 0x4
	scratch_load_b128 v[242:245], off, off offset:328
	scratch_load_b128 v[246:249], off, off offset:344
	;; [unrolled: 1-line block ×3, first 2 shown]
	s_set_vgpr_msb 64                       ;  msbs: dst=1 src0=0 src1=0 src2=0
	scratch_load_b64 v[4:5] /*v[260:261]*/, off, off offset:376
	s_wait_loadcnt_dscnt 0x40c
	v_dual_mul_f32 v1 /*v257*/, v228, v233 :: v_dual_mul_f32 v3 /*v259*/, v234, v239
	s_set_vgpr_msb 0                        ;  msbs: dst=0 src0=0 src1=0 src2=0
	v_dual_add_f32 v9, v9, v11 :: v_dual_mul_f32 v11, v108, v113
	s_set_vgpr_msb 64                       ;  msbs: dst=1 src0=0 src1=0 src2=0
	s_delay_alu instid0(VALU_DEP_2) | instskip(SKIP_1) | instid1(VALU_DEP_2)
	v_dual_fmac_f32 v1 /*v257*/, v229, v232 :: v_dual_fmac_f32 v3 /*v259*/, v235, v238
	s_set_vgpr_msb 0                        ;  msbs: dst=0 src0=0 src1=0 src2=0
	v_fmac_f32_e32 v11, v109, v112
	s_delay_alu instid0(VALU_DEP_1) | instskip(SKIP_1) | instid1(VALU_DEP_1)
	v_add_f32_e32 v9, v9, v11
	v_mul_f32_e32 v11, v114, v119
	v_fmac_f32_e32 v11, v115, v118
	s_delay_alu instid0(VALU_DEP_1) | instskip(NEXT) | instid1(VALU_DEP_1)
	v_dual_add_f32 v9, v9, v11 :: v_dual_mul_f32 v11, v116, v121
	v_fmac_f32_e32 v11, v117, v120
	s_delay_alu instid0(VALU_DEP_1) | instskip(SKIP_1) | instid1(VALU_DEP_1)
	v_add_f32_e32 v9, v9, v11
	v_mul_f32_e32 v11, v122, v127
	v_fmac_f32_e32 v11, v123, v126
	s_delay_alu instid0(VALU_DEP_1) | instskip(NEXT) | instid1(VALU_DEP_1)
	v_dual_add_f32 v9, v9, v11 :: v_dual_mul_f32 v11, v124, v129
	v_fmac_f32_e32 v11, v125, v128
	s_delay_alu instid0(VALU_DEP_1) | instskip(SKIP_2) | instid1(VALU_DEP_1)
	v_add_f32_e32 v9, v9, v11
	s_wait_dscnt 0xb
	v_mul_f32_e32 v11, v130, v135
	v_fmac_f32_e32 v11, v131, v134
	s_delay_alu instid0(VALU_DEP_1) | instskip(NEXT) | instid1(VALU_DEP_1)
	v_dual_add_f32 v9, v9, v11 :: v_dual_mul_f32 v11, v132, v137
	v_fmac_f32_e32 v11, v133, v136
	s_delay_alu instid0(VALU_DEP_1) | instskip(SKIP_2) | instid1(VALU_DEP_1)
	v_add_f32_e32 v9, v9, v11
	s_wait_dscnt 0xa
	;; [unrolled: 8-line block ×12, first 2 shown]
	v_mul_f32_e32 v11, v218, v223
	v_fmac_f32_e32 v11, v219, v222
	s_delay_alu instid0(VALU_DEP_1) | instskip(NEXT) | instid1(VALU_DEP_1)
	v_dual_add_f32 v9, v9, v11 :: v_dual_mul_f32 v11, v220, v225
	v_fmac_f32_e32 v11, v221, v224
	s_delay_alu instid0(VALU_DEP_1) | instskip(SKIP_1) | instid1(VALU_DEP_1)
	v_add_f32_e32 v9, v9, v11
	v_mul_f32_e32 v11, v226, v231
	v_fmac_f32_e32 v11, v227, v230
	s_delay_alu instid0(VALU_DEP_1) | instskip(SKIP_1) | instid1(VALU_DEP_1)
	v_add_f32_e32 v255, v9, v11
	v_dual_mul_f32 v9, v99, v103 :: v_dual_mul_f32 v11, v101, v105
	v_dual_fma_f32 v9, v98, v102, -v9 :: v_dual_fma_f32 v11, v100, v104, -v11
	s_delay_alu instid0(VALU_DEP_1) | instskip(NEXT) | instid1(VALU_DEP_1)
	v_add_f32_e32 v9, 0, v9
	v_add_f32_e32 v9, v9, v11
	v_mul_f32_e32 v11, v107, v111
	s_delay_alu instid0(VALU_DEP_1) | instskip(NEXT) | instid1(VALU_DEP_1)
	v_fma_f32 v11, v106, v110, -v11
	v_add_f32_e32 v9, v9, v11
	v_mul_f32_e32 v11, v109, v113
	s_delay_alu instid0(VALU_DEP_1)
	v_fma_f32 v11, v108, v112, -v11
	ds_load_2addr_b64 v[98:101], v5 offset0:89 offset1:90
	ds_load_2addr_b64 v[102:105], v5 offset0:91 offset1:92
	;; [unrolled: 1-line block ×3, first 2 shown]
	ds_load_b64 v[110:111], v5 offset:760
	v_add_f32_e32 v9, v9, v11
	v_dual_mul_f32 v11, v115, v119 :: v_dual_mov_b32 v115, v236
	s_delay_alu instid0(VALU_DEP_1) | instskip(NEXT) | instid1(VALU_DEP_1)
	v_dual_fma_f32 v11, v114, v118, -v11 :: v_dual_mov_b32 v114, v237
	v_add_f32_e32 v9, v9, v11
	v_mul_f32_e32 v11, v117, v121
	s_delay_alu instid0(VALU_DEP_1) | instskip(NEXT) | instid1(VALU_DEP_1)
	v_dual_fma_f32 v11, v116, v120, -v11 :: v_dual_mov_b32 v116, v241
	v_add_f32_e32 v9, v9, v11
	v_mul_f32_e32 v11, v123, v127
	s_delay_alu instid0(VALU_DEP_3) | instskip(NEXT) | instid1(VALU_DEP_2)
	v_pk_mul_f32 v[114:115], v[114:115], v[116:117] op_sel_hi:[1,0]
	v_fma_f32 v11, v122, v126, -v11
	s_delay_alu instid0(VALU_DEP_2) | instskip(SKIP_1) | instid1(VALU_DEP_3)
	v_pk_fma_f32 v[116:117], v[236:237], v[240:241], v[114:115] neg_lo:[0,0,1] neg_hi:[0,0,1]
	v_pk_fma_f32 v[114:115], v[236:237], v[240:241], v[114:115] op_sel_hi:[1,0,1]
	v_add_f32_e32 v9, v9, v11
	s_delay_alu instid0(VALU_DEP_2) | instskip(SKIP_2) | instid1(VALU_DEP_2)
	v_dual_mul_f32 v11, v125, v129 :: v_dual_mov_b32 v117, v115
	s_wait_loadcnt_dscnt 0x303
	v_pk_mul_f32 v[114:115], v[98:99], v[242:243] op_sel:[1,1] op_sel_hi:[0,1]
	v_fma_f32 v11, v124, v128, -v11
	s_delay_alu instid0(VALU_DEP_1) | instskip(SKIP_1) | instid1(VALU_DEP_1)
	v_add_f32_e32 v9, v9, v11
	v_mul_f32_e32 v11, v131, v135
	v_fma_f32 v11, v130, v134, -v11
	s_delay_alu instid0(VALU_DEP_1) | instskip(SKIP_1) | instid1(VALU_DEP_1)
	v_add_f32_e32 v9, v9, v11
	v_mul_f32_e32 v11, v133, v137
	;; [unrolled: 4-line block ×25, first 2 shown]
	v_fma_f32 v11, v226, v230, -v11
	s_delay_alu instid0(VALU_DEP_1) | instskip(SKIP_2) | instid1(VALU_DEP_1)
	v_add_f32_e32 v254, v9, v11
	v_mul_f32_e32 v9, v229, v233
	s_set_vgpr_msb 64                       ;  msbs: dst=1 src0=0 src1=0 src2=0
	v_fma_f32 v0 /*v256*/, v228, v232, -v9
	s_set_vgpr_msb 0                        ;  msbs: dst=0 src0=0 src1=0 src2=0
	v_mul_f32_e32 v9, v235, v239
	s_set_vgpr_msb 64                       ;  msbs: dst=1 src0=0 src1=0 src2=0
	s_delay_alu instid0(VALU_DEP_1) | instskip(SKIP_2) | instid1(VALU_DEP_1)
	v_fma_f32 v2 /*v258*/, v234, v238, -v9
	s_set_vgpr_msb 4                        ;  msbs: dst=0 src0=0 src1=1 src2=0
	v_pk_add_f32 v[112:113], v[254:255], v[0:1] /*v[256:257]*/
	v_pk_add_f32 v[112:113], v[112:113], v[2:3] /*v[258:259]*/
	s_set_vgpr_msb 0                        ;  msbs: dst=0 src0=0 src1=0 src2=0
	s_delay_alu instid0(VALU_DEP_1) | instskip(SKIP_2) | instid1(VALU_DEP_1)
	v_pk_add_f32 v[112:113], v[112:113], v[116:117]
	v_pk_fma_f32 v[116:117], v[98:99], v[242:243], v[114:115] neg_lo:[0,0,1] neg_hi:[0,0,1]
	v_pk_fma_f32 v[98:99], v[98:99], v[242:243], v[114:115] op_sel_hi:[1,0,1]
	v_dual_mov_b32 v114, v245 :: v_dual_mov_b32 v117, v99
	s_delay_alu instid0(VALU_DEP_1) | instskip(SKIP_1) | instid1(VALU_DEP_1)
	v_pk_add_f32 v[98:99], v[112:113], v[116:117]
	v_dual_mov_b32 v112, v101 :: v_dual_mov_b32 v113, v100
	v_pk_mul_f32 v[112:113], v[112:113], v[114:115] op_sel_hi:[1,0]
	s_delay_alu instid0(VALU_DEP_1) | instskip(SKIP_1) | instid1(VALU_DEP_1)
	v_pk_fma_f32 v[114:115], v[100:101], v[244:245], v[112:113] neg_lo:[0,0,1] neg_hi:[0,0,1]
	v_pk_fma_f32 v[100:101], v[100:101], v[244:245], v[112:113] op_sel_hi:[1,0,1]
	v_mov_b32_e32 v115, v101
	s_wait_loadcnt_dscnt 0x202
	v_pk_mul_f32 v[100:101], v[102:103], v[246:247] op_sel:[1,1] op_sel_hi:[0,1]
	s_delay_alu instid0(VALU_DEP_2) | instskip(NEXT) | instid1(VALU_DEP_2)
	v_pk_add_f32 v[98:99], v[98:99], v[114:115]
	v_pk_fma_f32 v[112:113], v[102:103], v[246:247], v[100:101] neg_lo:[0,0,1] neg_hi:[0,0,1]
	v_pk_fma_f32 v[100:101], v[102:103], v[246:247], v[100:101] op_sel_hi:[1,0,1]
	v_dual_mov_b32 v100, v105 :: v_dual_mov_b32 v102, v249
	s_delay_alu instid0(VALU_DEP_2) | instskip(NEXT) | instid1(VALU_DEP_1)
	v_dual_mov_b32 v113, v101 :: v_dual_mov_b32 v101, v104
	v_pk_add_f32 v[98:99], v[98:99], v[112:113]
	s_delay_alu instid0(VALU_DEP_2) | instskip(NEXT) | instid1(VALU_DEP_1)
	v_pk_mul_f32 v[100:101], v[100:101], v[102:103] op_sel_hi:[1,0]
	v_pk_fma_f32 v[102:103], v[104:105], v[248:249], v[100:101] neg_lo:[0,0,1] neg_hi:[0,0,1]
	v_pk_fma_f32 v[100:101], v[104:105], v[248:249], v[100:101] op_sel_hi:[1,0,1]
	s_delay_alu instid0(VALU_DEP_1) | instskip(SKIP_2) | instid1(VALU_DEP_2)
	v_mov_b32_e32 v103, v101
	s_wait_loadcnt_dscnt 0x101
	v_pk_mul_f32 v[100:101], v[106:107], v[250:251] op_sel:[1,1] op_sel_hi:[0,1]
	v_pk_add_f32 v[98:99], v[98:99], v[102:103]
	s_delay_alu instid0(VALU_DEP_2) | instskip(SKIP_1) | instid1(VALU_DEP_1)
	v_pk_fma_f32 v[102:103], v[106:107], v[250:251], v[100:101] neg_lo:[0,0,1] neg_hi:[0,0,1]
	v_pk_fma_f32 v[100:101], v[106:107], v[250:251], v[100:101] op_sel_hi:[1,0,1]
	v_dual_mov_b32 v100, v109 :: v_dual_mov_b32 v103, v101
	v_mov_b32_e32 v101, v108
	s_delay_alu instid0(VALU_DEP_2) | instskip(SKIP_1) | instid1(VALU_DEP_1)
	v_pk_add_f32 v[98:99], v[98:99], v[102:103]
	v_mov_b32_e32 v102, v253
	v_pk_mul_f32 v[100:101], v[100:101], v[102:103] op_sel_hi:[1,0]
	s_delay_alu instid0(VALU_DEP_1) | instskip(SKIP_1) | instid1(VALU_DEP_1)
	v_pk_fma_f32 v[102:103], v[108:109], v[252:253], v[100:101] neg_lo:[0,0,1] neg_hi:[0,0,1]
	v_pk_fma_f32 v[100:101], v[108:109], v[252:253], v[100:101] op_sel_hi:[1,0,1]
	v_mov_b32_e32 v103, v101
	s_wait_loadcnt_dscnt 0x0
	s_set_vgpr_msb 4                        ;  msbs: dst=0 src0=0 src1=1 src2=0
	v_pk_mul_f32 v[100:101], v[110:111], v[4:5] /*v[260:261]*/ op_sel:[1,1] op_sel_hi:[0,1]
	s_set_vgpr_msb 0                        ;  msbs: dst=0 src0=0 src1=0 src2=0
	v_pk_add_f32 v[98:99], v[98:99], v[102:103]
	s_set_vgpr_msb 4                        ;  msbs: dst=0 src0=0 src1=1 src2=0
	s_delay_alu instid0(VALU_DEP_2) | instskip(SKIP_1) | instid1(VALU_DEP_1)
	v_pk_fma_f32 v[102:103], v[110:111], v[4:5] /*v[260:261]*/, v[100:101] neg_lo:[0,0,1] neg_hi:[0,0,1]
	v_pk_fma_f32 v[100:101], v[110:111], v[4:5] /*v[260:261]*/, v[100:101] op_sel_hi:[1,0,1]
	v_mov_b32_e32 v103, v101
	scratch_load_b64 v[100:101], off, off offset:32
	s_set_vgpr_msb 0                        ;  msbs: dst=0 src0=0 src1=0 src2=0
	v_pk_add_f32 v[98:99], v[98:99], v[102:103]
	s_wait_loadcnt 0x0
	s_delay_alu instid0(VALU_DEP_1)
	v_pk_add_f32 v[98:99], v[100:101], v[98:99] neg_lo:[0,1] neg_hi:[0,1]
	scratch_store_b64 off, v[98:99], off offset:32
	s_wait_xcnt 0x0
	v_cmpx_lt_u32_e32 3, v0
	s_cbranch_execz .LBB47_295
; %bb.294:
	scratch_load_b64 v[98:99], off, off offset:24
	v_mov_b64_e32 v[100:101], 0
	scratch_store_b64 off, v[100:101], off offset:24
	s_wait_loadcnt 0x0
	ds_store_b64 v1, v[98:99]
.LBB47_295:
	s_wait_xcnt 0x0
	s_or_b32 exec_lo, exec_lo, s0
	s_wait_storecnt_dscnt 0x0
	s_barrier_signal -1
	s_barrier_wait -1
	ds_load_b128 v[98:101], v5 offset:416
	ds_load_b128 v[102:105], v5 offset:432
	;; [unrolled: 1-line block ×4, first 2 shown]
	s_clause 0x11
	scratch_load_b128 v[114:117], off, off offset:32
	scratch_load_b128 v[118:121], off, off offset:48
	;; [unrolled: 1-line block ×18, first 2 shown]
	ds_load_b128 v[130:133], v5 offset:480
	ds_load_b128 v[138:141], v5 offset:496
	;; [unrolled: 1-line block ×14, first 2 shown]
	s_clause 0x3
	scratch_load_b128 v[242:245], off, off offset:320
	scratch_load_b128 v[246:249], off, off offset:336
	scratch_load_b128 v[250:253], off, off offset:352
	scratch_load_b128 v[254:257], off, off offset:368
	s_mov_b32 s0, exec_lo
	s_wait_loadcnt_dscnt 0x1511
	v_dual_mul_f32 v9, v98, v115 :: v_dual_mul_f32 v11, v100, v117
	s_delay_alu instid0(VALU_DEP_1) | instskip(NEXT) | instid1(VALU_DEP_1)
	v_dual_fmac_f32 v9, v99, v114 :: v_dual_fmac_f32 v11, v101, v116
	v_add_f32_e32 v9, 0, v9
	s_delay_alu instid0(VALU_DEP_1)
	v_add_f32_e32 v9, v9, v11
	s_wait_loadcnt_dscnt 0x1410
	v_mul_f32_e32 v11, v102, v119
	s_wait_loadcnt_dscnt 0x40a
	s_set_vgpr_msb 64                       ;  msbs: dst=1 src0=0 src1=0 src2=0
	v_dual_mul_f32 v5 /*v261*/, v234, v239 :: v_dual_mul_f32 v7 /*v263*/, v236, v241
	s_set_vgpr_msb 0                        ;  msbs: dst=0 src0=0 src1=0 src2=0
	v_fmac_f32_e32 v11, v103, v118
	s_set_vgpr_msb 64                       ;  msbs: dst=1 src0=0 src1=0 src2=0
	s_delay_alu instid0(VALU_DEP_2) | instskip(SKIP_1) | instid1(VALU_DEP_2)
	v_dual_fmac_f32 v5 /*v261*/, v235, v238 :: v_dual_fmac_f32 v7 /*v263*/, v237, v240
	s_set_vgpr_msb 0                        ;  msbs: dst=0 src0=0 src1=0 src2=0
	v_dual_add_f32 v9, v9, v11 :: v_dual_mul_f32 v11, v104, v121
	s_delay_alu instid0(VALU_DEP_1) | instskip(NEXT) | instid1(VALU_DEP_1)
	v_fmac_f32_e32 v11, v105, v120
	v_add_f32_e32 v9, v9, v11
	v_mul_f32_e32 v11, v106, v123
	s_delay_alu instid0(VALU_DEP_1) | instskip(NEXT) | instid1(VALU_DEP_1)
	v_fmac_f32_e32 v11, v107, v122
	v_dual_add_f32 v9, v9, v11 :: v_dual_mul_f32 v11, v108, v125
	s_delay_alu instid0(VALU_DEP_1) | instskip(NEXT) | instid1(VALU_DEP_1)
	v_fmac_f32_e32 v11, v109, v124
	v_add_f32_e32 v9, v9, v11
	v_mul_f32_e32 v11, v110, v127
	s_delay_alu instid0(VALU_DEP_1) | instskip(NEXT) | instid1(VALU_DEP_1)
	v_fmac_f32_e32 v11, v111, v126
	;; [unrolled: 7-line block ×4, first 2 shown]
	v_dual_add_f32 v9, v9, v11 :: v_dual_mul_f32 v11, v140, v145
	s_delay_alu instid0(VALU_DEP_1) | instskip(NEXT) | instid1(VALU_DEP_1)
	v_fmac_f32_e32 v11, v141, v144
	v_add_f32_e32 v9, v9, v11
	s_wait_dscnt 0x9
	v_mul_f32_e32 v11, v146, v151
	s_delay_alu instid0(VALU_DEP_1) | instskip(NEXT) | instid1(VALU_DEP_1)
	v_fmac_f32_e32 v11, v147, v150
	v_dual_add_f32 v9, v9, v11 :: v_dual_mul_f32 v11, v148, v153
	s_delay_alu instid0(VALU_DEP_1) | instskip(NEXT) | instid1(VALU_DEP_1)
	v_fmac_f32_e32 v11, v149, v152
	v_add_f32_e32 v9, v9, v11
	s_wait_dscnt 0x8
	v_mul_f32_e32 v11, v154, v159
	s_delay_alu instid0(VALU_DEP_1) | instskip(NEXT) | instid1(VALU_DEP_1)
	v_fmac_f32_e32 v11, v155, v158
	;; [unrolled: 8-line block ×10, first 2 shown]
	v_dual_add_f32 v9, v9, v11 :: v_dual_mul_f32 v11, v220, v225
	s_delay_alu instid0(VALU_DEP_1) | instskip(NEXT) | instid1(VALU_DEP_1)
	v_fmac_f32_e32 v11, v221, v224
	v_add_f32_e32 v9, v9, v11
	v_mul_f32_e32 v11, v226, v231
	s_delay_alu instid0(VALU_DEP_1) | instskip(NEXT) | instid1(VALU_DEP_1)
	v_fmac_f32_e32 v11, v227, v230
	v_dual_add_f32 v9, v9, v11 :: v_dual_mul_f32 v11, v228, v233
	s_delay_alu instid0(VALU_DEP_1) | instskip(SKIP_1) | instid1(VALU_DEP_1)
	v_fmac_f32_e32 v11, v229, v232
	s_set_vgpr_msb 64                       ;  msbs: dst=1 src0=0 src1=0 src2=0
	v_add_f32_e32 v3 /*v259*/, v9, v11
	s_set_vgpr_msb 0                        ;  msbs: dst=0 src0=0 src1=0 src2=0
	v_dual_mul_f32 v9, v99, v115 :: v_dual_mul_f32 v11, v101, v117
	s_delay_alu instid0(VALU_DEP_1) | instskip(NEXT) | instid1(VALU_DEP_1)
	v_dual_fma_f32 v9, v98, v114, -v9 :: v_dual_fma_f32 v11, v100, v116, -v11
	v_add_f32_e32 v9, 0, v9
	s_delay_alu instid0(VALU_DEP_1) | instskip(SKIP_1) | instid1(VALU_DEP_1)
	v_add_f32_e32 v9, v9, v11
	v_mul_f32_e32 v11, v103, v119
	v_fma_f32 v11, v102, v118, -v11
	s_delay_alu instid0(VALU_DEP_1) | instskip(SKIP_1) | instid1(VALU_DEP_1)
	v_add_f32_e32 v9, v9, v11
	v_mul_f32_e32 v11, v105, v121
	v_fma_f32 v11, v104, v120, -v11
	;; [unrolled: 4-line block ×6, first 2 shown]
	ds_load_b128 v[98:101], v5 offset:704
	ds_load_b128 v[102:105], v5 offset:720
	;; [unrolled: 1-line block ×4, first 2 shown]
	v_add_f32_e32 v9, v9, v11
	v_mul_f32_e32 v11, v131, v135
	s_delay_alu instid0(VALU_DEP_1) | instskip(NEXT) | instid1(VALU_DEP_1)
	v_fma_f32 v11, v130, v134, -v11
	v_add_f32_e32 v9, v9, v11
	v_mul_f32_e32 v11, v133, v137
	s_wait_loadcnt_dscnt 0x303
	v_pk_mul_f32 v[116:117], v[98:99], v[242:243] op_sel:[1,1] op_sel_hi:[0,1]
	s_delay_alu instid0(VALU_DEP_2) | instskip(NEXT) | instid1(VALU_DEP_2)
	v_fma_f32 v11, v132, v136, -v11
	v_pk_fma_f32 v[118:119], v[98:99], v[242:243], v[116:117] neg_lo:[0,0,1] neg_hi:[0,0,1]
	v_pk_fma_f32 v[98:99], v[98:99], v[242:243], v[116:117] op_sel_hi:[1,0,1]
	v_mov_b32_e32 v116, v245
	s_delay_alu instid0(VALU_DEP_4) | instskip(SKIP_1) | instid1(VALU_DEP_1)
	v_add_f32_e32 v9, v9, v11
	v_mul_f32_e32 v11, v139, v143
	v_dual_mov_b32 v119, v99 :: v_dual_fma_f32 v11, v138, v142, -v11
	s_delay_alu instid0(VALU_DEP_1) | instskip(SKIP_1) | instid1(VALU_DEP_1)
	v_add_f32_e32 v9, v9, v11
	v_mul_f32_e32 v11, v141, v145
	v_fma_f32 v11, v140, v144, -v11
	s_delay_alu instid0(VALU_DEP_1) | instskip(SKIP_1) | instid1(VALU_DEP_1)
	v_add_f32_e32 v9, v9, v11
	v_mul_f32_e32 v11, v147, v151
	v_fma_f32 v11, v146, v150, -v11
	;; [unrolled: 4-line block ×23, first 2 shown]
	s_set_vgpr_msb 64                       ;  msbs: dst=1 src0=0 src1=0 src2=0
	s_delay_alu instid0(VALU_DEP_1) | instskip(SKIP_3) | instid1(VALU_DEP_1)
	v_add_f32_e32 v2 /*v258*/, v9, v11
	s_set_vgpr_msb 0                        ;  msbs: dst=0 src0=0 src1=0 src2=0
	v_mul_f32_e32 v9, v235, v239
	s_set_vgpr_msb 64                       ;  msbs: dst=1 src0=0 src1=0 src2=0
	v_fma_f32 v4 /*v260*/, v234, v238, -v9
	s_set_vgpr_msb 0                        ;  msbs: dst=0 src0=0 src1=0 src2=0
	v_mul_f32_e32 v9, v237, v241
	s_set_vgpr_msb 5                        ;  msbs: dst=0 src0=1 src1=1 src2=0
	s_delay_alu instid0(VALU_DEP_2) | instskip(SKIP_1) | instid1(VALU_DEP_2)
	v_pk_add_f32 v[114:115], v[2:3] /*v[258:259]*/, v[4:5] /*v[260:261]*/
	s_set_vgpr_msb 64                       ;  msbs: dst=1 src0=0 src1=0 src2=0
	v_fma_f32 v6 /*v262*/, v236, v240, -v9
	s_set_vgpr_msb 4                        ;  msbs: dst=0 src0=0 src1=1 src2=0
	s_delay_alu instid0(VALU_DEP_1) | instskip(SKIP_1) | instid1(VALU_DEP_1)
	v_pk_add_f32 v[114:115], v[114:115], v[6:7] /*v[262:263]*/
	s_set_vgpr_msb 0                        ;  msbs: dst=0 src0=0 src1=0 src2=0
	v_pk_add_f32 v[98:99], v[114:115], v[118:119]
	v_dual_mov_b32 v114, v101 :: v_dual_mov_b32 v115, v100
	s_delay_alu instid0(VALU_DEP_1) | instskip(NEXT) | instid1(VALU_DEP_1)
	v_pk_mul_f32 v[114:115], v[114:115], v[116:117] op_sel_hi:[1,0]
	v_pk_fma_f32 v[116:117], v[100:101], v[244:245], v[114:115] neg_lo:[0,0,1] neg_hi:[0,0,1]
	v_pk_fma_f32 v[100:101], v[100:101], v[244:245], v[114:115] op_sel_hi:[1,0,1]
	s_delay_alu instid0(VALU_DEP_1) | instskip(SKIP_2) | instid1(VALU_DEP_2)
	v_mov_b32_e32 v117, v101
	s_wait_loadcnt_dscnt 0x202
	v_pk_mul_f32 v[100:101], v[102:103], v[246:247] op_sel:[1,1] op_sel_hi:[0,1]
	v_pk_add_f32 v[98:99], v[98:99], v[116:117]
	s_delay_alu instid0(VALU_DEP_2) | instskip(SKIP_2) | instid1(VALU_DEP_2)
	v_pk_fma_f32 v[114:115], v[102:103], v[246:247], v[100:101] neg_lo:[0,0,1] neg_hi:[0,0,1]
	v_pk_fma_f32 v[100:101], v[102:103], v[246:247], v[100:101] op_sel_hi:[1,0,1]
	v_dual_mov_b32 v100, v105 :: v_dual_mov_b32 v102, v249
	v_dual_mov_b32 v115, v101 :: v_dual_mov_b32 v101, v104
	s_delay_alu instid0(VALU_DEP_1) | instskip(NEXT) | instid1(VALU_DEP_2)
	v_pk_add_f32 v[98:99], v[98:99], v[114:115]
	v_pk_mul_f32 v[100:101], v[100:101], v[102:103] op_sel_hi:[1,0]
	s_delay_alu instid0(VALU_DEP_1) | instskip(SKIP_1) | instid1(VALU_DEP_1)
	v_pk_fma_f32 v[102:103], v[104:105], v[248:249], v[100:101] neg_lo:[0,0,1] neg_hi:[0,0,1]
	v_pk_fma_f32 v[100:101], v[104:105], v[248:249], v[100:101] op_sel_hi:[1,0,1]
	v_mov_b32_e32 v103, v101
	s_wait_loadcnt_dscnt 0x101
	v_pk_mul_f32 v[100:101], v[106:107], v[250:251] op_sel:[1,1] op_sel_hi:[0,1]
	s_delay_alu instid0(VALU_DEP_2) | instskip(NEXT) | instid1(VALU_DEP_2)
	v_pk_add_f32 v[98:99], v[98:99], v[102:103]
	v_pk_fma_f32 v[102:103], v[106:107], v[250:251], v[100:101] neg_lo:[0,0,1] neg_hi:[0,0,1]
	v_pk_fma_f32 v[100:101], v[106:107], v[250:251], v[100:101] op_sel_hi:[1,0,1]
	s_delay_alu instid0(VALU_DEP_1) | instskip(SKIP_1) | instid1(VALU_DEP_2)
	v_dual_mov_b32 v100, v109 :: v_dual_mov_b32 v103, v101
	v_mov_b32_e32 v101, v108
	v_pk_add_f32 v[98:99], v[98:99], v[102:103]
	v_mov_b32_e32 v102, v253
	s_delay_alu instid0(VALU_DEP_1) | instskip(NEXT) | instid1(VALU_DEP_1)
	v_pk_mul_f32 v[100:101], v[100:101], v[102:103] op_sel_hi:[1,0]
	v_pk_fma_f32 v[102:103], v[108:109], v[252:253], v[100:101] neg_lo:[0,0,1] neg_hi:[0,0,1]
	v_pk_fma_f32 v[100:101], v[108:109], v[252:253], v[100:101] op_sel_hi:[1,0,1]
	s_delay_alu instid0(VALU_DEP_1) | instskip(SKIP_2) | instid1(VALU_DEP_2)
	v_mov_b32_e32 v103, v101
	s_wait_loadcnt_dscnt 0x0
	v_pk_mul_f32 v[100:101], v[110:111], v[254:255] op_sel:[1,1] op_sel_hi:[0,1]
	v_pk_add_f32 v[98:99], v[98:99], v[102:103]
	s_delay_alu instid0(VALU_DEP_2) | instskip(SKIP_1) | instid1(VALU_DEP_1)
	v_pk_fma_f32 v[102:103], v[110:111], v[254:255], v[100:101] neg_lo:[0,0,1] neg_hi:[0,0,1]
	v_pk_fma_f32 v[100:101], v[110:111], v[254:255], v[100:101] op_sel_hi:[1,0,1]
	v_dual_mov_b32 v100, v113 :: v_dual_mov_b32 v103, v101
	v_mov_b32_e32 v101, v112
	s_delay_alu instid0(VALU_DEP_2) | instskip(SKIP_3) | instid1(VALU_DEP_1)
	v_pk_add_f32 v[98:99], v[98:99], v[102:103]
	s_set_vgpr_msb 1                        ;  msbs: dst=0 src0=1 src1=0 src2=0
	v_mov_b32_e32 v102, v1 /*v257*/
	s_set_vgpr_msb 0                        ;  msbs: dst=0 src0=0 src1=0 src2=0
	v_pk_mul_f32 v[100:101], v[100:101], v[102:103] op_sel_hi:[1,0]
	s_set_vgpr_msb 4                        ;  msbs: dst=0 src0=0 src1=1 src2=0
	s_delay_alu instid0(VALU_DEP_1) | instskip(SKIP_1) | instid1(VALU_DEP_1)
	v_pk_fma_f32 v[102:103], v[112:113], v[0:1] /*v[256:257]*/, v[100:101] neg_lo:[0,0,1] neg_hi:[0,0,1]
	v_pk_fma_f32 v[100:101], v[112:113], v[0:1] /*v[256:257]*/, v[100:101] op_sel_hi:[1,0,1]
	v_mov_b32_e32 v103, v101
	scratch_load_b64 v[100:101], off, off offset:24
	s_set_vgpr_msb 0                        ;  msbs: dst=0 src0=0 src1=0 src2=0
	v_pk_add_f32 v[98:99], v[98:99], v[102:103]
	s_wait_loadcnt 0x0
	s_delay_alu instid0(VALU_DEP_1)
	v_pk_add_f32 v[98:99], v[100:101], v[98:99] neg_lo:[0,1] neg_hi:[0,1]
	scratch_store_b64 off, v[98:99], off offset:24
	s_wait_xcnt 0x0
	v_cmpx_lt_u32_e32 2, v0
	s_cbranch_execz .LBB47_297
; %bb.296:
	scratch_load_b64 v[98:99], off, off offset:16
	v_mov_b64_e32 v[100:101], 0
	scratch_store_b64 off, v[100:101], off offset:16
	s_wait_loadcnt 0x0
	ds_store_b64 v1, v[98:99]
.LBB47_297:
	s_wait_xcnt 0x0
	s_or_b32 exec_lo, exec_lo, s0
	s_wait_storecnt_dscnt 0x0
	s_barrier_signal -1
	s_barrier_wait -1
	s_clause 0xf
	scratch_load_b128 v[102:105], off, off offset:24
	scratch_load_b128 v[110:113], off, off offset:40
	;; [unrolled: 1-line block ×16, first 2 shown]
	v_mov_b32_e32 v77, 0
	s_clause 0x2
	scratch_load_b128 v[230:233], off, off offset:280
	scratch_load_b128 v[238:241], off, off offset:296
	scratch_load_b128 v[246:249], off, off offset:312
	s_mov_b32 s0, exec_lo
	ds_load_2addr_b64 v[98:101], v77 offset0:51 offset1:52
	ds_load_2addr_b64 v[106:109], v77 offset0:53 offset1:54
	s_wait_loadcnt_dscnt 0x1201
	v_dual_mul_f32 v5, v98, v103 :: v_dual_mul_f32 v9, v100, v105
	ds_load_2addr_b64 v[114:117], v77 offset0:55 offset1:56
	ds_load_2addr_b64 v[122:125], v77 offset0:57 offset1:58
	;; [unrolled: 1-line block ×3, first 2 shown]
	v_fmac_f32_e32 v5, v99, v102
	v_fmac_f32_e32 v9, v101, v104
	ds_load_2addr_b64 v[130:133], v77 offset0:59 offset1:60
	ds_load_2addr_b64 v[138:141], v77 offset0:61 offset1:62
	;; [unrolled: 1-line block ×4, first 2 shown]
	v_add_f32_e32 v5, 0, v5
	ds_load_2addr_b64 v[162:165], v77 offset0:67 offset1:68
	ds_load_2addr_b64 v[170:173], v77 offset0:69 offset1:70
	;; [unrolled: 1-line block ×4, first 2 shown]
	s_wait_loadcnt_dscnt 0x110b
	v_dual_add_f32 v5, v5, v9 :: v_dual_mul_f32 v9, v106, v111
	ds_load_2addr_b64 v[194:197], v77 offset0:75 offset1:76
	ds_load_2addr_b64 v[202:205], v77 offset0:77 offset1:78
	;; [unrolled: 1-line block ×4, first 2 shown]
	v_fmac_f32_e32 v9, v107, v110
	ds_load_2addr_b64 v[226:229], v77 offset0:83 offset1:84
	ds_load_2addr_b64 v[234:237], v77 offset0:85 offset1:86
	s_clause 0x4
	scratch_load_b128 v[250:253], off, off offset:328
	scratch_load_b128 v[254:257], off, off offset:344
	s_set_vgpr_msb 64                       ;  msbs: dst=1 src0=0 src1=0 src2=0
	scratch_load_b128 v[2:5] /*v[258:261]*/, off, off offset:360
	scratch_load_b64 v[12:13] /*v[268:269]*/, off, off offset:376
	s_wait_loadcnt_dscnt 0x40e
	v_mul_f32_e32 v11 /*v267*/, v242, v247
	s_set_vgpr_msb 0                        ;  msbs: dst=0 src0=0 src1=0 src2=0
	v_add_f32_e32 v5, v5, v9
	v_mul_f32_e32 v9, v108, v113
	s_set_vgpr_msb 64                       ;  msbs: dst=1 src0=0 src1=0 src2=0
	v_fmac_f32_e32 v11 /*v267*/, v243, v246
	s_set_vgpr_msb 0                        ;  msbs: dst=0 src0=0 src1=0 src2=0
	s_delay_alu instid0(VALU_DEP_2) | instskip(NEXT) | instid1(VALU_DEP_1)
	v_fmac_f32_e32 v9, v109, v112
	v_dual_add_f32 v5, v5, v9 :: v_dual_mul_f32 v9, v114, v119
	s_delay_alu instid0(VALU_DEP_1)
	v_fmac_f32_e32 v9, v115, v118
	s_wait_dscnt 0x0
	s_set_vgpr_msb 64                       ;  msbs: dst=1 src0=0 src1=0 src2=0
	v_mul_f32_e32 v9 /*v265*/, v236, v241
	s_set_vgpr_msb 0                        ;  msbs: dst=0 src0=0 src1=0 src2=0
	v_add_f32_e32 v5, v5, v9
	v_mul_f32_e32 v9, v116, v121
	s_set_vgpr_msb 64                       ;  msbs: dst=1 src0=0 src1=0 src2=0
	v_fmac_f32_e32 v9 /*v265*/, v237, v240
	s_set_vgpr_msb 0                        ;  msbs: dst=0 src0=0 src1=0 src2=0
	s_delay_alu instid0(VALU_DEP_2) | instskip(NEXT) | instid1(VALU_DEP_1)
	v_fmac_f32_e32 v9, v117, v120
	v_dual_add_f32 v5, v5, v9 :: v_dual_mul_f32 v9, v122, v127
	s_delay_alu instid0(VALU_DEP_1) | instskip(NEXT) | instid1(VALU_DEP_1)
	v_fmac_f32_e32 v9, v123, v126
	v_add_f32_e32 v5, v5, v9
	v_mul_f32_e32 v9, v124, v129
	s_delay_alu instid0(VALU_DEP_1) | instskip(NEXT) | instid1(VALU_DEP_1)
	v_fmac_f32_e32 v9, v125, v128
	v_dual_add_f32 v5, v5, v9 :: v_dual_mul_f32 v9, v130, v135
	s_delay_alu instid0(VALU_DEP_1) | instskip(NEXT) | instid1(VALU_DEP_1)
	v_fmac_f32_e32 v9, v131, v134
	v_add_f32_e32 v5, v5, v9
	v_mul_f32_e32 v9, v132, v137
	s_delay_alu instid0(VALU_DEP_1) | instskip(NEXT) | instid1(VALU_DEP_1)
	;; [unrolled: 7-line block ×14, first 2 shown]
	v_fmac_f32_e32 v9, v229, v232
	v_dual_add_f32 v5, v5, v9 :: v_dual_mul_f32 v9, v234, v239
	s_delay_alu instid0(VALU_DEP_1) | instskip(SKIP_1) | instid1(VALU_DEP_1)
	v_fmac_f32_e32 v9, v235, v238
	s_set_vgpr_msb 64                       ;  msbs: dst=1 src0=0 src1=0 src2=0
	v_add_f32_e32 v7 /*v263*/, v5, v9
	s_set_vgpr_msb 0                        ;  msbs: dst=0 src0=0 src1=0 src2=0
	v_dual_mul_f32 v5, v99, v103 :: v_dual_mul_f32 v9, v101, v105
	s_delay_alu instid0(VALU_DEP_1) | instskip(NEXT) | instid1(VALU_DEP_1)
	v_fma_f32 v5, v98, v102, -v5
	v_dual_fma_f32 v9, v100, v104, -v9 :: v_dual_add_f32 v5, 0, v5
	s_delay_alu instid0(VALU_DEP_1) | instskip(NEXT) | instid1(VALU_DEP_1)
	v_dual_add_f32 v5, v5, v9 :: v_dual_mul_f32 v9, v107, v111
	v_fma_f32 v9, v106, v110, -v9
	s_delay_alu instid0(VALU_DEP_1) | instskip(SKIP_1) | instid1(VALU_DEP_1)
	v_add_f32_e32 v5, v5, v9
	v_mul_f32_e32 v9, v109, v113
	v_fma_f32 v9, v108, v112, -v9
	ds_load_2addr_b64 v[98:101], v77 offset0:89 offset1:90
	ds_load_2addr_b64 v[102:105], v77 offset0:91 offset1:92
	;; [unrolled: 1-line block ×3, first 2 shown]
	ds_load_b64 v[110:111], v77 offset:760
	v_dual_add_f32 v5, v5, v9 :: v_dual_mul_f32 v9, v115, v119
	s_delay_alu instid0(VALU_DEP_1) | instskip(SKIP_1) | instid1(VALU_DEP_2)
	v_dual_mov_b32 v115, v244 :: v_dual_fma_f32 v9, v114, v118, -v9
	v_mov_b32_e32 v114, v245
	v_add_f32_e32 v5, v5, v9
	v_mul_f32_e32 v9, v117, v121
	s_delay_alu instid0(VALU_DEP_1) | instskip(NEXT) | instid1(VALU_DEP_1)
	v_dual_fma_f32 v9, v116, v120, -v9 :: v_dual_mov_b32 v116, v249
	v_dual_add_f32 v5, v5, v9 :: v_dual_mul_f32 v9, v123, v127
	s_delay_alu instid0(VALU_DEP_2) | instskip(NEXT) | instid1(VALU_DEP_2)
	v_pk_mul_f32 v[114:115], v[114:115], v[116:117] op_sel_hi:[1,0]
	v_fma_f32 v9, v122, v126, -v9
	s_delay_alu instid0(VALU_DEP_2) | instskip(SKIP_1) | instid1(VALU_DEP_3)
	v_pk_fma_f32 v[116:117], v[244:245], v[248:249], v[114:115] neg_lo:[0,0,1] neg_hi:[0,0,1]
	v_pk_fma_f32 v[114:115], v[244:245], v[248:249], v[114:115] op_sel_hi:[1,0,1]
	v_add_f32_e32 v5, v5, v9
	s_delay_alu instid0(VALU_DEP_2) | instskip(SKIP_2) | instid1(VALU_DEP_2)
	v_dual_mul_f32 v9, v125, v129 :: v_dual_mov_b32 v117, v115
	s_wait_loadcnt_dscnt 0x303
	v_pk_mul_f32 v[114:115], v[98:99], v[250:251] op_sel:[1,1] op_sel_hi:[0,1]
	v_fma_f32 v9, v124, v128, -v9
	s_delay_alu instid0(VALU_DEP_1) | instskip(NEXT) | instid1(VALU_DEP_1)
	v_dual_add_f32 v5, v5, v9 :: v_dual_mul_f32 v9, v131, v135
	v_fma_f32 v9, v130, v134, -v9
	s_delay_alu instid0(VALU_DEP_1) | instskip(SKIP_1) | instid1(VALU_DEP_1)
	v_add_f32_e32 v5, v5, v9
	v_mul_f32_e32 v9, v133, v137
	v_fma_f32 v9, v132, v136, -v9
	s_delay_alu instid0(VALU_DEP_1) | instskip(NEXT) | instid1(VALU_DEP_1)
	v_dual_add_f32 v5, v5, v9 :: v_dual_mul_f32 v9, v139, v143
	v_fma_f32 v9, v138, v142, -v9
	s_delay_alu instid0(VALU_DEP_1) | instskip(SKIP_1) | instid1(VALU_DEP_1)
	v_add_f32_e32 v5, v5, v9
	v_mul_f32_e32 v9, v141, v145
	;; [unrolled: 7-line block ×13, first 2 shown]
	v_fma_f32 v9, v228, v232, -v9
	s_delay_alu instid0(VALU_DEP_1) | instskip(NEXT) | instid1(VALU_DEP_1)
	v_dual_add_f32 v5, v5, v9 :: v_dual_mul_f32 v9, v235, v239
	v_fma_f32 v9, v234, v238, -v9
	s_set_vgpr_msb 64                       ;  msbs: dst=1 src0=0 src1=0 src2=0
	s_delay_alu instid0(VALU_DEP_1) | instskip(SKIP_3) | instid1(VALU_DEP_1)
	v_add_f32_e32 v6 /*v262*/, v5, v9
	s_set_vgpr_msb 0                        ;  msbs: dst=0 src0=0 src1=0 src2=0
	v_mul_f32_e32 v5, v237, v241
	s_set_vgpr_msb 64                       ;  msbs: dst=1 src0=0 src1=0 src2=0
	v_fma_f32 v8 /*v264*/, v236, v240, -v5
	s_set_vgpr_msb 0                        ;  msbs: dst=0 src0=0 src1=0 src2=0
	v_mul_f32_e32 v5, v243, v247
	s_set_vgpr_msb 5                        ;  msbs: dst=0 src0=1 src1=1 src2=0
	s_delay_alu instid0(VALU_DEP_2) | instskip(SKIP_1) | instid1(VALU_DEP_2)
	v_pk_add_f32 v[112:113], v[6:7] /*v[262:263]*/, v[8:9] /*v[264:265]*/
	s_set_vgpr_msb 64                       ;  msbs: dst=1 src0=0 src1=0 src2=0
	v_fma_f32 v10 /*v266*/, v242, v246, -v5
	s_set_vgpr_msb 4                        ;  msbs: dst=0 src0=0 src1=1 src2=0
	s_delay_alu instid0(VALU_DEP_1) | instskip(SKIP_1) | instid1(VALU_DEP_1)
	v_pk_add_f32 v[112:113], v[112:113], v[10:11] /*v[266:267]*/
	s_set_vgpr_msb 0                        ;  msbs: dst=0 src0=0 src1=0 src2=0
	v_pk_add_f32 v[112:113], v[112:113], v[116:117]
	v_pk_fma_f32 v[116:117], v[98:99], v[250:251], v[114:115] neg_lo:[0,0,1] neg_hi:[0,0,1]
	v_pk_fma_f32 v[98:99], v[98:99], v[250:251], v[114:115] op_sel_hi:[1,0,1]
	s_delay_alu instid0(VALU_DEP_1) | instskip(NEXT) | instid1(VALU_DEP_1)
	v_dual_mov_b32 v114, v253 :: v_dual_mov_b32 v117, v99
	v_pk_add_f32 v[98:99], v[112:113], v[116:117]
	v_dual_mov_b32 v112, v101 :: v_dual_mov_b32 v113, v100
	s_delay_alu instid0(VALU_DEP_1) | instskip(NEXT) | instid1(VALU_DEP_1)
	v_pk_mul_f32 v[112:113], v[112:113], v[114:115] op_sel_hi:[1,0]
	v_pk_fma_f32 v[114:115], v[100:101], v[252:253], v[112:113] neg_lo:[0,0,1] neg_hi:[0,0,1]
	v_pk_fma_f32 v[100:101], v[100:101], v[252:253], v[112:113] op_sel_hi:[1,0,1]
	s_delay_alu instid0(VALU_DEP_1) | instskip(SKIP_2) | instid1(VALU_DEP_2)
	v_mov_b32_e32 v115, v101
	s_wait_loadcnt_dscnt 0x202
	v_pk_mul_f32 v[100:101], v[102:103], v[254:255] op_sel:[1,1] op_sel_hi:[0,1]
	v_pk_add_f32 v[98:99], v[98:99], v[114:115]
	s_delay_alu instid0(VALU_DEP_2)
	v_pk_fma_f32 v[112:113], v[102:103], v[254:255], v[100:101] neg_lo:[0,0,1] neg_hi:[0,0,1]
	v_pk_fma_f32 v[100:101], v[102:103], v[254:255], v[100:101] op_sel_hi:[1,0,1]
	v_mov_b32_e32 v100, v105
	s_set_vgpr_msb 1                        ;  msbs: dst=0 src0=1 src1=0 src2=0
	v_mov_b32_e32 v102, v1 /*v257*/
	s_set_vgpr_msb 0                        ;  msbs: dst=0 src0=0 src1=0 src2=0
	v_dual_mov_b32 v113, v101 :: v_dual_mov_b32 v101, v104
	s_delay_alu instid0(VALU_DEP_1) | instskip(NEXT) | instid1(VALU_DEP_2)
	v_pk_add_f32 v[98:99], v[98:99], v[112:113]
	v_pk_mul_f32 v[100:101], v[100:101], v[102:103] op_sel_hi:[1,0]
	s_set_vgpr_msb 4                        ;  msbs: dst=0 src0=0 src1=1 src2=0
	s_delay_alu instid0(VALU_DEP_1) | instskip(SKIP_1) | instid1(VALU_DEP_1)
	v_pk_fma_f32 v[102:103], v[104:105], v[0:1] /*v[256:257]*/, v[100:101] neg_lo:[0,0,1] neg_hi:[0,0,1]
	v_pk_fma_f32 v[100:101], v[104:105], v[0:1] /*v[256:257]*/, v[100:101] op_sel_hi:[1,0,1]
	v_mov_b32_e32 v103, v101
	s_wait_loadcnt_dscnt 0x101
	v_pk_mul_f32 v[100:101], v[106:107], v[2:3] /*v[258:259]*/ op_sel:[1,1] op_sel_hi:[0,1]
	s_set_vgpr_msb 0                        ;  msbs: dst=0 src0=0 src1=0 src2=0
	s_delay_alu instid0(VALU_DEP_2) | instskip(SKIP_1) | instid1(VALU_DEP_2)
	v_pk_add_f32 v[98:99], v[98:99], v[102:103]
	s_set_vgpr_msb 4                        ;  msbs: dst=0 src0=0 src1=1 src2=0
	v_pk_fma_f32 v[102:103], v[106:107], v[2:3] /*v[258:259]*/, v[100:101] neg_lo:[0,0,1] neg_hi:[0,0,1]
	v_pk_fma_f32 v[100:101], v[106:107], v[2:3] /*v[258:259]*/, v[100:101] op_sel_hi:[1,0,1]
	s_delay_alu instid0(VALU_DEP_1) | instskip(SKIP_2) | instid1(VALU_DEP_2)
	v_dual_mov_b32 v100, v109 :: v_dual_mov_b32 v103, v101
	v_mov_b32_e32 v101, v108
	s_set_vgpr_msb 0                        ;  msbs: dst=0 src0=0 src1=0 src2=0
	v_pk_add_f32 v[98:99], v[98:99], v[102:103]
	s_set_vgpr_msb 1                        ;  msbs: dst=0 src0=1 src1=0 src2=0
	v_mov_b32_e32 v102, v5 /*v261*/
	s_set_vgpr_msb 0                        ;  msbs: dst=0 src0=0 src1=0 src2=0
	s_delay_alu instid0(VALU_DEP_1) | instskip(SKIP_1) | instid1(VALU_DEP_1)
	v_pk_mul_f32 v[100:101], v[100:101], v[102:103] op_sel_hi:[1,0]
	s_set_vgpr_msb 4                        ;  msbs: dst=0 src0=0 src1=1 src2=0
	v_pk_fma_f32 v[102:103], v[108:109], v[4:5] /*v[260:261]*/, v[100:101] neg_lo:[0,0,1] neg_hi:[0,0,1]
	v_pk_fma_f32 v[100:101], v[108:109], v[4:5] /*v[260:261]*/, v[100:101] op_sel_hi:[1,0,1]
	s_delay_alu instid0(VALU_DEP_1) | instskip(SKIP_3) | instid1(VALU_DEP_2)
	v_mov_b32_e32 v103, v101
	s_wait_loadcnt_dscnt 0x0
	v_pk_mul_f32 v[100:101], v[110:111], v[12:13] /*v[268:269]*/ op_sel:[1,1] op_sel_hi:[0,1]
	s_set_vgpr_msb 0                        ;  msbs: dst=0 src0=0 src1=0 src2=0
	v_pk_add_f32 v[98:99], v[98:99], v[102:103]
	s_set_vgpr_msb 4                        ;  msbs: dst=0 src0=0 src1=1 src2=0
	s_delay_alu instid0(VALU_DEP_2) | instskip(SKIP_1) | instid1(VALU_DEP_1)
	v_pk_fma_f32 v[102:103], v[110:111], v[12:13] /*v[268:269]*/, v[100:101] neg_lo:[0,0,1] neg_hi:[0,0,1]
	v_pk_fma_f32 v[100:101], v[110:111], v[12:13] /*v[268:269]*/, v[100:101] op_sel_hi:[1,0,1]
	v_mov_b32_e32 v103, v101
	scratch_load_b64 v[100:101], off, off offset:16
	s_set_vgpr_msb 0                        ;  msbs: dst=0 src0=0 src1=0 src2=0
	v_pk_add_f32 v[98:99], v[98:99], v[102:103]
	s_wait_loadcnt 0x0
	s_delay_alu instid0(VALU_DEP_1)
	v_pk_add_f32 v[98:99], v[100:101], v[98:99] neg_lo:[0,1] neg_hi:[0,1]
	scratch_store_b64 off, v[98:99], off offset:16
	s_wait_xcnt 0x0
	v_cmpx_lt_u32_e32 1, v0
	s_cbranch_execz .LBB47_299
; %bb.298:
	scratch_load_b64 v[98:99], off, off offset:8
	v_mov_b64_e32 v[100:101], 0
	scratch_store_b64 off, v[100:101], off offset:8
	s_wait_loadcnt 0x0
	ds_store_b64 v1, v[98:99]
.LBB47_299:
	s_wait_xcnt 0x0
	s_or_b32 exec_lo, exec_lo, s0
	s_wait_storecnt_dscnt 0x0
	s_barrier_signal -1
	s_barrier_wait -1
	s_clause 0x18
	scratch_load_b128 v[98:101], off, off offset:16
	scratch_load_b128 v[102:105], off, off offset:32
	;; [unrolled: 1-line block ×23, first 2 shown]
	s_set_vgpr_msb 64                       ;  msbs: dst=1 src0=0 src1=0 src2=0
	scratch_load_b64 v[26:27] /*v[282:283]*/, off, off offset:8
	s_set_vgpr_msb 0                        ;  msbs: dst=0 src0=0 src1=0 src2=0
	ds_load_b128 v[190:193], v77 offset:400
	ds_load_b128 v[194:197], v77 offset:416
	;; [unrolled: 1-line block ×17, first 2 shown]
	s_set_vgpr_msb 64                       ;  msbs: dst=1 src0=0 src1=0 src2=0
	ds_load_b128 v[2:5] /*v[258:261]*/, v77 offset:592
	ds_load_b128 v[6:9] /*v[262:265]*/, v77 offset:608
	;; [unrolled: 1-line block ×6, first 2 shown]
	s_set_vgpr_msb 0                        ;  msbs: dst=0 src0=0 src1=0 src2=0
	v_ashrrev_i32_e32 v73, 31, v72
	s_wait_dscnt 0x13
	s_set_vgpr_msb 64                       ;  msbs: dst=1 src0=0 src1=0 src2=0
	v_dual_mov_b32 v28 /*v284*/, v205 :: v_dual_mov_b32 v29 /*v285*/, v204
	s_wait_dscnt 0x12
	v_dual_mov_b32 v30 /*v286*/, v209 :: v_dual_mov_b32 v31 /*v287*/, v208
	s_wait_dscnt 0xf
	;; [unrolled: 2-line block ×3, first 2 shown]
	v_dual_mov_b32 v34 /*v290*/, v225 :: v_dual_mov_b32 v35 /*v291*/, v224
	s_set_vgpr_msb 0                        ;  msbs: dst=0 src0=0 src1=0 src2=0
	v_dual_ashrrev_i32 v5, 31, v4 :: v_dual_ashrrev_i32 v11, 31, v10
	v_dual_ashrrev_i32 v9, 31, v8 :: v_dual_ashrrev_i32 v15, 31, v14
	;; [unrolled: 1-line block ×17, first 2 shown]
	s_mov_b32 s0, exec_lo
	s_wait_loadcnt 0x17
	v_dual_mul_f32 v77, v190, v99 :: v_dual_mul_f32 v79, v192, v101
	s_wait_loadcnt 0x16
	v_dual_mul_f32 v81, v194, v103 :: v_dual_mul_f32 v83, v196, v105
	s_delay_alu instid0(VALU_DEP_2) | instskip(NEXT) | instid1(VALU_DEP_3)
	v_dual_mul_f32 v85, v191, v99 :: v_dual_fmac_f32 v77, v191, v98
	v_dual_fmac_f32 v79, v193, v100 :: v_dual_mul_f32 v87, v193, v101
	s_delay_alu instid0(VALU_DEP_2) | instskip(NEXT) | instid1(VALU_DEP_3)
	v_dual_mul_f32 v89, v195, v103 :: v_dual_fma_f32 v85, v190, v98, -v85
	v_add_f32_e32 v77, 0, v77
	s_wait_loadcnt 0x15
	v_dual_mul_f32 v91, v197, v105 :: v_dual_mul_f32 v93, v210, v107
	v_fma_f32 v87, v192, v100, -v87
	s_wait_loadcnt_dscnt 0x903
	s_set_vgpr_msb 1                        ;  msbs: dst=0 src0=1 src1=0 src2=0
	v_dual_mul_f32 v98, v10 /*v266*/, v155 :: v_dual_add_f32 v85, 0, v85
	s_set_vgpr_msb 0                        ;  msbs: dst=0 src0=0 src1=0 src2=0
	v_fmac_f32_e32 v81, v195, v102
	v_dual_fma_f32 v89, v194, v102, -v89 :: v_dual_add_f32 v77, v77, v79
	v_dual_mul_f32 v99, v216, v113 :: v_dual_mul_f32 v101, v211, v107
	v_dual_add_f32 v79, v85, v87 :: v_dual_fma_f32 v87, v196, v104, -v91
	v_fmac_f32_e32 v83, v197, v104
	s_delay_alu instid0(VALU_DEP_4) | instskip(SKIP_3) | instid1(VALU_DEP_4)
	v_dual_add_f32 v77, v77, v81 :: v_dual_fmac_f32 v93, v211, v106
	v_dual_mul_f32 v95, v212, v109 :: v_dual_mul_f32 v97, v214, v111
	v_dual_mul_f32 v103, v213, v109 :: v_dual_mul_f32 v105, v215, v111
	v_dual_add_f32 v79, v79, v89 :: v_dual_fma_f32 v89, v210, v106, -v101
	v_add_f32_e32 v77, v77, v83
	s_delay_alu instid0(VALU_DEP_4) | instskip(SKIP_1) | instid1(VALU_DEP_4)
	v_fmac_f32_e32 v95, v213, v108
	v_dual_mul_f32 v107, v217, v113 :: v_dual_mul_f32 v109, v226, v115
	v_dual_add_f32 v79, v79, v87 :: v_dual_fma_f32 v87, v212, v108, -v103
	s_delay_alu instid0(VALU_DEP_4) | instskip(NEXT) | instid1(VALU_DEP_2)
	v_dual_add_f32 v77, v77, v93 :: v_dual_fmac_f32 v97, v215, v110
	v_dual_fma_f32 v91, v214, v110, -v105 :: v_dual_add_f32 v79, v79, v89
	v_fmac_f32_e32 v99, v217, v112
	s_delay_alu instid0(VALU_DEP_3) | instskip(SKIP_1) | instid1(VALU_DEP_2)
	v_dual_add_f32 v77, v77, v95 :: v_dual_fma_f32 v93, v216, v112, -v107
	v_dual_mul_f32 v111, v228, v117 :: v_dual_mul_f32 v113, v230, v119
	v_dual_add_f32 v79, v79, v87 :: v_dual_add_f32 v77, v77, v97
	v_dual_mul_f32 v115, v227, v115 :: v_dual_mul_f32 v117, v229, v117
	v_fmac_f32_e32 v109, v227, v114
	s_delay_alu instid0(VALU_DEP_3) | instskip(NEXT) | instid1(VALU_DEP_4)
	v_add_f32_e32 v79, v79, v91
	v_add_f32_e32 v77, v77, v99
	s_delay_alu instid0(VALU_DEP_4) | instskip(NEXT) | instid1(VALU_DEP_3)
	v_dual_mul_f32 v119, v231, v119 :: v_dual_fma_f32 v95, v226, v114, -v115
	v_dual_fmac_f32 v111, v229, v116 :: v_dual_add_f32 v79, v79, v93
	s_delay_alu instid0(VALU_DEP_3)
	v_add_f32_e32 v77, v77, v109
	s_set_vgpr_msb 64                       ;  msbs: dst=1 src0=0 src1=0 src2=0
	v_dual_mul_f32 v36 /*v292*/, v232, v121 :: v_dual_mul_f32 v37 /*v293*/, v234, v123
	s_set_vgpr_msb 0                        ;  msbs: dst=0 src0=0 src1=0 src2=0
	v_dual_mul_f32 v121, v233, v121 :: v_dual_mul_f32 v93, v243, v131
	v_dual_fma_f32 v97, v228, v116, -v117 :: v_dual_add_f32 v79, v79, v95
	v_dual_mul_f32 v95, v245, v133 :: v_dual_fmac_f32 v113, v231, v118
	v_dual_fma_f32 v101, v230, v118, -v119 :: v_dual_add_f32 v77, v77, v111
	s_wait_loadcnt 0x5
	s_delay_alu instid0(VALU_DEP_3)
	v_dual_add_f32 v79, v79, v97 :: v_dual_mul_f32 v99, v198, v171
	s_set_vgpr_msb 64                       ;  msbs: dst=1 src0=0 src1=0 src2=0
	v_dual_fmac_f32 v36 /*v292*/, v233, v120 :: v_dual_fmac_f32 v37 /*v293*/, v235, v122
	s_set_vgpr_msb 0                        ;  msbs: dst=0 src0=0 src1=0 src2=0
	v_dual_fma_f32 v97, v232, v120, -v121 :: v_dual_add_f32 v77, v77, v113
	s_set_vgpr_msb 64                       ;  msbs: dst=1 src0=0 src1=0 src2=0
	v_dual_mul_f32 v38 /*v294*/, v236, v125 :: v_dual_mul_f32 v39 /*v295*/, v238, v127
	v_dual_mul_f32 v40 /*v296*/, v240, v129 :: v_dual_mul_f32 v41 /*v297*/, v242, v131
	s_set_vgpr_msb 4                        ;  msbs: dst=0 src0=0 src1=1 src2=0
	v_add_f32_e32 v77, v77, v36 /*v292*/
	s_set_vgpr_msb 64                       ;  msbs: dst=1 src0=0 src1=0 src2=0
	v_dual_fmac_f32 v38 /*v294*/, v237, v124 :: v_dual_fmac_f32 v39 /*v295*/, v239, v126
	v_dual_fmac_f32 v40 /*v296*/, v241, v128 :: v_dual_fmac_f32 v41 /*v297*/, v243, v130
	s_set_vgpr_msb 4                        ;  msbs: dst=0 src0=0 src1=1 src2=0
	v_add_f32_e32 v77, v77, v37 /*v293*/
	s_set_vgpr_msb 64                       ;  msbs: dst=1 src0=0 src1=0 src2=0
	v_dual_mul_f32 v42 /*v298*/, v244, v133 :: v_dual_mul_f32 v43 /*v299*/, v246, v135
	s_set_vgpr_msb 0                        ;  msbs: dst=0 src0=0 src1=0 src2=0
	v_dual_mul_f32 v123, v235, v123 :: v_dual_mul_f32 v125, v237, v125
	s_set_vgpr_msb 4                        ;  msbs: dst=0 src0=0 src1=1 src2=0
	v_add_f32_e32 v77, v77, v38 /*v294*/
	s_set_vgpr_msb 64                       ;  msbs: dst=1 src0=0 src1=0 src2=0
	v_dual_fmac_f32 v42 /*v298*/, v245, v132 :: v_dual_fmac_f32 v43 /*v299*/, v247, v134
	v_dual_mul_f32 v44 /*v300*/, v248, v137 :: v_dual_mul_f32 v45 /*v301*/, v250, v139
	s_set_vgpr_msb 4                        ;  msbs: dst=0 src0=0 src1=1 src2=0
	v_add_f32_e32 v77, v77, v39 /*v295*/
	s_set_vgpr_msb 0                        ;  msbs: dst=0 src0=0 src1=0 src2=0
	v_dual_add_f32 v79, v79, v101 :: v_dual_fma_f32 v102, v234, v122, -v123
	s_set_vgpr_msb 64                       ;  msbs: dst=1 src0=0 src1=0 src2=0
	v_dual_fmac_f32 v44 /*v300*/, v249, v136 :: v_dual_fmac_f32 v45 /*v301*/, v251, v138
	s_set_vgpr_msb 4                        ;  msbs: dst=0 src0=0 src1=1 src2=0
	v_add_f32_e32 v77, v77, v40 /*v296*/
	s_set_vgpr_msb 0                        ;  msbs: dst=0 src0=0 src1=0 src2=0
	v_dual_add_f32 v79, v79, v97 :: v_dual_fma_f32 v103, v236, v124, -v125
	v_dual_mul_f32 v127, v239, v127 :: v_dual_mul_f32 v129, v241, v129
	s_set_vgpr_msb 4                        ;  msbs: dst=0 src0=0 src1=1 src2=0
	v_add_f32_e32 v77, v77, v41 /*v297*/
	s_set_vgpr_msb 64                       ;  msbs: dst=1 src0=0 src1=0 src2=0
	v_dual_mul_f32 v46 /*v302*/, v252, v141 :: v_dual_mul_f32 v47 /*v303*/, v254, v143
	s_set_vgpr_msb 0                        ;  msbs: dst=0 src0=0 src1=0 src2=0
	v_dual_add_f32 v79, v79, v102 :: v_dual_mul_f32 v102, v249, v137
	s_set_vgpr_msb 4                        ;  msbs: dst=0 src0=0 src1=1 src2=0
	v_add_f32_e32 v77, v77, v42 /*v298*/
	s_set_vgpr_msb 0                        ;  msbs: dst=0 src0=0 src1=0 src2=0
	v_fma_f32 v104, v238, v126, -v127
	s_set_vgpr_msb 64                       ;  msbs: dst=1 src0=0 src1=0 src2=0
	v_dual_fmac_f32 v46 /*v302*/, v253, v140 :: v_dual_fmac_f32 v47 /*v303*/, v255, v142
	s_set_vgpr_msb 0                        ;  msbs: dst=0 src0=0 src1=0 src2=0
	v_add_f32_e32 v79, v79, v103
	s_set_vgpr_msb 4                        ;  msbs: dst=0 src0=0 src1=1 src2=0
	v_add_f32_e32 v77, v77, v43 /*v299*/
	s_set_vgpr_msb 0x41                     ;  msbs: dst=1 src0=1 src1=0 src2=0
	v_dual_mul_f32 v48 /*v304*/, v0 /*v256*/, v145 :: v_dual_mul_f32 v49 /*v305*/, v2 /*v258*/, v147
	s_set_vgpr_msb 0                        ;  msbs: dst=0 src0=0 src1=0 src2=0
	v_dual_mul_f32 v103, v251, v139 :: v_dual_fma_f32 v105, v240, v128, -v129
	s_set_vgpr_msb 4                        ;  msbs: dst=0 src0=0 src1=1 src2=0
	v_add_f32_e32 v77, v77, v44 /*v300*/
	s_set_vgpr_msb 0                        ;  msbs: dst=0 src0=0 src1=0 src2=0
	v_dual_add_f32 v79, v79, v104 :: v_dual_mul_f32 v104, v253, v141
	s_set_vgpr_msb 0x41                     ;  msbs: dst=1 src0=1 src1=0 src2=0
	v_dual_mul_f32 v52 /*v308*/, v8 /*v264*/, v153 :: v_dual_fmac_f32 v48 /*v304*/, v1 /*v257*/, v144
	s_set_vgpr_msb 4                        ;  msbs: dst=0 src0=0 src1=1 src2=0
	v_add_f32_e32 v77, v77, v45 /*v301*/
	s_set_vgpr_msb 0                        ;  msbs: dst=0 src0=0 src1=0 src2=0
	v_dual_fma_f32 v93, v242, v130, -v93 :: v_dual_add_f32 v79, v79, v105
	s_set_vgpr_msb 0x41                     ;  msbs: dst=1 src0=1 src1=0 src2=0
	v_dual_mul_f32 v50 /*v306*/, v4 /*v260*/, v149 :: v_dual_mul_f32 v51 /*v307*/, v6 /*v262*/, v151
	s_set_vgpr_msb 4                        ;  msbs: dst=0 src0=0 src1=1 src2=0
	v_add_f32_e32 v77, v77, v46 /*v302*/
	s_set_vgpr_msb 0                        ;  msbs: dst=0 src0=0 src1=0 src2=0
	v_dual_mul_f32 v101, v200, v173 :: v_dual_mul_f32 v97, v247, v135
	v_dual_mul_f32 v105, v255, v143 :: v_dual_fma_f32 v95, v244, v132, -v95
	s_set_vgpr_msb 4                        ;  msbs: dst=0 src0=0 src1=1 src2=0
	v_add_f32_e32 v77, v77, v47 /*v303*/
	s_set_vgpr_msb 0                        ;  msbs: dst=0 src0=0 src1=0 src2=0
	v_dual_add_f32 v79, v79, v93 :: v_dual_fma_f32 v97, v246, v134, -v97
	s_set_vgpr_msb 0x41                     ;  msbs: dst=1 src0=1 src1=0 src2=0
	v_dual_fmac_f32 v49 /*v305*/, v3 /*v259*/, v146 :: v_dual_fmac_f32 v50 /*v306*/, v5 /*v261*/, v148
	s_set_vgpr_msb 4                        ;  msbs: dst=0 src0=0 src1=1 src2=0
	v_add_f32_e32 v77, v77, v48 /*v304*/
	s_set_vgpr_msb 0                        ;  msbs: dst=0 src0=0 src1=0 src2=0
	v_dual_add_f32 v79, v79, v95 :: v_dual_fma_f32 v102, v248, v136, -v102
	s_set_vgpr_msb 0x41                     ;  msbs: dst=1 src0=1 src1=0 src2=0
	v_dual_fmac_f32 v51 /*v307*/, v7 /*v263*/, v150 :: v_dual_fmac_f32 v52 /*v308*/, v9 /*v265*/, v152
	s_set_vgpr_msb 4                        ;  msbs: dst=0 src0=0 src1=1 src2=0
	v_add_f32_e32 v77, v77, v49 /*v305*/
	s_set_vgpr_msb 0                        ;  msbs: dst=0 src0=0 src1=0 src2=0
	v_dual_add_f32 v79, v79, v97 :: v_dual_fma_f32 v103, v250, v138, -v103
	s_wait_dscnt 0x2
	s_set_vgpr_msb 1                        ;  msbs: dst=0 src0=1 src1=0 src2=0
	v_dual_mul_f32 v100, v12 /*v268*/, v157 :: v_dual_mul_f32 v85, v14 /*v270*/, v159
	s_set_vgpr_msb 4                        ;  msbs: dst=0 src0=0 src1=1 src2=0
	v_add_f32_e32 v77, v77, v50 /*v306*/
	s_set_vgpr_msb 0                        ;  msbs: dst=0 src0=0 src1=0 src2=0
	v_dual_add_f32 v79, v79, v102 :: v_dual_fma_f32 v104, v252, v140, -v104
	s_wait_dscnt 0x1
	s_set_vgpr_msb 1                        ;  msbs: dst=0 src0=1 src1=0 src2=0
	v_dual_mul_f32 v106, v21 /*v277*/, v165 :: v_dual_fmac_f32 v98, v11 /*v267*/, v154
	s_set_vgpr_msb 4                        ;  msbs: dst=0 src0=0 src1=1 src2=0
	v_add_f32_e32 v77, v77, v51 /*v307*/
	s_set_vgpr_msb 0                        ;  msbs: dst=0 src0=0 src1=0 src2=0
	v_dual_add_f32 v79, v79, v103 :: v_dual_fma_f32 v105, v254, v142, -v105
	s_set_vgpr_msb 1                        ;  msbs: dst=0 src0=1 src1=0 src2=0
	v_dual_fmac_f32 v100, v13 /*v269*/, v156 :: v_dual_mul_f32 v81, v16 /*v272*/, v161
	v_mul_f32_e32 v83, v18 /*v274*/, v163
	s_set_vgpr_msb 4                        ;  msbs: dst=0 src0=0 src1=1 src2=0
	v_add_f32_e32 v77, v77, v52 /*v308*/
	s_set_vgpr_msb 0                        ;  msbs: dst=0 src0=0 src1=0 src2=0
	v_add_f32_e32 v79, v79, v104
	s_set_vgpr_msb 1                        ;  msbs: dst=0 src0=1 src1=0 src2=0
	v_dual_mul_f32 v93, v1 /*v257*/, v145 :: v_dual_mul_f32 v102, v7 /*v263*/, v151
	v_fmac_f32_e32 v85, v15 /*v271*/, v158
	s_set_vgpr_msb 0                        ;  msbs: dst=0 src0=0 src1=0 src2=0
	v_dual_add_f32 v77, v77, v98 :: v_dual_add_f32 v79, v79, v105
	s_wait_dscnt 0x0
	s_set_vgpr_msb 1                        ;  msbs: dst=0 src0=1 src1=0 src2=0
	v_dual_mul_f32 v98, v25 /*v281*/, v169 :: v_dual_mul_f32 v91, v24 /*v280*/, v169
	v_mul_f32_e32 v95, v3 /*v259*/, v147
	s_set_vgpr_msb 0                        ;  msbs: dst=0 src0=0 src1=0 src2=0
	v_add_f32_e32 v77, v77, v100
	s_set_vgpr_msb 1                        ;  msbs: dst=0 src0=1 src1=0 src2=0
	v_dual_mul_f32 v103, v9 /*v265*/, v153 :: v_dual_fma_f32 v93, v0 /*v256*/, v144, -v93
	s_set_vgpr_msb 0                        ;  msbs: dst=0 src0=0 src1=0 src2=0
	v_mul_f32_e32 v100, v199, v171
	s_set_vgpr_msb 1                        ;  msbs: dst=0 src0=1 src1=0 src2=0
	v_dual_fmac_f32 v81, v17 /*v273*/, v160 :: v_dual_fmac_f32 v83, v19 /*v275*/, v162
	s_set_vgpr_msb 0                        ;  msbs: dst=0 src0=0 src1=0 src2=0
	v_add_f32_e32 v77, v77, v85
	s_set_vgpr_msb 1                        ;  msbs: dst=0 src0=1 src1=0 src2=0
	v_dual_mul_f32 v97, v5 /*v261*/, v149 :: v_dual_mul_f32 v104, v11 /*v267*/, v155
	v_dual_mul_f32 v105, v13 /*v269*/, v157 :: v_dual_fma_f32 v95, v2 /*v258*/, v146, -v95
	s_set_vgpr_msb 0                        ;  msbs: dst=0 src0=0 src1=0 src2=0
	v_add_f32_e32 v77, v77, v81
	v_add_f32_e32 v79, v79, v93
	s_set_vgpr_msb 1                        ;  msbs: dst=0 src0=1 src1=0 src2=0
	v_dual_mul_f32 v93, v15 /*v271*/, v159 :: v_dual_fma_f32 v97, v4 /*v260*/, v148, -v97
	v_dual_mul_f32 v89, v20 /*v276*/, v165 :: v_dual_mul_f32 v87, v22 /*v278*/, v167
	s_set_vgpr_msb 0                        ;  msbs: dst=0 src0=0 src1=0 src2=0
	v_add_f32_e32 v77, v77, v83
	v_dual_add_f32 v79, v79, v95 :: v_dual_mul_f32 v85, v201, v173
	s_set_vgpr_msb 1                        ;  msbs: dst=0 src0=1 src1=0 src2=0
	v_dual_mul_f32 v95, v17 /*v273*/, v161 :: v_dual_fma_f32 v102, v6 /*v262*/, v150, -v102
	v_fma_f32 v103, v8 /*v264*/, v152, -v103
	s_set_vgpr_msb 0                        ;  msbs: dst=0 src0=0 src1=0 src2=0
	v_add_f32_e32 v79, v79, v97
	s_set_vgpr_msb 1                        ;  msbs: dst=0 src0=1 src1=0 src2=0
	v_dual_mul_f32 v97, v19 /*v275*/, v163 :: v_dual_fmac_f32 v89, v21 /*v277*/, v164
	v_dual_fmac_f32 v87, v23 /*v279*/, v166 :: v_dual_mul_f32 v107, v23 /*v279*/, v167
	s_set_vgpr_msb 0                        ;  msbs: dst=0 src0=0 src1=0 src2=0
	v_add_f32_e32 v79, v79, v102
	s_set_vgpr_msb 1                        ;  msbs: dst=0 src0=1 src1=0 src2=0
	v_fma_f32 v102, v10 /*v266*/, v154, -v104
	s_set_vgpr_msb 0                        ;  msbs: dst=0 src0=0 src1=0 src2=0
	v_add_f32_e32 v77, v77, v89
	s_wait_loadcnt 0x3
	v_mov_b32_e32 v108, v181
	s_set_vgpr_msb 1                        ;  msbs: dst=0 src0=1 src1=0 src2=0
	v_dual_fma_f32 v93, v14 /*v270*/, v158, -v93 :: v_dual_fma_f32 v95, v16 /*v272*/, v160, -v95
	s_set_vgpr_msb 0                        ;  msbs: dst=0 src0=0 src1=0 src2=0
	v_add_f32_e32 v79, v79, v103
	s_set_vgpr_msb 1                        ;  msbs: dst=0 src0=1 src1=0 src2=0
	v_fma_f32 v103, v12 /*v268*/, v156, -v105
	s_set_vgpr_msb 0                        ;  msbs: dst=0 src0=0 src1=0 src2=0
	v_add_f32_e32 v77, v77, v87
	s_set_vgpr_msb 1                        ;  msbs: dst=0 src0=1 src1=0 src2=0
	v_fmac_f32_e32 v91, v25 /*v281*/, v168
	v_fma_f32 v81, v20 /*v276*/, v164, -v106
	s_set_vgpr_msb 0                        ;  msbs: dst=0 src0=0 src1=0 src2=0
	v_dual_add_f32 v79, v79, v102 :: v_dual_mov_b32 v104, v177
	s_set_vgpr_msb 1                        ;  msbs: dst=0 src0=1 src1=0 src2=0
	v_fma_f32 v83, v22 /*v278*/, v166, -v107
	s_set_vgpr_msb 0                        ;  msbs: dst=0 src0=0 src1=0 src2=0
	v_add_f32_e32 v111, v77, v91
	v_dual_fmac_f32 v101, v201, v172 :: v_dual_add_f32 v79, v79, v103
	v_pk_mul_f32 v[102:103], v[202:203], v[174:175] op_sel:[1,1] op_sel_hi:[0,1]
	s_set_vgpr_msb 1                        ;  msbs: dst=0 src0=1 src1=0 src2=0
	v_pk_mul_f32 v[104:105], v[28:29] /*v[284:285]*/, v[104:105] op_sel_hi:[1,0]
	s_set_vgpr_msb 0                        ;  msbs: dst=0 src0=0 src1=0 src2=0
	v_pk_mul_f32 v[106:107], v[206:207], v[178:179] op_sel:[1,1] op_sel_hi:[0,1]
	s_set_vgpr_msb 1                        ;  msbs: dst=0 src0=1 src1=0 src2=0
	v_pk_mul_f32 v[108:109], v[30:31] /*v[286:287]*/, v[108:109] op_sel_hi:[1,0]
	s_set_vgpr_msb 0                        ;  msbs: dst=0 src0=0 src1=0 src2=0
	v_add_f32_e32 v79, v79, v93
	s_set_vgpr_msb 1                        ;  msbs: dst=0 src0=1 src1=0 src2=0
	v_fma_f32 v93, v18 /*v274*/, v162, -v97
	s_set_vgpr_msb 0                        ;  msbs: dst=0 src0=0 src1=0 src2=0
	v_pk_fma_f32 v[112:113], v[202:203], v[174:175], v[102:103] op_sel_hi:[1,0,1]
	v_pk_fma_f32 v[102:103], v[202:203], v[174:175], v[102:103] neg_lo:[0,0,1] neg_hi:[0,0,1]
	v_dual_ashrrev_i32 v87, 31, v86 :: v_dual_ashrrev_i32 v89, 31, v88
	s_delay_alu instid0(VALU_DEP_3) | instskip(SKIP_3) | instid1(VALU_DEP_4)
	v_dual_add_f32 v79, v79, v95 :: v_dual_mov_b32 v103, v113
	v_pk_fma_f32 v[112:113], v[204:205], v[176:177], v[104:105] op_sel_hi:[1,0,1]
	v_fmac_f32_e32 v99, v199, v170
	v_pk_fma_f32 v[104:105], v[204:205], v[176:177], v[104:105] neg_lo:[0,0,1] neg_hi:[0,0,1]
	v_dual_add_f32 v79, v79, v93 :: v_dual_ashrrev_i32 v91, 31, v90
	s_delay_alu instid0(VALU_DEP_4) | instskip(SKIP_1) | instid1(VALU_DEP_3)
	v_dual_ashrrev_i32 v93, 31, v92 :: v_dual_mov_b32 v105, v113
	v_dual_ashrrev_i32 v95, 31, v94 :: v_dual_ashrrev_i32 v97, 31, v96
	v_add_f32_e32 v79, v79, v81
	s_set_vgpr_msb 1                        ;  msbs: dst=0 src0=1 src1=0 src2=0
	v_fma_f32 v81, v24 /*v280*/, v168, -v98
	s_set_vgpr_msb 0                        ;  msbs: dst=0 src0=0 src1=0 src2=0
	v_dual_fma_f32 v98, v198, v170, -v100 :: v_dual_fma_f32 v100, v200, v172, -v85
	v_dual_ashrrev_i32 v85, 31, v84 :: v_dual_add_f32 v79, v79, v83
	s_delay_alu instid0(VALU_DEP_1) | instskip(SKIP_1) | instid1(VALU_DEP_2)
	v_dual_add_f32 v110, v79, v81 :: v_dual_ashrrev_i32 v83, 31, v82
	v_ashrrev_i32_e32 v79, 31, v78
	v_pk_add_f32 v[98:99], v[110:111], v[98:99]
	s_wait_loadcnt 0x2
	v_pk_mul_f32 v[110:111], v[218:219], v[182:183] op_sel:[1,1] op_sel_hi:[0,1]
	s_delay_alu instid0(VALU_DEP_2) | instskip(SKIP_2) | instid1(VALU_DEP_3)
	v_pk_add_f32 v[98:99], v[98:99], v[100:101]
	v_pk_fma_f32 v[100:101], v[206:207], v[178:179], v[106:107] op_sel_hi:[1,0,1]
	v_mov_b32_e32 v100, v185
	v_pk_add_f32 v[98:99], v[98:99], v[102:103]
	v_pk_fma_f32 v[102:103], v[206:207], v[178:179], v[106:107] neg_lo:[0,0,1] neg_hi:[0,0,1]
	v_pk_fma_f32 v[106:107], v[208:209], v[180:181], v[108:109] op_sel_hi:[1,0,1]
	v_pk_fma_f32 v[108:109], v[208:209], v[180:181], v[108:109] neg_lo:[0,0,1] neg_hi:[0,0,1]
	s_delay_alu instid0(VALU_DEP_4)
	v_pk_add_f32 v[98:99], v[98:99], v[104:105]
	v_pk_fma_f32 v[104:105], v[218:219], v[182:183], v[110:111] op_sel_hi:[1,0,1]
	v_mov_b32_e32 v103, v101
	s_set_vgpr_msb 1                        ;  msbs: dst=0 src0=1 src1=0 src2=0
	v_pk_mul_f32 v[100:101], v[32:33] /*v[288:289]*/, v[100:101] op_sel_hi:[1,0]
	s_set_vgpr_msb 0                        ;  msbs: dst=0 src0=0 src1=0 src2=0
	v_mov_b32_e32 v109, v107
	v_pk_fma_f32 v[106:107], v[218:219], v[182:183], v[110:111] neg_lo:[0,0,1] neg_hi:[0,0,1]
	v_mov_b32_e32 v107, v105
	v_pk_add_f32 v[98:99], v[98:99], v[102:103]
	v_pk_fma_f32 v[104:105], v[220:221], v[184:185], v[100:101] op_sel_hi:[1,0,1]
	s_wait_loadcnt 0x1
	v_pk_mul_f32 v[102:103], v[222:223], v[186:187] op_sel:[1,1] op_sel_hi:[0,1]
	v_mov_b32_e32 v104, v189
	v_pk_fma_f32 v[100:101], v[220:221], v[184:185], v[100:101] neg_lo:[0,0,1] neg_hi:[0,0,1]
	v_pk_add_f32 v[98:99], v[98:99], v[108:109]
	v_mov_b32_e32 v101, v105
	v_pk_fma_f32 v[108:109], v[222:223], v[186:187], v[102:103] op_sel_hi:[1,0,1]
	s_set_vgpr_msb 1                        ;  msbs: dst=0 src0=1 src1=0 src2=0
	v_pk_mul_f32 v[104:105], v[34:35] /*v[290:291]*/, v[104:105] op_sel_hi:[1,0]
	s_set_vgpr_msb 0                        ;  msbs: dst=0 src0=0 src1=0 src2=0
	v_pk_fma_f32 v[102:103], v[222:223], v[186:187], v[102:103] neg_lo:[0,0,1] neg_hi:[0,0,1]
	v_pk_add_f32 v[98:99], v[98:99], v[106:107]
	v_dual_ashrrev_i32 v77, 31, v76 :: v_dual_mov_b32 v103, v109
	s_delay_alu instid0(VALU_DEP_2) | instskip(SKIP_3) | instid1(VALU_DEP_4)
	v_pk_add_f32 v[98:99], v[98:99], v[100:101]
	v_pk_fma_f32 v[100:101], v[224:225], v[188:189], v[104:105] op_sel_hi:[1,0,1]
	v_pk_fma_f32 v[104:105], v[224:225], v[188:189], v[104:105] neg_lo:[0,0,1] neg_hi:[0,0,1]
	v_ashrrev_i32_e32 v81, 31, v80
	v_pk_add_f32 v[98:99], v[98:99], v[102:103]
	s_delay_alu instid0(VALU_DEP_4) | instskip(NEXT) | instid1(VALU_DEP_1)
	v_mov_b32_e32 v105, v101
	v_pk_add_f32 v[98:99], v[98:99], v[104:105]
	s_wait_loadcnt 0x0
	s_set_vgpr_msb 1                        ;  msbs: dst=0 src0=1 src1=0 src2=0
	s_delay_alu instid0(VALU_DEP_1)
	v_pk_add_f32 v[98:99], v[26:27] /*v[282:283]*/, v[98:99] neg_lo:[0,1] neg_hi:[0,1]
	scratch_store_b64 off, v[98:99], off offset:8
	s_wait_xcnt 0x0
	v_cmpx_ne_u32_e32 0, v0
	s_set_vgpr_msb 0                        ;  msbs: dst=0 src0=0 src1=0 src2=0
	s_cbranch_execz .LBB47_301
; %bb.300:
	scratch_load_b64 v[98:99], off, off
	v_mov_b64_e32 v[100:101], 0
	scratch_store_b64 off, v[100:101], off
	s_wait_loadcnt 0x0
	ds_store_b64 v1, v[98:99]
.LBB47_301:
	s_wait_xcnt 0x0
	s_or_b32 exec_lo, exec_lo, s0
	s_wait_storecnt_dscnt 0x0
	s_barrier_signal -1
	s_barrier_wait -1
	s_clause 0x17
	scratch_load_b128 v[100:103], off, off offset:8
	scratch_load_b128 v[104:107], off, off offset:24
	;; [unrolled: 1-line block ×23, first 2 shown]
	scratch_load_b64 v[0:1], off, off offset:376
	v_mov_b32_e32 v98, 0
	s_set_vgpr_msb 64                       ;  msbs: dst=1 src0=0 src1=0 src2=0
	scratch_load_b64 v[28:29] /*v[284:285]*/, off, off
	s_set_vgpr_msb 0                        ;  msbs: dst=0 src0=0 src1=0 src2=0
	ds_load_2addr_b64 v[192:195], v98 offset0:49 offset1:50
	ds_load_2addr_b64 v[196:199], v98 offset0:51 offset1:52
	;; [unrolled: 1-line block ×16, first 2 shown]
	s_set_vgpr_msb 64                       ;  msbs: dst=1 src0=0 src1=0 src2=0
	ds_load_2addr_b64 v[0:3] /*v[256:259]*/, v98 offset0:71 offset1:72
	ds_load_2addr_b64 v[4:7] /*v[260:263]*/, v98 offset0:73 offset1:74
	;; [unrolled: 1-line block ×7, first 2 shown]
	ds_load_b64 v[30:31] /*v[286:287]*/, v98 offset:760
	s_wait_dscnt 0x14
	v_dual_mov_b32 v32 /*v288*/, v207 :: v_dual_mov_b32 v33 /*v289*/, v206
	s_wait_dscnt 0x11
	v_dual_mov_b32 v34 /*v290*/, v219 :: v_dual_mov_b32 v35 /*v291*/, v218
	;; [unrolled: 2-line block ×4, first 2 shown]
	s_and_b32 vcc_lo, exec_lo, s18
	s_wait_loadcnt 0x18
	s_set_vgpr_msb 0                        ;  msbs: dst=0 src0=0 src1=0 src2=0
	v_dual_mul_f32 v99, v192, v101 :: v_dual_mul_f32 v101, v193, v101
	s_wait_loadcnt 0x17
	s_set_vgpr_msb 64                       ;  msbs: dst=1 src0=0 src1=0 src2=0
	v_dual_mul_f32 v40 /*v296*/, v194, v103 :: v_dual_mul_f32 v42 /*v298*/, v196, v105
	s_wait_loadcnt 0x15
	v_dual_mul_f32 v46 /*v302*/, v210, v111 :: v_dual_mul_f32 v47 /*v303*/, v212, v113
	s_set_vgpr_msb 0                        ;  msbs: dst=0 src0=0 src1=0 src2=0
	v_dual_mul_f32 v103, v195, v103 :: v_dual_mul_f32 v113, v213, v113
	v_dual_fmac_f32 v99, v193, v100 :: v_dual_fma_f32 v100, v192, v100, -v101
	v_dual_mul_f32 v105, v197, v105 :: v_dual_mul_f32 v101, v215, v115
	s_set_vgpr_msb 64                       ;  msbs: dst=1 src0=0 src1=0 src2=0
	v_dual_fmac_f32 v40 /*v296*/, v195, v102 :: v_dual_fmac_f32 v42 /*v298*/, v197, v104
	s_set_vgpr_msb 0                        ;  msbs: dst=0 src0=0 src1=0 src2=0
	v_dual_fma_f32 v102, v194, v102, -v103 :: v_dual_add_f32 v99, 0, v99
	s_wait_loadcnt 0x14
	v_dual_add_f32 v100, 0, v100 :: v_dual_mul_f32 v103, v225, v117
	s_set_vgpr_msb 64                       ;  msbs: dst=1 src0=0 src1=0 src2=0
	v_dual_mul_f32 v44 /*v300*/, v198, v107 :: v_dual_mul_f32 v45 /*v301*/, v208, v109
	s_set_vgpr_msb 0                        ;  msbs: dst=0 src0=0 src1=0 src2=0
	v_dual_mul_f32 v107, v199, v107 :: v_dual_fma_f32 v104, v196, v104, -v105
	v_dual_add_f32 v100, v100, v102 :: v_dual_mul_f32 v109, v209, v109
	v_mul_f32_e32 v111, v211, v111
	s_delay_alu instid0(VALU_DEP_3) | instskip(NEXT) | instid1(VALU_DEP_3)
	v_dual_mul_f32 v102, v227, v119 :: v_dual_fma_f32 v105, v198, v106, -v107
	v_add_f32_e32 v100, v100, v104
	s_set_vgpr_msb 64                       ;  msbs: dst=1 src0=0 src1=0 src2=0
	v_dual_fmac_f32 v44 /*v300*/, v199, v106 :: v_dual_fmac_f32 v45 /*v301*/, v209, v108
	s_set_vgpr_msb 0                        ;  msbs: dst=0 src0=0 src1=0 src2=0
	v_dual_fma_f32 v106, v208, v108, -v109 :: v_dual_fma_f32 v107, v210, v110, -v111
	s_wait_loadcnt 0x13
	v_dual_add_f32 v100, v100, v105 :: v_dual_mul_f32 v105, v231, v123
	v_fma_f32 v108, v212, v112, -v113
	v_dual_fma_f32 v101, v214, v114, -v101 :: v_dual_fma_f32 v103, v224, v116, -v103
	s_wait_loadcnt_dscnt 0x120c
	s_delay_alu instid0(VALU_DEP_3)
	v_dual_add_f32 v100, v100, v106 :: v_dual_mul_f32 v106, v237, v125
	v_mul_f32_e32 v104, v229, v121
	s_set_vgpr_msb 64                       ;  msbs: dst=1 src0=0 src1=0 src2=0
	v_dual_fmac_f32 v46 /*v302*/, v211, v110 :: v_dual_fmac_f32 v47 /*v303*/, v213, v112
	s_set_vgpr_msb 0                        ;  msbs: dst=0 src0=0 src1=0 src2=0
	v_add_f32_e32 v100, v100, v107
	v_dual_mul_f32 v107, v239, v127 :: v_dual_fma_f32 v102, v226, v118, -v102
	v_fma_f32 v104, v228, v120, -v104
	v_fma_f32 v106, v236, v124, -v106
	s_wait_loadcnt_dscnt 0x110b
	v_dual_add_f32 v100, v100, v108 :: v_dual_mul_f32 v108, v241, v129
	s_set_vgpr_msb 64                       ;  msbs: dst=1 src0=0 src1=0 src2=0
	v_dual_mul_f32 v48 /*v304*/, v214, v115 :: v_dual_mul_f32 v49 /*v305*/, v224, v117
	v_dual_mul_f32 v50 /*v306*/, v226, v119 :: v_dual_mul_f32 v51 /*v307*/, v228, v121
	s_set_vgpr_msb 0                        ;  msbs: dst=0 src0=0 src1=0 src2=0
	v_dual_add_f32 v100, v100, v101 :: v_dual_mul_f32 v101, v243, v131
	v_fma_f32 v108, v240, v128, -v108
	s_set_vgpr_msb 64                       ;  msbs: dst=1 src0=0 src1=0 src2=0
	v_dual_fmac_f32 v48 /*v304*/, v215, v114 :: v_dual_fmac_f32 v49 /*v305*/, v225, v116
	s_wait_loadcnt_dscnt 0x100a
	s_set_vgpr_msb 0                        ;  msbs: dst=0 src0=0 src1=0 src2=0
	v_dual_add_f32 v100, v100, v103 :: v_dual_mul_f32 v103, v245, v133
	s_set_vgpr_msb 64                       ;  msbs: dst=1 src0=0 src1=0 src2=0
	v_dual_fmac_f32 v50 /*v306*/, v227, v118 :: v_dual_fmac_f32 v51 /*v307*/, v229, v120
	s_set_vgpr_msb 0                        ;  msbs: dst=0 src0=0 src1=0 src2=0
	v_fma_f32 v107, v238, v126, -v107
	v_dual_add_f32 v100, v100, v102 :: v_dual_mul_f32 v102, v247, v135
	v_fma_f32 v105, v230, v122, -v105
	s_set_vgpr_msb 64                       ;  msbs: dst=1 src0=0 src1=0 src2=0
	v_dual_mul_f32 v52 /*v308*/, v230, v123 :: v_dual_mul_f32 v53 /*v309*/, v236, v125
	s_wait_loadcnt_dscnt 0xf09
	s_set_vgpr_msb 0                        ;  msbs: dst=0 src0=0 src1=0 src2=0
	v_dual_add_f32 v100, v100, v104 :: v_dual_mul_f32 v104, v249, v137
	s_set_vgpr_msb 64                       ;  msbs: dst=1 src0=0 src1=0 src2=0
	v_dual_mul_f32 v54 /*v310*/, v238, v127 :: v_dual_mul_f32 v55 /*v311*/, v240, v129
	s_set_vgpr_msb 0                        ;  msbs: dst=0 src0=0 src1=0 src2=0
	s_delay_alu instid0(VALU_DEP_2) | instskip(SKIP_3) | instid1(VALU_DEP_3)
	v_dual_fma_f32 v101, v242, v130, -v101 :: v_dual_add_f32 v100, v100, v105
	v_dual_mul_f32 v105, v251, v139 :: v_dual_fma_f32 v103, v244, v132, -v103
	v_dual_fma_f32 v102, v246, v134, -v102 :: v_dual_fma_f32 v104, v248, v136, -v104
	s_wait_loadcnt_dscnt 0xe08
	v_dual_add_f32 v100, v100, v106 :: v_dual_mul_f32 v106, v253, v141
	s_delay_alu instid0(VALU_DEP_3)
	v_fma_f32 v105, v250, v138, -v105
	s_set_vgpr_msb 64                       ;  msbs: dst=1 src0=0 src1=0 src2=0
	v_dual_fmac_f32 v52 /*v308*/, v231, v122 :: v_dual_fmac_f32 v53 /*v309*/, v237, v124
	s_set_vgpr_msb 0                        ;  msbs: dst=0 src0=0 src1=0 src2=0
	v_add_f32_e32 v100, v100, v107
	v_dual_mul_f32 v107, v255, v143 :: v_dual_fma_f32 v106, v252, v140, -v106
	s_wait_loadcnt 0x6
	v_mul_f32_e32 v109, v201, v173
	s_set_vgpr_msb 64                       ;  msbs: dst=1 src0=0 src1=0 src2=0
	v_dual_fmac_f32 v54 /*v310*/, v239, v126 :: v_dual_fmac_f32 v55 /*v311*/, v241, v128
	s_set_vgpr_msb 0                        ;  msbs: dst=0 src0=0 src1=0 src2=0
	v_dual_add_f32 v100, v100, v108 :: v_dual_fma_f32 v107, v254, v142, -v107
	s_wait_loadcnt 0x5
	v_mul_f32_e32 v111, v205, v177
	s_wait_dscnt 0x7
	s_set_vgpr_msb 1                        ;  msbs: dst=0 src0=1 src1=0 src2=0
	v_mul_f32_e32 v108, v1 /*v257*/, v145
	s_set_vgpr_msb 0                        ;  msbs: dst=0 src0=0 src1=0 src2=0
	v_fma_f32 v110, v200, v172, -v109
	v_add_f32_e32 v100, v100, v101
	s_set_vgpr_msb 1                        ;  msbs: dst=0 src0=1 src1=0 src2=0
	v_mul_f32_e32 v101, v3 /*v259*/, v147
	s_set_vgpr_msb 64                       ;  msbs: dst=1 src0=0 src1=0 src2=0
	v_dual_mul_f32 v56 /*v312*/, v242, v131 :: v_dual_mul_f32 v57 /*v313*/, v244, v133
	v_dual_mul_f32 v58 /*v314*/, v246, v135 :: v_dual_mul_f32 v59 /*v315*/, v248, v137
	s_set_vgpr_msb 0                        ;  msbs: dst=0 src0=0 src1=0 src2=0
	v_add_f32_e32 v100, v100, v103
	s_wait_dscnt 0x6
	s_set_vgpr_msb 1                        ;  msbs: dst=0 src0=1 src1=0 src2=0
	v_mul_f32_e32 v103, v5 /*v261*/, v149
	s_set_vgpr_msb 64                       ;  msbs: dst=1 src0=0 src1=0 src2=0
	v_dual_fmac_f32 v56 /*v312*/, v243, v130 :: v_dual_fmac_f32 v57 /*v313*/, v245, v132
	v_dual_fmac_f32 v58 /*v314*/, v247, v134 :: v_dual_fmac_f32 v59 /*v315*/, v249, v136
	s_set_vgpr_msb 0                        ;  msbs: dst=0 src0=0 src1=0 src2=0
	v_add_f32_e32 v100, v100, v102
	s_set_vgpr_msb 1                        ;  msbs: dst=0 src0=1 src1=0 src2=0
	v_dual_fma_f32 v108, v0 /*v256*/, v144, -v108 :: v_dual_mul_f32 v102, v7 /*v263*/, v151
	s_set_vgpr_msb 64                       ;  msbs: dst=1 src0=0 src1=0 src2=0
	v_dual_mul_f32 v60 /*v316*/, v250, v139 :: v_dual_mul_f32 v61 /*v317*/, v252, v141
	s_set_vgpr_msb 0                        ;  msbs: dst=0 src0=0 src1=0 src2=0
	v_add_f32_e32 v100, v100, v104
	s_wait_dscnt 0x5
	s_set_vgpr_msb 1                        ;  msbs: dst=0 src0=1 src1=0 src2=0
	v_dual_fma_f32 v101, v2 /*v258*/, v146, -v101 :: v_dual_mul_f32 v104, v9 /*v265*/, v153
	s_set_vgpr_msb 64                       ;  msbs: dst=1 src0=0 src1=0 src2=0
	v_dual_fmac_f32 v60 /*v316*/, v251, v138 :: v_dual_fmac_f32 v61 /*v317*/, v253, v140
	s_set_vgpr_msb 0                        ;  msbs: dst=0 src0=0 src1=0 src2=0
	v_add_f32_e32 v100, v100, v105
	s_set_vgpr_msb 1                        ;  msbs: dst=0 src0=1 src1=0 src2=0
	v_dual_fma_f32 v103, v4 /*v260*/, v148, -v103 :: v_dual_mul_f32 v105, v11 /*v267*/, v155
	s_set_vgpr_msb 64                       ;  msbs: dst=1 src0=0 src1=0 src2=0
	v_dual_mul_f32 v62 /*v318*/, v254, v143 :: v_dual_mul_f32 v77 /*v333*/, v200, v173
	s_set_vgpr_msb 0                        ;  msbs: dst=0 src0=0 src1=0 src2=0
	v_add_f32_e32 v100, v100, v106
	s_wait_dscnt 0x4
	s_set_vgpr_msb 1                        ;  msbs: dst=0 src0=1 src1=0 src2=0
	v_dual_mul_f32 v106, v13 /*v269*/, v157 :: v_dual_fma_f32 v102, v6 /*v262*/, v150, -v102
	s_set_vgpr_msb 0x41                     ;  msbs: dst=1 src0=1 src1=0 src2=0
	v_dual_mul_f32 v63 /*v319*/, v0 /*v256*/, v145 :: v_dual_mul_f32 v64 /*v320*/, v2 /*v258*/, v147
	s_set_vgpr_msb 0                        ;  msbs: dst=0 src0=0 src1=0 src2=0
	v_add_f32_e32 v100, v100, v107
	s_set_vgpr_msb 1                        ;  msbs: dst=0 src0=1 src1=0 src2=0
	v_dual_mul_f32 v107, v15 /*v271*/, v159 :: v_dual_fma_f32 v104, v8 /*v264*/, v152, -v104
	s_set_vgpr_msb 64                       ;  msbs: dst=1 src0=0 src1=0 src2=0
	v_dual_fmac_f32 v62 /*v318*/, v255, v142 :: v_dual_fmac_f32 v77 /*v333*/, v201, v172
	s_set_vgpr_msb 0                        ;  msbs: dst=0 src0=0 src1=0 src2=0
	v_add_f32_e32 v100, v100, v108
	s_wait_dscnt 0x3
	s_set_vgpr_msb 1                        ;  msbs: dst=0 src0=1 src1=0 src2=0
	v_dual_mul_f32 v108, v17 /*v273*/, v161 :: v_dual_fma_f32 v105, v10 /*v266*/, v154, -v105
	s_set_vgpr_msb 0x41                     ;  msbs: dst=1 src0=1 src1=0 src2=0
	v_dual_fmac_f32 v63 /*v319*/, v1 /*v257*/, v144 :: v_dual_fmac_f32 v64 /*v320*/, v3 /*v259*/, v146
	s_set_vgpr_msb 0                        ;  msbs: dst=0 src0=0 src1=0 src2=0
	v_add_f32_e32 v100, v100, v101
	s_set_vgpr_msb 1                        ;  msbs: dst=0 src0=1 src1=0 src2=0
	v_dual_mul_f32 v101, v19 /*v275*/, v163 :: v_dual_fma_f32 v106, v12 /*v268*/, v156, -v106
	s_set_vgpr_msb 0x41                     ;  msbs: dst=1 src0=1 src1=0 src2=0
	v_dual_mul_f32 v65 /*v321*/, v4 /*v260*/, v149 :: v_dual_mul_f32 v66 /*v322*/, v6 /*v262*/, v151
	s_set_vgpr_msb 0                        ;  msbs: dst=0 src0=0 src1=0 src2=0
	v_add_f32_e32 v100, v100, v103
	s_wait_dscnt 0x2
	s_set_vgpr_msb 1                        ;  msbs: dst=0 src0=1 src1=0 src2=0
	v_dual_mul_f32 v103, v21 /*v277*/, v165 :: v_dual_fma_f32 v107, v14 /*v270*/, v158, -v107
	s_set_vgpr_msb 0x41                     ;  msbs: dst=1 src0=1 src1=0 src2=0
	v_dual_fmac_f32 v65 /*v321*/, v5 /*v261*/, v148 :: v_dual_fmac_f32 v66 /*v322*/, v7 /*v263*/, v150
	s_set_vgpr_msb 0                        ;  msbs: dst=0 src0=0 src1=0 src2=0
	v_add_f32_e32 v100, v100, v102
	s_set_vgpr_msb 1                        ;  msbs: dst=0 src0=1 src1=0 src2=0
	v_dual_mul_f32 v102, v23 /*v279*/, v167 :: v_dual_fma_f32 v101, v18 /*v274*/, v162, -v101
	v_fma_f32 v103, v20 /*v276*/, v164, -v103
	s_set_vgpr_msb 0x41                     ;  msbs: dst=1 src0=1 src1=0 src2=0
	v_dual_mul_f32 v67 /*v323*/, v8 /*v264*/, v153 :: v_dual_mul_f32 v68 /*v324*/, v10 /*v266*/, v155
	s_set_vgpr_msb 0                        ;  msbs: dst=0 src0=0 src1=0 src2=0
	v_add_f32_e32 v100, v100, v104
	s_wait_dscnt 0x1
	s_set_vgpr_msb 1                        ;  msbs: dst=0 src0=1 src1=0 src2=0
	v_mul_f32_e32 v104, v25 /*v281*/, v169
	s_set_vgpr_msb 0x41                     ;  msbs: dst=1 src0=1 src1=0 src2=0
	v_dual_mul_f32 v69 /*v325*/, v12 /*v268*/, v157 :: v_dual_mul_f32 v70 /*v326*/, v14 /*v270*/, v159
	v_dual_fmac_f32 v67 /*v323*/, v9 /*v265*/, v152 :: v_dual_fmac_f32 v68 /*v324*/, v11 /*v267*/, v154
	s_set_vgpr_msb 0                        ;  msbs: dst=0 src0=0 src1=0 src2=0
	v_add_f32_e32 v100, v100, v105
	s_set_vgpr_msb 1                        ;  msbs: dst=0 src0=1 src1=0 src2=0
	v_mul_f32_e32 v105, v27 /*v283*/, v171
	s_set_vgpr_msb 0x41                     ;  msbs: dst=1 src0=1 src1=0 src2=0
	v_dual_fmac_f32 v69 /*v325*/, v13 /*v269*/, v156 :: v_dual_fmac_f32 v70 /*v326*/, v15 /*v271*/, v158
	v_dual_mul_f32 v71 /*v327*/, v16 /*v272*/, v161 :: v_dual_mul_f32 v72 /*v328*/, v18 /*v274*/, v163
	s_set_vgpr_msb 0                        ;  msbs: dst=0 src0=0 src1=0 src2=0
	v_add_f32_e32 v100, v100, v106
	s_set_vgpr_msb 1                        ;  msbs: dst=0 src0=1 src1=0 src2=0
	v_dual_fma_f32 v106, v16 /*v272*/, v160, -v108 :: v_dual_fma_f32 v105, v26 /*v282*/, v170, -v105
	s_set_vgpr_msb 0x41                     ;  msbs: dst=1 src0=1 src1=0 src2=0
	v_dual_fmac_f32 v71 /*v327*/, v17 /*v273*/, v160 :: v_dual_fmac_f32 v72 /*v328*/, v19 /*v275*/, v162
	s_set_vgpr_msb 0                        ;  msbs: dst=0 src0=0 src1=0 src2=0
	v_add_f32_e32 v100, v100, v107
	s_set_vgpr_msb 1                        ;  msbs: dst=0 src0=1 src1=0 src2=0
	v_fma_f32 v107, v24 /*v280*/, v168, -v104
	s_set_vgpr_msb 0x41                     ;  msbs: dst=1 src0=1 src1=0 src2=0
	v_dual_mul_f32 v73 /*v329*/, v20 /*v276*/, v165 :: v_dual_mul_f32 v74 /*v330*/, v22 /*v278*/, v167
	v_dual_mul_f32 v75 /*v331*/, v24 /*v280*/, v169 :: v_dual_mul_f32 v76 /*v332*/, v26 /*v282*/, v171
	s_set_vgpr_msb 0                        ;  msbs: dst=0 src0=0 src1=0 src2=0
	v_add_f32_e32 v100, v100, v106
	s_set_vgpr_msb 1                        ;  msbs: dst=0 src0=1 src1=0 src2=0
	v_fma_f32 v106, v22 /*v278*/, v166, -v102
	s_set_vgpr_msb 0x41                     ;  msbs: dst=1 src0=1 src1=0 src2=0
	v_dual_fmac_f32 v73 /*v329*/, v21 /*v277*/, v164 :: v_dual_fmac_f32 v74 /*v330*/, v23 /*v279*/, v166
	v_dual_fmac_f32 v75 /*v331*/, v25 /*v281*/, v168 :: v_dual_fmac_f32 v76 /*v332*/, v27 /*v283*/, v170
	s_set_vgpr_msb 0                        ;  msbs: dst=0 src0=0 src1=0 src2=0
	v_dual_add_f32 v101, v100, v101 :: v_dual_mov_b32 v100, v179
	s_set_vgpr_msb 64                       ;  msbs: dst=1 src0=0 src1=0 src2=0
	v_dual_mul_f32 v41 /*v297*/, v202, v175 :: v_dual_mul_f32 v43 /*v299*/, v204, v177
	s_set_vgpr_msb 0                        ;  msbs: dst=0 src0=0 src1=0 src2=0
	v_mul_f32_e32 v108, v203, v175
	v_add_f32_e32 v101, v101, v103
	s_wait_loadcnt 0x4
	v_pk_mul_f32 v[102:103], v[216:217], v[180:181] op_sel:[1,1] op_sel_hi:[0,1]
	s_set_vgpr_msb 64                       ;  msbs: dst=1 src0=0 src1=0 src2=0
	v_dual_fmac_f32 v41 /*v297*/, v203, v174 :: v_dual_fmac_f32 v43 /*v299*/, v205, v176
	s_set_vgpr_msb 0                        ;  msbs: dst=0 src0=0 src1=0 src2=0
	v_dual_mov_b32 v104, v183 :: v_dual_add_f32 v101, v101, v106
	v_pk_fma_f32 v[114:115], v[216:217], v[180:181], v[102:103] op_sel_hi:[1,0,1]
	v_pk_fma_f32 v[102:103], v[216:217], v[180:181], v[102:103] neg_lo:[0,0,1] neg_hi:[0,0,1]
	s_delay_alu instid0(VALU_DEP_3) | instskip(SKIP_2) | instid1(VALU_DEP_2)
	v_add_f32_e32 v101, v101, v107
	s_wait_loadcnt 0x3
	v_pk_mul_f32 v[106:107], v[220:221], v[184:185] op_sel:[1,1] op_sel_hi:[0,1]
	v_dual_mov_b32 v103, v115 :: v_dual_add_f32 v105, v101, v105
	s_set_vgpr_msb 1                        ;  msbs: dst=0 src0=1 src1=0 src2=0
	v_pk_mul_f32 v[100:101], v[32:33] /*v[288:289]*/, v[100:101] op_sel_hi:[1,0]
	s_set_vgpr_msb 0                        ;  msbs: dst=0 src0=0 src1=0 src2=0
	s_delay_alu instid0(VALU_DEP_1)
	v_pk_fma_f32 v[112:113], v[206:207], v[178:179], v[100:101] op_sel_hi:[1,0,1]
	s_set_vgpr_msb 4                        ;  msbs: dst=0 src0=0 src1=1 src2=0
	v_add_f32_e32 v99, v99, v40 /*v296*/
	s_set_vgpr_msb 0                        ;  msbs: dst=0 src0=0 src1=0 src2=0
	v_pk_fma_f32 v[100:101], v[206:207], v[178:179], v[100:101] neg_lo:[0,0,1] neg_hi:[0,0,1]
	s_set_vgpr_msb 64                       ;  msbs: dst=1 src0=0 src1=0 src2=0
	v_fma_f32 v40 /*v296*/, v202, v174, -v108
	s_set_vgpr_msb 0                        ;  msbs: dst=0 src0=0 src1=0 src2=0
	v_add_f32_e32 v108, v105, v110
	s_set_vgpr_msb 4                        ;  msbs: dst=0 src0=0 src1=1 src2=0
	v_dual_mov_b32 v101, v113 :: v_dual_add_f32 v99, v99, v42 /*v298*/
	s_set_vgpr_msb 64                       ;  msbs: dst=1 src0=0 src1=0 src2=0
	v_fma_f32 v42 /*v298*/, v204, v176, -v111
	s_set_vgpr_msb 1                        ;  msbs: dst=0 src0=1 src1=0 src2=0
	v_pk_mul_f32 v[104:105], v[34:35] /*v[290:291]*/, v[104:105] op_sel_hi:[1,0]
	s_set_vgpr_msb 0                        ;  msbs: dst=0 src0=0 src1=0 src2=0
	v_mov_b32_e32 v110, v187
	s_wait_loadcnt 0x2
	v_pk_mul_f32 v[112:113], v[232:233], v[188:189] op_sel:[1,1] op_sel_hi:[0,1]
	s_set_vgpr_msb 4                        ;  msbs: dst=0 src0=0 src1=1 src2=0
	v_add_f32_e32 v99, v99, v44 /*v300*/
	s_set_vgpr_msb 0                        ;  msbs: dst=0 src0=0 src1=0 src2=0
	v_pk_fma_f32 v[114:115], v[218:219], v[182:183], v[104:105] op_sel_hi:[1,0,1]
	v_pk_fma_f32 v[104:105], v[218:219], v[182:183], v[104:105] neg_lo:[0,0,1] neg_hi:[0,0,1]
	s_set_vgpr_msb 1                        ;  msbs: dst=0 src0=1 src1=0 src2=0
	v_pk_mul_f32 v[110:111], v[36:37] /*v[292:293]*/, v[110:111] op_sel_hi:[1,0]
	s_set_vgpr_msb 4                        ;  msbs: dst=0 src0=0 src1=1 src2=0
	v_add_f32_e32 v99, v99, v45 /*v301*/
	v_mov_b32_e32 v105, v115
	s_delay_alu instid0(VALU_DEP_2) | instskip(NEXT) | instid1(VALU_DEP_1)
	v_add_f32_e32 v99, v99, v46 /*v302*/
	v_add_f32_e32 v99, v99, v47 /*v303*/
	s_delay_alu instid0(VALU_DEP_1) | instskip(NEXT) | instid1(VALU_DEP_1)
	v_add_f32_e32 v99, v99, v48 /*v304*/
	v_add_f32_e32 v99, v99, v49 /*v305*/
	s_delay_alu instid0(VALU_DEP_1) | instskip(NEXT) | instid1(VALU_DEP_1)
	v_add_f32_e32 v99, v99, v50 /*v306*/
	v_add_f32_e32 v99, v99, v51 /*v307*/
	s_delay_alu instid0(VALU_DEP_1) | instskip(NEXT) | instid1(VALU_DEP_1)
	v_add_f32_e32 v99, v99, v52 /*v308*/
	v_add_f32_e32 v99, v99, v53 /*v309*/
	s_delay_alu instid0(VALU_DEP_1) | instskip(NEXT) | instid1(VALU_DEP_1)
	v_add_f32_e32 v99, v99, v54 /*v310*/
	v_add_f32_e32 v99, v99, v55 /*v311*/
	s_delay_alu instid0(VALU_DEP_1) | instskip(NEXT) | instid1(VALU_DEP_1)
	v_add_f32_e32 v99, v99, v56 /*v312*/
	v_add_f32_e32 v99, v99, v57 /*v313*/
	s_delay_alu instid0(VALU_DEP_1) | instskip(NEXT) | instid1(VALU_DEP_1)
	v_add_f32_e32 v99, v99, v58 /*v314*/
	v_add_f32_e32 v99, v99, v59 /*v315*/
	s_delay_alu instid0(VALU_DEP_1) | instskip(NEXT) | instid1(VALU_DEP_1)
	v_add_f32_e32 v99, v99, v60 /*v316*/
	v_add_f32_e32 v99, v99, v61 /*v317*/
	s_delay_alu instid0(VALU_DEP_1) | instskip(NEXT) | instid1(VALU_DEP_1)
	v_add_f32_e32 v99, v99, v62 /*v318*/
	v_add_f32_e32 v99, v99, v63 /*v319*/
	s_delay_alu instid0(VALU_DEP_1) | instskip(NEXT) | instid1(VALU_DEP_1)
	v_add_f32_e32 v99, v99, v64 /*v320*/
	v_add_f32_e32 v99, v99, v65 /*v321*/
	s_delay_alu instid0(VALU_DEP_1) | instskip(NEXT) | instid1(VALU_DEP_1)
	v_add_f32_e32 v99, v99, v66 /*v322*/
	v_add_f32_e32 v99, v99, v67 /*v323*/
	s_delay_alu instid0(VALU_DEP_1) | instskip(NEXT) | instid1(VALU_DEP_1)
	v_add_f32_e32 v99, v99, v68 /*v324*/
	v_add_f32_e32 v99, v99, v69 /*v325*/
	s_delay_alu instid0(VALU_DEP_1) | instskip(NEXT) | instid1(VALU_DEP_1)
	v_add_f32_e32 v99, v99, v70 /*v326*/
	v_add_f32_e32 v99, v99, v71 /*v327*/
	s_delay_alu instid0(VALU_DEP_1) | instskip(NEXT) | instid1(VALU_DEP_1)
	v_add_f32_e32 v99, v99, v72 /*v328*/
	v_add_f32_e32 v99, v99, v73 /*v329*/
	s_delay_alu instid0(VALU_DEP_1) | instskip(NEXT) | instid1(VALU_DEP_1)
	v_add_f32_e32 v99, v99, v74 /*v330*/
	v_add_f32_e32 v99, v99, v75 /*v331*/
	s_delay_alu instid0(VALU_DEP_1) | instskip(NEXT) | instid1(VALU_DEP_1)
	v_add_f32_e32 v99, v99, v76 /*v332*/
	v_add_f32_e32 v109, v99, v77 /*v333*/
	s_delay_alu instid0(VALU_DEP_1) | instskip(NEXT) | instid1(VALU_DEP_1)
	v_pk_add_f32 v[108:109], v[108:109], v[40:41] /*v[296:297]*/
	v_pk_add_f32 v[108:109], v[108:109], v[42:43] /*v[298:299]*/
	s_set_vgpr_msb 0                        ;  msbs: dst=0 src0=0 src1=0 src2=0
	s_delay_alu instid0(VALU_DEP_1) | instskip(SKIP_2) | instid1(VALU_DEP_3)
	v_pk_add_f32 v[100:101], v[108:109], v[100:101]
	v_pk_fma_f32 v[108:109], v[220:221], v[184:185], v[106:107] op_sel_hi:[1,0,1]
	v_pk_fma_f32 v[106:107], v[220:221], v[184:185], v[106:107] neg_lo:[0,0,1] neg_hi:[0,0,1]
	v_pk_add_f32 v[100:101], v[100:101], v[102:103]
	s_delay_alu instid0(VALU_DEP_3) | instskip(SKIP_2) | instid1(VALU_DEP_4)
	v_dual_mov_b32 v102, v191 :: v_dual_mov_b32 v107, v109
	v_pk_fma_f32 v[108:109], v[222:223], v[186:187], v[110:111] op_sel_hi:[1,0,1]
	v_pk_fma_f32 v[110:111], v[222:223], v[186:187], v[110:111] neg_lo:[0,0,1] neg_hi:[0,0,1]
	v_pk_add_f32 v[100:101], v[100:101], v[104:105]
	v_pk_fma_f32 v[104:105], v[232:233], v[188:189], v[112:113] op_sel_hi:[1,0,1]
	s_set_vgpr_msb 1                        ;  msbs: dst=0 src0=1 src1=0 src2=0
	v_pk_mul_f32 v[102:103], v[38:39] /*v[294:295]*/, v[102:103] op_sel_hi:[1,0]
	s_set_vgpr_msb 0                        ;  msbs: dst=0 src0=0 src1=0 src2=0
	v_mov_b32_e32 v111, v109
	v_pk_fma_f32 v[108:109], v[232:233], v[188:189], v[112:113] neg_lo:[0,0,1] neg_hi:[0,0,1]
	v_pk_add_f32 v[100:101], v[100:101], v[106:107]
	s_wait_loadcnt_dscnt 0x100
	s_set_vgpr_msb 1                        ;  msbs: dst=0 src0=1 src1=0 src2=0
	v_pk_mul_f32 v[106:107], v[30:31] /*v[286:287]*/, v[0:1] op_sel:[1,1] op_sel_hi:[0,1]
	s_set_vgpr_msb 0                        ;  msbs: dst=0 src0=0 src1=0 src2=0
	v_mov_b32_e32 v109, v105
	v_pk_fma_f32 v[104:105], v[234:235], v[190:191], v[102:103] op_sel_hi:[1,0,1]
	v_pk_fma_f32 v[102:103], v[234:235], v[190:191], v[102:103] neg_lo:[0,0,1] neg_hi:[0,0,1]
	v_pk_add_f32 v[100:101], v[100:101], v[110:111]
	s_set_vgpr_msb 1                        ;  msbs: dst=0 src0=1 src1=0 src2=0
	v_pk_fma_f32 v[110:111], v[30:31] /*v[286:287]*/, v[0:1], v[106:107] op_sel_hi:[1,0,1]
	v_pk_fma_f32 v[0:1], v[30:31] /*v[286:287]*/, v[0:1], v[106:107] neg_lo:[0,0,1] neg_hi:[0,0,1]
	s_set_vgpr_msb 0                        ;  msbs: dst=0 src0=0 src1=0 src2=0
	v_mov_b32_e32 v103, v105
	v_pk_add_f32 v[100:101], v[100:101], v[108:109]
	v_mov_b32_e32 v1, v111
	s_delay_alu instid0(VALU_DEP_2) | instskip(NEXT) | instid1(VALU_DEP_1)
	v_pk_add_f32 v[100:101], v[100:101], v[102:103]
	v_pk_add_f32 v[0:1], v[100:101], v[0:1]
	s_wait_loadcnt 0x0
	s_set_vgpr_msb 1                        ;  msbs: dst=0 src0=1 src1=0 src2=0
	s_delay_alu instid0(VALU_DEP_1)
	v_pk_add_f32 v[0:1], v[28:29] /*v[284:285]*/, v[0:1] neg_lo:[0,1] neg_hi:[0,1]
	scratch_store_b64 off, v[0:1], off
	s_set_vgpr_msb 0                        ;  msbs: dst=0 src0=0 src1=0 src2=0
	s_cbranch_vccz .LBB47_396
; %bb.302:
	global_load_b32 v0, v98, s[2:3] offset:184
	s_wait_loadcnt 0x0
	v_cmp_ne_u32_e32 vcc_lo, 47, v0
	s_cbranch_vccz .LBB47_304
; %bb.303:
	v_lshlrev_b32_e32 v0, 3, v0
	s_delay_alu instid0(VALU_DEP_1)
	v_mov_b32_e32 v100, v0
	scratch_load_b64 v[0:1], v100, off offset:-8
	scratch_load_b64 v[98:99], off, off offset:368
	s_wait_loadcnt 0x1
	scratch_store_b64 off, v[0:1], off offset:368
	s_wait_loadcnt 0x0
	scratch_store_b64 v100, v[98:99], off offset:-8
.LBB47_304:
	s_wait_xcnt 0x1
	v_mov_b32_e32 v0, 0
	global_load_b32 v1, v0, s[2:3] offset:180
	s_wait_loadcnt 0x0
	v_cmp_eq_u32_e32 vcc_lo, 46, v1
	s_cbranch_vccnz .LBB47_306
; %bb.305:
	v_lshlrev_b32_e32 v1, 3, v1
	scratch_load_b64 v[98:99], v1, off offset:-8
	scratch_load_b64 v[100:101], off, off offset:360
	s_wait_loadcnt 0x1
	scratch_store_b64 off, v[98:99], off offset:360
	s_wait_loadcnt 0x0
	scratch_store_b64 v1, v[100:101], off offset:-8
.LBB47_306:
	global_load_b32 v0, v0, s[2:3] offset:176
	s_wait_loadcnt 0x0
	v_cmp_eq_u32_e32 vcc_lo, 45, v0
	s_cbranch_vccnz .LBB47_308
; %bb.307:
	s_wait_xcnt 0x0
	v_lshlrev_b32_e32 v0, 3, v0
	s_delay_alu instid0(VALU_DEP_1)
	v_mov_b32_e32 v100, v0
	scratch_load_b64 v[0:1], v100, off offset:-8
	scratch_load_b64 v[98:99], off, off offset:352
	s_wait_loadcnt 0x1
	scratch_store_b64 off, v[0:1], off offset:352
	s_wait_loadcnt 0x0
	scratch_store_b64 v100, v[98:99], off offset:-8
.LBB47_308:
	s_wait_xcnt 0x0
	v_mov_b32_e32 v0, 0
	global_load_b32 v1, v0, s[2:3] offset:172
	s_wait_loadcnt 0x0
	v_cmp_eq_u32_e32 vcc_lo, 44, v1
	s_cbranch_vccnz .LBB47_310
; %bb.309:
	v_lshlrev_b32_e32 v1, 3, v1
	scratch_load_b64 v[98:99], v1, off offset:-8
	scratch_load_b64 v[100:101], off, off offset:344
	s_wait_loadcnt 0x1
	scratch_store_b64 off, v[98:99], off offset:344
	s_wait_loadcnt 0x0
	scratch_store_b64 v1, v[100:101], off offset:-8
.LBB47_310:
	global_load_b32 v0, v0, s[2:3] offset:168
	s_wait_loadcnt 0x0
	v_cmp_eq_u32_e32 vcc_lo, 43, v0
	s_cbranch_vccnz .LBB47_312
; %bb.311:
	s_wait_xcnt 0x0
	v_lshlrev_b32_e32 v0, 3, v0
	s_delay_alu instid0(VALU_DEP_1)
	v_mov_b32_e32 v100, v0
	scratch_load_b64 v[0:1], v100, off offset:-8
	scratch_load_b64 v[98:99], off, off offset:336
	s_wait_loadcnt 0x1
	scratch_store_b64 off, v[0:1], off offset:336
	s_wait_loadcnt 0x0
	scratch_store_b64 v100, v[98:99], off offset:-8
.LBB47_312:
	;; [unrolled: 31-line block ×22, first 2 shown]
	s_wait_xcnt 0x0
	v_mov_b32_e32 v0, 0
	global_load_b32 v1, v0, s[2:3] offset:4
	s_wait_loadcnt 0x0
	v_cmp_eq_u32_e32 vcc_lo, 2, v1
	s_cbranch_vccnz .LBB47_394
; %bb.393:
	v_lshlrev_b32_e32 v1, 3, v1
	scratch_load_b64 v[98:99], v1, off offset:-8
	scratch_load_b64 v[100:101], off, off offset:8
	s_wait_loadcnt 0x1
	scratch_store_b64 off, v[98:99], off offset:8
	s_wait_loadcnt 0x0
	scratch_store_b64 v1, v[100:101], off offset:-8
.LBB47_394:
	global_load_b32 v98, v0, s[2:3]
	scratch_load_b64 v[0:1], off, off
	s_wait_loadcnt 0x1
	v_cmp_eq_u32_e32 vcc_lo, 1, v98
	s_cbranch_vccnz .LBB47_396
; %bb.395:
	v_lshlrev_b32_e32 v98, 3, v98
	s_delay_alu instid0(VALU_DEP_1)
	v_mov_b32_e32 v100, v98
	scratch_load_b64 v[98:99], v100, off offset:-8
	s_wait_loadcnt 0x0
	scratch_store_b64 off, v[98:99], off
	scratch_store_b64 v100, v[0:1], off offset:-8
	scratch_load_b64 v[0:1], off, off
.LBB47_396:
	s_clause 0x17
	scratch_load_b128 v[98:101], off, off offset:8
	scratch_load_b128 v[102:105], off, off offset:24
	;; [unrolled: 1-line block ×23, first 2 shown]
	scratch_load_b64 v[190:191], off, off offset:376
	v_lshl_add_u64 v[4:5], v[4:5], 3, s[4:5]
	v_lshl_add_u64 v[8:9], v[8:9], 3, s[4:5]
	;; [unrolled: 1-line block ×46, first 2 shown]
	s_wait_loadcnt 0x18
	global_store_b64 v[2:3], v[0:1], off
	s_wait_loadcnt 0x17
	s_clause 0x1
	global_store_b64 v[6:7], v[98:99], off
	global_store_b64 v[4:5], v[100:101], off
	s_wait_loadcnt 0x16
	s_clause 0x1
	global_store_b64 v[8:9], v[102:103], off
	;; [unrolled: 4-line block ×23, first 2 shown]
	global_store_b64 v[94:95], v[188:189], off
	s_wait_loadcnt 0x0
	global_store_b64 v[96:97], v[190:191], off
	s_sendmsg sendmsg(MSG_DEALLOC_VGPRS)
	s_endpgm
	.section	.rodata,"a",@progbits
	.p2align	6, 0x0
	.amdhsa_kernel _ZN9rocsolver6v33100L18getri_kernel_smallILi48E19rocblas_complex_numIfEPS3_EEvT1_iilPiilS6_bb
		.amdhsa_group_segment_fixed_size 772
		.amdhsa_private_segment_fixed_size 400
		.amdhsa_kernarg_size 60
		.amdhsa_user_sgpr_count 2
		.amdhsa_user_sgpr_dispatch_ptr 0
		.amdhsa_user_sgpr_queue_ptr 0
		.amdhsa_user_sgpr_kernarg_segment_ptr 1
		.amdhsa_user_sgpr_dispatch_id 0
		.amdhsa_user_sgpr_kernarg_preload_length 0
		.amdhsa_user_sgpr_kernarg_preload_offset 0
		.amdhsa_user_sgpr_private_segment_size 0
		.amdhsa_wavefront_size32 1
		.amdhsa_uses_dynamic_stack 0
		.amdhsa_enable_private_segment 1
		.amdhsa_system_sgpr_workgroup_id_x 1
		.amdhsa_system_sgpr_workgroup_id_y 0
		.amdhsa_system_sgpr_workgroup_id_z 0
		.amdhsa_system_sgpr_workgroup_info 0
		.amdhsa_system_vgpr_workitem_id 0
		.amdhsa_next_free_vgpr 334
		.amdhsa_next_free_sgpr 19
		.amdhsa_named_barrier_count 0
		.amdhsa_reserve_vcc 1
		.amdhsa_float_round_mode_32 0
		.amdhsa_float_round_mode_16_64 0
		.amdhsa_float_denorm_mode_32 3
		.amdhsa_float_denorm_mode_16_64 3
		.amdhsa_fp16_overflow 0
		.amdhsa_memory_ordered 1
		.amdhsa_forward_progress 1
		.amdhsa_inst_pref_size 255
		.amdhsa_round_robin_scheduling 0
		.amdhsa_exception_fp_ieee_invalid_op 0
		.amdhsa_exception_fp_denorm_src 0
		.amdhsa_exception_fp_ieee_div_zero 0
		.amdhsa_exception_fp_ieee_overflow 0
		.amdhsa_exception_fp_ieee_underflow 0
		.amdhsa_exception_fp_ieee_inexact 0
		.amdhsa_exception_int_div_zero 0
	.end_amdhsa_kernel
	.section	.text._ZN9rocsolver6v33100L18getri_kernel_smallILi48E19rocblas_complex_numIfEPS3_EEvT1_iilPiilS6_bb,"axG",@progbits,_ZN9rocsolver6v33100L18getri_kernel_smallILi48E19rocblas_complex_numIfEPS3_EEvT1_iilPiilS6_bb,comdat
.Lfunc_end47:
	.size	_ZN9rocsolver6v33100L18getri_kernel_smallILi48E19rocblas_complex_numIfEPS3_EEvT1_iilPiilS6_bb, .Lfunc_end47-_ZN9rocsolver6v33100L18getri_kernel_smallILi48E19rocblas_complex_numIfEPS3_EEvT1_iilPiilS6_bb
                                        ; -- End function
	.set _ZN9rocsolver6v33100L18getri_kernel_smallILi48E19rocblas_complex_numIfEPS3_EEvT1_iilPiilS6_bb.num_vgpr, 334
	.set _ZN9rocsolver6v33100L18getri_kernel_smallILi48E19rocblas_complex_numIfEPS3_EEvT1_iilPiilS6_bb.num_agpr, 0
	.set _ZN9rocsolver6v33100L18getri_kernel_smallILi48E19rocblas_complex_numIfEPS3_EEvT1_iilPiilS6_bb.numbered_sgpr, 19
	.set _ZN9rocsolver6v33100L18getri_kernel_smallILi48E19rocblas_complex_numIfEPS3_EEvT1_iilPiilS6_bb.num_named_barrier, 0
	.set _ZN9rocsolver6v33100L18getri_kernel_smallILi48E19rocblas_complex_numIfEPS3_EEvT1_iilPiilS6_bb.private_seg_size, 400
	.set _ZN9rocsolver6v33100L18getri_kernel_smallILi48E19rocblas_complex_numIfEPS3_EEvT1_iilPiilS6_bb.uses_vcc, 1
	.set _ZN9rocsolver6v33100L18getri_kernel_smallILi48E19rocblas_complex_numIfEPS3_EEvT1_iilPiilS6_bb.uses_flat_scratch, 1
	.set _ZN9rocsolver6v33100L18getri_kernel_smallILi48E19rocblas_complex_numIfEPS3_EEvT1_iilPiilS6_bb.has_dyn_sized_stack, 0
	.set _ZN9rocsolver6v33100L18getri_kernel_smallILi48E19rocblas_complex_numIfEPS3_EEvT1_iilPiilS6_bb.has_recursion, 0
	.set _ZN9rocsolver6v33100L18getri_kernel_smallILi48E19rocblas_complex_numIfEPS3_EEvT1_iilPiilS6_bb.has_indirect_call, 0
	.section	.AMDGPU.csdata,"",@progbits
; Kernel info:
; codeLenInByte = 86568
; TotalNumSgprs: 21
; NumVgprs: 334
; ScratchSize: 400
; MemoryBound: 0
; FloatMode: 240
; IeeeMode: 1
; LDSByteSize: 772 bytes/workgroup (compile time only)
; SGPRBlocks: 0
; VGPRBlocks: 20
; NumSGPRsForWavesPerEU: 21
; NumVGPRsForWavesPerEU: 334
; NamedBarCnt: 0
; Occupancy: 3
; WaveLimiterHint : 1
; COMPUTE_PGM_RSRC2:SCRATCH_EN: 1
; COMPUTE_PGM_RSRC2:USER_SGPR: 2
; COMPUTE_PGM_RSRC2:TRAP_HANDLER: 0
; COMPUTE_PGM_RSRC2:TGID_X_EN: 1
; COMPUTE_PGM_RSRC2:TGID_Y_EN: 0
; COMPUTE_PGM_RSRC2:TGID_Z_EN: 0
; COMPUTE_PGM_RSRC2:TIDIG_COMP_CNT: 0
	.section	.text._ZN9rocsolver6v33100L18getri_kernel_smallILi49E19rocblas_complex_numIfEPS3_EEvT1_iilPiilS6_bb,"axG",@progbits,_ZN9rocsolver6v33100L18getri_kernel_smallILi49E19rocblas_complex_numIfEPS3_EEvT1_iilPiilS6_bb,comdat
	.globl	_ZN9rocsolver6v33100L18getri_kernel_smallILi49E19rocblas_complex_numIfEPS3_EEvT1_iilPiilS6_bb ; -- Begin function _ZN9rocsolver6v33100L18getri_kernel_smallILi49E19rocblas_complex_numIfEPS3_EEvT1_iilPiilS6_bb
	.p2align	8
	.type	_ZN9rocsolver6v33100L18getri_kernel_smallILi49E19rocblas_complex_numIfEPS3_EEvT1_iilPiilS6_bb,@function
_ZN9rocsolver6v33100L18getri_kernel_smallILi49E19rocblas_complex_numIfEPS3_EEvT1_iilPiilS6_bb: ; @_ZN9rocsolver6v33100L18getri_kernel_smallILi49E19rocblas_complex_numIfEPS3_EEvT1_iilPiilS6_bb
; %bb.0:
	s_mov_b32 s2, exec_lo
	v_cmpx_gt_u32_e32 49, v0
	s_cbranch_execz .LBB48_210
; %bb.1:
	s_clause 0x2
	s_load_b32 s2, s[0:1], 0x38
	s_load_b128 s[12:15], s[0:1], 0x10
	s_load_b128 s[4:7], s[0:1], 0x28
	s_getreg_b32 s9, hwreg(HW_REG_IB_STS2, 6, 4)
	s_wait_kmcnt 0x0
	s_bitcmp1_b32 s2, 8
	s_cselect_b32 s18, -1, 0
	s_bfe_u32 s3, ttmp6, 0x4000c
	s_and_b32 s8, ttmp6, 15
	s_add_co_i32 s3, s3, 1
	s_delay_alu instid0(SALU_CYCLE_1) | instskip(NEXT) | instid1(SALU_CYCLE_1)
	s_mul_i32 s3, ttmp9, s3
	s_add_co_i32 s8, s8, s3
	s_cmp_eq_u32 s9, 0
	s_cselect_b32 s16, ttmp9, s8
	s_bfe_u32 s2, s2, 0x10008
	s_ashr_i32 s17, s16, 31
	s_cmp_eq_u32 s2, 0
                                        ; implicit-def: $sgpr2_sgpr3
	s_cbranch_scc1 .LBB48_3
; %bb.2:
	s_load_b32 s2, s[0:1], 0x20
	s_mul_u64 s[4:5], s[4:5], s[16:17]
	s_delay_alu instid0(SALU_CYCLE_1) | instskip(NEXT) | instid1(SALU_CYCLE_1)
	s_lshl_b64 s[4:5], s[4:5], 2
	s_add_nc_u64 s[4:5], s[14:15], s[4:5]
	s_wait_kmcnt 0x0
	s_ashr_i32 s3, s2, 31
	s_delay_alu instid0(SALU_CYCLE_1) | instskip(NEXT) | instid1(SALU_CYCLE_1)
	s_lshl_b64 s[2:3], s[2:3], 2
	s_add_nc_u64 s[2:3], s[4:5], s[2:3]
.LBB48_3:
	s_clause 0x1
	s_load_b128 s[8:11], s[0:1], 0x0
	s_load_b32 s14, s[0:1], 0x38
	s_wait_xcnt 0x0
	s_mul_u64 s[0:1], s[12:13], s[16:17]
	v_lshlrev_b32_e32 v100, 3, v0
	s_lshl_b64 s[0:1], s[0:1], 3
	v_mov_b32_e32 v101, 0
	s_wait_kmcnt 0x0
	v_add3_u32 v6, s11, s11, v0
	s_ashr_i32 s5, s10, 31
	s_mov_b32 s4, s10
	s_add_nc_u64 s[0:1], s[8:9], s[0:1]
	s_lshl_b64 s[4:5], s[4:5], 3
	v_add_nc_u32_e32 v8, s11, v6
	s_add_nc_u64 s[4:5], s[0:1], s[4:5]
	s_ashr_i32 s1, s11, 31
	s_mov_b32 s0, s11
	s_bitcmp0_b32 s14, 0
	v_add_nc_u32_e32 v10, s11, v8
	v_add_nc_u64_e32 v[2:3], s[4:5], v[100:101]
	s_delay_alu instid0(VALU_DEP_2) | instskip(NEXT) | instid1(VALU_DEP_2)
	v_add_nc_u32_e32 v12, s11, v10
	v_lshl_add_u64 v[4:5], s[0:1], 3, v[2:3]
	s_mov_b32 s1, -1
	s_delay_alu instid0(VALU_DEP_2) | instskip(SKIP_4) | instid1(VALU_DEP_1)
	v_add_nc_u32_e32 v14, s11, v12
	s_clause 0x1
	global_load_b64 v[102:103], v0, s[4:5] scale_offset
	global_load_b64 v[104:105], v[4:5], off
	v_add_nc_u32_e32 v16, s11, v14
	v_add_nc_u32_e32 v18, s11, v16
	s_clause 0x3
	global_load_b64 v[106:107], v6, s[4:5] scale_offset
	global_load_b64 v[108:109], v8, s[4:5] scale_offset
	;; [unrolled: 1-line block ×4, first 2 shown]
	v_add_nc_u32_e32 v20, s11, v18
	s_delay_alu instid0(VALU_DEP_1) | instskip(NEXT) | instid1(VALU_DEP_1)
	v_add_nc_u32_e32 v22, s11, v20
	v_add_nc_u32_e32 v24, s11, v22
	s_delay_alu instid0(VALU_DEP_1)
	v_add_nc_u32_e32 v26, s11, v24
	s_clause 0x3
	global_load_b64 v[114:115], v14, s[4:5] scale_offset
	global_load_b64 v[116:117], v16, s[4:5] scale_offset
	;; [unrolled: 1-line block ×4, first 2 shown]
	v_add_nc_u32_e32 v28, s11, v26
	s_delay_alu instid0(VALU_DEP_1)
	v_add_nc_u32_e32 v30, s11, v28
	s_clause 0x3
	global_load_b64 v[122:123], v22, s[4:5] scale_offset
	global_load_b64 v[124:125], v24, s[4:5] scale_offset
	;; [unrolled: 1-line block ×4, first 2 shown]
	v_add_nc_u32_e32 v32, s11, v30
	s_delay_alu instid0(VALU_DEP_1) | instskip(NEXT) | instid1(VALU_DEP_1)
	v_add_nc_u32_e32 v34, s11, v32
	v_add_nc_u32_e32 v36, s11, v34
	s_delay_alu instid0(VALU_DEP_1) | instskip(NEXT) | instid1(VALU_DEP_1)
	v_add_nc_u32_e32 v38, s11, v36
	v_add_nc_u32_e32 v40, s11, v38
	s_delay_alu instid0(VALU_DEP_1)
	v_add_nc_u32_e32 v42, s11, v40
	s_clause 0x3
	global_load_b64 v[130:131], v30, s[4:5] scale_offset
	global_load_b64 v[132:133], v32, s[4:5] scale_offset
	;; [unrolled: 1-line block ×4, first 2 shown]
	v_add_nc_u32_e32 v44, s11, v42
	s_delay_alu instid0(VALU_DEP_1) | instskip(NEXT) | instid1(VALU_DEP_1)
	v_add_nc_u32_e32 v46, s11, v44
	v_add_nc_u32_e32 v48, s11, v46
	s_delay_alu instid0(VALU_DEP_1)
	v_add_nc_u32_e32 v50, s11, v48
	s_clause 0x3
	global_load_b64 v[138:139], v38, s[4:5] scale_offset
	global_load_b64 v[140:141], v40, s[4:5] scale_offset
	;; [unrolled: 1-line block ×4, first 2 shown]
	v_add_nc_u32_e32 v52, s11, v50
	s_delay_alu instid0(VALU_DEP_1)
	v_add_nc_u32_e32 v54, s11, v52
	s_clause 0x3
	global_load_b64 v[146:147], v46, s[4:5] scale_offset
	global_load_b64 v[148:149], v48, s[4:5] scale_offset
	;; [unrolled: 1-line block ×4, first 2 shown]
	v_add_nc_u32_e32 v56, s11, v54
	s_delay_alu instid0(VALU_DEP_1) | instskip(NEXT) | instid1(VALU_DEP_1)
	v_add_nc_u32_e32 v58, s11, v56
	v_add_nc_u32_e32 v60, s11, v58
	s_delay_alu instid0(VALU_DEP_1) | instskip(NEXT) | instid1(VALU_DEP_1)
	v_add_nc_u32_e32 v62, s11, v60
	v_add_nc_u32_e32 v64, s11, v62
	s_clause 0x3
	global_load_b64 v[154:155], v54, s[4:5] scale_offset
	global_load_b64 v[156:157], v56, s[4:5] scale_offset
	global_load_b64 v[158:159], v58, s[4:5] scale_offset
	global_load_b64 v[160:161], v60, s[4:5] scale_offset
	v_add_nc_u32_e32 v66, s11, v64
	s_delay_alu instid0(VALU_DEP_1) | instskip(NEXT) | instid1(VALU_DEP_1)
	v_add_nc_u32_e32 v68, s11, v66
	v_add_nc_u32_e32 v70, s11, v68
	s_delay_alu instid0(VALU_DEP_1) | instskip(NEXT) | instid1(VALU_DEP_1)
	v_add_nc_u32_e32 v72, s11, v70
	v_add_nc_u32_e32 v74, s11, v72
	s_clause 0x3
	global_load_b64 v[162:163], v62, s[4:5] scale_offset
	global_load_b64 v[164:165], v64, s[4:5] scale_offset
	global_load_b64 v[166:167], v66, s[4:5] scale_offset
	global_load_b64 v[168:169], v68, s[4:5] scale_offset
	v_add_nc_u32_e32 v76, s11, v74
	s_delay_alu instid0(VALU_DEP_1)
	v_add_nc_u32_e32 v78, s11, v76
	s_clause 0x3
	global_load_b64 v[170:171], v70, s[4:5] scale_offset
	global_load_b64 v[172:173], v72, s[4:5] scale_offset
	;; [unrolled: 1-line block ×4, first 2 shown]
	v_add_nc_u32_e32 v80, s11, v78
	s_delay_alu instid0(VALU_DEP_1) | instskip(NEXT) | instid1(VALU_DEP_1)
	v_add_nc_u32_e32 v82, s11, v80
	v_add_nc_u32_e32 v84, s11, v82
	s_delay_alu instid0(VALU_DEP_1) | instskip(NEXT) | instid1(VALU_DEP_1)
	v_add_nc_u32_e32 v86, s11, v84
	v_add_nc_u32_e32 v88, s11, v86
	s_delay_alu instid0(VALU_DEP_1)
	v_add_nc_u32_e32 v90, s11, v88
	s_clause 0x3
	global_load_b64 v[178:179], v78, s[4:5] scale_offset
	global_load_b64 v[180:181], v80, s[4:5] scale_offset
	;; [unrolled: 1-line block ×4, first 2 shown]
	v_add_nc_u32_e32 v92, s11, v90
	s_delay_alu instid0(VALU_DEP_1) | instskip(NEXT) | instid1(VALU_DEP_1)
	v_add_nc_u32_e32 v94, s11, v92
	v_add_nc_u32_e32 v96, s11, v94
	s_delay_alu instid0(VALU_DEP_1)
	v_add_nc_u32_e32 v98, s11, v96
	s_clause 0x6
	global_load_b64 v[186:187], v86, s[4:5] scale_offset
	global_load_b64 v[188:189], v88, s[4:5] scale_offset
	;; [unrolled: 1-line block ×7, first 2 shown]
	s_wait_loadcnt 0x2f
	scratch_store_b128 off, v[102:105], off
	s_wait_loadcnt 0x2d
	scratch_store_b128 off, v[106:109], off offset:16
	s_wait_loadcnt 0x2b
	scratch_store_b128 off, v[110:113], off offset:32
	;; [unrolled: 2-line block ×23, first 2 shown]
	s_wait_loadcnt 0x0
	scratch_store_b64 off, v[198:199], off offset:384
	s_cbranch_scc1 .LBB48_208
; %bb.4:
	v_cmp_eq_u32_e64 s0, 0, v0
	s_wait_xcnt 0x0
	s_and_saveexec_b32 s1, s0
; %bb.5:
	v_mov_b32_e32 v1, 0
	ds_store_b32 v1, v1 offset:392
; %bb.6:
	s_or_b32 exec_lo, exec_lo, s1
	s_wait_storecnt_dscnt 0x0
	s_barrier_signal -1
	s_barrier_wait -1
	scratch_load_b64 v[102:103], v0, off scale_offset
	s_wait_loadcnt 0x0
	v_cmp_eq_f32_e32 vcc_lo, 0, v102
	v_cmp_eq_f32_e64 s1, 0, v103
	s_and_b32 s1, vcc_lo, s1
	s_delay_alu instid0(SALU_CYCLE_1)
	s_and_saveexec_b32 s8, s1
	s_cbranch_execz .LBB48_10
; %bb.7:
	v_mov_b32_e32 v1, 0
	s_mov_b32 s9, 0
	ds_load_b32 v7, v1 offset:392
	s_wait_dscnt 0x0
	v_readfirstlane_b32 s1, v7
	v_add_nc_u32_e32 v7, 1, v0
	s_cmp_eq_u32 s1, 0
	s_delay_alu instid0(VALU_DEP_1) | instskip(SKIP_1) | instid1(SALU_CYCLE_1)
	v_cmp_gt_i32_e32 vcc_lo, s1, v7
	s_cselect_b32 s10, -1, 0
	s_or_b32 s10, s10, vcc_lo
	s_delay_alu instid0(SALU_CYCLE_1)
	s_and_b32 exec_lo, exec_lo, s10
	s_cbranch_execz .LBB48_10
; %bb.8:
	v_mov_b32_e32 v9, s1
.LBB48_9:                               ; =>This Inner Loop Header: Depth=1
	ds_cmpstore_rtn_b32 v9, v1, v7, v9 offset:392
	s_wait_dscnt 0x0
	v_cmp_ne_u32_e32 vcc_lo, 0, v9
	v_cmp_le_i32_e64 s1, v9, v7
	s_and_b32 s1, vcc_lo, s1
	s_delay_alu instid0(SALU_CYCLE_1) | instskip(NEXT) | instid1(SALU_CYCLE_1)
	s_and_b32 s1, exec_lo, s1
	s_or_b32 s9, s1, s9
	s_delay_alu instid0(SALU_CYCLE_1)
	s_and_not1_b32 exec_lo, exec_lo, s9
	s_cbranch_execnz .LBB48_9
.LBB48_10:
	s_or_b32 exec_lo, exec_lo, s8
	v_mov_b32_e32 v1, 0
	s_barrier_signal -1
	s_barrier_wait -1
	ds_load_b32 v7, v1 offset:392
	s_and_saveexec_b32 s1, s0
	s_cbranch_execz .LBB48_12
; %bb.11:
	s_lshl_b64 s[8:9], s[16:17], 2
	s_delay_alu instid0(SALU_CYCLE_1)
	s_add_nc_u64 s[8:9], s[6:7], s[8:9]
	s_wait_dscnt 0x0
	global_store_b32 v1, v7, s[8:9]
.LBB48_12:
	s_wait_xcnt 0x0
	s_or_b32 exec_lo, exec_lo, s1
	s_wait_dscnt 0x0
	v_cmp_ne_u32_e32 vcc_lo, 0, v7
	s_mov_b32 s1, 0
	s_cbranch_vccnz .LBB48_208
; %bb.13:
	v_lshl_add_u32 v7, v0, 3, 0
                                        ; implicit-def: $vgpr105
                                        ; implicit-def: $vgpr106
	scratch_load_b64 v[102:103], v7, off
	s_wait_loadcnt 0x0
	v_cmp_ngt_f32_e64 s1, |v102|, |v103|
	s_wait_xcnt 0x0
	s_and_saveexec_b32 s8, s1
	s_delay_alu instid0(SALU_CYCLE_1)
	s_xor_b32 s1, exec_lo, s8
	s_cbranch_execz .LBB48_15
; %bb.14:
	v_div_scale_f32 v1, null, v103, v103, v102
	v_div_scale_f32 v13, vcc_lo, v102, v103, v102
	s_delay_alu instid0(VALU_DEP_2) | instskip(SKIP_1) | instid1(TRANS32_DEP_1)
	v_rcp_f32_e32 v9, v1
	v_nop
	v_fma_f32 v11, -v1, v9, 1.0
	s_delay_alu instid0(VALU_DEP_1) | instskip(NEXT) | instid1(VALU_DEP_1)
	v_fmac_f32_e32 v9, v11, v9
	v_mul_f32_e32 v11, v13, v9
	s_delay_alu instid0(VALU_DEP_1) | instskip(NEXT) | instid1(VALU_DEP_1)
	v_fma_f32 v15, -v1, v11, v13
	v_fmac_f32_e32 v11, v15, v9
	s_delay_alu instid0(VALU_DEP_1) | instskip(NEXT) | instid1(VALU_DEP_1)
	v_fma_f32 v1, -v1, v11, v13
	v_div_fmas_f32 v1, v1, v9, v11
	s_delay_alu instid0(VALU_DEP_1) | instskip(NEXT) | instid1(VALU_DEP_1)
	v_div_fixup_f32 v1, v1, v103, v102
	v_fmac_f32_e32 v103, v102, v1
	s_delay_alu instid0(VALU_DEP_1) | instskip(NEXT) | instid1(VALU_DEP_1)
	v_div_scale_f32 v9, null, v103, v103, -1.0
	v_rcp_f32_e32 v11, v9
	v_nop
	s_delay_alu instid0(TRANS32_DEP_1) | instskip(NEXT) | instid1(VALU_DEP_1)
	v_fma_f32 v13, -v9, v11, 1.0
	v_fmac_f32_e32 v11, v13, v11
	v_div_scale_f32 v13, vcc_lo, -1.0, v103, -1.0
	s_delay_alu instid0(VALU_DEP_1) | instskip(NEXT) | instid1(VALU_DEP_1)
	v_mul_f32_e32 v15, v13, v11
	v_fma_f32 v17, -v9, v15, v13
	s_delay_alu instid0(VALU_DEP_1) | instskip(NEXT) | instid1(VALU_DEP_1)
	v_fmac_f32_e32 v15, v17, v11
	v_fma_f32 v9, -v9, v15, v13
	s_delay_alu instid0(VALU_DEP_1) | instskip(NEXT) | instid1(VALU_DEP_1)
	v_div_fmas_f32 v9, v9, v11, v15
	v_div_fixup_f32 v105, v9, v103, -1.0
                                        ; implicit-def: $vgpr102_vgpr103
	s_delay_alu instid0(VALU_DEP_1) | instskip(NEXT) | instid1(VALU_DEP_1)
	v_mul_f32_e32 v106, v1, v105
	v_xor_b32_e32 v104, 0x80000000, v106
.LBB48_15:
	s_and_not1_saveexec_b32 s1, s1
	s_cbranch_execz .LBB48_17
; %bb.16:
	v_div_scale_f32 v1, null, v102, v102, v103
	v_div_scale_f32 v13, vcc_lo, v103, v102, v103
	s_delay_alu instid0(VALU_DEP_2) | instskip(SKIP_1) | instid1(TRANS32_DEP_1)
	v_rcp_f32_e32 v9, v1
	v_nop
	v_fma_f32 v11, -v1, v9, 1.0
	s_delay_alu instid0(VALU_DEP_1) | instskip(NEXT) | instid1(VALU_DEP_1)
	v_fmac_f32_e32 v9, v11, v9
	v_mul_f32_e32 v11, v13, v9
	s_delay_alu instid0(VALU_DEP_1) | instskip(NEXT) | instid1(VALU_DEP_1)
	v_fma_f32 v15, -v1, v11, v13
	v_fmac_f32_e32 v11, v15, v9
	s_delay_alu instid0(VALU_DEP_1) | instskip(NEXT) | instid1(VALU_DEP_1)
	v_fma_f32 v1, -v1, v11, v13
	v_div_fmas_f32 v1, v1, v9, v11
	s_delay_alu instid0(VALU_DEP_1) | instskip(NEXT) | instid1(VALU_DEP_1)
	v_div_fixup_f32 v1, v1, v102, v103
	v_fmac_f32_e32 v102, v103, v1
	s_delay_alu instid0(VALU_DEP_1) | instskip(SKIP_1) | instid1(VALU_DEP_2)
	v_div_scale_f32 v9, null, v102, v102, 1.0
	v_div_scale_f32 v15, vcc_lo, 1.0, v102, 1.0
	v_rcp_f32_e32 v11, v9
	v_nop
	s_delay_alu instid0(TRANS32_DEP_1) | instskip(NEXT) | instid1(VALU_DEP_1)
	v_fma_f32 v13, -v9, v11, 1.0
	v_fmac_f32_e32 v11, v13, v11
	s_delay_alu instid0(VALU_DEP_1) | instskip(NEXT) | instid1(VALU_DEP_1)
	v_mul_f32_e32 v13, v15, v11
	v_fma_f32 v17, -v9, v13, v15
	s_delay_alu instid0(VALU_DEP_1) | instskip(NEXT) | instid1(VALU_DEP_1)
	v_fmac_f32_e32 v13, v17, v11
	v_fma_f32 v9, -v9, v13, v15
	s_delay_alu instid0(VALU_DEP_1) | instskip(NEXT) | instid1(VALU_DEP_1)
	v_div_fmas_f32 v9, v9, v11, v13
	v_div_fixup_f32 v104, v9, v102, 1.0
	s_delay_alu instid0(VALU_DEP_1)
	v_xor_b32_e32 v106, 0x80000000, v104
	v_mul_f32_e64 v105, v1, -v104
.LBB48_17:
	s_or_b32 exec_lo, exec_lo, s1
	scratch_store_b64 v7, v[104:105], off
	scratch_load_b64 v[102:103], off, off offset:8
	v_xor_b32_e32 v107, 0x80000000, v105
	v_add_nc_u32_e32 v1, 0x190, v100
	s_wait_loadcnt 0x0
	ds_store_2addr_b64 v100, v[106:107], v[102:103] offset1:50
	s_wait_storecnt_dscnt 0x0
	s_barrier_signal -1
	s_barrier_wait -1
	s_wait_xcnt 0x0
	s_and_saveexec_b32 s1, s0
	s_cbranch_execz .LBB48_19
; %bb.18:
	scratch_load_b64 v[102:103], v7, off
	ds_load_b64 v[104:105], v1
	s_wait_loadcnt_dscnt 0x0
	v_pk_mul_f32 v[108:109], v[104:105], v[102:103] op_sel:[1,1] op_sel_hi:[0,1]
	s_delay_alu instid0(VALU_DEP_1) | instskip(SKIP_2) | instid1(VALU_DEP_3)
	v_pk_fma_f32 v[110:111], v[104:105], v[102:103], v[108:109] op_sel_hi:[1,0,1]
	v_mov_b32_e32 v9, 0
	v_pk_fma_f32 v[102:103], v[104:105], v[102:103], v[108:109] neg_lo:[0,0,1] neg_hi:[0,0,1]
	v_mov_b32_e32 v103, v111
	ds_load_b64 v[106:107], v9 offset:8
	v_pk_add_f32 v[102:103], v[102:103], 0 op_sel_hi:[1,0]
	s_wait_dscnt 0x0
	s_delay_alu instid0(VALU_DEP_1) | instskip(NEXT) | instid1(VALU_DEP_1)
	v_pk_mul_f32 v[104:105], v[102:103], v[106:107] op_sel:[1,1] op_sel_hi:[0,1]
	v_pk_fma_f32 v[108:109], v[102:103], v[106:107], v[104:105] op_sel_hi:[1,0,1]
	v_pk_fma_f32 v[102:103], v[102:103], v[106:107], v[104:105] neg_lo:[0,0,1] neg_hi:[0,0,1]
	s_delay_alu instid0(VALU_DEP_2)
	v_mov_b32_e32 v103, v109
	scratch_store_b64 off, v[102:103], off offset:8
.LBB48_19:
	s_wait_xcnt 0x0
	s_or_b32 exec_lo, exec_lo, s1
	s_wait_storecnt 0x0
	s_barrier_signal -1
	s_barrier_wait -1
	scratch_load_b64 v[102:103], off, off offset:16
	s_mov_b32 s1, exec_lo
	s_wait_loadcnt 0x0
	ds_store_b64 v1, v[102:103]
	s_wait_dscnt 0x0
	s_barrier_signal -1
	s_barrier_wait -1
	v_cmpx_gt_u32_e32 2, v0
	s_cbranch_execz .LBB48_23
; %bb.20:
	scratch_load_b64 v[102:103], v7, off
	ds_load_b64 v[104:105], v1
	s_wait_loadcnt_dscnt 0x0
	v_pk_mul_f32 v[106:107], v[104:105], v[102:103] op_sel:[1,1] op_sel_hi:[0,1]
	s_delay_alu instid0(VALU_DEP_1) | instskip(SKIP_1) | instid1(VALU_DEP_2)
	v_pk_fma_f32 v[108:109], v[104:105], v[102:103], v[106:107] op_sel_hi:[1,0,1]
	v_pk_fma_f32 v[102:103], v[104:105], v[102:103], v[106:107] neg_lo:[0,0,1] neg_hi:[0,0,1]
	v_mov_b32_e32 v103, v109
	s_delay_alu instid0(VALU_DEP_1)
	v_pk_add_f32 v[102:103], v[102:103], 0 op_sel_hi:[1,0]
	s_and_saveexec_b32 s8, s0
	s_cbranch_execz .LBB48_22
; %bb.21:
	scratch_load_b64 v[104:105], off, off offset:8
	v_mov_b32_e32 v7, 0
	ds_load_b64 v[106:107], v7 offset:408
	s_wait_loadcnt_dscnt 0x0
	v_pk_mul_f32 v[108:109], v[106:107], v[104:105] op_sel:[1,1] op_sel_hi:[0,1]
	s_delay_alu instid0(VALU_DEP_1) | instskip(SKIP_1) | instid1(VALU_DEP_2)
	v_pk_fma_f32 v[110:111], v[106:107], v[104:105], v[108:109] op_sel_hi:[1,0,1]
	v_pk_fma_f32 v[104:105], v[106:107], v[104:105], v[108:109] neg_lo:[0,0,1] neg_hi:[0,0,1]
	v_mov_b32_e32 v105, v111
	s_delay_alu instid0(VALU_DEP_1)
	v_pk_add_f32 v[102:103], v[102:103], v[104:105]
.LBB48_22:
	s_or_b32 exec_lo, exec_lo, s8
	v_mov_b32_e32 v7, 0
	ds_load_b64 v[104:105], v7 offset:16
	s_wait_dscnt 0x0
	v_pk_mul_f32 v[106:107], v[102:103], v[104:105] op_sel:[1,1] op_sel_hi:[0,1]
	s_delay_alu instid0(VALU_DEP_1) | instskip(SKIP_1) | instid1(VALU_DEP_2)
	v_pk_fma_f32 v[108:109], v[102:103], v[104:105], v[106:107] op_sel_hi:[1,0,1]
	v_pk_fma_f32 v[102:103], v[102:103], v[104:105], v[106:107] neg_lo:[0,0,1] neg_hi:[0,0,1]
	v_mov_b32_e32 v103, v109
	scratch_store_b64 off, v[102:103], off offset:16
.LBB48_23:
	s_wait_xcnt 0x0
	s_or_b32 exec_lo, exec_lo, s1
	s_wait_storecnt 0x0
	s_barrier_signal -1
	s_barrier_wait -1
	scratch_load_b64 v[102:103], off, off offset:24
	v_add_nc_u32_e32 v7, -1, v0
	s_mov_b32 s0, exec_lo
	s_wait_loadcnt 0x0
	ds_store_b64 v1, v[102:103]
	s_wait_dscnt 0x0
	s_barrier_signal -1
	s_barrier_wait -1
	v_cmpx_gt_u32_e32 3, v0
	s_cbranch_execz .LBB48_27
; %bb.24:
	v_dual_mov_b32 v102, 0 :: v_dual_add_nc_u32 v9, -1, v0
	v_add_nc_u32_e32 v11, 0x190, v100
	v_mov_b32_e32 v13, v100
	s_mov_b32 s1, 0
	s_delay_alu instid0(VALU_DEP_3)
	v_mov_b32_e32 v103, v102
.LBB48_25:                              ; =>This Inner Loop Header: Depth=1
	scratch_load_b64 v[104:105], v13, off
	ds_load_b64 v[106:107], v11
	s_wait_xcnt 0x0
	v_dual_add_nc_u32 v11, 8, v11 :: v_dual_add_nc_u32 v13, 8, v13
	s_wait_loadcnt_dscnt 0x0
	v_pk_mul_f32 v[108:109], v[106:107], v[104:105] op_sel:[1,1] op_sel_hi:[0,1]
	s_delay_alu instid0(VALU_DEP_1) | instskip(SKIP_2) | instid1(VALU_DEP_3)
	v_pk_fma_f32 v[110:111], v[106:107], v[104:105], v[108:109] op_sel_hi:[1,0,1]
	v_add_nc_u32_e32 v9, 1, v9
	v_pk_fma_f32 v[104:105], v[106:107], v[104:105], v[108:109] neg_lo:[0,0,1] neg_hi:[0,0,1]
	v_mov_b32_e32 v105, v111
	s_delay_alu instid0(VALU_DEP_3) | instskip(NEXT) | instid1(VALU_DEP_2)
	v_cmp_lt_u32_e32 vcc_lo, 1, v9
	v_pk_add_f32 v[102:103], v[102:103], v[104:105]
	s_or_b32 s1, vcc_lo, s1
	s_delay_alu instid0(SALU_CYCLE_1)
	s_and_not1_b32 exec_lo, exec_lo, s1
	s_cbranch_execnz .LBB48_25
; %bb.26:
	s_or_b32 exec_lo, exec_lo, s1
	v_mov_b32_e32 v9, 0
	ds_load_b64 v[104:105], v9 offset:24
	s_wait_dscnt 0x0
	v_pk_mul_f32 v[106:107], v[102:103], v[104:105] op_sel:[1,1] op_sel_hi:[0,1]
	s_delay_alu instid0(VALU_DEP_1) | instskip(SKIP_1) | instid1(VALU_DEP_2)
	v_pk_fma_f32 v[108:109], v[102:103], v[104:105], v[106:107] op_sel_hi:[1,0,1]
	v_pk_fma_f32 v[102:103], v[102:103], v[104:105], v[106:107] neg_lo:[0,0,1] neg_hi:[0,0,1]
	v_mov_b32_e32 v103, v109
	scratch_store_b64 off, v[102:103], off offset:24
.LBB48_27:
	s_wait_xcnt 0x0
	s_or_b32 exec_lo, exec_lo, s0
	s_wait_storecnt 0x0
	s_barrier_signal -1
	s_barrier_wait -1
	scratch_load_b64 v[102:103], off, off offset:32
	s_mov_b32 s0, exec_lo
	s_wait_loadcnt 0x0
	ds_store_b64 v1, v[102:103]
	s_wait_dscnt 0x0
	s_barrier_signal -1
	s_barrier_wait -1
	v_cmpx_gt_u32_e32 4, v0
	s_cbranch_execz .LBB48_31
; %bb.28:
	v_dual_mov_b32 v102, 0 :: v_dual_add_nc_u32 v9, -1, v0
	v_add_nc_u32_e32 v11, 0x190, v100
	v_mov_b32_e32 v13, v100
	s_mov_b32 s1, 0
	s_delay_alu instid0(VALU_DEP_3)
	v_mov_b32_e32 v103, v102
.LBB48_29:                              ; =>This Inner Loop Header: Depth=1
	scratch_load_b64 v[104:105], v13, off
	ds_load_b64 v[106:107], v11
	s_wait_xcnt 0x0
	v_dual_add_nc_u32 v11, 8, v11 :: v_dual_add_nc_u32 v13, 8, v13
	s_wait_loadcnt_dscnt 0x0
	v_pk_mul_f32 v[108:109], v[106:107], v[104:105] op_sel:[1,1] op_sel_hi:[0,1]
	s_delay_alu instid0(VALU_DEP_1) | instskip(SKIP_2) | instid1(VALU_DEP_3)
	v_pk_fma_f32 v[110:111], v[106:107], v[104:105], v[108:109] op_sel_hi:[1,0,1]
	v_add_nc_u32_e32 v9, 1, v9
	v_pk_fma_f32 v[104:105], v[106:107], v[104:105], v[108:109] neg_lo:[0,0,1] neg_hi:[0,0,1]
	v_mov_b32_e32 v105, v111
	s_delay_alu instid0(VALU_DEP_3) | instskip(NEXT) | instid1(VALU_DEP_2)
	v_cmp_lt_u32_e32 vcc_lo, 2, v9
	v_pk_add_f32 v[102:103], v[102:103], v[104:105]
	s_or_b32 s1, vcc_lo, s1
	s_delay_alu instid0(SALU_CYCLE_1)
	s_and_not1_b32 exec_lo, exec_lo, s1
	s_cbranch_execnz .LBB48_29
; %bb.30:
	s_or_b32 exec_lo, exec_lo, s1
	v_mov_b32_e32 v9, 0
	ds_load_b64 v[104:105], v9 offset:32
	s_wait_dscnt 0x0
	v_pk_mul_f32 v[106:107], v[102:103], v[104:105] op_sel:[1,1] op_sel_hi:[0,1]
	s_delay_alu instid0(VALU_DEP_1) | instskip(SKIP_1) | instid1(VALU_DEP_2)
	v_pk_fma_f32 v[108:109], v[102:103], v[104:105], v[106:107] op_sel_hi:[1,0,1]
	v_pk_fma_f32 v[102:103], v[102:103], v[104:105], v[106:107] neg_lo:[0,0,1] neg_hi:[0,0,1]
	v_mov_b32_e32 v103, v109
	scratch_store_b64 off, v[102:103], off offset:32
.LBB48_31:
	s_wait_xcnt 0x0
	s_or_b32 exec_lo, exec_lo, s0
	s_wait_storecnt 0x0
	s_barrier_signal -1
	s_barrier_wait -1
	scratch_load_b64 v[102:103], off, off offset:40
	;; [unrolled: 52-line block ×19, first 2 shown]
	s_mov_b32 s0, exec_lo
	s_wait_loadcnt 0x0
	ds_store_b64 v1, v[102:103]
	s_wait_dscnt 0x0
	s_barrier_signal -1
	s_barrier_wait -1
	v_cmpx_gt_u32_e32 22, v0
	s_cbranch_execz .LBB48_103
; %bb.100:
	v_dual_mov_b32 v102, 0 :: v_dual_add_nc_u32 v9, -1, v0
	v_add_nc_u32_e32 v11, 0x190, v100
	v_mov_b32_e32 v13, v100
	s_mov_b32 s1, 0
	s_delay_alu instid0(VALU_DEP_3)
	v_mov_b32_e32 v103, v102
.LBB48_101:                             ; =>This Inner Loop Header: Depth=1
	scratch_load_b64 v[104:105], v13, off
	ds_load_b64 v[106:107], v11
	s_wait_xcnt 0x0
	v_dual_add_nc_u32 v11, 8, v11 :: v_dual_add_nc_u32 v13, 8, v13
	s_wait_loadcnt_dscnt 0x0
	v_pk_mul_f32 v[108:109], v[106:107], v[104:105] op_sel:[1,1] op_sel_hi:[0,1]
	s_delay_alu instid0(VALU_DEP_1) | instskip(SKIP_2) | instid1(VALU_DEP_3)
	v_pk_fma_f32 v[110:111], v[106:107], v[104:105], v[108:109] op_sel_hi:[1,0,1]
	v_add_nc_u32_e32 v9, 1, v9
	v_pk_fma_f32 v[104:105], v[106:107], v[104:105], v[108:109] neg_lo:[0,0,1] neg_hi:[0,0,1]
	v_mov_b32_e32 v105, v111
	s_delay_alu instid0(VALU_DEP_3) | instskip(NEXT) | instid1(VALU_DEP_2)
	v_cmp_lt_u32_e32 vcc_lo, 20, v9
	v_pk_add_f32 v[102:103], v[102:103], v[104:105]
	s_or_b32 s1, vcc_lo, s1
	s_delay_alu instid0(SALU_CYCLE_1)
	s_and_not1_b32 exec_lo, exec_lo, s1
	s_cbranch_execnz .LBB48_101
; %bb.102:
	s_or_b32 exec_lo, exec_lo, s1
	v_mov_b32_e32 v9, 0
	ds_load_b64 v[104:105], v9 offset:176
	s_wait_dscnt 0x0
	v_pk_mul_f32 v[106:107], v[102:103], v[104:105] op_sel:[1,1] op_sel_hi:[0,1]
	s_delay_alu instid0(VALU_DEP_1) | instskip(SKIP_1) | instid1(VALU_DEP_2)
	v_pk_fma_f32 v[108:109], v[102:103], v[104:105], v[106:107] op_sel_hi:[1,0,1]
	v_pk_fma_f32 v[102:103], v[102:103], v[104:105], v[106:107] neg_lo:[0,0,1] neg_hi:[0,0,1]
	v_mov_b32_e32 v103, v109
	scratch_store_b64 off, v[102:103], off offset:176
.LBB48_103:
	s_wait_xcnt 0x0
	s_or_b32 exec_lo, exec_lo, s0
	s_wait_storecnt 0x0
	s_barrier_signal -1
	s_barrier_wait -1
	scratch_load_b64 v[102:103], off, off offset:184
	s_mov_b32 s0, exec_lo
	s_wait_loadcnt 0x0
	ds_store_b64 v1, v[102:103]
	s_wait_dscnt 0x0
	s_barrier_signal -1
	s_barrier_wait -1
	v_cmpx_gt_u32_e32 23, v0
	s_cbranch_execz .LBB48_107
; %bb.104:
	v_dual_mov_b32 v102, 0 :: v_dual_add_nc_u32 v9, -1, v0
	v_add_nc_u32_e32 v11, 0x190, v100
	v_mov_b32_e32 v13, v100
	s_mov_b32 s1, 0
	s_delay_alu instid0(VALU_DEP_3)
	v_mov_b32_e32 v103, v102
.LBB48_105:                             ; =>This Inner Loop Header: Depth=1
	scratch_load_b64 v[104:105], v13, off
	ds_load_b64 v[106:107], v11
	s_wait_xcnt 0x0
	v_dual_add_nc_u32 v11, 8, v11 :: v_dual_add_nc_u32 v13, 8, v13
	s_wait_loadcnt_dscnt 0x0
	v_pk_mul_f32 v[108:109], v[106:107], v[104:105] op_sel:[1,1] op_sel_hi:[0,1]
	s_delay_alu instid0(VALU_DEP_1) | instskip(SKIP_2) | instid1(VALU_DEP_3)
	v_pk_fma_f32 v[110:111], v[106:107], v[104:105], v[108:109] op_sel_hi:[1,0,1]
	v_add_nc_u32_e32 v9, 1, v9
	v_pk_fma_f32 v[104:105], v[106:107], v[104:105], v[108:109] neg_lo:[0,0,1] neg_hi:[0,0,1]
	v_mov_b32_e32 v105, v111
	s_delay_alu instid0(VALU_DEP_3) | instskip(NEXT) | instid1(VALU_DEP_2)
	v_cmp_lt_u32_e32 vcc_lo, 21, v9
	v_pk_add_f32 v[102:103], v[102:103], v[104:105]
	s_or_b32 s1, vcc_lo, s1
	s_delay_alu instid0(SALU_CYCLE_1)
	s_and_not1_b32 exec_lo, exec_lo, s1
	s_cbranch_execnz .LBB48_105
; %bb.106:
	s_or_b32 exec_lo, exec_lo, s1
	v_mov_b32_e32 v9, 0
	ds_load_b64 v[104:105], v9 offset:184
	s_wait_dscnt 0x0
	v_pk_mul_f32 v[106:107], v[102:103], v[104:105] op_sel:[1,1] op_sel_hi:[0,1]
	s_delay_alu instid0(VALU_DEP_1) | instskip(SKIP_1) | instid1(VALU_DEP_2)
	v_pk_fma_f32 v[108:109], v[102:103], v[104:105], v[106:107] op_sel_hi:[1,0,1]
	v_pk_fma_f32 v[102:103], v[102:103], v[104:105], v[106:107] neg_lo:[0,0,1] neg_hi:[0,0,1]
	v_mov_b32_e32 v103, v109
	scratch_store_b64 off, v[102:103], off offset:184
.LBB48_107:
	s_wait_xcnt 0x0
	s_or_b32 exec_lo, exec_lo, s0
	s_wait_storecnt 0x0
	s_barrier_signal -1
	s_barrier_wait -1
	scratch_load_b64 v[102:103], off, off offset:192
	;; [unrolled: 52-line block ×26, first 2 shown]
	s_mov_b32 s0, exec_lo
	s_wait_loadcnt 0x0
	ds_store_b64 v1, v[102:103]
	s_wait_dscnt 0x0
	s_barrier_signal -1
	s_barrier_wait -1
	v_cmpx_ne_u32_e32 48, v0
	s_cbranch_execz .LBB48_207
; %bb.204:
	v_dual_mov_b32 v102, 0 :: v_dual_mov_b32 v9, v100
	s_mov_b32 s1, 0
	s_delay_alu instid0(VALU_DEP_1)
	v_mov_b32_e32 v103, v102
.LBB48_205:                             ; =>This Inner Loop Header: Depth=1
	scratch_load_b64 v[100:101], v9, off
	ds_load_b64 v[104:105], v1
	v_add_nc_u32_e32 v1, 8, v1
	s_wait_xcnt 0x0
	v_add_nc_u32_e32 v9, 8, v9
	s_wait_loadcnt_dscnt 0x0
	v_pk_mul_f32 v[106:107], v[104:105], v[100:101] op_sel:[1,1] op_sel_hi:[0,1]
	s_delay_alu instid0(VALU_DEP_1) | instskip(SKIP_2) | instid1(VALU_DEP_3)
	v_pk_fma_f32 v[108:109], v[104:105], v[100:101], v[106:107] op_sel_hi:[1,0,1]
	v_add_nc_u32_e32 v7, 1, v7
	v_pk_fma_f32 v[100:101], v[104:105], v[100:101], v[106:107] neg_lo:[0,0,1] neg_hi:[0,0,1]
	v_mov_b32_e32 v101, v109
	s_delay_alu instid0(VALU_DEP_3) | instskip(NEXT) | instid1(VALU_DEP_2)
	v_cmp_lt_u32_e32 vcc_lo, 46, v7
	v_pk_add_f32 v[102:103], v[102:103], v[100:101]
	s_or_b32 s1, vcc_lo, s1
	s_delay_alu instid0(SALU_CYCLE_1)
	s_and_not1_b32 exec_lo, exec_lo, s1
	s_cbranch_execnz .LBB48_205
; %bb.206:
	s_or_b32 exec_lo, exec_lo, s1
	v_mov_b32_e32 v1, 0
	ds_load_b64 v[100:101], v1 offset:384
	s_wait_dscnt 0x0
	v_pk_mul_f32 v[104:105], v[102:103], v[100:101] op_sel:[1,1] op_sel_hi:[0,1]
	s_delay_alu instid0(VALU_DEP_1) | instskip(SKIP_1) | instid1(VALU_DEP_2)
	v_pk_fma_f32 v[106:107], v[102:103], v[100:101], v[104:105] op_sel_hi:[1,0,1]
	v_pk_fma_f32 v[100:101], v[102:103], v[100:101], v[104:105] neg_lo:[0,0,1] neg_hi:[0,0,1]
	v_mov_b32_e32 v101, v107
	scratch_store_b64 off, v[100:101], off offset:384
.LBB48_207:
	s_wait_xcnt 0x0
	s_or_b32 exec_lo, exec_lo, s0
	s_mov_b32 s1, -1
	s_wait_storecnt 0x0
	s_barrier_signal -1
	s_barrier_wait -1
.LBB48_208:
	s_and_b32 vcc_lo, exec_lo, s1
	s_cbranch_vccz .LBB48_210
; %bb.209:
	v_mov_b32_e32 v1, 0
	s_lshl_b64 s[0:1], s[16:17], 2
	s_delay_alu instid0(SALU_CYCLE_1)
	s_add_nc_u64 s[0:1], s[6:7], s[0:1]
	global_load_b32 v1, v1, s[0:1]
	s_wait_loadcnt 0x0
	v_cmp_ne_u32_e32 vcc_lo, 0, v1
	s_cbranch_vccz .LBB48_211
.LBB48_210:
	s_sendmsg sendmsg(MSG_DEALLOC_VGPRS)
	s_endpgm
.LBB48_211:
	s_wait_xcnt 0x0
	v_lshl_add_u32 v1, v0, 3, 0x190
	s_mov_b32 s0, exec_lo
	v_cmpx_eq_u32_e32 48, v0
	s_cbranch_execz .LBB48_213
; %bb.212:
	scratch_load_b64 v[100:101], off, off offset:376
	v_mov_b64_e32 v[102:103], 0
	scratch_store_b64 off, v[102:103], off offset:376
	s_wait_loadcnt 0x0
	ds_store_b64 v1, v[100:101]
.LBB48_213:
	s_wait_xcnt 0x0
	s_or_b32 exec_lo, exec_lo, s0
	s_wait_storecnt_dscnt 0x0
	s_barrier_signal -1
	s_barrier_wait -1
	s_clause 0x1
	scratch_load_b64 v[100:101], off, off offset:384
	scratch_load_b64 v[102:103], off, off offset:376
	v_mov_b32_e32 v7, 0
	s_mov_b32 s0, exec_lo
	ds_load_b64 v[104:105], v7 offset:784
	s_wait_loadcnt_dscnt 0x100
	v_pk_mul_f32 v[106:107], v[104:105], v[100:101] op_sel:[1,1] op_sel_hi:[0,1]
	s_delay_alu instid0(VALU_DEP_1) | instskip(SKIP_1) | instid1(VALU_DEP_2)
	v_pk_fma_f32 v[108:109], v[104:105], v[100:101], v[106:107] op_sel_hi:[1,0,1]
	v_pk_fma_f32 v[100:101], v[104:105], v[100:101], v[106:107] neg_lo:[0,0,1] neg_hi:[0,0,1]
	v_mov_b32_e32 v101, v109
	s_delay_alu instid0(VALU_DEP_1) | instskip(SKIP_1) | instid1(VALU_DEP_1)
	v_pk_add_f32 v[100:101], v[100:101], 0 op_sel_hi:[1,0]
	s_wait_loadcnt 0x0
	v_pk_add_f32 v[100:101], v[102:103], v[100:101] neg_lo:[0,1] neg_hi:[0,1]
	scratch_store_b64 off, v[100:101], off offset:376
	s_wait_xcnt 0x0
	v_cmpx_lt_u32_e32 46, v0
	s_cbranch_execz .LBB48_215
; %bb.214:
	scratch_load_b64 v[100:101], off, off offset:368
	v_mov_b64_e32 v[102:103], 0
	scratch_store_b64 off, v[102:103], off offset:368
	s_wait_loadcnt 0x0
	ds_store_b64 v1, v[100:101]
.LBB48_215:
	s_wait_xcnt 0x0
	s_or_b32 exec_lo, exec_lo, s0
	s_wait_storecnt_dscnt 0x0
	s_barrier_signal -1
	s_barrier_wait -1
	s_clause 0x1
	scratch_load_b128 v[100:103], off, off offset:376
	scratch_load_b64 v[108:109], off, off offset:368
	ds_load_2addr_b64 v[104:107], v7 offset0:97 offset1:98
	s_mov_b32 s0, exec_lo
	s_wait_dscnt 0x0
	v_dual_mov_b32 v110, v107 :: v_dual_mov_b32 v111, v106
	s_wait_loadcnt 0x1
	v_pk_mul_f32 v[112:113], v[104:105], v[100:101] op_sel:[1,1] op_sel_hi:[0,1]
	s_delay_alu instid0(VALU_DEP_1) | instskip(SKIP_2) | instid1(VALU_DEP_3)
	v_pk_fma_f32 v[116:117], v[104:105], v[100:101], v[112:113] op_sel_hi:[1,0,1]
	v_mov_b32_e32 v114, v103
	v_pk_fma_f32 v[100:101], v[104:105], v[100:101], v[112:113] neg_lo:[0,0,1] neg_hi:[0,0,1]
	v_mov_b32_e32 v101, v117
	s_delay_alu instid0(VALU_DEP_3) | instskip(NEXT) | instid1(VALU_DEP_2)
	v_pk_mul_f32 v[110:111], v[110:111], v[114:115] op_sel_hi:[1,0]
	v_pk_add_f32 v[100:101], v[100:101], 0 op_sel_hi:[1,0]
	s_delay_alu instid0(VALU_DEP_2) | instskip(SKIP_1) | instid1(VALU_DEP_2)
	v_pk_fma_f32 v[104:105], v[106:107], v[102:103], v[110:111] op_sel_hi:[1,0,1]
	v_pk_fma_f32 v[102:103], v[106:107], v[102:103], v[110:111] neg_lo:[0,0,1] neg_hi:[0,0,1]
	v_mov_b32_e32 v103, v105
	s_delay_alu instid0(VALU_DEP_1) | instskip(SKIP_1) | instid1(VALU_DEP_1)
	v_pk_add_f32 v[100:101], v[100:101], v[102:103]
	s_wait_loadcnt 0x0
	v_pk_add_f32 v[100:101], v[108:109], v[100:101] neg_lo:[0,1] neg_hi:[0,1]
	scratch_store_b64 off, v[100:101], off offset:368
	s_wait_xcnt 0x0
	v_cmpx_lt_u32_e32 45, v0
	s_cbranch_execz .LBB48_217
; %bb.216:
	scratch_load_b64 v[100:101], off, off offset:360
	v_mov_b64_e32 v[102:103], 0
	scratch_store_b64 off, v[102:103], off offset:360
	s_wait_loadcnt 0x0
	ds_store_b64 v1, v[100:101]
.LBB48_217:
	s_wait_xcnt 0x0
	s_or_b32 exec_lo, exec_lo, s0
	s_wait_storecnt_dscnt 0x0
	s_barrier_signal -1
	s_barrier_wait -1
	s_clause 0x2
	scratch_load_b128 v[100:103], off, off offset:368
	scratch_load_b64 v[108:109], off, off offset:384
	scratch_load_b64 v[110:111], off, off offset:360
	v_mov_b32_e32 v7, 0
	ds_load_b128 v[104:107], v7 offset:768
	ds_load_b64 v[112:113], v7 offset:784
	s_mov_b32 s0, exec_lo
	s_wait_dscnt 0x1
	v_dual_mov_b32 v114, v107 :: v_dual_mov_b32 v115, v106
	s_wait_loadcnt 0x2
	v_mov_b32_e32 v118, v103
	v_pk_mul_f32 v[116:117], v[104:105], v[100:101] op_sel:[1,1] op_sel_hi:[0,1]
	s_delay_alu instid0(VALU_DEP_2) | instskip(NEXT) | instid1(VALU_DEP_2)
	v_pk_mul_f32 v[114:115], v[114:115], v[118:119] op_sel_hi:[1,0]
	v_pk_fma_f32 v[120:121], v[104:105], v[100:101], v[116:117] op_sel_hi:[1,0,1]
	v_pk_fma_f32 v[100:101], v[104:105], v[100:101], v[116:117] neg_lo:[0,0,1] neg_hi:[0,0,1]
	s_wait_loadcnt_dscnt 0x100
	v_pk_mul_f32 v[116:117], v[112:113], v[108:109] op_sel:[1,1] op_sel_hi:[0,1]
	v_pk_fma_f32 v[104:105], v[106:107], v[102:103], v[114:115] op_sel_hi:[1,0,1]
	v_mov_b32_e32 v101, v121
	v_pk_fma_f32 v[102:103], v[106:107], v[102:103], v[114:115] neg_lo:[0,0,1] neg_hi:[0,0,1]
	s_delay_alu instid0(VALU_DEP_4) | instskip(NEXT) | instid1(VALU_DEP_4)
	v_pk_fma_f32 v[106:107], v[112:113], v[108:109], v[116:117] neg_lo:[0,0,1] neg_hi:[0,0,1]
	v_mov_b32_e32 v103, v105
	s_delay_alu instid0(VALU_DEP_4) | instskip(SKIP_1) | instid1(VALU_DEP_2)
	v_pk_add_f32 v[100:101], v[100:101], 0 op_sel_hi:[1,0]
	v_pk_fma_f32 v[104:105], v[112:113], v[108:109], v[116:117] op_sel_hi:[1,0,1]
	v_pk_add_f32 v[100:101], v[100:101], v[102:103]
	s_delay_alu instid0(VALU_DEP_2) | instskip(NEXT) | instid1(VALU_DEP_1)
	v_mov_b32_e32 v107, v105
	v_pk_add_f32 v[100:101], v[100:101], v[106:107]
	s_wait_loadcnt 0x0
	s_delay_alu instid0(VALU_DEP_1)
	v_pk_add_f32 v[100:101], v[110:111], v[100:101] neg_lo:[0,1] neg_hi:[0,1]
	scratch_store_b64 off, v[100:101], off offset:360
	s_wait_xcnt 0x0
	v_cmpx_lt_u32_e32 44, v0
	s_cbranch_execz .LBB48_219
; %bb.218:
	scratch_load_b64 v[100:101], off, off offset:352
	v_mov_b64_e32 v[102:103], 0
	scratch_store_b64 off, v[102:103], off offset:352
	s_wait_loadcnt 0x0
	ds_store_b64 v1, v[100:101]
.LBB48_219:
	s_wait_xcnt 0x0
	s_or_b32 exec_lo, exec_lo, s0
	s_wait_storecnt_dscnt 0x0
	s_barrier_signal -1
	s_barrier_wait -1
	s_clause 0x2
	scratch_load_b128 v[100:103], off, off offset:360
	scratch_load_b128 v[104:107], off, off offset:376
	scratch_load_b64 v[116:117], off, off offset:352
	ds_load_2addr_b64 v[108:111], v7 offset0:95 offset1:96
	ds_load_2addr_b64 v[112:115], v7 offset0:97 offset1:98
	s_mov_b32 s0, exec_lo
	s_wait_dscnt 0x1
	v_dual_mov_b32 v118, v111 :: v_dual_mov_b32 v119, v110
	s_wait_loadcnt_dscnt 0x200
	v_dual_mov_b32 v124, v115 :: v_dual_mov_b32 v122, v103
	v_pk_mul_f32 v[120:121], v[108:109], v[100:101] op_sel:[1,1] op_sel_hi:[0,1]
	s_delay_alu instid0(VALU_DEP_2) | instskip(NEXT) | instid1(VALU_DEP_2)
	v_pk_mul_f32 v[118:119], v[118:119], v[122:123] op_sel_hi:[1,0]
	v_pk_fma_f32 v[126:127], v[108:109], v[100:101], v[120:121] op_sel_hi:[1,0,1]
	v_pk_fma_f32 v[100:101], v[108:109], v[100:101], v[120:121] neg_lo:[0,0,1] neg_hi:[0,0,1]
	v_mov_b32_e32 v125, v114
	s_wait_loadcnt 0x1
	v_pk_mul_f32 v[122:123], v[112:113], v[104:105] op_sel:[1,1] op_sel_hi:[0,1]
	v_pk_fma_f32 v[108:109], v[110:111], v[102:103], v[118:119] op_sel_hi:[1,0,1]
	v_dual_mov_b32 v101, v127 :: v_dual_mov_b32 v108, v107
	v_pk_fma_f32 v[102:103], v[110:111], v[102:103], v[118:119] neg_lo:[0,0,1] neg_hi:[0,0,1]
	s_delay_alu instid0(VALU_DEP_4) | instskip(NEXT) | instid1(VALU_DEP_4)
	v_pk_fma_f32 v[120:121], v[112:113], v[104:105], v[122:123] op_sel_hi:[1,0,1]
	v_mov_b32_e32 v103, v109
	s_delay_alu instid0(VALU_DEP_4) | instskip(SKIP_2) | instid1(VALU_DEP_3)
	v_pk_add_f32 v[100:101], v[100:101], 0 op_sel_hi:[1,0]
	v_pk_mul_f32 v[108:109], v[124:125], v[108:109] op_sel_hi:[1,0]
	v_pk_fma_f32 v[104:105], v[112:113], v[104:105], v[122:123] neg_lo:[0,0,1] neg_hi:[0,0,1]
	v_pk_add_f32 v[100:101], v[100:101], v[102:103]
	s_delay_alu instid0(VALU_DEP_3) | instskip(SKIP_2) | instid1(VALU_DEP_3)
	v_pk_fma_f32 v[102:103], v[114:115], v[106:107], v[108:109] op_sel_hi:[1,0,1]
	v_mov_b32_e32 v105, v121
	v_pk_fma_f32 v[106:107], v[114:115], v[106:107], v[108:109] neg_lo:[0,0,1] neg_hi:[0,0,1]
	v_mov_b32_e32 v107, v103
	s_delay_alu instid0(VALU_DEP_3) | instskip(NEXT) | instid1(VALU_DEP_1)
	v_pk_add_f32 v[100:101], v[100:101], v[104:105]
	v_pk_add_f32 v[100:101], v[100:101], v[106:107]
	s_wait_loadcnt 0x0
	s_delay_alu instid0(VALU_DEP_1)
	v_pk_add_f32 v[100:101], v[116:117], v[100:101] neg_lo:[0,1] neg_hi:[0,1]
	scratch_store_b64 off, v[100:101], off offset:352
	s_wait_xcnt 0x0
	v_cmpx_lt_u32_e32 43, v0
	s_cbranch_execz .LBB48_221
; %bb.220:
	scratch_load_b64 v[100:101], off, off offset:344
	v_mov_b64_e32 v[102:103], 0
	scratch_store_b64 off, v[102:103], off offset:344
	s_wait_loadcnt 0x0
	ds_store_b64 v1, v[100:101]
.LBB48_221:
	s_wait_xcnt 0x0
	s_or_b32 exec_lo, exec_lo, s0
	s_wait_storecnt_dscnt 0x0
	s_barrier_signal -1
	s_barrier_wait -1
	s_clause 0x3
	scratch_load_b128 v[100:103], off, off offset:352
	scratch_load_b128 v[104:107], off, off offset:368
	scratch_load_b64 v[116:117], off, off offset:384
	scratch_load_b64 v[118:119], off, off offset:344
	v_mov_b32_e32 v7, 0
	ds_load_b128 v[108:111], v7 offset:752
	ds_load_b128 v[112:115], v7 offset:768
	s_mov_b32 s0, exec_lo
	s_wait_dscnt 0x1
	v_dual_mov_b32 v120, v111 :: v_dual_mov_b32 v121, v110
	ds_load_b64 v[126:127], v7 offset:784
	s_wait_dscnt 0x1
	v_dual_mov_b32 v128, v115 :: v_dual_mov_b32 v129, v114
	s_wait_loadcnt 0x3
	v_pk_mul_f32 v[122:123], v[108:109], v[100:101] op_sel:[1,1] op_sel_hi:[0,1]
	v_mov_b32_e32 v124, v103
	s_delay_alu instid0(VALU_DEP_2) | instskip(NEXT) | instid1(VALU_DEP_2)
	v_pk_fma_f32 v[130:131], v[108:109], v[100:101], v[122:123] op_sel_hi:[1,0,1]
	v_pk_mul_f32 v[120:121], v[120:121], v[124:125] op_sel_hi:[1,0]
	v_pk_fma_f32 v[100:101], v[108:109], v[100:101], v[122:123] neg_lo:[0,0,1] neg_hi:[0,0,1]
	s_wait_loadcnt 0x2
	v_pk_mul_f32 v[124:125], v[112:113], v[104:105] op_sel:[1,1] op_sel_hi:[0,1]
	v_dual_mov_b32 v130, v107 :: v_dual_mov_b32 v101, v131
	v_pk_fma_f32 v[108:109], v[110:111], v[102:103], v[120:121] op_sel_hi:[1,0,1]
	v_pk_fma_f32 v[102:103], v[110:111], v[102:103], v[120:121] neg_lo:[0,0,1] neg_hi:[0,0,1]
	s_delay_alu instid0(VALU_DEP_4) | instskip(NEXT) | instid1(VALU_DEP_4)
	v_pk_fma_f32 v[122:123], v[112:113], v[104:105], v[124:125] op_sel_hi:[1,0,1]
	v_pk_mul_f32 v[128:129], v[128:129], v[130:131] op_sel_hi:[1,0]
	v_pk_add_f32 v[100:101], v[100:101], 0 op_sel_hi:[1,0]
	v_mov_b32_e32 v103, v109
	v_pk_fma_f32 v[104:105], v[112:113], v[104:105], v[124:125] neg_lo:[0,0,1] neg_hi:[0,0,1]
	v_mov_b32_e32 v105, v123
	v_pk_fma_f32 v[108:109], v[114:115], v[106:107], v[128:129] op_sel_hi:[1,0,1]
	v_pk_fma_f32 v[106:107], v[114:115], v[106:107], v[128:129] neg_lo:[0,0,1] neg_hi:[0,0,1]
	v_pk_add_f32 v[100:101], v[100:101], v[102:103]
	s_wait_loadcnt_dscnt 0x100
	v_pk_mul_f32 v[102:103], v[126:127], v[116:117] op_sel:[1,1] op_sel_hi:[0,1]
	s_delay_alu instid0(VALU_DEP_2) | instskip(NEXT) | instid1(VALU_DEP_2)
	v_pk_add_f32 v[100:101], v[100:101], v[104:105]
	v_pk_fma_f32 v[104:105], v[126:127], v[116:117], v[102:103] op_sel_hi:[1,0,1]
	v_mov_b32_e32 v107, v109
	v_pk_fma_f32 v[102:103], v[126:127], v[116:117], v[102:103] neg_lo:[0,0,1] neg_hi:[0,0,1]
	s_delay_alu instid0(VALU_DEP_3) | instskip(NEXT) | instid1(VALU_DEP_3)
	v_mov_b32_e32 v103, v105
	v_pk_add_f32 v[100:101], v[100:101], v[106:107]
	s_delay_alu instid0(VALU_DEP_1) | instskip(SKIP_1) | instid1(VALU_DEP_1)
	v_pk_add_f32 v[100:101], v[100:101], v[102:103]
	s_wait_loadcnt 0x0
	v_pk_add_f32 v[100:101], v[118:119], v[100:101] neg_lo:[0,1] neg_hi:[0,1]
	scratch_store_b64 off, v[100:101], off offset:344
	s_wait_xcnt 0x0
	v_cmpx_lt_u32_e32 42, v0
	s_cbranch_execz .LBB48_223
; %bb.222:
	scratch_load_b64 v[100:101], off, off offset:336
	v_mov_b64_e32 v[102:103], 0
	scratch_store_b64 off, v[102:103], off offset:336
	s_wait_loadcnt 0x0
	ds_store_b64 v1, v[100:101]
.LBB48_223:
	s_wait_xcnt 0x0
	s_or_b32 exec_lo, exec_lo, s0
	s_wait_storecnt_dscnt 0x0
	s_barrier_signal -1
	s_barrier_wait -1
	s_clause 0x3
	scratch_load_b128 v[100:103], off, off offset:344
	scratch_load_b128 v[104:107], off, off offset:360
	;; [unrolled: 1-line block ×3, first 2 shown]
	scratch_load_b64 v[124:125], off, off offset:336
	ds_load_2addr_b64 v[112:115], v7 offset0:93 offset1:94
	ds_load_2addr_b64 v[116:119], v7 offset0:95 offset1:96
	;; [unrolled: 1-line block ×3, first 2 shown]
	s_mov_b32 s0, exec_lo
	s_wait_dscnt 0x2
	v_dual_mov_b32 v126, v115 :: v_dual_mov_b32 v127, v114
	s_wait_dscnt 0x1
	v_dual_mov_b32 v128, v119 :: v_dual_mov_b32 v129, v118
	;; [unrolled: 2-line block ×3, first 2 shown]
	s_wait_loadcnt 0x3
	v_pk_mul_f32 v[130:131], v[112:113], v[100:101] op_sel:[1,1] op_sel_hi:[0,1]
	v_mov_b32_e32 v132, v103
	s_delay_alu instid0(VALU_DEP_2) | instskip(NEXT) | instid1(VALU_DEP_2)
	v_pk_fma_f32 v[136:137], v[112:113], v[100:101], v[130:131] op_sel_hi:[1,0,1]
	v_pk_mul_f32 v[126:127], v[126:127], v[132:133] op_sel_hi:[1,0]
	v_pk_fma_f32 v[100:101], v[112:113], v[100:101], v[130:131] neg_lo:[0,0,1] neg_hi:[0,0,1]
	s_wait_loadcnt 0x2
	v_pk_mul_f32 v[132:133], v[116:117], v[104:105] op_sel:[1,1] op_sel_hi:[0,1]
	v_mov_b32_e32 v136, v107
	v_pk_fma_f32 v[112:113], v[114:115], v[102:103], v[126:127] op_sel_hi:[1,0,1]
	v_mov_b32_e32 v101, v137
	v_pk_fma_f32 v[102:103], v[114:115], v[102:103], v[126:127] neg_lo:[0,0,1] neg_hi:[0,0,1]
	v_pk_fma_f32 v[130:131], v[116:117], v[104:105], v[132:133] op_sel_hi:[1,0,1]
	v_pk_mul_f32 v[128:129], v[128:129], v[136:137] op_sel_hi:[1,0]
	v_mov_b32_e32 v103, v113
	v_pk_add_f32 v[100:101], v[100:101], 0 op_sel_hi:[1,0]
	v_pk_fma_f32 v[104:105], v[116:117], v[104:105], v[132:133] neg_lo:[0,0,1] neg_hi:[0,0,1]
	s_wait_loadcnt 0x1
	v_pk_mul_f32 v[112:113], v[120:121], v[108:109] op_sel:[1,1] op_sel_hi:[0,1]
	v_mov_b32_e32 v105, v131
	v_pk_fma_f32 v[114:115], v[118:119], v[106:107], v[128:129] op_sel_hi:[1,0,1]
	v_pk_add_f32 v[100:101], v[100:101], v[102:103]
	v_mov_b32_e32 v102, v111
	v_pk_fma_f32 v[106:107], v[118:119], v[106:107], v[128:129] neg_lo:[0,0,1] neg_hi:[0,0,1]
	v_pk_fma_f32 v[116:117], v[120:121], v[108:109], v[112:113] op_sel_hi:[1,0,1]
	v_mov_b32_e32 v107, v115
	v_pk_add_f32 v[100:101], v[100:101], v[104:105]
	v_pk_mul_f32 v[102:103], v[134:135], v[102:103] op_sel_hi:[1,0]
	v_pk_fma_f32 v[104:105], v[120:121], v[108:109], v[112:113] neg_lo:[0,0,1] neg_hi:[0,0,1]
	v_mov_b32_e32 v105, v117
	s_delay_alu instid0(VALU_DEP_4) | instskip(NEXT) | instid1(VALU_DEP_4)
	v_pk_add_f32 v[100:101], v[100:101], v[106:107]
	v_pk_fma_f32 v[106:107], v[122:123], v[110:111], v[102:103] op_sel_hi:[1,0,1]
	v_pk_fma_f32 v[102:103], v[122:123], v[110:111], v[102:103] neg_lo:[0,0,1] neg_hi:[0,0,1]
	s_delay_alu instid0(VALU_DEP_3) | instskip(NEXT) | instid1(VALU_DEP_3)
	v_pk_add_f32 v[100:101], v[100:101], v[104:105]
	v_mov_b32_e32 v103, v107
	s_delay_alu instid0(VALU_DEP_1) | instskip(SKIP_1) | instid1(VALU_DEP_1)
	v_pk_add_f32 v[100:101], v[100:101], v[102:103]
	s_wait_loadcnt 0x0
	v_pk_add_f32 v[100:101], v[124:125], v[100:101] neg_lo:[0,1] neg_hi:[0,1]
	scratch_store_b64 off, v[100:101], off offset:336
	s_wait_xcnt 0x0
	v_cmpx_lt_u32_e32 41, v0
	s_cbranch_execz .LBB48_225
; %bb.224:
	scratch_load_b64 v[100:101], off, off offset:328
	v_mov_b64_e32 v[102:103], 0
	scratch_store_b64 off, v[102:103], off offset:328
	s_wait_loadcnt 0x0
	ds_store_b64 v1, v[100:101]
.LBB48_225:
	s_wait_xcnt 0x0
	s_or_b32 exec_lo, exec_lo, s0
	s_wait_storecnt_dscnt 0x0
	s_barrier_signal -1
	s_barrier_wait -1
	s_clause 0x4
	scratch_load_b128 v[100:103], off, off offset:336
	scratch_load_b128 v[104:107], off, off offset:352
	;; [unrolled: 1-line block ×3, first 2 shown]
	scratch_load_b64 v[124:125], off, off offset:384
	scratch_load_b64 v[126:127], off, off offset:328
	v_mov_b32_e32 v7, 0
	ds_load_b128 v[112:115], v7 offset:736
	ds_load_b128 v[116:119], v7 offset:752
	;; [unrolled: 1-line block ×3, first 2 shown]
	ds_load_b64 v[128:129], v7 offset:784
	s_mov_b32 s0, exec_lo
	s_wait_dscnt 0x3
	v_dual_mov_b32 v130, v115 :: v_dual_mov_b32 v131, v114
	s_wait_dscnt 0x2
	v_dual_mov_b32 v132, v119 :: v_dual_mov_b32 v133, v118
	;; [unrolled: 2-line block ×3, first 2 shown]
	s_wait_loadcnt 0x4
	v_pk_mul_f32 v[134:135], v[112:113], v[100:101] op_sel:[1,1] op_sel_hi:[0,1]
	v_mov_b32_e32 v136, v103
	s_wait_loadcnt 0x3
	v_pk_mul_f32 v[140:141], v[116:117], v[104:105] op_sel:[1,1] op_sel_hi:[0,1]
	s_wait_loadcnt 0x2
	v_pk_mul_f32 v[144:145], v[120:121], v[108:109] op_sel:[1,1] op_sel_hi:[0,1]
	v_pk_fma_f32 v[142:143], v[112:113], v[100:101], v[134:135] op_sel_hi:[1,0,1]
	v_pk_mul_f32 v[130:131], v[130:131], v[136:137] op_sel_hi:[1,0]
	v_pk_fma_f32 v[100:101], v[112:113], v[100:101], v[134:135] neg_lo:[0,0,1] neg_hi:[0,0,1]
	v_mov_b32_e32 v136, v107
	v_pk_fma_f32 v[134:135], v[116:117], v[104:105], v[140:141] op_sel_hi:[1,0,1]
	v_mov_b32_e32 v101, v143
	v_pk_fma_f32 v[112:113], v[114:115], v[102:103], v[130:131] op_sel_hi:[1,0,1]
	v_pk_fma_f32 v[102:103], v[114:115], v[102:103], v[130:131] neg_lo:[0,0,1] neg_hi:[0,0,1]
	v_pk_mul_f32 v[132:133], v[132:133], v[136:137] op_sel_hi:[1,0]
	v_pk_fma_f32 v[104:105], v[116:117], v[104:105], v[140:141] neg_lo:[0,0,1] neg_hi:[0,0,1]
	v_pk_add_f32 v[100:101], v[100:101], 0 op_sel_hi:[1,0]
	v_dual_mov_b32 v103, v113 :: v_dual_mov_b32 v112, v111
	s_delay_alu instid0(VALU_DEP_4) | instskip(SKIP_2) | instid1(VALU_DEP_4)
	v_pk_fma_f32 v[114:115], v[118:119], v[106:107], v[132:133] op_sel_hi:[1,0,1]
	v_mov_b32_e32 v105, v135
	v_pk_fma_f32 v[106:107], v[118:119], v[106:107], v[132:133] neg_lo:[0,0,1] neg_hi:[0,0,1]
	v_pk_add_f32 v[100:101], v[100:101], v[102:103]
	v_pk_fma_f32 v[102:103], v[120:121], v[108:109], v[144:145] op_sel_hi:[1,0,1]
	v_pk_mul_f32 v[112:113], v[138:139], v[112:113] op_sel_hi:[1,0]
	v_mov_b32_e32 v107, v115
	s_delay_alu instid0(VALU_DEP_4)
	v_pk_add_f32 v[100:101], v[100:101], v[104:105]
	v_pk_fma_f32 v[104:105], v[120:121], v[108:109], v[144:145] neg_lo:[0,0,1] neg_hi:[0,0,1]
	v_mov_b32_e32 v105, v103
	v_pk_fma_f32 v[102:103], v[122:123], v[110:111], v[112:113] op_sel_hi:[1,0,1]
	v_pk_fma_f32 v[108:109], v[122:123], v[110:111], v[112:113] neg_lo:[0,0,1] neg_hi:[0,0,1]
	v_pk_add_f32 v[100:101], v[100:101], v[106:107]
	s_wait_loadcnt_dscnt 0x100
	v_pk_mul_f32 v[106:107], v[128:129], v[124:125] op_sel:[1,1] op_sel_hi:[0,1]
	v_mov_b32_e32 v109, v103
	s_delay_alu instid0(VALU_DEP_3) | instskip(NEXT) | instid1(VALU_DEP_3)
	v_pk_add_f32 v[100:101], v[100:101], v[104:105]
	v_pk_fma_f32 v[102:103], v[128:129], v[124:125], v[106:107] op_sel_hi:[1,0,1]
	v_pk_fma_f32 v[104:105], v[128:129], v[124:125], v[106:107] neg_lo:[0,0,1] neg_hi:[0,0,1]
	s_delay_alu instid0(VALU_DEP_3) | instskip(NEXT) | instid1(VALU_DEP_3)
	v_pk_add_f32 v[100:101], v[100:101], v[108:109]
	v_mov_b32_e32 v105, v103
	s_delay_alu instid0(VALU_DEP_1) | instskip(SKIP_1) | instid1(VALU_DEP_1)
	v_pk_add_f32 v[100:101], v[100:101], v[104:105]
	s_wait_loadcnt 0x0
	v_pk_add_f32 v[100:101], v[126:127], v[100:101] neg_lo:[0,1] neg_hi:[0,1]
	scratch_store_b64 off, v[100:101], off offset:328
	s_wait_xcnt 0x0
	v_cmpx_lt_u32_e32 40, v0
	s_cbranch_execz .LBB48_227
; %bb.226:
	scratch_load_b64 v[100:101], off, off offset:320
	v_mov_b64_e32 v[102:103], 0
	scratch_store_b64 off, v[102:103], off offset:320
	s_wait_loadcnt 0x0
	ds_store_b64 v1, v[100:101]
.LBB48_227:
	s_wait_xcnt 0x0
	s_or_b32 exec_lo, exec_lo, s0
	s_wait_storecnt_dscnt 0x0
	s_barrier_signal -1
	s_barrier_wait -1
	s_clause 0x4
	scratch_load_b128 v[100:103], off, off offset:328
	scratch_load_b128 v[104:107], off, off offset:344
	;; [unrolled: 1-line block ×4, first 2 shown]
	scratch_load_b64 v[132:133], off, off offset:320
	ds_load_2addr_b64 v[116:119], v7 offset0:91 offset1:92
	ds_load_2addr_b64 v[120:123], v7 offset0:93 offset1:94
	;; [unrolled: 1-line block ×4, first 2 shown]
	s_mov_b32 s0, exec_lo
	s_wait_dscnt 0x3
	v_dual_mov_b32 v134, v119 :: v_dual_mov_b32 v135, v118
	s_wait_dscnt 0x2
	v_dual_mov_b32 v136, v123 :: v_dual_mov_b32 v137, v122
	;; [unrolled: 2-line block ×3, first 2 shown]
	v_dual_mov_b32 v139, v126 :: v_dual_mov_b32 v144, v131
	s_wait_loadcnt 0x4
	v_mov_b32_e32 v142, v103
	v_pk_mul_f32 v[140:141], v[116:117], v[100:101] op_sel:[1,1] op_sel_hi:[0,1]
	s_wait_loadcnt 0x3
	v_pk_mul_f32 v[146:147], v[120:121], v[104:105] op_sel:[1,1] op_sel_hi:[0,1]
	s_wait_loadcnt 0x2
	v_pk_mul_f32 v[150:151], v[124:125], v[108:109] op_sel:[1,1] op_sel_hi:[0,1]
	v_pk_mul_f32 v[134:135], v[134:135], v[142:143] op_sel_hi:[1,0]
	v_pk_fma_f32 v[148:149], v[116:117], v[100:101], v[140:141] op_sel_hi:[1,0,1]
	v_pk_fma_f32 v[100:101], v[116:117], v[100:101], v[140:141] neg_lo:[0,0,1] neg_hi:[0,0,1]
	v_mov_b32_e32 v142, v107
	v_pk_fma_f32 v[140:141], v[120:121], v[104:105], v[146:147] op_sel_hi:[1,0,1]
	v_pk_fma_f32 v[116:117], v[118:119], v[102:103], v[134:135] op_sel_hi:[1,0,1]
	v_mov_b32_e32 v101, v149
	v_pk_fma_f32 v[102:103], v[118:119], v[102:103], v[134:135] neg_lo:[0,0,1] neg_hi:[0,0,1]
	v_pk_mul_f32 v[136:137], v[136:137], v[142:143] op_sel_hi:[1,0]
	s_delay_alu instid0(VALU_DEP_4) | instskip(NEXT) | instid1(VALU_DEP_4)
	v_dual_mov_b32 v116, v111 :: v_dual_mov_b32 v103, v117
	v_pk_add_f32 v[100:101], v[100:101], 0 op_sel_hi:[1,0]
	v_pk_fma_f32 v[104:105], v[120:121], v[104:105], v[146:147] neg_lo:[0,0,1] neg_hi:[0,0,1]
	v_mov_b32_e32 v105, v141
	v_pk_fma_f32 v[118:119], v[122:123], v[106:107], v[136:137] op_sel_hi:[1,0,1]
	v_pk_mul_f32 v[116:117], v[138:139], v[116:117] op_sel_hi:[1,0]
	v_pk_add_f32 v[100:101], v[100:101], v[102:103]
	v_pk_fma_f32 v[102:103], v[124:125], v[108:109], v[150:151] op_sel_hi:[1,0,1]
	v_pk_fma_f32 v[106:107], v[122:123], v[106:107], v[136:137] neg_lo:[0,0,1] neg_hi:[0,0,1]
	v_mov_b32_e32 v107, v119
	v_pk_fma_f32 v[108:109], v[124:125], v[108:109], v[150:151] neg_lo:[0,0,1] neg_hi:[0,0,1]
	v_pk_add_f32 v[100:101], v[100:101], v[104:105]
	v_mov_b32_e32 v109, v103
	v_pk_fma_f32 v[102:103], v[126:127], v[110:111], v[116:117] op_sel_hi:[1,0,1]
	s_wait_loadcnt 0x1
	v_pk_mul_f32 v[104:105], v[128:129], v[112:113] op_sel:[1,1] op_sel_hi:[0,1]
	v_mov_b32_e32 v102, v115
	v_pk_add_f32 v[100:101], v[100:101], v[106:107]
	v_pk_fma_f32 v[110:111], v[126:127], v[110:111], v[116:117] neg_lo:[0,0,1] neg_hi:[0,0,1]
	v_mov_b32_e32 v111, v103
	v_pk_fma_f32 v[106:107], v[128:129], v[112:113], v[104:105] op_sel_hi:[1,0,1]
	v_pk_mul_f32 v[102:103], v[144:145], v[102:103] op_sel_hi:[1,0]
	v_pk_add_f32 v[100:101], v[100:101], v[108:109]
	v_pk_fma_f32 v[104:105], v[128:129], v[112:113], v[104:105] neg_lo:[0,0,1] neg_hi:[0,0,1]
	s_delay_alu instid0(VALU_DEP_4) | instskip(NEXT) | instid1(VALU_DEP_4)
	v_mov_b32_e32 v105, v107
	v_pk_fma_f32 v[106:107], v[130:131], v[114:115], v[102:103] op_sel_hi:[1,0,1]
	s_delay_alu instid0(VALU_DEP_4) | instskip(SKIP_1) | instid1(VALU_DEP_3)
	v_pk_add_f32 v[100:101], v[100:101], v[110:111]
	v_pk_fma_f32 v[102:103], v[130:131], v[114:115], v[102:103] neg_lo:[0,0,1] neg_hi:[0,0,1]
	v_mov_b32_e32 v103, v107
	s_delay_alu instid0(VALU_DEP_3) | instskip(NEXT) | instid1(VALU_DEP_1)
	v_pk_add_f32 v[100:101], v[100:101], v[104:105]
	v_pk_add_f32 v[100:101], v[100:101], v[102:103]
	s_wait_loadcnt 0x0
	s_delay_alu instid0(VALU_DEP_1)
	v_pk_add_f32 v[100:101], v[132:133], v[100:101] neg_lo:[0,1] neg_hi:[0,1]
	scratch_store_b64 off, v[100:101], off offset:320
	s_wait_xcnt 0x0
	v_cmpx_lt_u32_e32 39, v0
	s_cbranch_execz .LBB48_229
; %bb.228:
	scratch_load_b64 v[100:101], off, off offset:312
	v_mov_b64_e32 v[102:103], 0
	scratch_store_b64 off, v[102:103], off offset:312
	s_wait_loadcnt 0x0
	ds_store_b64 v1, v[100:101]
.LBB48_229:
	s_wait_xcnt 0x0
	s_or_b32 exec_lo, exec_lo, s0
	s_wait_storecnt_dscnt 0x0
	s_barrier_signal -1
	s_barrier_wait -1
	s_clause 0x5
	scratch_load_b128 v[100:103], off, off offset:320
	scratch_load_b128 v[104:107], off, off offset:336
	;; [unrolled: 1-line block ×4, first 2 shown]
	scratch_load_b64 v[132:133], off, off offset:384
	scratch_load_b64 v[134:135], off, off offset:312
	v_mov_b32_e32 v7, 0
	ds_load_b128 v[116:119], v7 offset:720
	ds_load_b128 v[120:123], v7 offset:736
	;; [unrolled: 1-line block ×4, first 2 shown]
	ds_load_b64 v[136:137], v7 offset:784
	s_mov_b32 s0, exec_lo
	s_wait_dscnt 0x4
	v_dual_mov_b32 v138, v119 :: v_dual_mov_b32 v139, v118
	s_wait_dscnt 0x1
	v_dual_mov_b32 v140, v123 :: v_dual_mov_b32 v145, v130
	v_dual_mov_b32 v141, v122 :: v_dual_mov_b32 v142, v127
	;; [unrolled: 1-line block ×3, first 2 shown]
	s_wait_loadcnt 0x5
	v_dual_mov_b32 v146, v103 :: v_dual_mul_f32 v147, v116, v101
	v_mul_f32_e32 v9, v117, v101
	s_wait_loadcnt 0x4
	v_pk_mul_f32 v[148:149], v[120:121], v[104:105] op_sel:[1,1] op_sel_hi:[0,1]
	v_mov_b32_e32 v150, v107
	s_wait_loadcnt 0x3
	v_pk_mul_f32 v[152:153], v[124:125], v[108:109] op_sel:[1,1] op_sel_hi:[0,1]
	v_pk_mul_f32 v[138:139], v[138:139], v[146:147] op_sel_hi:[1,0]
	v_dual_fmac_f32 v147, v117, v100 :: v_dual_fma_f32 v146, v116, v100, -v9
	v_mov_b32_e32 v100, v111
	v_pk_fma_f32 v[154:155], v[120:121], v[104:105], v[148:149] op_sel_hi:[1,0,1]
	s_delay_alu instid0(VALU_DEP_4)
	v_pk_fma_f32 v[116:117], v[118:119], v[102:103], v[138:139] op_sel_hi:[1,0,1]
	v_pk_fma_f32 v[102:103], v[118:119], v[102:103], v[138:139] neg_lo:[0,0,1] neg_hi:[0,0,1]
	v_pk_mul_f32 v[140:141], v[140:141], v[150:151] op_sel_hi:[1,0]
	v_pk_add_f32 v[146:147], v[146:147], 0 op_sel_hi:[1,0]
	v_pk_fma_f32 v[104:105], v[120:121], v[104:105], v[148:149] neg_lo:[0,0,1] neg_hi:[0,0,1]
	v_dual_mov_b32 v103, v117 :: v_dual_mov_b32 v105, v155
	s_delay_alu instid0(VALU_DEP_4) | instskip(SKIP_2) | instid1(VALU_DEP_4)
	v_pk_fma_f32 v[118:119], v[122:123], v[106:107], v[140:141] op_sel_hi:[1,0,1]
	v_pk_fma_f32 v[106:107], v[122:123], v[106:107], v[140:141] neg_lo:[0,0,1] neg_hi:[0,0,1]
	v_pk_fma_f32 v[120:121], v[124:125], v[108:109], v[152:153] op_sel_hi:[1,0,1]
	v_pk_add_f32 v[102:103], v[146:147], v[102:103]
	v_pk_mul_f32 v[100:101], v[142:143], v[100:101] op_sel_hi:[1,0]
	v_mov_b32_e32 v107, v119
	v_pk_fma_f32 v[108:109], v[124:125], v[108:109], v[152:153] neg_lo:[0,0,1] neg_hi:[0,0,1]
	s_wait_loadcnt 0x2
	v_pk_mul_f32 v[116:117], v[128:129], v[112:113] op_sel:[1,1] op_sel_hi:[0,1]
	v_pk_add_f32 v[102:103], v[102:103], v[104:105]
	v_mov_b32_e32 v104, v115
	v_pk_fma_f32 v[118:119], v[126:127], v[110:111], v[100:101] op_sel_hi:[1,0,1]
	v_mov_b32_e32 v109, v121
	v_pk_fma_f32 v[100:101], v[126:127], v[110:111], v[100:101] neg_lo:[0,0,1] neg_hi:[0,0,1]
	v_pk_add_f32 v[102:103], v[102:103], v[106:107]
	v_pk_fma_f32 v[106:107], v[128:129], v[112:113], v[116:117] op_sel_hi:[1,0,1]
	v_pk_mul_f32 v[104:105], v[144:145], v[104:105] op_sel_hi:[1,0]
	v_mov_b32_e32 v101, v119
	s_delay_alu instid0(VALU_DEP_4)
	v_pk_add_f32 v[102:103], v[102:103], v[108:109]
	v_pk_fma_f32 v[108:109], v[128:129], v[112:113], v[116:117] neg_lo:[0,0,1] neg_hi:[0,0,1]
	v_mov_b32_e32 v109, v107
	v_pk_fma_f32 v[106:107], v[130:131], v[114:115], v[104:105] op_sel_hi:[1,0,1]
	v_pk_fma_f32 v[104:105], v[130:131], v[114:115], v[104:105] neg_lo:[0,0,1] neg_hi:[0,0,1]
	v_pk_add_f32 v[100:101], v[102:103], v[100:101]
	s_wait_loadcnt_dscnt 0x100
	v_pk_mul_f32 v[102:103], v[136:137], v[132:133] op_sel:[1,1] op_sel_hi:[0,1]
	v_mov_b32_e32 v105, v107
	s_delay_alu instid0(VALU_DEP_3) | instskip(NEXT) | instid1(VALU_DEP_3)
	v_pk_add_f32 v[100:101], v[100:101], v[108:109]
	v_pk_fma_f32 v[106:107], v[136:137], v[132:133], v[102:103] op_sel_hi:[1,0,1]
	v_pk_fma_f32 v[102:103], v[136:137], v[132:133], v[102:103] neg_lo:[0,0,1] neg_hi:[0,0,1]
	s_delay_alu instid0(VALU_DEP_3) | instskip(NEXT) | instid1(VALU_DEP_3)
	v_pk_add_f32 v[100:101], v[100:101], v[104:105]
	v_mov_b32_e32 v103, v107
	s_delay_alu instid0(VALU_DEP_1) | instskip(SKIP_1) | instid1(VALU_DEP_1)
	v_pk_add_f32 v[100:101], v[100:101], v[102:103]
	s_wait_loadcnt 0x0
	v_pk_add_f32 v[100:101], v[134:135], v[100:101] neg_lo:[0,1] neg_hi:[0,1]
	scratch_store_b64 off, v[100:101], off offset:312
	s_wait_xcnt 0x0
	v_cmpx_lt_u32_e32 38, v0
	s_cbranch_execz .LBB48_231
; %bb.230:
	scratch_load_b64 v[100:101], off, off offset:304
	v_mov_b64_e32 v[102:103], 0
	scratch_store_b64 off, v[102:103], off offset:304
	s_wait_loadcnt 0x0
	ds_store_b64 v1, v[100:101]
.LBB48_231:
	s_wait_xcnt 0x0
	s_or_b32 exec_lo, exec_lo, s0
	s_wait_storecnt_dscnt 0x0
	s_barrier_signal -1
	s_barrier_wait -1
	s_clause 0x5
	scratch_load_b128 v[100:103], off, off offset:312
	scratch_load_b128 v[104:107], off, off offset:328
	;; [unrolled: 1-line block ×5, first 2 shown]
	scratch_load_b64 v[140:141], off, off offset:304
	ds_load_2addr_b64 v[120:123], v7 offset0:91 offset1:92
	ds_load_2addr_b64 v[124:127], v7 offset0:93 offset1:94
	;; [unrolled: 1-line block ×5, first 2 shown]
	s_mov_b32 s0, exec_lo
	s_wait_dscnt 0x4
	v_dual_mov_b32 v142, v123 :: v_dual_mov_b32 v143, v122
	s_wait_dscnt 0x3
	v_dual_mov_b32 v144, v127 :: v_dual_mov_b32 v145, v126
	;; [unrolled: 2-line block ×4, first 2 shown]
	s_wait_loadcnt_dscnt 0x500
	v_dual_mul_f32 v151, v136, v101 :: v_dual_mul_f32 v153, v138, v103
	v_dual_mul_f32 v7, v137, v101 :: v_dual_mul_f32 v9, v139, v103
	s_wait_loadcnt 0x4
	v_pk_mul_f32 v[154:155], v[120:121], v[104:105] op_sel:[1,1] op_sel_hi:[0,1]
	s_wait_loadcnt 0x3
	v_dual_mov_b32 v156, v107 :: v_dual_mov_b32 v160, v111
	v_dual_fmac_f32 v151, v137, v100 :: v_dual_fmac_f32 v153, v139, v102
	v_dual_fma_f32 v150, v136, v100, -v7 :: v_dual_fma_f32 v152, v138, v102, -v9
	v_pk_fma_f32 v[100:101], v[120:121], v[104:105], v[154:155] op_sel_hi:[1,0,1]
	s_delay_alu instid0(VALU_DEP_4) | instskip(SKIP_1) | instid1(VALU_DEP_4)
	v_pk_mul_f32 v[102:103], v[142:143], v[156:157] op_sel_hi:[1,0]
	v_pk_fma_f32 v[104:105], v[120:121], v[104:105], v[154:155] neg_lo:[0,0,1] neg_hi:[0,0,1]
	v_pk_add_f32 v[136:137], v[150:151], 0 op_sel_hi:[1,0]
	v_pk_mul_f32 v[158:159], v[124:125], v[108:109] op_sel:[1,1] op_sel_hi:[0,1]
	v_mov_b32_e32 v105, v101
	v_pk_fma_f32 v[100:101], v[122:123], v[106:107], v[102:103] op_sel_hi:[1,0,1]
	v_pk_fma_f32 v[102:103], v[122:123], v[106:107], v[102:103] neg_lo:[0,0,1] neg_hi:[0,0,1]
	v_pk_add_f32 v[120:121], v[136:137], v[152:153]
	v_pk_fma_f32 v[136:137], v[124:125], v[108:109], v[158:159] op_sel_hi:[1,0,1]
	v_pk_mul_f32 v[142:143], v[144:145], v[160:161] op_sel_hi:[1,0]
	v_mov_b32_e32 v103, v101
	s_wait_loadcnt 0x2
	v_pk_mul_f32 v[138:139], v[128:129], v[112:113] op_sel:[1,1] op_sel_hi:[0,1]
	v_pk_add_f32 v[100:101], v[120:121], v[104:105]
	v_mov_b32_e32 v104, v115
	v_pk_fma_f32 v[106:107], v[124:125], v[108:109], v[158:159] neg_lo:[0,0,1] neg_hi:[0,0,1]
	v_mov_b32_e32 v107, v137
	v_pk_fma_f32 v[108:109], v[126:127], v[110:111], v[142:143] op_sel_hi:[1,0,1]
	v_pk_add_f32 v[100:101], v[100:101], v[102:103]
	v_pk_fma_f32 v[102:103], v[128:129], v[112:113], v[138:139] op_sel_hi:[1,0,1]
	v_pk_mul_f32 v[104:105], v[146:147], v[104:105] op_sel_hi:[1,0]
	v_pk_fma_f32 v[110:111], v[126:127], v[110:111], v[142:143] neg_lo:[0,0,1] neg_hi:[0,0,1]
	v_mov_b32_e32 v111, v109
	v_pk_add_f32 v[100:101], v[100:101], v[106:107]
	v_pk_fma_f32 v[108:109], v[128:129], v[112:113], v[138:139] neg_lo:[0,0,1] neg_hi:[0,0,1]
	v_mov_b32_e32 v109, v103
	v_pk_fma_f32 v[102:103], v[130:131], v[114:115], v[104:105] op_sel_hi:[1,0,1]
	s_wait_loadcnt 0x1
	v_pk_mul_f32 v[106:107], v[132:133], v[116:117] op_sel:[1,1] op_sel_hi:[0,1]
	v_pk_add_f32 v[100:101], v[100:101], v[110:111]
	v_mov_b32_e32 v102, v119
	v_pk_fma_f32 v[104:105], v[130:131], v[114:115], v[104:105] neg_lo:[0,0,1] neg_hi:[0,0,1]
	v_mov_b32_e32 v105, v103
	v_pk_fma_f32 v[110:111], v[132:133], v[116:117], v[106:107] op_sel_hi:[1,0,1]
	v_pk_add_f32 v[100:101], v[100:101], v[108:109]
	v_pk_mul_f32 v[102:103], v[148:149], v[102:103] op_sel_hi:[1,0]
	v_pk_fma_f32 v[106:107], v[132:133], v[116:117], v[106:107] neg_lo:[0,0,1] neg_hi:[0,0,1]
	s_delay_alu instid0(VALU_DEP_3) | instskip(NEXT) | instid1(VALU_DEP_3)
	v_pk_add_f32 v[100:101], v[100:101], v[104:105]
	v_pk_fma_f32 v[104:105], v[134:135], v[118:119], v[102:103] op_sel_hi:[1,0,1]
	v_mov_b32_e32 v107, v111
	v_pk_fma_f32 v[102:103], v[134:135], v[118:119], v[102:103] neg_lo:[0,0,1] neg_hi:[0,0,1]
	s_delay_alu instid0(VALU_DEP_3) | instskip(NEXT) | instid1(VALU_DEP_3)
	v_mov_b32_e32 v103, v105
	v_pk_add_f32 v[100:101], v[100:101], v[106:107]
	s_delay_alu instid0(VALU_DEP_1) | instskip(SKIP_1) | instid1(VALU_DEP_1)
	v_pk_add_f32 v[100:101], v[100:101], v[102:103]
	s_wait_loadcnt 0x0
	v_pk_add_f32 v[100:101], v[140:141], v[100:101] neg_lo:[0,1] neg_hi:[0,1]
	scratch_store_b64 off, v[100:101], off offset:304
	s_wait_xcnt 0x0
	v_cmpx_lt_u32_e32 37, v0
	s_cbranch_execz .LBB48_233
; %bb.232:
	scratch_load_b64 v[100:101], off, off offset:296
	v_mov_b64_e32 v[102:103], 0
	scratch_store_b64 off, v[102:103], off offset:296
	s_wait_loadcnt 0x0
	ds_store_b64 v1, v[100:101]
.LBB48_233:
	s_wait_xcnt 0x0
	s_or_b32 exec_lo, exec_lo, s0
	s_wait_storecnt_dscnt 0x0
	s_barrier_signal -1
	s_barrier_wait -1
	s_clause 0x6
	scratch_load_b128 v[100:103], off, off offset:304
	scratch_load_b128 v[104:107], off, off offset:320
	;; [unrolled: 1-line block ×5, first 2 shown]
	scratch_load_b64 v[140:141], off, off offset:384
	scratch_load_b64 v[142:143], off, off offset:296
	v_mov_b32_e32 v7, 0
	ds_load_b128 v[120:123], v7 offset:720
	ds_load_b128 v[124:127], v7 offset:736
	;; [unrolled: 1-line block ×5, first 2 shown]
	ds_load_b64 v[144:145], v7 offset:784
	s_mov_b32 s0, exec_lo
	s_wait_dscnt 0x5
	v_dual_mov_b32 v146, v123 :: v_dual_mov_b32 v147, v122
	s_wait_dscnt 0x2
	v_dual_mov_b32 v148, v127 :: v_dual_mov_b32 v153, v134
	v_dual_mov_b32 v149, v126 :: v_dual_mov_b32 v150, v131
	;; [unrolled: 1-line block ×3, first 2 shown]
	s_wait_loadcnt_dscnt 0x601
	v_dual_mul_f32 v9, v136, v101 :: v_dual_mul_f32 v11, v137, v101
	v_dual_mul_f32 v13, v139, v103 :: v_dual_mul_f32 v155, v138, v103
	s_wait_loadcnt 0x5
	v_dual_mul_f32 v157, v120, v105 :: v_dual_mul_f32 v15, v121, v105
	s_wait_loadcnt 0x4
	v_dual_mov_b32 v156, v107 :: v_dual_mov_b32 v160, v111
	v_dual_fmac_f32 v9, v137, v100 :: v_dual_fma_f32 v11, v136, v100, -v11
	v_dual_fma_f32 v154, v138, v102, -v13 :: v_dual_fmac_f32 v155, v139, v102
	s_delay_alu instid0(VALU_DEP_3) | instskip(NEXT) | instid1(VALU_DEP_3)
	v_pk_mul_f32 v[100:101], v[146:147], v[156:157] op_sel_hi:[1,0]
	v_dual_add_f32 v103, 0, v9 :: v_dual_add_f32 v102, 0, v11
	s_wait_loadcnt 0x3
	v_mov_b32_e32 v136, v115
	v_pk_mul_f32 v[158:159], v[124:125], v[108:109] op_sel:[1,1] op_sel_hi:[0,1]
	v_dual_fmac_f32 v157, v121, v104 :: v_dual_fma_f32 v156, v120, v104, -v15
	v_pk_fma_f32 v[104:105], v[122:123], v[106:107], v[100:101] op_sel_hi:[1,0,1]
	v_pk_add_f32 v[102:103], v[102:103], v[154:155]
	v_pk_fma_f32 v[100:101], v[122:123], v[106:107], v[100:101] neg_lo:[0,0,1] neg_hi:[0,0,1]
	v_pk_fma_f32 v[120:121], v[124:125], v[108:109], v[158:159] op_sel_hi:[1,0,1]
	v_pk_mul_f32 v[138:139], v[148:149], v[160:161] op_sel_hi:[1,0]
	v_mov_b32_e32 v101, v105
	v_pk_add_f32 v[102:103], v[102:103], v[156:157]
	v_pk_fma_f32 v[106:107], v[124:125], v[108:109], v[158:159] neg_lo:[0,0,1] neg_hi:[0,0,1]
	v_pk_mul_f32 v[162:163], v[128:129], v[112:113] op_sel:[1,1] op_sel_hi:[0,1]
	v_mov_b32_e32 v107, v121
	v_pk_fma_f32 v[108:109], v[126:127], v[110:111], v[138:139] op_sel_hi:[1,0,1]
	v_pk_add_f32 v[100:101], v[102:103], v[100:101]
	v_pk_fma_f32 v[110:111], v[126:127], v[110:111], v[138:139] neg_lo:[0,0,1] neg_hi:[0,0,1]
	v_pk_fma_f32 v[102:103], v[128:129], v[112:113], v[162:163] op_sel_hi:[1,0,1]
	v_pk_mul_f32 v[120:121], v[150:151], v[136:137] op_sel_hi:[1,0]
	s_wait_loadcnt 0x2
	v_dual_mov_b32 v111, v109 :: v_dual_mov_b32 v102, v119
	v_pk_add_f32 v[100:101], v[100:101], v[106:107]
	v_pk_fma_f32 v[106:107], v[128:129], v[112:113], v[162:163] neg_lo:[0,0,1] neg_hi:[0,0,1]
	v_pk_mul_f32 v[104:105], v[132:133], v[116:117] op_sel:[1,1] op_sel_hi:[0,1]
	v_pk_fma_f32 v[108:109], v[130:131], v[114:115], v[120:121] op_sel_hi:[1,0,1]
	v_mov_b32_e32 v107, v103
	v_pk_add_f32 v[100:101], v[100:101], v[110:111]
	v_pk_fma_f32 v[112:113], v[130:131], v[114:115], v[120:121] neg_lo:[0,0,1] neg_hi:[0,0,1]
	v_pk_fma_f32 v[110:111], v[132:133], v[116:117], v[104:105] op_sel_hi:[1,0,1]
	v_pk_mul_f32 v[102:103], v[152:153], v[102:103] op_sel_hi:[1,0]
	v_mov_b32_e32 v113, v109
	v_pk_add_f32 v[100:101], v[100:101], v[106:107]
	v_pk_fma_f32 v[104:105], v[132:133], v[116:117], v[104:105] neg_lo:[0,0,1] neg_hi:[0,0,1]
	s_wait_loadcnt_dscnt 0x100
	v_pk_mul_f32 v[108:109], v[144:145], v[140:141] op_sel:[1,1] op_sel_hi:[0,1]
	v_pk_fma_f32 v[106:107], v[134:135], v[118:119], v[102:103] op_sel_hi:[1,0,1]
	v_mov_b32_e32 v105, v111
	v_pk_add_f32 v[100:101], v[100:101], v[112:113]
	v_pk_fma_f32 v[102:103], v[134:135], v[118:119], v[102:103] neg_lo:[0,0,1] neg_hi:[0,0,1]
	s_delay_alu instid0(VALU_DEP_4) | instskip(SKIP_1) | instid1(VALU_DEP_4)
	v_mov_b32_e32 v103, v107
	v_pk_fma_f32 v[106:107], v[144:145], v[140:141], v[108:109] neg_lo:[0,0,1] neg_hi:[0,0,1]
	v_pk_add_f32 v[100:101], v[100:101], v[104:105]
	v_pk_fma_f32 v[104:105], v[144:145], v[140:141], v[108:109] op_sel_hi:[1,0,1]
	s_delay_alu instid0(VALU_DEP_2) | instskip(NEXT) | instid1(VALU_DEP_2)
	v_pk_add_f32 v[100:101], v[100:101], v[102:103]
	v_mov_b32_e32 v107, v105
	s_delay_alu instid0(VALU_DEP_1) | instskip(SKIP_1) | instid1(VALU_DEP_1)
	v_pk_add_f32 v[100:101], v[100:101], v[106:107]
	s_wait_loadcnt 0x0
	v_pk_add_f32 v[100:101], v[142:143], v[100:101] neg_lo:[0,1] neg_hi:[0,1]
	scratch_store_b64 off, v[100:101], off offset:296
	s_wait_xcnt 0x0
	v_cmpx_lt_u32_e32 36, v0
	s_cbranch_execz .LBB48_235
; %bb.234:
	scratch_load_b64 v[100:101], off, off offset:288
	v_mov_b64_e32 v[102:103], 0
	scratch_store_b64 off, v[102:103], off offset:288
	s_wait_loadcnt 0x0
	ds_store_b64 v1, v[100:101]
.LBB48_235:
	s_wait_xcnt 0x0
	s_or_b32 exec_lo, exec_lo, s0
	s_wait_storecnt_dscnt 0x0
	s_barrier_signal -1
	s_barrier_wait -1
	s_clause 0x6
	scratch_load_b128 v[100:103], off, off offset:296
	scratch_load_b128 v[104:107], off, off offset:312
	;; [unrolled: 1-line block ×6, first 2 shown]
	scratch_load_b64 v[148:149], off, off offset:288
	ds_load_2addr_b64 v[124:127], v7 offset0:91 offset1:92
	ds_load_2addr_b64 v[128:131], v7 offset0:93 offset1:94
	;; [unrolled: 1-line block ×6, first 2 shown]
	s_mov_b32 s0, exec_lo
	s_wait_dscnt 0x5
	v_dual_mov_b32 v150, v127 :: v_dual_mov_b32 v151, v126
	s_wait_dscnt 0x4
	v_dual_mov_b32 v152, v131 :: v_dual_mov_b32 v153, v130
	;; [unrolled: 2-line block ×4, first 2 shown]
	s_wait_loadcnt_dscnt 0x601
	v_dual_mul_f32 v7, v140, v101 :: v_dual_mul_f32 v9, v142, v103
	v_dual_mul_f32 v11, v141, v101 :: v_dual_mul_f32 v13, v143, v103
	s_wait_loadcnt 0x4
	s_delay_alu instid0(VALU_DEP_2)
	v_dual_mov_b32 v164, v111 :: v_dual_fmac_f32 v7, v141, v100
	s_wait_dscnt 0x0
	v_dual_mul_f32 v159, v144, v105 :: v_dual_mul_f32 v161, v146, v107
	v_dual_fma_f32 v11, v140, v100, -v11 :: v_dual_fmac_f32 v9, v143, v102
	v_dual_mul_f32 v15, v145, v105 :: v_dual_mul_f32 v17, v147, v107
	v_dual_fma_f32 v13, v142, v102, -v13 :: v_dual_add_f32 v7, 0, v7
	s_wait_loadcnt 0x3
	s_delay_alu instid0(VALU_DEP_3) | instskip(SKIP_3) | instid1(VALU_DEP_4)
	v_dual_add_f32 v11, 0, v11 :: v_dual_mov_b32 v102, v115
	v_pk_mul_f32 v[162:163], v[124:125], v[108:109] op_sel:[1,1] op_sel_hi:[0,1]
	v_pk_mul_f32 v[100:101], v[128:129], v[112:113] op_sel:[1,1] op_sel_hi:[0,1]
	v_dual_fmac_f32 v159, v145, v104 :: v_dual_add_f32 v105, v7, v9
	v_dual_fma_f32 v158, v144, v104, -v15 :: v_dual_add_f32 v104, v11, v13
	v_fmac_f32_e32 v161, v147, v106
	v_fma_f32 v160, v146, v106, -v17
	v_pk_fma_f32 v[106:107], v[124:125], v[108:109], v[162:163] op_sel_hi:[1,0,1]
	v_pk_mul_f32 v[140:141], v[150:151], v[164:165] op_sel_hi:[1,0]
	v_pk_add_f32 v[104:105], v[104:105], v[158:159]
	v_pk_fma_f32 v[108:109], v[124:125], v[108:109], v[162:163] neg_lo:[0,0,1] neg_hi:[0,0,1]
	v_pk_fma_f32 v[124:125], v[128:129], v[112:113], v[100:101] op_sel_hi:[1,0,1]
	v_pk_fma_f32 v[100:101], v[128:129], v[112:113], v[100:101] neg_lo:[0,0,1] neg_hi:[0,0,1]
	v_mov_b32_e32 v109, v107
	v_pk_fma_f32 v[106:107], v[126:127], v[110:111], v[140:141] op_sel_hi:[1,0,1]
	v_pk_fma_f32 v[110:111], v[126:127], v[110:111], v[140:141] neg_lo:[0,0,1] neg_hi:[0,0,1]
	v_mov_b32_e32 v101, v125
	v_pk_add_f32 v[104:105], v[104:105], v[160:161]
	v_pk_mul_f32 v[102:103], v[152:153], v[102:103] op_sel_hi:[1,0]
	s_wait_loadcnt 0x2
	v_dual_mov_b32 v111, v107 :: v_dual_mov_b32 v106, v119
	v_pk_mul_f32 v[142:143], v[132:133], v[116:117] op_sel:[1,1] op_sel_hi:[0,1]
	v_pk_add_f32 v[104:105], v[104:105], v[108:109]
	v_pk_fma_f32 v[108:109], v[130:131], v[114:115], v[102:103] op_sel_hi:[1,0,1]
	v_pk_fma_f32 v[102:103], v[130:131], v[114:115], v[102:103] neg_lo:[0,0,1] neg_hi:[0,0,1]
	v_pk_mul_f32 v[106:107], v[154:155], v[106:107] op_sel_hi:[1,0]
	s_delay_alu instid0(VALU_DEP_4) | instskip(SKIP_3) | instid1(VALU_DEP_4)
	v_pk_add_f32 v[104:105], v[104:105], v[110:111]
	v_pk_fma_f32 v[110:111], v[132:133], v[116:117], v[142:143] op_sel_hi:[1,0,1]
	v_mov_b32_e32 v103, v109
	v_pk_fma_f32 v[108:109], v[132:133], v[116:117], v[142:143] neg_lo:[0,0,1] neg_hi:[0,0,1]
	v_pk_add_f32 v[100:101], v[104:105], v[100:101]
	s_wait_loadcnt 0x1
	v_pk_mul_f32 v[104:105], v[136:137], v[120:121] op_sel:[1,1] op_sel_hi:[0,1]
	v_mov_b32_e32 v109, v111
	v_pk_fma_f32 v[110:111], v[134:135], v[118:119], v[106:107] op_sel_hi:[1,0,1]
	v_pk_fma_f32 v[106:107], v[134:135], v[118:119], v[106:107] neg_lo:[0,0,1] neg_hi:[0,0,1]
	v_pk_add_f32 v[100:101], v[100:101], v[102:103]
	v_mov_b32_e32 v102, v123
	v_pk_fma_f32 v[112:113], v[136:137], v[120:121], v[104:105] op_sel_hi:[1,0,1]
	v_mov_b32_e32 v107, v111
	v_pk_fma_f32 v[104:105], v[136:137], v[120:121], v[104:105] neg_lo:[0,0,1] neg_hi:[0,0,1]
	v_pk_add_f32 v[100:101], v[100:101], v[108:109]
	v_pk_mul_f32 v[102:103], v[156:157], v[102:103] op_sel_hi:[1,0]
	s_delay_alu instid0(VALU_DEP_2) | instskip(NEXT) | instid1(VALU_DEP_2)
	v_pk_add_f32 v[100:101], v[100:101], v[106:107]
	v_pk_fma_f32 v[106:107], v[138:139], v[122:123], v[102:103] op_sel_hi:[1,0,1]
	v_mov_b32_e32 v105, v113
	v_pk_fma_f32 v[102:103], v[138:139], v[122:123], v[102:103] neg_lo:[0,0,1] neg_hi:[0,0,1]
	s_delay_alu instid0(VALU_DEP_3) | instskip(NEXT) | instid1(VALU_DEP_3)
	v_mov_b32_e32 v103, v107
	v_pk_add_f32 v[100:101], v[100:101], v[104:105]
	s_delay_alu instid0(VALU_DEP_1) | instskip(SKIP_1) | instid1(VALU_DEP_1)
	v_pk_add_f32 v[100:101], v[100:101], v[102:103]
	s_wait_loadcnt 0x0
	v_pk_add_f32 v[100:101], v[148:149], v[100:101] neg_lo:[0,1] neg_hi:[0,1]
	scratch_store_b64 off, v[100:101], off offset:288
	s_wait_xcnt 0x0
	v_cmpx_lt_u32_e32 35, v0
	s_cbranch_execz .LBB48_237
; %bb.236:
	scratch_load_b64 v[100:101], off, off offset:280
	v_mov_b64_e32 v[102:103], 0
	scratch_store_b64 off, v[102:103], off offset:280
	s_wait_loadcnt 0x0
	ds_store_b64 v1, v[100:101]
.LBB48_237:
	s_wait_xcnt 0x0
	s_or_b32 exec_lo, exec_lo, s0
	s_wait_storecnt_dscnt 0x0
	s_barrier_signal -1
	s_barrier_wait -1
	s_clause 0x7
	scratch_load_b128 v[100:103], off, off offset:288
	scratch_load_b128 v[104:107], off, off offset:304
	scratch_load_b128 v[108:111], off, off offset:320
	scratch_load_b128 v[112:115], off, off offset:336
	scratch_load_b128 v[116:119], off, off offset:352
	scratch_load_b128 v[120:123], off, off offset:368
	scratch_load_b64 v[148:149], off, off offset:384
	scratch_load_b64 v[150:151], off, off offset:280
	v_mov_b32_e32 v7, 0
	ds_load_b128 v[124:127], v7 offset:720
	ds_load_b128 v[128:131], v7 offset:736
	;; [unrolled: 1-line block ×6, first 2 shown]
	ds_load_b64 v[152:153], v7 offset:784
	s_mov_b32 s0, exec_lo
	s_wait_dscnt 0x6
	v_dual_mov_b32 v154, v127 :: v_dual_mov_b32 v155, v126
	s_wait_dscnt 0x3
	v_dual_mov_b32 v156, v131 :: v_dual_mov_b32 v161, v138
	v_dual_mov_b32 v157, v130 :: v_dual_mov_b32 v158, v135
	;; [unrolled: 1-line block ×3, first 2 shown]
	s_wait_loadcnt_dscnt 0x702
	v_dual_mul_f32 v9, v140, v101 :: v_dual_mul_f32 v15, v141, v101
	v_dual_mul_f32 v17, v143, v103 :: v_dual_mul_f32 v11, v142, v103
	s_wait_loadcnt_dscnt 0x601
	s_delay_alu instid0(VALU_DEP_2) | instskip(NEXT) | instid1(VALU_DEP_3)
	v_dual_mul_f32 v13, v144, v105 :: v_dual_fmac_f32 v9, v141, v100
	v_dual_fma_f32 v15, v140, v100, -v15 :: v_dual_mul_f32 v19, v145, v105
	v_mul_f32_e32 v21, v147, v107
	s_wait_loadcnt 0x4
	v_dual_mov_b32 v100, v115 :: v_dual_fma_f32 v17, v142, v102, -v17
	v_dual_fmac_f32 v11, v143, v102 :: v_dual_add_f32 v9, 0, v9
	v_dual_add_f32 v15, 0, v15 :: v_dual_fmac_f32 v13, v145, v104
	v_dual_mul_f32 v163, v146, v107 :: v_dual_mul_f32 v165, v124, v109
	v_dual_mul_f32 v23, v125, v109 :: v_dual_mov_b32 v164, v111
	s_delay_alu instid0(VALU_DEP_4) | instskip(NEXT) | instid1(VALU_DEP_4)
	v_dual_fma_f32 v19, v144, v104, -v19 :: v_dual_add_f32 v9, v9, v11
	v_dual_add_f32 v11, v15, v17 :: v_dual_fma_f32 v162, v146, v106, -v21
	s_delay_alu instid0(VALU_DEP_4) | instskip(NEXT) | instid1(VALU_DEP_4)
	v_fmac_f32_e32 v163, v147, v106
	v_pk_mul_f32 v[104:105], v[154:155], v[164:165] op_sel_hi:[1,0]
	s_delay_alu instid0(VALU_DEP_3)
	v_dual_add_f32 v107, v9, v13 :: v_dual_add_f32 v106, v11, v19
	v_fmac_f32_e32 v165, v125, v108
	v_pk_mul_f32 v[166:167], v[128:129], v[112:113] op_sel:[1,1] op_sel_hi:[0,1]
	s_wait_loadcnt 0x3
	v_dual_mov_b32 v140, v119 :: v_dual_fma_f32 v164, v124, v108, -v23
	v_pk_fma_f32 v[108:109], v[126:127], v[110:111], v[104:105] op_sel_hi:[1,0,1]
	v_pk_add_f32 v[106:107], v[106:107], v[162:163]
	v_pk_fma_f32 v[104:105], v[126:127], v[110:111], v[104:105] neg_lo:[0,0,1] neg_hi:[0,0,1]
	v_pk_fma_f32 v[124:125], v[128:129], v[112:113], v[166:167] op_sel_hi:[1,0,1]
	v_pk_mul_f32 v[100:101], v[156:157], v[100:101] op_sel_hi:[1,0]
	v_mov_b32_e32 v105, v109
	v_pk_add_f32 v[106:107], v[106:107], v[164:165]
	v_pk_fma_f32 v[110:111], v[128:129], v[112:113], v[166:167] neg_lo:[0,0,1] neg_hi:[0,0,1]
	v_pk_mul_f32 v[102:103], v[132:133], v[116:117] op_sel:[1,1] op_sel_hi:[0,1]
	v_mov_b32_e32 v111, v125
	v_pk_fma_f32 v[112:113], v[130:131], v[114:115], v[100:101] op_sel_hi:[1,0,1]
	v_pk_add_f32 v[104:105], v[106:107], v[104:105]
	v_pk_fma_f32 v[100:101], v[130:131], v[114:115], v[100:101] neg_lo:[0,0,1] neg_hi:[0,0,1]
	v_pk_fma_f32 v[106:107], v[132:133], v[116:117], v[102:103] op_sel_hi:[1,0,1]
	v_pk_mul_f32 v[124:125], v[158:159], v[140:141] op_sel_hi:[1,0]
	s_wait_loadcnt 0x2
	v_dual_mov_b32 v101, v113 :: v_dual_mov_b32 v106, v123
	v_pk_add_f32 v[104:105], v[104:105], v[110:111]
	v_pk_fma_f32 v[102:103], v[132:133], v[116:117], v[102:103] neg_lo:[0,0,1] neg_hi:[0,0,1]
	v_pk_mul_f32 v[108:109], v[136:137], v[120:121] op_sel:[1,1] op_sel_hi:[0,1]
	v_pk_fma_f32 v[110:111], v[134:135], v[118:119], v[124:125] op_sel_hi:[1,0,1]
	v_mov_b32_e32 v103, v107
	v_pk_add_f32 v[100:101], v[104:105], v[100:101]
	v_pk_fma_f32 v[112:113], v[134:135], v[118:119], v[124:125] neg_lo:[0,0,1] neg_hi:[0,0,1]
	v_pk_fma_f32 v[104:105], v[136:137], v[120:121], v[108:109] op_sel_hi:[1,0,1]
	v_pk_mul_f32 v[106:107], v[160:161], v[106:107] op_sel_hi:[1,0]
	v_mov_b32_e32 v113, v111
	v_pk_add_f32 v[100:101], v[100:101], v[102:103]
	v_pk_fma_f32 v[102:103], v[136:137], v[120:121], v[108:109] neg_lo:[0,0,1] neg_hi:[0,0,1]
	v_mov_b32_e32 v103, v105
	v_pk_fma_f32 v[104:105], v[138:139], v[122:123], v[106:107] op_sel_hi:[1,0,1]
	s_wait_loadcnt_dscnt 0x100
	v_pk_mul_f32 v[108:109], v[152:153], v[148:149] op_sel:[1,1] op_sel_hi:[0,1]
	v_pk_add_f32 v[100:101], v[100:101], v[112:113]
	v_pk_fma_f32 v[106:107], v[138:139], v[122:123], v[106:107] neg_lo:[0,0,1] neg_hi:[0,0,1]
	v_mov_b32_e32 v107, v105
	s_delay_alu instid0(VALU_DEP_4) | instskip(NEXT) | instid1(VALU_DEP_4)
	v_pk_fma_f32 v[104:105], v[152:153], v[148:149], v[108:109] neg_lo:[0,0,1] neg_hi:[0,0,1]
	v_pk_add_f32 v[100:101], v[100:101], v[102:103]
	v_pk_fma_f32 v[102:103], v[152:153], v[148:149], v[108:109] op_sel_hi:[1,0,1]
	s_delay_alu instid0(VALU_DEP_2) | instskip(NEXT) | instid1(VALU_DEP_2)
	v_pk_add_f32 v[100:101], v[100:101], v[106:107]
	v_mov_b32_e32 v105, v103
	s_delay_alu instid0(VALU_DEP_1) | instskip(SKIP_1) | instid1(VALU_DEP_1)
	v_pk_add_f32 v[100:101], v[100:101], v[104:105]
	s_wait_loadcnt 0x0
	v_pk_add_f32 v[100:101], v[150:151], v[100:101] neg_lo:[0,1] neg_hi:[0,1]
	scratch_store_b64 off, v[100:101], off offset:280
	s_wait_xcnt 0x0
	v_cmpx_lt_u32_e32 34, v0
	s_cbranch_execz .LBB48_239
; %bb.238:
	scratch_load_b64 v[100:101], off, off offset:272
	v_mov_b64_e32 v[102:103], 0
	scratch_store_b64 off, v[102:103], off offset:272
	s_wait_loadcnt 0x0
	ds_store_b64 v1, v[100:101]
.LBB48_239:
	s_wait_xcnt 0x0
	s_or_b32 exec_lo, exec_lo, s0
	s_wait_storecnt_dscnt 0x0
	s_barrier_signal -1
	s_barrier_wait -1
	s_clause 0x7
	scratch_load_b128 v[100:103], off, off offset:280
	scratch_load_b128 v[104:107], off, off offset:296
	;; [unrolled: 1-line block ×7, first 2 shown]
	scratch_load_b64 v[156:157], off, off offset:272
	ds_load_2addr_b64 v[128:131], v7 offset0:91 offset1:92
	ds_load_2addr_b64 v[132:135], v7 offset0:93 offset1:94
	;; [unrolled: 1-line block ×7, first 2 shown]
	s_mov_b32 s0, exec_lo
	s_wait_dscnt 0x6
	v_dual_mov_b32 v158, v131 :: v_dual_mov_b32 v159, v130
	s_wait_dscnt 0x5
	v_dual_mov_b32 v160, v135 :: v_dual_mov_b32 v161, v134
	;; [unrolled: 2-line block ×4, first 2 shown]
	s_wait_loadcnt_dscnt 0x702
	v_dual_mul_f32 v7, v144, v101 :: v_dual_mul_f32 v9, v146, v103
	v_dual_mul_f32 v15, v145, v101 :: v_dual_mul_f32 v17, v147, v103
	s_wait_loadcnt_dscnt 0x601
	v_dual_mul_f32 v11, v148, v105 :: v_dual_mul_f32 v13, v150, v107
	s_delay_alu instid0(VALU_DEP_3) | instskip(NEXT) | instid1(VALU_DEP_3)
	v_dual_fmac_f32 v7, v145, v100 :: v_dual_fmac_f32 v9, v147, v102
	v_dual_fma_f32 v15, v144, v100, -v15 :: v_dual_fma_f32 v17, v146, v102, -v17
	v_dual_mul_f32 v19, v149, v105 :: v_dual_mul_f32 v21, v151, v107
	s_wait_loadcnt 0x4
	s_delay_alu instid0(VALU_DEP_3) | instskip(NEXT) | instid1(VALU_DEP_3)
	v_dual_add_f32 v7, 0, v7 :: v_dual_mov_b32 v102, v115
	v_dual_add_f32 v15, 0, v15 :: v_dual_fmac_f32 v11, v149, v104
	s_delay_alu instid0(VALU_DEP_2) | instskip(SKIP_2) | instid1(VALU_DEP_3)
	v_dual_fma_f32 v19, v148, v104, -v19 :: v_dual_add_f32 v7, v7, v9
	s_wait_dscnt 0x0
	v_dual_mul_f32 v167, v152, v109 :: v_dual_mul_f32 v169, v154, v111
	v_dual_add_f32 v9, v15, v17 :: v_dual_fma_f32 v15, v150, v106, -v21
	v_dual_mul_f32 v23, v153, v109 :: v_dual_mul_f32 v25, v155, v111
	s_delay_alu instid0(VALU_DEP_2) | instskip(NEXT) | instid1(VALU_DEP_4)
	v_dual_fmac_f32 v13, v151, v106 :: v_dual_add_f32 v9, v9, v19
	v_dual_add_f32 v7, v7, v11 :: v_dual_fmac_f32 v167, v153, v108
	v_pk_mul_f32 v[100:101], v[128:129], v[112:113] op_sel:[1,1] op_sel_hi:[0,1]
	s_wait_loadcnt 0x3
	v_pk_mul_f32 v[104:105], v[132:133], v[116:117] op_sel:[1,1] op_sel_hi:[0,1]
	v_dual_mov_b32 v106, v119 :: v_dual_fma_f32 v166, v152, v108, -v23
	v_dual_add_f32 v109, v7, v13 :: v_dual_add_f32 v108, v9, v15
	v_fmac_f32_e32 v169, v155, v110
	v_fma_f32 v168, v154, v110, -v25
	v_pk_fma_f32 v[110:111], v[128:129], v[112:113], v[100:101] op_sel_hi:[1,0,1]
	v_pk_mul_f32 v[102:103], v[158:159], v[102:103] op_sel_hi:[1,0]
	v_pk_add_f32 v[108:109], v[108:109], v[166:167]
	v_pk_fma_f32 v[100:101], v[128:129], v[112:113], v[100:101] neg_lo:[0,0,1] neg_hi:[0,0,1]
	v_pk_fma_f32 v[112:113], v[132:133], v[116:117], v[104:105] op_sel_hi:[1,0,1]
	v_pk_fma_f32 v[104:105], v[132:133], v[116:117], v[104:105] neg_lo:[0,0,1] neg_hi:[0,0,1]
	v_mov_b32_e32 v101, v111
	v_pk_fma_f32 v[110:111], v[130:131], v[114:115], v[102:103] op_sel_hi:[1,0,1]
	v_pk_fma_f32 v[102:103], v[130:131], v[114:115], v[102:103] neg_lo:[0,0,1] neg_hi:[0,0,1]
	v_mov_b32_e32 v105, v113
	v_pk_add_f32 v[108:109], v[108:109], v[168:169]
	v_pk_mul_f32 v[106:107], v[160:161], v[106:107] op_sel_hi:[1,0]
	v_mov_b32_e32 v103, v111
	s_wait_loadcnt 0x2
	v_pk_mul_f32 v[144:145], v[136:137], v[120:121] op_sel:[1,1] op_sel_hi:[0,1]
	v_pk_add_f32 v[100:101], v[108:109], v[100:101]
	v_mov_b32_e32 v108, v123
	v_pk_fma_f32 v[110:111], v[134:135], v[118:119], v[106:107] op_sel_hi:[1,0,1]
	v_pk_fma_f32 v[106:107], v[134:135], v[118:119], v[106:107] neg_lo:[0,0,1] neg_hi:[0,0,1]
	s_delay_alu instid0(VALU_DEP_4)
	v_pk_add_f32 v[100:101], v[100:101], v[102:103]
	v_pk_fma_f32 v[102:103], v[136:137], v[120:121], v[144:145] op_sel_hi:[1,0,1]
	v_pk_mul_f32 v[108:109], v[162:163], v[108:109] op_sel_hi:[1,0]
	v_mov_b32_e32 v107, v111
	v_pk_fma_f32 v[110:111], v[136:137], v[120:121], v[144:145] neg_lo:[0,0,1] neg_hi:[0,0,1]
	v_pk_add_f32 v[100:101], v[100:101], v[104:105]
	v_mov_b32_e32 v111, v103
	v_pk_fma_f32 v[102:103], v[138:139], v[122:123], v[108:109] op_sel_hi:[1,0,1]
	s_wait_loadcnt 0x1
	v_pk_mul_f32 v[104:105], v[140:141], v[124:125] op_sel:[1,1] op_sel_hi:[0,1]
	v_mov_b32_e32 v102, v127
	v_pk_add_f32 v[100:101], v[100:101], v[106:107]
	v_pk_fma_f32 v[108:109], v[138:139], v[122:123], v[108:109] neg_lo:[0,0,1] neg_hi:[0,0,1]
	v_mov_b32_e32 v109, v103
	v_pk_fma_f32 v[106:107], v[140:141], v[124:125], v[104:105] op_sel_hi:[1,0,1]
	v_pk_mul_f32 v[102:103], v[164:165], v[102:103] op_sel_hi:[1,0]
	v_pk_add_f32 v[100:101], v[100:101], v[110:111]
	v_pk_fma_f32 v[104:105], v[140:141], v[124:125], v[104:105] neg_lo:[0,0,1] neg_hi:[0,0,1]
	s_delay_alu instid0(VALU_DEP_4) | instskip(NEXT) | instid1(VALU_DEP_4)
	v_mov_b32_e32 v105, v107
	v_pk_fma_f32 v[106:107], v[142:143], v[126:127], v[102:103] op_sel_hi:[1,0,1]
	s_delay_alu instid0(VALU_DEP_4) | instskip(SKIP_1) | instid1(VALU_DEP_3)
	v_pk_add_f32 v[100:101], v[100:101], v[108:109]
	v_pk_fma_f32 v[102:103], v[142:143], v[126:127], v[102:103] neg_lo:[0,0,1] neg_hi:[0,0,1]
	v_mov_b32_e32 v103, v107
	s_delay_alu instid0(VALU_DEP_3) | instskip(NEXT) | instid1(VALU_DEP_1)
	v_pk_add_f32 v[100:101], v[100:101], v[104:105]
	v_pk_add_f32 v[100:101], v[100:101], v[102:103]
	s_wait_loadcnt 0x0
	s_delay_alu instid0(VALU_DEP_1)
	v_pk_add_f32 v[100:101], v[156:157], v[100:101] neg_lo:[0,1] neg_hi:[0,1]
	scratch_store_b64 off, v[100:101], off offset:272
	s_wait_xcnt 0x0
	v_cmpx_lt_u32_e32 33, v0
	s_cbranch_execz .LBB48_241
; %bb.240:
	scratch_load_b64 v[100:101], off, off offset:264
	v_mov_b64_e32 v[102:103], 0
	scratch_store_b64 off, v[102:103], off offset:264
	s_wait_loadcnt 0x0
	ds_store_b64 v1, v[100:101]
.LBB48_241:
	s_wait_xcnt 0x0
	s_or_b32 exec_lo, exec_lo, s0
	s_wait_storecnt_dscnt 0x0
	s_barrier_signal -1
	s_barrier_wait -1
	s_clause 0x8
	scratch_load_b128 v[100:103], off, off offset:272
	scratch_load_b128 v[104:107], off, off offset:288
	;; [unrolled: 1-line block ×7, first 2 shown]
	scratch_load_b64 v[156:157], off, off offset:384
	scratch_load_b64 v[158:159], off, off offset:264
	v_mov_b32_e32 v7, 0
	ds_load_b128 v[128:131], v7 offset:720
	ds_load_b128 v[132:135], v7 offset:736
	;; [unrolled: 1-line block ×7, first 2 shown]
	ds_load_b64 v[160:161], v7 offset:784
	s_mov_b32 s0, exec_lo
	s_wait_dscnt 0x7
	v_dual_mov_b32 v162, v131 :: v_dual_mov_b32 v163, v130
	s_wait_dscnt 0x4
	v_dual_mov_b32 v164, v135 :: v_dual_mov_b32 v169, v142
	v_dual_mov_b32 v165, v134 :: v_dual_mov_b32 v166, v139
	;; [unrolled: 1-line block ×3, first 2 shown]
	s_wait_loadcnt_dscnt 0x803
	v_dual_mul_f32 v9, v144, v101 :: v_dual_mul_f32 v19, v145, v101
	v_dual_mul_f32 v21, v147, v103 :: v_dual_mul_f32 v11, v146, v103
	s_wait_loadcnt_dscnt 0x702
	v_mul_f32_e32 v13, v148, v105
	s_wait_loadcnt 0x5
	v_dual_mul_f32 v31, v129, v113 :: v_dual_fma_f32 v19, v144, v100, -v19
	v_dual_fmac_f32 v9, v145, v100 :: v_dual_mov_b32 v100, v115
	v_dual_mul_f32 v23, v149, v105 :: v_dual_mul_f32 v25, v151, v107
	v_dual_fmac_f32 v11, v147, v102 :: v_dual_fma_f32 v21, v146, v102, -v21
	s_delay_alu instid0(VALU_DEP_3) | instskip(SKIP_3) | instid1(VALU_DEP_3)
	v_dual_add_f32 v9, 0, v9 :: v_dual_add_f32 v19, 0, v19
	s_wait_dscnt 0x1
	v_dual_mul_f32 v15, v150, v107 :: v_dual_mul_f32 v17, v152, v109
	v_dual_fmac_f32 v13, v149, v104 :: v_dual_fma_f32 v23, v148, v104, -v23
	v_dual_add_f32 v9, v9, v11 :: v_dual_add_f32 v11, v19, v21
	v_dual_mul_f32 v27, v153, v109 :: v_dual_mul_f32 v29, v155, v111
	s_wait_loadcnt 0x4
	v_dual_mov_b32 v104, v119 :: v_dual_fma_f32 v19, v150, v106, -v25
	s_delay_alu instid0(VALU_DEP_3) | instskip(SKIP_2) | instid1(VALU_DEP_3)
	v_dual_fmac_f32 v15, v151, v106 :: v_dual_add_f32 v9, v9, v13
	v_dual_add_f32 v11, v11, v23 :: v_dual_fmac_f32 v17, v153, v108
	v_dual_mul_f32 v171, v154, v111 :: v_dual_mul_f32 v173, v128, v113
	v_dual_fma_f32 v13, v152, v108, -v27 :: v_dual_add_f32 v9, v9, v15
	s_delay_alu instid0(VALU_DEP_3) | instskip(NEXT) | instid1(VALU_DEP_3)
	v_dual_add_f32 v11, v11, v19 :: v_dual_fma_f32 v170, v154, v110, -v29
	v_fmac_f32_e32 v171, v155, v110
	v_pk_mul_f32 v[100:101], v[162:163], v[100:101] op_sel_hi:[1,0]
	s_delay_alu instid0(VALU_DEP_4) | instskip(NEXT) | instid1(VALU_DEP_4)
	v_add_f32_e32 v109, v9, v17
	v_dual_add_f32 v108, v11, v13 :: v_dual_fmac_f32 v173, v129, v112
	v_pk_mul_f32 v[102:103], v[132:133], v[116:117] op_sel:[1,1] op_sel_hi:[0,1]
	s_wait_loadcnt 0x3
	v_dual_mov_b32 v110, v123 :: v_dual_fma_f32 v172, v128, v112, -v31
	v_pk_fma_f32 v[112:113], v[130:131], v[114:115], v[100:101] op_sel_hi:[1,0,1]
	v_pk_add_f32 v[108:109], v[108:109], v[170:171]
	v_pk_fma_f32 v[100:101], v[130:131], v[114:115], v[100:101] neg_lo:[0,0,1] neg_hi:[0,0,1]
	v_pk_fma_f32 v[128:129], v[132:133], v[116:117], v[102:103] op_sel_hi:[1,0,1]
	v_pk_mul_f32 v[104:105], v[164:165], v[104:105] op_sel_hi:[1,0]
	v_mov_b32_e32 v101, v113
	v_pk_add_f32 v[108:109], v[108:109], v[172:173]
	v_pk_fma_f32 v[102:103], v[132:133], v[116:117], v[102:103] neg_lo:[0,0,1] neg_hi:[0,0,1]
	v_pk_mul_f32 v[106:107], v[136:137], v[120:121] op_sel:[1,1] op_sel_hi:[0,1]
	v_mov_b32_e32 v103, v129
	v_pk_fma_f32 v[114:115], v[134:135], v[118:119], v[104:105] op_sel_hi:[1,0,1]
	v_pk_add_f32 v[100:101], v[108:109], v[100:101]
	v_pk_fma_f32 v[104:105], v[134:135], v[118:119], v[104:105] neg_lo:[0,0,1] neg_hi:[0,0,1]
	v_pk_fma_f32 v[108:109], v[136:137], v[120:121], v[106:107] op_sel_hi:[1,0,1]
	v_pk_mul_f32 v[110:111], v[166:167], v[110:111] op_sel_hi:[1,0]
	v_mov_b32_e32 v105, v115
	v_pk_add_f32 v[100:101], v[100:101], v[102:103]
	v_pk_fma_f32 v[106:107], v[136:137], v[120:121], v[106:107] neg_lo:[0,0,1] neg_hi:[0,0,1]
	s_wait_loadcnt 0x2
	v_pk_mul_f32 v[112:113], v[140:141], v[124:125] op_sel:[1,1] op_sel_hi:[0,1]
	v_dual_mov_b32 v102, v127 :: v_dual_mov_b32 v107, v109
	v_pk_fma_f32 v[108:109], v[138:139], v[122:123], v[110:111] op_sel_hi:[1,0,1]
	v_pk_add_f32 v[100:101], v[100:101], v[104:105]
	v_pk_fma_f32 v[110:111], v[138:139], v[122:123], v[110:111] neg_lo:[0,0,1] neg_hi:[0,0,1]
	v_pk_fma_f32 v[104:105], v[140:141], v[124:125], v[112:113] op_sel_hi:[1,0,1]
	v_pk_mul_f32 v[102:103], v[168:169], v[102:103] op_sel_hi:[1,0]
	v_mov_b32_e32 v111, v109
	v_pk_add_f32 v[100:101], v[100:101], v[106:107]
	v_pk_fma_f32 v[106:107], v[140:141], v[124:125], v[112:113] neg_lo:[0,0,1] neg_hi:[0,0,1]
	v_mov_b32_e32 v107, v105
	v_pk_fma_f32 v[104:105], v[142:143], v[126:127], v[102:103] op_sel_hi:[1,0,1]
	s_wait_loadcnt_dscnt 0x100
	v_pk_mul_f32 v[108:109], v[160:161], v[156:157] op_sel:[1,1] op_sel_hi:[0,1]
	v_pk_add_f32 v[100:101], v[100:101], v[110:111]
	v_pk_fma_f32 v[102:103], v[142:143], v[126:127], v[102:103] neg_lo:[0,0,1] neg_hi:[0,0,1]
	v_mov_b32_e32 v103, v105
	s_delay_alu instid0(VALU_DEP_4) | instskip(NEXT) | instid1(VALU_DEP_4)
	v_pk_fma_f32 v[104:105], v[160:161], v[156:157], v[108:109] op_sel_hi:[1,0,1]
	v_pk_add_f32 v[100:101], v[100:101], v[106:107]
	v_pk_fma_f32 v[106:107], v[160:161], v[156:157], v[108:109] neg_lo:[0,0,1] neg_hi:[0,0,1]
	s_delay_alu instid0(VALU_DEP_3) | instskip(NEXT) | instid1(VALU_DEP_3)
	v_mov_b32_e32 v107, v105
	v_pk_add_f32 v[100:101], v[100:101], v[102:103]
	s_delay_alu instid0(VALU_DEP_1) | instskip(SKIP_1) | instid1(VALU_DEP_1)
	v_pk_add_f32 v[100:101], v[100:101], v[106:107]
	s_wait_loadcnt 0x0
	v_pk_add_f32 v[100:101], v[158:159], v[100:101] neg_lo:[0,1] neg_hi:[0,1]
	scratch_store_b64 off, v[100:101], off offset:264
	s_wait_xcnt 0x0
	v_cmpx_lt_u32_e32 32, v0
	s_cbranch_execz .LBB48_243
; %bb.242:
	scratch_load_b64 v[100:101], off, off offset:256
	v_mov_b64_e32 v[102:103], 0
	scratch_store_b64 off, v[102:103], off offset:256
	s_wait_loadcnt 0x0
	ds_store_b64 v1, v[100:101]
.LBB48_243:
	s_wait_xcnt 0x0
	s_or_b32 exec_lo, exec_lo, s0
	s_wait_storecnt_dscnt 0x0
	s_barrier_signal -1
	s_barrier_wait -1
	s_clause 0x8
	scratch_load_b128 v[100:103], off, off offset:264
	scratch_load_b128 v[104:107], off, off offset:280
	;; [unrolled: 1-line block ×8, first 2 shown]
	scratch_load_b64 v[164:165], off, off offset:256
	ds_load_2addr_b64 v[132:135], v7 offset0:91 offset1:92
	ds_load_2addr_b64 v[136:139], v7 offset0:93 offset1:94
	;; [unrolled: 1-line block ×8, first 2 shown]
	s_mov_b32 s0, exec_lo
	s_wait_dscnt 0x7
	v_dual_mov_b32 v166, v135 :: v_dual_mov_b32 v167, v134
	s_wait_dscnt 0x6
	v_dual_mov_b32 v168, v139 :: v_dual_mov_b32 v169, v138
	;; [unrolled: 2-line block ×4, first 2 shown]
	s_wait_loadcnt_dscnt 0x803
	v_dual_mul_f32 v7, v148, v101 :: v_dual_mul_f32 v9, v150, v103
	v_dual_mul_f32 v19, v149, v101 :: v_dual_mul_f32 v21, v151, v103
	s_wait_loadcnt_dscnt 0x702
	v_dual_mul_f32 v11, v152, v105 :: v_dual_mul_f32 v13, v154, v107
	s_delay_alu instid0(VALU_DEP_3) | instskip(SKIP_3) | instid1(VALU_DEP_3)
	v_dual_fmac_f32 v7, v149, v100 :: v_dual_fmac_f32 v9, v151, v102
	s_wait_loadcnt_dscnt 0x500
	v_dual_fma_f32 v19, v148, v100, -v19 :: v_dual_mul_f32 v31, v161, v113
	v_dual_mul_f32 v23, v153, v105 :: v_dual_mul_f32 v25, v155, v107
	v_dual_fma_f32 v21, v150, v102, -v21 :: v_dual_add_f32 v7, 0, v7
	s_delay_alu instid0(VALU_DEP_3) | instskip(SKIP_1) | instid1(VALU_DEP_4)
	v_dual_add_f32 v19, 0, v19 :: v_dual_fmac_f32 v11, v153, v104
	v_dual_mul_f32 v15, v156, v109 :: v_dual_mul_f32 v17, v158, v111
	v_dual_mul_f32 v33, v163, v115 :: v_dual_fma_f32 v23, v152, v104, -v23
	s_delay_alu instid0(VALU_DEP_4) | instskip(NEXT) | instid1(VALU_DEP_3)
	v_add_f32_e32 v7, v7, v9
	v_dual_add_f32 v9, v19, v21 :: v_dual_fmac_f32 v15, v157, v108
	v_dual_mul_f32 v27, v157, v109 :: v_dual_mul_f32 v29, v159, v111
	s_delay_alu instid0(VALU_DEP_2) | instskip(NEXT) | instid1(VALU_DEP_4)
	v_dual_fmac_f32 v13, v155, v106 :: v_dual_add_f32 v9, v9, v23
	v_dual_fma_f32 v19, v154, v106, -v25 :: v_dual_add_f32 v7, v7, v11
	s_wait_loadcnt 0x4
	s_delay_alu instid0(VALU_DEP_3) | instskip(SKIP_1) | instid1(VALU_DEP_3)
	v_dual_fma_f32 v11, v156, v108, -v27 :: v_dual_mov_b32 v102, v119
	v_dual_mul_f32 v175, v160, v113 :: v_dual_mul_f32 v177, v162, v115
	v_dual_add_f32 v7, v7, v13 :: v_dual_fma_f32 v13, v158, v110, -v29
	v_dual_add_f32 v9, v9, v19 :: v_dual_fmac_f32 v17, v159, v110
	v_pk_mul_f32 v[100:101], v[132:133], v[116:117] op_sel:[1,1] op_sel_hi:[0,1]
	s_delay_alu instid0(VALU_DEP_3) | instskip(SKIP_1) | instid1(VALU_DEP_3)
	v_dual_add_f32 v7, v7, v15 :: v_dual_fmac_f32 v175, v161, v112
	s_wait_loadcnt 0x3
	v_dual_add_f32 v9, v9, v11 :: v_dual_mov_b32 v106, v123
	s_delay_alu instid0(VALU_DEP_2) | instskip(NEXT) | instid1(VALU_DEP_2)
	v_dual_fma_f32 v174, v160, v112, -v31 :: v_dual_add_f32 v109, v7, v17
	v_dual_fma_f32 v176, v162, v114, -v33 :: v_dual_add_f32 v108, v9, v13
	v_fmac_f32_e32 v177, v163, v114
	v_pk_fma_f32 v[110:111], v[132:133], v[116:117], v[100:101] op_sel_hi:[1,0,1]
	v_pk_mul_f32 v[102:103], v[166:167], v[102:103] op_sel_hi:[1,0]
	v_pk_fma_f32 v[100:101], v[132:133], v[116:117], v[100:101] neg_lo:[0,0,1] neg_hi:[0,0,1]
	v_pk_add_f32 v[108:109], v[108:109], v[174:175]
	v_pk_mul_f32 v[104:105], v[136:137], v[120:121] op_sel:[1,1] op_sel_hi:[0,1]
	v_mov_b32_e32 v101, v111
	v_pk_fma_f32 v[110:111], v[134:135], v[118:119], v[102:103] op_sel_hi:[1,0,1]
	v_pk_fma_f32 v[102:103], v[134:135], v[118:119], v[102:103] neg_lo:[0,0,1] neg_hi:[0,0,1]
	v_pk_add_f32 v[108:109], v[108:109], v[176:177]
	v_pk_fma_f32 v[114:115], v[136:137], v[120:121], v[104:105] op_sel_hi:[1,0,1]
	v_pk_mul_f32 v[106:107], v[168:169], v[106:107] op_sel_hi:[1,0]
	v_mov_b32_e32 v103, v111
	s_wait_loadcnt 0x2
	v_pk_mul_f32 v[112:113], v[140:141], v[124:125] op_sel:[1,1] op_sel_hi:[0,1]
	v_pk_add_f32 v[100:101], v[108:109], v[100:101]
	v_mov_b32_e32 v108, v127
	v_pk_fma_f32 v[104:105], v[136:137], v[120:121], v[104:105] neg_lo:[0,0,1] neg_hi:[0,0,1]
	v_mov_b32_e32 v105, v115
	v_pk_fma_f32 v[110:111], v[138:139], v[122:123], v[106:107] op_sel_hi:[1,0,1]
	v_pk_add_f32 v[100:101], v[100:101], v[102:103]
	v_pk_fma_f32 v[102:103], v[140:141], v[124:125], v[112:113] op_sel_hi:[1,0,1]
	v_pk_mul_f32 v[108:109], v[170:171], v[108:109] op_sel_hi:[1,0]
	v_pk_fma_f32 v[106:107], v[138:139], v[122:123], v[106:107] neg_lo:[0,0,1] neg_hi:[0,0,1]
	v_mov_b32_e32 v107, v111
	v_pk_add_f32 v[100:101], v[100:101], v[104:105]
	v_pk_fma_f32 v[110:111], v[140:141], v[124:125], v[112:113] neg_lo:[0,0,1] neg_hi:[0,0,1]
	v_mov_b32_e32 v111, v103
	v_pk_fma_f32 v[102:103], v[142:143], v[126:127], v[108:109] op_sel_hi:[1,0,1]
	s_wait_loadcnt 0x1
	v_pk_mul_f32 v[104:105], v[144:145], v[128:129] op_sel:[1,1] op_sel_hi:[0,1]
	v_pk_add_f32 v[100:101], v[100:101], v[106:107]
	v_mov_b32_e32 v102, v131
	v_pk_fma_f32 v[108:109], v[142:143], v[126:127], v[108:109] neg_lo:[0,0,1] neg_hi:[0,0,1]
	v_mov_b32_e32 v109, v103
	v_pk_fma_f32 v[106:107], v[144:145], v[128:129], v[104:105] op_sel_hi:[1,0,1]
	v_pk_add_f32 v[100:101], v[100:101], v[110:111]
	v_pk_mul_f32 v[102:103], v[172:173], v[102:103] op_sel_hi:[1,0]
	v_pk_fma_f32 v[104:105], v[144:145], v[128:129], v[104:105] neg_lo:[0,0,1] neg_hi:[0,0,1]
	s_delay_alu instid0(VALU_DEP_4) | instskip(NEXT) | instid1(VALU_DEP_4)
	v_mov_b32_e32 v105, v107
	v_pk_add_f32 v[100:101], v[100:101], v[108:109]
	s_delay_alu instid0(VALU_DEP_4) | instskip(SKIP_1) | instid1(VALU_DEP_2)
	v_pk_fma_f32 v[106:107], v[146:147], v[130:131], v[102:103] op_sel_hi:[1,0,1]
	v_pk_fma_f32 v[102:103], v[146:147], v[130:131], v[102:103] neg_lo:[0,0,1] neg_hi:[0,0,1]
	v_mov_b32_e32 v103, v107
	s_delay_alu instid0(VALU_DEP_4) | instskip(NEXT) | instid1(VALU_DEP_1)
	v_pk_add_f32 v[100:101], v[100:101], v[104:105]
	v_pk_add_f32 v[100:101], v[100:101], v[102:103]
	s_wait_loadcnt 0x0
	s_delay_alu instid0(VALU_DEP_1)
	v_pk_add_f32 v[100:101], v[164:165], v[100:101] neg_lo:[0,1] neg_hi:[0,1]
	scratch_store_b64 off, v[100:101], off offset:256
	s_wait_xcnt 0x0
	v_cmpx_lt_u32_e32 31, v0
	s_cbranch_execz .LBB48_245
; %bb.244:
	scratch_load_b64 v[100:101], off, off offset:248
	v_mov_b64_e32 v[102:103], 0
	scratch_store_b64 off, v[102:103], off offset:248
	s_wait_loadcnt 0x0
	ds_store_b64 v1, v[100:101]
.LBB48_245:
	s_wait_xcnt 0x0
	s_or_b32 exec_lo, exec_lo, s0
	s_wait_storecnt_dscnt 0x0
	s_barrier_signal -1
	s_barrier_wait -1
	s_clause 0x9
	scratch_load_b128 v[100:103], off, off offset:256
	scratch_load_b128 v[104:107], off, off offset:272
	;; [unrolled: 1-line block ×8, first 2 shown]
	scratch_load_b64 v[164:165], off, off offset:384
	scratch_load_b64 v[166:167], off, off offset:248
	v_mov_b32_e32 v7, 0
	ds_load_b128 v[132:135], v7 offset:720
	ds_load_b128 v[136:139], v7 offset:736
	;; [unrolled: 1-line block ×8, first 2 shown]
	ds_load_b64 v[168:169], v7 offset:784
	s_mov_b32 s0, exec_lo
	s_wait_dscnt 0x8
	v_dual_mov_b32 v170, v135 :: v_dual_mov_b32 v171, v134
	s_wait_dscnt 0x5
	v_dual_mov_b32 v172, v139 :: v_dual_mov_b32 v177, v146
	v_dual_mov_b32 v173, v138 :: v_dual_mov_b32 v174, v143
	;; [unrolled: 1-line block ×3, first 2 shown]
	s_wait_loadcnt_dscnt 0x904
	v_dual_mul_f32 v9, v148, v101 :: v_dual_mul_f32 v23, v149, v101
	v_dual_mul_f32 v25, v151, v103 :: v_dual_mul_f32 v11, v150, v103
	s_wait_loadcnt_dscnt 0x803
	v_mul_f32_e32 v13, v152, v105
	s_wait_loadcnt_dscnt 0x601
	v_dual_mul_f32 v35, v161, v113 :: v_dual_fma_f32 v23, v148, v100, -v23
	v_dual_fmac_f32 v9, v149, v100 :: v_dual_mul_f32 v37, v163, v115
	v_dual_mul_f32 v27, v153, v105 :: v_dual_mul_f32 v29, v155, v107
	v_dual_fmac_f32 v11, v151, v102 :: v_dual_fma_f32 v25, v150, v102, -v25
	s_delay_alu instid0(VALU_DEP_3)
	v_dual_add_f32 v9, 0, v9 :: v_dual_add_f32 v23, 0, v23
	v_dual_mul_f32 v15, v154, v107 :: v_dual_mul_f32 v17, v156, v109
	s_wait_loadcnt 0x5
	v_dual_mul_f32 v39, v133, v117 :: v_dual_fma_f32 v27, v152, v104, -v27
	v_fmac_f32_e32 v13, v153, v104
	v_dual_add_f32 v9, v9, v11 :: v_dual_mov_b32 v100, v119
	v_add_f32_e32 v11, v23, v25
	v_dual_mul_f32 v31, v157, v109 :: v_dual_mul_f32 v33, v159, v111
	v_dual_fmac_f32 v15, v155, v106 :: v_dual_fma_f32 v23, v154, v106, -v29
	s_delay_alu instid0(VALU_DEP_3) | instskip(SKIP_1) | instid1(VALU_DEP_4)
	v_dual_add_f32 v9, v9, v13 :: v_dual_add_f32 v11, v11, v27
	v_dual_mul_f32 v19, v158, v111 :: v_dual_mul_f32 v21, v160, v113
	v_dual_fmac_f32 v17, v157, v108 :: v_dual_fma_f32 v13, v156, v108, -v31
	s_wait_loadcnt 0x4
	s_delay_alu instid0(VALU_DEP_3) | instskip(SKIP_1) | instid1(VALU_DEP_2)
	v_dual_add_f32 v9, v9, v15 :: v_dual_mov_b32 v104, v123
	v_dual_add_f32 v11, v11, v23 :: v_dual_fma_f32 v15, v158, v110, -v33
	v_dual_fmac_f32 v19, v159, v110 :: v_dual_add_f32 v9, v9, v17
	v_dual_mul_f32 v179, v162, v115 :: v_dual_mul_f32 v181, v132, v117
	s_delay_alu instid0(VALU_DEP_3) | instskip(NEXT) | instid1(VALU_DEP_3)
	v_dual_add_f32 v11, v11, v13 :: v_dual_fmac_f32 v21, v161, v112
	v_dual_fma_f32 v13, v160, v112, -v35 :: v_dual_add_f32 v9, v9, v19
	s_delay_alu instid0(VALU_DEP_3) | instskip(NEXT) | instid1(VALU_DEP_3)
	v_fmac_f32_e32 v179, v163, v114
	v_dual_add_f32 v11, v11, v15 :: v_dual_fma_f32 v178, v162, v114, -v37
	v_pk_mul_f32 v[100:101], v[170:171], v[100:101] op_sel_hi:[1,0]
	s_delay_alu instid0(VALU_DEP_4) | instskip(SKIP_1) | instid1(VALU_DEP_4)
	v_add_f32_e32 v109, v9, v21
	v_pk_mul_f32 v[102:103], v[136:137], v[120:121] op_sel:[1,1] op_sel_hi:[0,1]
	v_dual_add_f32 v108, v11, v13 :: v_dual_fmac_f32 v181, v133, v116
	s_wait_loadcnt 0x3
	v_dual_mov_b32 v110, v127 :: v_dual_fma_f32 v180, v132, v116, -v39
	v_pk_fma_f32 v[112:113], v[134:135], v[118:119], v[100:101] op_sel_hi:[1,0,1]
	s_delay_alu instid0(VALU_DEP_3)
	v_pk_add_f32 v[108:109], v[108:109], v[178:179]
	v_pk_fma_f32 v[100:101], v[134:135], v[118:119], v[100:101] neg_lo:[0,0,1] neg_hi:[0,0,1]
	v_pk_fma_f32 v[114:115], v[136:137], v[120:121], v[102:103] op_sel_hi:[1,0,1]
	v_pk_mul_f32 v[104:105], v[172:173], v[104:105] op_sel_hi:[1,0]
	v_mov_b32_e32 v101, v113
	v_pk_add_f32 v[108:109], v[108:109], v[180:181]
	v_pk_fma_f32 v[102:103], v[136:137], v[120:121], v[102:103] neg_lo:[0,0,1] neg_hi:[0,0,1]
	v_pk_mul_f32 v[106:107], v[140:141], v[124:125] op_sel:[1,1] op_sel_hi:[0,1]
	v_mov_b32_e32 v103, v115
	v_pk_fma_f32 v[114:115], v[138:139], v[122:123], v[104:105] op_sel_hi:[1,0,1]
	v_pk_add_f32 v[100:101], v[108:109], v[100:101]
	v_pk_fma_f32 v[104:105], v[138:139], v[122:123], v[104:105] neg_lo:[0,0,1] neg_hi:[0,0,1]
	v_pk_fma_f32 v[108:109], v[140:141], v[124:125], v[106:107] op_sel_hi:[1,0,1]
	v_pk_mul_f32 v[110:111], v[174:175], v[110:111] op_sel_hi:[1,0]
	v_mov_b32_e32 v105, v115
	v_pk_add_f32 v[100:101], v[100:101], v[102:103]
	v_pk_fma_f32 v[106:107], v[140:141], v[124:125], v[106:107] neg_lo:[0,0,1] neg_hi:[0,0,1]
	s_wait_loadcnt 0x2
	v_pk_mul_f32 v[112:113], v[144:145], v[128:129] op_sel:[1,1] op_sel_hi:[0,1]
	v_dual_mov_b32 v102, v131 :: v_dual_mov_b32 v107, v109
	v_pk_fma_f32 v[108:109], v[142:143], v[126:127], v[110:111] op_sel_hi:[1,0,1]
	v_pk_add_f32 v[100:101], v[100:101], v[104:105]
	v_pk_fma_f32 v[110:111], v[142:143], v[126:127], v[110:111] neg_lo:[0,0,1] neg_hi:[0,0,1]
	v_pk_fma_f32 v[104:105], v[144:145], v[128:129], v[112:113] op_sel_hi:[1,0,1]
	v_pk_mul_f32 v[102:103], v[176:177], v[102:103] op_sel_hi:[1,0]
	v_mov_b32_e32 v111, v109
	v_pk_add_f32 v[100:101], v[100:101], v[106:107]
	v_pk_fma_f32 v[106:107], v[144:145], v[128:129], v[112:113] neg_lo:[0,0,1] neg_hi:[0,0,1]
	v_mov_b32_e32 v107, v105
	v_pk_fma_f32 v[104:105], v[146:147], v[130:131], v[102:103] op_sel_hi:[1,0,1]
	s_wait_loadcnt_dscnt 0x100
	v_pk_mul_f32 v[108:109], v[168:169], v[164:165] op_sel:[1,1] op_sel_hi:[0,1]
	v_pk_add_f32 v[100:101], v[100:101], v[110:111]
	v_pk_fma_f32 v[102:103], v[146:147], v[130:131], v[102:103] neg_lo:[0,0,1] neg_hi:[0,0,1]
	v_mov_b32_e32 v103, v105
	s_delay_alu instid0(VALU_DEP_4) | instskip(NEXT) | instid1(VALU_DEP_4)
	v_pk_fma_f32 v[104:105], v[168:169], v[164:165], v[108:109] op_sel_hi:[1,0,1]
	v_pk_add_f32 v[100:101], v[100:101], v[106:107]
	v_pk_fma_f32 v[106:107], v[168:169], v[164:165], v[108:109] neg_lo:[0,0,1] neg_hi:[0,0,1]
	s_delay_alu instid0(VALU_DEP_3) | instskip(NEXT) | instid1(VALU_DEP_3)
	v_mov_b32_e32 v107, v105
	v_pk_add_f32 v[100:101], v[100:101], v[102:103]
	s_delay_alu instid0(VALU_DEP_1) | instskip(SKIP_1) | instid1(VALU_DEP_1)
	v_pk_add_f32 v[100:101], v[100:101], v[106:107]
	s_wait_loadcnt 0x0
	v_pk_add_f32 v[100:101], v[166:167], v[100:101] neg_lo:[0,1] neg_hi:[0,1]
	scratch_store_b64 off, v[100:101], off offset:248
	s_wait_xcnt 0x0
	v_cmpx_lt_u32_e32 30, v0
	s_cbranch_execz .LBB48_247
; %bb.246:
	scratch_load_b64 v[100:101], off, off offset:240
	v_mov_b64_e32 v[102:103], 0
	scratch_store_b64 off, v[102:103], off offset:240
	s_wait_loadcnt 0x0
	ds_store_b64 v1, v[100:101]
.LBB48_247:
	s_wait_xcnt 0x0
	s_or_b32 exec_lo, exec_lo, s0
	s_wait_storecnt_dscnt 0x0
	s_barrier_signal -1
	s_barrier_wait -1
	s_clause 0x9
	scratch_load_b128 v[100:103], off, off offset:248
	scratch_load_b128 v[104:107], off, off offset:264
	;; [unrolled: 1-line block ×9, first 2 shown]
	scratch_load_b64 v[172:173], off, off offset:240
	ds_load_2addr_b64 v[136:139], v7 offset0:91 offset1:92
	ds_load_2addr_b64 v[140:143], v7 offset0:93 offset1:94
	;; [unrolled: 1-line block ×9, first 2 shown]
	s_mov_b32 s0, exec_lo
	s_wait_dscnt 0x8
	v_dual_mov_b32 v174, v139 :: v_dual_mov_b32 v175, v138
	s_wait_dscnt 0x7
	v_dual_mov_b32 v176, v143 :: v_dual_mov_b32 v177, v142
	;; [unrolled: 2-line block ×4, first 2 shown]
	s_wait_loadcnt_dscnt 0x904
	v_dual_mul_f32 v7, v152, v101 :: v_dual_mul_f32 v9, v154, v103
	v_dual_mul_f32 v23, v153, v101 :: v_dual_mul_f32 v25, v155, v103
	s_wait_loadcnt_dscnt 0x803
	v_dual_mul_f32 v11, v156, v105 :: v_dual_mul_f32 v13, v158, v107
	s_delay_alu instid0(VALU_DEP_3) | instskip(SKIP_3) | instid1(VALU_DEP_3)
	v_dual_fmac_f32 v7, v153, v100 :: v_dual_fmac_f32 v9, v155, v102
	s_wait_loadcnt_dscnt 0x601
	v_dual_fma_f32 v23, v152, v100, -v23 :: v_dual_mul_f32 v35, v165, v113
	v_dual_mul_f32 v27, v157, v105 :: v_dual_mul_f32 v29, v159, v107
	v_dual_fma_f32 v25, v154, v102, -v25 :: v_dual_add_f32 v7, 0, v7
	s_delay_alu instid0(VALU_DEP_3) | instskip(SKIP_1) | instid1(VALU_DEP_4)
	v_dual_add_f32 v23, 0, v23 :: v_dual_fmac_f32 v11, v157, v104
	v_dual_mul_f32 v15, v160, v109 :: v_dual_mul_f32 v17, v162, v111
	v_dual_mul_f32 v37, v167, v115 :: v_dual_fma_f32 v27, v156, v104, -v27
	s_delay_alu instid0(VALU_DEP_4) | instskip(NEXT) | instid1(VALU_DEP_3)
	v_add_f32_e32 v7, v7, v9
	v_dual_add_f32 v9, v23, v25 :: v_dual_fmac_f32 v15, v161, v108
	v_dual_mul_f32 v31, v161, v109 :: v_dual_mul_f32 v33, v163, v111
	s_wait_loadcnt_dscnt 0x500
	v_dual_mul_f32 v23, v169, v117 :: v_dual_fmac_f32 v13, v159, v106
	v_dual_fma_f32 v25, v158, v106, -v29 :: v_dual_add_f32 v7, v7, v11
	s_delay_alu instid0(VALU_DEP_3) | instskip(SKIP_1) | instid1(VALU_DEP_3)
	v_dual_add_f32 v9, v9, v27 :: v_dual_fma_f32 v27, v160, v108, -v31
	v_dual_mul_f32 v19, v164, v113 :: v_dual_mul_f32 v21, v166, v115
	v_add_f32_e32 v7, v7, v13
	s_delay_alu instid0(VALU_DEP_3) | instskip(SKIP_1) | instid1(VALU_DEP_3)
	v_dual_mul_f32 v11, v171, v119 :: v_dual_add_f32 v9, v9, v25
	v_fmac_f32_e32 v17, v163, v110
	v_dual_fma_f32 v13, v162, v110, -v33 :: v_dual_add_f32 v7, v7, v15
	s_wait_loadcnt 0x4
	v_dual_mov_b32 v102, v123 :: v_dual_fmac_f32 v19, v165, v112
	v_dual_add_f32 v9, v9, v27 :: v_dual_fma_f32 v15, v164, v112, -v35
	s_delay_alu instid0(VALU_DEP_3) | instskip(SKIP_1) | instid1(VALU_DEP_3)
	v_add_f32_e32 v7, v7, v17
	v_dual_mul_f32 v183, v168, v117 :: v_dual_mul_f32 v185, v170, v119
	v_dual_add_f32 v9, v9, v13 :: v_dual_fmac_f32 v21, v167, v114
	s_delay_alu instid0(VALU_DEP_3) | instskip(SKIP_2) | instid1(VALU_DEP_3)
	v_dual_fma_f32 v13, v166, v114, -v37 :: v_dual_add_f32 v7, v7, v19
	v_pk_mul_f32 v[100:101], v[136:137], v[120:121] op_sel:[1,1] op_sel_hi:[0,1]
	s_wait_loadcnt 0x3
	v_dual_add_f32 v9, v9, v15 :: v_dual_mov_b32 v106, v127
	s_delay_alu instid0(VALU_DEP_3) | instskip(NEXT) | instid1(VALU_DEP_2)
	v_dual_fmac_f32 v183, v169, v116 :: v_dual_add_f32 v109, v7, v21
	v_dual_fma_f32 v182, v168, v116, -v23 :: v_dual_add_f32 v108, v9, v13
	v_dual_fmac_f32 v185, v171, v118 :: v_dual_fma_f32 v184, v170, v118, -v11
	v_pk_fma_f32 v[110:111], v[136:137], v[120:121], v[100:101] op_sel_hi:[1,0,1]
	v_pk_mul_f32 v[102:103], v[174:175], v[102:103] op_sel_hi:[1,0]
	s_delay_alu instid0(VALU_DEP_4)
	v_pk_add_f32 v[108:109], v[108:109], v[182:183]
	v_pk_fma_f32 v[100:101], v[136:137], v[120:121], v[100:101] neg_lo:[0,0,1] neg_hi:[0,0,1]
	v_pk_mul_f32 v[104:105], v[140:141], v[124:125] op_sel:[1,1] op_sel_hi:[0,1]
	v_mov_b32_e32 v101, v111
	v_pk_fma_f32 v[110:111], v[138:139], v[122:123], v[102:103] op_sel_hi:[1,0,1]
	v_pk_add_f32 v[108:109], v[108:109], v[184:185]
	v_pk_fma_f32 v[102:103], v[138:139], v[122:123], v[102:103] neg_lo:[0,0,1] neg_hi:[0,0,1]
	v_pk_fma_f32 v[114:115], v[140:141], v[124:125], v[104:105] op_sel_hi:[1,0,1]
	v_pk_mul_f32 v[106:107], v[176:177], v[106:107] op_sel_hi:[1,0]
	v_mov_b32_e32 v103, v111
	v_pk_add_f32 v[100:101], v[108:109], v[100:101]
	s_wait_loadcnt 0x2
	v_pk_mul_f32 v[112:113], v[144:145], v[128:129] op_sel:[1,1] op_sel_hi:[0,1]
	v_mov_b32_e32 v108, v131
	v_pk_fma_f32 v[104:105], v[140:141], v[124:125], v[104:105] neg_lo:[0,0,1] neg_hi:[0,0,1]
	v_mov_b32_e32 v105, v115
	v_pk_fma_f32 v[110:111], v[142:143], v[126:127], v[106:107] op_sel_hi:[1,0,1]
	v_pk_add_f32 v[100:101], v[100:101], v[102:103]
	v_pk_fma_f32 v[102:103], v[144:145], v[128:129], v[112:113] op_sel_hi:[1,0,1]
	v_pk_mul_f32 v[108:109], v[178:179], v[108:109] op_sel_hi:[1,0]
	v_pk_fma_f32 v[106:107], v[142:143], v[126:127], v[106:107] neg_lo:[0,0,1] neg_hi:[0,0,1]
	v_mov_b32_e32 v107, v111
	v_pk_add_f32 v[100:101], v[100:101], v[104:105]
	v_pk_fma_f32 v[110:111], v[144:145], v[128:129], v[112:113] neg_lo:[0,0,1] neg_hi:[0,0,1]
	v_mov_b32_e32 v111, v103
	v_pk_fma_f32 v[102:103], v[146:147], v[130:131], v[108:109] op_sel_hi:[1,0,1]
	s_wait_loadcnt 0x1
	v_pk_mul_f32 v[104:105], v[148:149], v[132:133] op_sel:[1,1] op_sel_hi:[0,1]
	v_pk_add_f32 v[100:101], v[100:101], v[106:107]
	v_mov_b32_e32 v102, v135
	v_pk_fma_f32 v[108:109], v[146:147], v[130:131], v[108:109] neg_lo:[0,0,1] neg_hi:[0,0,1]
	v_mov_b32_e32 v109, v103
	v_pk_fma_f32 v[106:107], v[148:149], v[132:133], v[104:105] op_sel_hi:[1,0,1]
	v_pk_add_f32 v[100:101], v[100:101], v[110:111]
	v_pk_mul_f32 v[102:103], v[180:181], v[102:103] op_sel_hi:[1,0]
	v_pk_fma_f32 v[104:105], v[148:149], v[132:133], v[104:105] neg_lo:[0,0,1] neg_hi:[0,0,1]
	s_delay_alu instid0(VALU_DEP_4) | instskip(NEXT) | instid1(VALU_DEP_4)
	v_mov_b32_e32 v105, v107
	v_pk_add_f32 v[100:101], v[100:101], v[108:109]
	s_delay_alu instid0(VALU_DEP_4) | instskip(SKIP_1) | instid1(VALU_DEP_2)
	v_pk_fma_f32 v[106:107], v[150:151], v[134:135], v[102:103] op_sel_hi:[1,0,1]
	v_pk_fma_f32 v[102:103], v[150:151], v[134:135], v[102:103] neg_lo:[0,0,1] neg_hi:[0,0,1]
	v_mov_b32_e32 v103, v107
	s_delay_alu instid0(VALU_DEP_4) | instskip(NEXT) | instid1(VALU_DEP_1)
	v_pk_add_f32 v[100:101], v[100:101], v[104:105]
	v_pk_add_f32 v[100:101], v[100:101], v[102:103]
	s_wait_loadcnt 0x0
	s_delay_alu instid0(VALU_DEP_1)
	v_pk_add_f32 v[100:101], v[172:173], v[100:101] neg_lo:[0,1] neg_hi:[0,1]
	scratch_store_b64 off, v[100:101], off offset:240
	s_wait_xcnt 0x0
	v_cmpx_lt_u32_e32 29, v0
	s_cbranch_execz .LBB48_249
; %bb.248:
	scratch_load_b64 v[100:101], off, off offset:232
	v_mov_b64_e32 v[102:103], 0
	scratch_store_b64 off, v[102:103], off offset:232
	s_wait_loadcnt 0x0
	ds_store_b64 v1, v[100:101]
.LBB48_249:
	s_wait_xcnt 0x0
	s_or_b32 exec_lo, exec_lo, s0
	s_wait_storecnt_dscnt 0x0
	s_barrier_signal -1
	s_barrier_wait -1
	s_clause 0xa
	scratch_load_b128 v[100:103], off, off offset:240
	scratch_load_b128 v[104:107], off, off offset:256
	;; [unrolled: 1-line block ×9, first 2 shown]
	scratch_load_b64 v[172:173], off, off offset:384
	scratch_load_b64 v[174:175], off, off offset:232
	v_mov_b32_e32 v7, 0
	ds_load_b128 v[136:139], v7 offset:720
	ds_load_b128 v[140:143], v7 offset:736
	;; [unrolled: 1-line block ×9, first 2 shown]
	ds_load_b64 v[176:177], v7 offset:784
	s_mov_b32 s0, exec_lo
	s_wait_dscnt 0x9
	v_dual_mov_b32 v178, v139 :: v_dual_mov_b32 v179, v138
	s_wait_dscnt 0x6
	v_dual_mov_b32 v180, v143 :: v_dual_mov_b32 v185, v150
	v_dual_mov_b32 v181, v142 :: v_dual_mov_b32 v182, v147
	;; [unrolled: 1-line block ×3, first 2 shown]
	s_wait_loadcnt_dscnt 0xa05
	v_dual_mul_f32 v9, v152, v101 :: v_dual_mul_f32 v27, v153, v101
	v_dual_mul_f32 v29, v155, v103 :: v_dual_mul_f32 v11, v154, v103
	s_wait_loadcnt_dscnt 0x904
	v_mul_f32_e32 v13, v156, v105
	s_wait_loadcnt_dscnt 0x702
	v_dual_mul_f32 v39, v165, v113 :: v_dual_fma_f32 v27, v152, v100, -v27
	v_dual_fmac_f32 v9, v153, v100 :: v_dual_mul_f32 v41, v167, v115
	v_dual_mul_f32 v31, v157, v105 :: v_dual_mul_f32 v33, v159, v107
	v_dual_fmac_f32 v11, v155, v102 :: v_dual_fma_f32 v29, v154, v102, -v29
	s_delay_alu instid0(VALU_DEP_3) | instskip(SKIP_4) | instid1(VALU_DEP_3)
	v_dual_add_f32 v9, 0, v9 :: v_dual_add_f32 v27, 0, v27
	v_dual_mul_f32 v15, v158, v107 :: v_dual_mul_f32 v17, v160, v109
	s_wait_loadcnt_dscnt 0x601
	v_dual_mul_f32 v43, v169, v117 :: v_dual_fma_f32 v31, v156, v104, -v31
	v_fmac_f32_e32 v13, v157, v104
	v_dual_add_f32 v9, v9, v11 :: v_dual_fmac_f32 v15, v159, v106
	v_add_f32_e32 v11, v27, v29
	v_dual_mul_f32 v35, v161, v109 :: v_dual_mul_f32 v37, v163, v111
	v_dual_mul_f32 v27, v171, v119 :: v_dual_fma_f32 v29, v158, v106, -v33
	s_delay_alu instid0(VALU_DEP_3) | instskip(SKIP_3) | instid1(VALU_DEP_3)
	v_dual_add_f32 v9, v9, v13 :: v_dual_add_f32 v11, v11, v31
	v_dual_mul_f32 v19, v162, v111 :: v_dual_mul_f32 v21, v164, v113
	s_wait_loadcnt 0x5
	v_dual_mul_f32 v13, v137, v121 :: v_dual_fma_f32 v31, v160, v108, -v35
	v_dual_fmac_f32 v17, v161, v108 :: v_dual_add_f32 v11, v11, v29
	v_dual_add_f32 v9, v9, v15 :: v_dual_mov_b32 v100, v123
	v_dual_fmac_f32 v19, v163, v110 :: v_dual_fma_f32 v15, v162, v110, -v37
	s_delay_alu instid0(VALU_DEP_2) | instskip(SKIP_3) | instid1(VALU_DEP_3)
	v_dual_add_f32 v11, v11, v31 :: v_dual_add_f32 v9, v9, v17
	v_dual_mul_f32 v23, v166, v115 :: v_dual_mul_f32 v25, v168, v117
	v_dual_fmac_f32 v21, v165, v112 :: v_dual_fma_f32 v17, v164, v112, -v39
	s_wait_loadcnt 0x4
	v_dual_add_f32 v9, v9, v19 :: v_dual_mov_b32 v104, v127
	v_dual_add_f32 v11, v11, v15 :: v_dual_fma_f32 v15, v166, v114, -v41
	s_delay_alu instid0(VALU_DEP_2) | instskip(SKIP_1) | instid1(VALU_DEP_3)
	v_dual_fmac_f32 v23, v167, v114 :: v_dual_add_f32 v9, v9, v21
	v_dual_mul_f32 v187, v170, v119 :: v_dual_mul_f32 v189, v136, v121
	v_dual_add_f32 v11, v11, v17 :: v_dual_fmac_f32 v25, v169, v116
	s_delay_alu instid0(VALU_DEP_3) | instskip(NEXT) | instid1(VALU_DEP_3)
	v_dual_fma_f32 v17, v168, v116, -v43 :: v_dual_add_f32 v9, v9, v23
	v_fmac_f32_e32 v187, v171, v118
	s_delay_alu instid0(VALU_DEP_3) | instskip(SKIP_1) | instid1(VALU_DEP_4)
	v_dual_add_f32 v11, v11, v15 :: v_dual_fma_f32 v186, v170, v118, -v27
	v_pk_mul_f32 v[100:101], v[178:179], v[100:101] op_sel_hi:[1,0]
	v_add_f32_e32 v109, v9, v25
	v_pk_mul_f32 v[102:103], v[140:141], v[124:125] op_sel:[1,1] op_sel_hi:[0,1]
	s_delay_alu instid0(VALU_DEP_4) | instskip(SKIP_3) | instid1(VALU_DEP_3)
	v_dual_add_f32 v108, v11, v17 :: v_dual_fmac_f32 v189, v137, v120
	s_wait_loadcnt 0x3
	v_dual_mov_b32 v110, v131 :: v_dual_fma_f32 v188, v136, v120, -v13
	v_pk_fma_f32 v[112:113], v[138:139], v[122:123], v[100:101] op_sel_hi:[1,0,1]
	v_pk_add_f32 v[108:109], v[108:109], v[186:187]
	v_pk_fma_f32 v[100:101], v[138:139], v[122:123], v[100:101] neg_lo:[0,0,1] neg_hi:[0,0,1]
	v_pk_fma_f32 v[114:115], v[140:141], v[124:125], v[102:103] op_sel_hi:[1,0,1]
	v_pk_mul_f32 v[104:105], v[180:181], v[104:105] op_sel_hi:[1,0]
	v_mov_b32_e32 v101, v113
	v_pk_add_f32 v[108:109], v[108:109], v[188:189]
	v_pk_fma_f32 v[102:103], v[140:141], v[124:125], v[102:103] neg_lo:[0,0,1] neg_hi:[0,0,1]
	v_pk_mul_f32 v[106:107], v[144:145], v[128:129] op_sel:[1,1] op_sel_hi:[0,1]
	v_mov_b32_e32 v103, v115
	v_pk_fma_f32 v[114:115], v[142:143], v[126:127], v[104:105] op_sel_hi:[1,0,1]
	v_pk_add_f32 v[100:101], v[108:109], v[100:101]
	v_pk_fma_f32 v[104:105], v[142:143], v[126:127], v[104:105] neg_lo:[0,0,1] neg_hi:[0,0,1]
	v_pk_fma_f32 v[108:109], v[144:145], v[128:129], v[106:107] op_sel_hi:[1,0,1]
	v_pk_mul_f32 v[110:111], v[182:183], v[110:111] op_sel_hi:[1,0]
	v_mov_b32_e32 v105, v115
	v_pk_add_f32 v[100:101], v[100:101], v[102:103]
	v_pk_fma_f32 v[106:107], v[144:145], v[128:129], v[106:107] neg_lo:[0,0,1] neg_hi:[0,0,1]
	s_wait_loadcnt 0x2
	v_pk_mul_f32 v[112:113], v[148:149], v[132:133] op_sel:[1,1] op_sel_hi:[0,1]
	v_dual_mov_b32 v102, v135 :: v_dual_mov_b32 v107, v109
	v_pk_fma_f32 v[108:109], v[146:147], v[130:131], v[110:111] op_sel_hi:[1,0,1]
	v_pk_add_f32 v[100:101], v[100:101], v[104:105]
	v_pk_fma_f32 v[110:111], v[146:147], v[130:131], v[110:111] neg_lo:[0,0,1] neg_hi:[0,0,1]
	v_pk_fma_f32 v[104:105], v[148:149], v[132:133], v[112:113] op_sel_hi:[1,0,1]
	v_pk_mul_f32 v[102:103], v[184:185], v[102:103] op_sel_hi:[1,0]
	v_mov_b32_e32 v111, v109
	v_pk_add_f32 v[100:101], v[100:101], v[106:107]
	v_pk_fma_f32 v[106:107], v[148:149], v[132:133], v[112:113] neg_lo:[0,0,1] neg_hi:[0,0,1]
	v_mov_b32_e32 v107, v105
	v_pk_fma_f32 v[104:105], v[150:151], v[134:135], v[102:103] op_sel_hi:[1,0,1]
	s_wait_loadcnt_dscnt 0x100
	v_pk_mul_f32 v[108:109], v[176:177], v[172:173] op_sel:[1,1] op_sel_hi:[0,1]
	v_pk_add_f32 v[100:101], v[100:101], v[110:111]
	v_pk_fma_f32 v[102:103], v[150:151], v[134:135], v[102:103] neg_lo:[0,0,1] neg_hi:[0,0,1]
	v_mov_b32_e32 v103, v105
	s_delay_alu instid0(VALU_DEP_4) | instskip(NEXT) | instid1(VALU_DEP_4)
	v_pk_fma_f32 v[104:105], v[176:177], v[172:173], v[108:109] op_sel_hi:[1,0,1]
	v_pk_add_f32 v[100:101], v[100:101], v[106:107]
	v_pk_fma_f32 v[106:107], v[176:177], v[172:173], v[108:109] neg_lo:[0,0,1] neg_hi:[0,0,1]
	s_delay_alu instid0(VALU_DEP_3) | instskip(NEXT) | instid1(VALU_DEP_3)
	v_mov_b32_e32 v107, v105
	v_pk_add_f32 v[100:101], v[100:101], v[102:103]
	s_delay_alu instid0(VALU_DEP_1) | instskip(SKIP_1) | instid1(VALU_DEP_1)
	v_pk_add_f32 v[100:101], v[100:101], v[106:107]
	s_wait_loadcnt 0x0
	v_pk_add_f32 v[100:101], v[174:175], v[100:101] neg_lo:[0,1] neg_hi:[0,1]
	scratch_store_b64 off, v[100:101], off offset:232
	s_wait_xcnt 0x0
	v_cmpx_lt_u32_e32 28, v0
	s_cbranch_execz .LBB48_251
; %bb.250:
	scratch_load_b64 v[100:101], off, off offset:224
	v_mov_b64_e32 v[102:103], 0
	scratch_store_b64 off, v[102:103], off offset:224
	s_wait_loadcnt 0x0
	ds_store_b64 v1, v[100:101]
.LBB48_251:
	s_wait_xcnt 0x0
	s_or_b32 exec_lo, exec_lo, s0
	s_wait_storecnt_dscnt 0x0
	s_barrier_signal -1
	s_barrier_wait -1
	s_clause 0xa
	scratch_load_b128 v[100:103], off, off offset:232
	scratch_load_b128 v[104:107], off, off offset:248
	;; [unrolled: 1-line block ×10, first 2 shown]
	scratch_load_b64 v[180:181], off, off offset:224
	ds_load_2addr_b64 v[140:143], v7 offset0:91 offset1:92
	ds_load_2addr_b64 v[144:147], v7 offset0:93 offset1:94
	;; [unrolled: 1-line block ×10, first 2 shown]
	s_mov_b32 s0, exec_lo
	s_wait_dscnt 0x9
	v_dual_mov_b32 v182, v143 :: v_dual_mov_b32 v183, v142
	s_wait_dscnt 0x8
	v_dual_mov_b32 v184, v147 :: v_dual_mov_b32 v185, v146
	;; [unrolled: 2-line block ×4, first 2 shown]
	s_wait_loadcnt_dscnt 0xa05
	v_dual_mul_f32 v7, v156, v101 :: v_dual_mul_f32 v9, v158, v103
	v_dual_mul_f32 v27, v157, v101 :: v_dual_mul_f32 v29, v159, v103
	s_wait_loadcnt_dscnt 0x904
	v_dual_mul_f32 v11, v160, v105 :: v_dual_mul_f32 v13, v162, v107
	s_delay_alu instid0(VALU_DEP_3) | instskip(SKIP_3) | instid1(VALU_DEP_3)
	v_dual_fmac_f32 v7, v157, v100 :: v_dual_fmac_f32 v9, v159, v102
	s_wait_loadcnt_dscnt 0x702
	v_dual_fma_f32 v27, v156, v100, -v27 :: v_dual_mul_f32 v39, v169, v113
	v_dual_mul_f32 v31, v161, v105 :: v_dual_mul_f32 v33, v163, v107
	v_dual_fma_f32 v29, v158, v102, -v29 :: v_dual_add_f32 v7, 0, v7
	s_delay_alu instid0(VALU_DEP_3) | instskip(SKIP_1) | instid1(VALU_DEP_4)
	v_dual_add_f32 v27, 0, v27 :: v_dual_fmac_f32 v11, v161, v104
	v_dual_mul_f32 v15, v164, v109 :: v_dual_mul_f32 v17, v166, v111
	v_dual_mul_f32 v41, v171, v115 :: v_dual_fma_f32 v31, v160, v104, -v31
	s_delay_alu instid0(VALU_DEP_4) | instskip(NEXT) | instid1(VALU_DEP_3)
	v_add_f32_e32 v7, v7, v9
	v_dual_add_f32 v9, v27, v29 :: v_dual_fmac_f32 v15, v165, v108
	v_dual_mul_f32 v35, v165, v109 :: v_dual_mul_f32 v37, v167, v111
	s_wait_loadcnt_dscnt 0x601
	v_dual_mul_f32 v27, v173, v117 :: v_dual_fmac_f32 v13, v163, v106
	v_dual_fma_f32 v29, v162, v106, -v33 :: v_dual_add_f32 v7, v7, v11
	s_delay_alu instid0(VALU_DEP_3) | instskip(SKIP_1) | instid1(VALU_DEP_3)
	v_dual_add_f32 v9, v9, v31 :: v_dual_fma_f32 v31, v164, v108, -v35
	v_dual_mul_f32 v19, v168, v113 :: v_dual_mul_f32 v21, v170, v115
	v_add_f32_e32 v7, v7, v13
	s_delay_alu instid0(VALU_DEP_3) | instskip(SKIP_2) | instid1(VALU_DEP_3)
	v_dual_mul_f32 v11, v175, v119 :: v_dual_add_f32 v9, v9, v29
	s_wait_loadcnt_dscnt 0x500
	v_dual_mul_f32 v13, v177, v121 :: v_dual_fmac_f32 v17, v167, v110
	v_dual_fma_f32 v29, v166, v110, -v37 :: v_dual_add_f32 v7, v7, v15
	s_delay_alu instid0(VALU_DEP_3) | instskip(SKIP_1) | instid1(VALU_DEP_3)
	v_dual_add_f32 v9, v9, v31 :: v_dual_fma_f32 v31, v168, v112, -v39
	v_dual_mul_f32 v15, v179, v123 :: v_dual_fmac_f32 v19, v169, v112
	v_dual_add_f32 v7, v7, v17 :: v_dual_fma_f32 v17, v170, v114, -v41
	s_delay_alu instid0(VALU_DEP_3) | instskip(SKIP_1) | instid1(VALU_DEP_3)
	v_dual_add_f32 v9, v9, v29 :: v_dual_fmac_f32 v21, v171, v114
	v_dual_mul_f32 v23, v172, v117 :: v_dual_mul_f32 v25, v174, v119
	v_add_f32_e32 v7, v7, v19
	s_wait_loadcnt 0x4
	s_delay_alu instid0(VALU_DEP_3) | instskip(NEXT) | instid1(VALU_DEP_3)
	v_dual_add_f32 v9, v9, v31 :: v_dual_mov_b32 v102, v127
	v_fmac_f32_e32 v23, v173, v116
	s_delay_alu instid0(VALU_DEP_3) | instskip(NEXT) | instid1(VALU_DEP_3)
	v_dual_fma_f32 v19, v172, v116, -v27 :: v_dual_add_f32 v7, v7, v21
	v_dual_add_f32 v9, v9, v17 :: v_dual_fmac_f32 v25, v175, v118
	v_dual_mul_f32 v191, v176, v121 :: v_dual_mul_f32 v193, v178, v123
	s_delay_alu instid0(VALU_DEP_3) | instskip(SKIP_1) | instid1(VALU_DEP_3)
	v_dual_fma_f32 v11, v174, v118, -v11 :: v_dual_add_f32 v7, v7, v23
	s_wait_loadcnt 0x3
	v_dual_add_f32 v9, v9, v19 :: v_dual_mov_b32 v106, v131
	v_pk_mul_f32 v[100:101], v[140:141], v[124:125] op_sel:[1,1] op_sel_hi:[0,1]
	v_dual_fmac_f32 v191, v177, v120 :: v_dual_fma_f32 v190, v176, v120, -v13
	s_delay_alu instid0(VALU_DEP_3) | instskip(SKIP_1) | instid1(VALU_DEP_4)
	v_dual_add_f32 v109, v7, v25 :: v_dual_add_f32 v108, v9, v11
	v_dual_fmac_f32 v193, v179, v122 :: v_dual_fma_f32 v192, v178, v122, -v15
	v_pk_fma_f32 v[110:111], v[140:141], v[124:125], v[100:101] op_sel_hi:[1,0,1]
	v_pk_mul_f32 v[102:103], v[182:183], v[102:103] op_sel_hi:[1,0]
	s_delay_alu instid0(VALU_DEP_4)
	v_pk_add_f32 v[108:109], v[108:109], v[190:191]
	v_pk_fma_f32 v[100:101], v[140:141], v[124:125], v[100:101] neg_lo:[0,0,1] neg_hi:[0,0,1]
	v_pk_mul_f32 v[104:105], v[144:145], v[128:129] op_sel:[1,1] op_sel_hi:[0,1]
	v_mov_b32_e32 v101, v111
	v_pk_fma_f32 v[110:111], v[142:143], v[126:127], v[102:103] op_sel_hi:[1,0,1]
	v_pk_add_f32 v[108:109], v[108:109], v[192:193]
	v_pk_fma_f32 v[102:103], v[142:143], v[126:127], v[102:103] neg_lo:[0,0,1] neg_hi:[0,0,1]
	v_pk_fma_f32 v[114:115], v[144:145], v[128:129], v[104:105] op_sel_hi:[1,0,1]
	v_pk_mul_f32 v[106:107], v[184:185], v[106:107] op_sel_hi:[1,0]
	v_mov_b32_e32 v103, v111
	v_pk_add_f32 v[100:101], v[108:109], v[100:101]
	s_wait_loadcnt 0x2
	v_pk_mul_f32 v[112:113], v[148:149], v[132:133] op_sel:[1,1] op_sel_hi:[0,1]
	v_mov_b32_e32 v108, v135
	v_pk_fma_f32 v[104:105], v[144:145], v[128:129], v[104:105] neg_lo:[0,0,1] neg_hi:[0,0,1]
	v_mov_b32_e32 v105, v115
	v_pk_fma_f32 v[110:111], v[146:147], v[130:131], v[106:107] op_sel_hi:[1,0,1]
	v_pk_add_f32 v[100:101], v[100:101], v[102:103]
	v_pk_fma_f32 v[102:103], v[148:149], v[132:133], v[112:113] op_sel_hi:[1,0,1]
	v_pk_mul_f32 v[108:109], v[186:187], v[108:109] op_sel_hi:[1,0]
	v_pk_fma_f32 v[106:107], v[146:147], v[130:131], v[106:107] neg_lo:[0,0,1] neg_hi:[0,0,1]
	v_mov_b32_e32 v107, v111
	v_pk_add_f32 v[100:101], v[100:101], v[104:105]
	v_pk_fma_f32 v[110:111], v[148:149], v[132:133], v[112:113] neg_lo:[0,0,1] neg_hi:[0,0,1]
	v_mov_b32_e32 v111, v103
	v_pk_fma_f32 v[102:103], v[150:151], v[134:135], v[108:109] op_sel_hi:[1,0,1]
	s_wait_loadcnt 0x1
	v_pk_mul_f32 v[104:105], v[152:153], v[136:137] op_sel:[1,1] op_sel_hi:[0,1]
	v_pk_add_f32 v[100:101], v[100:101], v[106:107]
	v_mov_b32_e32 v102, v139
	v_pk_fma_f32 v[108:109], v[150:151], v[134:135], v[108:109] neg_lo:[0,0,1] neg_hi:[0,0,1]
	v_mov_b32_e32 v109, v103
	v_pk_fma_f32 v[106:107], v[152:153], v[136:137], v[104:105] op_sel_hi:[1,0,1]
	v_pk_add_f32 v[100:101], v[100:101], v[110:111]
	v_pk_mul_f32 v[102:103], v[188:189], v[102:103] op_sel_hi:[1,0]
	v_pk_fma_f32 v[104:105], v[152:153], v[136:137], v[104:105] neg_lo:[0,0,1] neg_hi:[0,0,1]
	s_delay_alu instid0(VALU_DEP_4) | instskip(NEXT) | instid1(VALU_DEP_4)
	v_mov_b32_e32 v105, v107
	v_pk_add_f32 v[100:101], v[100:101], v[108:109]
	s_delay_alu instid0(VALU_DEP_4) | instskip(SKIP_1) | instid1(VALU_DEP_2)
	v_pk_fma_f32 v[106:107], v[154:155], v[138:139], v[102:103] op_sel_hi:[1,0,1]
	v_pk_fma_f32 v[102:103], v[154:155], v[138:139], v[102:103] neg_lo:[0,0,1] neg_hi:[0,0,1]
	v_mov_b32_e32 v103, v107
	s_delay_alu instid0(VALU_DEP_4) | instskip(NEXT) | instid1(VALU_DEP_1)
	v_pk_add_f32 v[100:101], v[100:101], v[104:105]
	v_pk_add_f32 v[100:101], v[100:101], v[102:103]
	s_wait_loadcnt 0x0
	s_delay_alu instid0(VALU_DEP_1)
	v_pk_add_f32 v[100:101], v[180:181], v[100:101] neg_lo:[0,1] neg_hi:[0,1]
	scratch_store_b64 off, v[100:101], off offset:224
	s_wait_xcnt 0x0
	v_cmpx_lt_u32_e32 27, v0
	s_cbranch_execz .LBB48_253
; %bb.252:
	scratch_load_b64 v[100:101], off, off offset:216
	v_mov_b64_e32 v[102:103], 0
	scratch_store_b64 off, v[102:103], off offset:216
	s_wait_loadcnt 0x0
	ds_store_b64 v1, v[100:101]
.LBB48_253:
	s_wait_xcnt 0x0
	s_or_b32 exec_lo, exec_lo, s0
	s_wait_storecnt_dscnt 0x0
	s_barrier_signal -1
	s_barrier_wait -1
	s_clause 0xb
	scratch_load_b128 v[100:103], off, off offset:224
	scratch_load_b128 v[104:107], off, off offset:240
	;; [unrolled: 1-line block ×10, first 2 shown]
	scratch_load_b64 v[180:181], off, off offset:384
	scratch_load_b64 v[182:183], off, off offset:216
	v_mov_b32_e32 v7, 0
	ds_load_b128 v[140:143], v7 offset:720
	ds_load_b128 v[144:147], v7 offset:736
	;; [unrolled: 1-line block ×10, first 2 shown]
	ds_load_b64 v[184:185], v7 offset:784
	s_mov_b32 s0, exec_lo
	s_wait_dscnt 0xa
	v_dual_mov_b32 v186, v143 :: v_dual_mov_b32 v187, v142
	s_wait_dscnt 0x7
	v_dual_mov_b32 v188, v147 :: v_dual_mov_b32 v193, v154
	v_dual_mov_b32 v189, v146 :: v_dual_mov_b32 v190, v151
	;; [unrolled: 1-line block ×3, first 2 shown]
	s_wait_loadcnt_dscnt 0xb06
	v_dual_mul_f32 v9, v156, v101 :: v_dual_mul_f32 v31, v157, v101
	v_dual_mul_f32 v33, v159, v103 :: v_dual_mul_f32 v11, v158, v103
	s_wait_loadcnt_dscnt 0xa05
	v_mul_f32_e32 v13, v160, v105
	s_wait_loadcnt_dscnt 0x803
	v_dual_mul_f32 v43, v169, v113 :: v_dual_fma_f32 v31, v156, v100, -v31
	v_dual_fmac_f32 v9, v157, v100 :: v_dual_mul_f32 v45, v171, v115
	v_dual_mul_f32 v35, v161, v105 :: v_dual_mul_f32 v37, v163, v107
	v_dual_fmac_f32 v11, v159, v102 :: v_dual_fma_f32 v33, v158, v102, -v33
	s_delay_alu instid0(VALU_DEP_3) | instskip(SKIP_4) | instid1(VALU_DEP_3)
	v_dual_add_f32 v9, 0, v9 :: v_dual_add_f32 v31, 0, v31
	v_dual_mul_f32 v15, v162, v107 :: v_dual_mul_f32 v17, v164, v109
	s_wait_loadcnt_dscnt 0x702
	v_dual_mul_f32 v47, v173, v117 :: v_dual_fma_f32 v35, v160, v104, -v35
	v_fmac_f32_e32 v13, v161, v104
	v_dual_add_f32 v9, v9, v11 :: v_dual_fmac_f32 v15, v163, v106
	v_add_f32_e32 v11, v31, v33
	v_dual_mul_f32 v39, v165, v109 :: v_dual_mul_f32 v41, v167, v111
	v_dual_mul_f32 v31, v175, v119 :: v_dual_fma_f32 v33, v162, v106, -v37
	s_delay_alu instid0(VALU_DEP_3) | instskip(SKIP_3) | instid1(VALU_DEP_3)
	v_dual_add_f32 v9, v9, v13 :: v_dual_add_f32 v11, v11, v35
	v_dual_mul_f32 v19, v166, v111 :: v_dual_mul_f32 v21, v168, v113
	s_wait_loadcnt_dscnt 0x601
	v_dual_mul_f32 v13, v177, v121 :: v_dual_fma_f32 v35, v164, v108, -v39
	v_dual_fmac_f32 v17, v165, v108 :: v_dual_add_f32 v11, v11, v33
	s_delay_alu instid0(VALU_DEP_3) | instskip(SKIP_1) | instid1(VALU_DEP_2)
	v_dual_add_f32 v9, v9, v15 :: v_dual_fmac_f32 v19, v167, v110
	v_dual_mul_f32 v15, v179, v123 :: v_dual_fma_f32 v33, v166, v110, -v41
	v_dual_add_f32 v11, v11, v35 :: v_dual_add_f32 v9, v9, v17
	v_dual_mul_f32 v23, v170, v115 :: v_dual_mul_f32 v25, v172, v117
	s_wait_loadcnt 0x5
	v_dual_mul_f32 v17, v141, v125 :: v_dual_fma_f32 v35, v168, v112, -v43
	s_delay_alu instid0(VALU_DEP_3) | instskip(SKIP_2) | instid1(VALU_DEP_2)
	v_dual_fmac_f32 v21, v169, v112 :: v_dual_add_f32 v11, v11, v33
	v_dual_add_f32 v9, v9, v19 :: v_dual_mov_b32 v100, v127
	v_dual_fmac_f32 v23, v171, v114 :: v_dual_fma_f32 v19, v170, v114, -v45
	v_dual_add_f32 v11, v11, v35 :: v_dual_add_f32 v9, v9, v21
	v_dual_mul_f32 v27, v174, v119 :: v_dual_mul_f32 v29, v176, v121
	v_dual_fmac_f32 v25, v173, v116 :: v_dual_fma_f32 v21, v172, v116, -v47
	s_wait_loadcnt 0x4
	s_delay_alu instid0(VALU_DEP_3) | instskip(SKIP_1) | instid1(VALU_DEP_2)
	v_dual_add_f32 v9, v9, v23 :: v_dual_mov_b32 v104, v131
	v_dual_add_f32 v11, v11, v19 :: v_dual_fma_f32 v19, v174, v118, -v31
	v_dual_fmac_f32 v27, v175, v118 :: v_dual_add_f32 v9, v9, v25
	v_dual_mul_f32 v195, v178, v123 :: v_dual_mul_f32 v197, v140, v125
	s_delay_alu instid0(VALU_DEP_3) | instskip(NEXT) | instid1(VALU_DEP_3)
	v_dual_add_f32 v11, v11, v21 :: v_dual_fmac_f32 v29, v177, v120
	v_dual_fma_f32 v13, v176, v120, -v13 :: v_dual_add_f32 v9, v9, v27
	s_delay_alu instid0(VALU_DEP_3) | instskip(NEXT) | instid1(VALU_DEP_3)
	v_fmac_f32_e32 v195, v179, v122
	v_dual_add_f32 v11, v11, v19 :: v_dual_fma_f32 v194, v178, v122, -v15
	v_pk_mul_f32 v[100:101], v[186:187], v[100:101] op_sel_hi:[1,0]
	s_delay_alu instid0(VALU_DEP_4) | instskip(SKIP_1) | instid1(VALU_DEP_4)
	v_add_f32_e32 v109, v9, v29
	v_pk_mul_f32 v[102:103], v[144:145], v[128:129] op_sel:[1,1] op_sel_hi:[0,1]
	v_dual_add_f32 v108, v11, v13 :: v_dual_fmac_f32 v197, v141, v124
	s_wait_loadcnt 0x3
	v_dual_mov_b32 v110, v135 :: v_dual_fma_f32 v196, v140, v124, -v17
	v_pk_fma_f32 v[112:113], v[142:143], v[126:127], v[100:101] op_sel_hi:[1,0,1]
	s_delay_alu instid0(VALU_DEP_3)
	v_pk_add_f32 v[108:109], v[108:109], v[194:195]
	v_pk_fma_f32 v[100:101], v[142:143], v[126:127], v[100:101] neg_lo:[0,0,1] neg_hi:[0,0,1]
	v_pk_fma_f32 v[114:115], v[144:145], v[128:129], v[102:103] op_sel_hi:[1,0,1]
	v_pk_mul_f32 v[104:105], v[188:189], v[104:105] op_sel_hi:[1,0]
	v_mov_b32_e32 v101, v113
	v_pk_add_f32 v[108:109], v[108:109], v[196:197]
	v_pk_fma_f32 v[102:103], v[144:145], v[128:129], v[102:103] neg_lo:[0,0,1] neg_hi:[0,0,1]
	v_pk_mul_f32 v[106:107], v[148:149], v[132:133] op_sel:[1,1] op_sel_hi:[0,1]
	v_mov_b32_e32 v103, v115
	v_pk_fma_f32 v[114:115], v[146:147], v[130:131], v[104:105] op_sel_hi:[1,0,1]
	v_pk_add_f32 v[100:101], v[108:109], v[100:101]
	v_pk_fma_f32 v[104:105], v[146:147], v[130:131], v[104:105] neg_lo:[0,0,1] neg_hi:[0,0,1]
	v_pk_fma_f32 v[108:109], v[148:149], v[132:133], v[106:107] op_sel_hi:[1,0,1]
	v_pk_mul_f32 v[110:111], v[190:191], v[110:111] op_sel_hi:[1,0]
	v_mov_b32_e32 v105, v115
	v_pk_add_f32 v[100:101], v[100:101], v[102:103]
	v_pk_fma_f32 v[106:107], v[148:149], v[132:133], v[106:107] neg_lo:[0,0,1] neg_hi:[0,0,1]
	s_wait_loadcnt 0x2
	v_pk_mul_f32 v[112:113], v[152:153], v[136:137] op_sel:[1,1] op_sel_hi:[0,1]
	v_dual_mov_b32 v102, v139 :: v_dual_mov_b32 v107, v109
	v_pk_fma_f32 v[108:109], v[150:151], v[134:135], v[110:111] op_sel_hi:[1,0,1]
	v_pk_add_f32 v[100:101], v[100:101], v[104:105]
	v_pk_fma_f32 v[110:111], v[150:151], v[134:135], v[110:111] neg_lo:[0,0,1] neg_hi:[0,0,1]
	v_pk_fma_f32 v[104:105], v[152:153], v[136:137], v[112:113] op_sel_hi:[1,0,1]
	v_pk_mul_f32 v[102:103], v[192:193], v[102:103] op_sel_hi:[1,0]
	v_mov_b32_e32 v111, v109
	v_pk_add_f32 v[100:101], v[100:101], v[106:107]
	v_pk_fma_f32 v[106:107], v[152:153], v[136:137], v[112:113] neg_lo:[0,0,1] neg_hi:[0,0,1]
	v_mov_b32_e32 v107, v105
	v_pk_fma_f32 v[104:105], v[154:155], v[138:139], v[102:103] op_sel_hi:[1,0,1]
	s_wait_loadcnt_dscnt 0x100
	v_pk_mul_f32 v[108:109], v[184:185], v[180:181] op_sel:[1,1] op_sel_hi:[0,1]
	v_pk_add_f32 v[100:101], v[100:101], v[110:111]
	v_pk_fma_f32 v[102:103], v[154:155], v[138:139], v[102:103] neg_lo:[0,0,1] neg_hi:[0,0,1]
	v_mov_b32_e32 v103, v105
	s_delay_alu instid0(VALU_DEP_4) | instskip(NEXT) | instid1(VALU_DEP_4)
	v_pk_fma_f32 v[104:105], v[184:185], v[180:181], v[108:109] op_sel_hi:[1,0,1]
	v_pk_add_f32 v[100:101], v[100:101], v[106:107]
	v_pk_fma_f32 v[106:107], v[184:185], v[180:181], v[108:109] neg_lo:[0,0,1] neg_hi:[0,0,1]
	s_delay_alu instid0(VALU_DEP_3) | instskip(NEXT) | instid1(VALU_DEP_3)
	v_mov_b32_e32 v107, v105
	v_pk_add_f32 v[100:101], v[100:101], v[102:103]
	s_delay_alu instid0(VALU_DEP_1) | instskip(SKIP_1) | instid1(VALU_DEP_1)
	v_pk_add_f32 v[100:101], v[100:101], v[106:107]
	s_wait_loadcnt 0x0
	v_pk_add_f32 v[100:101], v[182:183], v[100:101] neg_lo:[0,1] neg_hi:[0,1]
	scratch_store_b64 off, v[100:101], off offset:216
	s_wait_xcnt 0x0
	v_cmpx_lt_u32_e32 26, v0
	s_cbranch_execz .LBB48_255
; %bb.254:
	scratch_load_b64 v[100:101], off, off offset:208
	v_mov_b64_e32 v[102:103], 0
	scratch_store_b64 off, v[102:103], off offset:208
	s_wait_loadcnt 0x0
	ds_store_b64 v1, v[100:101]
.LBB48_255:
	s_wait_xcnt 0x0
	s_or_b32 exec_lo, exec_lo, s0
	s_wait_storecnt_dscnt 0x0
	s_barrier_signal -1
	s_barrier_wait -1
	s_clause 0xb
	scratch_load_b128 v[100:103], off, off offset:216
	scratch_load_b128 v[104:107], off, off offset:232
	;; [unrolled: 1-line block ×11, first 2 shown]
	scratch_load_b64 v[188:189], off, off offset:208
	ds_load_2addr_b64 v[144:147], v7 offset0:91 offset1:92
	ds_load_2addr_b64 v[148:151], v7 offset0:93 offset1:94
	;; [unrolled: 1-line block ×11, first 2 shown]
	s_mov_b32 s0, exec_lo
	s_wait_dscnt 0xa
	v_dual_mov_b32 v190, v147 :: v_dual_mov_b32 v191, v146
	s_wait_dscnt 0x9
	v_dual_mov_b32 v192, v151 :: v_dual_mov_b32 v193, v150
	;; [unrolled: 2-line block ×4, first 2 shown]
	s_wait_loadcnt_dscnt 0xb06
	v_dual_mul_f32 v7, v160, v101 :: v_dual_mul_f32 v9, v162, v103
	v_dual_mul_f32 v31, v161, v101 :: v_dual_mul_f32 v33, v163, v103
	s_wait_loadcnt_dscnt 0xa05
	v_dual_mul_f32 v11, v164, v105 :: v_dual_mul_f32 v13, v166, v107
	s_delay_alu instid0(VALU_DEP_3) | instskip(SKIP_3) | instid1(VALU_DEP_3)
	v_dual_fmac_f32 v7, v161, v100 :: v_dual_fmac_f32 v9, v163, v102
	s_wait_loadcnt_dscnt 0x803
	v_dual_fma_f32 v31, v160, v100, -v31 :: v_dual_mul_f32 v43, v173, v113
	v_dual_mul_f32 v35, v165, v105 :: v_dual_mul_f32 v37, v167, v107
	v_dual_fma_f32 v33, v162, v102, -v33 :: v_dual_add_f32 v7, 0, v7
	s_delay_alu instid0(VALU_DEP_3) | instskip(SKIP_1) | instid1(VALU_DEP_4)
	v_dual_add_f32 v31, 0, v31 :: v_dual_fmac_f32 v11, v165, v104
	v_dual_mul_f32 v15, v168, v109 :: v_dual_mul_f32 v17, v170, v111
	v_dual_mul_f32 v45, v175, v115 :: v_dual_fma_f32 v35, v164, v104, -v35
	s_delay_alu instid0(VALU_DEP_4) | instskip(NEXT) | instid1(VALU_DEP_3)
	v_add_f32_e32 v7, v7, v9
	v_dual_add_f32 v9, v31, v33 :: v_dual_fmac_f32 v15, v169, v108
	v_dual_mul_f32 v39, v169, v109 :: v_dual_mul_f32 v41, v171, v111
	s_wait_loadcnt_dscnt 0x702
	v_dual_mul_f32 v31, v177, v117 :: v_dual_fmac_f32 v13, v167, v106
	v_dual_fma_f32 v33, v166, v106, -v37 :: v_dual_add_f32 v7, v7, v11
	s_delay_alu instid0(VALU_DEP_3) | instskip(SKIP_1) | instid1(VALU_DEP_3)
	v_dual_add_f32 v9, v9, v35 :: v_dual_fma_f32 v35, v168, v108, -v39
	v_dual_mul_f32 v19, v172, v113 :: v_dual_mul_f32 v21, v174, v115
	v_add_f32_e32 v7, v7, v13
	s_delay_alu instid0(VALU_DEP_3) | instskip(SKIP_2) | instid1(VALU_DEP_3)
	v_dual_mul_f32 v11, v179, v119 :: v_dual_add_f32 v9, v9, v33
	s_wait_loadcnt_dscnt 0x601
	v_dual_mul_f32 v13, v181, v121 :: v_dual_fmac_f32 v17, v171, v110
	v_dual_fma_f32 v33, v170, v110, -v41 :: v_dual_add_f32 v7, v7, v15
	s_delay_alu instid0(VALU_DEP_3) | instskip(SKIP_1) | instid1(VALU_DEP_3)
	v_dual_add_f32 v9, v9, v35 :: v_dual_fma_f32 v35, v172, v112, -v43
	v_dual_mul_f32 v15, v183, v123 :: v_dual_fmac_f32 v19, v173, v112
	v_add_f32_e32 v7, v7, v17
	s_delay_alu instid0(VALU_DEP_3)
	v_dual_add_f32 v9, v9, v33 :: v_dual_fmac_f32 v21, v175, v114
	v_dual_mul_f32 v23, v176, v117 :: v_dual_mul_f32 v25, v178, v119
	s_wait_loadcnt_dscnt 0x500
	v_dual_fma_f32 v33, v174, v114, -v45 :: v_dual_mul_f32 v17, v185, v125
	v_add_f32_e32 v7, v7, v19
	v_dual_add_f32 v9, v9, v35 :: v_dual_fma_f32 v31, v176, v116, -v31
	v_dual_mul_f32 v19, v187, v127 :: v_dual_fmac_f32 v23, v177, v116
	s_delay_alu instid0(VALU_DEP_3) | instskip(NEXT) | instid1(VALU_DEP_3)
	v_dual_add_f32 v7, v7, v21 :: v_dual_fma_f32 v11, v178, v118, -v11
	v_dual_add_f32 v9, v9, v33 :: v_dual_fmac_f32 v25, v179, v118
	v_dual_mul_f32 v27, v180, v121 :: v_dual_mul_f32 v29, v182, v123
	s_delay_alu instid0(VALU_DEP_3) | instskip(SKIP_1) | instid1(VALU_DEP_3)
	v_add_f32_e32 v7, v7, v23
	s_wait_loadcnt 0x4
	v_dual_add_f32 v9, v9, v31 :: v_dual_mov_b32 v102, v131
	s_delay_alu instid0(VALU_DEP_3) | instskip(NEXT) | instid1(VALU_DEP_2)
	v_dual_fmac_f32 v27, v181, v120 :: v_dual_fma_f32 v13, v180, v120, -v13
	v_dual_add_f32 v7, v7, v25 :: v_dual_add_f32 v9, v9, v11
	v_dual_fmac_f32 v29, v183, v122 :: v_dual_mul_f32 v199, v184, v125
	v_mul_f32_e32 v201, v186, v127
	s_delay_alu instid0(VALU_DEP_3) | instskip(SKIP_4) | instid1(VALU_DEP_3)
	v_dual_fma_f32 v11, v182, v122, -v15 :: v_dual_add_f32 v7, v7, v27
	s_wait_loadcnt 0x3
	v_dual_add_f32 v9, v9, v13 :: v_dual_mov_b32 v106, v135
	v_pk_mul_f32 v[100:101], v[144:145], v[128:129] op_sel:[1,1] op_sel_hi:[0,1]
	v_dual_fmac_f32 v199, v185, v124 :: v_dual_fma_f32 v198, v184, v124, -v17
	v_dual_add_f32 v109, v7, v29 :: v_dual_add_f32 v108, v9, v11
	v_dual_fmac_f32 v201, v187, v126 :: v_dual_fma_f32 v200, v186, v126, -v19
	s_delay_alu instid0(VALU_DEP_4) | instskip(SKIP_1) | instid1(VALU_DEP_4)
	v_pk_fma_f32 v[110:111], v[144:145], v[128:129], v[100:101] op_sel_hi:[1,0,1]
	v_pk_mul_f32 v[102:103], v[190:191], v[102:103] op_sel_hi:[1,0]
	v_pk_add_f32 v[108:109], v[108:109], v[198:199]
	v_pk_fma_f32 v[100:101], v[144:145], v[128:129], v[100:101] neg_lo:[0,0,1] neg_hi:[0,0,1]
	v_pk_mul_f32 v[104:105], v[148:149], v[132:133] op_sel:[1,1] op_sel_hi:[0,1]
	v_mov_b32_e32 v101, v111
	v_pk_fma_f32 v[110:111], v[146:147], v[130:131], v[102:103] op_sel_hi:[1,0,1]
	v_pk_add_f32 v[108:109], v[108:109], v[200:201]
	v_pk_fma_f32 v[102:103], v[146:147], v[130:131], v[102:103] neg_lo:[0,0,1] neg_hi:[0,0,1]
	v_pk_fma_f32 v[114:115], v[148:149], v[132:133], v[104:105] op_sel_hi:[1,0,1]
	v_pk_mul_f32 v[106:107], v[192:193], v[106:107] op_sel_hi:[1,0]
	v_mov_b32_e32 v103, v111
	v_pk_add_f32 v[100:101], v[108:109], v[100:101]
	s_wait_loadcnt 0x2
	v_pk_mul_f32 v[112:113], v[152:153], v[136:137] op_sel:[1,1] op_sel_hi:[0,1]
	v_mov_b32_e32 v108, v139
	v_pk_fma_f32 v[104:105], v[148:149], v[132:133], v[104:105] neg_lo:[0,0,1] neg_hi:[0,0,1]
	v_mov_b32_e32 v105, v115
	v_pk_fma_f32 v[110:111], v[150:151], v[134:135], v[106:107] op_sel_hi:[1,0,1]
	v_pk_add_f32 v[100:101], v[100:101], v[102:103]
	v_pk_fma_f32 v[102:103], v[152:153], v[136:137], v[112:113] op_sel_hi:[1,0,1]
	v_pk_mul_f32 v[108:109], v[194:195], v[108:109] op_sel_hi:[1,0]
	v_pk_fma_f32 v[106:107], v[150:151], v[134:135], v[106:107] neg_lo:[0,0,1] neg_hi:[0,0,1]
	v_mov_b32_e32 v107, v111
	v_pk_add_f32 v[100:101], v[100:101], v[104:105]
	v_pk_fma_f32 v[110:111], v[152:153], v[136:137], v[112:113] neg_lo:[0,0,1] neg_hi:[0,0,1]
	v_mov_b32_e32 v111, v103
	v_pk_fma_f32 v[102:103], v[154:155], v[138:139], v[108:109] op_sel_hi:[1,0,1]
	s_wait_loadcnt 0x1
	v_pk_mul_f32 v[104:105], v[156:157], v[140:141] op_sel:[1,1] op_sel_hi:[0,1]
	v_pk_add_f32 v[100:101], v[100:101], v[106:107]
	v_mov_b32_e32 v102, v143
	v_pk_fma_f32 v[108:109], v[154:155], v[138:139], v[108:109] neg_lo:[0,0,1] neg_hi:[0,0,1]
	v_mov_b32_e32 v109, v103
	v_pk_fma_f32 v[106:107], v[156:157], v[140:141], v[104:105] op_sel_hi:[1,0,1]
	v_pk_add_f32 v[100:101], v[100:101], v[110:111]
	v_pk_mul_f32 v[102:103], v[196:197], v[102:103] op_sel_hi:[1,0]
	v_pk_fma_f32 v[104:105], v[156:157], v[140:141], v[104:105] neg_lo:[0,0,1] neg_hi:[0,0,1]
	s_delay_alu instid0(VALU_DEP_4) | instskip(NEXT) | instid1(VALU_DEP_4)
	v_mov_b32_e32 v105, v107
	v_pk_add_f32 v[100:101], v[100:101], v[108:109]
	s_delay_alu instid0(VALU_DEP_4) | instskip(SKIP_1) | instid1(VALU_DEP_2)
	v_pk_fma_f32 v[106:107], v[158:159], v[142:143], v[102:103] op_sel_hi:[1,0,1]
	v_pk_fma_f32 v[102:103], v[158:159], v[142:143], v[102:103] neg_lo:[0,0,1] neg_hi:[0,0,1]
	v_mov_b32_e32 v103, v107
	s_delay_alu instid0(VALU_DEP_4) | instskip(NEXT) | instid1(VALU_DEP_1)
	v_pk_add_f32 v[100:101], v[100:101], v[104:105]
	v_pk_add_f32 v[100:101], v[100:101], v[102:103]
	s_wait_loadcnt 0x0
	s_delay_alu instid0(VALU_DEP_1)
	v_pk_add_f32 v[100:101], v[188:189], v[100:101] neg_lo:[0,1] neg_hi:[0,1]
	scratch_store_b64 off, v[100:101], off offset:208
	s_wait_xcnt 0x0
	v_cmpx_lt_u32_e32 25, v0
	s_cbranch_execz .LBB48_257
; %bb.256:
	scratch_load_b64 v[100:101], off, off offset:200
	v_mov_b64_e32 v[102:103], 0
	scratch_store_b64 off, v[102:103], off offset:200
	s_wait_loadcnt 0x0
	ds_store_b64 v1, v[100:101]
.LBB48_257:
	s_wait_xcnt 0x0
	s_or_b32 exec_lo, exec_lo, s0
	s_wait_storecnt_dscnt 0x0
	s_barrier_signal -1
	s_barrier_wait -1
	s_clause 0xc
	scratch_load_b128 v[100:103], off, off offset:208
	scratch_load_b128 v[104:107], off, off offset:224
	;; [unrolled: 1-line block ×11, first 2 shown]
	scratch_load_b64 v[188:189], off, off offset:384
	scratch_load_b64 v[190:191], off, off offset:200
	v_mov_b32_e32 v7, 0
	ds_load_b128 v[144:147], v7 offset:720
	ds_load_b128 v[148:151], v7 offset:736
	;; [unrolled: 1-line block ×11, first 2 shown]
	ds_load_b64 v[192:193], v7 offset:784
	s_mov_b32 s0, exec_lo
	s_wait_dscnt 0xb
	v_dual_mov_b32 v194, v147 :: v_dual_mov_b32 v195, v146
	s_wait_dscnt 0x8
	v_dual_mov_b32 v196, v151 :: v_dual_mov_b32 v201, v158
	v_dual_mov_b32 v197, v150 :: v_dual_mov_b32 v198, v155
	;; [unrolled: 1-line block ×3, first 2 shown]
	s_wait_loadcnt_dscnt 0xc07
	v_dual_mul_f32 v9, v160, v101 :: v_dual_mul_f32 v35, v161, v101
	v_dual_mul_f32 v37, v163, v103 :: v_dual_mul_f32 v11, v162, v103
	s_wait_loadcnt_dscnt 0xb06
	v_mul_f32_e32 v13, v164, v105
	s_wait_loadcnt_dscnt 0x904
	v_dual_mul_f32 v47, v173, v113 :: v_dual_fma_f32 v35, v160, v100, -v35
	v_dual_fmac_f32 v9, v161, v100 :: v_dual_mul_f32 v49, v175, v115
	v_dual_mul_f32 v39, v165, v105 :: v_dual_mul_f32 v41, v167, v107
	v_dual_fmac_f32 v11, v163, v102 :: v_dual_fma_f32 v37, v162, v102, -v37
	s_delay_alu instid0(VALU_DEP_3) | instskip(SKIP_4) | instid1(VALU_DEP_3)
	v_dual_add_f32 v9, 0, v9 :: v_dual_add_f32 v35, 0, v35
	v_dual_mul_f32 v15, v166, v107 :: v_dual_mul_f32 v17, v168, v109
	s_wait_loadcnt_dscnt 0x803
	v_dual_mul_f32 v51, v177, v117 :: v_dual_fma_f32 v39, v164, v104, -v39
	v_fmac_f32_e32 v13, v165, v104
	v_dual_add_f32 v9, v9, v11 :: v_dual_fmac_f32 v15, v167, v106
	v_add_f32_e32 v11, v35, v37
	v_dual_mul_f32 v43, v169, v109 :: v_dual_mul_f32 v45, v171, v111
	v_dual_mul_f32 v35, v179, v119 :: v_dual_fma_f32 v37, v166, v106, -v41
	s_delay_alu instid0(VALU_DEP_3) | instskip(SKIP_3) | instid1(VALU_DEP_3)
	v_dual_add_f32 v9, v9, v13 :: v_dual_add_f32 v11, v11, v39
	v_dual_mul_f32 v19, v170, v111 :: v_dual_mul_f32 v21, v172, v113
	s_wait_loadcnt_dscnt 0x701
	v_dual_mul_f32 v13, v185, v121 :: v_dual_fma_f32 v39, v168, v108, -v43
	v_dual_fmac_f32 v17, v169, v108 :: v_dual_add_f32 v11, v11, v37
	s_delay_alu instid0(VALU_DEP_3) | instskip(SKIP_1) | instid1(VALU_DEP_2)
	v_dual_add_f32 v9, v9, v15 :: v_dual_fmac_f32 v19, v171, v110
	v_dual_mul_f32 v15, v187, v123 :: v_dual_fma_f32 v37, v170, v110, -v45
	v_dual_add_f32 v11, v11, v39 :: v_dual_add_f32 v9, v9, v17
	v_dual_mul_f32 v23, v174, v115 :: v_dual_mul_f32 v25, v176, v117
	s_wait_loadcnt 0x6
	v_dual_mul_f32 v17, v181, v125 :: v_dual_fma_f32 v39, v172, v112, -v47
	s_delay_alu instid0(VALU_DEP_3) | instskip(NEXT) | instid1(VALU_DEP_3)
	v_dual_fmac_f32 v21, v173, v112 :: v_dual_add_f32 v11, v11, v37
	v_dual_add_f32 v9, v9, v19 :: v_dual_fmac_f32 v23, v175, v114
	v_dual_mul_f32 v19, v183, v127 :: v_dual_fma_f32 v37, v174, v114, -v49
	s_delay_alu instid0(VALU_DEP_2) | instskip(SKIP_3) | instid1(VALU_DEP_3)
	v_dual_add_f32 v11, v11, v39 :: v_dual_add_f32 v9, v9, v21
	v_dual_mul_f32 v27, v178, v119 :: v_dual_mul_f32 v29, v184, v121
	s_wait_loadcnt 0x5
	v_dual_mul_f32 v21, v145, v129 :: v_dual_fma_f32 v39, v176, v116, -v51
	v_dual_fmac_f32 v25, v177, v116 :: v_dual_add_f32 v11, v11, v37
	v_dual_add_f32 v9, v9, v23 :: v_dual_mov_b32 v100, v131
	v_fmac_f32_e32 v27, v179, v118
	s_delay_alu instid0(VALU_DEP_3) | instskip(NEXT) | instid1(VALU_DEP_3)
	v_dual_fma_f32 v23, v178, v118, -v35 :: v_dual_add_f32 v11, v11, v39
	v_dual_add_f32 v9, v9, v25 :: v_dual_mul_f32 v31, v186, v123
	v_dual_mul_f32 v33, v180, v125 :: v_dual_fmac_f32 v29, v185, v120
	s_delay_alu instid0(VALU_DEP_3) | instskip(SKIP_1) | instid1(VALU_DEP_3)
	v_dual_add_f32 v11, v11, v23 :: v_dual_fma_f32 v13, v184, v120, -v13
	s_wait_loadcnt 0x4
	v_dual_add_f32 v9, v9, v27 :: v_dual_mov_b32 v104, v135
	v_fma_f32 v15, v186, v122, -v15
	v_fmac_f32_e32 v31, v187, v122
	v_dual_add_f32 v11, v11, v13 :: v_dual_fmac_f32 v33, v181, v124
	s_delay_alu instid0(VALU_DEP_4) | instskip(SKIP_1) | instid1(VALU_DEP_3)
	v_dual_add_f32 v9, v9, v29 :: v_dual_mul_f32 v203, v182, v127
	v_mul_f32_e32 v205, v144, v129
	v_dual_fma_f32 v13, v180, v124, -v17 :: v_dual_add_f32 v11, v11, v15
	s_delay_alu instid0(VALU_DEP_3) | instskip(NEXT) | instid1(VALU_DEP_4)
	v_dual_fma_f32 v202, v182, v126, -v19 :: v_dual_add_f32 v9, v9, v31
	v_fmac_f32_e32 v203, v183, v126
	v_pk_mul_f32 v[100:101], v[194:195], v[100:101] op_sel_hi:[1,0]
	s_delay_alu instid0(VALU_DEP_4) | instskip(NEXT) | instid1(VALU_DEP_4)
	v_dual_add_f32 v108, v11, v13 :: v_dual_fmac_f32 v205, v145, v128
	v_add_f32_e32 v109, v9, v33
	v_pk_mul_f32 v[102:103], v[148:149], v[132:133] op_sel:[1,1] op_sel_hi:[0,1]
	s_wait_loadcnt 0x3
	v_dual_mov_b32 v110, v139 :: v_dual_fma_f32 v204, v144, v128, -v21
	v_pk_fma_f32 v[112:113], v[146:147], v[130:131], v[100:101] op_sel_hi:[1,0,1]
	v_pk_add_f32 v[108:109], v[108:109], v[202:203]
	v_pk_fma_f32 v[100:101], v[146:147], v[130:131], v[100:101] neg_lo:[0,0,1] neg_hi:[0,0,1]
	v_pk_fma_f32 v[114:115], v[148:149], v[132:133], v[102:103] op_sel_hi:[1,0,1]
	v_pk_mul_f32 v[104:105], v[196:197], v[104:105] op_sel_hi:[1,0]
	v_mov_b32_e32 v101, v113
	v_pk_add_f32 v[108:109], v[108:109], v[204:205]
	v_pk_fma_f32 v[102:103], v[148:149], v[132:133], v[102:103] neg_lo:[0,0,1] neg_hi:[0,0,1]
	v_pk_mul_f32 v[106:107], v[152:153], v[136:137] op_sel:[1,1] op_sel_hi:[0,1]
	v_mov_b32_e32 v103, v115
	v_pk_fma_f32 v[114:115], v[150:151], v[134:135], v[104:105] op_sel_hi:[1,0,1]
	v_pk_add_f32 v[100:101], v[108:109], v[100:101]
	v_pk_fma_f32 v[104:105], v[150:151], v[134:135], v[104:105] neg_lo:[0,0,1] neg_hi:[0,0,1]
	v_pk_fma_f32 v[108:109], v[152:153], v[136:137], v[106:107] op_sel_hi:[1,0,1]
	v_pk_mul_f32 v[110:111], v[198:199], v[110:111] op_sel_hi:[1,0]
	v_mov_b32_e32 v105, v115
	v_pk_add_f32 v[100:101], v[100:101], v[102:103]
	v_pk_fma_f32 v[106:107], v[152:153], v[136:137], v[106:107] neg_lo:[0,0,1] neg_hi:[0,0,1]
	s_wait_loadcnt 0x2
	v_pk_mul_f32 v[112:113], v[156:157], v[140:141] op_sel:[1,1] op_sel_hi:[0,1]
	v_dual_mov_b32 v102, v143 :: v_dual_mov_b32 v107, v109
	v_pk_fma_f32 v[108:109], v[154:155], v[138:139], v[110:111] op_sel_hi:[1,0,1]
	v_pk_add_f32 v[100:101], v[100:101], v[104:105]
	v_pk_fma_f32 v[110:111], v[154:155], v[138:139], v[110:111] neg_lo:[0,0,1] neg_hi:[0,0,1]
	v_pk_fma_f32 v[104:105], v[156:157], v[140:141], v[112:113] op_sel_hi:[1,0,1]
	v_pk_mul_f32 v[102:103], v[200:201], v[102:103] op_sel_hi:[1,0]
	v_mov_b32_e32 v111, v109
	v_pk_add_f32 v[100:101], v[100:101], v[106:107]
	v_pk_fma_f32 v[106:107], v[156:157], v[140:141], v[112:113] neg_lo:[0,0,1] neg_hi:[0,0,1]
	v_mov_b32_e32 v107, v105
	v_pk_fma_f32 v[104:105], v[158:159], v[142:143], v[102:103] op_sel_hi:[1,0,1]
	s_wait_loadcnt_dscnt 0x100
	v_pk_mul_f32 v[108:109], v[192:193], v[188:189] op_sel:[1,1] op_sel_hi:[0,1]
	v_pk_add_f32 v[100:101], v[100:101], v[110:111]
	v_pk_fma_f32 v[102:103], v[158:159], v[142:143], v[102:103] neg_lo:[0,0,1] neg_hi:[0,0,1]
	v_mov_b32_e32 v103, v105
	s_delay_alu instid0(VALU_DEP_4) | instskip(NEXT) | instid1(VALU_DEP_4)
	v_pk_fma_f32 v[104:105], v[192:193], v[188:189], v[108:109] op_sel_hi:[1,0,1]
	v_pk_add_f32 v[100:101], v[100:101], v[106:107]
	v_pk_fma_f32 v[106:107], v[192:193], v[188:189], v[108:109] neg_lo:[0,0,1] neg_hi:[0,0,1]
	s_delay_alu instid0(VALU_DEP_3) | instskip(NEXT) | instid1(VALU_DEP_3)
	v_mov_b32_e32 v107, v105
	v_pk_add_f32 v[100:101], v[100:101], v[102:103]
	s_delay_alu instid0(VALU_DEP_1) | instskip(SKIP_1) | instid1(VALU_DEP_1)
	v_pk_add_f32 v[100:101], v[100:101], v[106:107]
	s_wait_loadcnt 0x0
	v_pk_add_f32 v[100:101], v[190:191], v[100:101] neg_lo:[0,1] neg_hi:[0,1]
	scratch_store_b64 off, v[100:101], off offset:200
	s_wait_xcnt 0x0
	v_cmpx_lt_u32_e32 24, v0
	s_cbranch_execz .LBB48_259
; %bb.258:
	scratch_load_b64 v[100:101], off, off offset:192
	v_mov_b64_e32 v[102:103], 0
	scratch_store_b64 off, v[102:103], off offset:192
	s_wait_loadcnt 0x0
	ds_store_b64 v1, v[100:101]
.LBB48_259:
	s_wait_xcnt 0x0
	s_or_b32 exec_lo, exec_lo, s0
	s_wait_storecnt_dscnt 0x0
	s_barrier_signal -1
	s_barrier_wait -1
	s_clause 0xc
	scratch_load_b128 v[100:103], off, off offset:200
	scratch_load_b128 v[104:107], off, off offset:216
	;; [unrolled: 1-line block ×12, first 2 shown]
	scratch_load_b64 v[196:197], off, off offset:192
	ds_load_2addr_b64 v[148:151], v7 offset0:91 offset1:92
	ds_load_2addr_b64 v[152:155], v7 offset0:93 offset1:94
	;; [unrolled: 1-line block ×12, first 2 shown]
	s_mov_b32 s0, exec_lo
	s_wait_dscnt 0xb
	v_dual_mov_b32 v198, v151 :: v_dual_mov_b32 v199, v150
	s_wait_dscnt 0xa
	v_dual_mov_b32 v200, v155 :: v_dual_mov_b32 v201, v154
	;; [unrolled: 2-line block ×4, first 2 shown]
	s_wait_loadcnt_dscnt 0xc07
	v_dual_mul_f32 v7, v164, v101 :: v_dual_mul_f32 v9, v166, v103
	v_dual_mul_f32 v35, v165, v101 :: v_dual_mul_f32 v37, v167, v103
	s_wait_loadcnt_dscnt 0xb06
	v_dual_mul_f32 v11, v168, v105 :: v_dual_mul_f32 v13, v170, v107
	s_delay_alu instid0(VALU_DEP_3) | instskip(SKIP_3) | instid1(VALU_DEP_3)
	v_dual_fmac_f32 v7, v165, v100 :: v_dual_fmac_f32 v9, v167, v102
	s_wait_loadcnt_dscnt 0x904
	v_dual_fma_f32 v35, v164, v100, -v35 :: v_dual_mul_f32 v47, v177, v113
	v_dual_mul_f32 v39, v169, v105 :: v_dual_mul_f32 v41, v171, v107
	v_dual_fma_f32 v37, v166, v102, -v37 :: v_dual_add_f32 v7, 0, v7
	s_delay_alu instid0(VALU_DEP_3) | instskip(SKIP_1) | instid1(VALU_DEP_4)
	v_dual_add_f32 v35, 0, v35 :: v_dual_fmac_f32 v11, v169, v104
	v_dual_mul_f32 v15, v172, v109 :: v_dual_mul_f32 v17, v174, v111
	v_dual_mul_f32 v49, v179, v115 :: v_dual_fma_f32 v39, v168, v104, -v39
	s_delay_alu instid0(VALU_DEP_4) | instskip(NEXT) | instid1(VALU_DEP_3)
	v_add_f32_e32 v7, v7, v9
	v_dual_add_f32 v9, v35, v37 :: v_dual_fmac_f32 v15, v173, v108
	v_dual_mul_f32 v43, v173, v109 :: v_dual_mul_f32 v45, v175, v111
	s_wait_loadcnt_dscnt 0x803
	v_dual_mul_f32 v35, v181, v117 :: v_dual_fmac_f32 v13, v171, v106
	v_dual_fma_f32 v37, v170, v106, -v41 :: v_dual_add_f32 v7, v7, v11
	s_delay_alu instid0(VALU_DEP_3) | instskip(SKIP_1) | instid1(VALU_DEP_3)
	v_dual_add_f32 v9, v9, v39 :: v_dual_fma_f32 v39, v172, v108, -v43
	v_dual_mul_f32 v19, v176, v113 :: v_dual_mul_f32 v21, v178, v115
	v_add_f32_e32 v7, v7, v13
	s_delay_alu instid0(VALU_DEP_3) | instskip(SKIP_2) | instid1(VALU_DEP_3)
	v_dual_mul_f32 v11, v183, v119 :: v_dual_add_f32 v9, v9, v37
	s_wait_loadcnt_dscnt 0x702
	v_dual_mul_f32 v13, v185, v121 :: v_dual_fmac_f32 v17, v175, v110
	v_dual_fma_f32 v37, v174, v110, -v45 :: v_dual_add_f32 v7, v7, v15
	s_delay_alu instid0(VALU_DEP_3) | instskip(SKIP_1) | instid1(VALU_DEP_3)
	v_dual_add_f32 v9, v9, v39 :: v_dual_fma_f32 v39, v176, v112, -v47
	v_dual_mul_f32 v15, v187, v123 :: v_dual_fmac_f32 v19, v177, v112
	v_add_f32_e32 v7, v7, v17
	s_delay_alu instid0(VALU_DEP_3)
	v_dual_add_f32 v9, v9, v37 :: v_dual_fmac_f32 v21, v179, v114
	v_dual_mul_f32 v23, v180, v117 :: v_dual_mul_f32 v25, v182, v119
	s_wait_loadcnt_dscnt 0x601
	v_dual_fma_f32 v37, v178, v114, -v49 :: v_dual_mul_f32 v17, v189, v125
	v_add_f32_e32 v7, v7, v19
	v_dual_add_f32 v9, v9, v39 :: v_dual_fma_f32 v35, v180, v116, -v35
	v_dual_mul_f32 v19, v191, v127 :: v_dual_fmac_f32 v23, v181, v116
	s_delay_alu instid0(VALU_DEP_3) | instskip(NEXT) | instid1(VALU_DEP_3)
	v_dual_add_f32 v7, v7, v21 :: v_dual_fma_f32 v11, v182, v118, -v11
	v_dual_add_f32 v9, v9, v37 :: v_dual_fmac_f32 v25, v183, v118
	v_dual_mul_f32 v27, v184, v121 :: v_dual_mul_f32 v29, v186, v123
	s_wait_loadcnt_dscnt 0x500
	s_delay_alu instid0(VALU_DEP_3) | instskip(NEXT) | instid1(VALU_DEP_3)
	v_dual_mul_f32 v21, v193, v129 :: v_dual_add_f32 v7, v7, v23
	v_dual_add_f32 v9, v9, v35 :: v_dual_fma_f32 v13, v184, v120, -v13
	s_delay_alu instid0(VALU_DEP_3) | instskip(NEXT) | instid1(VALU_DEP_2)
	v_dual_mul_f32 v23, v195, v131 :: v_dual_fmac_f32 v27, v185, v120
	v_dual_add_f32 v7, v7, v25 :: v_dual_add_f32 v9, v9, v11
	v_dual_mul_f32 v31, v188, v125 :: v_dual_mul_f32 v33, v190, v127
	v_dual_fmac_f32 v29, v187, v122 :: v_dual_fma_f32 v11, v186, v122, -v15
	s_delay_alu instid0(VALU_DEP_3) | instskip(SKIP_1) | instid1(VALU_DEP_3)
	v_dual_add_f32 v7, v7, v27 :: v_dual_add_f32 v9, v9, v13
	s_wait_loadcnt 0x4
	v_dual_mov_b32 v102, v135 :: v_dual_fmac_f32 v31, v189, v124
	s_delay_alu instid0(VALU_DEP_2) | instskip(NEXT) | instid1(VALU_DEP_3)
	v_dual_fma_f32 v13, v188, v124, -v17 :: v_dual_add_f32 v7, v7, v29
	v_dual_add_f32 v9, v9, v11 :: v_dual_fmac_f32 v33, v191, v126
	v_dual_mul_f32 v207, v192, v129 :: v_dual_mul_f32 v209, v194, v131
	s_delay_alu instid0(VALU_DEP_3) | instskip(SKIP_1) | instid1(VALU_DEP_3)
	v_dual_fma_f32 v11, v190, v126, -v19 :: v_dual_add_f32 v7, v7, v31
	s_wait_loadcnt 0x3
	v_dual_add_f32 v9, v9, v13 :: v_dual_mov_b32 v106, v139
	v_pk_mul_f32 v[100:101], v[148:149], v[132:133] op_sel:[1,1] op_sel_hi:[0,1]
	v_dual_fmac_f32 v207, v193, v128 :: v_dual_fma_f32 v206, v192, v128, -v21
	s_delay_alu instid0(VALU_DEP_3) | instskip(SKIP_1) | instid1(VALU_DEP_4)
	v_dual_add_f32 v109, v7, v33 :: v_dual_add_f32 v108, v9, v11
	v_dual_fmac_f32 v209, v195, v130 :: v_dual_fma_f32 v208, v194, v130, -v23
	v_pk_fma_f32 v[110:111], v[148:149], v[132:133], v[100:101] op_sel_hi:[1,0,1]
	v_pk_mul_f32 v[102:103], v[198:199], v[102:103] op_sel_hi:[1,0]
	s_delay_alu instid0(VALU_DEP_4)
	v_pk_add_f32 v[108:109], v[108:109], v[206:207]
	v_pk_fma_f32 v[100:101], v[148:149], v[132:133], v[100:101] neg_lo:[0,0,1] neg_hi:[0,0,1]
	v_pk_mul_f32 v[104:105], v[152:153], v[136:137] op_sel:[1,1] op_sel_hi:[0,1]
	v_mov_b32_e32 v101, v111
	v_pk_fma_f32 v[110:111], v[150:151], v[134:135], v[102:103] op_sel_hi:[1,0,1]
	v_pk_add_f32 v[108:109], v[108:109], v[208:209]
	v_pk_fma_f32 v[102:103], v[150:151], v[134:135], v[102:103] neg_lo:[0,0,1] neg_hi:[0,0,1]
	v_pk_fma_f32 v[114:115], v[152:153], v[136:137], v[104:105] op_sel_hi:[1,0,1]
	v_pk_mul_f32 v[106:107], v[200:201], v[106:107] op_sel_hi:[1,0]
	v_mov_b32_e32 v103, v111
	v_pk_add_f32 v[100:101], v[108:109], v[100:101]
	s_wait_loadcnt 0x2
	v_pk_mul_f32 v[112:113], v[156:157], v[140:141] op_sel:[1,1] op_sel_hi:[0,1]
	v_mov_b32_e32 v108, v143
	v_pk_fma_f32 v[104:105], v[152:153], v[136:137], v[104:105] neg_lo:[0,0,1] neg_hi:[0,0,1]
	v_mov_b32_e32 v105, v115
	v_pk_fma_f32 v[110:111], v[154:155], v[138:139], v[106:107] op_sel_hi:[1,0,1]
	v_pk_add_f32 v[100:101], v[100:101], v[102:103]
	v_pk_fma_f32 v[102:103], v[156:157], v[140:141], v[112:113] op_sel_hi:[1,0,1]
	v_pk_mul_f32 v[108:109], v[202:203], v[108:109] op_sel_hi:[1,0]
	v_pk_fma_f32 v[106:107], v[154:155], v[138:139], v[106:107] neg_lo:[0,0,1] neg_hi:[0,0,1]
	v_mov_b32_e32 v107, v111
	v_pk_add_f32 v[100:101], v[100:101], v[104:105]
	v_pk_fma_f32 v[110:111], v[156:157], v[140:141], v[112:113] neg_lo:[0,0,1] neg_hi:[0,0,1]
	v_mov_b32_e32 v111, v103
	v_pk_fma_f32 v[102:103], v[158:159], v[142:143], v[108:109] op_sel_hi:[1,0,1]
	s_wait_loadcnt 0x1
	v_pk_mul_f32 v[104:105], v[160:161], v[144:145] op_sel:[1,1] op_sel_hi:[0,1]
	v_pk_add_f32 v[100:101], v[100:101], v[106:107]
	v_mov_b32_e32 v102, v147
	v_pk_fma_f32 v[108:109], v[158:159], v[142:143], v[108:109] neg_lo:[0,0,1] neg_hi:[0,0,1]
	v_mov_b32_e32 v109, v103
	v_pk_fma_f32 v[106:107], v[160:161], v[144:145], v[104:105] op_sel_hi:[1,0,1]
	v_pk_add_f32 v[100:101], v[100:101], v[110:111]
	v_pk_mul_f32 v[102:103], v[204:205], v[102:103] op_sel_hi:[1,0]
	v_pk_fma_f32 v[104:105], v[160:161], v[144:145], v[104:105] neg_lo:[0,0,1] neg_hi:[0,0,1]
	s_delay_alu instid0(VALU_DEP_4) | instskip(NEXT) | instid1(VALU_DEP_4)
	v_mov_b32_e32 v105, v107
	v_pk_add_f32 v[100:101], v[100:101], v[108:109]
	s_delay_alu instid0(VALU_DEP_4) | instskip(SKIP_1) | instid1(VALU_DEP_2)
	v_pk_fma_f32 v[106:107], v[162:163], v[146:147], v[102:103] op_sel_hi:[1,0,1]
	v_pk_fma_f32 v[102:103], v[162:163], v[146:147], v[102:103] neg_lo:[0,0,1] neg_hi:[0,0,1]
	v_mov_b32_e32 v103, v107
	s_delay_alu instid0(VALU_DEP_4) | instskip(NEXT) | instid1(VALU_DEP_1)
	v_pk_add_f32 v[100:101], v[100:101], v[104:105]
	v_pk_add_f32 v[100:101], v[100:101], v[102:103]
	s_wait_loadcnt 0x0
	s_delay_alu instid0(VALU_DEP_1)
	v_pk_add_f32 v[100:101], v[196:197], v[100:101] neg_lo:[0,1] neg_hi:[0,1]
	scratch_store_b64 off, v[100:101], off offset:192
	s_wait_xcnt 0x0
	v_cmpx_lt_u32_e32 23, v0
	s_cbranch_execz .LBB48_261
; %bb.260:
	scratch_load_b64 v[100:101], off, off offset:184
	v_mov_b64_e32 v[102:103], 0
	scratch_store_b64 off, v[102:103], off offset:184
	s_wait_loadcnt 0x0
	ds_store_b64 v1, v[100:101]
.LBB48_261:
	s_wait_xcnt 0x0
	s_or_b32 exec_lo, exec_lo, s0
	s_wait_storecnt_dscnt 0x0
	s_barrier_signal -1
	s_barrier_wait -1
	s_clause 0xd
	scratch_load_b128 v[100:103], off, off offset:192
	scratch_load_b128 v[104:107], off, off offset:208
	;; [unrolled: 1-line block ×12, first 2 shown]
	scratch_load_b64 v[196:197], off, off offset:384
	scratch_load_b64 v[198:199], off, off offset:184
	v_mov_b32_e32 v7, 0
	ds_load_b128 v[148:151], v7 offset:720
	ds_load_b128 v[152:155], v7 offset:736
	;; [unrolled: 1-line block ×12, first 2 shown]
	ds_load_b64 v[200:201], v7 offset:784
	s_mov_b32 s0, exec_lo
	s_wait_dscnt 0xc
	v_dual_mov_b32 v202, v151 :: v_dual_mov_b32 v203, v150
	s_wait_dscnt 0x9
	v_dual_mov_b32 v204, v155 :: v_dual_mov_b32 v209, v162
	v_dual_mov_b32 v205, v154 :: v_dual_mov_b32 v206, v159
	;; [unrolled: 1-line block ×3, first 2 shown]
	s_wait_loadcnt_dscnt 0xd08
	v_dual_mul_f32 v9, v164, v101 :: v_dual_mul_f32 v39, v165, v101
	v_dual_mul_f32 v41, v167, v103 :: v_dual_mul_f32 v11, v166, v103
	s_wait_loadcnt_dscnt 0xc07
	v_mul_f32_e32 v13, v168, v105
	s_wait_loadcnt_dscnt 0xa05
	v_dual_mul_f32 v51, v177, v113 :: v_dual_fma_f32 v39, v164, v100, -v39
	v_dual_fmac_f32 v9, v165, v100 :: v_dual_mul_f32 v53, v179, v115
	v_dual_mul_f32 v43, v169, v105 :: v_dual_mul_f32 v45, v171, v107
	v_dual_fmac_f32 v11, v167, v102 :: v_dual_fma_f32 v41, v166, v102, -v41
	s_delay_alu instid0(VALU_DEP_3) | instskip(SKIP_4) | instid1(VALU_DEP_3)
	v_dual_add_f32 v9, 0, v9 :: v_dual_add_f32 v39, 0, v39
	v_dual_mul_f32 v15, v170, v107 :: v_dual_mul_f32 v17, v172, v109
	s_wait_loadcnt_dscnt 0x904
	v_dual_mul_f32 v55, v181, v117 :: v_dual_fma_f32 v43, v168, v104, -v43
	v_fmac_f32_e32 v13, v169, v104
	v_dual_add_f32 v9, v9, v11 :: v_dual_fmac_f32 v15, v171, v106
	v_add_f32_e32 v11, v39, v41
	v_dual_mul_f32 v47, v173, v109 :: v_dual_mul_f32 v49, v175, v111
	v_dual_mul_f32 v39, v183, v119 :: v_dual_fma_f32 v41, v170, v106, -v45
	s_delay_alu instid0(VALU_DEP_3) | instskip(SKIP_3) | instid1(VALU_DEP_3)
	v_dual_add_f32 v9, v9, v13 :: v_dual_add_f32 v11, v11, v43
	v_dual_mul_f32 v19, v174, v111 :: v_dual_mul_f32 v21, v176, v113
	s_wait_loadcnt_dscnt 0x803
	v_dual_mul_f32 v13, v185, v121 :: v_dual_fma_f32 v43, v172, v108, -v47
	v_dual_fmac_f32 v17, v173, v108 :: v_dual_add_f32 v11, v11, v41
	s_delay_alu instid0(VALU_DEP_3) | instskip(SKIP_1) | instid1(VALU_DEP_2)
	v_dual_add_f32 v9, v9, v15 :: v_dual_fmac_f32 v19, v175, v110
	v_dual_mul_f32 v15, v187, v123 :: v_dual_fma_f32 v41, v174, v110, -v49
	v_dual_add_f32 v11, v11, v43 :: v_dual_add_f32 v9, v9, v17
	v_dual_mul_f32 v23, v178, v115 :: v_dual_mul_f32 v25, v180, v117
	s_wait_loadcnt_dscnt 0x702
	v_dual_mul_f32 v17, v189, v125 :: v_dual_fma_f32 v43, v176, v112, -v51
	s_delay_alu instid0(VALU_DEP_3) | instskip(NEXT) | instid1(VALU_DEP_3)
	v_dual_fmac_f32 v21, v177, v112 :: v_dual_add_f32 v11, v11, v41
	v_dual_add_f32 v9, v9, v19 :: v_dual_fmac_f32 v23, v179, v114
	v_dual_mul_f32 v19, v191, v127 :: v_dual_fma_f32 v41, v178, v114, -v53
	s_delay_alu instid0(VALU_DEP_2) | instskip(SKIP_3) | instid1(VALU_DEP_3)
	v_dual_add_f32 v11, v11, v43 :: v_dual_add_f32 v9, v9, v21
	v_dual_mul_f32 v27, v182, v119 :: v_dual_mul_f32 v29, v184, v121
	s_wait_loadcnt_dscnt 0x601
	v_dual_mul_f32 v21, v193, v129 :: v_dual_fma_f32 v43, v180, v116, -v55
	v_dual_fmac_f32 v25, v181, v116 :: v_dual_add_f32 v11, v11, v41
	s_delay_alu instid0(VALU_DEP_3) | instskip(SKIP_1) | instid1(VALU_DEP_2)
	v_dual_add_f32 v9, v9, v23 :: v_dual_fmac_f32 v27, v183, v118
	v_dual_mul_f32 v23, v195, v131 :: v_dual_fma_f32 v39, v182, v118, -v39
	v_dual_add_f32 v11, v11, v43 :: v_dual_add_f32 v9, v9, v25
	v_dual_mul_f32 v31, v186, v123 :: v_dual_mul_f32 v33, v188, v125
	s_wait_loadcnt 0x5
	v_dual_mul_f32 v25, v149, v133 :: v_dual_fma_f32 v13, v184, v120, -v13
	s_delay_alu instid0(VALU_DEP_3) | instskip(SKIP_2) | instid1(VALU_DEP_3)
	v_dual_fmac_f32 v29, v185, v120 :: v_dual_add_f32 v11, v11, v39
	v_dual_add_f32 v9, v9, v27 :: v_dual_mov_b32 v100, v135
	v_fmac_f32_e32 v31, v187, v122
	v_dual_fma_f32 v15, v186, v122, -v15 :: v_dual_add_f32 v11, v11, v13
	s_delay_alu instid0(VALU_DEP_3) | instskip(SKIP_1) | instid1(VALU_DEP_3)
	v_dual_add_f32 v9, v9, v29 :: v_dual_mul_f32 v35, v190, v127
	v_dual_mul_f32 v37, v192, v129 :: v_dual_fmac_f32 v33, v189, v124
	v_dual_add_f32 v11, v11, v15 :: v_dual_fma_f32 v13, v188, v124, -v17
	s_wait_loadcnt 0x4
	s_delay_alu instid0(VALU_DEP_3) | instskip(SKIP_3) | instid1(VALU_DEP_4)
	v_dual_add_f32 v9, v9, v31 :: v_dual_mov_b32 v104, v139
	v_fma_f32 v15, v190, v126, -v19
	v_fmac_f32_e32 v35, v191, v126
	v_dual_add_f32 v11, v11, v13 :: v_dual_fmac_f32 v37, v193, v128
	v_dual_add_f32 v9, v9, v33 :: v_dual_mul_f32 v211, v194, v131
	v_mul_f32_e32 v213, v148, v133
	s_delay_alu instid0(VALU_DEP_3) | instskip(NEXT) | instid1(VALU_DEP_3)
	v_dual_fma_f32 v13, v192, v128, -v21 :: v_dual_add_f32 v11, v11, v15
	v_dual_fma_f32 v210, v194, v130, -v23 :: v_dual_add_f32 v9, v9, v35
	s_delay_alu instid0(VALU_DEP_4) | instskip(SKIP_1) | instid1(VALU_DEP_4)
	v_fmac_f32_e32 v211, v195, v130
	v_pk_mul_f32 v[100:101], v[202:203], v[100:101] op_sel_hi:[1,0]
	v_dual_add_f32 v108, v11, v13 :: v_dual_fmac_f32 v213, v149, v132
	s_delay_alu instid0(VALU_DEP_4)
	v_add_f32_e32 v109, v9, v37
	v_pk_mul_f32 v[102:103], v[152:153], v[136:137] op_sel:[1,1] op_sel_hi:[0,1]
	s_wait_loadcnt 0x3
	v_dual_mov_b32 v110, v143 :: v_dual_fma_f32 v212, v148, v132, -v25
	v_pk_fma_f32 v[112:113], v[150:151], v[134:135], v[100:101] op_sel_hi:[1,0,1]
	v_pk_add_f32 v[108:109], v[108:109], v[210:211]
	v_pk_fma_f32 v[100:101], v[150:151], v[134:135], v[100:101] neg_lo:[0,0,1] neg_hi:[0,0,1]
	v_pk_fma_f32 v[114:115], v[152:153], v[136:137], v[102:103] op_sel_hi:[1,0,1]
	v_pk_mul_f32 v[104:105], v[204:205], v[104:105] op_sel_hi:[1,0]
	v_mov_b32_e32 v101, v113
	v_pk_add_f32 v[108:109], v[108:109], v[212:213]
	v_pk_fma_f32 v[102:103], v[152:153], v[136:137], v[102:103] neg_lo:[0,0,1] neg_hi:[0,0,1]
	v_pk_mul_f32 v[106:107], v[156:157], v[140:141] op_sel:[1,1] op_sel_hi:[0,1]
	v_mov_b32_e32 v103, v115
	v_pk_fma_f32 v[114:115], v[154:155], v[138:139], v[104:105] op_sel_hi:[1,0,1]
	v_pk_add_f32 v[100:101], v[108:109], v[100:101]
	v_pk_fma_f32 v[104:105], v[154:155], v[138:139], v[104:105] neg_lo:[0,0,1] neg_hi:[0,0,1]
	v_pk_fma_f32 v[108:109], v[156:157], v[140:141], v[106:107] op_sel_hi:[1,0,1]
	v_pk_mul_f32 v[110:111], v[206:207], v[110:111] op_sel_hi:[1,0]
	v_mov_b32_e32 v105, v115
	v_pk_add_f32 v[100:101], v[100:101], v[102:103]
	v_pk_fma_f32 v[106:107], v[156:157], v[140:141], v[106:107] neg_lo:[0,0,1] neg_hi:[0,0,1]
	s_wait_loadcnt 0x2
	v_pk_mul_f32 v[112:113], v[160:161], v[144:145] op_sel:[1,1] op_sel_hi:[0,1]
	v_dual_mov_b32 v102, v147 :: v_dual_mov_b32 v107, v109
	v_pk_fma_f32 v[108:109], v[158:159], v[142:143], v[110:111] op_sel_hi:[1,0,1]
	v_pk_add_f32 v[100:101], v[100:101], v[104:105]
	v_pk_fma_f32 v[110:111], v[158:159], v[142:143], v[110:111] neg_lo:[0,0,1] neg_hi:[0,0,1]
	v_pk_fma_f32 v[104:105], v[160:161], v[144:145], v[112:113] op_sel_hi:[1,0,1]
	v_pk_mul_f32 v[102:103], v[208:209], v[102:103] op_sel_hi:[1,0]
	v_mov_b32_e32 v111, v109
	v_pk_add_f32 v[100:101], v[100:101], v[106:107]
	v_pk_fma_f32 v[106:107], v[160:161], v[144:145], v[112:113] neg_lo:[0,0,1] neg_hi:[0,0,1]
	v_mov_b32_e32 v107, v105
	v_pk_fma_f32 v[104:105], v[162:163], v[146:147], v[102:103] op_sel_hi:[1,0,1]
	s_wait_loadcnt_dscnt 0x100
	v_pk_mul_f32 v[108:109], v[200:201], v[196:197] op_sel:[1,1] op_sel_hi:[0,1]
	v_pk_add_f32 v[100:101], v[100:101], v[110:111]
	v_pk_fma_f32 v[102:103], v[162:163], v[146:147], v[102:103] neg_lo:[0,0,1] neg_hi:[0,0,1]
	v_mov_b32_e32 v103, v105
	s_delay_alu instid0(VALU_DEP_4) | instskip(NEXT) | instid1(VALU_DEP_4)
	v_pk_fma_f32 v[104:105], v[200:201], v[196:197], v[108:109] op_sel_hi:[1,0,1]
	v_pk_add_f32 v[100:101], v[100:101], v[106:107]
	v_pk_fma_f32 v[106:107], v[200:201], v[196:197], v[108:109] neg_lo:[0,0,1] neg_hi:[0,0,1]
	s_delay_alu instid0(VALU_DEP_3) | instskip(NEXT) | instid1(VALU_DEP_3)
	v_mov_b32_e32 v107, v105
	v_pk_add_f32 v[100:101], v[100:101], v[102:103]
	s_delay_alu instid0(VALU_DEP_1) | instskip(SKIP_1) | instid1(VALU_DEP_1)
	v_pk_add_f32 v[100:101], v[100:101], v[106:107]
	s_wait_loadcnt 0x0
	v_pk_add_f32 v[100:101], v[198:199], v[100:101] neg_lo:[0,1] neg_hi:[0,1]
	scratch_store_b64 off, v[100:101], off offset:184
	s_wait_xcnt 0x0
	v_cmpx_lt_u32_e32 22, v0
	s_cbranch_execz .LBB48_263
; %bb.262:
	scratch_load_b64 v[100:101], off, off offset:176
	v_mov_b64_e32 v[102:103], 0
	scratch_store_b64 off, v[102:103], off offset:176
	s_wait_loadcnt 0x0
	ds_store_b64 v1, v[100:101]
.LBB48_263:
	s_wait_xcnt 0x0
	s_or_b32 exec_lo, exec_lo, s0
	s_wait_storecnt_dscnt 0x0
	s_barrier_signal -1
	s_barrier_wait -1
	s_clause 0xd
	scratch_load_b128 v[100:103], off, off offset:184
	scratch_load_b128 v[104:107], off, off offset:200
	;; [unrolled: 1-line block ×13, first 2 shown]
	scratch_load_b64 v[204:205], off, off offset:176
	ds_load_2addr_b64 v[152:155], v7 offset0:91 offset1:92
	ds_load_2addr_b64 v[156:159], v7 offset0:93 offset1:94
	;; [unrolled: 1-line block ×13, first 2 shown]
	s_mov_b32 s0, exec_lo
	s_wait_dscnt 0xc
	v_dual_mov_b32 v206, v155 :: v_dual_mov_b32 v207, v154
	s_wait_dscnt 0xb
	v_dual_mov_b32 v208, v159 :: v_dual_mov_b32 v209, v158
	;; [unrolled: 2-line block ×4, first 2 shown]
	s_wait_loadcnt_dscnt 0xd08
	v_dual_mul_f32 v7, v168, v101 :: v_dual_mul_f32 v9, v170, v103
	v_dual_mul_f32 v39, v169, v101 :: v_dual_mul_f32 v41, v171, v103
	s_wait_loadcnt_dscnt 0xc07
	v_dual_mul_f32 v11, v172, v105 :: v_dual_mul_f32 v13, v174, v107
	s_delay_alu instid0(VALU_DEP_3) | instskip(SKIP_3) | instid1(VALU_DEP_3)
	v_dual_fmac_f32 v7, v169, v100 :: v_dual_fmac_f32 v9, v171, v102
	s_wait_loadcnt_dscnt 0xa05
	v_dual_fma_f32 v39, v168, v100, -v39 :: v_dual_mul_f32 v51, v181, v113
	v_dual_mul_f32 v43, v173, v105 :: v_dual_mul_f32 v45, v175, v107
	v_dual_fma_f32 v41, v170, v102, -v41 :: v_dual_add_f32 v7, 0, v7
	s_delay_alu instid0(VALU_DEP_3) | instskip(SKIP_1) | instid1(VALU_DEP_4)
	v_dual_add_f32 v39, 0, v39 :: v_dual_fmac_f32 v11, v173, v104
	v_dual_mul_f32 v15, v176, v109 :: v_dual_mul_f32 v17, v178, v111
	v_dual_mul_f32 v53, v183, v115 :: v_dual_fma_f32 v43, v172, v104, -v43
	s_delay_alu instid0(VALU_DEP_4) | instskip(NEXT) | instid1(VALU_DEP_3)
	v_add_f32_e32 v7, v7, v9
	v_dual_add_f32 v9, v39, v41 :: v_dual_fmac_f32 v15, v177, v108
	v_dual_mul_f32 v47, v177, v109 :: v_dual_mul_f32 v49, v179, v111
	s_wait_loadcnt_dscnt 0x903
	v_dual_mul_f32 v39, v189, v117 :: v_dual_fmac_f32 v13, v175, v106
	v_dual_fma_f32 v41, v174, v106, -v45 :: v_dual_add_f32 v7, v7, v11
	s_delay_alu instid0(VALU_DEP_3) | instskip(SKIP_1) | instid1(VALU_DEP_3)
	v_dual_add_f32 v9, v9, v43 :: v_dual_fma_f32 v43, v176, v108, -v47
	v_dual_mul_f32 v19, v180, v113 :: v_dual_mul_f32 v21, v182, v115
	v_add_f32_e32 v7, v7, v13
	s_delay_alu instid0(VALU_DEP_3) | instskip(SKIP_2) | instid1(VALU_DEP_3)
	v_dual_mul_f32 v11, v191, v119 :: v_dual_add_f32 v9, v9, v41
	s_wait_loadcnt_dscnt 0x802
	v_dual_mul_f32 v13, v193, v121 :: v_dual_fmac_f32 v17, v179, v110
	v_dual_fma_f32 v41, v178, v110, -v49 :: v_dual_add_f32 v7, v7, v15
	s_delay_alu instid0(VALU_DEP_3) | instskip(SKIP_1) | instid1(VALU_DEP_3)
	v_dual_add_f32 v9, v9, v43 :: v_dual_fma_f32 v43, v180, v112, -v51
	v_dual_mul_f32 v15, v195, v123 :: v_dual_fmac_f32 v19, v181, v112
	v_add_f32_e32 v7, v7, v17
	s_delay_alu instid0(VALU_DEP_3)
	v_dual_add_f32 v9, v9, v41 :: v_dual_fmac_f32 v21, v183, v114
	v_dual_mul_f32 v23, v188, v117 :: v_dual_mul_f32 v25, v190, v119
	s_wait_loadcnt_dscnt 0x701
	v_dual_fma_f32 v41, v182, v114, -v53 :: v_dual_mul_f32 v17, v197, v125
	v_add_f32_e32 v7, v7, v19
	v_dual_add_f32 v9, v9, v43 :: v_dual_fma_f32 v39, v188, v116, -v39
	v_dual_mul_f32 v19, v199, v127 :: v_dual_fmac_f32 v23, v189, v116
	s_delay_alu instid0(VALU_DEP_3) | instskip(NEXT) | instid1(VALU_DEP_3)
	v_dual_add_f32 v7, v7, v21 :: v_dual_fma_f32 v11, v190, v118, -v11
	v_dual_add_f32 v9, v9, v41 :: v_dual_fmac_f32 v25, v191, v118
	v_dual_mul_f32 v27, v192, v121 :: v_dual_mul_f32 v29, v194, v123
	s_wait_loadcnt_dscnt 0x600
	s_delay_alu instid0(VALU_DEP_3) | instskip(NEXT) | instid1(VALU_DEP_3)
	v_dual_mul_f32 v21, v201, v129 :: v_dual_add_f32 v7, v7, v23
	v_dual_add_f32 v9, v9, v39 :: v_dual_fma_f32 v13, v192, v120, -v13
	s_delay_alu instid0(VALU_DEP_3) | instskip(NEXT) | instid1(VALU_DEP_2)
	v_dual_mul_f32 v23, v203, v131 :: v_dual_fmac_f32 v27, v193, v120
	v_dual_add_f32 v7, v7, v25 :: v_dual_add_f32 v9, v9, v11
	v_dual_mul_f32 v31, v196, v125 :: v_dual_mul_f32 v33, v198, v127
	s_wait_loadcnt 0x5
	v_dual_mul_f32 v11, v185, v133 :: v_dual_fmac_f32 v29, v195, v122
	s_delay_alu instid0(VALU_DEP_3) | instskip(SKIP_2) | instid1(VALU_DEP_2)
	v_dual_fma_f32 v15, v194, v122, -v15 :: v_dual_add_f32 v7, v7, v27
	v_dual_add_f32 v9, v9, v13 :: v_dual_mul_f32 v13, v187, v135
	v_dual_fmac_f32 v31, v197, v124 :: v_dual_fma_f32 v17, v196, v124, -v17
	v_dual_add_f32 v7, v7, v29 :: v_dual_add_f32 v9, v9, v15
	v_dual_mul_f32 v35, v200, v129 :: v_dual_mul_f32 v37, v202, v131
	v_dual_fmac_f32 v33, v199, v126 :: v_dual_fma_f32 v15, v198, v126, -v19
	s_delay_alu instid0(VALU_DEP_3) | instskip(SKIP_1) | instid1(VALU_DEP_3)
	v_dual_add_f32 v7, v7, v31 :: v_dual_add_f32 v9, v9, v17
	s_wait_loadcnt 0x4
	v_dual_mov_b32 v102, v139 :: v_dual_fmac_f32 v35, v201, v128
	s_delay_alu instid0(VALU_DEP_2) | instskip(NEXT) | instid1(VALU_DEP_3)
	v_dual_fma_f32 v17, v200, v128, -v21 :: v_dual_add_f32 v7, v7, v33
	v_dual_add_f32 v9, v9, v15 :: v_dual_fmac_f32 v37, v203, v130
	v_dual_mul_f32 v215, v184, v133 :: v_dual_mul_f32 v217, v186, v135
	s_delay_alu instid0(VALU_DEP_3) | instskip(SKIP_1) | instid1(VALU_DEP_3)
	v_dual_fma_f32 v15, v202, v130, -v23 :: v_dual_add_f32 v7, v7, v35
	s_wait_loadcnt 0x3
	v_dual_add_f32 v9, v9, v17 :: v_dual_mov_b32 v106, v143
	v_pk_mul_f32 v[100:101], v[152:153], v[136:137] op_sel:[1,1] op_sel_hi:[0,1]
	s_delay_alu instid0(VALU_DEP_3) | instskip(NEXT) | instid1(VALU_DEP_3)
	v_dual_fmac_f32 v215, v185, v132 :: v_dual_add_f32 v109, v7, v37
	v_dual_fma_f32 v214, v184, v132, -v11 :: v_dual_add_f32 v108, v9, v15
	v_fmac_f32_e32 v217, v187, v134
	s_delay_alu instid0(VALU_DEP_4)
	v_pk_fma_f32 v[110:111], v[152:153], v[136:137], v[100:101] op_sel_hi:[1,0,1]
	v_fma_f32 v216, v186, v134, -v13
	v_pk_mul_f32 v[102:103], v[206:207], v[102:103] op_sel_hi:[1,0]
	v_pk_add_f32 v[108:109], v[108:109], v[214:215]
	v_pk_fma_f32 v[100:101], v[152:153], v[136:137], v[100:101] neg_lo:[0,0,1] neg_hi:[0,0,1]
	v_pk_mul_f32 v[104:105], v[156:157], v[140:141] op_sel:[1,1] op_sel_hi:[0,1]
	v_mov_b32_e32 v101, v111
	v_pk_fma_f32 v[110:111], v[154:155], v[138:139], v[102:103] op_sel_hi:[1,0,1]
	v_pk_add_f32 v[108:109], v[108:109], v[216:217]
	v_pk_fma_f32 v[102:103], v[154:155], v[138:139], v[102:103] neg_lo:[0,0,1] neg_hi:[0,0,1]
	v_pk_fma_f32 v[114:115], v[156:157], v[140:141], v[104:105] op_sel_hi:[1,0,1]
	v_pk_mul_f32 v[106:107], v[208:209], v[106:107] op_sel_hi:[1,0]
	v_mov_b32_e32 v103, v111
	v_pk_add_f32 v[100:101], v[108:109], v[100:101]
	s_wait_loadcnt 0x2
	v_pk_mul_f32 v[112:113], v[160:161], v[144:145] op_sel:[1,1] op_sel_hi:[0,1]
	v_mov_b32_e32 v108, v147
	v_pk_fma_f32 v[104:105], v[156:157], v[140:141], v[104:105] neg_lo:[0,0,1] neg_hi:[0,0,1]
	v_pk_fma_f32 v[110:111], v[158:159], v[142:143], v[106:107] op_sel_hi:[1,0,1]
	v_mov_b32_e32 v105, v115
	v_pk_add_f32 v[100:101], v[100:101], v[102:103]
	v_pk_fma_f32 v[102:103], v[160:161], v[144:145], v[112:113] op_sel_hi:[1,0,1]
	v_pk_mul_f32 v[108:109], v[210:211], v[108:109] op_sel_hi:[1,0]
	v_pk_fma_f32 v[106:107], v[158:159], v[142:143], v[106:107] neg_lo:[0,0,1] neg_hi:[0,0,1]
	v_mov_b32_e32 v107, v111
	v_pk_add_f32 v[100:101], v[100:101], v[104:105]
	v_pk_fma_f32 v[110:111], v[160:161], v[144:145], v[112:113] neg_lo:[0,0,1] neg_hi:[0,0,1]
	v_mov_b32_e32 v111, v103
	v_pk_fma_f32 v[102:103], v[162:163], v[146:147], v[108:109] op_sel_hi:[1,0,1]
	s_wait_loadcnt 0x1
	v_pk_mul_f32 v[104:105], v[164:165], v[148:149] op_sel:[1,1] op_sel_hi:[0,1]
	v_pk_add_f32 v[100:101], v[100:101], v[106:107]
	v_mov_b32_e32 v102, v151
	v_pk_fma_f32 v[108:109], v[162:163], v[146:147], v[108:109] neg_lo:[0,0,1] neg_hi:[0,0,1]
	s_delay_alu instid0(VALU_DEP_4)
	v_pk_fma_f32 v[106:107], v[164:165], v[148:149], v[104:105] op_sel_hi:[1,0,1]
	v_mov_b32_e32 v109, v103
	v_pk_add_f32 v[100:101], v[100:101], v[110:111]
	v_pk_mul_f32 v[102:103], v[212:213], v[102:103] op_sel_hi:[1,0]
	v_pk_fma_f32 v[104:105], v[164:165], v[148:149], v[104:105] neg_lo:[0,0,1] neg_hi:[0,0,1]
	v_mov_b32_e32 v105, v107
	s_delay_alu instid0(VALU_DEP_4) | instskip(NEXT) | instid1(VALU_DEP_4)
	v_pk_add_f32 v[100:101], v[100:101], v[108:109]
	v_pk_fma_f32 v[106:107], v[166:167], v[150:151], v[102:103] op_sel_hi:[1,0,1]
	v_pk_fma_f32 v[102:103], v[166:167], v[150:151], v[102:103] neg_lo:[0,0,1] neg_hi:[0,0,1]
	s_delay_alu instid0(VALU_DEP_3) | instskip(NEXT) | instid1(VALU_DEP_3)
	v_pk_add_f32 v[100:101], v[100:101], v[104:105]
	v_mov_b32_e32 v103, v107
	s_delay_alu instid0(VALU_DEP_1) | instskip(SKIP_1) | instid1(VALU_DEP_1)
	v_pk_add_f32 v[100:101], v[100:101], v[102:103]
	s_wait_loadcnt 0x0
	v_pk_add_f32 v[100:101], v[204:205], v[100:101] neg_lo:[0,1] neg_hi:[0,1]
	scratch_store_b64 off, v[100:101], off offset:176
	s_wait_xcnt 0x0
	v_cmpx_lt_u32_e32 21, v0
	s_cbranch_execz .LBB48_265
; %bb.264:
	scratch_load_b64 v[100:101], off, off offset:168
	v_mov_b64_e32 v[102:103], 0
	scratch_store_b64 off, v[102:103], off offset:168
	s_wait_loadcnt 0x0
	ds_store_b64 v1, v[100:101]
.LBB48_265:
	s_wait_xcnt 0x0
	s_or_b32 exec_lo, exec_lo, s0
	s_wait_storecnt_dscnt 0x0
	s_barrier_signal -1
	s_barrier_wait -1
	s_clause 0xe
	scratch_load_b128 v[100:103], off, off offset:176
	scratch_load_b128 v[104:107], off, off offset:192
	;; [unrolled: 1-line block ×13, first 2 shown]
	scratch_load_b64 v[204:205], off, off offset:384
	scratch_load_b64 v[206:207], off, off offset:168
	v_mov_b32_e32 v7, 0
	ds_load_b128 v[152:155], v7 offset:720
	ds_load_b128 v[156:159], v7 offset:736
	;; [unrolled: 1-line block ×13, first 2 shown]
	ds_load_b64 v[208:209], v7 offset:784
	s_mov_b32 s0, exec_lo
	s_wait_dscnt 0xd
	v_dual_mov_b32 v210, v155 :: v_dual_mov_b32 v211, v154
	s_wait_dscnt 0xa
	v_dual_mov_b32 v212, v159 :: v_dual_mov_b32 v217, v166
	v_dual_mov_b32 v213, v158 :: v_dual_mov_b32 v214, v163
	;; [unrolled: 1-line block ×3, first 2 shown]
	s_wait_loadcnt_dscnt 0xe09
	v_dual_mul_f32 v9, v168, v101 :: v_dual_mul_f32 v43, v169, v101
	v_dual_mul_f32 v45, v171, v103 :: v_dual_mul_f32 v11, v170, v103
	s_wait_loadcnt_dscnt 0xd08
	v_mul_f32_e32 v13, v172, v105
	s_wait_loadcnt_dscnt 0xb05
	v_dual_mul_f32 v55, v185, v113 :: v_dual_fma_f32 v43, v168, v100, -v43
	v_dual_fmac_f32 v9, v169, v100 :: v_dual_mul_f32 v57, v187, v115
	v_dual_mul_f32 v47, v173, v105 :: v_dual_mul_f32 v49, v175, v107
	v_dual_fmac_f32 v11, v171, v102 :: v_dual_fma_f32 v45, v170, v102, -v45
	s_delay_alu instid0(VALU_DEP_3) | instskip(SKIP_4) | instid1(VALU_DEP_3)
	v_dual_add_f32 v9, 0, v9 :: v_dual_add_f32 v43, 0, v43
	v_dual_mul_f32 v15, v174, v107 :: v_dual_mul_f32 v17, v176, v109
	s_wait_loadcnt_dscnt 0xa04
	v_dual_mul_f32 v59, v189, v117 :: v_dual_fma_f32 v47, v172, v104, -v47
	v_fmac_f32_e32 v13, v173, v104
	v_dual_add_f32 v9, v9, v11 :: v_dual_fmac_f32 v15, v175, v106
	v_add_f32_e32 v11, v43, v45
	v_dual_mul_f32 v51, v177, v109 :: v_dual_mul_f32 v53, v179, v111
	v_dual_mul_f32 v43, v191, v119 :: v_dual_fma_f32 v45, v174, v106, -v49
	s_delay_alu instid0(VALU_DEP_3) | instskip(SKIP_3) | instid1(VALU_DEP_3)
	v_dual_add_f32 v9, v9, v13 :: v_dual_add_f32 v11, v11, v47
	v_dual_mul_f32 v19, v178, v111 :: v_dual_mul_f32 v21, v184, v113
	s_wait_loadcnt_dscnt 0x903
	v_dual_mul_f32 v13, v193, v121 :: v_dual_fma_f32 v47, v176, v108, -v51
	v_dual_fmac_f32 v17, v177, v108 :: v_dual_add_f32 v11, v11, v45
	s_delay_alu instid0(VALU_DEP_3) | instskip(SKIP_1) | instid1(VALU_DEP_2)
	v_dual_add_f32 v9, v9, v15 :: v_dual_fmac_f32 v19, v179, v110
	v_dual_mul_f32 v15, v195, v123 :: v_dual_fma_f32 v45, v178, v110, -v53
	v_dual_add_f32 v11, v11, v47 :: v_dual_add_f32 v9, v9, v17
	v_dual_mul_f32 v23, v186, v115 :: v_dual_mul_f32 v25, v188, v117
	s_wait_loadcnt_dscnt 0x802
	v_dual_mul_f32 v17, v197, v125 :: v_dual_fma_f32 v47, v184, v112, -v55
	s_delay_alu instid0(VALU_DEP_3) | instskip(NEXT) | instid1(VALU_DEP_3)
	v_dual_fmac_f32 v21, v185, v112 :: v_dual_add_f32 v11, v11, v45
	v_dual_add_f32 v9, v9, v19 :: v_dual_fmac_f32 v23, v187, v114
	v_dual_mul_f32 v19, v199, v127 :: v_dual_fma_f32 v45, v186, v114, -v57
	s_delay_alu instid0(VALU_DEP_2) | instskip(SKIP_3) | instid1(VALU_DEP_3)
	v_dual_add_f32 v11, v11, v47 :: v_dual_add_f32 v9, v9, v21
	v_dual_mul_f32 v27, v190, v119 :: v_dual_mul_f32 v29, v192, v121
	s_wait_loadcnt_dscnt 0x701
	v_dual_mul_f32 v21, v201, v129 :: v_dual_fma_f32 v47, v188, v116, -v59
	v_dual_fmac_f32 v25, v189, v116 :: v_dual_add_f32 v11, v11, v45
	s_delay_alu instid0(VALU_DEP_3) | instskip(SKIP_1) | instid1(VALU_DEP_2)
	v_dual_add_f32 v9, v9, v23 :: v_dual_fmac_f32 v27, v191, v118
	v_dual_mul_f32 v23, v203, v131 :: v_dual_fma_f32 v43, v190, v118, -v43
	v_dual_add_f32 v11, v11, v47 :: v_dual_add_f32 v9, v9, v25
	v_dual_mul_f32 v31, v194, v123 :: v_dual_mul_f32 v33, v196, v125
	s_wait_loadcnt 0x6
	v_dual_mul_f32 v25, v181, v133 :: v_dual_fma_f32 v13, v192, v120, -v13
	s_delay_alu instid0(VALU_DEP_3) | instskip(NEXT) | instid1(VALU_DEP_3)
	v_dual_fmac_f32 v29, v193, v120 :: v_dual_add_f32 v11, v11, v43
	v_dual_add_f32 v9, v9, v27 :: v_dual_fmac_f32 v31, v195, v122
	v_dual_mul_f32 v27, v183, v135 :: v_dual_fma_f32 v15, v194, v122, -v15
	s_delay_alu instid0(VALU_DEP_3) | instskip(NEXT) | instid1(VALU_DEP_3)
	v_dual_add_f32 v11, v11, v13 :: v_dual_fmac_f32 v33, v197, v124
	v_dual_add_f32 v9, v9, v29 :: v_dual_fma_f32 v17, v196, v124, -v17
	v_dual_mul_f32 v35, v198, v127 :: v_dual_mul_f32 v37, v200, v129
	s_wait_loadcnt 0x5
	s_delay_alu instid0(VALU_DEP_3) | instskip(NEXT) | instid1(VALU_DEP_3)
	v_dual_mul_f32 v13, v153, v137 :: v_dual_add_f32 v11, v11, v15
	v_dual_add_f32 v9, v9, v31 :: v_dual_mov_b32 v100, v139
	s_delay_alu instid0(VALU_DEP_3) | instskip(NEXT) | instid1(VALU_DEP_3)
	v_fmac_f32_e32 v35, v199, v126
	v_dual_fma_f32 v15, v198, v126, -v19 :: v_dual_add_f32 v11, v11, v17
	s_delay_alu instid0(VALU_DEP_3) | instskip(SKIP_1) | instid1(VALU_DEP_3)
	v_dual_add_f32 v9, v9, v33 :: v_dual_mul_f32 v39, v202, v131
	v_dual_mul_f32 v41, v180, v133 :: v_dual_fmac_f32 v37, v201, v128
	v_dual_add_f32 v11, v11, v15 :: v_dual_fma_f32 v17, v200, v128, -v21
	s_wait_loadcnt 0x4
	s_delay_alu instid0(VALU_DEP_3) | instskip(SKIP_3) | instid1(VALU_DEP_4)
	v_dual_add_f32 v9, v9, v35 :: v_dual_mov_b32 v104, v143
	v_fma_f32 v15, v202, v130, -v23
	v_fmac_f32_e32 v39, v203, v130
	v_dual_add_f32 v11, v11, v17 :: v_dual_fmac_f32 v41, v181, v132
	v_dual_add_f32 v9, v9, v37 :: v_dual_mul_f32 v219, v182, v135
	v_mul_f32_e32 v221, v152, v137
	s_delay_alu instid0(VALU_DEP_3) | instskip(NEXT) | instid1(VALU_DEP_3)
	v_dual_fma_f32 v17, v180, v132, -v25 :: v_dual_add_f32 v11, v11, v15
	v_dual_fma_f32 v218, v182, v134, -v27 :: v_dual_add_f32 v9, v9, v39
	s_delay_alu instid0(VALU_DEP_4) | instskip(SKIP_1) | instid1(VALU_DEP_4)
	v_fmac_f32_e32 v219, v183, v134
	v_pk_mul_f32 v[100:101], v[210:211], v[100:101] op_sel_hi:[1,0]
	v_dual_add_f32 v108, v11, v17 :: v_dual_fmac_f32 v221, v153, v136
	s_delay_alu instid0(VALU_DEP_4)
	v_add_f32_e32 v109, v9, v41
	v_pk_mul_f32 v[102:103], v[156:157], v[140:141] op_sel:[1,1] op_sel_hi:[0,1]
	s_wait_loadcnt 0x3
	v_dual_mov_b32 v110, v147 :: v_dual_fma_f32 v220, v152, v136, -v13
	v_pk_fma_f32 v[112:113], v[154:155], v[138:139], v[100:101] op_sel_hi:[1,0,1]
	v_pk_add_f32 v[108:109], v[108:109], v[218:219]
	v_pk_fma_f32 v[100:101], v[154:155], v[138:139], v[100:101] neg_lo:[0,0,1] neg_hi:[0,0,1]
	v_pk_fma_f32 v[114:115], v[156:157], v[140:141], v[102:103] op_sel_hi:[1,0,1]
	v_pk_mul_f32 v[104:105], v[212:213], v[104:105] op_sel_hi:[1,0]
	v_mov_b32_e32 v101, v113
	v_pk_add_f32 v[108:109], v[108:109], v[220:221]
	v_pk_fma_f32 v[102:103], v[156:157], v[140:141], v[102:103] neg_lo:[0,0,1] neg_hi:[0,0,1]
	v_pk_mul_f32 v[106:107], v[160:161], v[144:145] op_sel:[1,1] op_sel_hi:[0,1]
	v_mov_b32_e32 v103, v115
	v_pk_fma_f32 v[114:115], v[158:159], v[142:143], v[104:105] op_sel_hi:[1,0,1]
	v_pk_add_f32 v[100:101], v[108:109], v[100:101]
	v_pk_fma_f32 v[104:105], v[158:159], v[142:143], v[104:105] neg_lo:[0,0,1] neg_hi:[0,0,1]
	v_pk_fma_f32 v[108:109], v[160:161], v[144:145], v[106:107] op_sel_hi:[1,0,1]
	v_pk_mul_f32 v[110:111], v[214:215], v[110:111] op_sel_hi:[1,0]
	v_mov_b32_e32 v105, v115
	v_pk_add_f32 v[100:101], v[100:101], v[102:103]
	v_pk_fma_f32 v[106:107], v[160:161], v[144:145], v[106:107] neg_lo:[0,0,1] neg_hi:[0,0,1]
	s_wait_loadcnt 0x2
	v_pk_mul_f32 v[112:113], v[164:165], v[148:149] op_sel:[1,1] op_sel_hi:[0,1]
	v_dual_mov_b32 v102, v151 :: v_dual_mov_b32 v107, v109
	v_pk_fma_f32 v[108:109], v[162:163], v[146:147], v[110:111] op_sel_hi:[1,0,1]
	v_pk_add_f32 v[100:101], v[100:101], v[104:105]
	v_pk_fma_f32 v[110:111], v[162:163], v[146:147], v[110:111] neg_lo:[0,0,1] neg_hi:[0,0,1]
	v_pk_fma_f32 v[104:105], v[164:165], v[148:149], v[112:113] op_sel_hi:[1,0,1]
	v_pk_mul_f32 v[102:103], v[216:217], v[102:103] op_sel_hi:[1,0]
	v_mov_b32_e32 v111, v109
	v_pk_add_f32 v[100:101], v[100:101], v[106:107]
	v_pk_fma_f32 v[106:107], v[164:165], v[148:149], v[112:113] neg_lo:[0,0,1] neg_hi:[0,0,1]
	v_mov_b32_e32 v107, v105
	v_pk_fma_f32 v[104:105], v[166:167], v[150:151], v[102:103] op_sel_hi:[1,0,1]
	s_wait_loadcnt_dscnt 0x100
	v_pk_mul_f32 v[108:109], v[208:209], v[204:205] op_sel:[1,1] op_sel_hi:[0,1]
	v_pk_add_f32 v[100:101], v[100:101], v[110:111]
	v_pk_fma_f32 v[102:103], v[166:167], v[150:151], v[102:103] neg_lo:[0,0,1] neg_hi:[0,0,1]
	v_mov_b32_e32 v103, v105
	s_delay_alu instid0(VALU_DEP_4) | instskip(NEXT) | instid1(VALU_DEP_4)
	v_pk_fma_f32 v[104:105], v[208:209], v[204:205], v[108:109] op_sel_hi:[1,0,1]
	v_pk_add_f32 v[100:101], v[100:101], v[106:107]
	v_pk_fma_f32 v[106:107], v[208:209], v[204:205], v[108:109] neg_lo:[0,0,1] neg_hi:[0,0,1]
	s_delay_alu instid0(VALU_DEP_3) | instskip(NEXT) | instid1(VALU_DEP_3)
	v_mov_b32_e32 v107, v105
	v_pk_add_f32 v[100:101], v[100:101], v[102:103]
	s_delay_alu instid0(VALU_DEP_1) | instskip(SKIP_1) | instid1(VALU_DEP_1)
	v_pk_add_f32 v[100:101], v[100:101], v[106:107]
	s_wait_loadcnt 0x0
	v_pk_add_f32 v[100:101], v[206:207], v[100:101] neg_lo:[0,1] neg_hi:[0,1]
	scratch_store_b64 off, v[100:101], off offset:168
	s_wait_xcnt 0x0
	v_cmpx_lt_u32_e32 20, v0
	s_cbranch_execz .LBB48_267
; %bb.266:
	scratch_load_b64 v[100:101], off, off offset:160
	v_mov_b64_e32 v[102:103], 0
	scratch_store_b64 off, v[102:103], off offset:160
	s_wait_loadcnt 0x0
	ds_store_b64 v1, v[100:101]
.LBB48_267:
	s_wait_xcnt 0x0
	s_or_b32 exec_lo, exec_lo, s0
	s_wait_storecnt_dscnt 0x0
	s_barrier_signal -1
	s_barrier_wait -1
	s_clause 0xe
	scratch_load_b128 v[100:103], off, off offset:168
	scratch_load_b128 v[104:107], off, off offset:184
	;; [unrolled: 1-line block ×14, first 2 shown]
	scratch_load_b64 v[212:213], off, off offset:160
	ds_load_2addr_b64 v[156:159], v7 offset0:91 offset1:92
	ds_load_2addr_b64 v[160:163], v7 offset0:93 offset1:94
	;; [unrolled: 1-line block ×14, first 2 shown]
	s_mov_b32 s0, exec_lo
	s_wait_dscnt 0xd
	v_dual_mov_b32 v214, v159 :: v_dual_mov_b32 v215, v158
	s_wait_dscnt 0xc
	v_dual_mov_b32 v216, v163 :: v_dual_mov_b32 v217, v162
	;; [unrolled: 2-line block ×4, first 2 shown]
	s_wait_loadcnt_dscnt 0xe09
	v_dual_mul_f32 v7, v172, v101 :: v_dual_mul_f32 v9, v174, v103
	v_dual_mul_f32 v43, v173, v101 :: v_dual_mul_f32 v45, v175, v103
	s_wait_loadcnt_dscnt 0xd08
	v_dual_mul_f32 v11, v176, v105 :: v_dual_mul_f32 v13, v178, v107
	s_delay_alu instid0(VALU_DEP_3) | instskip(SKIP_3) | instid1(VALU_DEP_3)
	v_dual_fmac_f32 v7, v173, v100 :: v_dual_fmac_f32 v9, v175, v102
	s_wait_loadcnt_dscnt 0xb06
	v_dual_fma_f32 v43, v172, v100, -v43 :: v_dual_mul_f32 v55, v185, v113
	v_dual_mul_f32 v47, v177, v105 :: v_dual_mul_f32 v49, v179, v107
	v_dual_fma_f32 v45, v174, v102, -v45 :: v_dual_add_f32 v7, 0, v7
	s_delay_alu instid0(VALU_DEP_3) | instskip(SKIP_1) | instid1(VALU_DEP_4)
	v_dual_add_f32 v43, 0, v43 :: v_dual_fmac_f32 v11, v177, v104
	v_dual_mul_f32 v15, v180, v109 :: v_dual_mul_f32 v17, v182, v111
	v_dual_mul_f32 v57, v187, v115 :: v_dual_fma_f32 v47, v176, v104, -v47
	s_delay_alu instid0(VALU_DEP_4) | instskip(NEXT) | instid1(VALU_DEP_3)
	v_add_f32_e32 v7, v7, v9
	v_dual_add_f32 v9, v43, v45 :: v_dual_fmac_f32 v15, v181, v108
	v_dual_mul_f32 v51, v181, v109 :: v_dual_mul_f32 v53, v183, v111
	s_wait_loadcnt_dscnt 0xa05
	v_dual_mul_f32 v43, v189, v117 :: v_dual_fmac_f32 v13, v179, v106
	v_dual_fma_f32 v45, v178, v106, -v49 :: v_dual_add_f32 v7, v7, v11
	s_delay_alu instid0(VALU_DEP_3) | instskip(SKIP_1) | instid1(VALU_DEP_3)
	v_dual_add_f32 v9, v9, v47 :: v_dual_fma_f32 v47, v180, v108, -v51
	v_dual_mul_f32 v19, v184, v113 :: v_dual_mul_f32 v21, v186, v115
	v_add_f32_e32 v7, v7, v13
	s_delay_alu instid0(VALU_DEP_3) | instskip(SKIP_2) | instid1(VALU_DEP_3)
	v_dual_mul_f32 v11, v191, v119 :: v_dual_add_f32 v9, v9, v45
	s_wait_loadcnt_dscnt 0x904
	v_dual_mul_f32 v13, v193, v121 :: v_dual_fmac_f32 v17, v183, v110
	v_dual_fma_f32 v45, v182, v110, -v53 :: v_dual_add_f32 v7, v7, v15
	s_delay_alu instid0(VALU_DEP_3) | instskip(SKIP_1) | instid1(VALU_DEP_3)
	v_dual_add_f32 v9, v9, v47 :: v_dual_fma_f32 v47, v184, v112, -v55
	v_dual_mul_f32 v15, v195, v123 :: v_dual_fmac_f32 v19, v185, v112
	v_add_f32_e32 v7, v7, v17
	s_delay_alu instid0(VALU_DEP_3)
	v_dual_add_f32 v9, v9, v45 :: v_dual_fmac_f32 v21, v187, v114
	v_dual_mul_f32 v23, v188, v117 :: v_dual_mul_f32 v25, v190, v119
	s_wait_loadcnt_dscnt 0x803
	v_dual_fma_f32 v45, v186, v114, -v57 :: v_dual_mul_f32 v17, v197, v125
	v_add_f32_e32 v7, v7, v19
	v_dual_add_f32 v9, v9, v47 :: v_dual_fma_f32 v43, v188, v116, -v43
	v_dual_mul_f32 v19, v199, v127 :: v_dual_fmac_f32 v23, v189, v116
	s_delay_alu instid0(VALU_DEP_3) | instskip(NEXT) | instid1(VALU_DEP_3)
	v_dual_add_f32 v7, v7, v21 :: v_dual_fma_f32 v11, v190, v118, -v11
	v_dual_add_f32 v9, v9, v45 :: v_dual_fmac_f32 v25, v191, v118
	v_dual_mul_f32 v27, v192, v121 :: v_dual_mul_f32 v29, v194, v123
	s_wait_loadcnt_dscnt 0x702
	s_delay_alu instid0(VALU_DEP_3) | instskip(NEXT) | instid1(VALU_DEP_3)
	v_dual_mul_f32 v21, v201, v129 :: v_dual_add_f32 v7, v7, v23
	v_dual_add_f32 v9, v9, v43 :: v_dual_fma_f32 v13, v192, v120, -v13
	s_delay_alu instid0(VALU_DEP_3) | instskip(NEXT) | instid1(VALU_DEP_2)
	v_dual_mul_f32 v23, v203, v131 :: v_dual_fmac_f32 v27, v193, v120
	v_dual_add_f32 v7, v7, v25 :: v_dual_add_f32 v9, v9, v11
	v_dual_mul_f32 v31, v196, v125 :: v_dual_mul_f32 v33, v198, v127
	s_wait_loadcnt_dscnt 0x601
	v_dual_mul_f32 v11, v205, v133 :: v_dual_fmac_f32 v29, v195, v122
	s_delay_alu instid0(VALU_DEP_3) | instskip(SKIP_2) | instid1(VALU_DEP_2)
	v_dual_fma_f32 v15, v194, v122, -v15 :: v_dual_add_f32 v7, v7, v27
	v_dual_add_f32 v9, v9, v13 :: v_dual_mul_f32 v13, v207, v135
	v_dual_fmac_f32 v31, v197, v124 :: v_dual_fma_f32 v17, v196, v124, -v17
	v_dual_add_f32 v7, v7, v29 :: v_dual_add_f32 v9, v9, v15
	v_dual_mul_f32 v35, v200, v129 :: v_dual_mul_f32 v37, v202, v131
	s_wait_loadcnt_dscnt 0x500
	v_dual_mul_f32 v15, v209, v137 :: v_dual_fmac_f32 v33, v199, v126
	s_delay_alu instid0(VALU_DEP_3) | instskip(SKIP_2) | instid1(VALU_DEP_2)
	v_dual_fma_f32 v19, v198, v126, -v19 :: v_dual_add_f32 v7, v7, v31
	v_dual_add_f32 v9, v9, v17 :: v_dual_mul_f32 v17, v211, v139
	v_dual_fmac_f32 v35, v201, v128 :: v_dual_fma_f32 v21, v200, v128, -v21
	v_dual_add_f32 v7, v7, v33 :: v_dual_add_f32 v9, v9, v19
	v_dual_mul_f32 v39, v204, v133 :: v_dual_mul_f32 v41, v206, v135
	v_dual_fmac_f32 v37, v203, v130 :: v_dual_fma_f32 v19, v202, v130, -v23
	s_delay_alu instid0(VALU_DEP_3) | instskip(SKIP_1) | instid1(VALU_DEP_3)
	v_dual_add_f32 v7, v7, v35 :: v_dual_add_f32 v9, v9, v21
	s_wait_loadcnt 0x4
	v_dual_mov_b32 v102, v143 :: v_dual_fmac_f32 v39, v205, v132
	s_delay_alu instid0(VALU_DEP_2) | instskip(NEXT) | instid1(VALU_DEP_3)
	v_dual_fma_f32 v11, v204, v132, -v11 :: v_dual_add_f32 v7, v7, v37
	v_dual_add_f32 v9, v9, v19 :: v_dual_fmac_f32 v41, v207, v134
	v_dual_mul_f32 v223, v208, v137 :: v_dual_mul_f32 v225, v210, v139
	s_delay_alu instid0(VALU_DEP_3) | instskip(SKIP_1) | instid1(VALU_DEP_3)
	v_dual_fma_f32 v13, v206, v134, -v13 :: v_dual_add_f32 v7, v7, v39
	s_wait_loadcnt 0x3
	v_dual_add_f32 v9, v9, v11 :: v_dual_mov_b32 v106, v147
	v_pk_mul_f32 v[100:101], v[156:157], v[140:141] op_sel:[1,1] op_sel_hi:[0,1]
	s_delay_alu instid0(VALU_DEP_3) | instskip(NEXT) | instid1(VALU_DEP_3)
	v_dual_fmac_f32 v223, v209, v136 :: v_dual_add_f32 v109, v7, v41
	v_dual_fma_f32 v222, v208, v136, -v15 :: v_dual_add_f32 v108, v9, v13
	v_fmac_f32_e32 v225, v211, v138
	s_delay_alu instid0(VALU_DEP_4)
	v_pk_fma_f32 v[110:111], v[156:157], v[140:141], v[100:101] op_sel_hi:[1,0,1]
	v_fma_f32 v224, v210, v138, -v17
	v_pk_mul_f32 v[102:103], v[214:215], v[102:103] op_sel_hi:[1,0]
	v_pk_add_f32 v[108:109], v[108:109], v[222:223]
	v_pk_fma_f32 v[100:101], v[156:157], v[140:141], v[100:101] neg_lo:[0,0,1] neg_hi:[0,0,1]
	v_pk_mul_f32 v[104:105], v[160:161], v[144:145] op_sel:[1,1] op_sel_hi:[0,1]
	v_mov_b32_e32 v101, v111
	v_pk_fma_f32 v[110:111], v[158:159], v[142:143], v[102:103] op_sel_hi:[1,0,1]
	v_pk_add_f32 v[108:109], v[108:109], v[224:225]
	v_pk_fma_f32 v[102:103], v[158:159], v[142:143], v[102:103] neg_lo:[0,0,1] neg_hi:[0,0,1]
	v_pk_fma_f32 v[114:115], v[160:161], v[144:145], v[104:105] op_sel_hi:[1,0,1]
	v_pk_mul_f32 v[106:107], v[216:217], v[106:107] op_sel_hi:[1,0]
	v_mov_b32_e32 v103, v111
	v_pk_add_f32 v[100:101], v[108:109], v[100:101]
	s_wait_loadcnt 0x2
	v_pk_mul_f32 v[112:113], v[164:165], v[148:149] op_sel:[1,1] op_sel_hi:[0,1]
	v_mov_b32_e32 v108, v151
	v_pk_fma_f32 v[104:105], v[160:161], v[144:145], v[104:105] neg_lo:[0,0,1] neg_hi:[0,0,1]
	v_pk_fma_f32 v[110:111], v[162:163], v[146:147], v[106:107] op_sel_hi:[1,0,1]
	v_mov_b32_e32 v105, v115
	v_pk_add_f32 v[100:101], v[100:101], v[102:103]
	v_pk_fma_f32 v[102:103], v[164:165], v[148:149], v[112:113] op_sel_hi:[1,0,1]
	v_pk_mul_f32 v[108:109], v[218:219], v[108:109] op_sel_hi:[1,0]
	v_pk_fma_f32 v[106:107], v[162:163], v[146:147], v[106:107] neg_lo:[0,0,1] neg_hi:[0,0,1]
	v_mov_b32_e32 v107, v111
	v_pk_add_f32 v[100:101], v[100:101], v[104:105]
	v_pk_fma_f32 v[110:111], v[164:165], v[148:149], v[112:113] neg_lo:[0,0,1] neg_hi:[0,0,1]
	v_mov_b32_e32 v111, v103
	v_pk_fma_f32 v[102:103], v[166:167], v[150:151], v[108:109] op_sel_hi:[1,0,1]
	s_wait_loadcnt 0x1
	v_pk_mul_f32 v[104:105], v[168:169], v[152:153] op_sel:[1,1] op_sel_hi:[0,1]
	v_pk_add_f32 v[100:101], v[100:101], v[106:107]
	v_mov_b32_e32 v102, v155
	v_pk_fma_f32 v[108:109], v[166:167], v[150:151], v[108:109] neg_lo:[0,0,1] neg_hi:[0,0,1]
	s_delay_alu instid0(VALU_DEP_4)
	v_pk_fma_f32 v[106:107], v[168:169], v[152:153], v[104:105] op_sel_hi:[1,0,1]
	v_mov_b32_e32 v109, v103
	v_pk_add_f32 v[100:101], v[100:101], v[110:111]
	v_pk_mul_f32 v[102:103], v[220:221], v[102:103] op_sel_hi:[1,0]
	v_pk_fma_f32 v[104:105], v[168:169], v[152:153], v[104:105] neg_lo:[0,0,1] neg_hi:[0,0,1]
	v_mov_b32_e32 v105, v107
	s_delay_alu instid0(VALU_DEP_4) | instskip(NEXT) | instid1(VALU_DEP_4)
	v_pk_add_f32 v[100:101], v[100:101], v[108:109]
	v_pk_fma_f32 v[106:107], v[170:171], v[154:155], v[102:103] op_sel_hi:[1,0,1]
	v_pk_fma_f32 v[102:103], v[170:171], v[154:155], v[102:103] neg_lo:[0,0,1] neg_hi:[0,0,1]
	s_delay_alu instid0(VALU_DEP_3) | instskip(NEXT) | instid1(VALU_DEP_3)
	v_pk_add_f32 v[100:101], v[100:101], v[104:105]
	v_mov_b32_e32 v103, v107
	s_delay_alu instid0(VALU_DEP_1) | instskip(SKIP_1) | instid1(VALU_DEP_1)
	v_pk_add_f32 v[100:101], v[100:101], v[102:103]
	s_wait_loadcnt 0x0
	v_pk_add_f32 v[100:101], v[212:213], v[100:101] neg_lo:[0,1] neg_hi:[0,1]
	scratch_store_b64 off, v[100:101], off offset:160
	s_wait_xcnt 0x0
	v_cmpx_lt_u32_e32 19, v0
	s_cbranch_execz .LBB48_269
; %bb.268:
	scratch_load_b64 v[100:101], off, off offset:152
	v_mov_b64_e32 v[102:103], 0
	scratch_store_b64 off, v[102:103], off offset:152
	s_wait_loadcnt 0x0
	ds_store_b64 v1, v[100:101]
.LBB48_269:
	s_wait_xcnt 0x0
	s_or_b32 exec_lo, exec_lo, s0
	s_wait_storecnt_dscnt 0x0
	s_barrier_signal -1
	s_barrier_wait -1
	s_clause 0xf
	scratch_load_b128 v[100:103], off, off offset:160
	scratch_load_b128 v[104:107], off, off offset:176
	;; [unrolled: 1-line block ×14, first 2 shown]
	scratch_load_b64 v[212:213], off, off offset:384
	scratch_load_b64 v[214:215], off, off offset:152
	v_mov_b32_e32 v7, 0
	ds_load_b128 v[156:159], v7 offset:720
	ds_load_b128 v[160:163], v7 offset:736
	;; [unrolled: 1-line block ×14, first 2 shown]
	ds_load_b64 v[216:217], v7 offset:784
	s_mov_b32 s0, exec_lo
	s_wait_dscnt 0xe
	v_dual_mov_b32 v218, v159 :: v_dual_mov_b32 v219, v158
	s_wait_dscnt 0xb
	v_dual_mov_b32 v220, v163 :: v_dual_mov_b32 v225, v170
	v_dual_mov_b32 v221, v162 :: v_dual_mov_b32 v222, v167
	;; [unrolled: 1-line block ×3, first 2 shown]
	s_wait_loadcnt_dscnt 0xf0a
	v_dual_mul_f32 v9, v172, v101 :: v_dual_mul_f32 v47, v173, v101
	v_dual_mul_f32 v49, v175, v103 :: v_dual_mul_f32 v11, v174, v103
	s_wait_loadcnt_dscnt 0xe09
	v_mul_f32_e32 v13, v176, v105
	s_wait_loadcnt_dscnt 0xc07
	v_dual_mul_f32 v59, v185, v113 :: v_dual_fma_f32 v47, v172, v100, -v47
	v_dual_fmac_f32 v9, v173, v100 :: v_dual_mul_f32 v61, v187, v115
	v_dual_mul_f32 v51, v177, v105 :: v_dual_mul_f32 v53, v179, v107
	v_dual_fmac_f32 v11, v175, v102 :: v_dual_fma_f32 v49, v174, v102, -v49
	s_delay_alu instid0(VALU_DEP_3) | instskip(SKIP_4) | instid1(VALU_DEP_3)
	v_dual_add_f32 v9, 0, v9 :: v_dual_add_f32 v47, 0, v47
	v_dual_mul_f32 v15, v178, v107 :: v_dual_mul_f32 v17, v180, v109
	s_wait_loadcnt_dscnt 0xb06
	v_dual_mul_f32 v63, v189, v117 :: v_dual_fma_f32 v51, v176, v104, -v51
	v_fmac_f32_e32 v13, v177, v104
	v_dual_add_f32 v9, v9, v11 :: v_dual_fmac_f32 v15, v179, v106
	v_add_f32_e32 v11, v47, v49
	v_dual_mul_f32 v55, v181, v109 :: v_dual_mul_f32 v57, v183, v111
	v_dual_mul_f32 v47, v191, v119 :: v_dual_fma_f32 v49, v178, v106, -v53
	s_delay_alu instid0(VALU_DEP_3) | instskip(SKIP_3) | instid1(VALU_DEP_3)
	v_dual_add_f32 v9, v9, v13 :: v_dual_add_f32 v11, v11, v51
	v_dual_mul_f32 v19, v182, v111 :: v_dual_mul_f32 v21, v184, v113
	s_wait_loadcnt_dscnt 0xa05
	v_dual_mul_f32 v13, v193, v121 :: v_dual_fma_f32 v51, v180, v108, -v55
	v_dual_fmac_f32 v17, v181, v108 :: v_dual_add_f32 v11, v11, v49
	s_delay_alu instid0(VALU_DEP_3) | instskip(SKIP_1) | instid1(VALU_DEP_2)
	v_dual_add_f32 v9, v9, v15 :: v_dual_fmac_f32 v19, v183, v110
	v_dual_mul_f32 v15, v195, v123 :: v_dual_fma_f32 v49, v182, v110, -v57
	v_dual_add_f32 v11, v11, v51 :: v_dual_add_f32 v9, v9, v17
	v_dual_mul_f32 v23, v186, v115 :: v_dual_mul_f32 v25, v188, v117
	s_wait_loadcnt_dscnt 0x904
	v_dual_mul_f32 v17, v197, v125 :: v_dual_fma_f32 v51, v184, v112, -v59
	s_delay_alu instid0(VALU_DEP_3) | instskip(NEXT) | instid1(VALU_DEP_3)
	v_dual_fmac_f32 v21, v185, v112 :: v_dual_add_f32 v11, v11, v49
	v_dual_add_f32 v9, v9, v19 :: v_dual_fmac_f32 v23, v187, v114
	v_dual_mul_f32 v19, v199, v127 :: v_dual_fma_f32 v49, v186, v114, -v61
	s_delay_alu instid0(VALU_DEP_2) | instskip(SKIP_3) | instid1(VALU_DEP_3)
	v_dual_add_f32 v11, v11, v51 :: v_dual_add_f32 v9, v9, v21
	v_dual_mul_f32 v27, v190, v119 :: v_dual_mul_f32 v29, v192, v121
	s_wait_loadcnt_dscnt 0x803
	v_dual_mul_f32 v21, v201, v129 :: v_dual_fma_f32 v51, v188, v116, -v63
	v_dual_fmac_f32 v25, v189, v116 :: v_dual_add_f32 v11, v11, v49
	s_delay_alu instid0(VALU_DEP_3) | instskip(SKIP_1) | instid1(VALU_DEP_2)
	v_dual_add_f32 v9, v9, v23 :: v_dual_fmac_f32 v27, v191, v118
	v_dual_mul_f32 v23, v203, v131 :: v_dual_fma_f32 v47, v190, v118, -v47
	v_dual_add_f32 v11, v11, v51 :: v_dual_add_f32 v9, v9, v25
	v_dual_mul_f32 v31, v194, v123 :: v_dual_mul_f32 v33, v196, v125
	s_wait_loadcnt_dscnt 0x702
	v_dual_mul_f32 v25, v205, v133 :: v_dual_fma_f32 v13, v192, v120, -v13
	s_delay_alu instid0(VALU_DEP_3) | instskip(NEXT) | instid1(VALU_DEP_3)
	v_dual_fmac_f32 v29, v193, v120 :: v_dual_add_f32 v11, v11, v47
	v_dual_add_f32 v9, v9, v27 :: v_dual_fmac_f32 v31, v195, v122
	v_dual_mul_f32 v27, v207, v135 :: v_dual_fma_f32 v15, v194, v122, -v15
	s_delay_alu instid0(VALU_DEP_3) | instskip(NEXT) | instid1(VALU_DEP_3)
	v_dual_add_f32 v11, v11, v13 :: v_dual_fmac_f32 v33, v197, v124
	v_dual_add_f32 v9, v9, v29 :: v_dual_fma_f32 v17, v196, v124, -v17
	v_dual_mul_f32 v35, v198, v127 :: v_dual_mul_f32 v37, v200, v129
	s_wait_loadcnt_dscnt 0x601
	s_delay_alu instid0(VALU_DEP_3) | instskip(NEXT) | instid1(VALU_DEP_2)
	v_dual_mul_f32 v13, v209, v137 :: v_dual_add_f32 v11, v11, v15
	v_dual_add_f32 v9, v9, v31 :: v_dual_fmac_f32 v35, v199, v126
	v_dual_mul_f32 v15, v211, v139 :: v_dual_fma_f32 v19, v198, v126, -v19
	s_delay_alu instid0(VALU_DEP_3) | instskip(NEXT) | instid1(VALU_DEP_3)
	v_dual_add_f32 v11, v11, v17 :: v_dual_fmac_f32 v37, v201, v128
	v_dual_add_f32 v9, v9, v33 :: v_dual_fma_f32 v21, v200, v128, -v21
	v_dual_mul_f32 v39, v202, v131 :: v_dual_mul_f32 v41, v204, v133
	s_wait_loadcnt 0x5
	s_delay_alu instid0(VALU_DEP_3) | instskip(NEXT) | instid1(VALU_DEP_3)
	v_dual_mul_f32 v17, v157, v141 :: v_dual_add_f32 v11, v11, v19
	v_dual_add_f32 v9, v9, v35 :: v_dual_mov_b32 v100, v143
	s_delay_alu instid0(VALU_DEP_3) | instskip(NEXT) | instid1(VALU_DEP_3)
	v_fmac_f32_e32 v39, v203, v130
	v_dual_fma_f32 v19, v202, v130, -v23 :: v_dual_add_f32 v11, v11, v21
	s_delay_alu instid0(VALU_DEP_3) | instskip(SKIP_1) | instid1(VALU_DEP_3)
	v_dual_add_f32 v9, v9, v37 :: v_dual_mul_f32 v43, v206, v135
	v_dual_mul_f32 v45, v208, v137 :: v_dual_fmac_f32 v41, v205, v132
	v_dual_add_f32 v11, v11, v19 :: v_dual_fma_f32 v21, v204, v132, -v25
	s_wait_loadcnt 0x4
	s_delay_alu instid0(VALU_DEP_3) | instskip(SKIP_3) | instid1(VALU_DEP_4)
	v_dual_add_f32 v9, v9, v39 :: v_dual_mov_b32 v104, v147
	v_fma_f32 v19, v206, v134, -v27
	v_fmac_f32_e32 v43, v207, v134
	v_dual_add_f32 v11, v11, v21 :: v_dual_fmac_f32 v45, v209, v136
	v_dual_add_f32 v9, v9, v41 :: v_dual_mul_f32 v227, v210, v139
	v_mul_f32_e32 v229, v156, v141
	s_delay_alu instid0(VALU_DEP_3) | instskip(NEXT) | instid1(VALU_DEP_3)
	v_dual_fma_f32 v13, v208, v136, -v13 :: v_dual_add_f32 v11, v11, v19
	v_dual_fma_f32 v226, v210, v138, -v15 :: v_dual_add_f32 v9, v9, v43
	s_delay_alu instid0(VALU_DEP_4) | instskip(SKIP_1) | instid1(VALU_DEP_4)
	v_fmac_f32_e32 v227, v211, v138
	v_pk_mul_f32 v[100:101], v[218:219], v[100:101] op_sel_hi:[1,0]
	v_dual_add_f32 v108, v11, v13 :: v_dual_fmac_f32 v229, v157, v140
	s_delay_alu instid0(VALU_DEP_4)
	v_add_f32_e32 v109, v9, v45
	v_pk_mul_f32 v[102:103], v[160:161], v[144:145] op_sel:[1,1] op_sel_hi:[0,1]
	s_wait_loadcnt 0x3
	v_dual_mov_b32 v110, v151 :: v_dual_fma_f32 v228, v156, v140, -v17
	v_pk_fma_f32 v[112:113], v[158:159], v[142:143], v[100:101] op_sel_hi:[1,0,1]
	v_pk_add_f32 v[108:109], v[108:109], v[226:227]
	v_pk_fma_f32 v[100:101], v[158:159], v[142:143], v[100:101] neg_lo:[0,0,1] neg_hi:[0,0,1]
	v_pk_fma_f32 v[114:115], v[160:161], v[144:145], v[102:103] op_sel_hi:[1,0,1]
	v_pk_mul_f32 v[104:105], v[220:221], v[104:105] op_sel_hi:[1,0]
	v_mov_b32_e32 v101, v113
	v_pk_add_f32 v[108:109], v[108:109], v[228:229]
	v_pk_fma_f32 v[102:103], v[160:161], v[144:145], v[102:103] neg_lo:[0,0,1] neg_hi:[0,0,1]
	v_pk_mul_f32 v[106:107], v[164:165], v[148:149] op_sel:[1,1] op_sel_hi:[0,1]
	v_mov_b32_e32 v103, v115
	v_pk_fma_f32 v[114:115], v[162:163], v[146:147], v[104:105] op_sel_hi:[1,0,1]
	v_pk_add_f32 v[100:101], v[108:109], v[100:101]
	v_pk_fma_f32 v[104:105], v[162:163], v[146:147], v[104:105] neg_lo:[0,0,1] neg_hi:[0,0,1]
	v_pk_fma_f32 v[108:109], v[164:165], v[148:149], v[106:107] op_sel_hi:[1,0,1]
	v_pk_mul_f32 v[110:111], v[222:223], v[110:111] op_sel_hi:[1,0]
	v_mov_b32_e32 v105, v115
	v_pk_add_f32 v[100:101], v[100:101], v[102:103]
	v_pk_fma_f32 v[106:107], v[164:165], v[148:149], v[106:107] neg_lo:[0,0,1] neg_hi:[0,0,1]
	s_wait_loadcnt 0x2
	v_pk_mul_f32 v[112:113], v[168:169], v[152:153] op_sel:[1,1] op_sel_hi:[0,1]
	v_dual_mov_b32 v102, v155 :: v_dual_mov_b32 v107, v109
	v_pk_fma_f32 v[108:109], v[166:167], v[150:151], v[110:111] op_sel_hi:[1,0,1]
	v_pk_add_f32 v[100:101], v[100:101], v[104:105]
	v_pk_fma_f32 v[110:111], v[166:167], v[150:151], v[110:111] neg_lo:[0,0,1] neg_hi:[0,0,1]
	v_pk_fma_f32 v[104:105], v[168:169], v[152:153], v[112:113] op_sel_hi:[1,0,1]
	v_pk_mul_f32 v[102:103], v[224:225], v[102:103] op_sel_hi:[1,0]
	v_mov_b32_e32 v111, v109
	v_pk_add_f32 v[100:101], v[100:101], v[106:107]
	v_pk_fma_f32 v[106:107], v[168:169], v[152:153], v[112:113] neg_lo:[0,0,1] neg_hi:[0,0,1]
	v_mov_b32_e32 v107, v105
	v_pk_fma_f32 v[104:105], v[170:171], v[154:155], v[102:103] op_sel_hi:[1,0,1]
	s_wait_loadcnt_dscnt 0x100
	v_pk_mul_f32 v[108:109], v[216:217], v[212:213] op_sel:[1,1] op_sel_hi:[0,1]
	v_pk_add_f32 v[100:101], v[100:101], v[110:111]
	v_pk_fma_f32 v[102:103], v[170:171], v[154:155], v[102:103] neg_lo:[0,0,1] neg_hi:[0,0,1]
	v_mov_b32_e32 v103, v105
	s_delay_alu instid0(VALU_DEP_4) | instskip(NEXT) | instid1(VALU_DEP_4)
	v_pk_fma_f32 v[104:105], v[216:217], v[212:213], v[108:109] op_sel_hi:[1,0,1]
	v_pk_add_f32 v[100:101], v[100:101], v[106:107]
	v_pk_fma_f32 v[106:107], v[216:217], v[212:213], v[108:109] neg_lo:[0,0,1] neg_hi:[0,0,1]
	s_delay_alu instid0(VALU_DEP_3) | instskip(NEXT) | instid1(VALU_DEP_3)
	v_mov_b32_e32 v107, v105
	v_pk_add_f32 v[100:101], v[100:101], v[102:103]
	s_delay_alu instid0(VALU_DEP_1) | instskip(SKIP_1) | instid1(VALU_DEP_1)
	v_pk_add_f32 v[100:101], v[100:101], v[106:107]
	s_wait_loadcnt 0x0
	v_pk_add_f32 v[100:101], v[214:215], v[100:101] neg_lo:[0,1] neg_hi:[0,1]
	scratch_store_b64 off, v[100:101], off offset:152
	s_wait_xcnt 0x0
	v_cmpx_lt_u32_e32 18, v0
	s_cbranch_execz .LBB48_271
; %bb.270:
	scratch_load_b64 v[100:101], off, off offset:144
	v_mov_b64_e32 v[102:103], 0
	scratch_store_b64 off, v[102:103], off offset:144
	s_wait_loadcnt 0x0
	ds_store_b64 v1, v[100:101]
.LBB48_271:
	s_wait_xcnt 0x0
	s_or_b32 exec_lo, exec_lo, s0
	s_wait_storecnt_dscnt 0x0
	s_barrier_signal -1
	s_barrier_wait -1
	s_clause 0xf
	scratch_load_b128 v[100:103], off, off offset:152
	scratch_load_b128 v[104:107], off, off offset:168
	;; [unrolled: 1-line block ×15, first 2 shown]
	scratch_load_b64 v[220:221], off, off offset:144
	ds_load_2addr_b64 v[160:163], v7 offset0:91 offset1:92
	ds_load_2addr_b64 v[164:167], v7 offset0:93 offset1:94
	;; [unrolled: 1-line block ×15, first 2 shown]
	s_mov_b32 s0, exec_lo
	s_wait_dscnt 0xe
	v_dual_mov_b32 v222, v163 :: v_dual_mov_b32 v223, v162
	s_wait_dscnt 0xd
	v_dual_mov_b32 v224, v167 :: v_dual_mov_b32 v225, v166
	;; [unrolled: 2-line block ×4, first 2 shown]
	s_wait_loadcnt_dscnt 0xf0a
	v_dual_mul_f32 v7, v176, v101 :: v_dual_mul_f32 v9, v178, v103
	v_dual_mul_f32 v47, v177, v101 :: v_dual_mul_f32 v49, v179, v103
	s_wait_loadcnt_dscnt 0xe09
	v_dual_mul_f32 v11, v180, v105 :: v_dual_mul_f32 v13, v182, v107
	s_delay_alu instid0(VALU_DEP_3) | instskip(SKIP_3) | instid1(VALU_DEP_3)
	v_dual_fmac_f32 v7, v177, v100 :: v_dual_fmac_f32 v9, v179, v102
	s_wait_loadcnt_dscnt 0xc06
	v_dual_fma_f32 v47, v176, v100, -v47 :: v_dual_mul_f32 v59, v193, v113
	v_dual_mul_f32 v51, v181, v105 :: v_dual_mul_f32 v53, v183, v107
	v_dual_fma_f32 v49, v178, v102, -v49 :: v_dual_add_f32 v7, 0, v7
	s_delay_alu instid0(VALU_DEP_3) | instskip(SKIP_1) | instid1(VALU_DEP_4)
	v_dual_add_f32 v47, 0, v47 :: v_dual_fmac_f32 v11, v181, v104
	v_dual_mul_f32 v15, v188, v109 :: v_dual_mul_f32 v17, v190, v111
	v_dual_mul_f32 v61, v195, v115 :: v_dual_fma_f32 v51, v180, v104, -v51
	s_delay_alu instid0(VALU_DEP_4) | instskip(NEXT) | instid1(VALU_DEP_3)
	v_add_f32_e32 v7, v7, v9
	v_dual_add_f32 v9, v47, v49 :: v_dual_fmac_f32 v15, v189, v108
	v_dual_mul_f32 v55, v189, v109 :: v_dual_mul_f32 v57, v191, v111
	s_wait_loadcnt_dscnt 0xb05
	v_dual_mul_f32 v47, v197, v117 :: v_dual_fmac_f32 v13, v183, v106
	v_dual_fma_f32 v49, v182, v106, -v53 :: v_dual_add_f32 v7, v7, v11
	s_delay_alu instid0(VALU_DEP_3) | instskip(SKIP_1) | instid1(VALU_DEP_3)
	v_dual_add_f32 v9, v9, v51 :: v_dual_fma_f32 v51, v188, v108, -v55
	v_dual_mul_f32 v19, v192, v113 :: v_dual_mul_f32 v21, v194, v115
	v_add_f32_e32 v7, v7, v13
	s_delay_alu instid0(VALU_DEP_3) | instskip(SKIP_2) | instid1(VALU_DEP_3)
	v_dual_mul_f32 v11, v199, v119 :: v_dual_add_f32 v9, v9, v49
	s_wait_loadcnt_dscnt 0xa04
	v_dual_mul_f32 v13, v201, v121 :: v_dual_fmac_f32 v17, v191, v110
	v_dual_fma_f32 v49, v190, v110, -v57 :: v_dual_add_f32 v7, v7, v15
	s_delay_alu instid0(VALU_DEP_3) | instskip(SKIP_1) | instid1(VALU_DEP_3)
	v_dual_add_f32 v9, v9, v51 :: v_dual_fma_f32 v51, v192, v112, -v59
	v_dual_mul_f32 v15, v203, v123 :: v_dual_fmac_f32 v19, v193, v112
	v_add_f32_e32 v7, v7, v17
	s_delay_alu instid0(VALU_DEP_3)
	v_dual_add_f32 v9, v9, v49 :: v_dual_fmac_f32 v21, v195, v114
	v_dual_mul_f32 v23, v196, v117 :: v_dual_mul_f32 v25, v198, v119
	s_wait_loadcnt_dscnt 0x903
	v_dual_fma_f32 v49, v194, v114, -v61 :: v_dual_mul_f32 v17, v205, v125
	v_add_f32_e32 v7, v7, v19
	v_dual_add_f32 v9, v9, v51 :: v_dual_fma_f32 v47, v196, v116, -v47
	v_dual_mul_f32 v19, v207, v127 :: v_dual_fmac_f32 v23, v197, v116
	s_delay_alu instid0(VALU_DEP_3) | instskip(NEXT) | instid1(VALU_DEP_3)
	v_dual_add_f32 v7, v7, v21 :: v_dual_fma_f32 v11, v198, v118, -v11
	v_dual_add_f32 v9, v9, v49 :: v_dual_fmac_f32 v25, v199, v118
	v_dual_mul_f32 v27, v200, v121 :: v_dual_mul_f32 v29, v202, v123
	s_wait_loadcnt_dscnt 0x802
	s_delay_alu instid0(VALU_DEP_3) | instskip(NEXT) | instid1(VALU_DEP_3)
	v_dual_mul_f32 v21, v209, v129 :: v_dual_add_f32 v7, v7, v23
	v_dual_add_f32 v9, v9, v47 :: v_dual_fma_f32 v13, v200, v120, -v13
	s_delay_alu instid0(VALU_DEP_3) | instskip(NEXT) | instid1(VALU_DEP_2)
	v_dual_mul_f32 v23, v211, v131 :: v_dual_fmac_f32 v27, v201, v120
	v_dual_add_f32 v7, v7, v25 :: v_dual_add_f32 v9, v9, v11
	v_dual_mul_f32 v31, v204, v125 :: v_dual_mul_f32 v33, v206, v127
	s_wait_loadcnt_dscnt 0x701
	v_dual_mul_f32 v11, v213, v133 :: v_dual_fmac_f32 v29, v203, v122
	s_delay_alu instid0(VALU_DEP_3) | instskip(SKIP_2) | instid1(VALU_DEP_2)
	v_dual_fma_f32 v15, v202, v122, -v15 :: v_dual_add_f32 v7, v7, v27
	v_dual_add_f32 v9, v9, v13 :: v_dual_mul_f32 v13, v215, v135
	v_dual_fmac_f32 v31, v205, v124 :: v_dual_fma_f32 v17, v204, v124, -v17
	v_dual_add_f32 v7, v7, v29 :: v_dual_add_f32 v9, v9, v15
	v_dual_mul_f32 v35, v208, v129 :: v_dual_mul_f32 v37, v210, v131
	s_wait_loadcnt_dscnt 0x600
	v_dual_mul_f32 v15, v217, v137 :: v_dual_fmac_f32 v33, v207, v126
	s_delay_alu instid0(VALU_DEP_3) | instskip(SKIP_2) | instid1(VALU_DEP_2)
	v_dual_fma_f32 v19, v206, v126, -v19 :: v_dual_add_f32 v7, v7, v31
	v_dual_add_f32 v9, v9, v17 :: v_dual_mul_f32 v17, v219, v139
	v_dual_fmac_f32 v35, v209, v128 :: v_dual_fma_f32 v21, v208, v128, -v21
	v_dual_add_f32 v7, v7, v33 :: v_dual_add_f32 v9, v9, v19
	v_dual_mul_f32 v39, v212, v133 :: v_dual_mul_f32 v41, v214, v135
	s_wait_loadcnt 0x5
	v_dual_mul_f32 v19, v185, v141 :: v_dual_fmac_f32 v37, v211, v130
	s_delay_alu instid0(VALU_DEP_3) | instskip(SKIP_2) | instid1(VALU_DEP_3)
	v_dual_fma_f32 v23, v210, v130, -v23 :: v_dual_add_f32 v7, v7, v35
	v_dual_add_f32 v9, v9, v21 :: v_dual_mul_f32 v21, v187, v143
	v_fmac_f32_e32 v39, v213, v132
	v_dual_fma_f32 v11, v212, v132, -v11 :: v_dual_add_f32 v7, v7, v37
	s_delay_alu instid0(VALU_DEP_3) | instskip(SKIP_1) | instid1(VALU_DEP_3)
	v_dual_add_f32 v9, v9, v23 :: v_dual_mul_f32 v43, v216, v137
	v_dual_mul_f32 v45, v218, v139 :: v_dual_fmac_f32 v41, v215, v134
	v_dual_fma_f32 v13, v214, v134, -v13 :: v_dual_add_f32 v7, v7, v39
	s_wait_loadcnt 0x4
	s_delay_alu instid0(VALU_DEP_3) | instskip(SKIP_1) | instid1(VALU_DEP_3)
	v_dual_add_f32 v9, v9, v11 :: v_dual_mov_b32 v102, v147
	v_fmac_f32_e32 v43, v217, v136
	v_dual_fma_f32 v11, v216, v136, -v15 :: v_dual_add_f32 v7, v7, v41
	s_delay_alu instid0(VALU_DEP_3) | instskip(SKIP_1) | instid1(VALU_DEP_3)
	v_dual_add_f32 v9, v9, v13 :: v_dual_fmac_f32 v45, v219, v138
	v_dual_mul_f32 v231, v184, v141 :: v_dual_mul_f32 v233, v186, v143
	v_dual_fma_f32 v13, v218, v138, -v17 :: v_dual_add_f32 v7, v7, v43
	s_wait_loadcnt 0x3
	s_delay_alu instid0(VALU_DEP_3) | instskip(SKIP_1) | instid1(VALU_DEP_3)
	v_dual_add_f32 v9, v9, v11 :: v_dual_mov_b32 v106, v151
	v_pk_mul_f32 v[100:101], v[160:161], v[144:145] op_sel:[1,1] op_sel_hi:[0,1]
	v_dual_fmac_f32 v231, v185, v140 :: v_dual_add_f32 v109, v7, v45
	s_delay_alu instid0(VALU_DEP_3) | instskip(SKIP_1) | instid1(VALU_DEP_4)
	v_dual_fma_f32 v230, v184, v140, -v19 :: v_dual_add_f32 v108, v9, v13
	v_fmac_f32_e32 v233, v187, v142
	v_pk_fma_f32 v[110:111], v[160:161], v[144:145], v[100:101] op_sel_hi:[1,0,1]
	v_fma_f32 v232, v186, v142, -v21
	v_pk_mul_f32 v[102:103], v[222:223], v[102:103] op_sel_hi:[1,0]
	v_pk_add_f32 v[108:109], v[108:109], v[230:231]
	v_pk_fma_f32 v[100:101], v[160:161], v[144:145], v[100:101] neg_lo:[0,0,1] neg_hi:[0,0,1]
	v_pk_mul_f32 v[104:105], v[164:165], v[148:149] op_sel:[1,1] op_sel_hi:[0,1]
	v_mov_b32_e32 v101, v111
	v_pk_fma_f32 v[110:111], v[162:163], v[146:147], v[102:103] op_sel_hi:[1,0,1]
	v_pk_add_f32 v[108:109], v[108:109], v[232:233]
	v_pk_fma_f32 v[102:103], v[162:163], v[146:147], v[102:103] neg_lo:[0,0,1] neg_hi:[0,0,1]
	v_pk_fma_f32 v[114:115], v[164:165], v[148:149], v[104:105] op_sel_hi:[1,0,1]
	v_pk_mul_f32 v[106:107], v[224:225], v[106:107] op_sel_hi:[1,0]
	v_mov_b32_e32 v103, v111
	v_pk_add_f32 v[100:101], v[108:109], v[100:101]
	s_wait_loadcnt 0x2
	v_pk_mul_f32 v[112:113], v[168:169], v[152:153] op_sel:[1,1] op_sel_hi:[0,1]
	v_mov_b32_e32 v108, v155
	v_pk_fma_f32 v[104:105], v[164:165], v[148:149], v[104:105] neg_lo:[0,0,1] neg_hi:[0,0,1]
	v_pk_fma_f32 v[110:111], v[166:167], v[150:151], v[106:107] op_sel_hi:[1,0,1]
	v_mov_b32_e32 v105, v115
	v_pk_add_f32 v[100:101], v[100:101], v[102:103]
	v_pk_fma_f32 v[102:103], v[168:169], v[152:153], v[112:113] op_sel_hi:[1,0,1]
	v_pk_mul_f32 v[108:109], v[226:227], v[108:109] op_sel_hi:[1,0]
	v_pk_fma_f32 v[106:107], v[166:167], v[150:151], v[106:107] neg_lo:[0,0,1] neg_hi:[0,0,1]
	v_mov_b32_e32 v107, v111
	v_pk_add_f32 v[100:101], v[100:101], v[104:105]
	v_pk_fma_f32 v[110:111], v[168:169], v[152:153], v[112:113] neg_lo:[0,0,1] neg_hi:[0,0,1]
	v_mov_b32_e32 v111, v103
	v_pk_fma_f32 v[102:103], v[170:171], v[154:155], v[108:109] op_sel_hi:[1,0,1]
	s_wait_loadcnt 0x1
	v_pk_mul_f32 v[104:105], v[172:173], v[156:157] op_sel:[1,1] op_sel_hi:[0,1]
	v_pk_add_f32 v[100:101], v[100:101], v[106:107]
	v_mov_b32_e32 v102, v159
	v_pk_fma_f32 v[108:109], v[170:171], v[154:155], v[108:109] neg_lo:[0,0,1] neg_hi:[0,0,1]
	s_delay_alu instid0(VALU_DEP_4)
	v_pk_fma_f32 v[106:107], v[172:173], v[156:157], v[104:105] op_sel_hi:[1,0,1]
	v_mov_b32_e32 v109, v103
	v_pk_add_f32 v[100:101], v[100:101], v[110:111]
	v_pk_mul_f32 v[102:103], v[228:229], v[102:103] op_sel_hi:[1,0]
	v_pk_fma_f32 v[104:105], v[172:173], v[156:157], v[104:105] neg_lo:[0,0,1] neg_hi:[0,0,1]
	v_mov_b32_e32 v105, v107
	s_delay_alu instid0(VALU_DEP_4) | instskip(NEXT) | instid1(VALU_DEP_4)
	v_pk_add_f32 v[100:101], v[100:101], v[108:109]
	v_pk_fma_f32 v[106:107], v[174:175], v[158:159], v[102:103] op_sel_hi:[1,0,1]
	v_pk_fma_f32 v[102:103], v[174:175], v[158:159], v[102:103] neg_lo:[0,0,1] neg_hi:[0,0,1]
	s_delay_alu instid0(VALU_DEP_3) | instskip(NEXT) | instid1(VALU_DEP_3)
	v_pk_add_f32 v[100:101], v[100:101], v[104:105]
	v_mov_b32_e32 v103, v107
	s_delay_alu instid0(VALU_DEP_1) | instskip(SKIP_1) | instid1(VALU_DEP_1)
	v_pk_add_f32 v[100:101], v[100:101], v[102:103]
	s_wait_loadcnt 0x0
	v_pk_add_f32 v[100:101], v[220:221], v[100:101] neg_lo:[0,1] neg_hi:[0,1]
	scratch_store_b64 off, v[100:101], off offset:144
	s_wait_xcnt 0x0
	v_cmpx_lt_u32_e32 17, v0
	s_cbranch_execz .LBB48_273
; %bb.272:
	scratch_load_b64 v[100:101], off, off offset:136
	v_mov_b64_e32 v[102:103], 0
	scratch_store_b64 off, v[102:103], off offset:136
	s_wait_loadcnt 0x0
	ds_store_b64 v1, v[100:101]
.LBB48_273:
	s_wait_xcnt 0x0
	s_or_b32 exec_lo, exec_lo, s0
	s_wait_storecnt_dscnt 0x0
	s_barrier_signal -1
	s_barrier_wait -1
	s_clause 0x10
	scratch_load_b128 v[100:103], off, off offset:144
	scratch_load_b128 v[104:107], off, off offset:160
	;; [unrolled: 1-line block ×15, first 2 shown]
	scratch_load_b64 v[220:221], off, off offset:384
	scratch_load_b64 v[222:223], off, off offset:136
	v_mov_b32_e32 v7, 0
	ds_load_b128 v[160:163], v7 offset:720
	ds_load_b128 v[164:167], v7 offset:736
	;; [unrolled: 1-line block ×15, first 2 shown]
	ds_load_b64 v[224:225], v7 offset:784
	s_mov_b32 s0, exec_lo
	s_wait_dscnt 0xf
	v_dual_mov_b32 v226, v163 :: v_dual_mov_b32 v227, v162
	s_wait_dscnt 0xc
	v_dual_mov_b32 v228, v167 :: v_dual_mov_b32 v233, v174
	v_dual_mov_b32 v229, v166 :: v_dual_mov_b32 v230, v171
	;; [unrolled: 1-line block ×3, first 2 shown]
	s_wait_loadcnt_dscnt 0x100b
	v_dual_mul_f32 v9, v176, v101 :: v_dual_mul_f32 v51, v177, v101
	v_dual_mul_f32 v53, v179, v103 :: v_dual_mul_f32 v11, v178, v103
	s_wait_loadcnt_dscnt 0xf09
	v_mul_f32_e32 v13, v184, v105
	s_wait_loadcnt_dscnt 0xd07
	v_dual_mul_f32 v63, v193, v113 :: v_dual_fma_f32 v51, v176, v100, -v51
	v_dual_fmac_f32 v9, v177, v100 :: v_dual_mul_f32 v65, v195, v115
	v_dual_mul_f32 v55, v185, v105 :: v_dual_mul_f32 v57, v187, v107
	v_dual_fmac_f32 v11, v179, v102 :: v_dual_fma_f32 v53, v178, v102, -v53
	s_delay_alu instid0(VALU_DEP_3) | instskip(SKIP_4) | instid1(VALU_DEP_3)
	v_dual_add_f32 v9, 0, v9 :: v_dual_add_f32 v51, 0, v51
	v_dual_mul_f32 v15, v186, v107 :: v_dual_mul_f32 v17, v188, v109
	s_wait_loadcnt_dscnt 0xc06
	v_dual_mul_f32 v67, v197, v117 :: v_dual_fma_f32 v55, v184, v104, -v55
	v_fmac_f32_e32 v13, v185, v104
	v_dual_add_f32 v9, v9, v11 :: v_dual_fmac_f32 v15, v187, v106
	v_add_f32_e32 v11, v51, v53
	v_dual_mul_f32 v59, v189, v109 :: v_dual_mul_f32 v61, v191, v111
	v_dual_mul_f32 v51, v199, v119 :: v_dual_fma_f32 v53, v186, v106, -v57
	s_delay_alu instid0(VALU_DEP_3) | instskip(SKIP_3) | instid1(VALU_DEP_3)
	v_dual_add_f32 v9, v9, v13 :: v_dual_add_f32 v11, v11, v55
	v_dual_mul_f32 v19, v190, v111 :: v_dual_mul_f32 v21, v192, v113
	s_wait_loadcnt_dscnt 0xb05
	v_dual_mul_f32 v13, v201, v121 :: v_dual_fma_f32 v55, v188, v108, -v59
	v_dual_fmac_f32 v17, v189, v108 :: v_dual_add_f32 v11, v11, v53
	s_delay_alu instid0(VALU_DEP_3) | instskip(SKIP_1) | instid1(VALU_DEP_2)
	v_dual_add_f32 v9, v9, v15 :: v_dual_fmac_f32 v19, v191, v110
	v_dual_mul_f32 v15, v203, v123 :: v_dual_fma_f32 v53, v190, v110, -v61
	v_dual_add_f32 v11, v11, v55 :: v_dual_add_f32 v9, v9, v17
	v_dual_mul_f32 v23, v194, v115 :: v_dual_mul_f32 v25, v196, v117
	s_wait_loadcnt_dscnt 0xa04
	v_dual_mul_f32 v17, v205, v125 :: v_dual_fma_f32 v55, v192, v112, -v63
	s_delay_alu instid0(VALU_DEP_3) | instskip(NEXT) | instid1(VALU_DEP_3)
	v_dual_fmac_f32 v21, v193, v112 :: v_dual_add_f32 v11, v11, v53
	v_dual_add_f32 v9, v9, v19 :: v_dual_fmac_f32 v23, v195, v114
	v_dual_mul_f32 v19, v207, v127 :: v_dual_fma_f32 v53, v194, v114, -v65
	s_delay_alu instid0(VALU_DEP_2) | instskip(SKIP_3) | instid1(VALU_DEP_3)
	v_dual_add_f32 v11, v11, v55 :: v_dual_add_f32 v9, v9, v21
	v_dual_mul_f32 v27, v198, v119 :: v_dual_mul_f32 v29, v200, v121
	s_wait_loadcnt_dscnt 0x903
	v_dual_mul_f32 v21, v209, v129 :: v_dual_fma_f32 v55, v196, v116, -v67
	v_dual_fmac_f32 v25, v197, v116 :: v_dual_add_f32 v11, v11, v53
	s_delay_alu instid0(VALU_DEP_3) | instskip(SKIP_1) | instid1(VALU_DEP_2)
	v_dual_add_f32 v9, v9, v23 :: v_dual_fmac_f32 v27, v199, v118
	v_dual_mul_f32 v23, v211, v131 :: v_dual_fma_f32 v51, v198, v118, -v51
	v_dual_add_f32 v11, v11, v55 :: v_dual_add_f32 v9, v9, v25
	v_dual_mul_f32 v31, v202, v123 :: v_dual_mul_f32 v33, v204, v125
	s_wait_loadcnt_dscnt 0x802
	v_dual_mul_f32 v25, v213, v133 :: v_dual_fma_f32 v13, v200, v120, -v13
	s_delay_alu instid0(VALU_DEP_3) | instskip(NEXT) | instid1(VALU_DEP_3)
	v_dual_fmac_f32 v29, v201, v120 :: v_dual_add_f32 v11, v11, v51
	v_dual_add_f32 v9, v9, v27 :: v_dual_fmac_f32 v31, v203, v122
	v_dual_mul_f32 v27, v215, v135 :: v_dual_fma_f32 v15, v202, v122, -v15
	s_delay_alu instid0(VALU_DEP_3) | instskip(NEXT) | instid1(VALU_DEP_3)
	v_dual_add_f32 v11, v11, v13 :: v_dual_fmac_f32 v33, v205, v124
	v_dual_add_f32 v9, v9, v29 :: v_dual_fma_f32 v17, v204, v124, -v17
	v_dual_mul_f32 v35, v206, v127 :: v_dual_mul_f32 v37, v208, v129
	s_wait_loadcnt_dscnt 0x701
	s_delay_alu instid0(VALU_DEP_3) | instskip(NEXT) | instid1(VALU_DEP_2)
	v_dual_mul_f32 v13, v217, v137 :: v_dual_add_f32 v11, v11, v15
	v_dual_add_f32 v9, v9, v31 :: v_dual_fmac_f32 v35, v207, v126
	v_dual_mul_f32 v15, v219, v139 :: v_dual_fma_f32 v19, v206, v126, -v19
	s_delay_alu instid0(VALU_DEP_3) | instskip(NEXT) | instid1(VALU_DEP_3)
	v_dual_add_f32 v11, v11, v17 :: v_dual_fmac_f32 v37, v209, v128
	v_dual_add_f32 v9, v9, v33 :: v_dual_fma_f32 v21, v208, v128, -v21
	v_dual_mul_f32 v39, v210, v131 :: v_dual_mul_f32 v41, v212, v133
	s_wait_loadcnt 0x6
	s_delay_alu instid0(VALU_DEP_3) | instskip(NEXT) | instid1(VALU_DEP_2)
	v_dual_mul_f32 v17, v181, v141 :: v_dual_add_f32 v11, v11, v19
	v_dual_add_f32 v9, v9, v35 :: v_dual_fmac_f32 v39, v211, v130
	v_dual_mul_f32 v19, v183, v143 :: v_dual_fma_f32 v23, v210, v130, -v23
	s_delay_alu instid0(VALU_DEP_3) | instskip(NEXT) | instid1(VALU_DEP_3)
	v_dual_add_f32 v11, v11, v21 :: v_dual_fmac_f32 v41, v213, v132
	v_dual_add_f32 v9, v9, v37 :: v_dual_fma_f32 v25, v212, v132, -v25
	v_dual_mul_f32 v43, v214, v135 :: v_dual_mul_f32 v45, v216, v137
	s_wait_loadcnt 0x5
	s_delay_alu instid0(VALU_DEP_3) | instskip(NEXT) | instid1(VALU_DEP_3)
	v_dual_mul_f32 v21, v161, v145 :: v_dual_add_f32 v11, v11, v23
	v_dual_add_f32 v9, v9, v39 :: v_dual_mov_b32 v100, v147
	s_delay_alu instid0(VALU_DEP_3) | instskip(NEXT) | instid1(VALU_DEP_3)
	v_fmac_f32_e32 v43, v215, v134
	v_dual_fma_f32 v23, v214, v134, -v27 :: v_dual_add_f32 v11, v11, v25
	s_delay_alu instid0(VALU_DEP_3) | instskip(SKIP_1) | instid1(VALU_DEP_3)
	v_dual_add_f32 v9, v9, v41 :: v_dual_mul_f32 v47, v218, v139
	v_dual_mul_f32 v49, v180, v141 :: v_dual_fmac_f32 v45, v217, v136
	v_dual_add_f32 v11, v11, v23 :: v_dual_fma_f32 v13, v216, v136, -v13
	s_wait_loadcnt 0x4
	s_delay_alu instid0(VALU_DEP_3) | instskip(SKIP_3) | instid1(VALU_DEP_4)
	v_dual_add_f32 v9, v9, v43 :: v_dual_mov_b32 v104, v151
	v_fma_f32 v15, v218, v138, -v15
	v_fmac_f32_e32 v47, v219, v138
	v_dual_add_f32 v11, v11, v13 :: v_dual_fmac_f32 v49, v181, v140
	v_dual_add_f32 v9, v9, v45 :: v_dual_mul_f32 v235, v182, v143
	v_mul_f32_e32 v237, v160, v145
	s_delay_alu instid0(VALU_DEP_3) | instskip(NEXT) | instid1(VALU_DEP_3)
	v_dual_fma_f32 v13, v180, v140, -v17 :: v_dual_add_f32 v11, v11, v15
	v_dual_fma_f32 v234, v182, v142, -v19 :: v_dual_add_f32 v9, v9, v47
	s_delay_alu instid0(VALU_DEP_4) | instskip(SKIP_1) | instid1(VALU_DEP_4)
	v_fmac_f32_e32 v235, v183, v142
	v_pk_mul_f32 v[100:101], v[226:227], v[100:101] op_sel_hi:[1,0]
	v_dual_add_f32 v108, v11, v13 :: v_dual_fmac_f32 v237, v161, v144
	s_delay_alu instid0(VALU_DEP_4)
	v_add_f32_e32 v109, v9, v49
	v_pk_mul_f32 v[102:103], v[164:165], v[148:149] op_sel:[1,1] op_sel_hi:[0,1]
	s_wait_loadcnt 0x3
	v_dual_mov_b32 v110, v155 :: v_dual_fma_f32 v236, v160, v144, -v21
	v_pk_fma_f32 v[112:113], v[162:163], v[146:147], v[100:101] op_sel_hi:[1,0,1]
	v_pk_add_f32 v[108:109], v[108:109], v[234:235]
	v_pk_fma_f32 v[100:101], v[162:163], v[146:147], v[100:101] neg_lo:[0,0,1] neg_hi:[0,0,1]
	v_pk_fma_f32 v[114:115], v[164:165], v[148:149], v[102:103] op_sel_hi:[1,0,1]
	v_pk_mul_f32 v[104:105], v[228:229], v[104:105] op_sel_hi:[1,0]
	v_mov_b32_e32 v101, v113
	v_pk_add_f32 v[108:109], v[108:109], v[236:237]
	v_pk_fma_f32 v[102:103], v[164:165], v[148:149], v[102:103] neg_lo:[0,0,1] neg_hi:[0,0,1]
	v_pk_mul_f32 v[106:107], v[168:169], v[152:153] op_sel:[1,1] op_sel_hi:[0,1]
	v_mov_b32_e32 v103, v115
	v_pk_fma_f32 v[114:115], v[166:167], v[150:151], v[104:105] op_sel_hi:[1,0,1]
	v_pk_add_f32 v[100:101], v[108:109], v[100:101]
	v_pk_fma_f32 v[104:105], v[166:167], v[150:151], v[104:105] neg_lo:[0,0,1] neg_hi:[0,0,1]
	v_pk_fma_f32 v[108:109], v[168:169], v[152:153], v[106:107] op_sel_hi:[1,0,1]
	v_pk_mul_f32 v[110:111], v[230:231], v[110:111] op_sel_hi:[1,0]
	v_mov_b32_e32 v105, v115
	v_pk_add_f32 v[100:101], v[100:101], v[102:103]
	v_pk_fma_f32 v[106:107], v[168:169], v[152:153], v[106:107] neg_lo:[0,0,1] neg_hi:[0,0,1]
	s_wait_loadcnt 0x2
	v_pk_mul_f32 v[112:113], v[172:173], v[156:157] op_sel:[1,1] op_sel_hi:[0,1]
	v_dual_mov_b32 v102, v159 :: v_dual_mov_b32 v107, v109
	v_pk_fma_f32 v[108:109], v[170:171], v[154:155], v[110:111] op_sel_hi:[1,0,1]
	v_pk_add_f32 v[100:101], v[100:101], v[104:105]
	v_pk_fma_f32 v[110:111], v[170:171], v[154:155], v[110:111] neg_lo:[0,0,1] neg_hi:[0,0,1]
	v_pk_fma_f32 v[104:105], v[172:173], v[156:157], v[112:113] op_sel_hi:[1,0,1]
	v_pk_mul_f32 v[102:103], v[232:233], v[102:103] op_sel_hi:[1,0]
	v_mov_b32_e32 v111, v109
	v_pk_add_f32 v[100:101], v[100:101], v[106:107]
	v_pk_fma_f32 v[106:107], v[172:173], v[156:157], v[112:113] neg_lo:[0,0,1] neg_hi:[0,0,1]
	v_mov_b32_e32 v107, v105
	v_pk_fma_f32 v[104:105], v[174:175], v[158:159], v[102:103] op_sel_hi:[1,0,1]
	s_wait_loadcnt_dscnt 0x100
	v_pk_mul_f32 v[108:109], v[224:225], v[220:221] op_sel:[1,1] op_sel_hi:[0,1]
	v_pk_add_f32 v[100:101], v[100:101], v[110:111]
	v_pk_fma_f32 v[102:103], v[174:175], v[158:159], v[102:103] neg_lo:[0,0,1] neg_hi:[0,0,1]
	v_mov_b32_e32 v103, v105
	s_delay_alu instid0(VALU_DEP_4) | instskip(NEXT) | instid1(VALU_DEP_4)
	v_pk_fma_f32 v[104:105], v[224:225], v[220:221], v[108:109] op_sel_hi:[1,0,1]
	v_pk_add_f32 v[100:101], v[100:101], v[106:107]
	v_pk_fma_f32 v[106:107], v[224:225], v[220:221], v[108:109] neg_lo:[0,0,1] neg_hi:[0,0,1]
	s_delay_alu instid0(VALU_DEP_3) | instskip(NEXT) | instid1(VALU_DEP_3)
	v_mov_b32_e32 v107, v105
	v_pk_add_f32 v[100:101], v[100:101], v[102:103]
	s_delay_alu instid0(VALU_DEP_1) | instskip(SKIP_1) | instid1(VALU_DEP_1)
	v_pk_add_f32 v[100:101], v[100:101], v[106:107]
	s_wait_loadcnt 0x0
	v_pk_add_f32 v[100:101], v[222:223], v[100:101] neg_lo:[0,1] neg_hi:[0,1]
	scratch_store_b64 off, v[100:101], off offset:136
	s_wait_xcnt 0x0
	v_cmpx_lt_u32_e32 16, v0
	s_cbranch_execz .LBB48_275
; %bb.274:
	scratch_load_b64 v[100:101], off, off offset:128
	v_mov_b64_e32 v[102:103], 0
	scratch_store_b64 off, v[102:103], off offset:128
	s_wait_loadcnt 0x0
	ds_store_b64 v1, v[100:101]
.LBB48_275:
	s_wait_xcnt 0x0
	s_or_b32 exec_lo, exec_lo, s0
	s_wait_storecnt_dscnt 0x0
	s_barrier_signal -1
	s_barrier_wait -1
	s_clause 0x10
	scratch_load_b128 v[100:103], off, off offset:136
	scratch_load_b128 v[104:107], off, off offset:152
	;; [unrolled: 1-line block ×16, first 2 shown]
	scratch_load_b64 v[228:229], off, off offset:128
	ds_load_2addr_b64 v[164:167], v7 offset0:91 offset1:92
	ds_load_2addr_b64 v[168:171], v7 offset0:93 offset1:94
	ds_load_2addr_b64 v[172:175], v7 offset0:95 offset1:96
	ds_load_2addr_b64 v[176:179], v7 offset0:97 offset1:98
	ds_load_2addr_b64 v[180:183], v7 offset0:67 offset1:68
	ds_load_2addr_b64 v[184:187], v7 offset0:69 offset1:70
	ds_load_2addr_b64 v[188:191], v7 offset0:71 offset1:72
	ds_load_2addr_b64 v[192:195], v7 offset0:73 offset1:74
	ds_load_2addr_b64 v[196:199], v7 offset0:75 offset1:76
	ds_load_2addr_b64 v[200:203], v7 offset0:77 offset1:78
	ds_load_2addr_b64 v[204:207], v7 offset0:79 offset1:80
	ds_load_2addr_b64 v[208:211], v7 offset0:81 offset1:82
	ds_load_2addr_b64 v[212:215], v7 offset0:83 offset1:84
	ds_load_2addr_b64 v[216:219], v7 offset0:85 offset1:86
	ds_load_2addr_b64 v[220:223], v7 offset0:87 offset1:88
	ds_load_2addr_b64 v[224:227], v7 offset0:89 offset1:90
	s_mov_b32 s0, exec_lo
	s_wait_dscnt 0xf
	v_dual_mov_b32 v230, v167 :: v_dual_mov_b32 v231, v166
	s_wait_dscnt 0xe
	v_dual_mov_b32 v232, v171 :: v_dual_mov_b32 v233, v170
	;; [unrolled: 2-line block ×4, first 2 shown]
	s_wait_loadcnt_dscnt 0x100b
	v_dual_mul_f32 v7, v180, v101 :: v_dual_mul_f32 v9, v182, v103
	v_dual_mul_f32 v51, v181, v101 :: v_dual_mul_f32 v53, v183, v103
	s_wait_loadcnt_dscnt 0xf0a
	v_dual_mul_f32 v11, v184, v105 :: v_dual_mul_f32 v13, v186, v107
	s_delay_alu instid0(VALU_DEP_3) | instskip(SKIP_3) | instid1(VALU_DEP_3)
	v_dual_fmac_f32 v7, v181, v100 :: v_dual_fmac_f32 v9, v183, v102
	s_wait_loadcnt_dscnt 0xd08
	v_dual_fma_f32 v51, v180, v100, -v51 :: v_dual_mul_f32 v63, v193, v113
	v_dual_mul_f32 v55, v185, v105 :: v_dual_mul_f32 v57, v187, v107
	v_dual_fma_f32 v53, v182, v102, -v53 :: v_dual_add_f32 v7, 0, v7
	s_delay_alu instid0(VALU_DEP_3) | instskip(SKIP_1) | instid1(VALU_DEP_4)
	v_dual_add_f32 v51, 0, v51 :: v_dual_fmac_f32 v11, v185, v104
	v_dual_mul_f32 v15, v188, v109 :: v_dual_mul_f32 v17, v190, v111
	v_dual_mul_f32 v65, v195, v115 :: v_dual_fma_f32 v55, v184, v104, -v55
	s_delay_alu instid0(VALU_DEP_4) | instskip(NEXT) | instid1(VALU_DEP_3)
	v_add_f32_e32 v7, v7, v9
	v_dual_add_f32 v9, v51, v53 :: v_dual_fmac_f32 v15, v189, v108
	v_dual_mul_f32 v59, v189, v109 :: v_dual_mul_f32 v61, v191, v111
	s_wait_loadcnt_dscnt 0xc07
	v_dual_mul_f32 v51, v197, v117 :: v_dual_fmac_f32 v13, v187, v106
	v_dual_fma_f32 v53, v186, v106, -v57 :: v_dual_add_f32 v7, v7, v11
	s_delay_alu instid0(VALU_DEP_3) | instskip(SKIP_1) | instid1(VALU_DEP_3)
	v_dual_add_f32 v9, v9, v55 :: v_dual_fma_f32 v55, v188, v108, -v59
	v_dual_mul_f32 v19, v192, v113 :: v_dual_mul_f32 v21, v194, v115
	v_add_f32_e32 v7, v7, v13
	s_delay_alu instid0(VALU_DEP_3) | instskip(SKIP_2) | instid1(VALU_DEP_3)
	v_dual_mul_f32 v11, v199, v119 :: v_dual_add_f32 v9, v9, v53
	s_wait_loadcnt_dscnt 0xb06
	v_dual_mul_f32 v13, v201, v121 :: v_dual_fmac_f32 v17, v191, v110
	v_dual_fma_f32 v53, v190, v110, -v61 :: v_dual_add_f32 v7, v7, v15
	s_delay_alu instid0(VALU_DEP_3) | instskip(SKIP_1) | instid1(VALU_DEP_3)
	v_dual_add_f32 v9, v9, v55 :: v_dual_fma_f32 v55, v192, v112, -v63
	v_dual_mul_f32 v15, v203, v123 :: v_dual_fmac_f32 v19, v193, v112
	v_add_f32_e32 v7, v7, v17
	s_delay_alu instid0(VALU_DEP_3)
	v_dual_add_f32 v9, v9, v53 :: v_dual_fmac_f32 v21, v195, v114
	v_dual_mul_f32 v23, v196, v117 :: v_dual_mul_f32 v25, v198, v119
	s_wait_loadcnt_dscnt 0xa05
	v_dual_fma_f32 v53, v194, v114, -v65 :: v_dual_mul_f32 v17, v205, v125
	v_add_f32_e32 v7, v7, v19
	v_dual_add_f32 v9, v9, v55 :: v_dual_fma_f32 v51, v196, v116, -v51
	v_dual_mul_f32 v19, v207, v127 :: v_dual_fmac_f32 v23, v197, v116
	s_delay_alu instid0(VALU_DEP_3) | instskip(NEXT) | instid1(VALU_DEP_3)
	v_dual_add_f32 v7, v7, v21 :: v_dual_fma_f32 v11, v198, v118, -v11
	v_dual_add_f32 v9, v9, v53 :: v_dual_fmac_f32 v25, v199, v118
	v_dual_mul_f32 v27, v200, v121 :: v_dual_mul_f32 v29, v202, v123
	s_wait_loadcnt_dscnt 0x904
	s_delay_alu instid0(VALU_DEP_3) | instskip(NEXT) | instid1(VALU_DEP_3)
	v_dual_mul_f32 v21, v209, v129 :: v_dual_add_f32 v7, v7, v23
	v_dual_add_f32 v9, v9, v51 :: v_dual_fma_f32 v13, v200, v120, -v13
	s_delay_alu instid0(VALU_DEP_3) | instskip(NEXT) | instid1(VALU_DEP_2)
	v_dual_mul_f32 v23, v211, v131 :: v_dual_fmac_f32 v27, v201, v120
	v_dual_add_f32 v7, v7, v25 :: v_dual_add_f32 v9, v9, v11
	v_dual_mul_f32 v31, v204, v125 :: v_dual_mul_f32 v33, v206, v127
	s_wait_loadcnt_dscnt 0x803
	v_dual_mul_f32 v11, v213, v133 :: v_dual_fmac_f32 v29, v203, v122
	s_delay_alu instid0(VALU_DEP_3) | instskip(SKIP_2) | instid1(VALU_DEP_2)
	v_dual_fma_f32 v15, v202, v122, -v15 :: v_dual_add_f32 v7, v7, v27
	v_dual_add_f32 v9, v9, v13 :: v_dual_mul_f32 v13, v215, v135
	v_dual_fmac_f32 v31, v205, v124 :: v_dual_fma_f32 v17, v204, v124, -v17
	v_dual_add_f32 v7, v7, v29 :: v_dual_add_f32 v9, v9, v15
	v_dual_mul_f32 v35, v208, v129 :: v_dual_mul_f32 v37, v210, v131
	s_wait_loadcnt_dscnt 0x702
	v_dual_mul_f32 v15, v217, v137 :: v_dual_fmac_f32 v33, v207, v126
	s_delay_alu instid0(VALU_DEP_3) | instskip(SKIP_2) | instid1(VALU_DEP_2)
	v_dual_fma_f32 v19, v206, v126, -v19 :: v_dual_add_f32 v7, v7, v31
	v_dual_add_f32 v9, v9, v17 :: v_dual_mul_f32 v17, v219, v139
	v_dual_fmac_f32 v35, v209, v128 :: v_dual_fma_f32 v21, v208, v128, -v21
	v_dual_add_f32 v7, v7, v33 :: v_dual_add_f32 v9, v9, v19
	v_dual_mul_f32 v39, v212, v133 :: v_dual_mul_f32 v41, v214, v135
	s_wait_loadcnt_dscnt 0x601
	v_dual_mul_f32 v19, v221, v141 :: v_dual_fmac_f32 v37, v211, v130
	s_delay_alu instid0(VALU_DEP_3) | instskip(SKIP_2) | instid1(VALU_DEP_3)
	v_dual_fma_f32 v23, v210, v130, -v23 :: v_dual_add_f32 v7, v7, v35
	v_dual_add_f32 v9, v9, v21 :: v_dual_mul_f32 v21, v223, v143
	v_fmac_f32_e32 v39, v213, v132
	v_dual_fma_f32 v11, v212, v132, -v11 :: v_dual_add_f32 v7, v7, v37
	s_delay_alu instid0(VALU_DEP_3)
	v_dual_add_f32 v9, v9, v23 :: v_dual_mul_f32 v43, v216, v137
	s_wait_loadcnt_dscnt 0x500
	v_dual_mul_f32 v45, v218, v139 :: v_dual_mul_f32 v23, v225, v145
	v_fmac_f32_e32 v41, v215, v134
	v_dual_fma_f32 v13, v214, v134, -v13 :: v_dual_add_f32 v7, v7, v39
	v_dual_add_f32 v9, v9, v11 :: v_dual_fma_f32 v15, v216, v136, -v15
	v_dual_mul_f32 v11, v227, v147 :: v_dual_fmac_f32 v43, v217, v136
	s_delay_alu instid0(VALU_DEP_3) | instskip(NEXT) | instid1(VALU_DEP_3)
	v_add_f32_e32 v7, v7, v41
	v_dual_add_f32 v9, v9, v13 :: v_dual_fmac_f32 v45, v219, v138
	v_dual_mul_f32 v47, v220, v141 :: v_dual_mul_f32 v49, v222, v143
	s_delay_alu instid0(VALU_DEP_3) | instskip(SKIP_1) | instid1(VALU_DEP_3)
	v_dual_fma_f32 v13, v218, v138, -v17 :: v_dual_add_f32 v7, v7, v43
	s_wait_loadcnt 0x4
	v_dual_add_f32 v9, v9, v15 :: v_dual_mov_b32 v102, v151
	s_delay_alu instid0(VALU_DEP_3) | instskip(NEXT) | instid1(VALU_DEP_3)
	v_fmac_f32_e32 v47, v221, v140
	v_dual_fma_f32 v15, v220, v140, -v19 :: v_dual_add_f32 v7, v7, v45
	s_delay_alu instid0(VALU_DEP_3) | instskip(SKIP_1) | instid1(VALU_DEP_3)
	v_dual_add_f32 v9, v9, v13 :: v_dual_fmac_f32 v49, v223, v142
	v_dual_mul_f32 v239, v224, v145 :: v_dual_mul_f32 v241, v226, v147
	v_dual_fma_f32 v13, v222, v142, -v21 :: v_dual_add_f32 v7, v7, v47
	s_wait_loadcnt 0x3
	s_delay_alu instid0(VALU_DEP_3) | instskip(SKIP_1) | instid1(VALU_DEP_3)
	v_dual_add_f32 v9, v9, v15 :: v_dual_mov_b32 v106, v155
	v_pk_mul_f32 v[100:101], v[164:165], v[148:149] op_sel:[1,1] op_sel_hi:[0,1]
	v_dual_fmac_f32 v239, v225, v144 :: v_dual_add_f32 v109, v7, v49
	s_delay_alu instid0(VALU_DEP_3) | instskip(SKIP_1) | instid1(VALU_DEP_4)
	v_dual_fma_f32 v238, v224, v144, -v23 :: v_dual_add_f32 v108, v9, v13
	v_dual_fmac_f32 v241, v227, v146 :: v_dual_fma_f32 v240, v226, v146, -v11
	v_pk_fma_f32 v[110:111], v[164:165], v[148:149], v[100:101] op_sel_hi:[1,0,1]
	v_pk_mul_f32 v[102:103], v[230:231], v[102:103] op_sel_hi:[1,0]
	s_delay_alu instid0(VALU_DEP_4)
	v_pk_add_f32 v[108:109], v[108:109], v[238:239]
	v_pk_fma_f32 v[100:101], v[164:165], v[148:149], v[100:101] neg_lo:[0,0,1] neg_hi:[0,0,1]
	v_pk_mul_f32 v[104:105], v[168:169], v[152:153] op_sel:[1,1] op_sel_hi:[0,1]
	v_mov_b32_e32 v101, v111
	v_pk_fma_f32 v[110:111], v[166:167], v[150:151], v[102:103] op_sel_hi:[1,0,1]
	v_pk_add_f32 v[108:109], v[108:109], v[240:241]
	v_pk_fma_f32 v[102:103], v[166:167], v[150:151], v[102:103] neg_lo:[0,0,1] neg_hi:[0,0,1]
	v_pk_fma_f32 v[114:115], v[168:169], v[152:153], v[104:105] op_sel_hi:[1,0,1]
	v_pk_mul_f32 v[106:107], v[232:233], v[106:107] op_sel_hi:[1,0]
	v_mov_b32_e32 v103, v111
	v_pk_add_f32 v[100:101], v[108:109], v[100:101]
	s_wait_loadcnt 0x2
	v_pk_mul_f32 v[112:113], v[172:173], v[156:157] op_sel:[1,1] op_sel_hi:[0,1]
	v_mov_b32_e32 v108, v159
	v_pk_fma_f32 v[104:105], v[168:169], v[152:153], v[104:105] neg_lo:[0,0,1] neg_hi:[0,0,1]
	v_mov_b32_e32 v105, v115
	v_pk_fma_f32 v[110:111], v[170:171], v[154:155], v[106:107] op_sel_hi:[1,0,1]
	v_pk_add_f32 v[100:101], v[100:101], v[102:103]
	v_pk_fma_f32 v[102:103], v[172:173], v[156:157], v[112:113] op_sel_hi:[1,0,1]
	v_pk_mul_f32 v[108:109], v[234:235], v[108:109] op_sel_hi:[1,0]
	v_pk_fma_f32 v[106:107], v[170:171], v[154:155], v[106:107] neg_lo:[0,0,1] neg_hi:[0,0,1]
	v_mov_b32_e32 v107, v111
	v_pk_add_f32 v[100:101], v[100:101], v[104:105]
	v_pk_fma_f32 v[110:111], v[172:173], v[156:157], v[112:113] neg_lo:[0,0,1] neg_hi:[0,0,1]
	v_mov_b32_e32 v111, v103
	v_pk_fma_f32 v[102:103], v[174:175], v[158:159], v[108:109] op_sel_hi:[1,0,1]
	s_wait_loadcnt 0x1
	v_pk_mul_f32 v[104:105], v[176:177], v[160:161] op_sel:[1,1] op_sel_hi:[0,1]
	v_pk_add_f32 v[100:101], v[100:101], v[106:107]
	v_mov_b32_e32 v102, v163
	v_pk_fma_f32 v[108:109], v[174:175], v[158:159], v[108:109] neg_lo:[0,0,1] neg_hi:[0,0,1]
	v_mov_b32_e32 v109, v103
	v_pk_fma_f32 v[106:107], v[176:177], v[160:161], v[104:105] op_sel_hi:[1,0,1]
	v_pk_add_f32 v[100:101], v[100:101], v[110:111]
	v_pk_mul_f32 v[102:103], v[236:237], v[102:103] op_sel_hi:[1,0]
	v_pk_fma_f32 v[104:105], v[176:177], v[160:161], v[104:105] neg_lo:[0,0,1] neg_hi:[0,0,1]
	s_delay_alu instid0(VALU_DEP_4) | instskip(NEXT) | instid1(VALU_DEP_4)
	v_mov_b32_e32 v105, v107
	v_pk_add_f32 v[100:101], v[100:101], v[108:109]
	s_delay_alu instid0(VALU_DEP_4) | instskip(SKIP_1) | instid1(VALU_DEP_2)
	v_pk_fma_f32 v[106:107], v[178:179], v[162:163], v[102:103] op_sel_hi:[1,0,1]
	v_pk_fma_f32 v[102:103], v[178:179], v[162:163], v[102:103] neg_lo:[0,0,1] neg_hi:[0,0,1]
	v_mov_b32_e32 v103, v107
	s_delay_alu instid0(VALU_DEP_4) | instskip(NEXT) | instid1(VALU_DEP_1)
	v_pk_add_f32 v[100:101], v[100:101], v[104:105]
	v_pk_add_f32 v[100:101], v[100:101], v[102:103]
	s_wait_loadcnt 0x0
	s_delay_alu instid0(VALU_DEP_1)
	v_pk_add_f32 v[100:101], v[228:229], v[100:101] neg_lo:[0,1] neg_hi:[0,1]
	scratch_store_b64 off, v[100:101], off offset:128
	s_wait_xcnt 0x0
	v_cmpx_lt_u32_e32 15, v0
	s_cbranch_execz .LBB48_277
; %bb.276:
	scratch_load_b64 v[100:101], off, off offset:120
	v_mov_b64_e32 v[102:103], 0
	scratch_store_b64 off, v[102:103], off offset:120
	s_wait_loadcnt 0x0
	ds_store_b64 v1, v[100:101]
.LBB48_277:
	s_wait_xcnt 0x0
	s_or_b32 exec_lo, exec_lo, s0
	s_wait_storecnt_dscnt 0x0
	s_barrier_signal -1
	s_barrier_wait -1
	s_clause 0x11
	scratch_load_b128 v[100:103], off, off offset:128
	scratch_load_b128 v[104:107], off, off offset:144
	;; [unrolled: 1-line block ×16, first 2 shown]
	scratch_load_b64 v[228:229], off, off offset:384
	scratch_load_b64 v[230:231], off, off offset:120
	v_mov_b32_e32 v7, 0
	ds_load_b128 v[164:167], v7 offset:720
	ds_load_b128 v[168:171], v7 offset:736
	;; [unrolled: 1-line block ×16, first 2 shown]
	ds_load_b64 v[232:233], v7 offset:784
	s_mov_b32 s0, exec_lo
	s_wait_dscnt 0x10
	v_dual_mov_b32 v234, v167 :: v_dual_mov_b32 v235, v166
	s_wait_dscnt 0xd
	v_dual_mov_b32 v236, v171 :: v_dual_mov_b32 v241, v178
	v_dual_mov_b32 v237, v170 :: v_dual_mov_b32 v238, v175
	;; [unrolled: 1-line block ×3, first 2 shown]
	s_wait_loadcnt_dscnt 0x110c
	v_dual_mul_f32 v9, v180, v101 :: v_dual_mul_f32 v55, v181, v101
	v_dual_mul_f32 v57, v183, v103 :: v_dual_mul_f32 v11, v182, v103
	s_wait_loadcnt_dscnt 0x100b
	v_mul_f32_e32 v13, v184, v105
	s_wait_loadcnt_dscnt 0xe09
	v_dual_mul_f32 v67, v193, v113 :: v_dual_fma_f32 v55, v180, v100, -v55
	v_dual_fmac_f32 v9, v181, v100 :: v_dual_mul_f32 v69, v195, v115
	v_dual_mul_f32 v59, v185, v105 :: v_dual_mul_f32 v61, v187, v107
	v_dual_fmac_f32 v11, v183, v102 :: v_dual_fma_f32 v57, v182, v102, -v57
	s_delay_alu instid0(VALU_DEP_3) | instskip(SKIP_4) | instid1(VALU_DEP_3)
	v_dual_add_f32 v9, 0, v9 :: v_dual_add_f32 v55, 0, v55
	v_dual_mul_f32 v15, v186, v107 :: v_dual_mul_f32 v17, v188, v109
	s_wait_loadcnt_dscnt 0xd08
	v_dual_mul_f32 v71, v197, v117 :: v_dual_fma_f32 v59, v184, v104, -v59
	v_fmac_f32_e32 v13, v185, v104
	v_dual_add_f32 v9, v9, v11 :: v_dual_fmac_f32 v15, v187, v106
	v_add_f32_e32 v11, v55, v57
	v_dual_mul_f32 v63, v189, v109 :: v_dual_mul_f32 v65, v191, v111
	v_dual_mul_f32 v55, v199, v119 :: v_dual_fma_f32 v57, v186, v106, -v61
	s_delay_alu instid0(VALU_DEP_3) | instskip(SKIP_3) | instid1(VALU_DEP_3)
	v_dual_add_f32 v9, v9, v13 :: v_dual_add_f32 v11, v11, v59
	v_dual_mul_f32 v19, v190, v111 :: v_dual_mul_f32 v21, v192, v113
	s_wait_loadcnt_dscnt 0xc07
	v_dual_mul_f32 v13, v201, v121 :: v_dual_fma_f32 v59, v188, v108, -v63
	v_dual_fmac_f32 v17, v189, v108 :: v_dual_add_f32 v11, v11, v57
	s_delay_alu instid0(VALU_DEP_3) | instskip(SKIP_1) | instid1(VALU_DEP_2)
	v_dual_add_f32 v9, v9, v15 :: v_dual_fmac_f32 v19, v191, v110
	v_dual_mul_f32 v15, v203, v123 :: v_dual_fma_f32 v57, v190, v110, -v65
	v_dual_add_f32 v11, v11, v59 :: v_dual_add_f32 v9, v9, v17
	v_dual_mul_f32 v23, v194, v115 :: v_dual_mul_f32 v25, v196, v117
	s_wait_loadcnt_dscnt 0xb06
	v_dual_mul_f32 v17, v205, v125 :: v_dual_fma_f32 v59, v192, v112, -v67
	s_delay_alu instid0(VALU_DEP_3) | instskip(NEXT) | instid1(VALU_DEP_3)
	v_dual_fmac_f32 v21, v193, v112 :: v_dual_add_f32 v11, v11, v57
	v_dual_add_f32 v9, v9, v19 :: v_dual_fmac_f32 v23, v195, v114
	v_dual_mul_f32 v19, v207, v127 :: v_dual_fma_f32 v57, v194, v114, -v69
	s_delay_alu instid0(VALU_DEP_2) | instskip(SKIP_3) | instid1(VALU_DEP_3)
	v_dual_add_f32 v11, v11, v59 :: v_dual_add_f32 v9, v9, v21
	v_dual_mul_f32 v27, v198, v119 :: v_dual_mul_f32 v29, v200, v121
	s_wait_loadcnt_dscnt 0xa05
	v_dual_mul_f32 v21, v209, v129 :: v_dual_fma_f32 v59, v196, v116, -v71
	v_dual_fmac_f32 v25, v197, v116 :: v_dual_add_f32 v11, v11, v57
	s_delay_alu instid0(VALU_DEP_3) | instskip(SKIP_1) | instid1(VALU_DEP_2)
	v_dual_add_f32 v9, v9, v23 :: v_dual_fmac_f32 v27, v199, v118
	v_dual_mul_f32 v23, v211, v131 :: v_dual_fma_f32 v55, v198, v118, -v55
	v_dual_add_f32 v11, v11, v59 :: v_dual_add_f32 v9, v9, v25
	v_dual_mul_f32 v31, v202, v123 :: v_dual_mul_f32 v33, v204, v125
	s_wait_loadcnt_dscnt 0x904
	v_dual_mul_f32 v25, v213, v133 :: v_dual_fma_f32 v13, v200, v120, -v13
	s_delay_alu instid0(VALU_DEP_3) | instskip(NEXT) | instid1(VALU_DEP_3)
	v_dual_fmac_f32 v29, v201, v120 :: v_dual_add_f32 v11, v11, v55
	v_dual_add_f32 v9, v9, v27 :: v_dual_fmac_f32 v31, v203, v122
	v_dual_mul_f32 v27, v215, v135 :: v_dual_fma_f32 v15, v202, v122, -v15
	s_delay_alu instid0(VALU_DEP_3) | instskip(NEXT) | instid1(VALU_DEP_3)
	v_dual_add_f32 v11, v11, v13 :: v_dual_fmac_f32 v33, v205, v124
	v_dual_add_f32 v9, v9, v29 :: v_dual_fma_f32 v17, v204, v124, -v17
	v_dual_mul_f32 v35, v206, v127 :: v_dual_mul_f32 v37, v208, v129
	s_wait_loadcnt_dscnt 0x803
	s_delay_alu instid0(VALU_DEP_3) | instskip(NEXT) | instid1(VALU_DEP_2)
	v_dual_mul_f32 v13, v217, v137 :: v_dual_add_f32 v11, v11, v15
	v_dual_add_f32 v9, v9, v31 :: v_dual_fmac_f32 v35, v207, v126
	v_dual_mul_f32 v15, v219, v139 :: v_dual_fma_f32 v19, v206, v126, -v19
	s_delay_alu instid0(VALU_DEP_3) | instskip(NEXT) | instid1(VALU_DEP_3)
	v_dual_add_f32 v11, v11, v17 :: v_dual_fmac_f32 v37, v209, v128
	v_dual_add_f32 v9, v9, v33 :: v_dual_fma_f32 v21, v208, v128, -v21
	v_dual_mul_f32 v39, v210, v131 :: v_dual_mul_f32 v41, v212, v133
	s_wait_loadcnt_dscnt 0x702
	s_delay_alu instid0(VALU_DEP_3) | instskip(NEXT) | instid1(VALU_DEP_2)
	v_dual_mul_f32 v17, v221, v141 :: v_dual_add_f32 v11, v11, v19
	;; [unrolled: 9-line block ×3, first 2 shown]
	v_dual_add_f32 v9, v9, v39 :: v_dual_fmac_f32 v43, v215, v134
	v_dual_mul_f32 v23, v227, v147 :: v_dual_fma_f32 v27, v214, v134, -v27
	s_delay_alu instid0(VALU_DEP_3) | instskip(NEXT) | instid1(VALU_DEP_3)
	v_dual_add_f32 v11, v11, v25 :: v_dual_fmac_f32 v45, v217, v136
	v_dual_add_f32 v9, v9, v41 :: v_dual_fma_f32 v13, v216, v136, -v13
	v_dual_mul_f32 v47, v218, v139 :: v_dual_mul_f32 v49, v220, v141
	s_wait_loadcnt 0x5
	s_delay_alu instid0(VALU_DEP_3) | instskip(NEXT) | instid1(VALU_DEP_3)
	v_dual_mul_f32 v25, v165, v149 :: v_dual_add_f32 v11, v11, v27
	v_dual_add_f32 v9, v9, v43 :: v_dual_mov_b32 v100, v151
	s_delay_alu instid0(VALU_DEP_3) | instskip(NEXT) | instid1(VALU_DEP_3)
	v_fmac_f32_e32 v47, v219, v138
	v_dual_fma_f32 v15, v218, v138, -v15 :: v_dual_add_f32 v11, v11, v13
	s_delay_alu instid0(VALU_DEP_3) | instskip(SKIP_1) | instid1(VALU_DEP_3)
	v_dual_add_f32 v9, v9, v45 :: v_dual_mul_f32 v51, v222, v143
	v_dual_mul_f32 v53, v224, v145 :: v_dual_fmac_f32 v49, v221, v140
	v_dual_add_f32 v11, v11, v15 :: v_dual_fma_f32 v13, v220, v140, -v17
	s_wait_loadcnt 0x4
	s_delay_alu instid0(VALU_DEP_3) | instskip(SKIP_3) | instid1(VALU_DEP_4)
	v_dual_add_f32 v9, v9, v47 :: v_dual_mov_b32 v104, v155
	v_fma_f32 v15, v222, v142, -v19
	v_fmac_f32_e32 v51, v223, v142
	v_dual_add_f32 v11, v11, v13 :: v_dual_fmac_f32 v53, v225, v144
	v_dual_add_f32 v9, v9, v49 :: v_dual_mul_f32 v243, v226, v147
	v_mul_f32_e32 v245, v164, v149
	s_delay_alu instid0(VALU_DEP_3) | instskip(NEXT) | instid1(VALU_DEP_3)
	v_dual_fma_f32 v13, v224, v144, -v21 :: v_dual_add_f32 v11, v11, v15
	v_dual_fma_f32 v242, v226, v146, -v23 :: v_dual_add_f32 v9, v9, v51
	s_delay_alu instid0(VALU_DEP_4) | instskip(SKIP_1) | instid1(VALU_DEP_4)
	v_fmac_f32_e32 v243, v227, v146
	v_pk_mul_f32 v[100:101], v[234:235], v[100:101] op_sel_hi:[1,0]
	v_dual_add_f32 v108, v11, v13 :: v_dual_fmac_f32 v245, v165, v148
	s_delay_alu instid0(VALU_DEP_4)
	v_add_f32_e32 v109, v9, v53
	v_pk_mul_f32 v[102:103], v[168:169], v[152:153] op_sel:[1,1] op_sel_hi:[0,1]
	s_wait_loadcnt 0x3
	v_dual_mov_b32 v110, v159 :: v_dual_fma_f32 v244, v164, v148, -v25
	v_pk_fma_f32 v[112:113], v[166:167], v[150:151], v[100:101] op_sel_hi:[1,0,1]
	v_pk_add_f32 v[108:109], v[108:109], v[242:243]
	v_pk_fma_f32 v[100:101], v[166:167], v[150:151], v[100:101] neg_lo:[0,0,1] neg_hi:[0,0,1]
	v_pk_fma_f32 v[114:115], v[168:169], v[152:153], v[102:103] op_sel_hi:[1,0,1]
	v_pk_mul_f32 v[104:105], v[236:237], v[104:105] op_sel_hi:[1,0]
	v_mov_b32_e32 v101, v113
	v_pk_add_f32 v[108:109], v[108:109], v[244:245]
	v_pk_fma_f32 v[102:103], v[168:169], v[152:153], v[102:103] neg_lo:[0,0,1] neg_hi:[0,0,1]
	v_pk_mul_f32 v[106:107], v[172:173], v[156:157] op_sel:[1,1] op_sel_hi:[0,1]
	v_mov_b32_e32 v103, v115
	v_pk_fma_f32 v[114:115], v[170:171], v[154:155], v[104:105] op_sel_hi:[1,0,1]
	v_pk_add_f32 v[100:101], v[108:109], v[100:101]
	v_pk_fma_f32 v[104:105], v[170:171], v[154:155], v[104:105] neg_lo:[0,0,1] neg_hi:[0,0,1]
	v_pk_fma_f32 v[108:109], v[172:173], v[156:157], v[106:107] op_sel_hi:[1,0,1]
	v_pk_mul_f32 v[110:111], v[238:239], v[110:111] op_sel_hi:[1,0]
	v_mov_b32_e32 v105, v115
	v_pk_add_f32 v[100:101], v[100:101], v[102:103]
	v_pk_fma_f32 v[106:107], v[172:173], v[156:157], v[106:107] neg_lo:[0,0,1] neg_hi:[0,0,1]
	s_wait_loadcnt 0x2
	v_pk_mul_f32 v[112:113], v[176:177], v[160:161] op_sel:[1,1] op_sel_hi:[0,1]
	v_dual_mov_b32 v102, v163 :: v_dual_mov_b32 v107, v109
	v_pk_fma_f32 v[108:109], v[174:175], v[158:159], v[110:111] op_sel_hi:[1,0,1]
	v_pk_add_f32 v[100:101], v[100:101], v[104:105]
	v_pk_fma_f32 v[110:111], v[174:175], v[158:159], v[110:111] neg_lo:[0,0,1] neg_hi:[0,0,1]
	v_pk_fma_f32 v[104:105], v[176:177], v[160:161], v[112:113] op_sel_hi:[1,0,1]
	v_pk_mul_f32 v[102:103], v[240:241], v[102:103] op_sel_hi:[1,0]
	v_mov_b32_e32 v111, v109
	v_pk_add_f32 v[100:101], v[100:101], v[106:107]
	v_pk_fma_f32 v[106:107], v[176:177], v[160:161], v[112:113] neg_lo:[0,0,1] neg_hi:[0,0,1]
	v_mov_b32_e32 v107, v105
	v_pk_fma_f32 v[104:105], v[178:179], v[162:163], v[102:103] op_sel_hi:[1,0,1]
	s_wait_loadcnt_dscnt 0x100
	v_pk_mul_f32 v[108:109], v[232:233], v[228:229] op_sel:[1,1] op_sel_hi:[0,1]
	v_pk_add_f32 v[100:101], v[100:101], v[110:111]
	v_pk_fma_f32 v[102:103], v[178:179], v[162:163], v[102:103] neg_lo:[0,0,1] neg_hi:[0,0,1]
	v_mov_b32_e32 v103, v105
	s_delay_alu instid0(VALU_DEP_4) | instskip(NEXT) | instid1(VALU_DEP_4)
	v_pk_fma_f32 v[104:105], v[232:233], v[228:229], v[108:109] op_sel_hi:[1,0,1]
	v_pk_add_f32 v[100:101], v[100:101], v[106:107]
	v_pk_fma_f32 v[106:107], v[232:233], v[228:229], v[108:109] neg_lo:[0,0,1] neg_hi:[0,0,1]
	s_delay_alu instid0(VALU_DEP_3) | instskip(NEXT) | instid1(VALU_DEP_3)
	v_mov_b32_e32 v107, v105
	v_pk_add_f32 v[100:101], v[100:101], v[102:103]
	s_delay_alu instid0(VALU_DEP_1) | instskip(SKIP_1) | instid1(VALU_DEP_1)
	v_pk_add_f32 v[100:101], v[100:101], v[106:107]
	s_wait_loadcnt 0x0
	v_pk_add_f32 v[100:101], v[230:231], v[100:101] neg_lo:[0,1] neg_hi:[0,1]
	scratch_store_b64 off, v[100:101], off offset:120
	s_wait_xcnt 0x0
	v_cmpx_lt_u32_e32 14, v0
	s_cbranch_execz .LBB48_279
; %bb.278:
	scratch_load_b64 v[100:101], off, off offset:112
	v_mov_b64_e32 v[102:103], 0
	scratch_store_b64 off, v[102:103], off offset:112
	s_wait_loadcnt 0x0
	ds_store_b64 v1, v[100:101]
.LBB48_279:
	s_wait_xcnt 0x0
	s_or_b32 exec_lo, exec_lo, s0
	s_wait_storecnt_dscnt 0x0
	s_barrier_signal -1
	s_barrier_wait -1
	s_clause 0x11
	scratch_load_b128 v[100:103], off, off offset:120
	scratch_load_b128 v[104:107], off, off offset:136
	;; [unrolled: 1-line block ×17, first 2 shown]
	scratch_load_b64 v[236:237], off, off offset:112
	ds_load_2addr_b64 v[168:171], v7 offset0:91 offset1:92
	ds_load_2addr_b64 v[172:175], v7 offset0:93 offset1:94
	;; [unrolled: 1-line block ×17, first 2 shown]
	s_mov_b32 s0, exec_lo
	s_wait_dscnt 0x10
	v_dual_mov_b32 v238, v171 :: v_dual_mov_b32 v239, v170
	s_wait_dscnt 0xf
	v_dual_mov_b32 v240, v175 :: v_dual_mov_b32 v241, v174
	;; [unrolled: 2-line block ×4, first 2 shown]
	s_wait_loadcnt_dscnt 0x110b
	v_dual_mul_f32 v7, v188, v101 :: v_dual_mul_f32 v9, v190, v103
	v_dual_mul_f32 v55, v189, v101 :: v_dual_mul_f32 v57, v191, v103
	s_wait_loadcnt_dscnt 0x100a
	v_dual_mul_f32 v11, v192, v105 :: v_dual_mul_f32 v13, v194, v107
	s_delay_alu instid0(VALU_DEP_3) | instskip(SKIP_3) | instid1(VALU_DEP_3)
	v_dual_fmac_f32 v7, v189, v100 :: v_dual_fmac_f32 v9, v191, v102
	s_wait_loadcnt_dscnt 0xe08
	v_dual_fma_f32 v55, v188, v100, -v55 :: v_dual_mul_f32 v67, v201, v113
	v_dual_mul_f32 v59, v193, v105 :: v_dual_mul_f32 v61, v195, v107
	v_dual_fma_f32 v57, v190, v102, -v57 :: v_dual_add_f32 v7, 0, v7
	s_delay_alu instid0(VALU_DEP_3) | instskip(SKIP_1) | instid1(VALU_DEP_4)
	v_dual_add_f32 v55, 0, v55 :: v_dual_fmac_f32 v11, v193, v104
	v_dual_mul_f32 v15, v196, v109 :: v_dual_mul_f32 v17, v198, v111
	v_dual_mul_f32 v69, v203, v115 :: v_dual_fma_f32 v59, v192, v104, -v59
	s_delay_alu instid0(VALU_DEP_4) | instskip(NEXT) | instid1(VALU_DEP_3)
	v_add_f32_e32 v7, v7, v9
	v_dual_add_f32 v9, v55, v57 :: v_dual_fmac_f32 v15, v197, v108
	v_dual_mul_f32 v63, v197, v109 :: v_dual_mul_f32 v65, v199, v111
	s_wait_loadcnt_dscnt 0xd07
	v_dual_mul_f32 v55, v205, v117 :: v_dual_fmac_f32 v13, v195, v106
	v_dual_fma_f32 v57, v194, v106, -v61 :: v_dual_add_f32 v7, v7, v11
	s_delay_alu instid0(VALU_DEP_3) | instskip(SKIP_1) | instid1(VALU_DEP_3)
	v_dual_add_f32 v9, v9, v59 :: v_dual_fma_f32 v59, v196, v108, -v63
	v_dual_mul_f32 v19, v200, v113 :: v_dual_mul_f32 v21, v202, v115
	v_add_f32_e32 v7, v7, v13
	s_delay_alu instid0(VALU_DEP_3) | instskip(SKIP_2) | instid1(VALU_DEP_3)
	v_dual_mul_f32 v11, v207, v119 :: v_dual_add_f32 v9, v9, v57
	s_wait_loadcnt_dscnt 0xc06
	v_dual_mul_f32 v13, v209, v121 :: v_dual_fmac_f32 v17, v199, v110
	v_dual_fma_f32 v57, v198, v110, -v65 :: v_dual_add_f32 v7, v7, v15
	s_delay_alu instid0(VALU_DEP_3) | instskip(SKIP_1) | instid1(VALU_DEP_3)
	v_dual_add_f32 v9, v9, v59 :: v_dual_fma_f32 v59, v200, v112, -v67
	v_dual_mul_f32 v15, v211, v123 :: v_dual_fmac_f32 v19, v201, v112
	v_add_f32_e32 v7, v7, v17
	s_delay_alu instid0(VALU_DEP_3)
	v_dual_add_f32 v9, v9, v57 :: v_dual_fmac_f32 v21, v203, v114
	v_dual_mul_f32 v23, v204, v117 :: v_dual_mul_f32 v25, v206, v119
	s_wait_loadcnt_dscnt 0xb05
	v_dual_fma_f32 v57, v202, v114, -v69 :: v_dual_mul_f32 v17, v213, v125
	v_add_f32_e32 v7, v7, v19
	v_dual_add_f32 v9, v9, v59 :: v_dual_fma_f32 v55, v204, v116, -v55
	v_dual_mul_f32 v19, v215, v127 :: v_dual_fmac_f32 v23, v205, v116
	s_delay_alu instid0(VALU_DEP_3) | instskip(NEXT) | instid1(VALU_DEP_3)
	v_dual_add_f32 v7, v7, v21 :: v_dual_fma_f32 v11, v206, v118, -v11
	v_dual_add_f32 v9, v9, v57 :: v_dual_fmac_f32 v25, v207, v118
	v_dual_mul_f32 v27, v208, v121 :: v_dual_mul_f32 v29, v210, v123
	s_wait_loadcnt_dscnt 0xa04
	s_delay_alu instid0(VALU_DEP_3) | instskip(NEXT) | instid1(VALU_DEP_3)
	v_dual_mul_f32 v21, v217, v129 :: v_dual_add_f32 v7, v7, v23
	v_dual_add_f32 v9, v9, v55 :: v_dual_fma_f32 v13, v208, v120, -v13
	s_delay_alu instid0(VALU_DEP_3) | instskip(NEXT) | instid1(VALU_DEP_2)
	v_dual_mul_f32 v23, v219, v131 :: v_dual_fmac_f32 v27, v209, v120
	v_dual_add_f32 v7, v7, v25 :: v_dual_add_f32 v9, v9, v11
	v_dual_mul_f32 v31, v212, v125 :: v_dual_mul_f32 v33, v214, v127
	s_wait_loadcnt_dscnt 0x903
	v_dual_mul_f32 v11, v221, v133 :: v_dual_fmac_f32 v29, v211, v122
	s_delay_alu instid0(VALU_DEP_3) | instskip(SKIP_2) | instid1(VALU_DEP_2)
	v_dual_fma_f32 v15, v210, v122, -v15 :: v_dual_add_f32 v7, v7, v27
	v_dual_add_f32 v9, v9, v13 :: v_dual_mul_f32 v13, v223, v135
	v_dual_fmac_f32 v31, v213, v124 :: v_dual_fma_f32 v17, v212, v124, -v17
	v_dual_add_f32 v7, v7, v29 :: v_dual_add_f32 v9, v9, v15
	v_dual_mul_f32 v35, v216, v129 :: v_dual_mul_f32 v37, v218, v131
	s_wait_loadcnt_dscnt 0x802
	v_dual_mul_f32 v15, v225, v137 :: v_dual_fmac_f32 v33, v215, v126
	s_delay_alu instid0(VALU_DEP_3) | instskip(SKIP_2) | instid1(VALU_DEP_2)
	v_dual_fma_f32 v19, v214, v126, -v19 :: v_dual_add_f32 v7, v7, v31
	v_dual_add_f32 v9, v9, v17 :: v_dual_mul_f32 v17, v227, v139
	v_dual_fmac_f32 v35, v217, v128 :: v_dual_fma_f32 v21, v216, v128, -v21
	v_dual_add_f32 v7, v7, v33 :: v_dual_add_f32 v9, v9, v19
	v_dual_mul_f32 v39, v220, v133 :: v_dual_mul_f32 v41, v222, v135
	s_wait_loadcnt_dscnt 0x701
	v_dual_mul_f32 v19, v229, v141 :: v_dual_fmac_f32 v37, v219, v130
	s_delay_alu instid0(VALU_DEP_3) | instskip(SKIP_2) | instid1(VALU_DEP_3)
	v_dual_fma_f32 v23, v218, v130, -v23 :: v_dual_add_f32 v7, v7, v35
	v_dual_add_f32 v9, v9, v21 :: v_dual_mul_f32 v21, v231, v143
	v_fmac_f32_e32 v39, v221, v132
	v_dual_fma_f32 v11, v220, v132, -v11 :: v_dual_add_f32 v7, v7, v37
	s_delay_alu instid0(VALU_DEP_3)
	v_dual_add_f32 v9, v9, v23 :: v_dual_mul_f32 v43, v224, v137
	s_wait_loadcnt_dscnt 0x600
	v_dual_mul_f32 v45, v226, v139 :: v_dual_mul_f32 v23, v233, v145
	v_fmac_f32_e32 v41, v223, v134
	v_dual_fma_f32 v13, v222, v134, -v13 :: v_dual_add_f32 v7, v7, v39
	v_dual_add_f32 v9, v9, v11 :: v_dual_fma_f32 v15, v224, v136, -v15
	v_dual_mul_f32 v11, v235, v147 :: v_dual_fmac_f32 v43, v225, v136
	s_delay_alu instid0(VALU_DEP_3) | instskip(NEXT) | instid1(VALU_DEP_3)
	v_dual_add_f32 v7, v7, v41 :: v_dual_fma_f32 v17, v226, v138, -v17
	v_dual_add_f32 v9, v9, v13 :: v_dual_fmac_f32 v45, v227, v138
	v_dual_mul_f32 v47, v228, v141 :: v_dual_mul_f32 v49, v230, v143
	s_wait_loadcnt 0x5
	s_delay_alu instid0(VALU_DEP_3) | instskip(NEXT) | instid1(VALU_DEP_3)
	v_dual_mul_f32 v13, v185, v149 :: v_dual_add_f32 v7, v7, v43
	v_dual_add_f32 v9, v9, v15 :: v_dual_fma_f32 v19, v228, v140, -v19
	s_delay_alu instid0(VALU_DEP_3) | instskip(NEXT) | instid1(VALU_DEP_3)
	v_dual_mul_f32 v15, v187, v151 :: v_dual_fmac_f32 v47, v229, v140
	v_add_f32_e32 v7, v7, v45
	s_delay_alu instid0(VALU_DEP_3) | instskip(SKIP_1) | instid1(VALU_DEP_3)
	v_dual_add_f32 v9, v9, v17 :: v_dual_fmac_f32 v49, v231, v142
	v_dual_mul_f32 v51, v232, v145 :: v_dual_mul_f32 v53, v234, v147
	v_dual_fma_f32 v17, v230, v142, -v21 :: v_dual_add_f32 v7, v7, v47
	s_wait_loadcnt 0x4
	s_delay_alu instid0(VALU_DEP_3) | instskip(NEXT) | instid1(VALU_DEP_3)
	v_dual_add_f32 v9, v9, v19 :: v_dual_mov_b32 v102, v155
	v_fmac_f32_e32 v51, v233, v144
	s_delay_alu instid0(VALU_DEP_3) | instskip(NEXT) | instid1(VALU_DEP_3)
	v_dual_fma_f32 v19, v232, v144, -v23 :: v_dual_add_f32 v7, v7, v49
	v_dual_add_f32 v9, v9, v17 :: v_dual_fmac_f32 v53, v235, v146
	v_dual_mul_f32 v247, v184, v149 :: v_dual_mul_f32 v249, v186, v151
	s_delay_alu instid0(VALU_DEP_3) | instskip(SKIP_1) | instid1(VALU_DEP_3)
	v_dual_fma_f32 v11, v234, v146, -v11 :: v_dual_add_f32 v7, v7, v51
	s_wait_loadcnt 0x3
	v_dual_add_f32 v9, v9, v19 :: v_dual_mov_b32 v106, v159
	v_pk_mul_f32 v[100:101], v[168:169], v[152:153] op_sel:[1,1] op_sel_hi:[0,1]
	v_dual_fmac_f32 v247, v185, v148 :: v_dual_fma_f32 v246, v184, v148, -v13
	s_delay_alu instid0(VALU_DEP_3) | instskip(SKIP_1) | instid1(VALU_DEP_4)
	v_dual_add_f32 v109, v7, v53 :: v_dual_add_f32 v108, v9, v11
	v_dual_fmac_f32 v249, v187, v150 :: v_dual_fma_f32 v248, v186, v150, -v15
	v_pk_fma_f32 v[110:111], v[168:169], v[152:153], v[100:101] op_sel_hi:[1,0,1]
	v_pk_mul_f32 v[102:103], v[238:239], v[102:103] op_sel_hi:[1,0]
	s_delay_alu instid0(VALU_DEP_4)
	v_pk_add_f32 v[108:109], v[108:109], v[246:247]
	v_pk_fma_f32 v[100:101], v[168:169], v[152:153], v[100:101] neg_lo:[0,0,1] neg_hi:[0,0,1]
	v_pk_mul_f32 v[104:105], v[172:173], v[156:157] op_sel:[1,1] op_sel_hi:[0,1]
	v_mov_b32_e32 v101, v111
	v_pk_fma_f32 v[110:111], v[170:171], v[154:155], v[102:103] op_sel_hi:[1,0,1]
	v_pk_add_f32 v[108:109], v[108:109], v[248:249]
	v_pk_fma_f32 v[102:103], v[170:171], v[154:155], v[102:103] neg_lo:[0,0,1] neg_hi:[0,0,1]
	v_pk_fma_f32 v[114:115], v[172:173], v[156:157], v[104:105] op_sel_hi:[1,0,1]
	v_pk_mul_f32 v[106:107], v[240:241], v[106:107] op_sel_hi:[1,0]
	v_mov_b32_e32 v103, v111
	v_pk_add_f32 v[100:101], v[108:109], v[100:101]
	s_wait_loadcnt 0x2
	v_pk_mul_f32 v[112:113], v[176:177], v[160:161] op_sel:[1,1] op_sel_hi:[0,1]
	v_mov_b32_e32 v108, v163
	v_pk_fma_f32 v[104:105], v[172:173], v[156:157], v[104:105] neg_lo:[0,0,1] neg_hi:[0,0,1]
	v_mov_b32_e32 v105, v115
	v_pk_fma_f32 v[110:111], v[174:175], v[158:159], v[106:107] op_sel_hi:[1,0,1]
	v_pk_add_f32 v[100:101], v[100:101], v[102:103]
	v_pk_fma_f32 v[102:103], v[176:177], v[160:161], v[112:113] op_sel_hi:[1,0,1]
	v_pk_mul_f32 v[108:109], v[242:243], v[108:109] op_sel_hi:[1,0]
	v_pk_fma_f32 v[106:107], v[174:175], v[158:159], v[106:107] neg_lo:[0,0,1] neg_hi:[0,0,1]
	v_mov_b32_e32 v107, v111
	v_pk_add_f32 v[100:101], v[100:101], v[104:105]
	v_pk_fma_f32 v[110:111], v[176:177], v[160:161], v[112:113] neg_lo:[0,0,1] neg_hi:[0,0,1]
	v_mov_b32_e32 v111, v103
	v_pk_fma_f32 v[102:103], v[178:179], v[162:163], v[108:109] op_sel_hi:[1,0,1]
	s_wait_loadcnt 0x1
	v_pk_mul_f32 v[104:105], v[180:181], v[164:165] op_sel:[1,1] op_sel_hi:[0,1]
	v_pk_add_f32 v[100:101], v[100:101], v[106:107]
	v_mov_b32_e32 v102, v167
	v_pk_fma_f32 v[108:109], v[178:179], v[162:163], v[108:109] neg_lo:[0,0,1] neg_hi:[0,0,1]
	v_mov_b32_e32 v109, v103
	v_pk_fma_f32 v[106:107], v[180:181], v[164:165], v[104:105] op_sel_hi:[1,0,1]
	v_pk_add_f32 v[100:101], v[100:101], v[110:111]
	v_pk_mul_f32 v[102:103], v[244:245], v[102:103] op_sel_hi:[1,0]
	v_pk_fma_f32 v[104:105], v[180:181], v[164:165], v[104:105] neg_lo:[0,0,1] neg_hi:[0,0,1]
	s_delay_alu instid0(VALU_DEP_4) | instskip(NEXT) | instid1(VALU_DEP_4)
	v_mov_b32_e32 v105, v107
	v_pk_add_f32 v[100:101], v[100:101], v[108:109]
	s_delay_alu instid0(VALU_DEP_4) | instskip(SKIP_1) | instid1(VALU_DEP_2)
	v_pk_fma_f32 v[106:107], v[182:183], v[166:167], v[102:103] op_sel_hi:[1,0,1]
	v_pk_fma_f32 v[102:103], v[182:183], v[166:167], v[102:103] neg_lo:[0,0,1] neg_hi:[0,0,1]
	v_mov_b32_e32 v103, v107
	s_delay_alu instid0(VALU_DEP_4) | instskip(NEXT) | instid1(VALU_DEP_1)
	v_pk_add_f32 v[100:101], v[100:101], v[104:105]
	v_pk_add_f32 v[100:101], v[100:101], v[102:103]
	s_wait_loadcnt 0x0
	s_delay_alu instid0(VALU_DEP_1)
	v_pk_add_f32 v[100:101], v[236:237], v[100:101] neg_lo:[0,1] neg_hi:[0,1]
	scratch_store_b64 off, v[100:101], off offset:112
	s_wait_xcnt 0x0
	v_cmpx_lt_u32_e32 13, v0
	s_cbranch_execz .LBB48_281
; %bb.280:
	scratch_load_b64 v[100:101], off, off offset:104
	v_mov_b64_e32 v[102:103], 0
	scratch_store_b64 off, v[102:103], off offset:104
	s_wait_loadcnt 0x0
	ds_store_b64 v1, v[100:101]
.LBB48_281:
	s_wait_xcnt 0x0
	s_or_b32 exec_lo, exec_lo, s0
	s_wait_storecnt_dscnt 0x0
	s_barrier_signal -1
	s_barrier_wait -1
	s_clause 0x12
	scratch_load_b128 v[100:103], off, off offset:112
	scratch_load_b128 v[104:107], off, off offset:128
	;; [unrolled: 1-line block ×17, first 2 shown]
	scratch_load_b64 v[236:237], off, off offset:384
	scratch_load_b64 v[238:239], off, off offset:104
	v_mov_b32_e32 v7, 0
	ds_load_b128 v[168:171], v7 offset:720
	ds_load_b128 v[172:175], v7 offset:736
	;; [unrolled: 1-line block ×17, first 2 shown]
	ds_load_b64 v[240:241], v7 offset:784
	s_mov_b32 s0, exec_lo
	s_wait_dscnt 0x11
	v_dual_mov_b32 v242, v171 :: v_dual_mov_b32 v243, v170
	s_wait_dscnt 0x10
	v_dual_mov_b32 v244, v175 :: v_dual_mov_b32 v245, v174
	;; [unrolled: 2-line block ×3, first 2 shown]
	v_dual_mov_b32 v247, v178 :: v_dual_mov_b32 v248, v187
	s_wait_loadcnt_dscnt 0x120c
	v_dual_mul_f32 v9, v188, v101 :: v_dual_mul_f32 v59, v189, v101
	v_dual_mul_f32 v61, v191, v103 :: v_dual_mul_f32 v11, v190, v103
	s_wait_loadcnt_dscnt 0x110b
	v_mul_f32_e32 v13, v192, v105
	s_wait_loadcnt_dscnt 0xf09
	v_dual_mul_f32 v71, v201, v113 :: v_dual_fma_f32 v59, v188, v100, -v59
	v_dual_fmac_f32 v9, v189, v100 :: v_dual_mul_f32 v73, v203, v115
	v_dual_mul_f32 v63, v193, v105 :: v_dual_mul_f32 v65, v195, v107
	v_dual_fmac_f32 v11, v191, v102 :: v_dual_fma_f32 v61, v190, v102, -v61
	s_delay_alu instid0(VALU_DEP_3) | instskip(SKIP_4) | instid1(VALU_DEP_3)
	v_dual_add_f32 v9, 0, v9 :: v_dual_add_f32 v59, 0, v59
	v_dual_mul_f32 v15, v194, v107 :: v_dual_mul_f32 v17, v196, v109
	s_wait_loadcnt_dscnt 0xe08
	v_dual_mul_f32 v75, v205, v117 :: v_dual_fma_f32 v63, v192, v104, -v63
	v_fmac_f32_e32 v13, v193, v104
	v_dual_add_f32 v9, v9, v11 :: v_dual_fmac_f32 v15, v195, v106
	v_add_f32_e32 v11, v59, v61
	v_dual_mul_f32 v67, v197, v109 :: v_dual_mul_f32 v69, v199, v111
	v_dual_mul_f32 v59, v207, v119 :: v_dual_fma_f32 v61, v194, v106, -v65
	s_delay_alu instid0(VALU_DEP_3) | instskip(SKIP_3) | instid1(VALU_DEP_3)
	v_dual_add_f32 v9, v9, v13 :: v_dual_add_f32 v11, v11, v63
	v_dual_mul_f32 v19, v198, v111 :: v_dual_mul_f32 v21, v200, v113
	s_wait_loadcnt_dscnt 0xd07
	v_dual_mul_f32 v13, v209, v121 :: v_dual_fma_f32 v63, v196, v108, -v67
	v_dual_fmac_f32 v17, v197, v108 :: v_dual_add_f32 v11, v11, v61
	s_delay_alu instid0(VALU_DEP_3) | instskip(SKIP_1) | instid1(VALU_DEP_2)
	v_dual_add_f32 v9, v9, v15 :: v_dual_fmac_f32 v19, v199, v110
	v_dual_mul_f32 v15, v211, v123 :: v_dual_fma_f32 v61, v198, v110, -v69
	v_dual_add_f32 v11, v11, v63 :: v_dual_add_f32 v9, v9, v17
	v_dual_mul_f32 v23, v202, v115 :: v_dual_mul_f32 v25, v204, v117
	s_wait_loadcnt_dscnt 0xc06
	v_dual_mul_f32 v17, v213, v125 :: v_dual_fma_f32 v63, v200, v112, -v71
	s_delay_alu instid0(VALU_DEP_3) | instskip(NEXT) | instid1(VALU_DEP_3)
	v_dual_fmac_f32 v21, v201, v112 :: v_dual_add_f32 v11, v11, v61
	v_dual_add_f32 v9, v9, v19 :: v_dual_fmac_f32 v23, v203, v114
	v_dual_mul_f32 v19, v215, v127 :: v_dual_fma_f32 v61, v202, v114, -v73
	s_delay_alu instid0(VALU_DEP_2) | instskip(SKIP_3) | instid1(VALU_DEP_3)
	v_dual_add_f32 v11, v11, v63 :: v_dual_add_f32 v9, v9, v21
	v_dual_mul_f32 v27, v206, v119 :: v_dual_mul_f32 v29, v208, v121
	s_wait_loadcnt_dscnt 0xb05
	v_dual_mul_f32 v21, v217, v129 :: v_dual_fma_f32 v63, v204, v116, -v75
	v_dual_fmac_f32 v25, v205, v116 :: v_dual_add_f32 v11, v11, v61
	s_delay_alu instid0(VALU_DEP_3) | instskip(SKIP_1) | instid1(VALU_DEP_2)
	v_dual_add_f32 v9, v9, v23 :: v_dual_fmac_f32 v27, v207, v118
	v_dual_mul_f32 v23, v219, v131 :: v_dual_fma_f32 v59, v206, v118, -v59
	v_dual_add_f32 v11, v11, v63 :: v_dual_add_f32 v9, v9, v25
	v_dual_mul_f32 v31, v210, v123 :: v_dual_mul_f32 v33, v212, v125
	s_wait_loadcnt_dscnt 0xa04
	v_dual_mul_f32 v25, v221, v133 :: v_dual_fma_f32 v13, v208, v120, -v13
	s_delay_alu instid0(VALU_DEP_3) | instskip(NEXT) | instid1(VALU_DEP_3)
	v_dual_fmac_f32 v29, v209, v120 :: v_dual_add_f32 v11, v11, v59
	v_dual_add_f32 v9, v9, v27 :: v_dual_fmac_f32 v31, v211, v122
	v_dual_mul_f32 v27, v223, v135 :: v_dual_fma_f32 v15, v210, v122, -v15
	s_delay_alu instid0(VALU_DEP_3) | instskip(NEXT) | instid1(VALU_DEP_3)
	v_dual_add_f32 v11, v11, v13 :: v_dual_fmac_f32 v33, v213, v124
	v_dual_add_f32 v9, v9, v29 :: v_dual_fma_f32 v17, v212, v124, -v17
	v_dual_mul_f32 v35, v214, v127 :: v_dual_mul_f32 v37, v216, v129
	s_wait_loadcnt_dscnt 0x903
	s_delay_alu instid0(VALU_DEP_3) | instskip(NEXT) | instid1(VALU_DEP_2)
	v_dual_mul_f32 v13, v225, v137 :: v_dual_add_f32 v11, v11, v15
	v_dual_add_f32 v9, v9, v31 :: v_dual_fmac_f32 v35, v215, v126
	v_dual_mul_f32 v15, v227, v139 :: v_dual_fma_f32 v19, v214, v126, -v19
	s_delay_alu instid0(VALU_DEP_3) | instskip(NEXT) | instid1(VALU_DEP_3)
	v_dual_add_f32 v11, v11, v17 :: v_dual_fmac_f32 v37, v217, v128
	v_dual_add_f32 v9, v9, v33 :: v_dual_fma_f32 v21, v216, v128, -v21
	v_dual_mul_f32 v39, v218, v131 :: v_dual_mul_f32 v41, v220, v133
	s_wait_loadcnt_dscnt 0x802
	s_delay_alu instid0(VALU_DEP_3) | instskip(NEXT) | instid1(VALU_DEP_2)
	v_dual_mul_f32 v17, v229, v141 :: v_dual_add_f32 v11, v11, v19
	;; [unrolled: 9-line block ×3, first 2 shown]
	v_dual_add_f32 v9, v9, v39 :: v_dual_fmac_f32 v43, v223, v134
	v_dual_mul_f32 v23, v235, v147 :: v_dual_fma_f32 v27, v222, v134, -v27
	s_delay_alu instid0(VALU_DEP_3) | instskip(NEXT) | instid1(VALU_DEP_3)
	v_dual_add_f32 v11, v11, v25 :: v_dual_fmac_f32 v45, v225, v136
	v_dual_add_f32 v9, v9, v41 :: v_dual_fma_f32 v13, v224, v136, -v13
	v_dual_mul_f32 v47, v226, v139 :: v_dual_mul_f32 v49, v228, v141
	s_wait_loadcnt 0x6
	s_delay_alu instid0(VALU_DEP_3) | instskip(NEXT) | instid1(VALU_DEP_2)
	v_dual_mul_f32 v25, v181, v149 :: v_dual_add_f32 v11, v11, v27
	v_dual_add_f32 v9, v9, v43 :: v_dual_fmac_f32 v47, v227, v138
	v_dual_mul_f32 v27, v183, v151 :: v_dual_fma_f32 v15, v226, v138, -v15
	s_delay_alu instid0(VALU_DEP_3) | instskip(NEXT) | instid1(VALU_DEP_3)
	v_dual_add_f32 v11, v11, v13 :: v_dual_fmac_f32 v49, v229, v140
	v_dual_add_f32 v9, v9, v45 :: v_dual_fma_f32 v17, v228, v140, -v17
	v_dual_mul_f32 v51, v230, v143 :: v_dual_mul_f32 v53, v232, v145
	s_wait_loadcnt 0x5
	s_delay_alu instid0(VALU_DEP_3) | instskip(NEXT) | instid1(VALU_DEP_3)
	v_dual_mul_f32 v13, v169, v153 :: v_dual_add_f32 v11, v11, v15
	v_dual_add_f32 v9, v9, v47 :: v_dual_mov_b32 v100, v155
	s_delay_alu instid0(VALU_DEP_3) | instskip(NEXT) | instid1(VALU_DEP_3)
	v_fmac_f32_e32 v51, v231, v142
	v_dual_fma_f32 v15, v230, v142, -v19 :: v_dual_add_f32 v11, v11, v17
	s_delay_alu instid0(VALU_DEP_3) | instskip(SKIP_1) | instid1(VALU_DEP_3)
	v_dual_add_f32 v9, v9, v49 :: v_dual_mul_f32 v55, v234, v147
	v_dual_mul_f32 v57, v180, v149 :: v_dual_fmac_f32 v53, v233, v144
	v_dual_add_f32 v11, v11, v15 :: v_dual_fma_f32 v17, v232, v144, -v21
	s_wait_loadcnt 0x4
	s_delay_alu instid0(VALU_DEP_3) | instskip(SKIP_3) | instid1(VALU_DEP_4)
	v_dual_add_f32 v9, v9, v51 :: v_dual_mov_b32 v104, v159
	v_fma_f32 v15, v234, v146, -v23
	v_fmac_f32_e32 v55, v235, v146
	v_dual_add_f32 v11, v11, v17 :: v_dual_fmac_f32 v57, v181, v148
	v_dual_add_f32 v9, v9, v53 :: v_dual_mul_f32 v251, v182, v151
	v_mul_f32_e32 v253, v168, v153
	s_delay_alu instid0(VALU_DEP_3) | instskip(NEXT) | instid1(VALU_DEP_3)
	v_dual_fma_f32 v17, v180, v148, -v25 :: v_dual_add_f32 v11, v11, v15
	v_dual_fma_f32 v250, v182, v150, -v27 :: v_dual_add_f32 v9, v9, v55
	s_delay_alu instid0(VALU_DEP_4) | instskip(SKIP_1) | instid1(VALU_DEP_4)
	v_fmac_f32_e32 v251, v183, v150
	v_pk_mul_f32 v[100:101], v[242:243], v[100:101] op_sel_hi:[1,0]
	v_dual_add_f32 v108, v11, v17 :: v_dual_fmac_f32 v253, v169, v152
	s_delay_alu instid0(VALU_DEP_4)
	v_add_f32_e32 v109, v9, v57
	v_pk_mul_f32 v[102:103], v[172:173], v[156:157] op_sel:[1,1] op_sel_hi:[0,1]
	s_wait_loadcnt 0x3
	v_dual_mov_b32 v110, v163 :: v_dual_fma_f32 v252, v168, v152, -v13
	v_pk_fma_f32 v[112:113], v[170:171], v[154:155], v[100:101] op_sel_hi:[1,0,1]
	v_pk_add_f32 v[108:109], v[108:109], v[250:251]
	v_pk_fma_f32 v[100:101], v[170:171], v[154:155], v[100:101] neg_lo:[0,0,1] neg_hi:[0,0,1]
	v_pk_fma_f32 v[114:115], v[172:173], v[156:157], v[102:103] op_sel_hi:[1,0,1]
	v_pk_mul_f32 v[104:105], v[244:245], v[104:105] op_sel_hi:[1,0]
	v_mov_b32_e32 v101, v113
	v_pk_add_f32 v[108:109], v[108:109], v[252:253]
	v_pk_fma_f32 v[102:103], v[172:173], v[156:157], v[102:103] neg_lo:[0,0,1] neg_hi:[0,0,1]
	v_pk_mul_f32 v[106:107], v[176:177], v[160:161] op_sel:[1,1] op_sel_hi:[0,1]
	v_mov_b32_e32 v103, v115
	v_pk_fma_f32 v[114:115], v[174:175], v[158:159], v[104:105] op_sel_hi:[1,0,1]
	v_pk_add_f32 v[100:101], v[108:109], v[100:101]
	v_pk_fma_f32 v[104:105], v[174:175], v[158:159], v[104:105] neg_lo:[0,0,1] neg_hi:[0,0,1]
	v_pk_fma_f32 v[108:109], v[176:177], v[160:161], v[106:107] op_sel_hi:[1,0,1]
	v_pk_mul_f32 v[110:111], v[246:247], v[110:111] op_sel_hi:[1,0]
	v_mov_b32_e32 v105, v115
	v_pk_add_f32 v[100:101], v[100:101], v[102:103]
	v_pk_fma_f32 v[106:107], v[176:177], v[160:161], v[106:107] neg_lo:[0,0,1] neg_hi:[0,0,1]
	s_wait_loadcnt 0x2
	v_pk_mul_f32 v[112:113], v[184:185], v[164:165] op_sel:[1,1] op_sel_hi:[0,1]
	v_dual_mov_b32 v102, v167 :: v_dual_mov_b32 v107, v109
	v_pk_fma_f32 v[108:109], v[178:179], v[162:163], v[110:111] op_sel_hi:[1,0,1]
	v_pk_add_f32 v[100:101], v[100:101], v[104:105]
	v_pk_fma_f32 v[110:111], v[178:179], v[162:163], v[110:111] neg_lo:[0,0,1] neg_hi:[0,0,1]
	v_pk_fma_f32 v[104:105], v[184:185], v[164:165], v[112:113] op_sel_hi:[1,0,1]
	v_pk_mul_f32 v[102:103], v[248:249], v[102:103] op_sel_hi:[1,0]
	v_mov_b32_e32 v111, v109
	v_pk_add_f32 v[100:101], v[100:101], v[106:107]
	v_pk_fma_f32 v[106:107], v[184:185], v[164:165], v[112:113] neg_lo:[0,0,1] neg_hi:[0,0,1]
	v_mov_b32_e32 v107, v105
	v_pk_fma_f32 v[104:105], v[186:187], v[166:167], v[102:103] op_sel_hi:[1,0,1]
	s_wait_loadcnt_dscnt 0x100
	v_pk_mul_f32 v[108:109], v[240:241], v[236:237] op_sel:[1,1] op_sel_hi:[0,1]
	v_pk_add_f32 v[100:101], v[100:101], v[110:111]
	v_pk_fma_f32 v[102:103], v[186:187], v[166:167], v[102:103] neg_lo:[0,0,1] neg_hi:[0,0,1]
	v_mov_b32_e32 v103, v105
	s_delay_alu instid0(VALU_DEP_4) | instskip(NEXT) | instid1(VALU_DEP_4)
	v_pk_fma_f32 v[104:105], v[240:241], v[236:237], v[108:109] op_sel_hi:[1,0,1]
	v_pk_add_f32 v[100:101], v[100:101], v[106:107]
	v_pk_fma_f32 v[106:107], v[240:241], v[236:237], v[108:109] neg_lo:[0,0,1] neg_hi:[0,0,1]
	s_delay_alu instid0(VALU_DEP_3) | instskip(NEXT) | instid1(VALU_DEP_3)
	v_mov_b32_e32 v107, v105
	v_pk_add_f32 v[100:101], v[100:101], v[102:103]
	s_delay_alu instid0(VALU_DEP_1) | instskip(SKIP_1) | instid1(VALU_DEP_1)
	v_pk_add_f32 v[100:101], v[100:101], v[106:107]
	s_wait_loadcnt 0x0
	v_pk_add_f32 v[100:101], v[238:239], v[100:101] neg_lo:[0,1] neg_hi:[0,1]
	scratch_store_b64 off, v[100:101], off offset:104
	s_wait_xcnt 0x0
	v_cmpx_lt_u32_e32 12, v0
	s_cbranch_execz .LBB48_283
; %bb.282:
	scratch_load_b64 v[100:101], off, off offset:96
	v_mov_b64_e32 v[102:103], 0
	scratch_store_b64 off, v[102:103], off offset:96
	s_wait_loadcnt 0x0
	ds_store_b64 v1, v[100:101]
.LBB48_283:
	s_wait_xcnt 0x0
	s_or_b32 exec_lo, exec_lo, s0
	s_wait_storecnt_dscnt 0x0
	s_barrier_signal -1
	s_barrier_wait -1
	s_clause 0x12
	scratch_load_b128 v[100:103], off, off offset:104
	scratch_load_b128 v[104:107], off, off offset:120
	;; [unrolled: 1-line block ×18, first 2 shown]
	scratch_load_b64 v[244:245], off, off offset:96
	ds_load_2addr_b64 v[172:175], v7 offset0:91 offset1:92
	ds_load_2addr_b64 v[176:179], v7 offset0:93 offset1:94
	;; [unrolled: 1-line block ×18, first 2 shown]
	s_mov_b32 s0, exec_lo
	s_wait_dscnt 0x11
	v_dual_mov_b32 v246, v175 :: v_dual_mov_b32 v247, v174
	s_wait_dscnt 0x10
	v_dual_mov_b32 v248, v179 :: v_dual_mov_b32 v249, v178
	s_wait_dscnt 0xf
	v_dual_mov_b32 v250, v183 :: v_dual_mov_b32 v251, v182
	s_wait_dscnt 0xe
	v_dual_mov_b32 v252, v187 :: v_dual_mov_b32 v253, v186
	s_wait_loadcnt_dscnt 0x120d
	v_dual_mul_f32 v7, v188, v101 :: v_dual_mul_f32 v9, v190, v103
	s_wait_loadcnt_dscnt 0x110c
	v_dual_mul_f32 v59, v189, v101 :: v_dual_mul_f32 v65, v195, v107
	s_wait_loadcnt_dscnt 0x100b
	v_mul_f32_e32 v67, v197, v109
	v_dual_fmac_f32 v7, v189, v100 :: v_dual_fmac_f32 v9, v191, v102
	s_delay_alu instid0(VALU_DEP_3) | instskip(SKIP_4) | instid1(VALU_DEP_2)
	v_fma_f32 v59, v188, v100, -v59
	v_dual_mul_f32 v11, v192, v105 :: v_dual_mul_f32 v13, v194, v107
	v_dual_mul_f32 v61, v191, v103 :: v_dual_mul_f32 v63, v193, v105
	s_wait_loadcnt_dscnt 0x500
	v_dual_mul_f32 v69, v199, v111 :: v_dual_mul_f32 v255, v240, v153
	v_dual_mul_f32 v71, v201, v113 :: v_dual_fma_f32 v61, v190, v102, -v61
	v_dual_add_f32 v7, 0, v7 :: v_dual_fmac_f32 v11, v193, v104
	v_dual_add_f32 v59, 0, v59 :: v_dual_fma_f32 v63, v192, v104, -v63
	v_dual_mul_f32 v15, v196, v109 :: v_dual_mul_f32 v17, v198, v111
	s_delay_alu instid0(VALU_DEP_3) | instskip(NEXT) | instid1(VALU_DEP_3)
	v_add_f32_e32 v7, v7, v9
	v_dual_add_f32 v9, v59, v61 :: v_dual_fma_f32 v61, v194, v106, -v65
	s_delay_alu instid0(VALU_DEP_3) | instskip(NEXT) | instid1(VALU_DEP_3)
	v_dual_fmac_f32 v15, v197, v108 :: v_dual_fmac_f32 v13, v195, v106
	v_add_f32_e32 v7, v7, v11
	s_delay_alu instid0(VALU_DEP_3) | instskip(SKIP_2) | instid1(VALU_DEP_4)
	v_add_f32_e32 v9, v9, v63
	v_dual_mul_f32 v11, v207, v119 :: v_dual_fma_f32 v63, v196, v108, -v67
	v_dual_mul_f32 v19, v200, v113 :: v_dual_mul_f32 v21, v202, v115
	v_add_f32_e32 v7, v7, v13
	s_delay_alu instid0(VALU_DEP_4) | instskip(SKIP_1) | instid1(VALU_DEP_3)
	v_add_f32_e32 v9, v9, v61
	v_dual_mul_f32 v13, v209, v121 :: v_dual_fmac_f32 v17, v199, v110
	v_dual_fma_f32 v61, v198, v110, -v69 :: v_dual_add_f32 v7, v7, v15
	v_fmac_f32_e32 v19, v201, v112
	s_delay_alu instid0(VALU_DEP_4) | instskip(SKIP_1) | instid1(VALU_DEP_2)
	v_dual_add_f32 v9, v9, v63 :: v_dual_fma_f32 v63, v200, v112, -v71
	v_dual_mul_f32 v73, v203, v115 :: v_dual_mul_f32 v59, v205, v117
	v_dual_mul_f32 v15, v211, v123 :: v_dual_add_f32 v9, v9, v61
	s_delay_alu instid0(VALU_DEP_2) | instskip(SKIP_2) | instid1(VALU_DEP_2)
	v_dual_add_f32 v7, v7, v17 :: v_dual_fma_f32 v61, v202, v114, -v73
	v_dual_mul_f32 v23, v204, v117 :: v_dual_mul_f32 v25, v206, v119
	v_dual_mul_f32 v17, v213, v125 :: v_dual_fmac_f32 v21, v203, v114
	v_dual_add_f32 v7, v7, v19 :: v_dual_fmac_f32 v23, v205, v116
	v_dual_add_f32 v9, v9, v63 :: v_dual_fma_f32 v59, v204, v116, -v59
	v_mul_f32_e32 v19, v215, v127
	s_delay_alu instid0(VALU_DEP_3) | instskip(NEXT) | instid1(VALU_DEP_3)
	v_dual_add_f32 v7, v7, v21 :: v_dual_fma_f32 v11, v206, v118, -v11
	v_add_f32_e32 v9, v9, v61
	v_dual_mul_f32 v27, v208, v121 :: v_dual_mul_f32 v29, v210, v123
	v_dual_mul_f32 v21, v217, v129 :: v_dual_fmac_f32 v25, v207, v118
	s_delay_alu instid0(VALU_DEP_2) | instskip(NEXT) | instid1(VALU_DEP_4)
	v_dual_add_f32 v7, v7, v23 :: v_dual_fmac_f32 v27, v209, v120
	v_dual_add_f32 v9, v9, v59 :: v_dual_fma_f32 v13, v208, v120, -v13
	v_dual_mul_f32 v31, v212, v125 :: v_dual_mul_f32 v33, v214, v127
	s_delay_alu instid0(VALU_DEP_2) | instskip(SKIP_1) | instid1(VALU_DEP_2)
	v_dual_add_f32 v7, v7, v25 :: v_dual_add_f32 v9, v9, v11
	v_dual_fmac_f32 v29, v211, v122 :: v_dual_fma_f32 v15, v210, v122, -v15
	v_dual_fmac_f32 v31, v213, v124 :: v_dual_add_f32 v7, v7, v27
	s_delay_alu instid0(VALU_DEP_3) | instskip(SKIP_2) | instid1(VALU_DEP_3)
	v_dual_add_f32 v9, v9, v13 :: v_dual_mul_f32 v13, v223, v135
	v_fma_f32 v17, v212, v124, -v17
	v_dual_mul_f32 v35, v216, v129 :: v_dual_mul_f32 v37, v218, v131
	v_dual_add_f32 v7, v7, v29 :: v_dual_add_f32 v9, v9, v15
	v_dual_fmac_f32 v33, v215, v126 :: v_dual_mul_f32 v15, v225, v137
	s_delay_alu instid0(VALU_DEP_2) | instskip(NEXT) | instid1(VALU_DEP_3)
	v_dual_fma_f32 v19, v214, v126, -v19 :: v_dual_add_f32 v7, v7, v31
	v_dual_add_f32 v9, v9, v17 :: v_dual_mul_f32 v23, v219, v131
	v_dual_mul_f32 v11, v221, v133 :: v_dual_mul_f32 v17, v227, v139
	v_dual_fmac_f32 v35, v217, v128 :: v_dual_fma_f32 v21, v216, v128, -v21
	s_delay_alu instid0(VALU_DEP_3) | instskip(SKIP_2) | instid1(VALU_DEP_3)
	v_dual_add_f32 v7, v7, v33 :: v_dual_add_f32 v9, v9, v19
	v_dual_fmac_f32 v37, v219, v130 :: v_dual_mul_f32 v39, v220, v133
	v_dual_mul_f32 v41, v222, v135 :: v_dual_mul_f32 v19, v229, v141
	v_dual_fma_f32 v23, v218, v130, -v23 :: v_dual_add_f32 v7, v7, v35
	s_delay_alu instid0(VALU_DEP_4) | instskip(NEXT) | instid1(VALU_DEP_4)
	v_dual_add_f32 v9, v9, v21 :: v_dual_mul_f32 v21, v231, v143
	v_fmac_f32_e32 v39, v221, v132
	s_delay_alu instid0(VALU_DEP_3) | instskip(NEXT) | instid1(VALU_DEP_3)
	v_dual_fma_f32 v11, v220, v132, -v11 :: v_dual_add_f32 v7, v7, v37
	v_dual_add_f32 v9, v9, v23 :: v_dual_fmac_f32 v41, v223, v134
	v_dual_mul_f32 v43, v224, v137 :: v_dual_mul_f32 v45, v226, v139
	v_dual_mul_f32 v23, v233, v145 :: v_dual_fma_f32 v13, v222, v134, -v13
	s_delay_alu instid0(VALU_DEP_2) | instskip(NEXT) | instid1(VALU_DEP_4)
	v_dual_add_f32 v7, v7, v39 :: v_dual_fmac_f32 v43, v225, v136
	v_dual_add_f32 v9, v9, v11 :: v_dual_fma_f32 v15, v224, v136, -v15
	v_mul_f32_e32 v11, v235, v147
	s_delay_alu instid0(VALU_DEP_3) | instskip(NEXT) | instid1(VALU_DEP_3)
	v_dual_add_f32 v7, v7, v41 :: v_dual_fma_f32 v17, v226, v138, -v17
	v_add_f32_e32 v9, v9, v13
	v_dual_mul_f32 v47, v228, v141 :: v_dual_mul_f32 v49, v230, v143
	v_dual_mul_f32 v13, v237, v149 :: v_dual_fmac_f32 v45, v227, v138
	s_delay_alu instid0(VALU_DEP_2) | instskip(NEXT) | instid1(VALU_DEP_4)
	v_dual_add_f32 v7, v7, v43 :: v_dual_fmac_f32 v47, v229, v140
	v_dual_add_f32 v9, v9, v15 :: v_dual_fma_f32 v19, v228, v140, -v19
	v_mul_f32_e32 v15, v239, v151
	s_delay_alu instid0(VALU_DEP_3) | instskip(NEXT) | instid1(VALU_DEP_3)
	v_dual_add_f32 v7, v7, v45 :: v_dual_fma_f32 v21, v230, v142, -v21
	v_add_f32_e32 v9, v9, v17
	v_dual_mul_f32 v51, v232, v145 :: v_dual_mul_f32 v53, v234, v147
	v_dual_mul_f32 v17, v241, v153 :: v_dual_fmac_f32 v49, v231, v142
	s_delay_alu instid0(VALU_DEP_2) | instskip(NEXT) | instid1(VALU_DEP_4)
	v_dual_add_f32 v7, v7, v47 :: v_dual_fmac_f32 v51, v233, v144
	v_dual_add_f32 v9, v9, v19 :: v_dual_fma_f32 v23, v232, v144, -v23
	v_mul_f32_e32 v19, v243, v155
	s_delay_alu instid0(VALU_DEP_3) | instskip(NEXT) | instid1(VALU_DEP_3)
	v_dual_add_f32 v7, v7, v49 :: v_dual_fma_f32 v11, v234, v146, -v11
	v_add_f32_e32 v9, v9, v21
	v_dual_mul_f32 v55, v236, v149 :: v_dual_mul_f32 v57, v238, v151
	v_fmac_f32_e32 v53, v235, v146
	s_delay_alu instid0(VALU_DEP_4) | instskip(SKIP_3) | instid1(VALU_DEP_2)
	v_add_f32_e32 v7, v7, v51
	s_wait_loadcnt 0x4
	v_dual_add_f32 v9, v9, v23 :: v_dual_mov_b32 v102, v159
	v_dual_fma_f32 v13, v236, v148, -v13 :: v_dual_fmac_f32 v55, v237, v148
	v_dual_add_f32 v7, v7, v53 :: v_dual_add_f32 v9, v9, v11
	v_pk_mul_f32 v[100:101], v[172:173], v[156:157] op_sel:[1,1] op_sel_hi:[0,1]
	v_dual_fmac_f32 v57, v239, v150 :: v_dual_fma_f32 v11, v238, v150, -v15
	s_delay_alu instid0(VALU_DEP_3)
	v_dual_add_f32 v7, v7, v55 :: v_dual_add_f32 v9, v9, v13
	s_set_vgpr_msb 64                       ;  msbs: dst=1 src0=0 src1=0 src2=0
	v_dual_mul_f32 v1 /*v257*/, v242, v155 :: v_dual_fma_f32 v0 /*v256*/, v242, v154, -v19
	s_wait_loadcnt 0x3
	s_set_vgpr_msb 0                        ;  msbs: dst=0 src0=0 src1=0 src2=0
	v_dual_mov_b32 v106, v163 :: v_dual_fmac_f32 v255, v241, v152
	v_dual_fma_f32 v254, v240, v152, -v17 :: v_dual_add_f32 v109, v7, v57
	v_pk_fma_f32 v[110:111], v[172:173], v[156:157], v[100:101] op_sel_hi:[1,0,1]
	v_add_f32_e32 v108, v9, v11
	v_pk_fma_f32 v[100:101], v[172:173], v[156:157], v[100:101] neg_lo:[0,0,1] neg_hi:[0,0,1]
	s_set_vgpr_msb 64                       ;  msbs: dst=1 src0=0 src1=0 src2=0
	v_fmac_f32_e32 v1 /*v257*/, v243, v154
	s_set_vgpr_msb 0                        ;  msbs: dst=0 src0=0 src1=0 src2=0
	v_pk_mul_f32 v[102:103], v[246:247], v[102:103] op_sel_hi:[1,0]
	v_mov_b32_e32 v101, v111
	v_pk_add_f32 v[108:109], v[108:109], v[254:255]
	v_pk_mul_f32 v[104:105], v[176:177], v[160:161] op_sel:[1,1] op_sel_hi:[0,1]
	v_pk_mul_f32 v[106:107], v[248:249], v[106:107] op_sel_hi:[1,0]
	v_pk_fma_f32 v[110:111], v[174:175], v[158:159], v[102:103] op_sel_hi:[1,0,1]
	v_pk_fma_f32 v[102:103], v[174:175], v[158:159], v[102:103] neg_lo:[0,0,1] neg_hi:[0,0,1]
	s_set_vgpr_msb 4                        ;  msbs: dst=0 src0=0 src1=1 src2=0
	v_pk_add_f32 v[108:109], v[108:109], v[0:1] /*v[256:257]*/
	s_set_vgpr_msb 0                        ;  msbs: dst=0 src0=0 src1=0 src2=0
	v_pk_fma_f32 v[114:115], v[176:177], v[160:161], v[104:105] op_sel_hi:[1,0,1]
	s_wait_loadcnt 0x2
	v_pk_mul_f32 v[112:113], v[180:181], v[164:165] op_sel:[1,1] op_sel_hi:[0,1]
	v_mov_b32_e32 v103, v111
	v_pk_fma_f32 v[104:105], v[176:177], v[160:161], v[104:105] neg_lo:[0,0,1] neg_hi:[0,0,1]
	v_pk_add_f32 v[100:101], v[108:109], v[100:101]
	v_mov_b32_e32 v108, v167
	v_pk_fma_f32 v[110:111], v[178:179], v[162:163], v[106:107] op_sel_hi:[1,0,1]
	v_mov_b32_e32 v105, v115
	v_pk_fma_f32 v[106:107], v[178:179], v[162:163], v[106:107] neg_lo:[0,0,1] neg_hi:[0,0,1]
	v_pk_add_f32 v[100:101], v[100:101], v[102:103]
	v_pk_fma_f32 v[102:103], v[180:181], v[164:165], v[112:113] op_sel_hi:[1,0,1]
	v_pk_mul_f32 v[108:109], v[250:251], v[108:109] op_sel_hi:[1,0]
	v_mov_b32_e32 v107, v111
	v_pk_fma_f32 v[110:111], v[180:181], v[164:165], v[112:113] neg_lo:[0,0,1] neg_hi:[0,0,1]
	v_pk_add_f32 v[100:101], v[100:101], v[104:105]
	v_mov_b32_e32 v111, v103
	v_pk_fma_f32 v[102:103], v[182:183], v[166:167], v[108:109] op_sel_hi:[1,0,1]
	s_wait_loadcnt 0x1
	v_pk_mul_f32 v[104:105], v[184:185], v[168:169] op_sel:[1,1] op_sel_hi:[0,1]
	v_mov_b32_e32 v102, v171
	v_pk_add_f32 v[100:101], v[100:101], v[106:107]
	v_pk_fma_f32 v[108:109], v[182:183], v[166:167], v[108:109] neg_lo:[0,0,1] neg_hi:[0,0,1]
	s_delay_alu instid0(VALU_DEP_4) | instskip(SKIP_1) | instid1(VALU_DEP_4)
	v_pk_fma_f32 v[106:107], v[184:185], v[168:169], v[104:105] op_sel_hi:[1,0,1]
	v_mov_b32_e32 v109, v103
	v_pk_add_f32 v[100:101], v[100:101], v[110:111]
	v_pk_mul_f32 v[102:103], v[252:253], v[102:103] op_sel_hi:[1,0]
	v_pk_fma_f32 v[104:105], v[184:185], v[168:169], v[104:105] neg_lo:[0,0,1] neg_hi:[0,0,1]
	v_mov_b32_e32 v105, v107
	s_delay_alu instid0(VALU_DEP_4) | instskip(NEXT) | instid1(VALU_DEP_4)
	v_pk_add_f32 v[100:101], v[100:101], v[108:109]
	v_pk_fma_f32 v[106:107], v[186:187], v[170:171], v[102:103] op_sel_hi:[1,0,1]
	v_pk_fma_f32 v[102:103], v[186:187], v[170:171], v[102:103] neg_lo:[0,0,1] neg_hi:[0,0,1]
	s_delay_alu instid0(VALU_DEP_3) | instskip(NEXT) | instid1(VALU_DEP_3)
	v_pk_add_f32 v[100:101], v[100:101], v[104:105]
	v_mov_b32_e32 v103, v107
	s_delay_alu instid0(VALU_DEP_1) | instskip(SKIP_1) | instid1(VALU_DEP_1)
	v_pk_add_f32 v[100:101], v[100:101], v[102:103]
	s_wait_loadcnt 0x0
	v_pk_add_f32 v[100:101], v[244:245], v[100:101] neg_lo:[0,1] neg_hi:[0,1]
	scratch_store_b64 off, v[100:101], off offset:96
	s_wait_xcnt 0x0
	v_cmpx_lt_u32_e32 11, v0
	s_cbranch_execz .LBB48_285
; %bb.284:
	scratch_load_b64 v[100:101], off, off offset:88
	v_mov_b64_e32 v[102:103], 0
	scratch_store_b64 off, v[102:103], off offset:88
	s_wait_loadcnt 0x0
	ds_store_b64 v1, v[100:101]
.LBB48_285:
	s_wait_xcnt 0x0
	s_or_b32 exec_lo, exec_lo, s0
	s_wait_storecnt_dscnt 0x0
	s_barrier_signal -1
	s_barrier_wait -1
	s_clause 0x13
	scratch_load_b128 v[100:103], off, off offset:96
	scratch_load_b128 v[104:107], off, off offset:112
	;; [unrolled: 1-line block ×18, first 2 shown]
	scratch_load_b64 v[244:245], off, off offset:384
	scratch_load_b64 v[246:247], off, off offset:88
	v_mov_b32_e32 v7, 0
	ds_load_b128 v[172:175], v7 offset:720
	ds_load_b128 v[176:179], v7 offset:736
	;; [unrolled: 1-line block ×18, first 2 shown]
	ds_load_b64 v[248:249], v7 offset:784
	s_mov_b32 s0, exec_lo
	s_wait_dscnt 0x12
	v_dual_mov_b32 v250, v175 :: v_dual_mov_b32 v251, v174
	s_wait_dscnt 0x10
	v_dual_mov_b32 v252, v179 :: v_dual_mov_b32 v255, v182
	v_dual_mov_b32 v253, v178 :: v_dual_mov_b32 v254, v183
	s_wait_dscnt 0xd
	s_set_vgpr_msb 64                       ;  msbs: dst=1 src0=0 src1=0 src2=0
	v_dual_mov_b32 v0 /*v256*/, v195 :: v_dual_mov_b32 v1 /*v257*/, v194
	s_wait_loadcnt 0x13
	s_set_vgpr_msb 0                        ;  msbs: dst=0 src0=0 src1=0 src2=0
	v_dual_mul_f32 v9, v184, v101 :: v_dual_mul_f32 v63, v185, v101
	v_dual_mul_f32 v65, v187, v103 :: v_dual_mul_f32 v11, v186, v103
	s_wait_loadcnt 0x12
	v_mul_f32_e32 v13, v188, v105
	s_wait_loadcnt_dscnt 0x100b
	v_dual_mul_f32 v75, v201, v113 :: v_dual_fma_f32 v63, v184, v100, -v63
	v_dual_fmac_f32 v9, v185, v100 :: v_dual_mul_f32 v77, v203, v115
	v_dual_mul_f32 v67, v189, v105 :: v_dual_mul_f32 v69, v191, v107
	v_dual_fmac_f32 v11, v187, v102 :: v_dual_fma_f32 v65, v186, v102, -v65
	s_delay_alu instid0(VALU_DEP_3) | instskip(SKIP_4) | instid1(VALU_DEP_3)
	v_dual_add_f32 v9, 0, v9 :: v_dual_add_f32 v63, 0, v63
	v_dual_mul_f32 v15, v190, v107 :: v_dual_mul_f32 v17, v196, v109
	s_wait_loadcnt_dscnt 0xf0a
	v_dual_mul_f32 v79, v205, v117 :: v_dual_fma_f32 v67, v188, v104, -v67
	v_fmac_f32_e32 v13, v189, v104
	v_dual_add_f32 v9, v9, v11 :: v_dual_fmac_f32 v15, v191, v106
	v_add_f32_e32 v11, v63, v65
	v_dual_mul_f32 v71, v197, v109 :: v_dual_mul_f32 v73, v199, v111
	v_dual_mul_f32 v63, v207, v119 :: v_dual_fma_f32 v65, v190, v106, -v69
	s_delay_alu instid0(VALU_DEP_3) | instskip(SKIP_3) | instid1(VALU_DEP_3)
	v_dual_add_f32 v9, v9, v13 :: v_dual_add_f32 v11, v11, v67
	v_dual_mul_f32 v19, v198, v111 :: v_dual_mul_f32 v21, v200, v113
	s_wait_loadcnt_dscnt 0xe09
	v_dual_mul_f32 v13, v209, v121 :: v_dual_fma_f32 v67, v196, v108, -v71
	v_dual_fmac_f32 v17, v197, v108 :: v_dual_add_f32 v11, v11, v65
	s_delay_alu instid0(VALU_DEP_3) | instskip(SKIP_1) | instid1(VALU_DEP_2)
	v_dual_add_f32 v9, v9, v15 :: v_dual_fmac_f32 v19, v199, v110
	v_dual_mul_f32 v15, v211, v123 :: v_dual_fma_f32 v65, v198, v110, -v73
	v_dual_add_f32 v11, v11, v67 :: v_dual_add_f32 v9, v9, v17
	v_dual_mul_f32 v23, v202, v115 :: v_dual_mul_f32 v25, v204, v117
	s_wait_loadcnt_dscnt 0xd08
	v_dual_mul_f32 v17, v213, v125 :: v_dual_fma_f32 v67, v200, v112, -v75
	s_delay_alu instid0(VALU_DEP_3) | instskip(NEXT) | instid1(VALU_DEP_3)
	v_dual_fmac_f32 v21, v201, v112 :: v_dual_add_f32 v11, v11, v65
	v_dual_add_f32 v9, v9, v19 :: v_dual_fmac_f32 v23, v203, v114
	v_dual_mul_f32 v19, v215, v127 :: v_dual_fma_f32 v65, v202, v114, -v77
	s_delay_alu instid0(VALU_DEP_2) | instskip(SKIP_3) | instid1(VALU_DEP_3)
	v_dual_add_f32 v11, v11, v67 :: v_dual_add_f32 v9, v9, v21
	v_dual_mul_f32 v27, v206, v119 :: v_dual_mul_f32 v29, v208, v121
	s_wait_loadcnt_dscnt 0xc07
	v_dual_mul_f32 v21, v217, v129 :: v_dual_fma_f32 v67, v204, v116, -v79
	v_dual_fmac_f32 v25, v205, v116 :: v_dual_add_f32 v11, v11, v65
	s_delay_alu instid0(VALU_DEP_3) | instskip(SKIP_1) | instid1(VALU_DEP_2)
	v_dual_add_f32 v9, v9, v23 :: v_dual_fmac_f32 v27, v207, v118
	v_dual_mul_f32 v23, v219, v131 :: v_dual_fma_f32 v63, v206, v118, -v63
	v_dual_add_f32 v11, v11, v67 :: v_dual_add_f32 v9, v9, v25
	v_dual_mul_f32 v31, v210, v123 :: v_dual_mul_f32 v33, v212, v125
	s_wait_loadcnt_dscnt 0xb06
	v_dual_mul_f32 v25, v221, v133 :: v_dual_fma_f32 v13, v208, v120, -v13
	s_delay_alu instid0(VALU_DEP_3) | instskip(NEXT) | instid1(VALU_DEP_3)
	v_dual_fmac_f32 v29, v209, v120 :: v_dual_add_f32 v11, v11, v63
	v_dual_add_f32 v9, v9, v27 :: v_dual_fmac_f32 v31, v211, v122
	v_dual_mul_f32 v27, v223, v135 :: v_dual_fma_f32 v15, v210, v122, -v15
	s_delay_alu instid0(VALU_DEP_3) | instskip(NEXT) | instid1(VALU_DEP_3)
	v_dual_add_f32 v11, v11, v13 :: v_dual_fmac_f32 v33, v213, v124
	v_dual_add_f32 v9, v9, v29 :: v_dual_fma_f32 v17, v212, v124, -v17
	v_dual_mul_f32 v35, v214, v127 :: v_dual_mul_f32 v37, v216, v129
	s_wait_loadcnt_dscnt 0xa05
	s_delay_alu instid0(VALU_DEP_3) | instskip(NEXT) | instid1(VALU_DEP_2)
	v_dual_mul_f32 v13, v225, v137 :: v_dual_add_f32 v11, v11, v15
	v_dual_add_f32 v9, v9, v31 :: v_dual_fmac_f32 v35, v215, v126
	v_dual_mul_f32 v15, v227, v139 :: v_dual_fma_f32 v19, v214, v126, -v19
	s_delay_alu instid0(VALU_DEP_3) | instskip(NEXT) | instid1(VALU_DEP_3)
	v_dual_add_f32 v11, v11, v17 :: v_dual_fmac_f32 v37, v217, v128
	v_dual_add_f32 v9, v9, v33 :: v_dual_fma_f32 v21, v216, v128, -v21
	v_dual_mul_f32 v39, v218, v131 :: v_dual_mul_f32 v41, v220, v133
	s_wait_loadcnt_dscnt 0x904
	s_delay_alu instid0(VALU_DEP_3) | instskip(NEXT) | instid1(VALU_DEP_2)
	v_dual_mul_f32 v17, v229, v141 :: v_dual_add_f32 v11, v11, v19
	;; [unrolled: 9-line block ×5, first 2 shown]
	v_dual_add_f32 v9, v9, v47 :: v_dual_fmac_f32 v51, v231, v142
	v_dual_mul_f32 v15, v243, v155 :: v_dual_fma_f32 v19, v230, v142, -v19
	s_delay_alu instid0(VALU_DEP_3) | instskip(NEXT) | instid1(VALU_DEP_3)
	v_dual_add_f32 v11, v11, v17 :: v_dual_fmac_f32 v53, v233, v144
	v_dual_add_f32 v9, v9, v49 :: v_dual_fma_f32 v21, v232, v144, -v21
	v_dual_mul_f32 v55, v234, v147 :: v_dual_mul_f32 v57, v236, v149
	s_wait_loadcnt 0x5
	s_delay_alu instid0(VALU_DEP_3) | instskip(NEXT) | instid1(VALU_DEP_3)
	v_dual_mul_f32 v17, v173, v157 :: v_dual_add_f32 v11, v11, v19
	v_dual_add_f32 v9, v9, v51 :: v_dual_mov_b32 v100, v159
	s_delay_alu instid0(VALU_DEP_3) | instskip(NEXT) | instid1(VALU_DEP_3)
	v_fmac_f32_e32 v55, v235, v146
	v_dual_fma_f32 v19, v234, v146, -v23 :: v_dual_add_f32 v11, v11, v21
	s_delay_alu instid0(VALU_DEP_3) | instskip(SKIP_1) | instid1(VALU_DEP_3)
	v_dual_add_f32 v9, v9, v53 :: v_dual_mul_f32 v59, v238, v151
	v_dual_mul_f32 v61, v240, v153 :: v_dual_fmac_f32 v57, v237, v148
	v_dual_add_f32 v11, v11, v19 :: v_dual_fma_f32 v21, v236, v148, -v25
	s_wait_loadcnt 0x4
	s_delay_alu instid0(VALU_DEP_3) | instskip(SKIP_3) | instid1(VALU_DEP_4)
	v_dual_add_f32 v9, v9, v55 :: v_dual_mov_b32 v104, v163
	v_fma_f32 v19, v238, v150, -v27
	v_fmac_f32_e32 v59, v239, v150
	v_dual_add_f32 v11, v11, v21 :: v_dual_fmac_f32 v61, v241, v152
	v_add_f32_e32 v9, v9, v57
	s_set_vgpr_msb 64                       ;  msbs: dst=1 src0=0 src1=0 src2=0
	v_dual_mul_f32 v3 /*v259*/, v242, v155 :: v_dual_mul_f32 v5 /*v261*/, v172, v157
	s_set_vgpr_msb 0                        ;  msbs: dst=0 src0=0 src1=0 src2=0
	v_fma_f32 v13, v240, v152, -v13
	v_pk_mul_f32 v[100:101], v[250:251], v[100:101] op_sel_hi:[1,0]
	v_add_f32_e32 v9, v9, v59
	v_add_f32_e32 v11, v11, v19
	s_set_vgpr_msb 64                       ;  msbs: dst=1 src0=0 src1=0 src2=0
	v_dual_fmac_f32 v3 /*v259*/, v243, v154 :: v_dual_fmac_f32 v5 /*v261*/, v173, v156
	v_dual_fma_f32 v2 /*v258*/, v242, v154, -v15 :: v_dual_fma_f32 v4 /*v260*/, v172, v156, -v17
	s_set_vgpr_msb 0                        ;  msbs: dst=0 src0=0 src1=0 src2=0
	v_add_f32_e32 v109, v9, v61
	v_pk_fma_f32 v[112:113], v[174:175], v[158:159], v[100:101] op_sel_hi:[1,0,1]
	v_add_f32_e32 v108, v11, v13
	v_pk_fma_f32 v[100:101], v[174:175], v[158:159], v[100:101] neg_lo:[0,0,1] neg_hi:[0,0,1]
	v_pk_mul_f32 v[102:103], v[176:177], v[160:161] op_sel:[1,1] op_sel_hi:[0,1]
	v_pk_mul_f32 v[104:105], v[252:253], v[104:105] op_sel_hi:[1,0]
	v_mov_b32_e32 v101, v113
	s_set_vgpr_msb 4                        ;  msbs: dst=0 src0=0 src1=1 src2=0
	v_pk_add_f32 v[108:109], v[108:109], v[2:3] /*v[258:259]*/
	s_wait_loadcnt 0x3
	s_set_vgpr_msb 0                        ;  msbs: dst=0 src0=0 src1=0 src2=0
	v_pk_mul_f32 v[106:107], v[180:181], v[164:165] op_sel:[1,1] op_sel_hi:[0,1]
	v_pk_fma_f32 v[114:115], v[176:177], v[160:161], v[102:103] op_sel_hi:[1,0,1]
	v_pk_fma_f32 v[102:103], v[176:177], v[160:161], v[102:103] neg_lo:[0,0,1] neg_hi:[0,0,1]
	v_mov_b32_e32 v110, v167
	s_set_vgpr_msb 4                        ;  msbs: dst=0 src0=0 src1=1 src2=0
	v_pk_add_f32 v[108:109], v[108:109], v[4:5] /*v[260:261]*/
	s_wait_loadcnt 0x2
	s_set_vgpr_msb 0                        ;  msbs: dst=0 src0=0 src1=0 src2=0
	v_pk_mul_f32 v[112:113], v[192:193], v[168:169] op_sel:[1,1] op_sel_hi:[0,1]
	v_mov_b32_e32 v103, v115
	v_pk_fma_f32 v[114:115], v[178:179], v[162:163], v[104:105] op_sel_hi:[1,0,1]
	v_pk_fma_f32 v[104:105], v[178:179], v[162:163], v[104:105] neg_lo:[0,0,1] neg_hi:[0,0,1]
	v_pk_add_f32 v[100:101], v[108:109], v[100:101]
	v_pk_fma_f32 v[108:109], v[180:181], v[164:165], v[106:107] op_sel_hi:[1,0,1]
	v_pk_mul_f32 v[110:111], v[254:255], v[110:111] op_sel_hi:[1,0]
	v_mov_b32_e32 v105, v115
	v_pk_fma_f32 v[106:107], v[180:181], v[164:165], v[106:107] neg_lo:[0,0,1] neg_hi:[0,0,1]
	v_pk_add_f32 v[100:101], v[100:101], v[102:103]
	v_dual_mov_b32 v102, v171 :: v_dual_mov_b32 v107, v109
	v_pk_fma_f32 v[108:109], v[182:183], v[166:167], v[110:111] op_sel_hi:[1,0,1]
	v_pk_fma_f32 v[110:111], v[182:183], v[166:167], v[110:111] neg_lo:[0,0,1] neg_hi:[0,0,1]
	s_delay_alu instid0(VALU_DEP_4)
	v_pk_add_f32 v[100:101], v[100:101], v[104:105]
	v_pk_fma_f32 v[104:105], v[192:193], v[168:169], v[112:113] op_sel_hi:[1,0,1]
	s_set_vgpr_msb 1                        ;  msbs: dst=0 src0=1 src1=0 src2=0
	v_pk_mul_f32 v[102:103], v[0:1] /*v[256:257]*/, v[102:103] op_sel_hi:[1,0]
	s_set_vgpr_msb 0                        ;  msbs: dst=0 src0=0 src1=0 src2=0
	v_mov_b32_e32 v111, v109
	s_wait_loadcnt_dscnt 0x100
	v_pk_mul_f32 v[108:109], v[248:249], v[244:245] op_sel:[1,1] op_sel_hi:[0,1]
	v_pk_add_f32 v[100:101], v[100:101], v[106:107]
	v_pk_fma_f32 v[106:107], v[192:193], v[168:169], v[112:113] neg_lo:[0,0,1] neg_hi:[0,0,1]
	v_mov_b32_e32 v107, v105
	v_pk_fma_f32 v[104:105], v[194:195], v[170:171], v[102:103] op_sel_hi:[1,0,1]
	v_pk_fma_f32 v[102:103], v[194:195], v[170:171], v[102:103] neg_lo:[0,0,1] neg_hi:[0,0,1]
	v_pk_add_f32 v[100:101], v[100:101], v[110:111]
	s_delay_alu instid0(VALU_DEP_3) | instskip(SKIP_1) | instid1(VALU_DEP_3)
	v_mov_b32_e32 v103, v105
	v_pk_fma_f32 v[104:105], v[248:249], v[244:245], v[108:109] op_sel_hi:[1,0,1]
	v_pk_add_f32 v[100:101], v[100:101], v[106:107]
	v_pk_fma_f32 v[106:107], v[248:249], v[244:245], v[108:109] neg_lo:[0,0,1] neg_hi:[0,0,1]
	s_delay_alu instid0(VALU_DEP_3) | instskip(NEXT) | instid1(VALU_DEP_3)
	v_mov_b32_e32 v107, v105
	v_pk_add_f32 v[100:101], v[100:101], v[102:103]
	s_delay_alu instid0(VALU_DEP_1) | instskip(SKIP_1) | instid1(VALU_DEP_1)
	v_pk_add_f32 v[100:101], v[100:101], v[106:107]
	s_wait_loadcnt 0x0
	v_pk_add_f32 v[100:101], v[246:247], v[100:101] neg_lo:[0,1] neg_hi:[0,1]
	scratch_store_b64 off, v[100:101], off offset:88
	s_wait_xcnt 0x0
	v_cmpx_lt_u32_e32 10, v0
	s_cbranch_execz .LBB48_287
; %bb.286:
	scratch_load_b64 v[100:101], off, off offset:80
	v_mov_b64_e32 v[102:103], 0
	scratch_store_b64 off, v[102:103], off offset:80
	s_wait_loadcnt 0x0
	ds_store_b64 v1, v[100:101]
.LBB48_287:
	s_wait_xcnt 0x0
	s_or_b32 exec_lo, exec_lo, s0
	s_wait_storecnt_dscnt 0x0
	s_barrier_signal -1
	s_barrier_wait -1
	s_clause 0x13
	scratch_load_b128 v[100:103], off, off offset:88
	scratch_load_b128 v[104:107], off, off offset:104
	;; [unrolled: 1-line block ×19, first 2 shown]
	scratch_load_b64 v[252:253], off, off offset:80
	ds_load_2addr_b64 v[176:179], v7 offset0:91 offset1:92
	ds_load_2addr_b64 v[180:183], v7 offset0:93 offset1:94
	;; [unrolled: 1-line block ×19, first 2 shown]
	s_mov_b32 s0, exec_lo
	s_wait_dscnt 0x12
	v_dual_mov_b32 v254, v179 :: v_dual_mov_b32 v255, v178
	s_wait_dscnt 0x11
	s_set_vgpr_msb 64                       ;  msbs: dst=1 src0=0 src1=0 src2=0
	v_dual_mov_b32 v0 /*v256*/, v183 :: v_dual_mov_b32 v1 /*v257*/, v182
	s_wait_dscnt 0xf
	v_dual_mov_b32 v2 /*v258*/, v191 :: v_dual_mov_b32 v3 /*v259*/, v190
	s_wait_dscnt 0xe
	v_dual_mov_b32 v4 /*v260*/, v195 :: v_dual_mov_b32 v5 /*v261*/, v194
	s_wait_loadcnt_dscnt 0x130d
	s_set_vgpr_msb 0                        ;  msbs: dst=0 src0=0 src1=0 src2=0
	v_dual_mul_f32 v7, v196, v101 :: v_dual_mul_f32 v9, v198, v103
	v_dual_mul_f32 v63, v197, v101 :: v_dual_mul_f32 v65, v199, v103
	s_wait_loadcnt_dscnt 0x120c
	v_dual_mul_f32 v11, v200, v105 :: v_dual_mul_f32 v13, v202, v107
	s_delay_alu instid0(VALU_DEP_3) | instskip(SKIP_3) | instid1(VALU_DEP_3)
	v_dual_fmac_f32 v7, v197, v100 :: v_dual_fmac_f32 v9, v199, v102
	s_wait_loadcnt_dscnt 0x100a
	v_dual_fma_f32 v63, v196, v100, -v63 :: v_dual_mul_f32 v75, v209, v113
	v_dual_mul_f32 v67, v201, v105 :: v_dual_mul_f32 v69, v203, v107
	v_dual_fma_f32 v65, v198, v102, -v65 :: v_dual_add_f32 v7, 0, v7
	s_delay_alu instid0(VALU_DEP_3) | instskip(SKIP_1) | instid1(VALU_DEP_4)
	v_dual_add_f32 v63, 0, v63 :: v_dual_fmac_f32 v11, v201, v104
	v_dual_mul_f32 v15, v204, v109 :: v_dual_mul_f32 v17, v206, v111
	v_dual_mul_f32 v77, v211, v115 :: v_dual_fma_f32 v67, v200, v104, -v67
	s_delay_alu instid0(VALU_DEP_4) | instskip(NEXT) | instid1(VALU_DEP_3)
	v_add_f32_e32 v7, v7, v9
	v_dual_add_f32 v9, v63, v65 :: v_dual_fmac_f32 v15, v205, v108
	v_dual_mul_f32 v71, v205, v109 :: v_dual_mul_f32 v73, v207, v111
	s_wait_loadcnt_dscnt 0xf09
	v_dual_mul_f32 v63, v213, v117 :: v_dual_fmac_f32 v13, v203, v106
	v_dual_fma_f32 v65, v202, v106, -v69 :: v_dual_add_f32 v7, v7, v11
	s_delay_alu instid0(VALU_DEP_3) | instskip(SKIP_1) | instid1(VALU_DEP_3)
	v_dual_add_f32 v9, v9, v67 :: v_dual_fma_f32 v67, v204, v108, -v71
	v_dual_mul_f32 v19, v208, v113 :: v_dual_mul_f32 v21, v210, v115
	v_add_f32_e32 v7, v7, v13
	s_delay_alu instid0(VALU_DEP_3) | instskip(SKIP_2) | instid1(VALU_DEP_3)
	v_dual_mul_f32 v11, v215, v119 :: v_dual_add_f32 v9, v9, v65
	s_wait_loadcnt_dscnt 0xe08
	v_dual_mul_f32 v13, v217, v121 :: v_dual_fmac_f32 v17, v207, v110
	v_dual_fma_f32 v65, v206, v110, -v73 :: v_dual_add_f32 v7, v7, v15
	s_delay_alu instid0(VALU_DEP_3) | instskip(SKIP_1) | instid1(VALU_DEP_3)
	v_dual_add_f32 v9, v9, v67 :: v_dual_fma_f32 v67, v208, v112, -v75
	v_dual_mul_f32 v15, v219, v123 :: v_dual_fmac_f32 v19, v209, v112
	v_add_f32_e32 v7, v7, v17
	s_delay_alu instid0(VALU_DEP_3)
	v_dual_add_f32 v9, v9, v65 :: v_dual_fmac_f32 v21, v211, v114
	v_dual_mul_f32 v23, v212, v117 :: v_dual_mul_f32 v25, v214, v119
	s_wait_loadcnt_dscnt 0xd07
	v_dual_fma_f32 v65, v210, v114, -v77 :: v_dual_mul_f32 v17, v221, v125
	v_add_f32_e32 v7, v7, v19
	v_dual_add_f32 v9, v9, v67 :: v_dual_fma_f32 v63, v212, v116, -v63
	v_dual_mul_f32 v19, v223, v127 :: v_dual_fmac_f32 v23, v213, v116
	s_delay_alu instid0(VALU_DEP_3) | instskip(NEXT) | instid1(VALU_DEP_3)
	v_dual_add_f32 v7, v7, v21 :: v_dual_fma_f32 v11, v214, v118, -v11
	v_dual_add_f32 v9, v9, v65 :: v_dual_fmac_f32 v25, v215, v118
	v_dual_mul_f32 v27, v216, v121 :: v_dual_mul_f32 v29, v218, v123
	s_wait_loadcnt_dscnt 0xc06
	s_delay_alu instid0(VALU_DEP_3) | instskip(NEXT) | instid1(VALU_DEP_3)
	v_dual_mul_f32 v21, v225, v129 :: v_dual_add_f32 v7, v7, v23
	v_dual_add_f32 v9, v9, v63 :: v_dual_fma_f32 v13, v216, v120, -v13
	s_delay_alu instid0(VALU_DEP_3) | instskip(NEXT) | instid1(VALU_DEP_2)
	v_dual_mul_f32 v23, v227, v131 :: v_dual_fmac_f32 v27, v217, v120
	v_dual_add_f32 v7, v7, v25 :: v_dual_add_f32 v9, v9, v11
	v_dual_mul_f32 v31, v220, v125 :: v_dual_mul_f32 v33, v222, v127
	s_wait_loadcnt_dscnt 0xb05
	v_dual_mul_f32 v11, v229, v133 :: v_dual_fmac_f32 v29, v219, v122
	s_delay_alu instid0(VALU_DEP_3) | instskip(SKIP_2) | instid1(VALU_DEP_2)
	v_dual_fma_f32 v15, v218, v122, -v15 :: v_dual_add_f32 v7, v7, v27
	v_dual_add_f32 v9, v9, v13 :: v_dual_mul_f32 v13, v231, v135
	v_dual_fmac_f32 v31, v221, v124 :: v_dual_fma_f32 v17, v220, v124, -v17
	v_dual_add_f32 v7, v7, v29 :: v_dual_add_f32 v9, v9, v15
	v_dual_mul_f32 v35, v224, v129 :: v_dual_mul_f32 v37, v226, v131
	s_wait_loadcnt_dscnt 0xa04
	v_dual_mul_f32 v15, v233, v137 :: v_dual_fmac_f32 v33, v223, v126
	s_delay_alu instid0(VALU_DEP_3) | instskip(SKIP_2) | instid1(VALU_DEP_2)
	v_dual_fma_f32 v19, v222, v126, -v19 :: v_dual_add_f32 v7, v7, v31
	v_dual_add_f32 v9, v9, v17 :: v_dual_mul_f32 v17, v235, v139
	v_dual_fmac_f32 v35, v225, v128 :: v_dual_fma_f32 v21, v224, v128, -v21
	v_dual_add_f32 v7, v7, v33 :: v_dual_add_f32 v9, v9, v19
	v_dual_mul_f32 v39, v228, v133 :: v_dual_mul_f32 v41, v230, v135
	s_wait_loadcnt_dscnt 0x903
	v_dual_mul_f32 v19, v237, v141 :: v_dual_fmac_f32 v37, v227, v130
	s_delay_alu instid0(VALU_DEP_3) | instskip(SKIP_2) | instid1(VALU_DEP_3)
	v_dual_fma_f32 v23, v226, v130, -v23 :: v_dual_add_f32 v7, v7, v35
	v_dual_add_f32 v9, v9, v21 :: v_dual_mul_f32 v21, v239, v143
	v_fmac_f32_e32 v39, v229, v132
	v_dual_fma_f32 v11, v228, v132, -v11 :: v_dual_add_f32 v7, v7, v37
	s_delay_alu instid0(VALU_DEP_3)
	v_dual_add_f32 v9, v9, v23 :: v_dual_mul_f32 v43, v232, v137
	s_wait_loadcnt_dscnt 0x802
	v_dual_mul_f32 v45, v234, v139 :: v_dual_mul_f32 v23, v241, v145
	v_fmac_f32_e32 v41, v231, v134
	v_dual_fma_f32 v13, v230, v134, -v13 :: v_dual_add_f32 v7, v7, v39
	v_dual_add_f32 v9, v9, v11 :: v_dual_fma_f32 v15, v232, v136, -v15
	v_dual_mul_f32 v11, v243, v147 :: v_dual_fmac_f32 v43, v233, v136
	s_delay_alu instid0(VALU_DEP_3) | instskip(NEXT) | instid1(VALU_DEP_3)
	v_dual_add_f32 v7, v7, v41 :: v_dual_fma_f32 v17, v234, v138, -v17
	v_dual_add_f32 v9, v9, v13 :: v_dual_fmac_f32 v45, v235, v138
	v_dual_mul_f32 v47, v236, v141 :: v_dual_mul_f32 v49, v238, v143
	s_wait_loadcnt_dscnt 0x701
	s_delay_alu instid0(VALU_DEP_3) | instskip(NEXT) | instid1(VALU_DEP_3)
	v_dual_mul_f32 v13, v245, v149 :: v_dual_add_f32 v7, v7, v43
	v_dual_add_f32 v9, v9, v15 :: v_dual_fma_f32 v19, v236, v140, -v19
	s_delay_alu instid0(VALU_DEP_3) | instskip(NEXT) | instid1(VALU_DEP_3)
	v_dual_mul_f32 v15, v247, v151 :: v_dual_fmac_f32 v47, v237, v140
	v_dual_add_f32 v7, v7, v45 :: v_dual_fma_f32 v21, v238, v142, -v21
	s_delay_alu instid0(VALU_DEP_3) | instskip(SKIP_2) | instid1(VALU_DEP_3)
	v_dual_add_f32 v9, v9, v17 :: v_dual_fmac_f32 v49, v239, v142
	v_dual_mul_f32 v51, v240, v145 :: v_dual_mul_f32 v53, v242, v147
	s_wait_loadcnt_dscnt 0x600
	v_dual_mul_f32 v17, v249, v153 :: v_dual_add_f32 v7, v7, v47
	s_delay_alu instid0(VALU_DEP_3) | instskip(NEXT) | instid1(VALU_DEP_3)
	v_dual_add_f32 v9, v9, v19 :: v_dual_fma_f32 v23, v240, v144, -v23
	v_dual_mul_f32 v19, v251, v155 :: v_dual_fmac_f32 v51, v241, v144
	s_delay_alu instid0(VALU_DEP_3) | instskip(NEXT) | instid1(VALU_DEP_3)
	v_dual_add_f32 v7, v7, v49 :: v_dual_fma_f32 v11, v242, v146, -v11
	v_dual_add_f32 v9, v9, v21 :: v_dual_fmac_f32 v53, v243, v146
	v_dual_mul_f32 v55, v244, v149 :: v_dual_mul_f32 v57, v246, v151
	s_wait_loadcnt 0x5
	s_delay_alu instid0(VALU_DEP_3) | instskip(NEXT) | instid1(VALU_DEP_3)
	v_dual_mul_f32 v21, v185, v157 :: v_dual_add_f32 v7, v7, v51
	v_dual_add_f32 v9, v9, v23 :: v_dual_fma_f32 v13, v244, v148, -v13
	s_delay_alu instid0(VALU_DEP_3) | instskip(NEXT) | instid1(VALU_DEP_2)
	v_dual_mul_f32 v23, v187, v159 :: v_dual_fmac_f32 v55, v245, v148
	v_dual_add_f32 v7, v7, v53 :: v_dual_add_f32 v9, v9, v11
	v_dual_mul_f32 v59, v248, v153 :: v_dual_mul_f32 v61, v250, v155
	v_dual_fmac_f32 v57, v247, v150 :: v_dual_fma_f32 v11, v246, v150, -v15
	s_delay_alu instid0(VALU_DEP_3) | instskip(SKIP_1) | instid1(VALU_DEP_3)
	v_dual_add_f32 v7, v7, v55 :: v_dual_add_f32 v9, v9, v13
	s_wait_loadcnt 0x4
	v_dual_mov_b32 v102, v163 :: v_dual_fmac_f32 v59, v249, v152
	s_delay_alu instid0(VALU_DEP_2) | instskip(NEXT) | instid1(VALU_DEP_3)
	v_dual_fma_f32 v13, v248, v152, -v17 :: v_dual_add_f32 v7, v7, v57
	v_dual_add_f32 v9, v9, v11 :: v_dual_fmac_f32 v61, v251, v154
	s_set_vgpr_msb 64                       ;  msbs: dst=1 src0=0 src1=0 src2=0
	v_dual_mul_f32 v7 /*v263*/, v184, v157 :: v_dual_mul_f32 v9 /*v265*/, v186, v159
	s_set_vgpr_msb 0                        ;  msbs: dst=0 src0=0 src1=0 src2=0
	v_dual_fma_f32 v11, v250, v154, -v19 :: v_dual_add_f32 v7, v7, v59
	s_wait_loadcnt 0x3
	v_dual_add_f32 v9, v9, v13 :: v_dual_mov_b32 v106, v167
	v_pk_mul_f32 v[100:101], v[176:177], v[160:161] op_sel:[1,1] op_sel_hi:[0,1]
	s_set_vgpr_msb 64                       ;  msbs: dst=1 src0=0 src1=0 src2=0
	v_dual_fmac_f32 v7 /*v263*/, v185, v156 :: v_dual_fmac_f32 v9 /*v265*/, v187, v158
	v_dual_fma_f32 v6 /*v262*/, v184, v156, -v21 :: v_dual_fma_f32 v8 /*v264*/, v186, v158, -v23
	s_set_vgpr_msb 0                        ;  msbs: dst=0 src0=0 src1=0 src2=0
	v_dual_add_f32 v109, v7, v61 :: v_dual_add_f32 v108, v9, v11
	v_pk_fma_f32 v[110:111], v[176:177], v[160:161], v[100:101] op_sel_hi:[1,0,1]
	v_pk_mul_f32 v[102:103], v[254:255], v[102:103] op_sel_hi:[1,0]
	v_pk_fma_f32 v[100:101], v[176:177], v[160:161], v[100:101] neg_lo:[0,0,1] neg_hi:[0,0,1]
	v_pk_mul_f32 v[104:105], v[180:181], v[164:165] op_sel:[1,1] op_sel_hi:[0,1]
	s_set_vgpr_msb 4                        ;  msbs: dst=0 src0=0 src1=1 src2=0
	v_pk_add_f32 v[108:109], v[108:109], v[6:7] /*v[262:263]*/
	v_mov_b32_e32 v101, v111
	s_set_vgpr_msb 0                        ;  msbs: dst=0 src0=0 src1=0 src2=0
	v_pk_fma_f32 v[110:111], v[178:179], v[162:163], v[102:103] op_sel_hi:[1,0,1]
	v_pk_fma_f32 v[102:103], v[178:179], v[162:163], v[102:103] neg_lo:[0,0,1] neg_hi:[0,0,1]
	v_pk_fma_f32 v[114:115], v[180:181], v[164:165], v[104:105] op_sel_hi:[1,0,1]
	s_set_vgpr_msb 4                        ;  msbs: dst=0 src0=0 src1=1 src2=0
	v_pk_add_f32 v[108:109], v[108:109], v[8:9] /*v[264:265]*/
	s_set_vgpr_msb 1                        ;  msbs: dst=0 src0=1 src1=0 src2=0
	v_pk_mul_f32 v[106:107], v[0:1] /*v[256:257]*/, v[106:107] op_sel_hi:[1,0]
	s_set_vgpr_msb 0                        ;  msbs: dst=0 src0=0 src1=0 src2=0
	v_mov_b32_e32 v103, v111
	s_wait_loadcnt 0x2
	v_pk_mul_f32 v[112:113], v[188:189], v[168:169] op_sel:[1,1] op_sel_hi:[0,1]
	v_pk_fma_f32 v[104:105], v[180:181], v[164:165], v[104:105] neg_lo:[0,0,1] neg_hi:[0,0,1]
	v_pk_add_f32 v[100:101], v[108:109], v[100:101]
	v_dual_mov_b32 v108, v171 :: v_dual_mov_b32 v105, v115
	v_pk_fma_f32 v[110:111], v[182:183], v[166:167], v[106:107] op_sel_hi:[1,0,1]
	v_pk_fma_f32 v[106:107], v[182:183], v[166:167], v[106:107] neg_lo:[0,0,1] neg_hi:[0,0,1]
	s_delay_alu instid0(VALU_DEP_4)
	v_pk_add_f32 v[100:101], v[100:101], v[102:103]
	v_pk_fma_f32 v[102:103], v[188:189], v[168:169], v[112:113] op_sel_hi:[1,0,1]
	s_set_vgpr_msb 1                        ;  msbs: dst=0 src0=1 src1=0 src2=0
	v_pk_mul_f32 v[108:109], v[2:3] /*v[258:259]*/, v[108:109] op_sel_hi:[1,0]
	s_set_vgpr_msb 0                        ;  msbs: dst=0 src0=0 src1=0 src2=0
	v_mov_b32_e32 v107, v111
	v_pk_fma_f32 v[110:111], v[188:189], v[168:169], v[112:113] neg_lo:[0,0,1] neg_hi:[0,0,1]
	v_pk_add_f32 v[100:101], v[100:101], v[104:105]
	v_mov_b32_e32 v111, v103
	v_pk_fma_f32 v[102:103], v[190:191], v[170:171], v[108:109] op_sel_hi:[1,0,1]
	s_wait_loadcnt 0x1
	v_pk_mul_f32 v[104:105], v[192:193], v[172:173] op_sel:[1,1] op_sel_hi:[0,1]
	v_mov_b32_e32 v102, v175
	v_pk_add_f32 v[100:101], v[100:101], v[106:107]
	v_pk_fma_f32 v[108:109], v[190:191], v[170:171], v[108:109] neg_lo:[0,0,1] neg_hi:[0,0,1]
	v_mov_b32_e32 v109, v103
	v_pk_fma_f32 v[106:107], v[192:193], v[172:173], v[104:105] op_sel_hi:[1,0,1]
	s_set_vgpr_msb 1                        ;  msbs: dst=0 src0=1 src1=0 src2=0
	v_pk_mul_f32 v[102:103], v[4:5] /*v[260:261]*/, v[102:103] op_sel_hi:[1,0]
	s_set_vgpr_msb 0                        ;  msbs: dst=0 src0=0 src1=0 src2=0
	v_pk_add_f32 v[100:101], v[100:101], v[110:111]
	v_pk_fma_f32 v[104:105], v[192:193], v[172:173], v[104:105] neg_lo:[0,0,1] neg_hi:[0,0,1]
	v_mov_b32_e32 v105, v107
	v_pk_fma_f32 v[106:107], v[194:195], v[174:175], v[102:103] op_sel_hi:[1,0,1]
	s_delay_alu instid0(VALU_DEP_4) | instskip(SKIP_1) | instid1(VALU_DEP_3)
	v_pk_add_f32 v[100:101], v[100:101], v[108:109]
	v_pk_fma_f32 v[102:103], v[194:195], v[174:175], v[102:103] neg_lo:[0,0,1] neg_hi:[0,0,1]
	v_mov_b32_e32 v103, v107
	s_delay_alu instid0(VALU_DEP_3) | instskip(NEXT) | instid1(VALU_DEP_1)
	v_pk_add_f32 v[100:101], v[100:101], v[104:105]
	v_pk_add_f32 v[100:101], v[100:101], v[102:103]
	s_wait_loadcnt 0x0
	s_delay_alu instid0(VALU_DEP_1)
	v_pk_add_f32 v[100:101], v[252:253], v[100:101] neg_lo:[0,1] neg_hi:[0,1]
	scratch_store_b64 off, v[100:101], off offset:80
	s_wait_xcnt 0x0
	v_cmpx_lt_u32_e32 9, v0
	s_cbranch_execz .LBB48_289
; %bb.288:
	scratch_load_b64 v[100:101], off, off offset:72
	v_mov_b64_e32 v[102:103], 0
	scratch_store_b64 off, v[102:103], off offset:72
	s_wait_loadcnt 0x0
	ds_store_b64 v1, v[100:101]
.LBB48_289:
	s_wait_xcnt 0x0
	s_or_b32 exec_lo, exec_lo, s0
	s_wait_storecnt_dscnt 0x0
	s_barrier_signal -1
	s_barrier_wait -1
	s_clause 0x14
	scratch_load_b128 v[100:103], off, off offset:80
	scratch_load_b128 v[104:107], off, off offset:96
	;; [unrolled: 1-line block ×19, first 2 shown]
	scratch_load_b64 v[252:253], off, off offset:384
	scratch_load_b64 v[254:255], off, off offset:72
	v_mov_b32_e32 v7, 0
	ds_load_b128 v[176:179], v7 offset:720
	ds_load_b128 v[180:183], v7 offset:704
	;; [unrolled: 1-line block ×19, first 2 shown]
	s_set_vgpr_msb 64                       ;  msbs: dst=1 src0=0 src1=0 src2=0
	ds_load_b64 v[0:1] /*v[256:257]*/, v7 offset:784
	s_wait_dscnt 0x13
	v_dual_mov_b32 v2 /*v258*/, v179 :: v_dual_mov_b32 v3 /*v259*/, v178
	s_wait_dscnt 0x11
	v_dual_mov_b32 v4 /*v260*/, v187 :: v_dual_mov_b32 v5 /*v261*/, v186
	s_wait_dscnt 0x10
	v_dual_mov_b32 v6 /*v262*/, v191 :: v_dual_mov_b32 v7 /*v263*/, v190
	s_wait_dscnt 0xd
	v_dual_mov_b32 v8 /*v264*/, v203 :: v_dual_mov_b32 v9 /*v265*/, v202
	s_mov_b32 s0, exec_lo
	s_wait_loadcnt 0x14
	s_set_vgpr_msb 0                        ;  msbs: dst=0 src0=0 src1=0 src2=0
	v_dual_mul_f32 v9, v192, v101 :: v_dual_mul_f32 v67, v193, v101
	v_dual_mul_f32 v69, v195, v103 :: v_dual_mul_f32 v11, v194, v103
	s_wait_loadcnt 0x13
	v_mul_f32_e32 v13, v196, v105
	s_wait_loadcnt_dscnt 0x110b
	v_dual_mul_f32 v79, v209, v113 :: v_dual_fma_f32 v67, v192, v100, -v67
	v_dual_fmac_f32 v9, v193, v100 :: v_dual_mul_f32 v81, v211, v115
	v_dual_mul_f32 v71, v197, v105 :: v_dual_mul_f32 v73, v199, v107
	v_dual_fmac_f32 v11, v195, v102 :: v_dual_fma_f32 v69, v194, v102, -v69
	s_delay_alu instid0(VALU_DEP_3) | instskip(SKIP_4) | instid1(VALU_DEP_3)
	v_dual_add_f32 v9, 0, v9 :: v_dual_add_f32 v67, 0, v67
	v_dual_mul_f32 v15, v198, v107 :: v_dual_mul_f32 v17, v204, v109
	s_wait_loadcnt_dscnt 0x100a
	v_dual_mul_f32 v83, v213, v117 :: v_dual_fma_f32 v71, v196, v104, -v71
	v_fmac_f32_e32 v13, v197, v104
	v_dual_add_f32 v9, v9, v11 :: v_dual_fmac_f32 v15, v199, v106
	v_add_f32_e32 v11, v67, v69
	v_dual_mul_f32 v75, v205, v109 :: v_dual_mul_f32 v77, v207, v111
	v_dual_mul_f32 v67, v215, v119 :: v_dual_fma_f32 v69, v198, v106, -v73
	s_delay_alu instid0(VALU_DEP_3) | instskip(SKIP_3) | instid1(VALU_DEP_3)
	v_dual_add_f32 v9, v9, v13 :: v_dual_add_f32 v11, v11, v71
	v_dual_mul_f32 v19, v206, v111 :: v_dual_mul_f32 v21, v208, v113
	s_wait_loadcnt_dscnt 0xf09
	v_dual_mul_f32 v13, v217, v121 :: v_dual_fma_f32 v71, v204, v108, -v75
	v_dual_fmac_f32 v17, v205, v108 :: v_dual_add_f32 v11, v11, v69
	s_delay_alu instid0(VALU_DEP_3) | instskip(SKIP_1) | instid1(VALU_DEP_2)
	v_dual_add_f32 v9, v9, v15 :: v_dual_fmac_f32 v19, v207, v110
	v_dual_mul_f32 v15, v219, v123 :: v_dual_fma_f32 v69, v206, v110, -v77
	v_dual_add_f32 v11, v11, v71 :: v_dual_add_f32 v9, v9, v17
	v_dual_mul_f32 v23, v210, v115 :: v_dual_mul_f32 v25, v212, v117
	s_wait_loadcnt_dscnt 0xe08
	v_dual_mul_f32 v17, v221, v125 :: v_dual_fma_f32 v71, v208, v112, -v79
	s_delay_alu instid0(VALU_DEP_3) | instskip(NEXT) | instid1(VALU_DEP_3)
	v_dual_fmac_f32 v21, v209, v112 :: v_dual_add_f32 v11, v11, v69
	v_dual_add_f32 v9, v9, v19 :: v_dual_fmac_f32 v23, v211, v114
	v_dual_mul_f32 v19, v223, v127 :: v_dual_fma_f32 v69, v210, v114, -v81
	s_delay_alu instid0(VALU_DEP_2) | instskip(SKIP_3) | instid1(VALU_DEP_3)
	v_dual_add_f32 v11, v11, v71 :: v_dual_add_f32 v9, v9, v21
	v_dual_mul_f32 v27, v214, v119 :: v_dual_mul_f32 v29, v216, v121
	s_wait_loadcnt_dscnt 0xd07
	v_dual_mul_f32 v21, v225, v129 :: v_dual_fma_f32 v71, v212, v116, -v83
	v_dual_fmac_f32 v25, v213, v116 :: v_dual_add_f32 v11, v11, v69
	s_delay_alu instid0(VALU_DEP_3) | instskip(SKIP_1) | instid1(VALU_DEP_2)
	v_dual_add_f32 v9, v9, v23 :: v_dual_fmac_f32 v27, v215, v118
	v_dual_mul_f32 v23, v227, v131 :: v_dual_fma_f32 v67, v214, v118, -v67
	v_dual_add_f32 v11, v11, v71 :: v_dual_add_f32 v9, v9, v25
	v_dual_mul_f32 v31, v218, v123 :: v_dual_mul_f32 v33, v220, v125
	s_wait_loadcnt_dscnt 0xc06
	v_dual_mul_f32 v25, v229, v133 :: v_dual_fma_f32 v13, v216, v120, -v13
	s_delay_alu instid0(VALU_DEP_3) | instskip(NEXT) | instid1(VALU_DEP_3)
	v_dual_fmac_f32 v29, v217, v120 :: v_dual_add_f32 v11, v11, v67
	v_dual_add_f32 v9, v9, v27 :: v_dual_fmac_f32 v31, v219, v122
	v_dual_mul_f32 v27, v231, v135 :: v_dual_fma_f32 v15, v218, v122, -v15
	s_delay_alu instid0(VALU_DEP_3) | instskip(NEXT) | instid1(VALU_DEP_3)
	v_dual_add_f32 v11, v11, v13 :: v_dual_fmac_f32 v33, v221, v124
	v_dual_add_f32 v9, v9, v29 :: v_dual_fma_f32 v17, v220, v124, -v17
	v_dual_mul_f32 v35, v222, v127 :: v_dual_mul_f32 v37, v224, v129
	s_wait_loadcnt_dscnt 0xb05
	s_delay_alu instid0(VALU_DEP_3) | instskip(NEXT) | instid1(VALU_DEP_2)
	v_dual_mul_f32 v13, v233, v137 :: v_dual_add_f32 v11, v11, v15
	v_dual_add_f32 v9, v9, v31 :: v_dual_fmac_f32 v35, v223, v126
	v_dual_mul_f32 v15, v235, v139 :: v_dual_fma_f32 v19, v222, v126, -v19
	s_delay_alu instid0(VALU_DEP_3) | instskip(NEXT) | instid1(VALU_DEP_3)
	v_dual_add_f32 v11, v11, v17 :: v_dual_fmac_f32 v37, v225, v128
	v_dual_add_f32 v9, v9, v33 :: v_dual_fma_f32 v21, v224, v128, -v21
	v_dual_mul_f32 v39, v226, v131 :: v_dual_mul_f32 v41, v228, v133
	s_wait_loadcnt_dscnt 0xa04
	s_delay_alu instid0(VALU_DEP_3) | instskip(NEXT) | instid1(VALU_DEP_2)
	v_dual_mul_f32 v17, v237, v141 :: v_dual_add_f32 v11, v11, v19
	;; [unrolled: 9-line block ×5, first 2 shown]
	v_dual_add_f32 v9, v9, v47 :: v_dual_fmac_f32 v51, v239, v142
	v_dual_mul_f32 v15, v251, v155 :: v_dual_fma_f32 v19, v238, v142, -v19
	s_delay_alu instid0(VALU_DEP_3) | instskip(NEXT) | instid1(VALU_DEP_3)
	v_dual_add_f32 v11, v11, v17 :: v_dual_fmac_f32 v53, v241, v144
	v_dual_add_f32 v9, v9, v49 :: v_dual_fma_f32 v21, v240, v144, -v21
	v_dual_mul_f32 v55, v242, v147 :: v_dual_mul_f32 v57, v244, v149
	s_wait_loadcnt 0x6
	s_delay_alu instid0(VALU_DEP_3) | instskip(NEXT) | instid1(VALU_DEP_2)
	v_dual_mul_f32 v17, v181, v157 :: v_dual_add_f32 v11, v11, v19
	v_dual_add_f32 v9, v9, v51 :: v_dual_fmac_f32 v55, v243, v146
	v_dual_mul_f32 v19, v183, v159 :: v_dual_fma_f32 v23, v242, v146, -v23
	s_delay_alu instid0(VALU_DEP_3) | instskip(NEXT) | instid1(VALU_DEP_3)
	v_dual_add_f32 v11, v11, v21 :: v_dual_fmac_f32 v57, v245, v148
	v_dual_add_f32 v9, v9, v53 :: v_dual_fma_f32 v25, v244, v148, -v25
	v_dual_mul_f32 v59, v246, v151 :: v_dual_mul_f32 v61, v248, v153
	s_wait_loadcnt 0x5
	s_delay_alu instid0(VALU_DEP_3) | instskip(NEXT) | instid1(VALU_DEP_3)
	v_dual_mul_f32 v21, v177, v161 :: v_dual_add_f32 v11, v11, v23
	v_dual_add_f32 v9, v9, v55 :: v_dual_mov_b32 v100, v163
	s_delay_alu instid0(VALU_DEP_3) | instskip(NEXT) | instid1(VALU_DEP_3)
	v_fmac_f32_e32 v59, v247, v150
	v_dual_fma_f32 v23, v246, v150, -v27 :: v_dual_add_f32 v11, v11, v25
	s_delay_alu instid0(VALU_DEP_3) | instskip(SKIP_1) | instid1(VALU_DEP_3)
	v_dual_add_f32 v9, v9, v57 :: v_dual_mul_f32 v63, v250, v155
	v_dual_mul_f32 v65, v180, v157 :: v_dual_fmac_f32 v61, v249, v152
	v_dual_add_f32 v11, v11, v23 :: v_dual_fma_f32 v13, v248, v152, -v13
	s_wait_loadcnt 0x4
	s_delay_alu instid0(VALU_DEP_3) | instskip(SKIP_3) | instid1(VALU_DEP_4)
	v_dual_add_f32 v9, v9, v59 :: v_dual_mov_b32 v104, v167
	v_fma_f32 v15, v250, v154, -v15
	v_fmac_f32_e32 v63, v251, v154
	v_dual_add_f32 v11, v11, v13 :: v_dual_fmac_f32 v65, v181, v156
	v_add_f32_e32 v9, v9, v61
	s_set_vgpr_msb 64                       ;  msbs: dst=1 src0=0 src1=0 src2=0
	v_dual_mul_f32 v11 /*v267*/, v182, v159 :: v_dual_mul_f32 v13 /*v269*/, v176, v161
	s_set_vgpr_msb 0                        ;  msbs: dst=0 src0=0 src1=0 src2=0
	v_fma_f32 v13, v180, v156, -v17
	s_set_vgpr_msb 1                        ;  msbs: dst=0 src0=1 src1=0 src2=0
	v_pk_mul_f32 v[100:101], v[2:3] /*v[258:259]*/, v[100:101] op_sel_hi:[1,0]
	s_set_vgpr_msb 0                        ;  msbs: dst=0 src0=0 src1=0 src2=0
	v_add_f32_e32 v9, v9, v63
	v_add_f32_e32 v11, v11, v15
	s_set_vgpr_msb 64                       ;  msbs: dst=1 src0=0 src1=0 src2=0
	v_dual_fmac_f32 v11 /*v267*/, v183, v158 :: v_dual_fmac_f32 v13 /*v269*/, v177, v160
	v_dual_fma_f32 v10 /*v266*/, v182, v158, -v19 :: v_dual_fma_f32 v12 /*v268*/, v176, v160, -v21
	s_set_vgpr_msb 0                        ;  msbs: dst=0 src0=0 src1=0 src2=0
	v_add_f32_e32 v109, v9, v65
	v_pk_fma_f32 v[112:113], v[178:179], v[162:163], v[100:101] op_sel_hi:[1,0,1]
	v_add_f32_e32 v108, v11, v13
	v_pk_fma_f32 v[100:101], v[178:179], v[162:163], v[100:101] neg_lo:[0,0,1] neg_hi:[0,0,1]
	v_pk_mul_f32 v[102:103], v[184:185], v[164:165] op_sel:[1,1] op_sel_hi:[0,1]
	s_set_vgpr_msb 1                        ;  msbs: dst=0 src0=1 src1=0 src2=0
	v_pk_mul_f32 v[104:105], v[4:5] /*v[260:261]*/, v[104:105] op_sel_hi:[1,0]
	s_set_vgpr_msb 4                        ;  msbs: dst=0 src0=0 src1=1 src2=0
	v_mov_b32_e32 v101, v113
	v_pk_add_f32 v[108:109], v[108:109], v[10:11] /*v[266:267]*/
	s_wait_loadcnt 0x3
	s_set_vgpr_msb 0                        ;  msbs: dst=0 src0=0 src1=0 src2=0
	v_pk_mul_f32 v[106:107], v[188:189], v[168:169] op_sel:[1,1] op_sel_hi:[0,1]
	v_pk_fma_f32 v[114:115], v[184:185], v[164:165], v[102:103] op_sel_hi:[1,0,1]
	v_pk_fma_f32 v[102:103], v[184:185], v[164:165], v[102:103] neg_lo:[0,0,1] neg_hi:[0,0,1]
	v_mov_b32_e32 v110, v171
	s_set_vgpr_msb 4                        ;  msbs: dst=0 src0=0 src1=1 src2=0
	v_pk_add_f32 v[108:109], v[108:109], v[12:13] /*v[268:269]*/
	s_wait_loadcnt 0x2
	s_set_vgpr_msb 0                        ;  msbs: dst=0 src0=0 src1=0 src2=0
	v_pk_mul_f32 v[112:113], v[200:201], v[172:173] op_sel:[1,1] op_sel_hi:[0,1]
	v_mov_b32_e32 v103, v115
	v_pk_fma_f32 v[114:115], v[186:187], v[166:167], v[104:105] op_sel_hi:[1,0,1]
	v_pk_fma_f32 v[104:105], v[186:187], v[166:167], v[104:105] neg_lo:[0,0,1] neg_hi:[0,0,1]
	v_pk_add_f32 v[100:101], v[108:109], v[100:101]
	v_pk_fma_f32 v[108:109], v[188:189], v[168:169], v[106:107] op_sel_hi:[1,0,1]
	s_set_vgpr_msb 1                        ;  msbs: dst=0 src0=1 src1=0 src2=0
	v_pk_mul_f32 v[110:111], v[6:7] /*v[262:263]*/, v[110:111] op_sel_hi:[1,0]
	s_set_vgpr_msb 0                        ;  msbs: dst=0 src0=0 src1=0 src2=0
	v_mov_b32_e32 v105, v115
	v_pk_fma_f32 v[106:107], v[188:189], v[168:169], v[106:107] neg_lo:[0,0,1] neg_hi:[0,0,1]
	v_pk_add_f32 v[100:101], v[100:101], v[102:103]
	v_dual_mov_b32 v102, v175 :: v_dual_mov_b32 v107, v109
	v_pk_fma_f32 v[108:109], v[190:191], v[170:171], v[110:111] op_sel_hi:[1,0,1]
	v_pk_fma_f32 v[110:111], v[190:191], v[170:171], v[110:111] neg_lo:[0,0,1] neg_hi:[0,0,1]
	s_delay_alu instid0(VALU_DEP_4)
	v_pk_add_f32 v[100:101], v[100:101], v[104:105]
	v_pk_fma_f32 v[104:105], v[200:201], v[172:173], v[112:113] op_sel_hi:[1,0,1]
	s_set_vgpr_msb 1                        ;  msbs: dst=0 src0=1 src1=0 src2=0
	v_pk_mul_f32 v[102:103], v[8:9] /*v[264:265]*/, v[102:103] op_sel_hi:[1,0]
	s_set_vgpr_msb 0                        ;  msbs: dst=0 src0=0 src1=0 src2=0
	v_mov_b32_e32 v111, v109
	s_wait_loadcnt_dscnt 0x100
	s_set_vgpr_msb 1                        ;  msbs: dst=0 src0=1 src1=0 src2=0
	v_pk_mul_f32 v[108:109], v[0:1] /*v[256:257]*/, v[252:253] op_sel:[1,1] op_sel_hi:[0,1]
	s_set_vgpr_msb 0                        ;  msbs: dst=0 src0=0 src1=0 src2=0
	v_pk_add_f32 v[100:101], v[100:101], v[106:107]
	v_pk_fma_f32 v[106:107], v[200:201], v[172:173], v[112:113] neg_lo:[0,0,1] neg_hi:[0,0,1]
	v_mov_b32_e32 v107, v105
	v_pk_fma_f32 v[104:105], v[202:203], v[174:175], v[102:103] op_sel_hi:[1,0,1]
	v_pk_fma_f32 v[102:103], v[202:203], v[174:175], v[102:103] neg_lo:[0,0,1] neg_hi:[0,0,1]
	v_pk_add_f32 v[100:101], v[100:101], v[110:111]
	s_delay_alu instid0(VALU_DEP_3)
	v_mov_b32_e32 v103, v105
	s_set_vgpr_msb 1                        ;  msbs: dst=0 src0=1 src1=0 src2=0
	v_pk_fma_f32 v[104:105], v[0:1] /*v[256:257]*/, v[252:253], v[108:109] op_sel_hi:[1,0,1]
	s_set_vgpr_msb 0                        ;  msbs: dst=0 src0=0 src1=0 src2=0
	v_pk_add_f32 v[100:101], v[100:101], v[106:107]
	s_set_vgpr_msb 1                        ;  msbs: dst=0 src0=1 src1=0 src2=0
	v_pk_fma_f32 v[106:107], v[0:1] /*v[256:257]*/, v[252:253], v[108:109] neg_lo:[0,0,1] neg_hi:[0,0,1]
	s_set_vgpr_msb 0                        ;  msbs: dst=0 src0=0 src1=0 src2=0
	v_mov_b32_e32 v107, v105
	v_pk_add_f32 v[100:101], v[100:101], v[102:103]
	s_delay_alu instid0(VALU_DEP_1) | instskip(SKIP_1) | instid1(VALU_DEP_1)
	v_pk_add_f32 v[100:101], v[100:101], v[106:107]
	s_wait_loadcnt 0x0
	v_pk_add_f32 v[100:101], v[254:255], v[100:101] neg_lo:[0,1] neg_hi:[0,1]
	scratch_store_b64 off, v[100:101], off offset:72
	s_wait_xcnt 0x0
	v_cmpx_lt_u32_e32 8, v0
	s_cbranch_execz .LBB48_291
; %bb.290:
	scratch_load_b64 v[100:101], off, off offset:64
	v_mov_b64_e32 v[102:103], 0
	scratch_store_b64 off, v[102:103], off offset:64
	s_wait_loadcnt 0x0
	ds_store_b64 v1, v[100:101]
.LBB48_291:
	s_wait_xcnt 0x0
	s_or_b32 exec_lo, exec_lo, s0
	s_wait_storecnt_dscnt 0x0
	s_barrier_signal -1
	s_barrier_wait -1
	s_clause 0x15
	scratch_load_b128 v[100:103], off, off offset:72
	scratch_load_b128 v[104:107], off, off offset:88
	;; [unrolled: 1-line block ×20, first 2 shown]
	s_set_vgpr_msb 64                       ;  msbs: dst=1 src0=0 src1=0 src2=0
	scratch_load_b64 v[4:5] /*v[260:261]*/, off, off offset:64
	s_set_vgpr_msb 0                        ;  msbs: dst=0 src0=0 src1=0 src2=0
	ds_load_2addr_b64 v[180:183], v7 offset0:91 offset1:92
	ds_load_2addr_b64 v[184:187], v7 offset0:93 offset1:94
	;; [unrolled: 1-line block ×19, first 2 shown]
	s_set_vgpr_msb 64                       ;  msbs: dst=1 src0=0 src1=0 src2=0
	ds_load_2addr_b64 v[0:3] /*v[256:259]*/, v7 offset0:89 offset1:90
	s_wait_dscnt 0x13
	v_dual_mov_b32 v6 /*v262*/, v183 :: v_dual_mov_b32 v7 /*v263*/, v182
	s_wait_dscnt 0x12
	v_dual_mov_b32 v8 /*v264*/, v187 :: v_dual_mov_b32 v9 /*v265*/, v186
	s_wait_dscnt 0xf
	v_dual_mov_b32 v10 /*v266*/, v199 :: v_dual_mov_b32 v11 /*v267*/, v198
	s_wait_dscnt 0xe
	v_dual_mov_b32 v12 /*v268*/, v203 :: v_dual_mov_b32 v13 /*v269*/, v202
	s_mov_b32 s0, exec_lo
	s_wait_loadcnt 0x14
	s_set_vgpr_msb 0                        ;  msbs: dst=0 src0=0 src1=0 src2=0
	v_dual_mul_f32 v7, v188, v101 :: v_dual_mul_f32 v9, v190, v103
	v_dual_mul_f32 v67, v189, v101 :: v_dual_mul_f32 v69, v191, v103
	s_wait_loadcnt 0x13
	v_dual_mul_f32 v11, v192, v105 :: v_dual_mul_f32 v13, v194, v107
	s_delay_alu instid0(VALU_DEP_3) | instskip(SKIP_3) | instid1(VALU_DEP_3)
	v_dual_fmac_f32 v7, v189, v100 :: v_dual_fmac_f32 v9, v191, v102
	s_wait_loadcnt_dscnt 0x110c
	v_dual_fma_f32 v67, v188, v100, -v67 :: v_dual_mul_f32 v79, v209, v113
	v_dual_mul_f32 v71, v193, v105 :: v_dual_mul_f32 v73, v195, v107
	v_dual_fma_f32 v69, v190, v102, -v69 :: v_dual_add_f32 v7, 0, v7
	s_delay_alu instid0(VALU_DEP_3) | instskip(SKIP_1) | instid1(VALU_DEP_4)
	v_dual_add_f32 v67, 0, v67 :: v_dual_fmac_f32 v11, v193, v104
	v_dual_mul_f32 v15, v204, v109 :: v_dual_mul_f32 v17, v206, v111
	v_dual_mul_f32 v81, v211, v115 :: v_dual_fma_f32 v71, v192, v104, -v71
	s_delay_alu instid0(VALU_DEP_4) | instskip(NEXT) | instid1(VALU_DEP_3)
	v_add_f32_e32 v7, v7, v9
	v_dual_add_f32 v9, v67, v69 :: v_dual_fmac_f32 v15, v205, v108
	v_dual_mul_f32 v75, v205, v109 :: v_dual_mul_f32 v77, v207, v111
	s_wait_loadcnt_dscnt 0x100b
	v_dual_mul_f32 v67, v213, v117 :: v_dual_fmac_f32 v13, v195, v106
	v_dual_fma_f32 v69, v194, v106, -v73 :: v_dual_add_f32 v7, v7, v11
	s_delay_alu instid0(VALU_DEP_3) | instskip(SKIP_1) | instid1(VALU_DEP_3)
	v_dual_add_f32 v9, v9, v71 :: v_dual_fma_f32 v71, v204, v108, -v75
	v_dual_mul_f32 v19, v208, v113 :: v_dual_mul_f32 v21, v210, v115
	v_add_f32_e32 v7, v7, v13
	s_delay_alu instid0(VALU_DEP_3) | instskip(SKIP_2) | instid1(VALU_DEP_3)
	v_dual_mul_f32 v11, v215, v119 :: v_dual_add_f32 v9, v9, v69
	s_wait_loadcnt_dscnt 0xf0a
	v_dual_mul_f32 v13, v217, v121 :: v_dual_fmac_f32 v17, v207, v110
	v_dual_fma_f32 v69, v206, v110, -v77 :: v_dual_add_f32 v7, v7, v15
	s_delay_alu instid0(VALU_DEP_3) | instskip(SKIP_1) | instid1(VALU_DEP_3)
	v_dual_add_f32 v9, v9, v71 :: v_dual_fma_f32 v71, v208, v112, -v79
	v_dual_mul_f32 v15, v219, v123 :: v_dual_fmac_f32 v19, v209, v112
	v_add_f32_e32 v7, v7, v17
	s_delay_alu instid0(VALU_DEP_3)
	v_dual_add_f32 v9, v9, v69 :: v_dual_fmac_f32 v21, v211, v114
	v_dual_mul_f32 v23, v212, v117 :: v_dual_mul_f32 v25, v214, v119
	s_wait_loadcnt_dscnt 0xe09
	v_dual_fma_f32 v69, v210, v114, -v81 :: v_dual_mul_f32 v17, v221, v125
	v_add_f32_e32 v7, v7, v19
	v_dual_add_f32 v9, v9, v71 :: v_dual_fma_f32 v67, v212, v116, -v67
	v_dual_mul_f32 v19, v223, v127 :: v_dual_fmac_f32 v23, v213, v116
	s_delay_alu instid0(VALU_DEP_3) | instskip(NEXT) | instid1(VALU_DEP_3)
	v_dual_add_f32 v7, v7, v21 :: v_dual_fma_f32 v11, v214, v118, -v11
	v_dual_add_f32 v9, v9, v69 :: v_dual_fmac_f32 v25, v215, v118
	v_dual_mul_f32 v27, v216, v121 :: v_dual_mul_f32 v29, v218, v123
	s_wait_loadcnt_dscnt 0xd08
	s_delay_alu instid0(VALU_DEP_3) | instskip(NEXT) | instid1(VALU_DEP_3)
	v_dual_mul_f32 v21, v225, v129 :: v_dual_add_f32 v7, v7, v23
	v_dual_add_f32 v9, v9, v67 :: v_dual_fma_f32 v13, v216, v120, -v13
	s_delay_alu instid0(VALU_DEP_3) | instskip(NEXT) | instid1(VALU_DEP_2)
	v_dual_mul_f32 v23, v227, v131 :: v_dual_fmac_f32 v27, v217, v120
	v_dual_add_f32 v7, v7, v25 :: v_dual_add_f32 v9, v9, v11
	v_dual_mul_f32 v31, v220, v125 :: v_dual_mul_f32 v33, v222, v127
	s_wait_loadcnt_dscnt 0xc07
	v_dual_mul_f32 v11, v229, v133 :: v_dual_fmac_f32 v29, v219, v122
	s_delay_alu instid0(VALU_DEP_3) | instskip(SKIP_2) | instid1(VALU_DEP_2)
	v_dual_fma_f32 v15, v218, v122, -v15 :: v_dual_add_f32 v7, v7, v27
	v_dual_add_f32 v9, v9, v13 :: v_dual_mul_f32 v13, v231, v135
	v_dual_fmac_f32 v31, v221, v124 :: v_dual_fma_f32 v17, v220, v124, -v17
	v_dual_add_f32 v7, v7, v29 :: v_dual_add_f32 v9, v9, v15
	v_dual_mul_f32 v35, v224, v129 :: v_dual_mul_f32 v37, v226, v131
	s_wait_loadcnt_dscnt 0xb06
	v_dual_mul_f32 v15, v233, v137 :: v_dual_fmac_f32 v33, v223, v126
	s_delay_alu instid0(VALU_DEP_3) | instskip(SKIP_2) | instid1(VALU_DEP_2)
	v_dual_fma_f32 v19, v222, v126, -v19 :: v_dual_add_f32 v7, v7, v31
	v_dual_add_f32 v9, v9, v17 :: v_dual_mul_f32 v17, v235, v139
	v_dual_fmac_f32 v35, v225, v128 :: v_dual_fma_f32 v21, v224, v128, -v21
	v_dual_add_f32 v7, v7, v33 :: v_dual_add_f32 v9, v9, v19
	v_dual_mul_f32 v39, v228, v133 :: v_dual_mul_f32 v41, v230, v135
	s_wait_loadcnt_dscnt 0xa05
	v_dual_mul_f32 v19, v237, v141 :: v_dual_fmac_f32 v37, v227, v130
	s_delay_alu instid0(VALU_DEP_3) | instskip(SKIP_2) | instid1(VALU_DEP_3)
	v_dual_fma_f32 v23, v226, v130, -v23 :: v_dual_add_f32 v7, v7, v35
	v_dual_add_f32 v9, v9, v21 :: v_dual_mul_f32 v21, v239, v143
	v_fmac_f32_e32 v39, v229, v132
	v_dual_fma_f32 v11, v228, v132, -v11 :: v_dual_add_f32 v7, v7, v37
	s_delay_alu instid0(VALU_DEP_3)
	v_dual_add_f32 v9, v9, v23 :: v_dual_mul_f32 v43, v232, v137
	s_wait_loadcnt_dscnt 0x904
	v_dual_mul_f32 v45, v234, v139 :: v_dual_mul_f32 v23, v241, v145
	v_fmac_f32_e32 v41, v231, v134
	v_dual_fma_f32 v13, v230, v134, -v13 :: v_dual_add_f32 v7, v7, v39
	v_dual_add_f32 v9, v9, v11 :: v_dual_fma_f32 v15, v232, v136, -v15
	v_dual_mul_f32 v11, v243, v147 :: v_dual_fmac_f32 v43, v233, v136
	s_delay_alu instid0(VALU_DEP_3) | instskip(NEXT) | instid1(VALU_DEP_3)
	v_dual_add_f32 v7, v7, v41 :: v_dual_fma_f32 v17, v234, v138, -v17
	v_dual_add_f32 v9, v9, v13 :: v_dual_fmac_f32 v45, v235, v138
	v_dual_mul_f32 v47, v236, v141 :: v_dual_mul_f32 v49, v238, v143
	s_wait_loadcnt_dscnt 0x803
	s_delay_alu instid0(VALU_DEP_3) | instskip(NEXT) | instid1(VALU_DEP_3)
	v_dual_mul_f32 v13, v245, v149 :: v_dual_add_f32 v7, v7, v43
	v_dual_add_f32 v9, v9, v15 :: v_dual_fma_f32 v19, v236, v140, -v19
	s_delay_alu instid0(VALU_DEP_3) | instskip(NEXT) | instid1(VALU_DEP_3)
	v_dual_mul_f32 v15, v247, v151 :: v_dual_fmac_f32 v47, v237, v140
	v_dual_add_f32 v7, v7, v45 :: v_dual_fma_f32 v21, v238, v142, -v21
	s_delay_alu instid0(VALU_DEP_3) | instskip(SKIP_2) | instid1(VALU_DEP_3)
	v_dual_add_f32 v9, v9, v17 :: v_dual_fmac_f32 v49, v239, v142
	v_dual_mul_f32 v51, v240, v145 :: v_dual_mul_f32 v53, v242, v147
	s_wait_loadcnt_dscnt 0x702
	v_dual_mul_f32 v17, v249, v153 :: v_dual_add_f32 v7, v7, v47
	s_delay_alu instid0(VALU_DEP_3) | instskip(NEXT) | instid1(VALU_DEP_3)
	v_dual_add_f32 v9, v9, v19 :: v_dual_fma_f32 v23, v240, v144, -v23
	v_dual_mul_f32 v19, v251, v155 :: v_dual_fmac_f32 v51, v241, v144
	s_delay_alu instid0(VALU_DEP_3) | instskip(NEXT) | instid1(VALU_DEP_3)
	v_dual_add_f32 v7, v7, v49 :: v_dual_fma_f32 v11, v242, v146, -v11
	v_dual_add_f32 v9, v9, v21 :: v_dual_fmac_f32 v53, v243, v146
	v_dual_mul_f32 v55, v244, v149 :: v_dual_mul_f32 v57, v246, v151
	s_wait_loadcnt_dscnt 0x601
	s_delay_alu instid0(VALU_DEP_3) | instskip(NEXT) | instid1(VALU_DEP_3)
	v_dual_mul_f32 v21, v253, v157 :: v_dual_add_f32 v7, v7, v51
	v_dual_add_f32 v9, v9, v23 :: v_dual_fma_f32 v13, v244, v148, -v13
	s_delay_alu instid0(VALU_DEP_3) | instskip(NEXT) | instid1(VALU_DEP_2)
	v_dual_mul_f32 v23, v255, v159 :: v_dual_fmac_f32 v55, v245, v148
	v_dual_add_f32 v7, v7, v53 :: v_dual_add_f32 v9, v9, v11
	v_dual_mul_f32 v59, v248, v153 :: v_dual_mul_f32 v61, v250, v155
	v_dual_fmac_f32 v57, v247, v150 :: v_dual_fma_f32 v15, v246, v150, -v15
	s_delay_alu instid0(VALU_DEP_3) | instskip(NEXT) | instid1(VALU_DEP_3)
	v_dual_add_f32 v7, v7, v55 :: v_dual_add_f32 v9, v9, v13
	v_dual_fmac_f32 v59, v249, v152 :: v_dual_fma_f32 v17, v248, v152, -v17
	v_dual_mul_f32 v63, v252, v157 :: v_dual_mul_f32 v65, v254, v159
	s_delay_alu instid0(VALU_DEP_3) | instskip(SKIP_2) | instid1(VALU_DEP_3)
	v_dual_add_f32 v7, v7, v57 :: v_dual_add_f32 v9, v9, v15
	v_dual_fmac_f32 v61, v251, v154 :: v_dual_fma_f32 v15, v250, v154, -v19
	s_wait_loadcnt 0x4
	v_dual_mov_b32 v102, v167 :: v_dual_fmac_f32 v63, v253, v156
	s_delay_alu instid0(VALU_DEP_3)
	v_dual_add_f32 v7, v7, v59 :: v_dual_add_f32 v9, v9, v17
	v_fma_f32 v17, v252, v156, -v21
	s_wait_dscnt 0x0
	s_set_vgpr_msb 0x41                     ;  msbs: dst=1 src0=1 src1=0 src2=0
	v_dual_mul_f32 v15 /*v271*/, v0 /*v256*/, v161 :: v_dual_mul_f32 v17 /*v273*/, v2 /*v258*/, v163
	s_set_vgpr_msb 0                        ;  msbs: dst=0 src0=0 src1=0 src2=0
	v_dual_add_f32 v7, v7, v61 :: v_dual_add_f32 v9, v9, v15
	v_fmac_f32_e32 v65, v255, v158
	s_set_vgpr_msb 1                        ;  msbs: dst=0 src0=1 src1=0 src2=0
	v_dual_mul_f32 v11, v1 /*v257*/, v161 :: v_dual_mul_f32 v13, v3 /*v259*/, v163
	s_set_vgpr_msb 0                        ;  msbs: dst=0 src0=0 src1=0 src2=0
	v_dual_fma_f32 v15, v254, v158, -v23 :: v_dual_add_f32 v7, v7, v63
	s_wait_loadcnt 0x3
	v_dual_add_f32 v9, v9, v17 :: v_dual_mov_b32 v106, v171
	v_pk_mul_f32 v[100:101], v[180:181], v[164:165] op_sel:[1,1] op_sel_hi:[0,1]
	s_set_vgpr_msb 0x41                     ;  msbs: dst=1 src0=1 src1=0 src2=0
	v_dual_fmac_f32 v15 /*v271*/, v1 /*v257*/, v160 :: v_dual_fmac_f32 v17 /*v273*/, v3 /*v259*/, v162
	v_dual_fma_f32 v14 /*v270*/, v0 /*v256*/, v160, -v11 :: v_dual_fma_f32 v16 /*v272*/, v2 /*v258*/, v162, -v13
	s_set_vgpr_msb 0                        ;  msbs: dst=0 src0=0 src1=0 src2=0
	v_dual_add_f32 v109, v7, v65 :: v_dual_add_f32 v108, v9, v15
	v_pk_fma_f32 v[110:111], v[180:181], v[164:165], v[100:101] op_sel_hi:[1,0,1]
	s_set_vgpr_msb 1                        ;  msbs: dst=0 src0=1 src1=0 src2=0
	v_pk_mul_f32 v[102:103], v[6:7] /*v[262:263]*/, v[102:103] op_sel_hi:[1,0]
	s_set_vgpr_msb 0                        ;  msbs: dst=0 src0=0 src1=0 src2=0
	v_pk_fma_f32 v[100:101], v[180:181], v[164:165], v[100:101] neg_lo:[0,0,1] neg_hi:[0,0,1]
	v_pk_mul_f32 v[104:105], v[184:185], v[168:169] op_sel:[1,1] op_sel_hi:[0,1]
	s_set_vgpr_msb 4                        ;  msbs: dst=0 src0=0 src1=1 src2=0
	v_pk_add_f32 v[108:109], v[108:109], v[14:15] /*v[270:271]*/
	v_mov_b32_e32 v101, v111
	s_set_vgpr_msb 0                        ;  msbs: dst=0 src0=0 src1=0 src2=0
	v_pk_fma_f32 v[110:111], v[182:183], v[166:167], v[102:103] op_sel_hi:[1,0,1]
	v_pk_fma_f32 v[102:103], v[182:183], v[166:167], v[102:103] neg_lo:[0,0,1] neg_hi:[0,0,1]
	v_pk_fma_f32 v[114:115], v[184:185], v[168:169], v[104:105] op_sel_hi:[1,0,1]
	s_set_vgpr_msb 4                        ;  msbs: dst=0 src0=0 src1=1 src2=0
	v_pk_add_f32 v[108:109], v[108:109], v[16:17] /*v[272:273]*/
	s_set_vgpr_msb 1                        ;  msbs: dst=0 src0=1 src1=0 src2=0
	v_pk_mul_f32 v[106:107], v[8:9] /*v[264:265]*/, v[106:107] op_sel_hi:[1,0]
	s_set_vgpr_msb 0                        ;  msbs: dst=0 src0=0 src1=0 src2=0
	v_mov_b32_e32 v103, v111
	s_wait_loadcnt 0x2
	v_pk_mul_f32 v[112:113], v[196:197], v[172:173] op_sel:[1,1] op_sel_hi:[0,1]
	v_pk_fma_f32 v[104:105], v[184:185], v[168:169], v[104:105] neg_lo:[0,0,1] neg_hi:[0,0,1]
	v_pk_add_f32 v[100:101], v[108:109], v[100:101]
	v_dual_mov_b32 v108, v175 :: v_dual_mov_b32 v105, v115
	v_pk_fma_f32 v[110:111], v[186:187], v[170:171], v[106:107] op_sel_hi:[1,0,1]
	v_pk_fma_f32 v[106:107], v[186:187], v[170:171], v[106:107] neg_lo:[0,0,1] neg_hi:[0,0,1]
	s_delay_alu instid0(VALU_DEP_4)
	v_pk_add_f32 v[100:101], v[100:101], v[102:103]
	v_pk_fma_f32 v[102:103], v[196:197], v[172:173], v[112:113] op_sel_hi:[1,0,1]
	s_set_vgpr_msb 1                        ;  msbs: dst=0 src0=1 src1=0 src2=0
	v_pk_mul_f32 v[108:109], v[10:11] /*v[266:267]*/, v[108:109] op_sel_hi:[1,0]
	s_set_vgpr_msb 0                        ;  msbs: dst=0 src0=0 src1=0 src2=0
	v_mov_b32_e32 v107, v111
	v_pk_fma_f32 v[110:111], v[196:197], v[172:173], v[112:113] neg_lo:[0,0,1] neg_hi:[0,0,1]
	v_pk_add_f32 v[100:101], v[100:101], v[104:105]
	v_mov_b32_e32 v111, v103
	v_pk_fma_f32 v[102:103], v[198:199], v[174:175], v[108:109] op_sel_hi:[1,0,1]
	s_wait_loadcnt 0x1
	v_pk_mul_f32 v[104:105], v[200:201], v[176:177] op_sel:[1,1] op_sel_hi:[0,1]
	v_mov_b32_e32 v102, v179
	v_pk_add_f32 v[100:101], v[100:101], v[106:107]
	v_pk_fma_f32 v[108:109], v[198:199], v[174:175], v[108:109] neg_lo:[0,0,1] neg_hi:[0,0,1]
	v_mov_b32_e32 v109, v103
	v_pk_fma_f32 v[106:107], v[200:201], v[176:177], v[104:105] op_sel_hi:[1,0,1]
	s_set_vgpr_msb 1                        ;  msbs: dst=0 src0=1 src1=0 src2=0
	v_pk_mul_f32 v[102:103], v[12:13] /*v[268:269]*/, v[102:103] op_sel_hi:[1,0]
	s_set_vgpr_msb 0                        ;  msbs: dst=0 src0=0 src1=0 src2=0
	v_pk_add_f32 v[100:101], v[100:101], v[110:111]
	v_pk_fma_f32 v[104:105], v[200:201], v[176:177], v[104:105] neg_lo:[0,0,1] neg_hi:[0,0,1]
	v_mov_b32_e32 v105, v107
	v_pk_fma_f32 v[106:107], v[202:203], v[178:179], v[102:103] op_sel_hi:[1,0,1]
	s_delay_alu instid0(VALU_DEP_4) | instskip(SKIP_1) | instid1(VALU_DEP_3)
	v_pk_add_f32 v[100:101], v[100:101], v[108:109]
	v_pk_fma_f32 v[102:103], v[202:203], v[178:179], v[102:103] neg_lo:[0,0,1] neg_hi:[0,0,1]
	v_mov_b32_e32 v103, v107
	s_delay_alu instid0(VALU_DEP_3) | instskip(NEXT) | instid1(VALU_DEP_1)
	v_pk_add_f32 v[100:101], v[100:101], v[104:105]
	v_pk_add_f32 v[100:101], v[100:101], v[102:103]
	s_wait_loadcnt 0x0
	s_set_vgpr_msb 1                        ;  msbs: dst=0 src0=1 src1=0 src2=0
	s_delay_alu instid0(VALU_DEP_1)
	v_pk_add_f32 v[100:101], v[4:5] /*v[260:261]*/, v[100:101] neg_lo:[0,1] neg_hi:[0,1]
	scratch_store_b64 off, v[100:101], off offset:64
	s_wait_xcnt 0x0
	v_cmpx_lt_u32_e32 7, v0
	s_set_vgpr_msb 0                        ;  msbs: dst=0 src0=0 src1=0 src2=0
	s_cbranch_execz .LBB48_293
; %bb.292:
	scratch_load_b64 v[100:101], off, off offset:56
	v_mov_b64_e32 v[102:103], 0
	scratch_store_b64 off, v[102:103], off offset:56
	s_wait_loadcnt 0x0
	ds_store_b64 v1, v[100:101]
.LBB48_293:
	s_wait_xcnt 0x0
	s_or_b32 exec_lo, exec_lo, s0
	v_mov_b32_e32 v7, 0
	s_wait_storecnt_dscnt 0x0
	s_barrier_signal -1
	s_barrier_wait -1
	ds_load_b128 v[100:103], v7 offset:464
	ds_load_b128 v[104:107], v7 offset:480
	;; [unrolled: 1-line block ×4, first 2 shown]
	s_clause 0x10
	scratch_load_b128 v[116:119], off, off offset:64
	scratch_load_b128 v[120:123], off, off offset:80
	;; [unrolled: 1-line block ×17, first 2 shown]
	s_mov_b32 s0, exec_lo
	s_wait_loadcnt_dscnt 0x1003
	v_mul_f32_e32 v9, v100, v117
	ds_load_b128 v[212:215], v7 offset:688
	ds_load_b128 v[220:223], v7 offset:704
	ds_load_b128 v[228:231], v7 offset:720
	v_dual_mul_f32 v11, v102, v119 :: v_dual_fmac_f32 v9, v101, v116
	ds_load_b128 v[132:135], v7 offset:528
	ds_load_b128 v[140:143], v7 offset:544
	;; [unrolled: 1-line block ×4, first 2 shown]
	v_dual_add_f32 v9, 0, v9 :: v_dual_fmac_f32 v11, v103, v118
	ds_load_b128 v[164:167], v7 offset:592
	ds_load_b128 v[172:175], v7 offset:608
	;; [unrolled: 1-line block ×4, first 2 shown]
	s_wait_loadcnt_dscnt 0xf0d
	v_dual_add_f32 v9, v9, v11 :: v_dual_mul_f32 v11, v104, v121
	ds_load_b128 v[196:199], v7 offset:656
	ds_load_b128 v[204:207], v7 offset:672
	s_clause 0x3
	scratch_load_b128 v[236:239], off, off offset:336
	scratch_load_b128 v[240:243], off, off offset:352
	;; [unrolled: 1-line block ×3, first 2 shown]
	scratch_load_b64 v[254:255], off, off offset:384
	s_wait_loadcnt_dscnt 0x110b
	v_dual_fmac_f32 v11, v105, v120 :: v_dual_mul_f32 v251, v222, v227
	s_wait_loadcnt_dscnt 0xe0a
	s_delay_alu instid0(VALU_DEP_1) | instskip(NEXT) | instid1(VALU_DEP_2)
	v_dual_mul_f32 v253, v228, v233 :: v_dual_add_f32 v9, v9, v11
	v_dual_mul_f32 v11, v106, v123 :: v_dual_fmac_f32 v251, v223, v226
	s_delay_alu instid0(VALU_DEP_1) | instskip(NEXT) | instid1(VALU_DEP_1)
	v_dual_fmac_f32 v253, v229, v232 :: v_dual_fmac_f32 v11, v107, v122
	v_dual_add_f32 v9, v9, v11 :: v_dual_mul_f32 v11, v108, v125
	s_delay_alu instid0(VALU_DEP_1) | instskip(NEXT) | instid1(VALU_DEP_1)
	v_fmac_f32_e32 v11, v109, v124
	v_add_f32_e32 v9, v9, v11
	v_mul_f32_e32 v11, v110, v127
	s_delay_alu instid0(VALU_DEP_1) | instskip(NEXT) | instid1(VALU_DEP_1)
	v_fmac_f32_e32 v11, v111, v126
	v_dual_add_f32 v9, v9, v11 :: v_dual_mul_f32 v11, v112, v129
	s_delay_alu instid0(VALU_DEP_1) | instskip(NEXT) | instid1(VALU_DEP_1)
	v_fmac_f32_e32 v11, v113, v128
	v_add_f32_e32 v9, v9, v11
	v_mul_f32_e32 v11, v114, v131
	s_delay_alu instid0(VALU_DEP_1) | instskip(SKIP_1) | instid1(VALU_DEP_1)
	v_fmac_f32_e32 v11, v115, v130
	s_wait_loadcnt_dscnt 0xd09
	v_dual_add_f32 v9, v9, v11 :: v_dual_mul_f32 v11, v132, v137
	s_delay_alu instid0(VALU_DEP_1) | instskip(NEXT) | instid1(VALU_DEP_1)
	v_fmac_f32_e32 v11, v133, v136
	v_add_f32_e32 v9, v9, v11
	v_mul_f32_e32 v11, v134, v139
	s_delay_alu instid0(VALU_DEP_1) | instskip(SKIP_1) | instid1(VALU_DEP_1)
	v_fmac_f32_e32 v11, v135, v138
	s_wait_loadcnt_dscnt 0xc08
	;; [unrolled: 8-line block ×10, first 2 shown]
	v_dual_add_f32 v9, v9, v11 :: v_dual_mul_f32 v11, v204, v209
	s_delay_alu instid0(VALU_DEP_1) | instskip(NEXT) | instid1(VALU_DEP_1)
	v_fmac_f32_e32 v11, v205, v208
	v_add_f32_e32 v9, v9, v11
	v_mul_f32_e32 v11, v206, v211
	s_delay_alu instid0(VALU_DEP_1) | instskip(NEXT) | instid1(VALU_DEP_1)
	v_fmac_f32_e32 v11, v207, v210
	v_dual_add_f32 v9, v9, v11 :: v_dual_mul_f32 v11, v212, v217
	s_delay_alu instid0(VALU_DEP_1) | instskip(NEXT) | instid1(VALU_DEP_1)
	v_fmac_f32_e32 v11, v213, v216
	v_add_f32_e32 v9, v9, v11
	v_mul_f32_e32 v11, v214, v219
	s_delay_alu instid0(VALU_DEP_1) | instskip(NEXT) | instid1(VALU_DEP_1)
	v_fmac_f32_e32 v11, v215, v218
	v_dual_add_f32 v9, v9, v11 :: v_dual_mul_f32 v11, v220, v225
	s_delay_alu instid0(VALU_DEP_1) | instskip(NEXT) | instid1(VALU_DEP_1)
	v_fmac_f32_e32 v11, v221, v224
	v_add_f32_e32 v249, v9, v11
	v_dual_mul_f32 v9, v101, v117 :: v_dual_mul_f32 v11, v103, v119
	s_delay_alu instid0(VALU_DEP_1) | instskip(NEXT) | instid1(VALU_DEP_2)
	v_dual_mov_b32 v117, v230 :: v_dual_fma_f32 v9, v100, v116, -v9
	v_dual_fma_f32 v11, v102, v118, -v11 :: v_dual_mov_b32 v116, v231
	s_delay_alu instid0(VALU_DEP_2) | instskip(NEXT) | instid1(VALU_DEP_1)
	v_dual_mov_b32 v118, v235 :: v_dual_add_f32 v9, 0, v9
	v_pk_mul_f32 v[116:117], v[116:117], v[118:119] op_sel_hi:[1,0]
	s_delay_alu instid0(VALU_DEP_2) | instskip(SKIP_1) | instid1(VALU_DEP_3)
	v_add_f32_e32 v9, v9, v11
	v_mul_f32_e32 v11, v105, v121
	v_pk_fma_f32 v[118:119], v[230:231], v[234:235], v[116:117] neg_lo:[0,0,1] neg_hi:[0,0,1]
	v_pk_fma_f32 v[116:117], v[230:231], v[234:235], v[116:117] op_sel_hi:[1,0,1]
	s_delay_alu instid0(VALU_DEP_1) | instskip(NEXT) | instid1(VALU_DEP_1)
	v_dual_fma_f32 v11, v104, v120, -v11 :: v_dual_mov_b32 v119, v117
	v_add_f32_e32 v9, v9, v11
	v_mul_f32_e32 v11, v107, v123
	s_delay_alu instid0(VALU_DEP_1) | instskip(NEXT) | instid1(VALU_DEP_1)
	v_fma_f32 v11, v106, v122, -v11
	v_add_f32_e32 v9, v9, v11
	v_mul_f32_e32 v11, v109, v125
	s_delay_alu instid0(VALU_DEP_1) | instskip(NEXT) | instid1(VALU_DEP_1)
	v_fma_f32 v11, v108, v124, -v11
	;; [unrolled: 4-line block ×3, first 2 shown]
	v_add_f32_e32 v9, v9, v11
	v_mul_f32_e32 v11, v113, v129
	s_delay_alu instid0(VALU_DEP_1)
	v_fma_f32 v11, v112, v128, -v11
	ds_load_b128 v[100:103], v7 offset:736
	ds_load_b128 v[104:107], v7 offset:752
	;; [unrolled: 1-line block ×3, first 2 shown]
	ds_load_b64 v[112:113], v7 offset:784
	v_add_f32_e32 v9, v9, v11
	v_mul_f32_e32 v11, v115, v131
	s_delay_alu instid0(VALU_DEP_1) | instskip(NEXT) | instid1(VALU_DEP_1)
	v_fma_f32 v11, v114, v130, -v11
	v_add_f32_e32 v9, v9, v11
	v_mul_f32_e32 v11, v133, v137
	s_wait_loadcnt_dscnt 0x303
	v_pk_mul_f32 v[116:117], v[100:101], v[236:237] op_sel:[1,1] op_sel_hi:[0,1]
	s_delay_alu instid0(VALU_DEP_2) | instskip(NEXT) | instid1(VALU_DEP_1)
	v_fma_f32 v11, v132, v136, -v11
	v_add_f32_e32 v9, v9, v11
	v_mul_f32_e32 v11, v135, v139
	s_delay_alu instid0(VALU_DEP_1) | instskip(NEXT) | instid1(VALU_DEP_1)
	v_fma_f32 v11, v134, v138, -v11
	v_add_f32_e32 v9, v9, v11
	v_mul_f32_e32 v11, v141, v145
	s_delay_alu instid0(VALU_DEP_1) | instskip(NEXT) | instid1(VALU_DEP_1)
	;; [unrolled: 4-line block ×23, first 2 shown]
	v_dual_fma_f32 v250, v222, v226, -v9 :: v_dual_mul_f32 v9, v229, v233
	v_pk_add_f32 v[114:115], v[248:249], v[250:251]
	s_delay_alu instid0(VALU_DEP_2) | instskip(NEXT) | instid1(VALU_DEP_1)
	v_fma_f32 v252, v228, v232, -v9
	v_pk_add_f32 v[114:115], v[114:115], v[252:253]
	s_delay_alu instid0(VALU_DEP_1) | instskip(SKIP_2) | instid1(VALU_DEP_1)
	v_pk_add_f32 v[114:115], v[114:115], v[118:119]
	v_pk_fma_f32 v[118:119], v[100:101], v[236:237], v[116:117] neg_lo:[0,0,1] neg_hi:[0,0,1]
	v_pk_fma_f32 v[100:101], v[100:101], v[236:237], v[116:117] op_sel_hi:[1,0,1]
	v_dual_mov_b32 v116, v239 :: v_dual_mov_b32 v119, v101
	s_delay_alu instid0(VALU_DEP_1) | instskip(SKIP_1) | instid1(VALU_DEP_1)
	v_pk_add_f32 v[100:101], v[114:115], v[118:119]
	v_dual_mov_b32 v114, v103 :: v_dual_mov_b32 v115, v102
	v_pk_mul_f32 v[114:115], v[114:115], v[116:117] op_sel_hi:[1,0]
	s_delay_alu instid0(VALU_DEP_1) | instskip(SKIP_1) | instid1(VALU_DEP_1)
	v_pk_fma_f32 v[116:117], v[102:103], v[238:239], v[114:115] neg_lo:[0,0,1] neg_hi:[0,0,1]
	v_pk_fma_f32 v[102:103], v[102:103], v[238:239], v[114:115] op_sel_hi:[1,0,1]
	v_mov_b32_e32 v117, v103
	s_wait_loadcnt_dscnt 0x202
	v_pk_mul_f32 v[102:103], v[104:105], v[240:241] op_sel:[1,1] op_sel_hi:[0,1]
	s_delay_alu instid0(VALU_DEP_2) | instskip(NEXT) | instid1(VALU_DEP_2)
	v_pk_add_f32 v[100:101], v[100:101], v[116:117]
	v_pk_fma_f32 v[114:115], v[104:105], v[240:241], v[102:103] neg_lo:[0,0,1] neg_hi:[0,0,1]
	v_pk_fma_f32 v[102:103], v[104:105], v[240:241], v[102:103] op_sel_hi:[1,0,1]
	v_dual_mov_b32 v102, v107 :: v_dual_mov_b32 v104, v243
	s_delay_alu instid0(VALU_DEP_2) | instskip(NEXT) | instid1(VALU_DEP_1)
	v_dual_mov_b32 v115, v103 :: v_dual_mov_b32 v103, v106
	v_pk_add_f32 v[100:101], v[100:101], v[114:115]
	s_delay_alu instid0(VALU_DEP_2) | instskip(NEXT) | instid1(VALU_DEP_1)
	v_pk_mul_f32 v[102:103], v[102:103], v[104:105] op_sel_hi:[1,0]
	v_pk_fma_f32 v[104:105], v[106:107], v[242:243], v[102:103] neg_lo:[0,0,1] neg_hi:[0,0,1]
	v_pk_fma_f32 v[102:103], v[106:107], v[242:243], v[102:103] op_sel_hi:[1,0,1]
	s_delay_alu instid0(VALU_DEP_1) | instskip(SKIP_2) | instid1(VALU_DEP_2)
	v_mov_b32_e32 v105, v103
	s_wait_loadcnt_dscnt 0x101
	v_pk_mul_f32 v[102:103], v[108:109], v[244:245] op_sel:[1,1] op_sel_hi:[0,1]
	v_pk_add_f32 v[100:101], v[100:101], v[104:105]
	s_delay_alu instid0(VALU_DEP_2) | instskip(SKIP_1) | instid1(VALU_DEP_1)
	v_pk_fma_f32 v[104:105], v[108:109], v[244:245], v[102:103] neg_lo:[0,0,1] neg_hi:[0,0,1]
	v_pk_fma_f32 v[102:103], v[108:109], v[244:245], v[102:103] op_sel_hi:[1,0,1]
	v_dual_mov_b32 v102, v111 :: v_dual_mov_b32 v105, v103
	v_mov_b32_e32 v103, v110
	s_delay_alu instid0(VALU_DEP_2) | instskip(SKIP_1) | instid1(VALU_DEP_1)
	v_pk_add_f32 v[100:101], v[100:101], v[104:105]
	v_mov_b32_e32 v104, v247
	v_pk_mul_f32 v[102:103], v[102:103], v[104:105] op_sel_hi:[1,0]
	s_delay_alu instid0(VALU_DEP_1) | instskip(SKIP_1) | instid1(VALU_DEP_1)
	v_pk_fma_f32 v[104:105], v[110:111], v[246:247], v[102:103] neg_lo:[0,0,1] neg_hi:[0,0,1]
	v_pk_fma_f32 v[102:103], v[110:111], v[246:247], v[102:103] op_sel_hi:[1,0,1]
	v_mov_b32_e32 v105, v103
	s_wait_loadcnt_dscnt 0x0
	v_pk_mul_f32 v[102:103], v[112:113], v[254:255] op_sel:[1,1] op_sel_hi:[0,1]
	s_delay_alu instid0(VALU_DEP_2) | instskip(NEXT) | instid1(VALU_DEP_2)
	v_pk_add_f32 v[100:101], v[100:101], v[104:105]
	v_pk_fma_f32 v[104:105], v[112:113], v[254:255], v[102:103] neg_lo:[0,0,1] neg_hi:[0,0,1]
	v_pk_fma_f32 v[102:103], v[112:113], v[254:255], v[102:103] op_sel_hi:[1,0,1]
	s_delay_alu instid0(VALU_DEP_1) | instskip(SKIP_3) | instid1(VALU_DEP_1)
	v_mov_b32_e32 v105, v103
	scratch_load_b64 v[102:103], off, off offset:56
	v_pk_add_f32 v[100:101], v[100:101], v[104:105]
	s_wait_loadcnt 0x0
	v_pk_add_f32 v[100:101], v[102:103], v[100:101] neg_lo:[0,1] neg_hi:[0,1]
	scratch_store_b64 off, v[100:101], off offset:56
	s_wait_xcnt 0x0
	v_cmpx_lt_u32_e32 6, v0
	s_cbranch_execz .LBB48_295
; %bb.294:
	scratch_load_b64 v[100:101], off, off offset:48
	v_mov_b64_e32 v[102:103], 0
	scratch_store_b64 off, v[102:103], off offset:48
	s_wait_loadcnt 0x0
	ds_store_b64 v1, v[100:101]
.LBB48_295:
	s_wait_xcnt 0x0
	s_or_b32 exec_lo, exec_lo, s0
	s_wait_storecnt_dscnt 0x0
	s_barrier_signal -1
	s_barrier_wait -1
	s_clause 0x10
	scratch_load_b128 v[104:107], off, off offset:56
	scratch_load_b128 v[112:115], off, off offset:72
	;; [unrolled: 1-line block ×17, first 2 shown]
	ds_load_2addr_b64 v[100:103], v7 offset0:57 offset1:58
	ds_load_2addr_b64 v[108:111], v7 offset0:59 offset1:60
	;; [unrolled: 1-line block ×17, first 2 shown]
	s_clause 0x3
	scratch_load_b128 v[236:239], off, off offset:328
	scratch_load_b128 v[240:243], off, off offset:344
	;; [unrolled: 1-line block ×4, first 2 shown]
	s_mov_b32 s0, exec_lo
	s_wait_loadcnt_dscnt 0x1410
	v_dual_mul_f32 v9, v100, v105 :: v_dual_mul_f32 v11, v102, v107
	s_wait_loadcnt_dscnt 0x120e
	s_delay_alu instid0(VALU_DEP_1) | instskip(NEXT) | instid1(VALU_DEP_2)
	v_dual_mul_f32 v255, v228, v233 :: v_dual_fmac_f32 v9, v101, v104
	v_fmac_f32_e32 v11, v103, v106
	s_delay_alu instid0(VALU_DEP_2) | instskip(NEXT) | instid1(VALU_DEP_1)
	v_dual_fmac_f32 v255, v229, v232 :: v_dual_add_f32 v9, 0, v9
	v_dual_add_f32 v9, v9, v11 :: v_dual_mul_f32 v11, v108, v113
	s_delay_alu instid0(VALU_DEP_1) | instskip(NEXT) | instid1(VALU_DEP_1)
	v_fmac_f32_e32 v11, v109, v112
	v_add_f32_e32 v9, v9, v11
	v_mul_f32_e32 v11, v110, v115
	s_delay_alu instid0(VALU_DEP_1) | instskip(SKIP_1) | instid1(VALU_DEP_1)
	v_fmac_f32_e32 v11, v111, v114
	s_wait_loadcnt_dscnt 0x110d
	v_dual_add_f32 v9, v9, v11 :: v_dual_mul_f32 v11, v116, v121
	s_delay_alu instid0(VALU_DEP_1) | instskip(NEXT) | instid1(VALU_DEP_1)
	v_fmac_f32_e32 v11, v117, v120
	v_add_f32_e32 v9, v9, v11
	v_mul_f32_e32 v11, v118, v123
	s_delay_alu instid0(VALU_DEP_1) | instskip(SKIP_1) | instid1(VALU_DEP_1)
	v_fmac_f32_e32 v11, v119, v122
	s_wait_loadcnt_dscnt 0x100c
	;; [unrolled: 8-line block ×14, first 2 shown]
	v_dual_add_f32 v9, v9, v11 :: v_dual_mul_f32 v11, v220, v225
	s_delay_alu instid0(VALU_DEP_1) | instskip(NEXT) | instid1(VALU_DEP_1)
	v_fmac_f32_e32 v11, v221, v224
	v_add_f32_e32 v9, v9, v11
	v_mul_f32_e32 v11, v222, v227
	s_delay_alu instid0(VALU_DEP_1) | instskip(NEXT) | instid1(VALU_DEP_1)
	v_fmac_f32_e32 v11, v223, v226
	v_add_f32_e32 v253, v9, v11
	v_dual_mul_f32 v9, v101, v105 :: v_dual_mul_f32 v11, v103, v107
	s_delay_alu instid0(VALU_DEP_1) | instskip(NEXT) | instid1(VALU_DEP_1)
	v_dual_fma_f32 v9, v100, v104, -v9 :: v_dual_fma_f32 v11, v102, v106, -v11
	v_add_f32_e32 v9, 0, v9
	s_delay_alu instid0(VALU_DEP_1) | instskip(SKIP_1) | instid1(VALU_DEP_1)
	v_add_f32_e32 v9, v9, v11
	v_mul_f32_e32 v11, v109, v113
	v_fma_f32 v11, v108, v112, -v11
	s_delay_alu instid0(VALU_DEP_1) | instskip(SKIP_1) | instid1(VALU_DEP_1)
	v_add_f32_e32 v9, v9, v11
	v_mul_f32_e32 v11, v111, v115
	v_fma_f32 v11, v110, v114, -v11
	ds_load_2addr_b64 v[100:103], v7 offset0:91 offset1:92
	ds_load_2addr_b64 v[104:107], v7 offset0:93 offset1:94
	;; [unrolled: 1-line block ×4, first 2 shown]
	v_add_f32_e32 v9, v9, v11
	v_mul_f32_e32 v11, v117, v121
	s_delay_alu instid0(VALU_DEP_1) | instskip(NEXT) | instid1(VALU_DEP_1)
	v_fma_f32 v11, v116, v120, -v11
	v_add_f32_e32 v9, v9, v11
	v_mul_f32_e32 v11, v119, v123
	s_delay_alu instid0(VALU_DEP_1) | instskip(SKIP_2) | instid1(VALU_DEP_2)
	v_fma_f32 v11, v118, v122, -v11
	s_wait_loadcnt_dscnt 0x303
	v_pk_mul_f32 v[118:119], v[100:101], v[236:237] op_sel:[1,1] op_sel_hi:[0,1]
	v_add_f32_e32 v9, v9, v11
	v_mul_f32_e32 v11, v125, v129
	s_delay_alu instid0(VALU_DEP_3) | instskip(SKIP_1) | instid1(VALU_DEP_3)
	v_pk_fma_f32 v[120:121], v[100:101], v[236:237], v[118:119] neg_lo:[0,0,1] neg_hi:[0,0,1]
	v_pk_fma_f32 v[100:101], v[100:101], v[236:237], v[118:119] op_sel_hi:[1,0,1]
	v_dual_mov_b32 v118, v239 :: v_dual_fma_f32 v11, v124, v128, -v11
	s_delay_alu instid0(VALU_DEP_2) | instskip(NEXT) | instid1(VALU_DEP_2)
	v_mov_b32_e32 v121, v101
	v_add_f32_e32 v9, v9, v11
	v_mul_f32_e32 v11, v127, v131
	s_delay_alu instid0(VALU_DEP_1) | instskip(NEXT) | instid1(VALU_DEP_1)
	v_fma_f32 v11, v126, v130, -v11
	v_add_f32_e32 v9, v9, v11
	v_mul_f32_e32 v11, v133, v137
	s_delay_alu instid0(VALU_DEP_1) | instskip(NEXT) | instid1(VALU_DEP_1)
	v_fma_f32 v11, v132, v136, -v11
	;; [unrolled: 4-line block ×25, first 2 shown]
	v_add_f32_e32 v252, v9, v11
	v_mul_f32_e32 v9, v229, v233
	s_delay_alu instid0(VALU_DEP_1) | instskip(SKIP_3) | instid1(VALU_DEP_2)
	v_dual_fma_f32 v254, v228, v232, -v9 :: v_dual_mul_f32 v9, v231, v235
	s_set_vgpr_msb 64                       ;  msbs: dst=1 src0=0 src1=0 src2=0
	v_mul_f32_e32 v1 /*v257*/, v230, v235
	s_set_vgpr_msb 0                        ;  msbs: dst=0 src0=0 src1=0 src2=0
	v_pk_add_f32 v[116:117], v[252:253], v[254:255]
	s_set_vgpr_msb 64                       ;  msbs: dst=1 src0=0 src1=0 src2=0
	v_fma_f32 v0 /*v256*/, v230, v234, -v9
	v_fmac_f32_e32 v1 /*v257*/, v231, v234
	s_set_vgpr_msb 4                        ;  msbs: dst=0 src0=0 src1=1 src2=0
	s_delay_alu instid0(VALU_DEP_1) | instskip(SKIP_1) | instid1(VALU_DEP_1)
	v_pk_add_f32 v[116:117], v[116:117], v[0:1] /*v[256:257]*/
	s_set_vgpr_msb 0                        ;  msbs: dst=0 src0=0 src1=0 src2=0
	v_pk_add_f32 v[100:101], v[116:117], v[120:121]
	v_dual_mov_b32 v116, v103 :: v_dual_mov_b32 v117, v102
	s_delay_alu instid0(VALU_DEP_1) | instskip(NEXT) | instid1(VALU_DEP_1)
	v_pk_mul_f32 v[116:117], v[116:117], v[118:119] op_sel_hi:[1,0]
	v_pk_fma_f32 v[118:119], v[102:103], v[238:239], v[116:117] neg_lo:[0,0,1] neg_hi:[0,0,1]
	v_pk_fma_f32 v[102:103], v[102:103], v[238:239], v[116:117] op_sel_hi:[1,0,1]
	s_delay_alu instid0(VALU_DEP_1) | instskip(SKIP_2) | instid1(VALU_DEP_2)
	v_mov_b32_e32 v119, v103
	s_wait_loadcnt_dscnt 0x202
	v_pk_mul_f32 v[102:103], v[104:105], v[240:241] op_sel:[1,1] op_sel_hi:[0,1]
	v_pk_add_f32 v[100:101], v[100:101], v[118:119]
	s_delay_alu instid0(VALU_DEP_2) | instskip(SKIP_2) | instid1(VALU_DEP_2)
	v_pk_fma_f32 v[116:117], v[104:105], v[240:241], v[102:103] neg_lo:[0,0,1] neg_hi:[0,0,1]
	v_pk_fma_f32 v[102:103], v[104:105], v[240:241], v[102:103] op_sel_hi:[1,0,1]
	v_dual_mov_b32 v102, v107 :: v_dual_mov_b32 v104, v243
	v_dual_mov_b32 v117, v103 :: v_dual_mov_b32 v103, v106
	s_delay_alu instid0(VALU_DEP_1) | instskip(NEXT) | instid1(VALU_DEP_2)
	v_pk_add_f32 v[100:101], v[100:101], v[116:117]
	v_pk_mul_f32 v[102:103], v[102:103], v[104:105] op_sel_hi:[1,0]
	s_delay_alu instid0(VALU_DEP_1) | instskip(SKIP_1) | instid1(VALU_DEP_1)
	v_pk_fma_f32 v[104:105], v[106:107], v[242:243], v[102:103] neg_lo:[0,0,1] neg_hi:[0,0,1]
	v_pk_fma_f32 v[102:103], v[106:107], v[242:243], v[102:103] op_sel_hi:[1,0,1]
	v_mov_b32_e32 v105, v103
	s_wait_loadcnt_dscnt 0x101
	v_pk_mul_f32 v[102:103], v[108:109], v[244:245] op_sel:[1,1] op_sel_hi:[0,1]
	s_delay_alu instid0(VALU_DEP_2) | instskip(NEXT) | instid1(VALU_DEP_2)
	v_pk_add_f32 v[100:101], v[100:101], v[104:105]
	v_pk_fma_f32 v[104:105], v[108:109], v[244:245], v[102:103] neg_lo:[0,0,1] neg_hi:[0,0,1]
	v_pk_fma_f32 v[102:103], v[108:109], v[244:245], v[102:103] op_sel_hi:[1,0,1]
	s_delay_alu instid0(VALU_DEP_1) | instskip(SKIP_1) | instid1(VALU_DEP_2)
	v_dual_mov_b32 v102, v111 :: v_dual_mov_b32 v105, v103
	v_mov_b32_e32 v103, v110
	v_pk_add_f32 v[100:101], v[100:101], v[104:105]
	v_mov_b32_e32 v104, v247
	s_delay_alu instid0(VALU_DEP_1) | instskip(NEXT) | instid1(VALU_DEP_1)
	v_pk_mul_f32 v[102:103], v[102:103], v[104:105] op_sel_hi:[1,0]
	v_pk_fma_f32 v[104:105], v[110:111], v[246:247], v[102:103] neg_lo:[0,0,1] neg_hi:[0,0,1]
	v_pk_fma_f32 v[102:103], v[110:111], v[246:247], v[102:103] op_sel_hi:[1,0,1]
	s_delay_alu instid0(VALU_DEP_1) | instskip(SKIP_2) | instid1(VALU_DEP_2)
	v_mov_b32_e32 v105, v103
	s_wait_loadcnt_dscnt 0x0
	v_pk_mul_f32 v[102:103], v[112:113], v[248:249] op_sel:[1,1] op_sel_hi:[0,1]
	v_pk_add_f32 v[100:101], v[100:101], v[104:105]
	s_delay_alu instid0(VALU_DEP_2) | instskip(SKIP_1) | instid1(VALU_DEP_1)
	v_pk_fma_f32 v[104:105], v[112:113], v[248:249], v[102:103] neg_lo:[0,0,1] neg_hi:[0,0,1]
	v_pk_fma_f32 v[102:103], v[112:113], v[248:249], v[102:103] op_sel_hi:[1,0,1]
	v_dual_mov_b32 v102, v115 :: v_dual_mov_b32 v105, v103
	v_mov_b32_e32 v103, v114
	s_delay_alu instid0(VALU_DEP_2) | instskip(SKIP_1) | instid1(VALU_DEP_1)
	v_pk_add_f32 v[100:101], v[100:101], v[104:105]
	v_mov_b32_e32 v104, v251
	v_pk_mul_f32 v[102:103], v[102:103], v[104:105] op_sel_hi:[1,0]
	s_delay_alu instid0(VALU_DEP_1) | instskip(SKIP_1) | instid1(VALU_DEP_1)
	v_pk_fma_f32 v[104:105], v[114:115], v[250:251], v[102:103] neg_lo:[0,0,1] neg_hi:[0,0,1]
	v_pk_fma_f32 v[102:103], v[114:115], v[250:251], v[102:103] op_sel_hi:[1,0,1]
	v_mov_b32_e32 v105, v103
	scratch_load_b64 v[102:103], off, off offset:48
	v_pk_add_f32 v[100:101], v[100:101], v[104:105]
	s_wait_loadcnt 0x0
	s_delay_alu instid0(VALU_DEP_1)
	v_pk_add_f32 v[100:101], v[102:103], v[100:101] neg_lo:[0,1] neg_hi:[0,1]
	scratch_store_b64 off, v[100:101], off offset:48
	s_wait_xcnt 0x0
	v_cmpx_lt_u32_e32 5, v0
	s_cbranch_execz .LBB48_297
; %bb.296:
	scratch_load_b64 v[100:101], off, off offset:40
	v_mov_b64_e32 v[102:103], 0
	scratch_store_b64 off, v[102:103], off offset:40
	s_wait_loadcnt 0x0
	ds_store_b64 v1, v[100:101]
.LBB48_297:
	s_wait_xcnt 0x0
	s_or_b32 exec_lo, exec_lo, s0
	v_mov_b32_e32 v7, 0
	s_wait_storecnt_dscnt 0x0
	s_barrier_signal -1
	s_barrier_wait -1
	ds_load_b128 v[100:103], v7 offset:448
	ds_load_b128 v[104:107], v7 offset:464
	;; [unrolled: 1-line block ×4, first 2 shown]
	s_clause 0x11
	scratch_load_b128 v[116:119], off, off offset:48
	scratch_load_b128 v[120:123], off, off offset:64
	scratch_load_b128 v[124:127], off, off offset:80
	scratch_load_b128 v[128:131], off, off offset:96
	scratch_load_b128 v[136:139], off, off offset:112
	scratch_load_b128 v[144:147], off, off offset:128
	scratch_load_b128 v[152:155], off, off offset:144
	scratch_load_b128 v[160:163], off, off offset:160
	scratch_load_b128 v[168:171], off, off offset:176
	scratch_load_b128 v[176:179], off, off offset:192
	scratch_load_b128 v[184:187], off, off offset:208
	scratch_load_b128 v[192:195], off, off offset:224
	scratch_load_b128 v[200:203], off, off offset:240
	scratch_load_b128 v[208:211], off, off offset:256
	scratch_load_b128 v[216:219], off, off offset:272
	scratch_load_b128 v[224:227], off, off offset:288
	scratch_load_b128 v[232:235], off, off offset:304
	scratch_load_b128 v[240:243], off, off offset:320
	s_mov_b32 s0, exec_lo
	s_wait_loadcnt_dscnt 0x1103
	v_mul_f32_e32 v9, v100, v117
	ds_load_b128 v[228:231], v7 offset:704
	ds_load_b128 v[236:239], v7 offset:720
	;; [unrolled: 1-line block ×4, first 2 shown]
	v_dual_fmac_f32 v9, v101, v116 :: v_dual_mul_f32 v11, v102, v119
	ds_load_b128 v[148:151], v7 offset:544
	ds_load_b128 v[156:159], v7 offset:560
	;; [unrolled: 1-line block ×4, first 2 shown]
	v_dual_add_f32 v9, 0, v9 :: v_dual_fmac_f32 v11, v103, v118
	ds_load_b128 v[180:183], v7 offset:608
	ds_load_b128 v[188:191], v7 offset:624
	;; [unrolled: 1-line block ×4, first 2 shown]
	s_wait_loadcnt_dscnt 0x100e
	v_dual_add_f32 v9, v9, v11 :: v_dual_mul_f32 v11, v104, v121
	ds_load_b128 v[212:215], v7 offset:672
	ds_load_b128 v[220:223], v7 offset:688
	s_clause 0x4
	scratch_load_b128 v[244:247], off, off offset:336
	scratch_load_b128 v[248:251], off, off offset:352
	;; [unrolled: 1-line block ×3, first 2 shown]
	s_set_vgpr_msb 64                       ;  msbs: dst=1 src0=0 src1=0 src2=0
	scratch_load_b64 v[6:7] /*v[262:263]*/, off, off offset:384
	s_wait_loadcnt_dscnt 0x40c
	v_dual_mul_f32 v3 /*v259*/, v230, v235 :: v_dual_mul_f32 v5 /*v261*/, v236, v241
	s_set_vgpr_msb 0                        ;  msbs: dst=0 src0=0 src1=0 src2=0
	v_fmac_f32_e32 v11, v105, v120
	s_set_vgpr_msb 64                       ;  msbs: dst=1 src0=0 src1=0 src2=0
	s_delay_alu instid0(VALU_DEP_2) | instskip(SKIP_1) | instid1(VALU_DEP_2)
	v_dual_fmac_f32 v3 /*v259*/, v231, v234 :: v_dual_fmac_f32 v5 /*v261*/, v237, v240
	s_set_vgpr_msb 0                        ;  msbs: dst=0 src0=0 src1=0 src2=0
	v_add_f32_e32 v9, v9, v11
	v_mul_f32_e32 v11, v106, v123
	s_delay_alu instid0(VALU_DEP_1) | instskip(NEXT) | instid1(VALU_DEP_1)
	v_fmac_f32_e32 v11, v107, v122
	v_dual_add_f32 v9, v9, v11 :: v_dual_mul_f32 v11, v108, v125
	s_delay_alu instid0(VALU_DEP_1) | instskip(NEXT) | instid1(VALU_DEP_1)
	v_fmac_f32_e32 v11, v109, v124
	v_add_f32_e32 v9, v9, v11
	v_mul_f32_e32 v11, v110, v127
	s_delay_alu instid0(VALU_DEP_1) | instskip(NEXT) | instid1(VALU_DEP_1)
	v_fmac_f32_e32 v11, v111, v126
	v_dual_add_f32 v9, v9, v11 :: v_dual_mul_f32 v11, v112, v129
	s_delay_alu instid0(VALU_DEP_1) | instskip(NEXT) | instid1(VALU_DEP_1)
	v_fmac_f32_e32 v11, v113, v128
	v_add_f32_e32 v9, v9, v11
	v_mul_f32_e32 v11, v114, v131
	s_delay_alu instid0(VALU_DEP_1) | instskip(SKIP_1) | instid1(VALU_DEP_1)
	v_fmac_f32_e32 v11, v115, v130
	s_wait_dscnt 0xb
	v_dual_add_f32 v9, v9, v11 :: v_dual_mul_f32 v11, v132, v137
	s_delay_alu instid0(VALU_DEP_1) | instskip(NEXT) | instid1(VALU_DEP_1)
	v_fmac_f32_e32 v11, v133, v136
	v_add_f32_e32 v9, v9, v11
	v_mul_f32_e32 v11, v134, v139
	s_delay_alu instid0(VALU_DEP_1) | instskip(SKIP_1) | instid1(VALU_DEP_1)
	v_fmac_f32_e32 v11, v135, v138
	s_wait_dscnt 0xa
	;; [unrolled: 8-line block ×12, first 2 shown]
	v_dual_add_f32 v9, v9, v11 :: v_dual_mul_f32 v11, v220, v225
	s_delay_alu instid0(VALU_DEP_1) | instskip(NEXT) | instid1(VALU_DEP_1)
	v_fmac_f32_e32 v11, v221, v224
	v_add_f32_e32 v9, v9, v11
	v_mul_f32_e32 v11, v222, v227
	s_delay_alu instid0(VALU_DEP_1) | instskip(NEXT) | instid1(VALU_DEP_1)
	v_fmac_f32_e32 v11, v223, v226
	v_dual_add_f32 v9, v9, v11 :: v_dual_mul_f32 v11, v228, v233
	s_delay_alu instid0(VALU_DEP_1) | instskip(SKIP_1) | instid1(VALU_DEP_1)
	v_fmac_f32_e32 v11, v229, v232
	s_set_vgpr_msb 64                       ;  msbs: dst=1 src0=0 src1=0 src2=0
	v_add_f32_e32 v1 /*v257*/, v9, v11
	s_set_vgpr_msb 0                        ;  msbs: dst=0 src0=0 src1=0 src2=0
	v_dual_mul_f32 v9, v101, v117 :: v_dual_mul_f32 v11, v103, v119
	s_delay_alu instid0(VALU_DEP_1) | instskip(NEXT) | instid1(VALU_DEP_2)
	v_dual_mov_b32 v117, v238 :: v_dual_fma_f32 v9, v100, v116, -v9
	v_dual_fma_f32 v11, v102, v118, -v11 :: v_dual_mov_b32 v116, v239
	s_delay_alu instid0(VALU_DEP_2) | instskip(NEXT) | instid1(VALU_DEP_1)
	v_dual_mov_b32 v118, v243 :: v_dual_add_f32 v9, 0, v9
	v_pk_mul_f32 v[116:117], v[116:117], v[118:119] op_sel_hi:[1,0]
	s_delay_alu instid0(VALU_DEP_2) | instskip(SKIP_1) | instid1(VALU_DEP_3)
	v_add_f32_e32 v9, v9, v11
	v_mul_f32_e32 v11, v105, v121
	v_pk_fma_f32 v[118:119], v[238:239], v[242:243], v[116:117] neg_lo:[0,0,1] neg_hi:[0,0,1]
	v_pk_fma_f32 v[116:117], v[238:239], v[242:243], v[116:117] op_sel_hi:[1,0,1]
	s_delay_alu instid0(VALU_DEP_1) | instskip(NEXT) | instid1(VALU_DEP_1)
	v_dual_fma_f32 v11, v104, v120, -v11 :: v_dual_mov_b32 v119, v117
	v_add_f32_e32 v9, v9, v11
	v_mul_f32_e32 v11, v107, v123
	s_delay_alu instid0(VALU_DEP_1) | instskip(NEXT) | instid1(VALU_DEP_1)
	v_fma_f32 v11, v106, v122, -v11
	v_add_f32_e32 v9, v9, v11
	v_mul_f32_e32 v11, v109, v125
	s_delay_alu instid0(VALU_DEP_1) | instskip(NEXT) | instid1(VALU_DEP_1)
	v_fma_f32 v11, v108, v124, -v11
	;; [unrolled: 4-line block ×3, first 2 shown]
	v_add_f32_e32 v9, v9, v11
	v_mul_f32_e32 v11, v113, v129
	s_delay_alu instid0(VALU_DEP_1)
	v_fma_f32 v11, v112, v128, -v11
	ds_load_b128 v[100:103], v7 offset:736
	ds_load_b128 v[104:107], v7 offset:752
	;; [unrolled: 1-line block ×3, first 2 shown]
	ds_load_b64 v[112:113], v7 offset:784
	v_add_f32_e32 v9, v9, v11
	v_mul_f32_e32 v11, v115, v131
	s_delay_alu instid0(VALU_DEP_1) | instskip(NEXT) | instid1(VALU_DEP_1)
	v_fma_f32 v11, v114, v130, -v11
	v_add_f32_e32 v9, v9, v11
	v_mul_f32_e32 v11, v133, v137
	s_wait_loadcnt_dscnt 0x303
	v_pk_mul_f32 v[116:117], v[100:101], v[244:245] op_sel:[1,1] op_sel_hi:[0,1]
	s_delay_alu instid0(VALU_DEP_2) | instskip(NEXT) | instid1(VALU_DEP_1)
	v_fma_f32 v11, v132, v136, -v11
	v_add_f32_e32 v9, v9, v11
	v_mul_f32_e32 v11, v135, v139
	s_delay_alu instid0(VALU_DEP_1) | instskip(NEXT) | instid1(VALU_DEP_1)
	v_fma_f32 v11, v134, v138, -v11
	v_add_f32_e32 v9, v9, v11
	v_mul_f32_e32 v11, v141, v145
	s_delay_alu instid0(VALU_DEP_1) | instskip(NEXT) | instid1(VALU_DEP_1)
	;; [unrolled: 4-line block ×23, first 2 shown]
	v_fma_f32 v11, v222, v226, -v11
	v_add_f32_e32 v9, v9, v11
	v_mul_f32_e32 v11, v229, v233
	s_delay_alu instid0(VALU_DEP_1) | instskip(SKIP_1) | instid1(VALU_DEP_1)
	v_fma_f32 v11, v228, v232, -v11
	s_set_vgpr_msb 64                       ;  msbs: dst=1 src0=0 src1=0 src2=0
	v_add_f32_e32 v0 /*v256*/, v9, v11
	s_set_vgpr_msb 0                        ;  msbs: dst=0 src0=0 src1=0 src2=0
	v_mul_f32_e32 v9, v231, v235
	s_set_vgpr_msb 64                       ;  msbs: dst=1 src0=0 src1=0 src2=0
	s_delay_alu instid0(VALU_DEP_1) | instskip(SKIP_3) | instid1(VALU_DEP_2)
	v_fma_f32 v2 /*v258*/, v230, v234, -v9
	s_set_vgpr_msb 0                        ;  msbs: dst=0 src0=0 src1=0 src2=0
	v_mul_f32_e32 v9, v237, v241
	s_set_vgpr_msb 5                        ;  msbs: dst=0 src0=1 src1=1 src2=0
	v_pk_add_f32 v[114:115], v[0:1] /*v[256:257]*/, v[2:3] /*v[258:259]*/
	s_set_vgpr_msb 64                       ;  msbs: dst=1 src0=0 src1=0 src2=0
	s_delay_alu instid0(VALU_DEP_2) | instskip(SKIP_1) | instid1(VALU_DEP_1)
	v_fma_f32 v4 /*v260*/, v236, v240, -v9
	s_set_vgpr_msb 4                        ;  msbs: dst=0 src0=0 src1=1 src2=0
	v_pk_add_f32 v[114:115], v[114:115], v[4:5] /*v[260:261]*/
	s_set_vgpr_msb 0                        ;  msbs: dst=0 src0=0 src1=0 src2=0
	s_delay_alu instid0(VALU_DEP_1) | instskip(SKIP_2) | instid1(VALU_DEP_1)
	v_pk_add_f32 v[114:115], v[114:115], v[118:119]
	v_pk_fma_f32 v[118:119], v[100:101], v[244:245], v[116:117] neg_lo:[0,0,1] neg_hi:[0,0,1]
	v_pk_fma_f32 v[100:101], v[100:101], v[244:245], v[116:117] op_sel_hi:[1,0,1]
	v_dual_mov_b32 v116, v247 :: v_dual_mov_b32 v119, v101
	s_delay_alu instid0(VALU_DEP_1) | instskip(SKIP_1) | instid1(VALU_DEP_1)
	v_pk_add_f32 v[100:101], v[114:115], v[118:119]
	v_dual_mov_b32 v114, v103 :: v_dual_mov_b32 v115, v102
	v_pk_mul_f32 v[114:115], v[114:115], v[116:117] op_sel_hi:[1,0]
	s_delay_alu instid0(VALU_DEP_1) | instskip(SKIP_1) | instid1(VALU_DEP_1)
	v_pk_fma_f32 v[116:117], v[102:103], v[246:247], v[114:115] neg_lo:[0,0,1] neg_hi:[0,0,1]
	v_pk_fma_f32 v[102:103], v[102:103], v[246:247], v[114:115] op_sel_hi:[1,0,1]
	v_mov_b32_e32 v117, v103
	s_wait_loadcnt_dscnt 0x202
	v_pk_mul_f32 v[102:103], v[104:105], v[248:249] op_sel:[1,1] op_sel_hi:[0,1]
	s_delay_alu instid0(VALU_DEP_2) | instskip(NEXT) | instid1(VALU_DEP_2)
	v_pk_add_f32 v[100:101], v[100:101], v[116:117]
	v_pk_fma_f32 v[114:115], v[104:105], v[248:249], v[102:103] neg_lo:[0,0,1] neg_hi:[0,0,1]
	v_pk_fma_f32 v[102:103], v[104:105], v[248:249], v[102:103] op_sel_hi:[1,0,1]
	v_dual_mov_b32 v102, v107 :: v_dual_mov_b32 v104, v251
	s_delay_alu instid0(VALU_DEP_2) | instskip(NEXT) | instid1(VALU_DEP_1)
	v_dual_mov_b32 v115, v103 :: v_dual_mov_b32 v103, v106
	v_pk_add_f32 v[100:101], v[100:101], v[114:115]
	s_delay_alu instid0(VALU_DEP_2) | instskip(NEXT) | instid1(VALU_DEP_1)
	v_pk_mul_f32 v[102:103], v[102:103], v[104:105] op_sel_hi:[1,0]
	v_pk_fma_f32 v[104:105], v[106:107], v[250:251], v[102:103] neg_lo:[0,0,1] neg_hi:[0,0,1]
	v_pk_fma_f32 v[102:103], v[106:107], v[250:251], v[102:103] op_sel_hi:[1,0,1]
	s_delay_alu instid0(VALU_DEP_1) | instskip(SKIP_2) | instid1(VALU_DEP_2)
	v_mov_b32_e32 v105, v103
	s_wait_loadcnt_dscnt 0x101
	v_pk_mul_f32 v[102:103], v[108:109], v[252:253] op_sel:[1,1] op_sel_hi:[0,1]
	v_pk_add_f32 v[100:101], v[100:101], v[104:105]
	s_delay_alu instid0(VALU_DEP_2) | instskip(SKIP_1) | instid1(VALU_DEP_1)
	v_pk_fma_f32 v[104:105], v[108:109], v[252:253], v[102:103] neg_lo:[0,0,1] neg_hi:[0,0,1]
	v_pk_fma_f32 v[102:103], v[108:109], v[252:253], v[102:103] op_sel_hi:[1,0,1]
	v_dual_mov_b32 v102, v111 :: v_dual_mov_b32 v105, v103
	v_mov_b32_e32 v103, v110
	s_delay_alu instid0(VALU_DEP_2) | instskip(SKIP_1) | instid1(VALU_DEP_1)
	v_pk_add_f32 v[100:101], v[100:101], v[104:105]
	v_mov_b32_e32 v104, v255
	v_pk_mul_f32 v[102:103], v[102:103], v[104:105] op_sel_hi:[1,0]
	s_delay_alu instid0(VALU_DEP_1) | instskip(SKIP_1) | instid1(VALU_DEP_1)
	v_pk_fma_f32 v[104:105], v[110:111], v[254:255], v[102:103] neg_lo:[0,0,1] neg_hi:[0,0,1]
	v_pk_fma_f32 v[102:103], v[110:111], v[254:255], v[102:103] op_sel_hi:[1,0,1]
	v_mov_b32_e32 v105, v103
	s_wait_loadcnt_dscnt 0x0
	s_set_vgpr_msb 4                        ;  msbs: dst=0 src0=0 src1=1 src2=0
	v_pk_mul_f32 v[102:103], v[112:113], v[6:7] /*v[262:263]*/ op_sel:[1,1] op_sel_hi:[0,1]
	s_set_vgpr_msb 0                        ;  msbs: dst=0 src0=0 src1=0 src2=0
	v_pk_add_f32 v[100:101], v[100:101], v[104:105]
	s_set_vgpr_msb 4                        ;  msbs: dst=0 src0=0 src1=1 src2=0
	s_delay_alu instid0(VALU_DEP_2) | instskip(SKIP_1) | instid1(VALU_DEP_1)
	v_pk_fma_f32 v[104:105], v[112:113], v[6:7] /*v[262:263]*/, v[102:103] neg_lo:[0,0,1] neg_hi:[0,0,1]
	v_pk_fma_f32 v[102:103], v[112:113], v[6:7] /*v[262:263]*/, v[102:103] op_sel_hi:[1,0,1]
	v_mov_b32_e32 v105, v103
	scratch_load_b64 v[102:103], off, off offset:40
	s_set_vgpr_msb 0                        ;  msbs: dst=0 src0=0 src1=0 src2=0
	v_pk_add_f32 v[100:101], v[100:101], v[104:105]
	s_wait_loadcnt 0x0
	s_delay_alu instid0(VALU_DEP_1)
	v_pk_add_f32 v[100:101], v[102:103], v[100:101] neg_lo:[0,1] neg_hi:[0,1]
	scratch_store_b64 off, v[100:101], off offset:40
	s_wait_xcnt 0x0
	v_cmpx_lt_u32_e32 4, v0
	s_cbranch_execz .LBB48_299
; %bb.298:
	scratch_load_b64 v[100:101], off, off offset:32
	v_mov_b64_e32 v[102:103], 0
	scratch_store_b64 off, v[102:103], off offset:32
	s_wait_loadcnt 0x0
	ds_store_b64 v1, v[100:101]
.LBB48_299:
	s_wait_xcnt 0x0
	s_or_b32 exec_lo, exec_lo, s0
	s_wait_storecnt_dscnt 0x0
	s_barrier_signal -1
	s_barrier_wait -1
	s_clause 0xf
	scratch_load_b128 v[104:107], off, off offset:40
	scratch_load_b128 v[112:115], off, off offset:56
	;; [unrolled: 1-line block ×16, first 2 shown]
	ds_load_2addr_b64 v[100:103], v7 offset0:55 offset1:56
	ds_load_2addr_b64 v[108:111], v7 offset0:57 offset1:58
	s_clause 0x1
	scratch_load_b128 v[232:235], off, off offset:296
	scratch_load_b128 v[240:243], off, off offset:312
	ds_load_2addr_b64 v[116:119], v7 offset0:59 offset1:60
	ds_load_2addr_b64 v[124:127], v7 offset0:61 offset1:62
	;; [unrolled: 1-line block ×16, first 2 shown]
	s_clause 0x4
	scratch_load_b128 v[244:247], off, off offset:328
	scratch_load_b128 v[248:251], off, off offset:344
	;; [unrolled: 1-line block ×3, first 2 shown]
	s_set_vgpr_msb 64                       ;  msbs: dst=1 src0=0 src1=0 src2=0
	scratch_load_b128 v[0:3] /*v[256:259]*/, off, off offset:376
	s_mov_b32 s0, exec_lo
	s_wait_loadcnt_dscnt 0x1511
	s_set_vgpr_msb 0                        ;  msbs: dst=0 src0=0 src1=0 src2=0
	v_dual_mul_f32 v9, v100, v105 :: v_dual_mul_f32 v11, v102, v107
	s_delay_alu instid0(VALU_DEP_1) | instskip(NEXT) | instid1(VALU_DEP_1)
	v_dual_fmac_f32 v9, v101, v104 :: v_dual_fmac_f32 v11, v103, v106
	v_add_f32_e32 v9, 0, v9
	s_wait_loadcnt_dscnt 0x1410
	s_delay_alu instid0(VALU_DEP_1)
	v_dual_add_f32 v9, v9, v11 :: v_dual_mul_f32 v11, v108, v113
	s_wait_loadcnt_dscnt 0x40a
	s_set_vgpr_msb 64                       ;  msbs: dst=1 src0=0 src1=0 src2=0
	v_dual_mul_f32 v7 /*v263*/, v236, v241 :: v_dual_mul_f32 v9 /*v265*/, v238, v243
	s_set_vgpr_msb 0                        ;  msbs: dst=0 src0=0 src1=0 src2=0
	v_fmac_f32_e32 v11, v109, v112
	s_set_vgpr_msb 64                       ;  msbs: dst=1 src0=0 src1=0 src2=0
	s_delay_alu instid0(VALU_DEP_2) | instskip(SKIP_1) | instid1(VALU_DEP_2)
	v_fmac_f32_e32 v7 /*v263*/, v237, v240
	s_set_vgpr_msb 0                        ;  msbs: dst=0 src0=0 src1=0 src2=0
	v_add_f32_e32 v9, v9, v11
	v_mul_f32_e32 v11, v110, v115
	s_delay_alu instid0(VALU_DEP_1) | instskip(NEXT) | instid1(VALU_DEP_1)
	v_fmac_f32_e32 v11, v111, v114
	v_dual_add_f32 v9, v9, v11 :: v_dual_mul_f32 v11, v116, v121
	s_delay_alu instid0(VALU_DEP_1) | instskip(NEXT) | instid1(VALU_DEP_1)
	v_fmac_f32_e32 v11, v117, v120
	v_add_f32_e32 v9, v9, v11
	v_mul_f32_e32 v11, v118, v123
	s_delay_alu instid0(VALU_DEP_1) | instskip(NEXT) | instid1(VALU_DEP_1)
	v_fmac_f32_e32 v11, v119, v122
	v_dual_add_f32 v9, v9, v11 :: v_dual_mul_f32 v11, v124, v129
	s_delay_alu instid0(VALU_DEP_1) | instskip(NEXT) | instid1(VALU_DEP_1)
	v_fmac_f32_e32 v11, v125, v128
	;; [unrolled: 7-line block ×4, first 2 shown]
	v_add_f32_e32 v9, v9, v11
	v_mul_f32_e32 v11, v142, v147
	s_delay_alu instid0(VALU_DEP_1) | instskip(SKIP_1) | instid1(VALU_DEP_1)
	v_fmac_f32_e32 v11, v143, v146
	s_wait_dscnt 0x9
	v_dual_add_f32 v9, v9, v11 :: v_dual_mul_f32 v11, v148, v153
	s_delay_alu instid0(VALU_DEP_1) | instskip(NEXT) | instid1(VALU_DEP_1)
	v_fmac_f32_e32 v11, v149, v152
	v_add_f32_e32 v9, v9, v11
	v_mul_f32_e32 v11, v150, v155
	s_delay_alu instid0(VALU_DEP_1) | instskip(SKIP_1) | instid1(VALU_DEP_1)
	v_fmac_f32_e32 v11, v151, v154
	s_wait_dscnt 0x8
	v_dual_add_f32 v9, v9, v11 :: v_dual_mul_f32 v11, v156, v161
	s_delay_alu instid0(VALU_DEP_1) | instskip(NEXT) | instid1(VALU_DEP_1)
	v_fmac_f32_e32 v11, v157, v160
	;; [unrolled: 8-line block ×10, first 2 shown]
	v_add_f32_e32 v9, v9, v11
	v_mul_f32_e32 v11, v222, v227
	s_delay_alu instid0(VALU_DEP_1) | instskip(NEXT) | instid1(VALU_DEP_1)
	v_fmac_f32_e32 v11, v223, v226
	v_dual_add_f32 v9, v9, v11 :: v_dual_mul_f32 v11, v228, v233
	s_delay_alu instid0(VALU_DEP_1) | instskip(NEXT) | instid1(VALU_DEP_1)
	v_fmac_f32_e32 v11, v229, v232
	v_add_f32_e32 v9, v9, v11
	v_mul_f32_e32 v11, v230, v235
	s_delay_alu instid0(VALU_DEP_1) | instskip(SKIP_1) | instid1(VALU_DEP_1)
	v_fmac_f32_e32 v11, v231, v234
	s_set_vgpr_msb 64                       ;  msbs: dst=1 src0=0 src1=0 src2=0
	v_add_f32_e32 v5 /*v261*/, v9, v11
	s_set_vgpr_msb 0                        ;  msbs: dst=0 src0=0 src1=0 src2=0
	v_dual_mul_f32 v9, v101, v105 :: v_dual_mul_f32 v11, v103, v107
	s_delay_alu instid0(VALU_DEP_1) | instskip(NEXT) | instid1(VALU_DEP_1)
	v_dual_fma_f32 v9, v100, v104, -v9 :: v_dual_fma_f32 v11, v102, v106, -v11
	v_add_f32_e32 v9, 0, v9
	s_delay_alu instid0(VALU_DEP_1) | instskip(SKIP_1) | instid1(VALU_DEP_1)
	v_add_f32_e32 v9, v9, v11
	v_mul_f32_e32 v11, v109, v113
	v_fma_f32 v11, v108, v112, -v11
	s_delay_alu instid0(VALU_DEP_1) | instskip(SKIP_1) | instid1(VALU_DEP_1)
	v_add_f32_e32 v9, v9, v11
	v_mul_f32_e32 v11, v111, v115
	v_fma_f32 v11, v110, v114, -v11
	ds_load_2addr_b64 v[100:103], v7 offset0:91 offset1:92
	ds_load_2addr_b64 v[104:107], v7 offset0:93 offset1:94
	;; [unrolled: 1-line block ×4, first 2 shown]
	v_add_f32_e32 v9, v9, v11
	v_mul_f32_e32 v11, v117, v121
	s_delay_alu instid0(VALU_DEP_1) | instskip(NEXT) | instid1(VALU_DEP_1)
	v_fma_f32 v11, v116, v120, -v11
	v_add_f32_e32 v9, v9, v11
	v_mul_f32_e32 v11, v119, v123
	s_delay_alu instid0(VALU_DEP_1) | instskip(SKIP_2) | instid1(VALU_DEP_2)
	v_fma_f32 v11, v118, v122, -v11
	s_wait_loadcnt_dscnt 0x303
	v_pk_mul_f32 v[118:119], v[100:101], v[244:245] op_sel:[1,1] op_sel_hi:[0,1]
	v_add_f32_e32 v9, v9, v11
	v_mul_f32_e32 v11, v125, v129
	s_delay_alu instid0(VALU_DEP_3) | instskip(SKIP_1) | instid1(VALU_DEP_3)
	v_pk_fma_f32 v[120:121], v[100:101], v[244:245], v[118:119] neg_lo:[0,0,1] neg_hi:[0,0,1]
	v_pk_fma_f32 v[100:101], v[100:101], v[244:245], v[118:119] op_sel_hi:[1,0,1]
	v_dual_mov_b32 v118, v247 :: v_dual_fma_f32 v11, v124, v128, -v11
	s_delay_alu instid0(VALU_DEP_2) | instskip(NEXT) | instid1(VALU_DEP_2)
	v_mov_b32_e32 v121, v101
	v_add_f32_e32 v9, v9, v11
	v_mul_f32_e32 v11, v127, v131
	s_delay_alu instid0(VALU_DEP_1) | instskip(NEXT) | instid1(VALU_DEP_1)
	v_fma_f32 v11, v126, v130, -v11
	v_add_f32_e32 v9, v9, v11
	v_mul_f32_e32 v11, v133, v137
	s_delay_alu instid0(VALU_DEP_1) | instskip(NEXT) | instid1(VALU_DEP_1)
	v_fma_f32 v11, v132, v136, -v11
	;; [unrolled: 4-line block ×26, first 2 shown]
	v_add_f32_e32 v9, v9, v11
	v_mul_f32_e32 v11, v231, v235
	s_delay_alu instid0(VALU_DEP_1) | instskip(SKIP_1) | instid1(VALU_DEP_1)
	v_fma_f32 v11, v230, v234, -v11
	s_set_vgpr_msb 64                       ;  msbs: dst=1 src0=0 src1=0 src2=0
	v_dual_fmac_f32 v9 /*v265*/, v239, v242 :: v_dual_add_f32 v4 /*v260*/, v9, v11
	s_set_vgpr_msb 0                        ;  msbs: dst=0 src0=0 src1=0 src2=0
	v_mul_f32_e32 v9, v237, v241
	s_set_vgpr_msb 64                       ;  msbs: dst=1 src0=0 src1=0 src2=0
	s_delay_alu instid0(VALU_DEP_1) | instskip(SKIP_3) | instid1(VALU_DEP_1)
	v_fma_f32 v6 /*v262*/, v236, v240, -v9
	s_set_vgpr_msb 0                        ;  msbs: dst=0 src0=0 src1=0 src2=0
	v_mul_f32_e32 v9, v239, v243
	s_set_vgpr_msb 64                       ;  msbs: dst=1 src0=0 src1=0 src2=0
	v_fma_f32 v8 /*v264*/, v238, v242, -v9
	s_set_vgpr_msb 5                        ;  msbs: dst=0 src0=1 src1=1 src2=0
	v_pk_add_f32 v[116:117], v[4:5] /*v[260:261]*/, v[6:7] /*v[262:263]*/
	s_set_vgpr_msb 4                        ;  msbs: dst=0 src0=0 src1=1 src2=0
	s_delay_alu instid0(VALU_DEP_1) | instskip(SKIP_1) | instid1(VALU_DEP_1)
	v_pk_add_f32 v[116:117], v[116:117], v[8:9] /*v[264:265]*/
	s_set_vgpr_msb 0                        ;  msbs: dst=0 src0=0 src1=0 src2=0
	v_pk_add_f32 v[100:101], v[116:117], v[120:121]
	v_dual_mov_b32 v116, v103 :: v_dual_mov_b32 v117, v102
	s_delay_alu instid0(VALU_DEP_1) | instskip(NEXT) | instid1(VALU_DEP_1)
	v_pk_mul_f32 v[116:117], v[116:117], v[118:119] op_sel_hi:[1,0]
	v_pk_fma_f32 v[118:119], v[102:103], v[246:247], v[116:117] neg_lo:[0,0,1] neg_hi:[0,0,1]
	v_pk_fma_f32 v[102:103], v[102:103], v[246:247], v[116:117] op_sel_hi:[1,0,1]
	s_delay_alu instid0(VALU_DEP_1) | instskip(SKIP_2) | instid1(VALU_DEP_2)
	v_mov_b32_e32 v119, v103
	s_wait_loadcnt_dscnt 0x202
	v_pk_mul_f32 v[102:103], v[104:105], v[248:249] op_sel:[1,1] op_sel_hi:[0,1]
	v_pk_add_f32 v[100:101], v[100:101], v[118:119]
	s_delay_alu instid0(VALU_DEP_2) | instskip(SKIP_2) | instid1(VALU_DEP_2)
	v_pk_fma_f32 v[116:117], v[104:105], v[248:249], v[102:103] neg_lo:[0,0,1] neg_hi:[0,0,1]
	v_pk_fma_f32 v[102:103], v[104:105], v[248:249], v[102:103] op_sel_hi:[1,0,1]
	v_dual_mov_b32 v102, v107 :: v_dual_mov_b32 v104, v251
	v_dual_mov_b32 v117, v103 :: v_dual_mov_b32 v103, v106
	s_delay_alu instid0(VALU_DEP_1) | instskip(NEXT) | instid1(VALU_DEP_2)
	v_pk_add_f32 v[100:101], v[100:101], v[116:117]
	v_pk_mul_f32 v[102:103], v[102:103], v[104:105] op_sel_hi:[1,0]
	s_delay_alu instid0(VALU_DEP_1) | instskip(SKIP_1) | instid1(VALU_DEP_1)
	v_pk_fma_f32 v[104:105], v[106:107], v[250:251], v[102:103] neg_lo:[0,0,1] neg_hi:[0,0,1]
	v_pk_fma_f32 v[102:103], v[106:107], v[250:251], v[102:103] op_sel_hi:[1,0,1]
	v_mov_b32_e32 v105, v103
	s_wait_loadcnt_dscnt 0x101
	v_pk_mul_f32 v[102:103], v[108:109], v[252:253] op_sel:[1,1] op_sel_hi:[0,1]
	s_delay_alu instid0(VALU_DEP_2) | instskip(NEXT) | instid1(VALU_DEP_2)
	v_pk_add_f32 v[100:101], v[100:101], v[104:105]
	v_pk_fma_f32 v[104:105], v[108:109], v[252:253], v[102:103] neg_lo:[0,0,1] neg_hi:[0,0,1]
	v_pk_fma_f32 v[102:103], v[108:109], v[252:253], v[102:103] op_sel_hi:[1,0,1]
	s_delay_alu instid0(VALU_DEP_1) | instskip(SKIP_1) | instid1(VALU_DEP_2)
	v_dual_mov_b32 v102, v111 :: v_dual_mov_b32 v105, v103
	v_mov_b32_e32 v103, v110
	v_pk_add_f32 v[100:101], v[100:101], v[104:105]
	v_mov_b32_e32 v104, v255
	s_delay_alu instid0(VALU_DEP_1) | instskip(NEXT) | instid1(VALU_DEP_1)
	v_pk_mul_f32 v[102:103], v[102:103], v[104:105] op_sel_hi:[1,0]
	v_pk_fma_f32 v[104:105], v[110:111], v[254:255], v[102:103] neg_lo:[0,0,1] neg_hi:[0,0,1]
	v_pk_fma_f32 v[102:103], v[110:111], v[254:255], v[102:103] op_sel_hi:[1,0,1]
	s_delay_alu instid0(VALU_DEP_1)
	v_mov_b32_e32 v105, v103
	s_wait_loadcnt_dscnt 0x0
	s_set_vgpr_msb 4                        ;  msbs: dst=0 src0=0 src1=1 src2=0
	v_pk_mul_f32 v[102:103], v[112:113], v[0:1] /*v[256:257]*/ op_sel:[1,1] op_sel_hi:[0,1]
	s_set_vgpr_msb 0                        ;  msbs: dst=0 src0=0 src1=0 src2=0
	v_pk_add_f32 v[100:101], v[100:101], v[104:105]
	s_set_vgpr_msb 4                        ;  msbs: dst=0 src0=0 src1=1 src2=0
	s_delay_alu instid0(VALU_DEP_2) | instskip(SKIP_1) | instid1(VALU_DEP_1)
	v_pk_fma_f32 v[104:105], v[112:113], v[0:1] /*v[256:257]*/, v[102:103] neg_lo:[0,0,1] neg_hi:[0,0,1]
	v_pk_fma_f32 v[102:103], v[112:113], v[0:1] /*v[256:257]*/, v[102:103] op_sel_hi:[1,0,1]
	v_dual_mov_b32 v102, v115 :: v_dual_mov_b32 v105, v103
	v_mov_b32_e32 v103, v114
	s_set_vgpr_msb 0                        ;  msbs: dst=0 src0=0 src1=0 src2=0
	s_delay_alu instid0(VALU_DEP_2) | instskip(SKIP_3) | instid1(VALU_DEP_1)
	v_pk_add_f32 v[100:101], v[100:101], v[104:105]
	s_set_vgpr_msb 1                        ;  msbs: dst=0 src0=1 src1=0 src2=0
	v_mov_b32_e32 v104, v3 /*v259*/
	s_set_vgpr_msb 0                        ;  msbs: dst=0 src0=0 src1=0 src2=0
	v_pk_mul_f32 v[102:103], v[102:103], v[104:105] op_sel_hi:[1,0]
	s_set_vgpr_msb 4                        ;  msbs: dst=0 src0=0 src1=1 src2=0
	s_delay_alu instid0(VALU_DEP_1) | instskip(SKIP_1) | instid1(VALU_DEP_1)
	v_pk_fma_f32 v[104:105], v[114:115], v[2:3] /*v[258:259]*/, v[102:103] neg_lo:[0,0,1] neg_hi:[0,0,1]
	v_pk_fma_f32 v[102:103], v[114:115], v[2:3] /*v[258:259]*/, v[102:103] op_sel_hi:[1,0,1]
	v_mov_b32_e32 v105, v103
	scratch_load_b64 v[102:103], off, off offset:32
	s_set_vgpr_msb 0                        ;  msbs: dst=0 src0=0 src1=0 src2=0
	v_pk_add_f32 v[100:101], v[100:101], v[104:105]
	s_wait_loadcnt 0x0
	s_delay_alu instid0(VALU_DEP_1)
	v_pk_add_f32 v[100:101], v[102:103], v[100:101] neg_lo:[0,1] neg_hi:[0,1]
	scratch_store_b64 off, v[100:101], off offset:32
	s_wait_xcnt 0x0
	v_cmpx_lt_u32_e32 3, v0
	s_cbranch_execz .LBB48_301
; %bb.300:
	scratch_load_b64 v[100:101], off, off offset:24
	v_mov_b64_e32 v[102:103], 0
	scratch_store_b64 off, v[102:103], off offset:24
	s_wait_loadcnt 0x0
	ds_store_b64 v1, v[100:101]
.LBB48_301:
	s_wait_xcnt 0x0
	s_or_b32 exec_lo, exec_lo, s0
	v_mov_b32_e32 v7, 0
	s_wait_storecnt_dscnt 0x0
	s_barrier_signal -1
	s_barrier_wait -1
	ds_load_b128 v[100:103], v7 offset:432
	ds_load_b128 v[104:107], v7 offset:448
	;; [unrolled: 1-line block ×4, first 2 shown]
	s_clause 0x12
	scratch_load_b128 v[116:119], off, off offset:32
	scratch_load_b128 v[120:123], off, off offset:48
	;; [unrolled: 1-line block ×19, first 2 shown]
	s_mov_b32 s0, exec_lo
	s_wait_loadcnt_dscnt 0x1203
	v_mul_f32_e32 v9, v100, v117
	ds_load_b128 v[228:231], v7 offset:688
	ds_load_b128 v[236:239], v7 offset:704
	;; [unrolled: 1-line block ×4, first 2 shown]
	v_dual_fmac_f32 v9, v101, v116 :: v_dual_mul_f32 v11, v102, v119
	ds_load_b128 v[244:247], v7 offset:720
	ds_load_b128 v[148:151], v7 offset:528
	;; [unrolled: 1-line block ×3, first 2 shown]
	v_dual_add_f32 v9, 0, v9 :: v_dual_fmac_f32 v11, v103, v118
	ds_load_b128 v[164:167], v7 offset:560
	ds_load_b128 v[172:175], v7 offset:576
	;; [unrolled: 1-line block ×4, first 2 shown]
	s_wait_loadcnt_dscnt 0x110d
	v_dual_add_f32 v9, v9, v11 :: v_dual_mul_f32 v11, v104, v121
	ds_load_b128 v[196:199], v7 offset:624
	ds_load_b128 v[204:207], v7 offset:640
	;; [unrolled: 1-line block ×4, first 2 shown]
	v_fmac_f32_e32 v11, v105, v120
	s_clause 0x4
	scratch_load_b128 v[252:255], off, off offset:336
	s_set_vgpr_msb 64                       ;  msbs: dst=1 src0=0 src1=0 src2=0
	scratch_load_b128 v[0:3] /*v[256:259]*/, off, off offset:352
	scratch_load_b128 v[4:7] /*v[260:263]*/, off, off offset:368
	scratch_load_b64 v[14:15] /*v[270:271]*/, off, off offset:384
	s_wait_loadcnt_dscnt 0x40a
	v_dual_mul_f32 v11 /*v267*/, v238, v243 :: v_dual_mul_f32 v13 /*v269*/, v244, v249
	s_set_vgpr_msb 0                        ;  msbs: dst=0 src0=0 src1=0 src2=0
	v_add_f32_e32 v9, v9, v11
	v_mul_f32_e32 v11, v106, v123
	s_set_vgpr_msb 64                       ;  msbs: dst=1 src0=0 src1=0 src2=0
	v_dual_fmac_f32 v11 /*v267*/, v239, v242 :: v_dual_fmac_f32 v13 /*v269*/, v245, v248
	s_set_vgpr_msb 0                        ;  msbs: dst=0 src0=0 src1=0 src2=0
	s_delay_alu instid0(VALU_DEP_2) | instskip(NEXT) | instid1(VALU_DEP_1)
	v_fmac_f32_e32 v11, v107, v122
	v_dual_add_f32 v9, v9, v11 :: v_dual_mul_f32 v11, v108, v125
	s_delay_alu instid0(VALU_DEP_1) | instskip(NEXT) | instid1(VALU_DEP_1)
	v_fmac_f32_e32 v11, v109, v124
	v_add_f32_e32 v9, v9, v11
	v_mul_f32_e32 v11, v110, v127
	s_delay_alu instid0(VALU_DEP_1) | instskip(NEXT) | instid1(VALU_DEP_1)
	v_fmac_f32_e32 v11, v111, v126
	v_dual_add_f32 v9, v9, v11 :: v_dual_mul_f32 v11, v112, v129
	s_delay_alu instid0(VALU_DEP_1) | instskip(NEXT) | instid1(VALU_DEP_1)
	v_fmac_f32_e32 v11, v113, v128
	v_add_f32_e32 v9, v9, v11
	v_mul_f32_e32 v11, v114, v131
	s_delay_alu instid0(VALU_DEP_1) | instskip(NEXT) | instid1(VALU_DEP_1)
	;; [unrolled: 7-line block ×3, first 2 shown]
	v_fmac_f32_e32 v11, v135, v138
	v_dual_add_f32 v9, v9, v11 :: v_dual_mul_f32 v11, v140, v145
	s_delay_alu instid0(VALU_DEP_1) | instskip(NEXT) | instid1(VALU_DEP_1)
	v_fmac_f32_e32 v11, v141, v144
	v_add_f32_e32 v9, v9, v11
	v_mul_f32_e32 v11, v142, v147
	s_delay_alu instid0(VALU_DEP_1) | instskip(SKIP_1) | instid1(VALU_DEP_1)
	v_fmac_f32_e32 v11, v143, v146
	s_wait_dscnt 0x9
	v_dual_add_f32 v9, v9, v11 :: v_dual_mul_f32 v11, v148, v153
	s_delay_alu instid0(VALU_DEP_1) | instskip(NEXT) | instid1(VALU_DEP_1)
	v_fmac_f32_e32 v11, v149, v152
	v_add_f32_e32 v9, v9, v11
	v_mul_f32_e32 v11, v150, v155
	s_delay_alu instid0(VALU_DEP_1) | instskip(SKIP_1) | instid1(VALU_DEP_1)
	v_fmac_f32_e32 v11, v151, v154
	s_wait_dscnt 0x8
	;; [unrolled: 8-line block ×10, first 2 shown]
	v_dual_add_f32 v9, v9, v11 :: v_dual_mul_f32 v11, v220, v225
	s_delay_alu instid0(VALU_DEP_1) | instskip(NEXT) | instid1(VALU_DEP_1)
	v_fmac_f32_e32 v11, v221, v224
	v_add_f32_e32 v9, v9, v11
	v_mul_f32_e32 v11, v222, v227
	s_delay_alu instid0(VALU_DEP_1) | instskip(NEXT) | instid1(VALU_DEP_1)
	v_fmac_f32_e32 v11, v223, v226
	v_dual_add_f32 v9, v9, v11 :: v_dual_mul_f32 v11, v228, v233
	s_delay_alu instid0(VALU_DEP_1) | instskip(NEXT) | instid1(VALU_DEP_1)
	v_fmac_f32_e32 v11, v229, v232
	v_add_f32_e32 v9, v9, v11
	v_mul_f32_e32 v11, v230, v235
	s_delay_alu instid0(VALU_DEP_1) | instskip(NEXT) | instid1(VALU_DEP_1)
	v_fmac_f32_e32 v11, v231, v234
	v_dual_add_f32 v9, v9, v11 :: v_dual_mul_f32 v11, v236, v241
	s_delay_alu instid0(VALU_DEP_1) | instskip(SKIP_1) | instid1(VALU_DEP_1)
	v_fmac_f32_e32 v11, v237, v240
	s_set_vgpr_msb 64                       ;  msbs: dst=1 src0=0 src1=0 src2=0
	v_add_f32_e32 v9 /*v265*/, v9, v11
	s_set_vgpr_msb 0                        ;  msbs: dst=0 src0=0 src1=0 src2=0
	v_dual_mul_f32 v9, v101, v117 :: v_dual_mul_f32 v11, v103, v119
	s_delay_alu instid0(VALU_DEP_1) | instskip(NEXT) | instid1(VALU_DEP_2)
	v_dual_mov_b32 v117, v246 :: v_dual_fma_f32 v9, v100, v116, -v9
	v_dual_fma_f32 v11, v102, v118, -v11 :: v_dual_mov_b32 v116, v247
	s_delay_alu instid0(VALU_DEP_2) | instskip(NEXT) | instid1(VALU_DEP_1)
	v_dual_mov_b32 v118, v251 :: v_dual_add_f32 v9, 0, v9
	v_pk_mul_f32 v[116:117], v[116:117], v[118:119] op_sel_hi:[1,0]
	s_delay_alu instid0(VALU_DEP_2) | instskip(SKIP_1) | instid1(VALU_DEP_3)
	v_add_f32_e32 v9, v9, v11
	v_mul_f32_e32 v11, v105, v121
	v_pk_fma_f32 v[118:119], v[246:247], v[250:251], v[116:117] neg_lo:[0,0,1] neg_hi:[0,0,1]
	v_pk_fma_f32 v[116:117], v[246:247], v[250:251], v[116:117] op_sel_hi:[1,0,1]
	s_delay_alu instid0(VALU_DEP_1) | instskip(NEXT) | instid1(VALU_DEP_1)
	v_dual_fma_f32 v11, v104, v120, -v11 :: v_dual_mov_b32 v119, v117
	v_add_f32_e32 v9, v9, v11
	v_mul_f32_e32 v11, v107, v123
	s_delay_alu instid0(VALU_DEP_1) | instskip(NEXT) | instid1(VALU_DEP_1)
	v_fma_f32 v11, v106, v122, -v11
	v_add_f32_e32 v9, v9, v11
	v_mul_f32_e32 v11, v109, v125
	s_delay_alu instid0(VALU_DEP_1) | instskip(NEXT) | instid1(VALU_DEP_1)
	v_fma_f32 v11, v108, v124, -v11
	;; [unrolled: 4-line block ×3, first 2 shown]
	v_add_f32_e32 v9, v9, v11
	v_mul_f32_e32 v11, v113, v129
	s_delay_alu instid0(VALU_DEP_1)
	v_fma_f32 v11, v112, v128, -v11
	ds_load_b128 v[100:103], v7 offset:736
	ds_load_b128 v[104:107], v7 offset:752
	;; [unrolled: 1-line block ×3, first 2 shown]
	ds_load_b64 v[112:113], v7 offset:784
	v_add_f32_e32 v9, v9, v11
	v_mul_f32_e32 v11, v115, v131
	s_delay_alu instid0(VALU_DEP_1) | instskip(NEXT) | instid1(VALU_DEP_1)
	v_fma_f32 v11, v114, v130, -v11
	v_add_f32_e32 v9, v9, v11
	v_mul_f32_e32 v11, v133, v137
	s_wait_loadcnt_dscnt 0x303
	v_pk_mul_f32 v[116:117], v[100:101], v[252:253] op_sel:[1,1] op_sel_hi:[0,1]
	s_delay_alu instid0(VALU_DEP_2) | instskip(NEXT) | instid1(VALU_DEP_1)
	v_fma_f32 v11, v132, v136, -v11
	v_add_f32_e32 v9, v9, v11
	v_mul_f32_e32 v11, v135, v139
	s_delay_alu instid0(VALU_DEP_1) | instskip(NEXT) | instid1(VALU_DEP_1)
	v_fma_f32 v11, v134, v138, -v11
	v_add_f32_e32 v9, v9, v11
	v_mul_f32_e32 v11, v141, v145
	s_delay_alu instid0(VALU_DEP_1) | instskip(NEXT) | instid1(VALU_DEP_1)
	;; [unrolled: 4-line block ×25, first 2 shown]
	v_fma_f32 v11, v230, v234, -v11
	v_add_f32_e32 v9, v9, v11
	v_mul_f32_e32 v11, v237, v241
	s_delay_alu instid0(VALU_DEP_1) | instskip(SKIP_1) | instid1(VALU_DEP_1)
	v_fma_f32 v11, v236, v240, -v11
	s_set_vgpr_msb 64                       ;  msbs: dst=1 src0=0 src1=0 src2=0
	v_add_f32_e32 v8 /*v264*/, v9, v11
	s_set_vgpr_msb 0                        ;  msbs: dst=0 src0=0 src1=0 src2=0
	v_mul_f32_e32 v9, v239, v243
	s_set_vgpr_msb 64                       ;  msbs: dst=1 src0=0 src1=0 src2=0
	s_delay_alu instid0(VALU_DEP_1) | instskip(SKIP_3) | instid1(VALU_DEP_2)
	v_fma_f32 v10 /*v266*/, v238, v242, -v9
	s_set_vgpr_msb 0                        ;  msbs: dst=0 src0=0 src1=0 src2=0
	v_mul_f32_e32 v9, v245, v249
	s_set_vgpr_msb 5                        ;  msbs: dst=0 src0=1 src1=1 src2=0
	v_pk_add_f32 v[114:115], v[8:9] /*v[264:265]*/, v[10:11] /*v[266:267]*/
	s_set_vgpr_msb 64                       ;  msbs: dst=1 src0=0 src1=0 src2=0
	s_delay_alu instid0(VALU_DEP_2) | instskip(SKIP_1) | instid1(VALU_DEP_1)
	v_fma_f32 v12 /*v268*/, v244, v248, -v9
	s_set_vgpr_msb 4                        ;  msbs: dst=0 src0=0 src1=1 src2=0
	v_pk_add_f32 v[114:115], v[114:115], v[12:13] /*v[268:269]*/
	s_set_vgpr_msb 0                        ;  msbs: dst=0 src0=0 src1=0 src2=0
	s_delay_alu instid0(VALU_DEP_1) | instskip(SKIP_2) | instid1(VALU_DEP_1)
	v_pk_add_f32 v[114:115], v[114:115], v[118:119]
	v_pk_fma_f32 v[118:119], v[100:101], v[252:253], v[116:117] neg_lo:[0,0,1] neg_hi:[0,0,1]
	v_pk_fma_f32 v[100:101], v[100:101], v[252:253], v[116:117] op_sel_hi:[1,0,1]
	v_dual_mov_b32 v116, v255 :: v_dual_mov_b32 v119, v101
	s_delay_alu instid0(VALU_DEP_1) | instskip(SKIP_1) | instid1(VALU_DEP_1)
	v_pk_add_f32 v[100:101], v[114:115], v[118:119]
	v_dual_mov_b32 v114, v103 :: v_dual_mov_b32 v115, v102
	v_pk_mul_f32 v[114:115], v[114:115], v[116:117] op_sel_hi:[1,0]
	s_delay_alu instid0(VALU_DEP_1) | instskip(SKIP_1) | instid1(VALU_DEP_1)
	v_pk_fma_f32 v[116:117], v[102:103], v[254:255], v[114:115] neg_lo:[0,0,1] neg_hi:[0,0,1]
	v_pk_fma_f32 v[102:103], v[102:103], v[254:255], v[114:115] op_sel_hi:[1,0,1]
	v_mov_b32_e32 v117, v103
	s_wait_loadcnt_dscnt 0x202
	s_set_vgpr_msb 4                        ;  msbs: dst=0 src0=0 src1=1 src2=0
	v_pk_mul_f32 v[102:103], v[104:105], v[0:1] /*v[256:257]*/ op_sel:[1,1] op_sel_hi:[0,1]
	s_set_vgpr_msb 0                        ;  msbs: dst=0 src0=0 src1=0 src2=0
	v_pk_add_f32 v[100:101], v[100:101], v[116:117]
	s_set_vgpr_msb 4                        ;  msbs: dst=0 src0=0 src1=1 src2=0
	s_delay_alu instid0(VALU_DEP_2)
	v_pk_fma_f32 v[114:115], v[104:105], v[0:1] /*v[256:257]*/, v[102:103] neg_lo:[0,0,1] neg_hi:[0,0,1]
	v_pk_fma_f32 v[102:103], v[104:105], v[0:1] /*v[256:257]*/, v[102:103] op_sel_hi:[1,0,1]
	v_mov_b32_e32 v102, v107
	s_set_vgpr_msb 1                        ;  msbs: dst=0 src0=1 src1=0 src2=0
	v_mov_b32_e32 v104, v3 /*v259*/
	s_set_vgpr_msb 0                        ;  msbs: dst=0 src0=0 src1=0 src2=0
	v_dual_mov_b32 v115, v103 :: v_dual_mov_b32 v103, v106
	s_delay_alu instid0(VALU_DEP_1) | instskip(NEXT) | instid1(VALU_DEP_2)
	v_pk_add_f32 v[100:101], v[100:101], v[114:115]
	v_pk_mul_f32 v[102:103], v[102:103], v[104:105] op_sel_hi:[1,0]
	s_set_vgpr_msb 4                        ;  msbs: dst=0 src0=0 src1=1 src2=0
	s_delay_alu instid0(VALU_DEP_1) | instskip(SKIP_1) | instid1(VALU_DEP_1)
	v_pk_fma_f32 v[104:105], v[106:107], v[2:3] /*v[258:259]*/, v[102:103] neg_lo:[0,0,1] neg_hi:[0,0,1]
	v_pk_fma_f32 v[102:103], v[106:107], v[2:3] /*v[258:259]*/, v[102:103] op_sel_hi:[1,0,1]
	v_mov_b32_e32 v105, v103
	s_wait_loadcnt_dscnt 0x101
	v_pk_mul_f32 v[102:103], v[108:109], v[4:5] /*v[260:261]*/ op_sel:[1,1] op_sel_hi:[0,1]
	s_set_vgpr_msb 0                        ;  msbs: dst=0 src0=0 src1=0 src2=0
	s_delay_alu instid0(VALU_DEP_2) | instskip(SKIP_1) | instid1(VALU_DEP_2)
	v_pk_add_f32 v[100:101], v[100:101], v[104:105]
	s_set_vgpr_msb 4                        ;  msbs: dst=0 src0=0 src1=1 src2=0
	v_pk_fma_f32 v[104:105], v[108:109], v[4:5] /*v[260:261]*/, v[102:103] neg_lo:[0,0,1] neg_hi:[0,0,1]
	v_pk_fma_f32 v[102:103], v[108:109], v[4:5] /*v[260:261]*/, v[102:103] op_sel_hi:[1,0,1]
	s_delay_alu instid0(VALU_DEP_1) | instskip(SKIP_2) | instid1(VALU_DEP_2)
	v_dual_mov_b32 v102, v111 :: v_dual_mov_b32 v105, v103
	v_mov_b32_e32 v103, v110
	s_set_vgpr_msb 0                        ;  msbs: dst=0 src0=0 src1=0 src2=0
	v_pk_add_f32 v[100:101], v[100:101], v[104:105]
	s_set_vgpr_msb 1                        ;  msbs: dst=0 src0=1 src1=0 src2=0
	v_mov_b32_e32 v104, v7 /*v263*/
	s_set_vgpr_msb 0                        ;  msbs: dst=0 src0=0 src1=0 src2=0
	s_delay_alu instid0(VALU_DEP_1) | instskip(SKIP_1) | instid1(VALU_DEP_1)
	v_pk_mul_f32 v[102:103], v[102:103], v[104:105] op_sel_hi:[1,0]
	s_set_vgpr_msb 4                        ;  msbs: dst=0 src0=0 src1=1 src2=0
	v_pk_fma_f32 v[104:105], v[110:111], v[6:7] /*v[262:263]*/, v[102:103] neg_lo:[0,0,1] neg_hi:[0,0,1]
	v_pk_fma_f32 v[102:103], v[110:111], v[6:7] /*v[262:263]*/, v[102:103] op_sel_hi:[1,0,1]
	s_delay_alu instid0(VALU_DEP_1) | instskip(SKIP_3) | instid1(VALU_DEP_2)
	v_mov_b32_e32 v105, v103
	s_wait_loadcnt_dscnt 0x0
	v_pk_mul_f32 v[102:103], v[112:113], v[14:15] /*v[270:271]*/ op_sel:[1,1] op_sel_hi:[0,1]
	s_set_vgpr_msb 0                        ;  msbs: dst=0 src0=0 src1=0 src2=0
	v_pk_add_f32 v[100:101], v[100:101], v[104:105]
	s_set_vgpr_msb 4                        ;  msbs: dst=0 src0=0 src1=1 src2=0
	s_delay_alu instid0(VALU_DEP_2) | instskip(SKIP_1) | instid1(VALU_DEP_1)
	v_pk_fma_f32 v[104:105], v[112:113], v[14:15] /*v[270:271]*/, v[102:103] neg_lo:[0,0,1] neg_hi:[0,0,1]
	v_pk_fma_f32 v[102:103], v[112:113], v[14:15] /*v[270:271]*/, v[102:103] op_sel_hi:[1,0,1]
	v_mov_b32_e32 v105, v103
	scratch_load_b64 v[102:103], off, off offset:24
	s_set_vgpr_msb 0                        ;  msbs: dst=0 src0=0 src1=0 src2=0
	v_pk_add_f32 v[100:101], v[100:101], v[104:105]
	s_wait_loadcnt 0x0
	s_delay_alu instid0(VALU_DEP_1)
	v_pk_add_f32 v[100:101], v[102:103], v[100:101] neg_lo:[0,1] neg_hi:[0,1]
	scratch_store_b64 off, v[100:101], off offset:24
	s_wait_xcnt 0x0
	v_cmpx_lt_u32_e32 2, v0
	s_cbranch_execz .LBB48_303
; %bb.302:
	scratch_load_b64 v[100:101], off, off offset:16
	v_mov_b64_e32 v[102:103], 0
	scratch_store_b64 off, v[102:103], off offset:16
	s_wait_loadcnt 0x0
	ds_store_b64 v1, v[100:101]
.LBB48_303:
	s_wait_xcnt 0x0
	s_or_b32 exec_lo, exec_lo, s0
	s_wait_storecnt_dscnt 0x0
	s_barrier_signal -1
	s_barrier_wait -1
	s_clause 0xf
	scratch_load_b128 v[104:107], off, off offset:24
	scratch_load_b128 v[112:115], off, off offset:40
	;; [unrolled: 1-line block ×16, first 2 shown]
	ds_load_2addr_b64 v[100:103], v7 offset0:53 offset1:54
	ds_load_2addr_b64 v[108:111], v7 offset0:55 offset1:56
	s_clause 0x1
	scratch_load_b128 v[232:235], off, off offset:280
	scratch_load_b128 v[240:243], off, off offset:296
	ds_load_2addr_b64 v[116:119], v7 offset0:57 offset1:58
	ds_load_2addr_b64 v[124:127], v7 offset0:59 offset1:60
	;; [unrolled: 1-line block ×5, first 2 shown]
	scratch_load_b128 v[248:251], off, off offset:312
	ds_load_2addr_b64 v[148:151], v7 offset0:65 offset1:66
	ds_load_2addr_b64 v[156:159], v7 offset0:67 offset1:68
	ds_load_2addr_b64 v[164:167], v7 offset0:69 offset1:70
	ds_load_2addr_b64 v[172:175], v7 offset0:71 offset1:72
	ds_load_2addr_b64 v[180:183], v7 offset0:73 offset1:74
	ds_load_2addr_b64 v[188:191], v7 offset0:75 offset1:76
	ds_load_2addr_b64 v[196:199], v7 offset0:77 offset1:78
	ds_load_2addr_b64 v[204:207], v7 offset0:79 offset1:80
	ds_load_2addr_b64 v[212:215], v7 offset0:81 offset1:82
	ds_load_2addr_b64 v[220:223], v7 offset0:83 offset1:84
	ds_load_2addr_b64 v[228:231], v7 offset0:85 offset1:86
	ds_load_2addr_b64 v[236:239], v7 offset0:87 offset1:88
	s_clause 0x4
	scratch_load_b128 v[252:255], off, off offset:328
	s_set_vgpr_msb 64                       ;  msbs: dst=1 src0=0 src1=0 src2=0
	scratch_load_b128 v[0:3] /*v[256:259]*/, off, off offset:344
	scratch_load_b128 v[4:7] /*v[260:263]*/, off, off offset:360
	;; [unrolled: 1-line block ×3, first 2 shown]
	s_mov_b32 s0, exec_lo
	s_wait_loadcnt_dscnt 0x1612
	s_set_vgpr_msb 0                        ;  msbs: dst=0 src0=0 src1=0 src2=0
	v_dual_mul_f32 v9, v100, v105 :: v_dual_mul_f32 v11, v102, v107
	s_delay_alu instid0(VALU_DEP_1) | instskip(NEXT) | instid1(VALU_DEP_1)
	v_dual_fmac_f32 v9, v101, v104 :: v_dual_fmac_f32 v11, v103, v106
	v_add_f32_e32 v9, 0, v9
	s_wait_loadcnt_dscnt 0x1511
	s_delay_alu instid0(VALU_DEP_1) | instskip(NEXT) | instid1(VALU_DEP_1)
	v_dual_add_f32 v9, v9, v11 :: v_dual_mul_f32 v11, v108, v113
	v_fmac_f32_e32 v11, v109, v112
	s_wait_loadcnt_dscnt 0x40c
	s_set_vgpr_msb 64                       ;  msbs: dst=1 src0=0 src1=0 src2=0
	v_mul_f32_e32 v15 /*v271*/, v244, v249
	s_set_vgpr_msb 0                        ;  msbs: dst=0 src0=0 src1=0 src2=0
	v_add_f32_e32 v9, v9, v11
	v_mul_f32_e32 v11, v110, v115
	s_set_vgpr_msb 64                       ;  msbs: dst=1 src0=0 src1=0 src2=0
	v_dual_mul_f32 v17 /*v273*/, v246, v251 :: v_dual_fmac_f32 v15 /*v271*/, v245, v248
	s_set_vgpr_msb 0                        ;  msbs: dst=0 src0=0 src1=0 src2=0
	s_delay_alu instid0(VALU_DEP_2) | instskip(NEXT) | instid1(VALU_DEP_1)
	v_fmac_f32_e32 v11, v111, v114
	v_dual_add_f32 v9, v9, v11 :: v_dual_mul_f32 v11, v116, v121
	s_delay_alu instid0(VALU_DEP_1) | instskip(NEXT) | instid1(VALU_DEP_1)
	v_fmac_f32_e32 v11, v117, v120
	v_add_f32_e32 v9, v9, v11
	v_mul_f32_e32 v11, v118, v123
	s_delay_alu instid0(VALU_DEP_1) | instskip(NEXT) | instid1(VALU_DEP_1)
	v_fmac_f32_e32 v11, v119, v122
	v_dual_add_f32 v9, v9, v11 :: v_dual_mul_f32 v11, v124, v129
	s_delay_alu instid0(VALU_DEP_1) | instskip(NEXT) | instid1(VALU_DEP_1)
	v_fmac_f32_e32 v11, v125, v128
	v_add_f32_e32 v9, v9, v11
	v_mul_f32_e32 v11, v126, v131
	s_delay_alu instid0(VALU_DEP_1) | instskip(NEXT) | instid1(VALU_DEP_1)
	;; [unrolled: 7-line block ×3, first 2 shown]
	v_fmac_f32_e32 v11, v135, v138
	v_dual_add_f32 v9, v9, v11 :: v_dual_mul_f32 v11, v140, v145
	s_delay_alu instid0(VALU_DEP_1) | instskip(NEXT) | instid1(VALU_DEP_1)
	v_fmac_f32_e32 v11, v141, v144
	v_add_f32_e32 v9, v9, v11
	v_mul_f32_e32 v11, v142, v147
	s_delay_alu instid0(VALU_DEP_1) | instskip(SKIP_1) | instid1(VALU_DEP_1)
	v_fmac_f32_e32 v11, v143, v146
	s_wait_dscnt 0xb
	v_dual_add_f32 v9, v9, v11 :: v_dual_mul_f32 v11, v148, v153
	s_delay_alu instid0(VALU_DEP_1) | instskip(NEXT) | instid1(VALU_DEP_1)
	v_fmac_f32_e32 v11, v149, v152
	v_add_f32_e32 v9, v9, v11
	v_mul_f32_e32 v11, v150, v155
	s_delay_alu instid0(VALU_DEP_1) | instskip(SKIP_1) | instid1(VALU_DEP_1)
	v_fmac_f32_e32 v11, v151, v154
	s_wait_dscnt 0xa
	;; [unrolled: 8-line block ×12, first 2 shown]
	v_dual_add_f32 v9, v9, v11 :: v_dual_mul_f32 v11, v236, v241
	s_delay_alu instid0(VALU_DEP_1) | instskip(NEXT) | instid1(VALU_DEP_1)
	v_fmac_f32_e32 v11, v237, v240
	v_add_f32_e32 v9, v9, v11
	v_mul_f32_e32 v11, v238, v243
	s_delay_alu instid0(VALU_DEP_1) | instskip(SKIP_1) | instid1(VALU_DEP_1)
	v_fmac_f32_e32 v11, v239, v242
	s_set_vgpr_msb 64                       ;  msbs: dst=1 src0=0 src1=0 src2=0
	v_add_f32_e32 v13 /*v269*/, v9, v11
	s_set_vgpr_msb 0                        ;  msbs: dst=0 src0=0 src1=0 src2=0
	v_dual_mul_f32 v9, v101, v105 :: v_dual_mul_f32 v11, v103, v107
	s_delay_alu instid0(VALU_DEP_1) | instskip(NEXT) | instid1(VALU_DEP_1)
	v_dual_fma_f32 v9, v100, v104, -v9 :: v_dual_fma_f32 v11, v102, v106, -v11
	v_add_f32_e32 v9, 0, v9
	s_delay_alu instid0(VALU_DEP_1) | instskip(SKIP_1) | instid1(VALU_DEP_1)
	v_add_f32_e32 v9, v9, v11
	v_mul_f32_e32 v11, v109, v113
	v_fma_f32 v11, v108, v112, -v11
	s_delay_alu instid0(VALU_DEP_1) | instskip(SKIP_1) | instid1(VALU_DEP_1)
	v_add_f32_e32 v9, v9, v11
	v_mul_f32_e32 v11, v111, v115
	v_fma_f32 v11, v110, v114, -v11
	ds_load_2addr_b64 v[100:103], v7 offset0:91 offset1:92
	ds_load_2addr_b64 v[104:107], v7 offset0:93 offset1:94
	;; [unrolled: 1-line block ×4, first 2 shown]
	v_add_f32_e32 v9, v9, v11
	v_mul_f32_e32 v11, v117, v121
	s_delay_alu instid0(VALU_DEP_1) | instskip(NEXT) | instid1(VALU_DEP_1)
	v_fma_f32 v11, v116, v120, -v11
	v_add_f32_e32 v9, v9, v11
	v_mul_f32_e32 v11, v119, v123
	s_delay_alu instid0(VALU_DEP_1) | instskip(SKIP_2) | instid1(VALU_DEP_2)
	v_fma_f32 v11, v118, v122, -v11
	s_wait_loadcnt_dscnt 0x303
	v_pk_mul_f32 v[118:119], v[100:101], v[252:253] op_sel:[1,1] op_sel_hi:[0,1]
	v_add_f32_e32 v9, v9, v11
	v_mul_f32_e32 v11, v125, v129
	s_delay_alu instid0(VALU_DEP_3) | instskip(SKIP_1) | instid1(VALU_DEP_3)
	v_pk_fma_f32 v[120:121], v[100:101], v[252:253], v[118:119] neg_lo:[0,0,1] neg_hi:[0,0,1]
	v_pk_fma_f32 v[100:101], v[100:101], v[252:253], v[118:119] op_sel_hi:[1,0,1]
	v_dual_mov_b32 v118, v255 :: v_dual_fma_f32 v11, v124, v128, -v11
	s_delay_alu instid0(VALU_DEP_2) | instskip(NEXT) | instid1(VALU_DEP_2)
	v_mov_b32_e32 v121, v101
	v_add_f32_e32 v9, v9, v11
	v_mul_f32_e32 v11, v127, v131
	s_delay_alu instid0(VALU_DEP_1) | instskip(NEXT) | instid1(VALU_DEP_1)
	v_fma_f32 v11, v126, v130, -v11
	v_add_f32_e32 v9, v9, v11
	v_mul_f32_e32 v11, v133, v137
	s_delay_alu instid0(VALU_DEP_1) | instskip(NEXT) | instid1(VALU_DEP_1)
	v_fma_f32 v11, v132, v136, -v11
	;; [unrolled: 4-line block ×28, first 2 shown]
	v_add_f32_e32 v9, v9, v11
	v_mul_f32_e32 v11, v239, v243
	s_delay_alu instid0(VALU_DEP_1) | instskip(SKIP_1) | instid1(VALU_DEP_1)
	v_fma_f32 v11, v238, v242, -v11
	s_set_vgpr_msb 64                       ;  msbs: dst=1 src0=0 src1=0 src2=0
	v_dual_fmac_f32 v17 /*v273*/, v247, v250 :: v_dual_add_f32 v12 /*v268*/, v9, v11
	s_set_vgpr_msb 0                        ;  msbs: dst=0 src0=0 src1=0 src2=0
	v_mul_f32_e32 v9, v245, v249
	s_set_vgpr_msb 64                       ;  msbs: dst=1 src0=0 src1=0 src2=0
	s_delay_alu instid0(VALU_DEP_1) | instskip(SKIP_3) | instid1(VALU_DEP_1)
	v_fma_f32 v14 /*v270*/, v244, v248, -v9
	s_set_vgpr_msb 0                        ;  msbs: dst=0 src0=0 src1=0 src2=0
	v_mul_f32_e32 v9, v247, v251
	s_set_vgpr_msb 64                       ;  msbs: dst=1 src0=0 src1=0 src2=0
	v_fma_f32 v16 /*v272*/, v246, v250, -v9
	s_set_vgpr_msb 5                        ;  msbs: dst=0 src0=1 src1=1 src2=0
	v_pk_add_f32 v[116:117], v[12:13] /*v[268:269]*/, v[14:15] /*v[270:271]*/
	s_set_vgpr_msb 4                        ;  msbs: dst=0 src0=0 src1=1 src2=0
	s_delay_alu instid0(VALU_DEP_1) | instskip(SKIP_1) | instid1(VALU_DEP_1)
	v_pk_add_f32 v[116:117], v[116:117], v[16:17] /*v[272:273]*/
	s_set_vgpr_msb 0                        ;  msbs: dst=0 src0=0 src1=0 src2=0
	v_pk_add_f32 v[100:101], v[116:117], v[120:121]
	v_dual_mov_b32 v116, v103 :: v_dual_mov_b32 v117, v102
	s_delay_alu instid0(VALU_DEP_1) | instskip(NEXT) | instid1(VALU_DEP_1)
	v_pk_mul_f32 v[116:117], v[116:117], v[118:119] op_sel_hi:[1,0]
	v_pk_fma_f32 v[118:119], v[102:103], v[254:255], v[116:117] neg_lo:[0,0,1] neg_hi:[0,0,1]
	v_pk_fma_f32 v[102:103], v[102:103], v[254:255], v[116:117] op_sel_hi:[1,0,1]
	s_delay_alu instid0(VALU_DEP_1)
	v_mov_b32_e32 v119, v103
	s_wait_loadcnt_dscnt 0x202
	s_set_vgpr_msb 4                        ;  msbs: dst=0 src0=0 src1=1 src2=0
	v_pk_mul_f32 v[102:103], v[104:105], v[0:1] /*v[256:257]*/ op_sel:[1,1] op_sel_hi:[0,1]
	s_set_vgpr_msb 0                        ;  msbs: dst=0 src0=0 src1=0 src2=0
	v_pk_add_f32 v[100:101], v[100:101], v[118:119]
	s_set_vgpr_msb 4                        ;  msbs: dst=0 src0=0 src1=1 src2=0
	s_delay_alu instid0(VALU_DEP_2)
	v_pk_fma_f32 v[116:117], v[104:105], v[0:1] /*v[256:257]*/, v[102:103] neg_lo:[0,0,1] neg_hi:[0,0,1]
	v_pk_fma_f32 v[102:103], v[104:105], v[0:1] /*v[256:257]*/, v[102:103] op_sel_hi:[1,0,1]
	v_mov_b32_e32 v102, v107
	s_set_vgpr_msb 1                        ;  msbs: dst=0 src0=1 src1=0 src2=0
	v_mov_b32_e32 v104, v3 /*v259*/
	s_set_vgpr_msb 0                        ;  msbs: dst=0 src0=0 src1=0 src2=0
	v_dual_mov_b32 v117, v103 :: v_dual_mov_b32 v103, v106
	s_delay_alu instid0(VALU_DEP_1) | instskip(NEXT) | instid1(VALU_DEP_2)
	v_pk_add_f32 v[100:101], v[100:101], v[116:117]
	v_pk_mul_f32 v[102:103], v[102:103], v[104:105] op_sel_hi:[1,0]
	s_set_vgpr_msb 4                        ;  msbs: dst=0 src0=0 src1=1 src2=0
	s_delay_alu instid0(VALU_DEP_1) | instskip(SKIP_1) | instid1(VALU_DEP_1)
	v_pk_fma_f32 v[104:105], v[106:107], v[2:3] /*v[258:259]*/, v[102:103] neg_lo:[0,0,1] neg_hi:[0,0,1]
	v_pk_fma_f32 v[102:103], v[106:107], v[2:3] /*v[258:259]*/, v[102:103] op_sel_hi:[1,0,1]
	v_mov_b32_e32 v105, v103
	s_wait_loadcnt_dscnt 0x101
	v_pk_mul_f32 v[102:103], v[108:109], v[4:5] /*v[260:261]*/ op_sel:[1,1] op_sel_hi:[0,1]
	s_set_vgpr_msb 0                        ;  msbs: dst=0 src0=0 src1=0 src2=0
	s_delay_alu instid0(VALU_DEP_2) | instskip(SKIP_1) | instid1(VALU_DEP_2)
	v_pk_add_f32 v[100:101], v[100:101], v[104:105]
	s_set_vgpr_msb 4                        ;  msbs: dst=0 src0=0 src1=1 src2=0
	v_pk_fma_f32 v[104:105], v[108:109], v[4:5] /*v[260:261]*/, v[102:103] neg_lo:[0,0,1] neg_hi:[0,0,1]
	v_pk_fma_f32 v[102:103], v[108:109], v[4:5] /*v[260:261]*/, v[102:103] op_sel_hi:[1,0,1]
	s_delay_alu instid0(VALU_DEP_1) | instskip(SKIP_2) | instid1(VALU_DEP_2)
	v_dual_mov_b32 v102, v111 :: v_dual_mov_b32 v105, v103
	v_mov_b32_e32 v103, v110
	s_set_vgpr_msb 0                        ;  msbs: dst=0 src0=0 src1=0 src2=0
	v_pk_add_f32 v[100:101], v[100:101], v[104:105]
	s_set_vgpr_msb 1                        ;  msbs: dst=0 src0=1 src1=0 src2=0
	v_mov_b32_e32 v104, v7 /*v263*/
	s_set_vgpr_msb 0                        ;  msbs: dst=0 src0=0 src1=0 src2=0
	s_delay_alu instid0(VALU_DEP_1) | instskip(SKIP_1) | instid1(VALU_DEP_1)
	v_pk_mul_f32 v[102:103], v[102:103], v[104:105] op_sel_hi:[1,0]
	s_set_vgpr_msb 4                        ;  msbs: dst=0 src0=0 src1=1 src2=0
	v_pk_fma_f32 v[104:105], v[110:111], v[6:7] /*v[262:263]*/, v[102:103] neg_lo:[0,0,1] neg_hi:[0,0,1]
	v_pk_fma_f32 v[102:103], v[110:111], v[6:7] /*v[262:263]*/, v[102:103] op_sel_hi:[1,0,1]
	s_delay_alu instid0(VALU_DEP_1) | instskip(SKIP_3) | instid1(VALU_DEP_2)
	v_mov_b32_e32 v105, v103
	s_wait_loadcnt_dscnt 0x0
	v_pk_mul_f32 v[102:103], v[112:113], v[8:9] /*v[264:265]*/ op_sel:[1,1] op_sel_hi:[0,1]
	s_set_vgpr_msb 0                        ;  msbs: dst=0 src0=0 src1=0 src2=0
	v_pk_add_f32 v[100:101], v[100:101], v[104:105]
	s_set_vgpr_msb 4                        ;  msbs: dst=0 src0=0 src1=1 src2=0
	s_delay_alu instid0(VALU_DEP_2) | instskip(SKIP_1) | instid1(VALU_DEP_1)
	v_pk_fma_f32 v[104:105], v[112:113], v[8:9] /*v[264:265]*/, v[102:103] neg_lo:[0,0,1] neg_hi:[0,0,1]
	v_pk_fma_f32 v[102:103], v[112:113], v[8:9] /*v[264:265]*/, v[102:103] op_sel_hi:[1,0,1]
	v_dual_mov_b32 v102, v115 :: v_dual_mov_b32 v105, v103
	v_mov_b32_e32 v103, v114
	s_set_vgpr_msb 0                        ;  msbs: dst=0 src0=0 src1=0 src2=0
	s_delay_alu instid0(VALU_DEP_2) | instskip(SKIP_3) | instid1(VALU_DEP_1)
	v_pk_add_f32 v[100:101], v[100:101], v[104:105]
	s_set_vgpr_msb 1                        ;  msbs: dst=0 src0=1 src1=0 src2=0
	v_mov_b32_e32 v104, v11 /*v267*/
	s_set_vgpr_msb 0                        ;  msbs: dst=0 src0=0 src1=0 src2=0
	v_pk_mul_f32 v[102:103], v[102:103], v[104:105] op_sel_hi:[1,0]
	s_set_vgpr_msb 4                        ;  msbs: dst=0 src0=0 src1=1 src2=0
	s_delay_alu instid0(VALU_DEP_1) | instskip(SKIP_1) | instid1(VALU_DEP_1)
	v_pk_fma_f32 v[104:105], v[114:115], v[10:11] /*v[266:267]*/, v[102:103] neg_lo:[0,0,1] neg_hi:[0,0,1]
	v_pk_fma_f32 v[102:103], v[114:115], v[10:11] /*v[266:267]*/, v[102:103] op_sel_hi:[1,0,1]
	v_mov_b32_e32 v105, v103
	scratch_load_b64 v[102:103], off, off offset:16
	s_set_vgpr_msb 0                        ;  msbs: dst=0 src0=0 src1=0 src2=0
	v_pk_add_f32 v[100:101], v[100:101], v[104:105]
	s_wait_loadcnt 0x0
	s_delay_alu instid0(VALU_DEP_1)
	v_pk_add_f32 v[100:101], v[102:103], v[100:101] neg_lo:[0,1] neg_hi:[0,1]
	scratch_store_b64 off, v[100:101], off offset:16
	s_wait_xcnt 0x0
	v_cmpx_lt_u32_e32 1, v0
	s_cbranch_execz .LBB48_305
; %bb.304:
	scratch_load_b64 v[100:101], off, off offset:8
	v_mov_b64_e32 v[102:103], 0
	scratch_store_b64 off, v[102:103], off offset:8
	s_wait_loadcnt 0x0
	ds_store_b64 v1, v[100:101]
.LBB48_305:
	s_wait_xcnt 0x0
	s_or_b32 exec_lo, exec_lo, s0
	s_wait_storecnt_dscnt 0x0
	s_barrier_signal -1
	s_barrier_wait -1
	s_clause 0x19
	scratch_load_b128 v[102:105], off, off offset:16
	scratch_load_b128 v[106:109], off, off offset:32
	;; [unrolled: 1-line block ×23, first 2 shown]
	s_set_vgpr_msb 64                       ;  msbs: dst=1 src0=0 src1=0 src2=0
	scratch_load_b64 v[30:31] /*v[286:287]*/, off, off offset:384
	scratch_load_b64 v[32:33] /*v[288:289]*/, off, off offset:8
	s_set_vgpr_msb 0                        ;  msbs: dst=0 src0=0 src1=0 src2=0
	v_dual_mov_b32 v100, 0 :: v_dual_ashrrev_i32 v55, 31, v54
	ds_load_b128 v[194:197], v100 offset:416
	ds_load_b128 v[198:201], v100 offset:432
	;; [unrolled: 1-line block ×16, first 2 shown]
	s_set_vgpr_msb 64                       ;  msbs: dst=1 src0=0 src1=0 src2=0
	ds_load_b128 v[2:5] /*v[258:261]*/, v100 offset:592
	ds_load_b128 v[6:9] /*v[262:265]*/, v100 offset:608
	;; [unrolled: 1-line block ×7, first 2 shown]
	ds_load_b64 v[34:35] /*v[290:291]*/, v100 offset:784
	s_wait_dscnt 0x14
	v_dual_mov_b32 v36 /*v292*/, v209 :: v_dual_mov_b32 v37 /*v293*/, v208
	s_wait_dscnt 0x11
	v_dual_mov_b32 v38 /*v294*/, v221 :: v_dual_mov_b32 v39 /*v295*/, v220
	;; [unrolled: 2-line block ×4, first 2 shown]
	s_set_vgpr_msb 0                        ;  msbs: dst=0 src0=0 src1=0 src2=0
	v_dual_ashrrev_i32 v7, 31, v6 :: v_dual_ashrrev_i32 v9, 31, v8
	v_dual_ashrrev_i32 v11, 31, v10 :: v_dual_ashrrev_i32 v13, 31, v12
	;; [unrolled: 1-line block ×17, first 2 shown]
	s_mov_b32 s0, exec_lo
	s_wait_loadcnt 0x18
	v_dual_mul_f32 v77, v194, v103 :: v_dual_mul_f32 v79, v196, v105
	v_dual_mul_f32 v81, v195, v103 :: v_dual_mul_f32 v83, v197, v105
	s_wait_loadcnt 0x17
	v_dual_mul_f32 v93, v199, v107 :: v_dual_mul_f32 v95, v201, v109
	s_delay_alu instid0(VALU_DEP_3)
	v_fmac_f32_e32 v77, v195, v102
	s_wait_loadcnt_dscnt 0x100a
	s_set_vgpr_msb 64                       ;  msbs: dst=1 src0=0 src1=0 src2=0
	v_dual_mul_f32 v46 /*v302*/, v244, v133 :: v_dual_mul_f32 v47 /*v303*/, v246, v135
	s_set_vgpr_msb 0                        ;  msbs: dst=0 src0=0 src1=0 src2=0
	v_mul_f32_e32 v133, v245, v133
	v_dual_fmac_f32 v79, v197, v104 :: v_dual_fma_f32 v81, v194, v102, -v81
	v_dual_fma_f32 v83, v196, v104, -v83 :: v_dual_mul_f32 v104, v247, v135
	s_wait_loadcnt_dscnt 0xc06
	s_set_vgpr_msb 1                        ;  msbs: dst=0 src0=1 src1=0 src2=0
	v_dual_mul_f32 v194, v6 /*v262*/, v151 :: v_dual_add_f32 v77, 0, v77
	s_set_vgpr_msb 0                        ;  msbs: dst=0 src0=0 src1=0 src2=0
	v_dual_add_f32 v81, 0, v81 :: v_dual_mul_f32 v85, v198, v107
	v_dual_mul_f32 v87, v200, v109 :: v_dual_fma_f32 v93, v198, v106, -v93
	s_delay_alu instid0(VALU_DEP_3) | instskip(NEXT) | instid1(VALU_DEP_3)
	v_add_f32_e32 v77, v77, v79
	v_add_f32_e32 v81, v81, v83
	v_dual_mul_f32 v97, v211, v111 :: v_dual_mul_f32 v99, v213, v113
	v_dual_mul_f32 v135, v249, v137 :: v_dual_fmac_f32 v85, v199, v106
	s_delay_alu instid0(VALU_DEP_3) | instskip(NEXT) | instid1(VALU_DEP_3)
	v_dual_fma_f32 v95, v200, v108, -v95 :: v_dual_add_f32 v81, v81, v93
	v_dual_fma_f32 v93, v210, v110, -v97 :: v_dual_mul_f32 v89, v210, v111
	v_dual_mul_f32 v91, v212, v113 :: v_dual_mul_f32 v101, v214, v115
	v_dual_mul_f32 v103, v216, v117 :: v_dual_fmac_f32 v87, v201, v108
	s_delay_alu instid0(VALU_DEP_3) | instskip(NEXT) | instid1(VALU_DEP_3)
	v_dual_fmac_f32 v89, v211, v110 :: v_dual_add_f32 v77, v77, v85
	v_dual_add_f32 v81, v81, v95 :: v_dual_fmac_f32 v101, v215, v114
	v_dual_mul_f32 v105, v226, v119 :: v_dual_mul_f32 v107, v228, v121
	v_dual_mul_f32 v109, v215, v115 :: v_dual_mul_f32 v111, v217, v117
	s_delay_alu instid0(VALU_DEP_4) | instskip(NEXT) | instid1(VALU_DEP_3)
	v_dual_add_f32 v77, v77, v87 :: v_dual_fma_f32 v95, v212, v112, -v99
	v_dual_add_f32 v81, v81, v93 :: v_dual_fmac_f32 v105, v227, v118
	v_dual_mul_f32 v113, v227, v119 :: v_dual_mul_f32 v115, v229, v121
	s_delay_alu instid0(VALU_DEP_4) | instskip(NEXT) | instid1(VALU_DEP_4)
	v_dual_fmac_f32 v91, v213, v112 :: v_dual_fma_f32 v93, v214, v114, -v109
	v_add_f32_e32 v77, v77, v89
	s_delay_alu instid0(VALU_DEP_3) | instskip(SKIP_2) | instid1(VALU_DEP_4)
	v_dual_add_f32 v81, v81, v95 :: v_dual_fma_f32 v99, v228, v120, -v115
	v_dual_mul_f32 v117, v230, v123 :: v_dual_mul_f32 v119, v232, v125
	v_dual_mul_f32 v121, v231, v123 :: v_dual_mul_f32 v123, v233, v125
	v_dual_fma_f32 v95, v216, v116, -v111 :: v_dual_add_f32 v77, v77, v91
	s_delay_alu instid0(VALU_DEP_4) | instskip(SKIP_1) | instid1(VALU_DEP_3)
	v_dual_fma_f32 v97, v226, v118, -v113 :: v_dual_add_f32 v81, v81, v93
	v_dual_fmac_f32 v103, v217, v116 :: v_dual_mul_f32 v125, v238, v127
	v_dual_mul_f32 v127, v239, v127 :: v_dual_add_f32 v77, v77, v101
	s_delay_alu instid0(VALU_DEP_3)
	v_dual_fmac_f32 v117, v231, v122 :: v_dual_add_f32 v81, v81, v95
	s_wait_loadcnt 0x6
	v_mul_f32_e32 v95, v202, v175
	s_set_vgpr_msb 64                       ;  msbs: dst=1 src0=0 src1=0 src2=0
	v_dual_mul_f32 v44 /*v300*/, v240, v129 :: v_dual_mul_f32 v45 /*v301*/, v242, v131
	s_set_vgpr_msb 0                        ;  msbs: dst=0 src0=0 src1=0 src2=0
	v_dual_add_f32 v77, v77, v103 :: v_dual_mul_f32 v103, v204, v177
	v_dual_add_f32 v81, v81, v97 :: v_dual_fmac_f32 v125, v239, v126
	v_dual_mul_f32 v129, v241, v129 :: v_dual_mul_f32 v131, v243, v131
	v_fmac_f32_e32 v107, v229, v120
	s_delay_alu instid0(VALU_DEP_4) | instskip(NEXT) | instid1(VALU_DEP_4)
	v_dual_add_f32 v77, v77, v105 :: v_dual_fma_f32 v97, v230, v122, -v121
	v_add_f32_e32 v81, v81, v99
	s_wait_loadcnt 0x5
	v_dual_mul_f32 v105, v206, v179 :: v_dual_fma_f32 v99, v232, v124, -v123
	v_fmac_f32_e32 v119, v233, v124
	s_delay_alu instid0(VALU_DEP_3) | instskip(SKIP_2) | instid1(VALU_DEP_3)
	v_dual_fma_f32 v101, v238, v126, -v127 :: v_dual_add_f32 v81, v81, v97
	v_dual_fma_f32 v109, v244, v132, -v133 :: v_dual_mul_f32 v97, v251, v139
	v_dual_add_f32 v77, v77, v107 :: v_dual_fma_f32 v108, v242, v130, -v131
	v_dual_add_f32 v81, v81, v99 :: v_dual_fma_f32 v110, v248, v136, -v135
	s_delay_alu instid0(VALU_DEP_3) | instskip(NEXT) | instid1(VALU_DEP_3)
	v_dual_mul_f32 v99, v253, v141 :: v_dual_fma_f32 v97, v250, v138, -v97
	v_add_f32_e32 v77, v77, v117
	s_delay_alu instid0(VALU_DEP_3)
	v_dual_add_f32 v81, v81, v101 :: v_dual_mul_f32 v101, v255, v143
	s_set_vgpr_msb 64                       ;  msbs: dst=1 src0=0 src1=0 src2=0
	v_dual_fmac_f32 v44 /*v300*/, v241, v128 :: v_dual_fmac_f32 v45 /*v301*/, v243, v130
	s_set_vgpr_msb 0                        ;  msbs: dst=0 src0=0 src1=0 src2=0
	v_dual_add_f32 v77, v77, v119 :: v_dual_fma_f32 v104, v246, v134, -v104
	v_fma_f32 v99, v252, v140, -v99
	s_set_vgpr_msb 64                       ;  msbs: dst=1 src0=0 src1=0 src2=0
	v_dual_fmac_f32 v46 /*v302*/, v245, v132 :: v_dual_fmac_f32 v47 /*v303*/, v247, v134
	s_set_vgpr_msb 0                        ;  msbs: dst=0 src0=0 src1=0 src2=0
	v_add_f32_e32 v77, v77, v125
	s_set_vgpr_msb 64                       ;  msbs: dst=1 src0=0 src1=0 src2=0
	v_dual_mul_f32 v48 /*v304*/, v248, v137 :: v_dual_mul_f32 v49 /*v305*/, v250, v139
	v_dual_mul_f32 v50 /*v306*/, v252, v141 :: v_dual_mul_f32 v51 /*v307*/, v254, v143
	s_set_vgpr_msb 4                        ;  msbs: dst=0 src0=0 src1=1 src2=0
	v_add_f32_e32 v77, v77, v44 /*v300*/
	s_set_vgpr_msb 64                       ;  msbs: dst=1 src0=0 src1=0 src2=0
	v_dual_fmac_f32 v48 /*v304*/, v249, v136 :: v_dual_fmac_f32 v49 /*v305*/, v251, v138
	v_dual_fmac_f32 v50 /*v306*/, v253, v140 :: v_dual_fmac_f32 v51 /*v307*/, v255, v142
	s_set_vgpr_msb 4                        ;  msbs: dst=0 src0=0 src1=1 src2=0
	v_add_f32_e32 v77, v77, v45 /*v301*/
	s_set_vgpr_msb 0x41                     ;  msbs: dst=1 src0=1 src1=0 src2=0
	v_mul_f32_e32 v52 /*v308*/, v0 /*v256*/, v145
	s_set_vgpr_msb 0                        ;  msbs: dst=0 src0=0 src1=0 src2=0
	v_fma_f32 v107, v240, v128, -v129
	s_set_vgpr_msb 1                        ;  msbs: dst=0 src0=1 src1=0 src2=0
	v_dual_mul_f32 v102, v2 /*v258*/, v147 :: v_dual_mul_f32 v137, v4 /*v260*/, v149
	s_set_vgpr_msb 4                        ;  msbs: dst=0 src0=0 src1=1 src2=0
	v_add_f32_e32 v77, v77, v46 /*v302*/
	s_set_vgpr_msb 0                        ;  msbs: dst=0 src0=0 src1=0 src2=0
	v_dual_fma_f32 v101, v254, v142, -v101 :: v_dual_add_f32 v81, v81, v107
	s_set_vgpr_msb 0x41                     ;  msbs: dst=1 src0=1 src1=0 src2=0
	v_fmac_f32_e32 v52 /*v308*/, v1 /*v257*/, v144
	s_wait_dscnt 0x1
	s_set_vgpr_msb 1                        ;  msbs: dst=0 src0=1 src1=0 src2=0
	v_mul_f32_e32 v93, v28 /*v284*/, v173
	s_set_vgpr_msb 4                        ;  msbs: dst=0 src0=0 src1=1 src2=0
	v_add_f32_e32 v77, v77, v47 /*v303*/
	s_set_vgpr_msb 1                        ;  msbs: dst=0 src0=1 src1=0 src2=0
	v_fmac_f32_e32 v137, v5 /*v261*/, v148
	s_set_vgpr_msb 0                        ;  msbs: dst=0 src0=0 src1=0 src2=0
	v_add_f32_e32 v81, v81, v108
	s_set_vgpr_msb 1                        ;  msbs: dst=0 src0=1 src1=0 src2=0
	v_dual_mul_f32 v108, v3 /*v259*/, v147 :: v_dual_fmac_f32 v102, v3 /*v259*/, v146
	s_set_vgpr_msb 4                        ;  msbs: dst=0 src0=0 src1=1 src2=0
	v_add_f32_e32 v77, v77, v48 /*v304*/
	s_set_vgpr_msb 1                        ;  msbs: dst=0 src0=1 src1=0 src2=0
	v_dual_mul_f32 v195, v8 /*v264*/, v153 :: v_dual_mul_f32 v196, v10 /*v266*/, v155
	s_set_vgpr_msb 0                        ;  msbs: dst=0 src0=0 src1=0 src2=0
	v_add_f32_e32 v81, v81, v109
	s_set_vgpr_msb 1                        ;  msbs: dst=0 src0=1 src1=0 src2=0
	v_fma_f32 v108, v2 /*v258*/, v146, -v108
	s_set_vgpr_msb 4                        ;  msbs: dst=0 src0=0 src1=1 src2=0
	v_add_f32_e32 v77, v77, v49 /*v305*/
	s_set_vgpr_msb 1                        ;  msbs: dst=0 src0=1 src1=0 src2=0
	v_mul_f32_e32 v107, v1 /*v257*/, v145
	v_fmac_f32_e32 v195, v9 /*v265*/, v152
	s_set_vgpr_msb 0                        ;  msbs: dst=0 src0=0 src1=0 src2=0
	v_add_f32_e32 v81, v81, v104
	s_set_vgpr_msb 1                        ;  msbs: dst=0 src0=1 src1=0 src2=0
	v_mul_f32_e32 v104, v7 /*v263*/, v151
	s_set_vgpr_msb 4                        ;  msbs: dst=0 src0=0 src1=1 src2=0
	v_add_f32_e32 v77, v77, v50 /*v306*/
	s_set_vgpr_msb 1                        ;  msbs: dst=0 src0=1 src1=0 src2=0
	v_dual_fmac_f32 v194, v7 /*v263*/, v150 :: v_dual_mul_f32 v197, v12 /*v268*/, v157
	v_mul_f32_e32 v79, v14 /*v270*/, v159
	s_set_vgpr_msb 0                        ;  msbs: dst=0 src0=0 src1=0 src2=0
	v_add_f32_e32 v81, v81, v110
	s_set_vgpr_msb 4                        ;  msbs: dst=0 src0=0 src1=1 src2=0
	v_add_f32_e32 v77, v77, v51 /*v307*/
	s_set_vgpr_msb 1                        ;  msbs: dst=0 src0=1 src1=0 src2=0
	v_dual_fma_f32 v104, v6 /*v262*/, v150, -v104 :: v_dual_mul_f32 v109, v5 /*v261*/, v149
	v_fmac_f32_e32 v197, v13 /*v269*/, v156
	s_set_vgpr_msb 0                        ;  msbs: dst=0 src0=0 src1=0 src2=0
	v_add_f32_e32 v81, v81, v97
	s_set_vgpr_msb 4                        ;  msbs: dst=0 src0=0 src1=1 src2=0
	v_add_f32_e32 v77, v77, v52 /*v308*/
	s_set_vgpr_msb 1                        ;  msbs: dst=0 src0=1 src1=0 src2=0
	v_dual_mul_f32 v97, v11 /*v267*/, v155 :: v_dual_fmac_f32 v196, v11 /*v267*/, v154
	v_dual_mul_f32 v83, v16 /*v272*/, v161 :: v_dual_mul_f32 v106, v18 /*v274*/, v163
	s_set_vgpr_msb 0                        ;  msbs: dst=0 src0=0 src1=0 src2=0
	v_add_f32_e32 v77, v77, v102
	s_set_vgpr_msb 1                        ;  msbs: dst=0 src0=1 src1=0 src2=0
	v_mul_f32_e32 v102, v19 /*v275*/, v163
	s_set_vgpr_msb 0                        ;  msbs: dst=0 src0=0 src1=0 src2=0
	v_dual_add_f32 v81, v81, v99 :: v_dual_fmac_f32 v95, v203, v174
	s_set_vgpr_msb 1                        ;  msbs: dst=0 src0=1 src1=0 src2=0
	v_fma_f32 v97, v10 /*v266*/, v154, -v97
	s_set_vgpr_msb 0                        ;  msbs: dst=0 src0=0 src1=0 src2=0
	v_add_f32_e32 v77, v77, v137
	s_set_vgpr_msb 1                        ;  msbs: dst=0 src0=1 src1=0 src2=0
	v_dual_mul_f32 v110, v9 /*v265*/, v153 :: v_dual_fma_f32 v107, v0 /*v256*/, v144, -v107
	v_mul_f32_e32 v99, v13 /*v269*/, v157
	s_set_vgpr_msb 0                        ;  msbs: dst=0 src0=0 src1=0 src2=0
	v_add_f32_e32 v81, v81, v101
	v_add_f32_e32 v77, v77, v194
	s_set_vgpr_msb 1                        ;  msbs: dst=0 src0=1 src1=0 src2=0
	v_dual_mul_f32 v101, v15 /*v271*/, v159 :: v_dual_fmac_f32 v79, v15 /*v271*/, v158
	v_dual_fmac_f32 v83, v17 /*v273*/, v160 :: v_dual_fmac_f32 v106, v19 /*v275*/, v162
	s_set_vgpr_msb 0                        ;  msbs: dst=0 src0=0 src1=0 src2=0
	v_add_f32_e32 v77, v77, v195
	v_add_f32_e32 v81, v81, v107
	s_set_vgpr_msb 1                        ;  msbs: dst=0 src0=1 src1=0 src2=0
	v_dual_fma_f32 v101, v14 /*v270*/, v158, -v101 :: v_dual_mul_f32 v85, v20 /*v276*/, v165
	v_mul_f32_e32 v87, v22 /*v278*/, v167
	s_set_vgpr_msb 0                        ;  msbs: dst=0 src0=0 src1=0 src2=0
	v_add_f32_e32 v77, v77, v196
	s_set_vgpr_msb 1                        ;  msbs: dst=0 src0=1 src1=0 src2=0
	v_dual_mul_f32 v107, v17 /*v273*/, v161 :: v_dual_fma_f32 v109, v4 /*v260*/, v148, -v109
	s_set_vgpr_msb 0                        ;  msbs: dst=0 src0=0 src1=0 src2=0
	v_add_f32_e32 v81, v81, v108
	s_set_vgpr_msb 1                        ;  msbs: dst=0 src0=1 src1=0 src2=0
	v_dual_fmac_f32 v85, v21 /*v277*/, v164 :: v_dual_fmac_f32 v87, v23 /*v279*/, v166
	s_set_vgpr_msb 0                        ;  msbs: dst=0 src0=0 src1=0 src2=0
	v_add_f32_e32 v77, v77, v197
	v_fmac_f32_e32 v103, v205, v176
	s_set_vgpr_msb 1                        ;  msbs: dst=0 src0=1 src1=0 src2=0
	v_dual_mul_f32 v89, v24 /*v280*/, v169 :: v_dual_mul_f32 v91, v26 /*v282*/, v171
	v_mul_f32_e32 v108, v21 /*v277*/, v165
	s_set_vgpr_msb 0                        ;  msbs: dst=0 src0=0 src1=0 src2=0
	v_add_f32_e32 v77, v77, v79
	s_set_vgpr_msb 1                        ;  msbs: dst=0 src0=1 src1=0 src2=0
	v_fma_f32 v99, v12 /*v268*/, v156, -v99
	v_dual_fmac_f32 v89, v25 /*v281*/, v168 :: v_dual_fmac_f32 v91, v27 /*v283*/, v170
	v_fmac_f32_e32 v93, v29 /*v285*/, v172
	s_set_vgpr_msb 0                        ;  msbs: dst=0 src0=0 src1=0 src2=0
	v_add_f32_e32 v77, v77, v83
	v_mul_f32_e32 v83, v205, v177
	v_add_f32_e32 v81, v81, v109
	s_set_vgpr_msb 1                        ;  msbs: dst=0 src0=1 src1=0 src2=0
	v_fma_f32 v109, v8 /*v264*/, v152, -v110
	s_wait_loadcnt 0x3
	s_set_vgpr_msb 0                        ;  msbs: dst=0 src0=0 src1=0 src2=0
	v_pk_mul_f32 v[110:111], v[222:223], v[186:187] op_sel:[1,1] op_sel_hi:[0,1]
	v_add_f32_e32 v77, v77, v106
	v_mov_b32_e32 v116, v189
	v_add_f32_e32 v81, v81, v104
	s_set_vgpr_msb 1                        ;  msbs: dst=0 src0=1 src1=0 src2=0
	v_dual_mul_f32 v104, v23 /*v279*/, v167 :: v_dual_fma_f32 v107, v16 /*v272*/, v160, -v107
	s_set_vgpr_msb 0                        ;  msbs: dst=0 src0=0 src1=0 src2=0
	v_add_f32_e32 v77, v77, v85
	v_add_f32_e32 v81, v81, v109
	s_set_vgpr_msb 1                        ;  msbs: dst=0 src0=1 src1=0 src2=0
	v_dual_mul_f32 v109, v25 /*v281*/, v169 :: v_dual_fma_f32 v106, v22 /*v278*/, v166, -v104
	s_set_vgpr_msb 0                        ;  msbs: dst=0 src0=0 src1=0 src2=0
	v_add_f32_e32 v77, v77, v87
	v_mov_b32_e32 v104, v181
	s_set_vgpr_msb 1                        ;  msbs: dst=0 src0=1 src1=0 src2=0
	v_fma_f32 v85, v24 /*v280*/, v168, -v109
	s_set_vgpr_msb 0                        ;  msbs: dst=0 src0=0 src1=0 src2=0
	v_dual_add_f32 v77, v77, v89 :: v_dual_ashrrev_i32 v89, 31, v88
	s_delay_alu instid0(VALU_DEP_1) | instskip(NEXT) | instid1(VALU_DEP_1)
	v_dual_add_f32 v77, v77, v91 :: v_dual_ashrrev_i32 v91, 31, v90
	v_dual_add_f32 v77, v77, v93 :: v_dual_ashrrev_i32 v93, 31, v92
	s_delay_alu instid0(VALU_DEP_1) | instskip(SKIP_4) | instid1(VALU_DEP_2)
	v_dual_add_f32 v115, v77, v95 :: v_dual_ashrrev_i32 v77, 31, v76
	v_add_f32_e32 v81, v81, v97
	s_set_vgpr_msb 1                        ;  msbs: dst=0 src0=1 src1=0 src2=0
	v_dual_mul_f32 v97, v27 /*v283*/, v171 :: v_dual_ashrrev_i32 v95, 31, v94
	s_set_vgpr_msb 0                        ;  msbs: dst=0 src0=0 src1=0 src2=0
	v_add_f32_e32 v81, v81, v99
	s_set_vgpr_msb 1                        ;  msbs: dst=0 src0=1 src1=0 src2=0
	s_delay_alu instid0(VALU_DEP_2) | instskip(SKIP_1) | instid1(VALU_DEP_2)
	v_dual_mul_f32 v99, v29 /*v285*/, v173 :: v_dual_fma_f32 v87, v26 /*v282*/, v170, -v97
	s_set_vgpr_msb 0                        ;  msbs: dst=0 src0=0 src1=0 src2=0
	v_dual_ashrrev_i32 v97, 31, v96 :: v_dual_add_f32 v79, v81, v101
	s_set_vgpr_msb 1                        ;  msbs: dst=0 src0=1 src1=0 src2=0
	v_dual_fma_f32 v101, v18 /*v274*/, v162, -v102 :: v_dual_fma_f32 v102, v20 /*v276*/, v164, -v108
	s_set_vgpr_msb 0                        ;  msbs: dst=0 src0=0 src1=0 src2=0
	v_dual_mul_f32 v81, v203, v175 :: v_dual_mov_b32 v108, v185
	v_add_f32_e32 v79, v79, v107
	s_set_vgpr_msb 1                        ;  msbs: dst=0 src0=1 src1=0 src2=0
	v_pk_mul_f32 v[112:113], v[36:37] /*v[292:293]*/, v[104:105] op_sel_hi:[1,0]
	s_set_vgpr_msb 0                        ;  msbs: dst=0 src0=0 src1=0 src2=0
	v_fmac_f32_e32 v105, v207, v178
	v_fma_f32 v81, v202, v174, -v81
	s_set_vgpr_msb 1                        ;  msbs: dst=0 src0=1 src1=0 src2=0
	v_pk_mul_f32 v[108:109], v[38:39] /*v[294:295]*/, v[108:109] op_sel_hi:[1,0]
	s_set_vgpr_msb 0                        ;  msbs: dst=0 src0=0 src1=0 src2=0
	v_add_f32_e32 v79, v79, v101
	v_mul_f32_e32 v101, v207, v179
	v_pk_fma_f32 v[118:119], v[208:209], v[180:181], v[112:113] op_sel_hi:[1,0,1]
	v_pk_fma_f32 v[112:113], v[208:209], v[180:181], v[112:113] neg_lo:[0,0,1] neg_hi:[0,0,1]
	s_delay_alu instid0(VALU_DEP_4) | instskip(NEXT) | instid1(VALU_DEP_3)
	v_dual_add_f32 v79, v79, v102 :: v_dual_fma_f32 v102, v204, v176, -v83
	v_dual_fma_f32 v104, v206, v178, -v101 :: v_dual_mov_b32 v113, v119
	v_ashrrev_i32_e32 v83, 31, v82
	s_delay_alu instid0(VALU_DEP_3) | instskip(SKIP_1) | instid1(VALU_DEP_2)
	v_add_f32_e32 v79, v79, v106
	v_pk_mul_f32 v[106:107], v[218:219], v[182:183] op_sel:[1,1] op_sel_hi:[0,1]
	v_add_f32_e32 v79, v79, v85
	s_set_vgpr_msb 1                        ;  msbs: dst=0 src0=1 src1=0 src2=0
	v_dual_fma_f32 v85, v28 /*v284*/, v172, -v99 :: v_dual_ashrrev_i32 v99, 31, v98
	s_set_vgpr_msb 0                        ;  msbs: dst=0 src0=0 src1=0 src2=0
	s_delay_alu instid0(VALU_DEP_2) | instskip(NEXT) | instid1(VALU_DEP_1)
	v_dual_add_f32 v79, v79, v87 :: v_dual_ashrrev_i32 v87, 31, v86
	v_dual_add_f32 v79, v79, v85 :: v_dual_ashrrev_i32 v85, 31, v84
	s_delay_alu instid0(VALU_DEP_1) | instskip(SKIP_1) | instid1(VALU_DEP_2)
	v_dual_add_f32 v114, v79, v81 :: v_dual_ashrrev_i32 v79, 31, v78
	v_ashrrev_i32_e32 v81, 31, v80
	v_pk_add_f32 v[102:103], v[114:115], v[102:103]
	v_pk_fma_f32 v[114:115], v[218:219], v[182:183], v[106:107] op_sel_hi:[1,0,1]
	v_pk_fma_f32 v[106:107], v[218:219], v[182:183], v[106:107] neg_lo:[0,0,1] neg_hi:[0,0,1]
	s_delay_alu instid0(VALU_DEP_3) | instskip(NEXT) | instid1(VALU_DEP_3)
	v_pk_add_f32 v[102:103], v[102:103], v[104:105]
	v_mov_b32_e32 v107, v115
	v_pk_fma_f32 v[114:115], v[220:221], v[184:185], v[108:109] op_sel_hi:[1,0,1]
	v_pk_fma_f32 v[108:109], v[220:221], v[184:185], v[108:109] neg_lo:[0,0,1] neg_hi:[0,0,1]
	s_wait_loadcnt 0x2
	v_pk_mul_f32 v[104:105], v[234:235], v[190:191] op_sel:[1,1] op_sel_hi:[0,1]
	v_pk_add_f32 v[102:103], v[102:103], v[112:113]
	v_pk_fma_f32 v[112:113], v[222:223], v[186:187], v[110:111] op_sel_hi:[1,0,1]
	v_mov_b32_e32 v109, v115
	v_pk_fma_f32 v[110:111], v[222:223], v[186:187], v[110:111] neg_lo:[0,0,1] neg_hi:[0,0,1]
	s_delay_alu instid0(VALU_DEP_4)
	v_pk_add_f32 v[102:103], v[102:103], v[106:107]
	v_mov_b32_e32 v106, v193
	s_set_vgpr_msb 1                        ;  msbs: dst=0 src0=1 src1=0 src2=0
	v_pk_mul_f32 v[116:117], v[40:41] /*v[296:297]*/, v[116:117] op_sel_hi:[1,0]
	s_set_vgpr_msb 0                        ;  msbs: dst=0 src0=0 src1=0 src2=0
	v_mov_b32_e32 v111, v113
	v_pk_add_f32 v[102:103], v[102:103], v[108:109]
	v_pk_fma_f32 v[108:109], v[234:235], v[190:191], v[104:105] op_sel_hi:[1,0,1]
	v_pk_fma_f32 v[112:113], v[224:225], v[188:189], v[116:117] op_sel_hi:[1,0,1]
	v_pk_fma_f32 v[114:115], v[224:225], v[188:189], v[116:117] neg_lo:[0,0,1] neg_hi:[0,0,1]
	s_set_vgpr_msb 1                        ;  msbs: dst=0 src0=1 src1=0 src2=0
	v_pk_mul_f32 v[106:107], v[42:43] /*v[298:299]*/, v[106:107] op_sel_hi:[1,0]
	s_set_vgpr_msb 0                        ;  msbs: dst=0 src0=0 src1=0 src2=0
	v_pk_fma_f32 v[104:105], v[234:235], v[190:191], v[104:105] neg_lo:[0,0,1] neg_hi:[0,0,1]
	v_dual_mov_b32 v105, v109 :: v_dual_mov_b32 v115, v113
	v_pk_add_f32 v[102:103], v[102:103], v[110:111]
	v_pk_fma_f32 v[108:109], v[236:237], v[192:193], v[106:107] op_sel_hi:[1,0,1]
	s_wait_loadcnt_dscnt 0x100
	s_set_vgpr_msb 5                        ;  msbs: dst=0 src0=1 src1=1 src2=0
	v_pk_mul_f32 v[110:111], v[34:35] /*v[290:291]*/, v[30:31] /*v[286:287]*/ op_sel:[1,1] op_sel_hi:[0,1]
	s_set_vgpr_msb 0                        ;  msbs: dst=0 src0=0 src1=0 src2=0
	v_pk_fma_f32 v[106:107], v[236:237], v[192:193], v[106:107] neg_lo:[0,0,1] neg_hi:[0,0,1]
	v_pk_add_f32 v[102:103], v[102:103], v[114:115]
	v_mov_b32_e32 v107, v109
	s_set_vgpr_msb 5                        ;  msbs: dst=0 src0=1 src1=1 src2=0
	v_pk_fma_f32 v[108:109], v[34:35] /*v[290:291]*/, v[30:31] /*v[286:287]*/, v[110:111] neg_lo:[0,0,1] neg_hi:[0,0,1]
	s_set_vgpr_msb 0                        ;  msbs: dst=0 src0=0 src1=0 src2=0
	v_pk_add_f32 v[102:103], v[102:103], v[104:105]
	s_set_vgpr_msb 5                        ;  msbs: dst=0 src0=1 src1=1 src2=0
	v_pk_fma_f32 v[104:105], v[34:35] /*v[290:291]*/, v[30:31] /*v[286:287]*/, v[110:111] op_sel_hi:[1,0,1]
	s_set_vgpr_msb 0                        ;  msbs: dst=0 src0=0 src1=0 src2=0
	s_delay_alu instid0(VALU_DEP_2) | instskip(NEXT) | instid1(VALU_DEP_2)
	v_pk_add_f32 v[102:103], v[102:103], v[106:107]
	v_mov_b32_e32 v109, v105
	s_delay_alu instid0(VALU_DEP_1) | instskip(SKIP_2) | instid1(VALU_DEP_1)
	v_pk_add_f32 v[102:103], v[102:103], v[108:109]
	s_wait_loadcnt 0x0
	s_set_vgpr_msb 1                        ;  msbs: dst=0 src0=1 src1=0 src2=0
	v_pk_add_f32 v[102:103], v[32:33] /*v[288:289]*/, v[102:103] neg_lo:[0,1] neg_hi:[0,1]
	scratch_store_b64 off, v[102:103], off offset:8
	s_wait_xcnt 0x0
	v_cmpx_ne_u32_e32 0, v0
	s_set_vgpr_msb 0                        ;  msbs: dst=0 src0=0 src1=0 src2=0
	s_cbranch_execz .LBB48_307
; %bb.306:
	scratch_load_b64 v[102:103], off, off
	v_mov_b64_e32 v[104:105], 0
	scratch_store_b64 off, v[104:105], off
	s_wait_loadcnt 0x0
	ds_store_b64 v1, v[102:103]
.LBB48_307:
	s_wait_xcnt 0x0
	s_or_b32 exec_lo, exec_lo, s0
	s_wait_storecnt_dscnt 0x0
	s_barrier_signal -1
	s_barrier_wait -1
	s_clause 0xf
	scratch_load_b128 v[106:109], off, off offset:8
	scratch_load_b128 v[114:117], off, off offset:24
	;; [unrolled: 1-line block ×16, first 2 shown]
	ds_load_2addr_b64 v[102:105], v100 offset0:51 offset1:52
	ds_load_2addr_b64 v[110:113], v100 offset0:53 offset1:54
	s_clause 0x1
	scratch_load_b128 v[234:237], off, off offset:264
	scratch_load_b128 v[242:245], off, off offset:280
	ds_load_2addr_b64 v[118:121], v100 offset0:55 offset1:56
	ds_load_2addr_b64 v[126:129], v100 offset0:57 offset1:58
	s_clause 0x2
	scratch_load_b128 v[250:253], off, off offset:296
	s_set_vgpr_msb 64                       ;  msbs: dst=1 src0=0 src1=0 src2=0
	scratch_load_b128 v[2:5] /*v[258:261]*/, off, off offset:312
	s_set_vgpr_msb 0                        ;  msbs: dst=0 src0=0 src1=0 src2=0
	ds_load_2addr_b64 v[134:137], v100 offset0:59 offset1:60
	ds_load_2addr_b64 v[142:145], v100 offset0:61 offset1:62
	;; [unrolled: 1-line block ×16, first 2 shown]
	s_set_vgpr_msb 64                       ;  msbs: dst=1 src0=0 src1=0 src2=0
	s_clause 0x3
	scratch_load_b128 v[6:9] /*v[262:265]*/, off, off offset:328
	scratch_load_b128 v[10:13] /*v[266:269]*/, off, off offset:344
	;; [unrolled: 1-line block ×4, first 2 shown]
	s_and_b32 vcc_lo, exec_lo, s18
	s_wait_loadcnt_dscnt 0x1713
	s_set_vgpr_msb 0                        ;  msbs: dst=0 src0=0 src1=0 src2=0
	v_dual_mul_f32 v0, v102, v107 :: v_dual_mul_f32 v1, v104, v109
	s_delay_alu instid0(VALU_DEP_1) | instskip(NEXT) | instid1(VALU_DEP_2)
	v_dual_mul_f32 v101, v105, v109 :: v_dual_fmac_f32 v0, v103, v106
	v_fmac_f32_e32 v1, v105, v108
	s_delay_alu instid0(VALU_DEP_2) | instskip(NEXT) | instid1(VALU_DEP_3)
	v_fma_f32 v101, v104, v108, -v101
	v_add_f32_e32 v0, 0, v0
	s_wait_loadcnt_dscnt 0x1612
	s_delay_alu instid0(VALU_DEP_1) | instskip(NEXT) | instid1(VALU_DEP_1)
	v_dual_add_f32 v0, v0, v1 :: v_dual_mul_f32 v1, v110, v115
	v_fmac_f32_e32 v1, v111, v114
	s_delay_alu instid0(VALU_DEP_1) | instskip(SKIP_1) | instid1(VALU_DEP_1)
	v_add_f32_e32 v0, v0, v1
	v_mul_f32_e32 v1, v112, v117
	v_fmac_f32_e32 v1, v113, v116
	s_wait_loadcnt_dscnt 0x1511
	s_delay_alu instid0(VALU_DEP_1) | instskip(NEXT) | instid1(VALU_DEP_1)
	v_dual_add_f32 v0, v0, v1 :: v_dual_mul_f32 v1, v118, v123
	v_fmac_f32_e32 v1, v119, v122
	s_delay_alu instid0(VALU_DEP_1) | instskip(SKIP_1) | instid1(VALU_DEP_1)
	v_add_f32_e32 v0, v0, v1
	v_mul_f32_e32 v1, v120, v125
	v_fmac_f32_e32 v1, v121, v124
	;; [unrolled: 8-line block ×18, first 2 shown]
	s_delay_alu instid0(VALU_DEP_1) | instskip(NEXT) | instid1(VALU_DEP_1)
	v_dual_add_f32 v1, v0, v1 :: v_dual_mul_f32 v0, v103, v107
	v_fma_f32 v0, v102, v106, -v0
	s_delay_alu instid0(VALU_DEP_1) | instskip(NEXT) | instid1(VALU_DEP_1)
	v_add_f32_e32 v0, 0, v0
	v_dual_add_f32 v0, v0, v101 :: v_dual_mul_f32 v101, v111, v115
	s_delay_alu instid0(VALU_DEP_1) | instskip(NEXT) | instid1(VALU_DEP_1)
	v_fma_f32 v101, v110, v114, -v101
	v_add_f32_e32 v0, v0, v101
	v_mul_f32_e32 v101, v113, v117
	s_delay_alu instid0(VALU_DEP_1)
	v_fma_f32 v101, v112, v116, -v101
	ds_load_2addr_b64 v[102:105], v100 offset0:91 offset1:92
	ds_load_2addr_b64 v[106:109], v100 offset0:93 offset1:94
	ds_load_2addr_b64 v[110:113], v100 offset0:95 offset1:96
	ds_load_2addr_b64 v[114:117], v100 offset0:97 offset1:98
	v_dual_add_f32 v0, v0, v101 :: v_dual_mul_f32 v101, v119, v123
	s_delay_alu instid0(VALU_DEP_1) | instskip(NEXT) | instid1(VALU_DEP_1)
	v_fma_f32 v101, v118, v122, -v101
	v_add_f32_e32 v0, v0, v101
	v_mul_f32_e32 v101, v121, v125
	s_delay_alu instid0(VALU_DEP_1) | instskip(NEXT) | instid1(VALU_DEP_1)
	v_fma_f32 v101, v120, v124, -v101
	v_dual_add_f32 v0, v0, v101 :: v_dual_mul_f32 v101, v127, v131
	s_delay_alu instid0(VALU_DEP_1) | instskip(NEXT) | instid1(VALU_DEP_1)
	v_fma_f32 v101, v126, v130, -v101
	v_add_f32_e32 v0, v0, v101
	v_mul_f32_e32 v101, v129, v133
	s_delay_alu instid0(VALU_DEP_1) | instskip(NEXT) | instid1(VALU_DEP_1)
	v_fma_f32 v101, v128, v132, -v101
	v_dual_add_f32 v0, v0, v101 :: v_dual_mul_f32 v101, v135, v139
	s_delay_alu instid0(VALU_DEP_1) | instskip(NEXT) | instid1(VALU_DEP_1)
	v_fma_f32 v101, v134, v138, -v101
	v_add_f32_e32 v0, v0, v101
	v_mul_f32_e32 v101, v137, v141
	s_delay_alu instid0(VALU_DEP_1) | instskip(NEXT) | instid1(VALU_DEP_1)
	v_fma_f32 v101, v136, v140, -v101
	v_dual_add_f32 v0, v0, v101 :: v_dual_mul_f32 v101, v143, v147
	s_delay_alu instid0(VALU_DEP_1) | instskip(NEXT) | instid1(VALU_DEP_1)
	v_fma_f32 v101, v142, v146, -v101
	v_add_f32_e32 v0, v0, v101
	v_mul_f32_e32 v101, v145, v149
	s_delay_alu instid0(VALU_DEP_1) | instskip(NEXT) | instid1(VALU_DEP_1)
	v_fma_f32 v101, v144, v148, -v101
	v_dual_add_f32 v0, v0, v101 :: v_dual_mul_f32 v101, v151, v155
	s_delay_alu instid0(VALU_DEP_1) | instskip(NEXT) | instid1(VALU_DEP_1)
	v_fma_f32 v101, v150, v154, -v101
	v_add_f32_e32 v0, v0, v101
	v_mul_f32_e32 v101, v153, v157
	s_delay_alu instid0(VALU_DEP_1) | instskip(NEXT) | instid1(VALU_DEP_1)
	v_fma_f32 v101, v152, v156, -v101
	v_dual_add_f32 v0, v0, v101 :: v_dual_mul_f32 v101, v159, v163
	s_delay_alu instid0(VALU_DEP_1) | instskip(NEXT) | instid1(VALU_DEP_1)
	v_fma_f32 v101, v158, v162, -v101
	v_add_f32_e32 v0, v0, v101
	v_mul_f32_e32 v101, v161, v165
	s_delay_alu instid0(VALU_DEP_1) | instskip(NEXT) | instid1(VALU_DEP_1)
	v_fma_f32 v101, v160, v164, -v101
	v_dual_add_f32 v0, v0, v101 :: v_dual_mul_f32 v101, v167, v171
	s_delay_alu instid0(VALU_DEP_1) | instskip(NEXT) | instid1(VALU_DEP_1)
	v_fma_f32 v101, v166, v170, -v101
	v_add_f32_e32 v0, v0, v101
	v_mul_f32_e32 v101, v169, v173
	s_delay_alu instid0(VALU_DEP_1) | instskip(NEXT) | instid1(VALU_DEP_1)
	v_fma_f32 v101, v168, v172, -v101
	v_dual_add_f32 v0, v0, v101 :: v_dual_mul_f32 v101, v175, v179
	s_delay_alu instid0(VALU_DEP_1) | instskip(NEXT) | instid1(VALU_DEP_1)
	v_fma_f32 v101, v174, v178, -v101
	v_add_f32_e32 v0, v0, v101
	v_mul_f32_e32 v101, v177, v181
	s_delay_alu instid0(VALU_DEP_1) | instskip(NEXT) | instid1(VALU_DEP_1)
	v_fma_f32 v101, v176, v180, -v101
	v_dual_add_f32 v0, v0, v101 :: v_dual_mul_f32 v101, v183, v187
	s_delay_alu instid0(VALU_DEP_1) | instskip(NEXT) | instid1(VALU_DEP_1)
	v_fma_f32 v101, v182, v186, -v101
	v_add_f32_e32 v0, v0, v101
	v_mul_f32_e32 v101, v185, v189
	s_delay_alu instid0(VALU_DEP_1) | instskip(NEXT) | instid1(VALU_DEP_1)
	v_fma_f32 v101, v184, v188, -v101
	v_dual_add_f32 v0, v0, v101 :: v_dual_mul_f32 v101, v191, v195
	s_delay_alu instid0(VALU_DEP_1) | instskip(NEXT) | instid1(VALU_DEP_1)
	v_fma_f32 v101, v190, v194, -v101
	v_add_f32_e32 v0, v0, v101
	v_mul_f32_e32 v101, v193, v197
	s_delay_alu instid0(VALU_DEP_1) | instskip(NEXT) | instid1(VALU_DEP_1)
	v_fma_f32 v101, v192, v196, -v101
	v_dual_add_f32 v0, v0, v101 :: v_dual_mul_f32 v101, v199, v203
	s_delay_alu instid0(VALU_DEP_1) | instskip(NEXT) | instid1(VALU_DEP_1)
	v_fma_f32 v101, v198, v202, -v101
	v_add_f32_e32 v0, v0, v101
	v_mul_f32_e32 v101, v201, v205
	s_delay_alu instid0(VALU_DEP_1) | instskip(NEXT) | instid1(VALU_DEP_1)
	v_fma_f32 v101, v200, v204, -v101
	v_dual_add_f32 v0, v0, v101 :: v_dual_mul_f32 v101, v207, v211
	s_delay_alu instid0(VALU_DEP_1) | instskip(NEXT) | instid1(VALU_DEP_1)
	v_fma_f32 v101, v206, v210, -v101
	v_add_f32_e32 v0, v0, v101
	v_mul_f32_e32 v101, v209, v213
	s_delay_alu instid0(VALU_DEP_1) | instskip(NEXT) | instid1(VALU_DEP_1)
	v_fma_f32 v101, v208, v212, -v101
	v_dual_add_f32 v0, v0, v101 :: v_dual_mul_f32 v101, v215, v219
	s_delay_alu instid0(VALU_DEP_1) | instskip(NEXT) | instid1(VALU_DEP_1)
	v_fma_f32 v101, v214, v218, -v101
	v_add_f32_e32 v0, v0, v101
	v_mul_f32_e32 v101, v217, v221
	s_delay_alu instid0(VALU_DEP_1) | instskip(NEXT) | instid1(VALU_DEP_1)
	v_fma_f32 v101, v216, v220, -v101
	v_dual_add_f32 v0, v0, v101 :: v_dual_mul_f32 v101, v223, v227
	s_delay_alu instid0(VALU_DEP_1) | instskip(NEXT) | instid1(VALU_DEP_1)
	v_fma_f32 v101, v222, v226, -v101
	v_add_f32_e32 v0, v0, v101
	v_mul_f32_e32 v101, v225, v229
	s_delay_alu instid0(VALU_DEP_1) | instskip(NEXT) | instid1(VALU_DEP_1)
	v_fma_f32 v101, v224, v228, -v101
	v_dual_add_f32 v0, v0, v101 :: v_dual_mul_f32 v101, v231, v235
	s_delay_alu instid0(VALU_DEP_1) | instskip(NEXT) | instid1(VALU_DEP_1)
	v_fma_f32 v101, v230, v234, -v101
	v_add_f32_e32 v0, v0, v101
	v_mul_f32_e32 v101, v233, v237
	s_delay_alu instid0(VALU_DEP_1) | instskip(NEXT) | instid1(VALU_DEP_1)
	v_fma_f32 v101, v232, v236, -v101
	v_dual_add_f32 v0, v0, v101 :: v_dual_mul_f32 v101, v239, v243
	s_delay_alu instid0(VALU_DEP_1) | instskip(NEXT) | instid1(VALU_DEP_1)
	v_fma_f32 v101, v238, v242, -v101
	v_add_f32_e32 v0, v0, v101
	v_mul_f32_e32 v101, v241, v245
	s_delay_alu instid0(VALU_DEP_1) | instskip(NEXT) | instid1(VALU_DEP_1)
	v_fma_f32 v101, v240, v244, -v101
	v_dual_add_f32 v0, v0, v101 :: v_dual_mul_f32 v101, v247, v251
	s_delay_alu instid0(VALU_DEP_1) | instskip(NEXT) | instid1(VALU_DEP_1)
	v_fma_f32 v101, v246, v250, -v101
	v_add_f32_e32 v0, v0, v101
	v_mul_f32_e32 v101, v249, v253
	s_delay_alu instid0(VALU_DEP_1) | instskip(NEXT) | instid1(VALU_DEP_1)
	v_fma_f32 v101, v248, v252, -v101
	v_add_f32_e32 v0, v0, v101
	s_wait_loadcnt_dscnt 0x404
	s_set_vgpr_msb 4                        ;  msbs: dst=0 src0=0 src1=1 src2=0
	v_mul_f32_e32 v101, v255, v3 /*v259*/
	s_set_vgpr_msb 0x44                     ;  msbs: dst=1 src0=0 src1=1 src2=0
	s_delay_alu instid0(VALU_DEP_1)
	v_dual_mul_f32 v23 /*v279*/, v254, v3 /*v259*/ :: v_dual_fma_f32 v22 /*v278*/, v254, v2 /*v258*/, -v101
	s_set_vgpr_msb 5                        ;  msbs: dst=0 src0=1 src1=1 src2=0
	v_mul_f32_e32 v101, v1 /*v257*/, v5 /*v261*/
	s_set_vgpr_msb 0x45                     ;  msbs: dst=1 src0=1 src1=1 src2=0
	v_mul_f32_e32 v25 /*v281*/, v0 /*v256*/, v5 /*v261*/
	s_set_vgpr_msb 0x44                     ;  msbs: dst=1 src0=0 src1=1 src2=0
	v_fmac_f32_e32 v23 /*v279*/, v255, v2 /*v258*/
	s_set_vgpr_msb 0x45                     ;  msbs: dst=1 src0=1 src1=1 src2=0
	v_fma_f32 v24 /*v280*/, v0 /*v256*/, v4 /*v260*/, -v101
	s_wait_loadcnt_dscnt 0x303
	s_set_vgpr_msb 4                        ;  msbs: dst=0 src0=0 src1=1 src2=0
	v_pk_mul_f32 v[100:101], v[102:103], v[6:7] /*v[262:263]*/ op_sel:[1,1] op_sel_hi:[0,1]
	s_set_vgpr_msb 0x45                     ;  msbs: dst=1 src0=1 src1=1 src2=0
	v_fmac_f32_e32 v25 /*v281*/, v1 /*v257*/, v4 /*v260*/
	s_set_vgpr_msb 4                        ;  msbs: dst=0 src0=0 src1=1 src2=0
	v_pk_add_f32 v[0:1], v[0:1], v[22:23] /*v[278:279]*/
	v_pk_fma_f32 v[118:119], v[102:103], v[6:7] /*v[262:263]*/, v[100:101] neg_lo:[0,0,1] neg_hi:[0,0,1]
	v_pk_fma_f32 v[100:101], v[102:103], v[6:7] /*v[262:263]*/, v[100:101] op_sel_hi:[1,0,1]
	v_mov_b32_e32 v100, v105
	s_set_vgpr_msb 1                        ;  msbs: dst=0 src0=1 src1=0 src2=0
	v_mov_b32_e32 v102, v9 /*v265*/
	s_set_vgpr_msb 4                        ;  msbs: dst=0 src0=0 src1=1 src2=0
	v_pk_add_f32 v[0:1], v[0:1], v[24:25] /*v[280:281]*/
	v_dual_mov_b32 v119, v101 :: v_dual_mov_b32 v101, v104
	s_set_vgpr_msb 0                        ;  msbs: dst=0 src0=0 src1=0 src2=0
	s_delay_alu instid0(VALU_DEP_1) | instskip(NEXT) | instid1(VALU_DEP_2)
	v_pk_add_f32 v[0:1], v[0:1], v[118:119]
	v_pk_mul_f32 v[100:101], v[100:101], v[102:103] op_sel_hi:[1,0]
	s_set_vgpr_msb 4                        ;  msbs: dst=0 src0=0 src1=1 src2=0
	s_delay_alu instid0(VALU_DEP_1) | instskip(SKIP_1) | instid1(VALU_DEP_1)
	v_pk_fma_f32 v[102:103], v[104:105], v[8:9] /*v[264:265]*/, v[100:101] neg_lo:[0,0,1] neg_hi:[0,0,1]
	v_pk_fma_f32 v[100:101], v[104:105], v[8:9] /*v[264:265]*/, v[100:101] op_sel_hi:[1,0,1]
	v_mov_b32_e32 v103, v101
	s_wait_loadcnt_dscnt 0x202
	v_pk_mul_f32 v[100:101], v[106:107], v[10:11] /*v[266:267]*/ op_sel:[1,1] op_sel_hi:[0,1]
	s_set_vgpr_msb 0                        ;  msbs: dst=0 src0=0 src1=0 src2=0
	s_delay_alu instid0(VALU_DEP_2) | instskip(SKIP_1) | instid1(VALU_DEP_2)
	v_pk_add_f32 v[0:1], v[0:1], v[102:103]
	s_set_vgpr_msb 4                        ;  msbs: dst=0 src0=0 src1=1 src2=0
	v_pk_fma_f32 v[102:103], v[106:107], v[10:11] /*v[266:267]*/, v[100:101] neg_lo:[0,0,1] neg_hi:[0,0,1]
	v_pk_fma_f32 v[100:101], v[106:107], v[10:11] /*v[266:267]*/, v[100:101] op_sel_hi:[1,0,1]
	s_delay_alu instid0(VALU_DEP_1) | instskip(SKIP_2) | instid1(VALU_DEP_2)
	v_dual_mov_b32 v100, v109 :: v_dual_mov_b32 v103, v101
	v_mov_b32_e32 v101, v108
	s_set_vgpr_msb 0                        ;  msbs: dst=0 src0=0 src1=0 src2=0
	v_pk_add_f32 v[0:1], v[0:1], v[102:103]
	s_set_vgpr_msb 1                        ;  msbs: dst=0 src0=1 src1=0 src2=0
	v_mov_b32_e32 v102, v13 /*v269*/
	s_set_vgpr_msb 0                        ;  msbs: dst=0 src0=0 src1=0 src2=0
	s_delay_alu instid0(VALU_DEP_1) | instskip(SKIP_1) | instid1(VALU_DEP_1)
	v_pk_mul_f32 v[100:101], v[100:101], v[102:103] op_sel_hi:[1,0]
	s_set_vgpr_msb 4                        ;  msbs: dst=0 src0=0 src1=1 src2=0
	v_pk_fma_f32 v[102:103], v[108:109], v[12:13] /*v[268:269]*/, v[100:101] neg_lo:[0,0,1] neg_hi:[0,0,1]
	v_pk_fma_f32 v[100:101], v[108:109], v[12:13] /*v[268:269]*/, v[100:101] op_sel_hi:[1,0,1]
	s_delay_alu instid0(VALU_DEP_1) | instskip(SKIP_3) | instid1(VALU_DEP_2)
	v_mov_b32_e32 v103, v101
	s_wait_loadcnt_dscnt 0x101
	v_pk_mul_f32 v[100:101], v[110:111], v[14:15] /*v[270:271]*/ op_sel:[1,1] op_sel_hi:[0,1]
	s_set_vgpr_msb 0                        ;  msbs: dst=0 src0=0 src1=0 src2=0
	v_pk_add_f32 v[0:1], v[0:1], v[102:103]
	s_set_vgpr_msb 4                        ;  msbs: dst=0 src0=0 src1=1 src2=0
	s_delay_alu instid0(VALU_DEP_2) | instskip(SKIP_1) | instid1(VALU_DEP_1)
	v_pk_fma_f32 v[102:103], v[110:111], v[14:15] /*v[270:271]*/, v[100:101] neg_lo:[0,0,1] neg_hi:[0,0,1]
	v_pk_fma_f32 v[100:101], v[110:111], v[14:15] /*v[270:271]*/, v[100:101] op_sel_hi:[1,0,1]
	v_dual_mov_b32 v100, v113 :: v_dual_mov_b32 v103, v101
	v_mov_b32_e32 v101, v112
	s_set_vgpr_msb 0                        ;  msbs: dst=0 src0=0 src1=0 src2=0
	s_delay_alu instid0(VALU_DEP_2) | instskip(SKIP_3) | instid1(VALU_DEP_1)
	v_pk_add_f32 v[0:1], v[0:1], v[102:103]
	s_set_vgpr_msb 1                        ;  msbs: dst=0 src0=1 src1=0 src2=0
	v_mov_b32_e32 v102, v17 /*v273*/
	s_set_vgpr_msb 0                        ;  msbs: dst=0 src0=0 src1=0 src2=0
	v_pk_mul_f32 v[100:101], v[100:101], v[102:103] op_sel_hi:[1,0]
	s_set_vgpr_msb 4                        ;  msbs: dst=0 src0=0 src1=1 src2=0
	s_delay_alu instid0(VALU_DEP_1) | instskip(SKIP_1) | instid1(VALU_DEP_1)
	v_pk_fma_f32 v[102:103], v[112:113], v[16:17] /*v[272:273]*/, v[100:101] neg_lo:[0,0,1] neg_hi:[0,0,1]
	v_pk_fma_f32 v[100:101], v[112:113], v[16:17] /*v[272:273]*/, v[100:101] op_sel_hi:[1,0,1]
	v_mov_b32_e32 v103, v101
	s_wait_loadcnt_dscnt 0x0
	v_pk_mul_f32 v[100:101], v[114:115], v[18:19] /*v[274:275]*/ op_sel:[1,1] op_sel_hi:[0,1]
	s_set_vgpr_msb 0                        ;  msbs: dst=0 src0=0 src1=0 src2=0
	s_delay_alu instid0(VALU_DEP_2) | instskip(SKIP_1) | instid1(VALU_DEP_2)
	v_pk_add_f32 v[0:1], v[0:1], v[102:103]
	s_set_vgpr_msb 4                        ;  msbs: dst=0 src0=0 src1=1 src2=0
	v_pk_fma_f32 v[102:103], v[114:115], v[18:19] /*v[274:275]*/, v[100:101] neg_lo:[0,0,1] neg_hi:[0,0,1]
	v_pk_fma_f32 v[100:101], v[114:115], v[18:19] /*v[274:275]*/, v[100:101] op_sel_hi:[1,0,1]
	s_delay_alu instid0(VALU_DEP_1) | instskip(SKIP_2) | instid1(VALU_DEP_2)
	v_dual_mov_b32 v100, v117 :: v_dual_mov_b32 v103, v101
	v_mov_b32_e32 v101, v116
	s_set_vgpr_msb 0                        ;  msbs: dst=0 src0=0 src1=0 src2=0
	v_pk_add_f32 v[0:1], v[0:1], v[102:103]
	s_set_vgpr_msb 1                        ;  msbs: dst=0 src0=1 src1=0 src2=0
	v_mov_b32_e32 v102, v21 /*v277*/
	s_set_vgpr_msb 0                        ;  msbs: dst=0 src0=0 src1=0 src2=0
	s_delay_alu instid0(VALU_DEP_1) | instskip(SKIP_1) | instid1(VALU_DEP_1)
	v_pk_mul_f32 v[100:101], v[100:101], v[102:103] op_sel_hi:[1,0]
	s_set_vgpr_msb 4                        ;  msbs: dst=0 src0=0 src1=1 src2=0
	v_pk_fma_f32 v[102:103], v[116:117], v[20:21] /*v[276:277]*/, v[100:101] neg_lo:[0,0,1] neg_hi:[0,0,1]
	v_pk_fma_f32 v[100:101], v[116:117], v[20:21] /*v[276:277]*/, v[100:101] op_sel_hi:[1,0,1]
	s_delay_alu instid0(VALU_DEP_1) | instskip(SKIP_4) | instid1(VALU_DEP_1)
	v_mov_b32_e32 v103, v101
	scratch_load_b64 v[100:101], off, off
	s_set_vgpr_msb 0                        ;  msbs: dst=0 src0=0 src1=0 src2=0
	v_pk_add_f32 v[0:1], v[0:1], v[102:103]
	s_wait_loadcnt 0x0
	v_pk_add_f32 v[0:1], v[100:101], v[0:1] neg_lo:[0,1] neg_hi:[0,1]
	scratch_store_b64 off, v[0:1], off
	s_cbranch_vccz .LBB48_404
; %bb.308:
	s_wait_xcnt 0x0
	v_mov_b32_e32 v0, 0
	global_load_b32 v1, v0, s[2:3] offset:188
	s_wait_loadcnt 0x0
	v_cmp_ne_u32_e32 vcc_lo, 48, v1
	s_cbranch_vccz .LBB48_310
; %bb.309:
	v_lshlrev_b32_e32 v1, 3, v1
	scratch_load_b64 v[100:101], v1, off offset:-8
	scratch_load_b64 v[102:103], off, off offset:376
	s_wait_loadcnt 0x1
	scratch_store_b64 off, v[100:101], off offset:376
	s_wait_loadcnt 0x0
	scratch_store_b64 v1, v[102:103], off offset:-8
.LBB48_310:
	global_load_b32 v0, v0, s[2:3] offset:184
	s_wait_loadcnt 0x0
	v_cmp_eq_u32_e32 vcc_lo, 47, v0
	s_cbranch_vccnz .LBB48_312
; %bb.311:
	s_wait_xcnt 0x0
	v_lshlrev_b32_e32 v0, 3, v0
	s_delay_alu instid0(VALU_DEP_1)
	v_mov_b32_e32 v102, v0
	scratch_load_b64 v[0:1], v102, off offset:-8
	scratch_load_b64 v[100:101], off, off offset:368
	s_wait_loadcnt 0x1
	scratch_store_b64 off, v[0:1], off offset:368
	s_wait_loadcnt 0x0
	scratch_store_b64 v102, v[100:101], off offset:-8
.LBB48_312:
	s_wait_xcnt 0x0
	v_mov_b32_e32 v0, 0
	global_load_b32 v1, v0, s[2:3] offset:180
	s_wait_loadcnt 0x0
	v_cmp_eq_u32_e32 vcc_lo, 46, v1
	s_cbranch_vccnz .LBB48_314
; %bb.313:
	v_lshlrev_b32_e32 v1, 3, v1
	scratch_load_b64 v[100:101], v1, off offset:-8
	scratch_load_b64 v[102:103], off, off offset:360
	s_wait_loadcnt 0x1
	scratch_store_b64 off, v[100:101], off offset:360
	s_wait_loadcnt 0x0
	scratch_store_b64 v1, v[102:103], off offset:-8
.LBB48_314:
	global_load_b32 v0, v0, s[2:3] offset:176
	s_wait_loadcnt 0x0
	v_cmp_eq_u32_e32 vcc_lo, 45, v0
	s_cbranch_vccnz .LBB48_316
; %bb.315:
	s_wait_xcnt 0x0
	v_lshlrev_b32_e32 v0, 3, v0
	s_delay_alu instid0(VALU_DEP_1)
	v_mov_b32_e32 v102, v0
	scratch_load_b64 v[0:1], v102, off offset:-8
	scratch_load_b64 v[100:101], off, off offset:352
	s_wait_loadcnt 0x1
	scratch_store_b64 off, v[0:1], off offset:352
	s_wait_loadcnt 0x0
	scratch_store_b64 v102, v[100:101], off offset:-8
.LBB48_316:
	s_wait_xcnt 0x0
	v_mov_b32_e32 v0, 0
	global_load_b32 v1, v0, s[2:3] offset:172
	s_wait_loadcnt 0x0
	v_cmp_eq_u32_e32 vcc_lo, 44, v1
	s_cbranch_vccnz .LBB48_318
; %bb.317:
	v_lshlrev_b32_e32 v1, 3, v1
	scratch_load_b64 v[100:101], v1, off offset:-8
	scratch_load_b64 v[102:103], off, off offset:344
	s_wait_loadcnt 0x1
	scratch_store_b64 off, v[100:101], off offset:344
	s_wait_loadcnt 0x0
	scratch_store_b64 v1, v[102:103], off offset:-8
.LBB48_318:
	;; [unrolled: 31-line block ×23, first 2 shown]
	global_load_b32 v100, v0, s[2:3]
	scratch_load_b64 v[0:1], off, off
	s_wait_loadcnt 0x1
	v_cmp_eq_u32_e32 vcc_lo, 1, v100
	s_cbranch_vccnz .LBB48_404
; %bb.403:
	v_lshlrev_b32_e32 v100, 3, v100
	s_delay_alu instid0(VALU_DEP_1)
	v_mov_b32_e32 v102, v100
	scratch_load_b64 v[100:101], v102, off offset:-8
	s_wait_loadcnt 0x0
	scratch_store_b64 off, v[100:101], off
	scratch_store_b64 v102, v[0:1], off offset:-8
	scratch_load_b64 v[0:1], off, off
.LBB48_404:
	v_lshl_add_u64 v[100:101], v[6:7], 3, s[4:5]
	v_lshl_add_u64 v[102:103], v[8:9], 3, s[4:5]
	;; [unrolled: 1-line block ×4, first 2 shown]
	s_clause 0x17
	scratch_load_b128 v[96:99], off, off offset:8
	scratch_load_b128 v[104:107], off, off offset:24
	;; [unrolled: 1-line block ×24, first 2 shown]
	v_lshl_add_u64 v[10:11], v[10:11], 3, s[4:5]
	v_lshl_add_u64 v[12:13], v[12:13], 3, s[4:5]
	;; [unrolled: 1-line block ×43, first 2 shown]
	s_wait_loadcnt 0x18
	global_store_b64 v[2:3], v[0:1], off
	s_wait_loadcnt 0x17
	s_clause 0x1
	global_store_b64 v[4:5], v[96:97], off
	global_store_b64 v[100:101], v[98:99], off
	s_wait_loadcnt 0x16
	s_clause 0x1
	global_store_b64 v[102:103], v[104:105], off
	;; [unrolled: 4-line block ×24, first 2 shown]
	global_store_b64 v[8:9], v[194:195], off
	s_sendmsg sendmsg(MSG_DEALLOC_VGPRS)
	s_endpgm
	.section	.rodata,"a",@progbits
	.p2align	6, 0x0
	.amdhsa_kernel _ZN9rocsolver6v33100L18getri_kernel_smallILi49E19rocblas_complex_numIfEPS3_EEvT1_iilPiilS6_bb
		.amdhsa_group_segment_fixed_size 792
		.amdhsa_private_segment_fixed_size 400
		.amdhsa_kernarg_size 60
		.amdhsa_user_sgpr_count 2
		.amdhsa_user_sgpr_dispatch_ptr 0
		.amdhsa_user_sgpr_queue_ptr 0
		.amdhsa_user_sgpr_kernarg_segment_ptr 1
		.amdhsa_user_sgpr_dispatch_id 0
		.amdhsa_user_sgpr_kernarg_preload_length 0
		.amdhsa_user_sgpr_kernarg_preload_offset 0
		.amdhsa_user_sgpr_private_segment_size 0
		.amdhsa_wavefront_size32 1
		.amdhsa_uses_dynamic_stack 0
		.amdhsa_enable_private_segment 1
		.amdhsa_system_sgpr_workgroup_id_x 1
		.amdhsa_system_sgpr_workgroup_id_y 0
		.amdhsa_system_sgpr_workgroup_id_z 0
		.amdhsa_system_sgpr_workgroup_info 0
		.amdhsa_system_vgpr_workitem_id 0
		.amdhsa_next_free_vgpr 309
		.amdhsa_next_free_sgpr 19
		.amdhsa_named_barrier_count 0
		.amdhsa_reserve_vcc 1
		.amdhsa_float_round_mode_32 0
		.amdhsa_float_round_mode_16_64 0
		.amdhsa_float_denorm_mode_32 3
		.amdhsa_float_denorm_mode_16_64 3
		.amdhsa_fp16_overflow 0
		.amdhsa_memory_ordered 1
		.amdhsa_forward_progress 1
		.amdhsa_inst_pref_size 255
		.amdhsa_round_robin_scheduling 0
		.amdhsa_exception_fp_ieee_invalid_op 0
		.amdhsa_exception_fp_denorm_src 0
		.amdhsa_exception_fp_ieee_div_zero 0
		.amdhsa_exception_fp_ieee_overflow 0
		.amdhsa_exception_fp_ieee_underflow 0
		.amdhsa_exception_fp_ieee_inexact 0
		.amdhsa_exception_int_div_zero 0
	.end_amdhsa_kernel
	.section	.text._ZN9rocsolver6v33100L18getri_kernel_smallILi49E19rocblas_complex_numIfEPS3_EEvT1_iilPiilS6_bb,"axG",@progbits,_ZN9rocsolver6v33100L18getri_kernel_smallILi49E19rocblas_complex_numIfEPS3_EEvT1_iilPiilS6_bb,comdat
.Lfunc_end48:
	.size	_ZN9rocsolver6v33100L18getri_kernel_smallILi49E19rocblas_complex_numIfEPS3_EEvT1_iilPiilS6_bb, .Lfunc_end48-_ZN9rocsolver6v33100L18getri_kernel_smallILi49E19rocblas_complex_numIfEPS3_EEvT1_iilPiilS6_bb
                                        ; -- End function
	.set _ZN9rocsolver6v33100L18getri_kernel_smallILi49E19rocblas_complex_numIfEPS3_EEvT1_iilPiilS6_bb.num_vgpr, 309
	.set _ZN9rocsolver6v33100L18getri_kernel_smallILi49E19rocblas_complex_numIfEPS3_EEvT1_iilPiilS6_bb.num_agpr, 0
	.set _ZN9rocsolver6v33100L18getri_kernel_smallILi49E19rocblas_complex_numIfEPS3_EEvT1_iilPiilS6_bb.numbered_sgpr, 19
	.set _ZN9rocsolver6v33100L18getri_kernel_smallILi49E19rocblas_complex_numIfEPS3_EEvT1_iilPiilS6_bb.num_named_barrier, 0
	.set _ZN9rocsolver6v33100L18getri_kernel_smallILi49E19rocblas_complex_numIfEPS3_EEvT1_iilPiilS6_bb.private_seg_size, 400
	.set _ZN9rocsolver6v33100L18getri_kernel_smallILi49E19rocblas_complex_numIfEPS3_EEvT1_iilPiilS6_bb.uses_vcc, 1
	.set _ZN9rocsolver6v33100L18getri_kernel_smallILi49E19rocblas_complex_numIfEPS3_EEvT1_iilPiilS6_bb.uses_flat_scratch, 1
	.set _ZN9rocsolver6v33100L18getri_kernel_smallILi49E19rocblas_complex_numIfEPS3_EEvT1_iilPiilS6_bb.has_dyn_sized_stack, 0
	.set _ZN9rocsolver6v33100L18getri_kernel_smallILi49E19rocblas_complex_numIfEPS3_EEvT1_iilPiilS6_bb.has_recursion, 0
	.set _ZN9rocsolver6v33100L18getri_kernel_smallILi49E19rocblas_complex_numIfEPS3_EEvT1_iilPiilS6_bb.has_indirect_call, 0
	.section	.AMDGPU.csdata,"",@progbits
; Kernel info:
; codeLenInByte = 90004
; TotalNumSgprs: 21
; NumVgprs: 309
; ScratchSize: 400
; MemoryBound: 0
; FloatMode: 240
; IeeeMode: 1
; LDSByteSize: 792 bytes/workgroup (compile time only)
; SGPRBlocks: 0
; VGPRBlocks: 19
; NumSGPRsForWavesPerEU: 21
; NumVGPRsForWavesPerEU: 309
; NamedBarCnt: 0
; Occupancy: 3
; WaveLimiterHint : 1
; COMPUTE_PGM_RSRC2:SCRATCH_EN: 1
; COMPUTE_PGM_RSRC2:USER_SGPR: 2
; COMPUTE_PGM_RSRC2:TRAP_HANDLER: 0
; COMPUTE_PGM_RSRC2:TGID_X_EN: 1
; COMPUTE_PGM_RSRC2:TGID_Y_EN: 0
; COMPUTE_PGM_RSRC2:TGID_Z_EN: 0
; COMPUTE_PGM_RSRC2:TIDIG_COMP_CNT: 0
	.section	.text._ZN9rocsolver6v33100L18getri_kernel_smallILi50E19rocblas_complex_numIfEPS3_EEvT1_iilPiilS6_bb,"axG",@progbits,_ZN9rocsolver6v33100L18getri_kernel_smallILi50E19rocblas_complex_numIfEPS3_EEvT1_iilPiilS6_bb,comdat
	.globl	_ZN9rocsolver6v33100L18getri_kernel_smallILi50E19rocblas_complex_numIfEPS3_EEvT1_iilPiilS6_bb ; -- Begin function _ZN9rocsolver6v33100L18getri_kernel_smallILi50E19rocblas_complex_numIfEPS3_EEvT1_iilPiilS6_bb
	.p2align	8
	.type	_ZN9rocsolver6v33100L18getri_kernel_smallILi50E19rocblas_complex_numIfEPS3_EEvT1_iilPiilS6_bb,@function
_ZN9rocsolver6v33100L18getri_kernel_smallILi50E19rocblas_complex_numIfEPS3_EEvT1_iilPiilS6_bb: ; @_ZN9rocsolver6v33100L18getri_kernel_smallILi50E19rocblas_complex_numIfEPS3_EEvT1_iilPiilS6_bb
; %bb.0:
	s_mov_b32 s2, exec_lo
	v_cmpx_gt_u32_e32 50, v0
	s_cbranch_execz .LBB49_214
; %bb.1:
	s_clause 0x2
	s_load_b32 s2, s[0:1], 0x38
	s_load_b128 s[12:15], s[0:1], 0x10
	s_load_b128 s[4:7], s[0:1], 0x28
	s_getreg_b32 s9, hwreg(HW_REG_IB_STS2, 6, 4)
	s_wait_kmcnt 0x0
	s_bitcmp1_b32 s2, 8
	s_cselect_b32 s18, -1, 0
	s_bfe_u32 s3, ttmp6, 0x4000c
	s_and_b32 s8, ttmp6, 15
	s_add_co_i32 s3, s3, 1
	s_delay_alu instid0(SALU_CYCLE_1) | instskip(NEXT) | instid1(SALU_CYCLE_1)
	s_mul_i32 s3, ttmp9, s3
	s_add_co_i32 s8, s8, s3
	s_cmp_eq_u32 s9, 0
	s_cselect_b32 s16, ttmp9, s8
	s_bfe_u32 s2, s2, 0x10008
	s_ashr_i32 s17, s16, 31
	s_cmp_eq_u32 s2, 0
                                        ; implicit-def: $sgpr2_sgpr3
	s_cbranch_scc1 .LBB49_3
; %bb.2:
	s_load_b32 s2, s[0:1], 0x20
	s_mul_u64 s[4:5], s[4:5], s[16:17]
	s_delay_alu instid0(SALU_CYCLE_1) | instskip(NEXT) | instid1(SALU_CYCLE_1)
	s_lshl_b64 s[4:5], s[4:5], 2
	s_add_nc_u64 s[4:5], s[14:15], s[4:5]
	s_wait_kmcnt 0x0
	s_ashr_i32 s3, s2, 31
	s_delay_alu instid0(SALU_CYCLE_1) | instskip(NEXT) | instid1(SALU_CYCLE_1)
	s_lshl_b64 s[2:3], s[2:3], 2
	s_add_nc_u64 s[2:3], s[4:5], s[2:3]
.LBB49_3:
	s_clause 0x1
	s_load_b128 s[8:11], s[0:1], 0x0
	s_load_b32 s14, s[0:1], 0x38
	s_wait_xcnt 0x0
	s_mul_u64 s[0:1], s[12:13], s[16:17]
	s_delay_alu instid0(SALU_CYCLE_1)
	s_lshl_b64 s[0:1], s[0:1], 3
	s_wait_kmcnt 0x0
	v_add3_u32 v6, s11, s11, v0
	s_ashr_i32 s5, s10, 31
	s_mov_b32 s4, s10
	s_add_nc_u64 s[0:1], s[8:9], s[0:1]
	s_lshl_b64 s[4:5], s[4:5], 3
	v_add_nc_u32_e32 v8, s11, v6
	s_add_nc_u64 s[4:5], s[0:1], s[4:5]
	s_ashr_i32 s1, s11, 31
	s_mov_b32 s0, s11
	s_bitcmp0_b32 s14, 0
	v_add_nc_u32_e32 v10, s11, v8
	s_delay_alu instid0(VALU_DEP_1) | instskip(NEXT) | instid1(VALU_DEP_1)
	v_add_nc_u32_e32 v12, s11, v10
	v_add_nc_u32_e32 v14, s11, v12
	s_delay_alu instid0(VALU_DEP_1) | instskip(NEXT) | instid1(VALU_DEP_1)
	v_add_nc_u32_e32 v16, s11, v14
	;; [unrolled: 3-line block ×14, first 2 shown]
	v_add_nc_u32_e32 v66, s11, v64
	s_delay_alu instid0(VALU_DEP_1) | instskip(NEXT) | instid1(VALU_DEP_1)
	v_dual_lshlrev_b32 v102, 3, v0 :: v_dual_add_nc_u32 v68, s11, v66
	v_dual_mov_b32 v103, 0 :: v_dual_add_nc_u32 v70, s11, v68
	s_delay_alu instid0(VALU_DEP_1) | instskip(NEXT) | instid1(VALU_DEP_2)
	v_add_nc_u64_e32 v[2:3], s[4:5], v[102:103]
	v_add_nc_u32_e32 v72, s11, v70
	s_delay_alu instid0(VALU_DEP_2) | instskip(SKIP_1) | instid1(VALU_DEP_2)
	v_lshl_add_u64 v[4:5], s[0:1], 3, v[2:3]
	s_mov_b32 s1, -1
	v_add_nc_u32_e32 v74, s11, v72
	s_clause 0x9
	global_load_b64 v[104:105], v0, s[4:5] scale_offset
	global_load_b64 v[106:107], v[4:5], off
	global_load_b64 v[108:109], v6, s[4:5] scale_offset
	global_load_b64 v[110:111], v8, s[4:5] scale_offset
	;; [unrolled: 1-line block ×8, first 2 shown]
	v_add_nc_u32_e32 v76, s11, v74
	s_clause 0xf
	global_load_b64 v[124:125], v22, s[4:5] scale_offset
	global_load_b64 v[126:127], v24, s[4:5] scale_offset
	;; [unrolled: 1-line block ×16, first 2 shown]
	v_add_nc_u32_e32 v78, s11, v76
	s_clause 0x7
	global_load_b64 v[156:157], v54, s[4:5] scale_offset
	global_load_b64 v[158:159], v56, s[4:5] scale_offset
	;; [unrolled: 1-line block ×8, first 2 shown]
	v_add_nc_u32_e32 v80, s11, v78
	s_delay_alu instid0(VALU_DEP_1)
	v_add_nc_u32_e32 v82, s11, v80
	s_clause 0x3
	global_load_b64 v[172:173], v70, s[4:5] scale_offset
	global_load_b64 v[174:175], v72, s[4:5] scale_offset
	global_load_b64 v[176:177], v74, s[4:5] scale_offset
	global_load_b64 v[178:179], v76, s[4:5] scale_offset
	v_add_nc_u32_e32 v84, s11, v82
	s_delay_alu instid0(VALU_DEP_1) | instskip(NEXT) | instid1(VALU_DEP_1)
	v_add_nc_u32_e32 v86, s11, v84
	v_add_nc_u32_e32 v88, s11, v86
	s_delay_alu instid0(VALU_DEP_1)
	v_add_nc_u32_e32 v90, s11, v88
	s_clause 0x3
	global_load_b64 v[180:181], v78, s[4:5] scale_offset
	global_load_b64 v[182:183], v80, s[4:5] scale_offset
	;; [unrolled: 1-line block ×4, first 2 shown]
	v_add_nc_u32_e32 v92, s11, v90
	s_delay_alu instid0(VALU_DEP_1)
	v_add_nc_u32_e32 v94, s11, v92
	s_clause 0x3
	global_load_b64 v[188:189], v86, s[4:5] scale_offset
	global_load_b64 v[190:191], v88, s[4:5] scale_offset
	;; [unrolled: 1-line block ×4, first 2 shown]
	v_add_nc_u32_e32 v96, s11, v94
	s_delay_alu instid0(VALU_DEP_1) | instskip(NEXT) | instid1(VALU_DEP_1)
	v_add_nc_u32_e32 v98, s11, v96
	v_add_nc_u32_e32 v100, s11, v98
	s_clause 0x3
	global_load_b64 v[196:197], v94, s[4:5] scale_offset
	global_load_b64 v[198:199], v96, s[4:5] scale_offset
	global_load_b64 v[200:201], v98, s[4:5] scale_offset
	global_load_b64 v[202:203], v100, s[4:5] scale_offset
	s_wait_loadcnt 0x30
	scratch_store_b128 off, v[104:107], off
	s_wait_loadcnt 0x2e
	scratch_store_b128 off, v[108:111], off offset:16
	s_wait_loadcnt 0x2c
	scratch_store_b128 off, v[112:115], off offset:32
	;; [unrolled: 2-line block ×24, first 2 shown]
	s_cbranch_scc1 .LBB49_212
; %bb.4:
	v_cmp_eq_u32_e64 s0, 0, v0
	s_wait_xcnt 0x0
	s_and_saveexec_b32 s1, s0
; %bb.5:
	v_mov_b32_e32 v1, 0
	ds_store_b32 v1, v1 offset:800
; %bb.6:
	s_or_b32 exec_lo, exec_lo, s1
	s_wait_storecnt_dscnt 0x0
	s_barrier_signal -1
	s_barrier_wait -1
	scratch_load_b64 v[104:105], v0, off scale_offset
	s_wait_loadcnt 0x0
	v_cmp_eq_f32_e32 vcc_lo, 0, v104
	v_cmp_eq_f32_e64 s1, 0, v105
	s_and_b32 s1, vcc_lo, s1
	s_delay_alu instid0(SALU_CYCLE_1)
	s_and_saveexec_b32 s8, s1
	s_cbranch_execz .LBB49_10
; %bb.7:
	v_mov_b32_e32 v1, 0
	s_mov_b32 s9, 0
	ds_load_b32 v7, v1 offset:800
	s_wait_dscnt 0x0
	v_readfirstlane_b32 s1, v7
	v_add_nc_u32_e32 v7, 1, v0
	s_cmp_eq_u32 s1, 0
	s_delay_alu instid0(VALU_DEP_1) | instskip(SKIP_1) | instid1(SALU_CYCLE_1)
	v_cmp_gt_i32_e32 vcc_lo, s1, v7
	s_cselect_b32 s10, -1, 0
	s_or_b32 s10, s10, vcc_lo
	s_delay_alu instid0(SALU_CYCLE_1)
	s_and_b32 exec_lo, exec_lo, s10
	s_cbranch_execz .LBB49_10
; %bb.8:
	v_mov_b32_e32 v9, s1
.LBB49_9:                               ; =>This Inner Loop Header: Depth=1
	ds_cmpstore_rtn_b32 v9, v1, v7, v9 offset:800
	s_wait_dscnt 0x0
	v_cmp_ne_u32_e32 vcc_lo, 0, v9
	v_cmp_le_i32_e64 s1, v9, v7
	s_and_b32 s1, vcc_lo, s1
	s_delay_alu instid0(SALU_CYCLE_1) | instskip(NEXT) | instid1(SALU_CYCLE_1)
	s_and_b32 s1, exec_lo, s1
	s_or_b32 s9, s1, s9
	s_delay_alu instid0(SALU_CYCLE_1)
	s_and_not1_b32 exec_lo, exec_lo, s9
	s_cbranch_execnz .LBB49_9
.LBB49_10:
	s_or_b32 exec_lo, exec_lo, s8
	v_mov_b32_e32 v1, 0
	s_barrier_signal -1
	s_barrier_wait -1
	ds_load_b32 v7, v1 offset:800
	s_and_saveexec_b32 s1, s0
	s_cbranch_execz .LBB49_12
; %bb.11:
	s_lshl_b64 s[8:9], s[16:17], 2
	s_delay_alu instid0(SALU_CYCLE_1)
	s_add_nc_u64 s[8:9], s[6:7], s[8:9]
	s_wait_dscnt 0x0
	global_store_b32 v1, v7, s[8:9]
.LBB49_12:
	s_wait_xcnt 0x0
	s_or_b32 exec_lo, exec_lo, s1
	s_wait_dscnt 0x0
	v_cmp_ne_u32_e32 vcc_lo, 0, v7
	s_mov_b32 s1, 0
	s_cbranch_vccnz .LBB49_212
; %bb.13:
	v_lshl_add_u32 v7, v0, 3, 0
                                        ; implicit-def: $vgpr107
                                        ; implicit-def: $vgpr108
	scratch_load_b64 v[104:105], v7, off
	s_wait_loadcnt 0x0
	v_cmp_ngt_f32_e64 s1, |v104|, |v105|
	s_wait_xcnt 0x0
	s_and_saveexec_b32 s8, s1
	s_delay_alu instid0(SALU_CYCLE_1)
	s_xor_b32 s1, exec_lo, s8
	s_cbranch_execz .LBB49_15
; %bb.14:
	v_div_scale_f32 v1, null, v105, v105, v104
	v_div_scale_f32 v13, vcc_lo, v104, v105, v104
	s_delay_alu instid0(VALU_DEP_2) | instskip(SKIP_1) | instid1(TRANS32_DEP_1)
	v_rcp_f32_e32 v9, v1
	v_nop
	v_fma_f32 v11, -v1, v9, 1.0
	s_delay_alu instid0(VALU_DEP_1) | instskip(NEXT) | instid1(VALU_DEP_1)
	v_fmac_f32_e32 v9, v11, v9
	v_mul_f32_e32 v11, v13, v9
	s_delay_alu instid0(VALU_DEP_1) | instskip(NEXT) | instid1(VALU_DEP_1)
	v_fma_f32 v15, -v1, v11, v13
	v_fmac_f32_e32 v11, v15, v9
	s_delay_alu instid0(VALU_DEP_1) | instskip(NEXT) | instid1(VALU_DEP_1)
	v_fma_f32 v1, -v1, v11, v13
	v_div_fmas_f32 v1, v1, v9, v11
	s_delay_alu instid0(VALU_DEP_1) | instskip(NEXT) | instid1(VALU_DEP_1)
	v_div_fixup_f32 v1, v1, v105, v104
	v_fmac_f32_e32 v105, v104, v1
	s_delay_alu instid0(VALU_DEP_1) | instskip(NEXT) | instid1(VALU_DEP_1)
	v_div_scale_f32 v9, null, v105, v105, -1.0
	v_rcp_f32_e32 v11, v9
	v_nop
	s_delay_alu instid0(TRANS32_DEP_1) | instskip(NEXT) | instid1(VALU_DEP_1)
	v_fma_f32 v13, -v9, v11, 1.0
	v_fmac_f32_e32 v11, v13, v11
	v_div_scale_f32 v13, vcc_lo, -1.0, v105, -1.0
	s_delay_alu instid0(VALU_DEP_1) | instskip(NEXT) | instid1(VALU_DEP_1)
	v_mul_f32_e32 v15, v13, v11
	v_fma_f32 v17, -v9, v15, v13
	s_delay_alu instid0(VALU_DEP_1) | instskip(NEXT) | instid1(VALU_DEP_1)
	v_fmac_f32_e32 v15, v17, v11
	v_fma_f32 v9, -v9, v15, v13
	s_delay_alu instid0(VALU_DEP_1) | instskip(NEXT) | instid1(VALU_DEP_1)
	v_div_fmas_f32 v9, v9, v11, v15
	v_div_fixup_f32 v107, v9, v105, -1.0
                                        ; implicit-def: $vgpr104_vgpr105
	s_delay_alu instid0(VALU_DEP_1) | instskip(NEXT) | instid1(VALU_DEP_1)
	v_mul_f32_e32 v108, v1, v107
	v_xor_b32_e32 v106, 0x80000000, v108
.LBB49_15:
	s_and_not1_saveexec_b32 s1, s1
	s_cbranch_execz .LBB49_17
; %bb.16:
	v_div_scale_f32 v1, null, v104, v104, v105
	v_div_scale_f32 v13, vcc_lo, v105, v104, v105
	s_delay_alu instid0(VALU_DEP_2) | instskip(SKIP_1) | instid1(TRANS32_DEP_1)
	v_rcp_f32_e32 v9, v1
	v_nop
	v_fma_f32 v11, -v1, v9, 1.0
	s_delay_alu instid0(VALU_DEP_1) | instskip(NEXT) | instid1(VALU_DEP_1)
	v_fmac_f32_e32 v9, v11, v9
	v_mul_f32_e32 v11, v13, v9
	s_delay_alu instid0(VALU_DEP_1) | instskip(NEXT) | instid1(VALU_DEP_1)
	v_fma_f32 v15, -v1, v11, v13
	v_fmac_f32_e32 v11, v15, v9
	s_delay_alu instid0(VALU_DEP_1) | instskip(NEXT) | instid1(VALU_DEP_1)
	v_fma_f32 v1, -v1, v11, v13
	v_div_fmas_f32 v1, v1, v9, v11
	s_delay_alu instid0(VALU_DEP_1) | instskip(NEXT) | instid1(VALU_DEP_1)
	v_div_fixup_f32 v1, v1, v104, v105
	v_fmac_f32_e32 v104, v105, v1
	s_delay_alu instid0(VALU_DEP_1) | instskip(SKIP_1) | instid1(VALU_DEP_2)
	v_div_scale_f32 v9, null, v104, v104, 1.0
	v_div_scale_f32 v15, vcc_lo, 1.0, v104, 1.0
	v_rcp_f32_e32 v11, v9
	v_nop
	s_delay_alu instid0(TRANS32_DEP_1) | instskip(NEXT) | instid1(VALU_DEP_1)
	v_fma_f32 v13, -v9, v11, 1.0
	v_fmac_f32_e32 v11, v13, v11
	s_delay_alu instid0(VALU_DEP_1) | instskip(NEXT) | instid1(VALU_DEP_1)
	v_mul_f32_e32 v13, v15, v11
	v_fma_f32 v17, -v9, v13, v15
	s_delay_alu instid0(VALU_DEP_1) | instskip(NEXT) | instid1(VALU_DEP_1)
	v_fmac_f32_e32 v13, v17, v11
	v_fma_f32 v9, -v9, v13, v15
	s_delay_alu instid0(VALU_DEP_1) | instskip(NEXT) | instid1(VALU_DEP_1)
	v_div_fmas_f32 v9, v9, v11, v13
	v_div_fixup_f32 v106, v9, v104, 1.0
	s_delay_alu instid0(VALU_DEP_1)
	v_xor_b32_e32 v108, 0x80000000, v106
	v_mul_f32_e64 v107, v1, -v106
.LBB49_17:
	s_or_b32 exec_lo, exec_lo, s1
	scratch_store_b64 v7, v[106:107], off
	scratch_load_b64 v[104:105], off, off offset:8
	v_xor_b32_e32 v109, 0x80000000, v107
	v_add_nc_u32_e32 v1, 0x190, v102
	s_wait_loadcnt 0x0
	ds_store_2addr_b64 v102, v[108:109], v[104:105] offset1:50
	s_wait_storecnt_dscnt 0x0
	s_barrier_signal -1
	s_barrier_wait -1
	s_wait_xcnt 0x0
	s_and_saveexec_b32 s1, s0
	s_cbranch_execz .LBB49_19
; %bb.18:
	scratch_load_b64 v[104:105], v7, off
	ds_load_b64 v[106:107], v1
	s_wait_loadcnt_dscnt 0x0
	v_pk_mul_f32 v[110:111], v[106:107], v[104:105] op_sel:[1,1] op_sel_hi:[0,1]
	s_delay_alu instid0(VALU_DEP_1) | instskip(SKIP_2) | instid1(VALU_DEP_3)
	v_pk_fma_f32 v[112:113], v[106:107], v[104:105], v[110:111] op_sel_hi:[1,0,1]
	v_mov_b32_e32 v9, 0
	v_pk_fma_f32 v[104:105], v[106:107], v[104:105], v[110:111] neg_lo:[0,0,1] neg_hi:[0,0,1]
	v_mov_b32_e32 v105, v113
	ds_load_b64 v[108:109], v9 offset:8
	v_pk_add_f32 v[104:105], v[104:105], 0 op_sel_hi:[1,0]
	s_wait_dscnt 0x0
	s_delay_alu instid0(VALU_DEP_1) | instskip(NEXT) | instid1(VALU_DEP_1)
	v_pk_mul_f32 v[106:107], v[104:105], v[108:109] op_sel:[1,1] op_sel_hi:[0,1]
	v_pk_fma_f32 v[110:111], v[104:105], v[108:109], v[106:107] op_sel_hi:[1,0,1]
	v_pk_fma_f32 v[104:105], v[104:105], v[108:109], v[106:107] neg_lo:[0,0,1] neg_hi:[0,0,1]
	s_delay_alu instid0(VALU_DEP_2)
	v_mov_b32_e32 v105, v111
	scratch_store_b64 off, v[104:105], off offset:8
.LBB49_19:
	s_wait_xcnt 0x0
	s_or_b32 exec_lo, exec_lo, s1
	s_wait_storecnt 0x0
	s_barrier_signal -1
	s_barrier_wait -1
	scratch_load_b64 v[104:105], off, off offset:16
	s_mov_b32 s1, exec_lo
	s_wait_loadcnt 0x0
	ds_store_b64 v1, v[104:105]
	s_wait_dscnt 0x0
	s_barrier_signal -1
	s_barrier_wait -1
	v_cmpx_gt_u32_e32 2, v0
	s_cbranch_execz .LBB49_23
; %bb.20:
	scratch_load_b64 v[104:105], v7, off
	ds_load_b64 v[106:107], v1
	s_wait_loadcnt_dscnt 0x0
	v_pk_mul_f32 v[108:109], v[106:107], v[104:105] op_sel:[1,1] op_sel_hi:[0,1]
	s_delay_alu instid0(VALU_DEP_1) | instskip(SKIP_1) | instid1(VALU_DEP_2)
	v_pk_fma_f32 v[110:111], v[106:107], v[104:105], v[108:109] op_sel_hi:[1,0,1]
	v_pk_fma_f32 v[104:105], v[106:107], v[104:105], v[108:109] neg_lo:[0,0,1] neg_hi:[0,0,1]
	v_mov_b32_e32 v105, v111
	s_delay_alu instid0(VALU_DEP_1)
	v_pk_add_f32 v[104:105], v[104:105], 0 op_sel_hi:[1,0]
	s_and_saveexec_b32 s8, s0
	s_cbranch_execz .LBB49_22
; %bb.21:
	scratch_load_b64 v[106:107], off, off offset:8
	v_mov_b32_e32 v7, 0
	ds_load_b64 v[108:109], v7 offset:408
	s_wait_loadcnt_dscnt 0x0
	v_pk_mul_f32 v[110:111], v[108:109], v[106:107] op_sel:[1,1] op_sel_hi:[0,1]
	s_delay_alu instid0(VALU_DEP_1) | instskip(SKIP_1) | instid1(VALU_DEP_2)
	v_pk_fma_f32 v[112:113], v[108:109], v[106:107], v[110:111] op_sel_hi:[1,0,1]
	v_pk_fma_f32 v[106:107], v[108:109], v[106:107], v[110:111] neg_lo:[0,0,1] neg_hi:[0,0,1]
	v_mov_b32_e32 v107, v113
	s_delay_alu instid0(VALU_DEP_1)
	v_pk_add_f32 v[104:105], v[104:105], v[106:107]
.LBB49_22:
	s_or_b32 exec_lo, exec_lo, s8
	v_mov_b32_e32 v7, 0
	ds_load_b64 v[106:107], v7 offset:16
	s_wait_dscnt 0x0
	v_pk_mul_f32 v[108:109], v[104:105], v[106:107] op_sel:[1,1] op_sel_hi:[0,1]
	s_delay_alu instid0(VALU_DEP_1) | instskip(SKIP_1) | instid1(VALU_DEP_2)
	v_pk_fma_f32 v[110:111], v[104:105], v[106:107], v[108:109] op_sel_hi:[1,0,1]
	v_pk_fma_f32 v[104:105], v[104:105], v[106:107], v[108:109] neg_lo:[0,0,1] neg_hi:[0,0,1]
	v_mov_b32_e32 v105, v111
	scratch_store_b64 off, v[104:105], off offset:16
.LBB49_23:
	s_wait_xcnt 0x0
	s_or_b32 exec_lo, exec_lo, s1
	s_wait_storecnt 0x0
	s_barrier_signal -1
	s_barrier_wait -1
	scratch_load_b64 v[104:105], off, off offset:24
	v_add_nc_u32_e32 v7, -1, v0
	s_mov_b32 s0, exec_lo
	s_wait_loadcnt 0x0
	ds_store_b64 v1, v[104:105]
	s_wait_dscnt 0x0
	s_barrier_signal -1
	s_barrier_wait -1
	v_cmpx_gt_u32_e32 3, v0
	s_cbranch_execz .LBB49_27
; %bb.24:
	v_dual_mov_b32 v104, 0 :: v_dual_add_nc_u32 v9, -1, v0
	v_add_nc_u32_e32 v11, 0x190, v102
	v_mov_b32_e32 v13, v102
	s_mov_b32 s1, 0
	s_delay_alu instid0(VALU_DEP_3)
	v_mov_b32_e32 v105, v104
.LBB49_25:                              ; =>This Inner Loop Header: Depth=1
	scratch_load_b64 v[106:107], v13, off
	ds_load_b64 v[108:109], v11
	s_wait_xcnt 0x0
	v_dual_add_nc_u32 v11, 8, v11 :: v_dual_add_nc_u32 v13, 8, v13
	s_wait_loadcnt_dscnt 0x0
	v_pk_mul_f32 v[110:111], v[108:109], v[106:107] op_sel:[1,1] op_sel_hi:[0,1]
	s_delay_alu instid0(VALU_DEP_1) | instskip(SKIP_2) | instid1(VALU_DEP_3)
	v_pk_fma_f32 v[112:113], v[108:109], v[106:107], v[110:111] op_sel_hi:[1,0,1]
	v_add_nc_u32_e32 v9, 1, v9
	v_pk_fma_f32 v[106:107], v[108:109], v[106:107], v[110:111] neg_lo:[0,0,1] neg_hi:[0,0,1]
	v_mov_b32_e32 v107, v113
	s_delay_alu instid0(VALU_DEP_3) | instskip(NEXT) | instid1(VALU_DEP_2)
	v_cmp_lt_u32_e32 vcc_lo, 1, v9
	v_pk_add_f32 v[104:105], v[104:105], v[106:107]
	s_or_b32 s1, vcc_lo, s1
	s_delay_alu instid0(SALU_CYCLE_1)
	s_and_not1_b32 exec_lo, exec_lo, s1
	s_cbranch_execnz .LBB49_25
; %bb.26:
	s_or_b32 exec_lo, exec_lo, s1
	v_mov_b32_e32 v9, 0
	ds_load_b64 v[106:107], v9 offset:24
	s_wait_dscnt 0x0
	v_pk_mul_f32 v[108:109], v[104:105], v[106:107] op_sel:[1,1] op_sel_hi:[0,1]
	s_delay_alu instid0(VALU_DEP_1) | instskip(SKIP_1) | instid1(VALU_DEP_2)
	v_pk_fma_f32 v[110:111], v[104:105], v[106:107], v[108:109] op_sel_hi:[1,0,1]
	v_pk_fma_f32 v[104:105], v[104:105], v[106:107], v[108:109] neg_lo:[0,0,1] neg_hi:[0,0,1]
	v_mov_b32_e32 v105, v111
	scratch_store_b64 off, v[104:105], off offset:24
.LBB49_27:
	s_wait_xcnt 0x0
	s_or_b32 exec_lo, exec_lo, s0
	s_wait_storecnt 0x0
	s_barrier_signal -1
	s_barrier_wait -1
	scratch_load_b64 v[104:105], off, off offset:32
	s_mov_b32 s0, exec_lo
	s_wait_loadcnt 0x0
	ds_store_b64 v1, v[104:105]
	s_wait_dscnt 0x0
	s_barrier_signal -1
	s_barrier_wait -1
	v_cmpx_gt_u32_e32 4, v0
	s_cbranch_execz .LBB49_31
; %bb.28:
	v_dual_mov_b32 v104, 0 :: v_dual_add_nc_u32 v9, -1, v0
	v_add_nc_u32_e32 v11, 0x190, v102
	v_mov_b32_e32 v13, v102
	s_mov_b32 s1, 0
	s_delay_alu instid0(VALU_DEP_3)
	v_mov_b32_e32 v105, v104
.LBB49_29:                              ; =>This Inner Loop Header: Depth=1
	scratch_load_b64 v[106:107], v13, off
	ds_load_b64 v[108:109], v11
	s_wait_xcnt 0x0
	v_dual_add_nc_u32 v11, 8, v11 :: v_dual_add_nc_u32 v13, 8, v13
	s_wait_loadcnt_dscnt 0x0
	v_pk_mul_f32 v[110:111], v[108:109], v[106:107] op_sel:[1,1] op_sel_hi:[0,1]
	s_delay_alu instid0(VALU_DEP_1) | instskip(SKIP_2) | instid1(VALU_DEP_3)
	v_pk_fma_f32 v[112:113], v[108:109], v[106:107], v[110:111] op_sel_hi:[1,0,1]
	v_add_nc_u32_e32 v9, 1, v9
	v_pk_fma_f32 v[106:107], v[108:109], v[106:107], v[110:111] neg_lo:[0,0,1] neg_hi:[0,0,1]
	v_mov_b32_e32 v107, v113
	s_delay_alu instid0(VALU_DEP_3) | instskip(NEXT) | instid1(VALU_DEP_2)
	v_cmp_lt_u32_e32 vcc_lo, 2, v9
	v_pk_add_f32 v[104:105], v[104:105], v[106:107]
	s_or_b32 s1, vcc_lo, s1
	s_delay_alu instid0(SALU_CYCLE_1)
	s_and_not1_b32 exec_lo, exec_lo, s1
	s_cbranch_execnz .LBB49_29
; %bb.30:
	s_or_b32 exec_lo, exec_lo, s1
	v_mov_b32_e32 v9, 0
	ds_load_b64 v[106:107], v9 offset:32
	s_wait_dscnt 0x0
	v_pk_mul_f32 v[108:109], v[104:105], v[106:107] op_sel:[1,1] op_sel_hi:[0,1]
	s_delay_alu instid0(VALU_DEP_1) | instskip(SKIP_1) | instid1(VALU_DEP_2)
	v_pk_fma_f32 v[110:111], v[104:105], v[106:107], v[108:109] op_sel_hi:[1,0,1]
	v_pk_fma_f32 v[104:105], v[104:105], v[106:107], v[108:109] neg_lo:[0,0,1] neg_hi:[0,0,1]
	v_mov_b32_e32 v105, v111
	scratch_store_b64 off, v[104:105], off offset:32
.LBB49_31:
	s_wait_xcnt 0x0
	s_or_b32 exec_lo, exec_lo, s0
	s_wait_storecnt 0x0
	s_barrier_signal -1
	s_barrier_wait -1
	scratch_load_b64 v[104:105], off, off offset:40
	s_mov_b32 s0, exec_lo
	s_wait_loadcnt 0x0
	ds_store_b64 v1, v[104:105]
	s_wait_dscnt 0x0
	s_barrier_signal -1
	s_barrier_wait -1
	v_cmpx_gt_u32_e32 5, v0
	s_cbranch_execz .LBB49_35
; %bb.32:
	v_dual_mov_b32 v104, 0 :: v_dual_add_nc_u32 v9, -1, v0
	v_add_nc_u32_e32 v11, 0x190, v102
	v_mov_b32_e32 v13, v102
	s_mov_b32 s1, 0
	s_delay_alu instid0(VALU_DEP_3)
	v_mov_b32_e32 v105, v104
.LBB49_33:                              ; =>This Inner Loop Header: Depth=1
	scratch_load_b64 v[106:107], v13, off
	ds_load_b64 v[108:109], v11
	s_wait_xcnt 0x0
	v_dual_add_nc_u32 v11, 8, v11 :: v_dual_add_nc_u32 v13, 8, v13
	s_wait_loadcnt_dscnt 0x0
	v_pk_mul_f32 v[110:111], v[108:109], v[106:107] op_sel:[1,1] op_sel_hi:[0,1]
	s_delay_alu instid0(VALU_DEP_1) | instskip(SKIP_2) | instid1(VALU_DEP_3)
	v_pk_fma_f32 v[112:113], v[108:109], v[106:107], v[110:111] op_sel_hi:[1,0,1]
	v_add_nc_u32_e32 v9, 1, v9
	v_pk_fma_f32 v[106:107], v[108:109], v[106:107], v[110:111] neg_lo:[0,0,1] neg_hi:[0,0,1]
	v_mov_b32_e32 v107, v113
	s_delay_alu instid0(VALU_DEP_3) | instskip(NEXT) | instid1(VALU_DEP_2)
	v_cmp_lt_u32_e32 vcc_lo, 3, v9
	v_pk_add_f32 v[104:105], v[104:105], v[106:107]
	s_or_b32 s1, vcc_lo, s1
	s_delay_alu instid0(SALU_CYCLE_1)
	s_and_not1_b32 exec_lo, exec_lo, s1
	s_cbranch_execnz .LBB49_33
; %bb.34:
	s_or_b32 exec_lo, exec_lo, s1
	v_mov_b32_e32 v9, 0
	ds_load_b64 v[106:107], v9 offset:40
	s_wait_dscnt 0x0
	v_pk_mul_f32 v[108:109], v[104:105], v[106:107] op_sel:[1,1] op_sel_hi:[0,1]
	s_delay_alu instid0(VALU_DEP_1) | instskip(SKIP_1) | instid1(VALU_DEP_2)
	v_pk_fma_f32 v[110:111], v[104:105], v[106:107], v[108:109] op_sel_hi:[1,0,1]
	v_pk_fma_f32 v[104:105], v[104:105], v[106:107], v[108:109] neg_lo:[0,0,1] neg_hi:[0,0,1]
	v_mov_b32_e32 v105, v111
	scratch_store_b64 off, v[104:105], off offset:40
.LBB49_35:
	s_wait_xcnt 0x0
	s_or_b32 exec_lo, exec_lo, s0
	s_wait_storecnt 0x0
	s_barrier_signal -1
	s_barrier_wait -1
	scratch_load_b64 v[104:105], off, off offset:48
	s_mov_b32 s0, exec_lo
	s_wait_loadcnt 0x0
	ds_store_b64 v1, v[104:105]
	s_wait_dscnt 0x0
	s_barrier_signal -1
	s_barrier_wait -1
	v_cmpx_gt_u32_e32 6, v0
	s_cbranch_execz .LBB49_39
; %bb.36:
	v_dual_mov_b32 v104, 0 :: v_dual_add_nc_u32 v9, -1, v0
	v_add_nc_u32_e32 v11, 0x190, v102
	v_mov_b32_e32 v13, v102
	s_mov_b32 s1, 0
	s_delay_alu instid0(VALU_DEP_3)
	v_mov_b32_e32 v105, v104
.LBB49_37:                              ; =>This Inner Loop Header: Depth=1
	scratch_load_b64 v[106:107], v13, off
	ds_load_b64 v[108:109], v11
	s_wait_xcnt 0x0
	v_dual_add_nc_u32 v11, 8, v11 :: v_dual_add_nc_u32 v13, 8, v13
	s_wait_loadcnt_dscnt 0x0
	v_pk_mul_f32 v[110:111], v[108:109], v[106:107] op_sel:[1,1] op_sel_hi:[0,1]
	s_delay_alu instid0(VALU_DEP_1) | instskip(SKIP_2) | instid1(VALU_DEP_3)
	v_pk_fma_f32 v[112:113], v[108:109], v[106:107], v[110:111] op_sel_hi:[1,0,1]
	v_add_nc_u32_e32 v9, 1, v9
	v_pk_fma_f32 v[106:107], v[108:109], v[106:107], v[110:111] neg_lo:[0,0,1] neg_hi:[0,0,1]
	v_mov_b32_e32 v107, v113
	s_delay_alu instid0(VALU_DEP_3) | instskip(NEXT) | instid1(VALU_DEP_2)
	v_cmp_lt_u32_e32 vcc_lo, 4, v9
	v_pk_add_f32 v[104:105], v[104:105], v[106:107]
	s_or_b32 s1, vcc_lo, s1
	s_delay_alu instid0(SALU_CYCLE_1)
	s_and_not1_b32 exec_lo, exec_lo, s1
	s_cbranch_execnz .LBB49_37
; %bb.38:
	s_or_b32 exec_lo, exec_lo, s1
	v_mov_b32_e32 v9, 0
	ds_load_b64 v[106:107], v9 offset:48
	s_wait_dscnt 0x0
	v_pk_mul_f32 v[108:109], v[104:105], v[106:107] op_sel:[1,1] op_sel_hi:[0,1]
	s_delay_alu instid0(VALU_DEP_1) | instskip(SKIP_1) | instid1(VALU_DEP_2)
	v_pk_fma_f32 v[110:111], v[104:105], v[106:107], v[108:109] op_sel_hi:[1,0,1]
	v_pk_fma_f32 v[104:105], v[104:105], v[106:107], v[108:109] neg_lo:[0,0,1] neg_hi:[0,0,1]
	v_mov_b32_e32 v105, v111
	scratch_store_b64 off, v[104:105], off offset:48
.LBB49_39:
	s_wait_xcnt 0x0
	s_or_b32 exec_lo, exec_lo, s0
	s_wait_storecnt 0x0
	s_barrier_signal -1
	s_barrier_wait -1
	scratch_load_b64 v[104:105], off, off offset:56
	s_mov_b32 s0, exec_lo
	s_wait_loadcnt 0x0
	ds_store_b64 v1, v[104:105]
	s_wait_dscnt 0x0
	s_barrier_signal -1
	s_barrier_wait -1
	v_cmpx_gt_u32_e32 7, v0
	s_cbranch_execz .LBB49_43
; %bb.40:
	v_dual_mov_b32 v104, 0 :: v_dual_add_nc_u32 v9, -1, v0
	v_add_nc_u32_e32 v11, 0x190, v102
	v_mov_b32_e32 v13, v102
	s_mov_b32 s1, 0
	s_delay_alu instid0(VALU_DEP_3)
	v_mov_b32_e32 v105, v104
.LBB49_41:                              ; =>This Inner Loop Header: Depth=1
	scratch_load_b64 v[106:107], v13, off
	ds_load_b64 v[108:109], v11
	s_wait_xcnt 0x0
	v_dual_add_nc_u32 v11, 8, v11 :: v_dual_add_nc_u32 v13, 8, v13
	s_wait_loadcnt_dscnt 0x0
	v_pk_mul_f32 v[110:111], v[108:109], v[106:107] op_sel:[1,1] op_sel_hi:[0,1]
	s_delay_alu instid0(VALU_DEP_1) | instskip(SKIP_2) | instid1(VALU_DEP_3)
	v_pk_fma_f32 v[112:113], v[108:109], v[106:107], v[110:111] op_sel_hi:[1,0,1]
	v_add_nc_u32_e32 v9, 1, v9
	v_pk_fma_f32 v[106:107], v[108:109], v[106:107], v[110:111] neg_lo:[0,0,1] neg_hi:[0,0,1]
	v_mov_b32_e32 v107, v113
	s_delay_alu instid0(VALU_DEP_3) | instskip(NEXT) | instid1(VALU_DEP_2)
	v_cmp_lt_u32_e32 vcc_lo, 5, v9
	v_pk_add_f32 v[104:105], v[104:105], v[106:107]
	s_or_b32 s1, vcc_lo, s1
	s_delay_alu instid0(SALU_CYCLE_1)
	s_and_not1_b32 exec_lo, exec_lo, s1
	s_cbranch_execnz .LBB49_41
; %bb.42:
	s_or_b32 exec_lo, exec_lo, s1
	v_mov_b32_e32 v9, 0
	ds_load_b64 v[106:107], v9 offset:56
	s_wait_dscnt 0x0
	v_pk_mul_f32 v[108:109], v[104:105], v[106:107] op_sel:[1,1] op_sel_hi:[0,1]
	s_delay_alu instid0(VALU_DEP_1) | instskip(SKIP_1) | instid1(VALU_DEP_2)
	v_pk_fma_f32 v[110:111], v[104:105], v[106:107], v[108:109] op_sel_hi:[1,0,1]
	v_pk_fma_f32 v[104:105], v[104:105], v[106:107], v[108:109] neg_lo:[0,0,1] neg_hi:[0,0,1]
	v_mov_b32_e32 v105, v111
	scratch_store_b64 off, v[104:105], off offset:56
.LBB49_43:
	s_wait_xcnt 0x0
	s_or_b32 exec_lo, exec_lo, s0
	s_wait_storecnt 0x0
	s_barrier_signal -1
	s_barrier_wait -1
	scratch_load_b64 v[104:105], off, off offset:64
	s_mov_b32 s0, exec_lo
	s_wait_loadcnt 0x0
	ds_store_b64 v1, v[104:105]
	s_wait_dscnt 0x0
	s_barrier_signal -1
	s_barrier_wait -1
	v_cmpx_gt_u32_e32 8, v0
	s_cbranch_execz .LBB49_47
; %bb.44:
	v_dual_mov_b32 v104, 0 :: v_dual_add_nc_u32 v9, -1, v0
	v_add_nc_u32_e32 v11, 0x190, v102
	v_mov_b32_e32 v13, v102
	s_mov_b32 s1, 0
	s_delay_alu instid0(VALU_DEP_3)
	v_mov_b32_e32 v105, v104
.LBB49_45:                              ; =>This Inner Loop Header: Depth=1
	scratch_load_b64 v[106:107], v13, off
	ds_load_b64 v[108:109], v11
	s_wait_xcnt 0x0
	v_dual_add_nc_u32 v11, 8, v11 :: v_dual_add_nc_u32 v13, 8, v13
	s_wait_loadcnt_dscnt 0x0
	v_pk_mul_f32 v[110:111], v[108:109], v[106:107] op_sel:[1,1] op_sel_hi:[0,1]
	s_delay_alu instid0(VALU_DEP_1) | instskip(SKIP_2) | instid1(VALU_DEP_3)
	v_pk_fma_f32 v[112:113], v[108:109], v[106:107], v[110:111] op_sel_hi:[1,0,1]
	v_add_nc_u32_e32 v9, 1, v9
	v_pk_fma_f32 v[106:107], v[108:109], v[106:107], v[110:111] neg_lo:[0,0,1] neg_hi:[0,0,1]
	v_mov_b32_e32 v107, v113
	s_delay_alu instid0(VALU_DEP_3) | instskip(NEXT) | instid1(VALU_DEP_2)
	v_cmp_lt_u32_e32 vcc_lo, 6, v9
	v_pk_add_f32 v[104:105], v[104:105], v[106:107]
	s_or_b32 s1, vcc_lo, s1
	s_delay_alu instid0(SALU_CYCLE_1)
	s_and_not1_b32 exec_lo, exec_lo, s1
	s_cbranch_execnz .LBB49_45
; %bb.46:
	s_or_b32 exec_lo, exec_lo, s1
	v_mov_b32_e32 v9, 0
	ds_load_b64 v[106:107], v9 offset:64
	s_wait_dscnt 0x0
	v_pk_mul_f32 v[108:109], v[104:105], v[106:107] op_sel:[1,1] op_sel_hi:[0,1]
	s_delay_alu instid0(VALU_DEP_1) | instskip(SKIP_1) | instid1(VALU_DEP_2)
	v_pk_fma_f32 v[110:111], v[104:105], v[106:107], v[108:109] op_sel_hi:[1,0,1]
	v_pk_fma_f32 v[104:105], v[104:105], v[106:107], v[108:109] neg_lo:[0,0,1] neg_hi:[0,0,1]
	v_mov_b32_e32 v105, v111
	scratch_store_b64 off, v[104:105], off offset:64
.LBB49_47:
	s_wait_xcnt 0x0
	s_or_b32 exec_lo, exec_lo, s0
	s_wait_storecnt 0x0
	s_barrier_signal -1
	s_barrier_wait -1
	scratch_load_b64 v[104:105], off, off offset:72
	s_mov_b32 s0, exec_lo
	s_wait_loadcnt 0x0
	ds_store_b64 v1, v[104:105]
	s_wait_dscnt 0x0
	s_barrier_signal -1
	s_barrier_wait -1
	v_cmpx_gt_u32_e32 9, v0
	s_cbranch_execz .LBB49_51
; %bb.48:
	v_dual_mov_b32 v104, 0 :: v_dual_add_nc_u32 v9, -1, v0
	v_add_nc_u32_e32 v11, 0x190, v102
	v_mov_b32_e32 v13, v102
	s_mov_b32 s1, 0
	s_delay_alu instid0(VALU_DEP_3)
	v_mov_b32_e32 v105, v104
.LBB49_49:                              ; =>This Inner Loop Header: Depth=1
	scratch_load_b64 v[106:107], v13, off
	ds_load_b64 v[108:109], v11
	s_wait_xcnt 0x0
	v_dual_add_nc_u32 v11, 8, v11 :: v_dual_add_nc_u32 v13, 8, v13
	s_wait_loadcnt_dscnt 0x0
	v_pk_mul_f32 v[110:111], v[108:109], v[106:107] op_sel:[1,1] op_sel_hi:[0,1]
	s_delay_alu instid0(VALU_DEP_1) | instskip(SKIP_2) | instid1(VALU_DEP_3)
	v_pk_fma_f32 v[112:113], v[108:109], v[106:107], v[110:111] op_sel_hi:[1,0,1]
	v_add_nc_u32_e32 v9, 1, v9
	v_pk_fma_f32 v[106:107], v[108:109], v[106:107], v[110:111] neg_lo:[0,0,1] neg_hi:[0,0,1]
	v_mov_b32_e32 v107, v113
	s_delay_alu instid0(VALU_DEP_3) | instskip(NEXT) | instid1(VALU_DEP_2)
	v_cmp_lt_u32_e32 vcc_lo, 7, v9
	v_pk_add_f32 v[104:105], v[104:105], v[106:107]
	s_or_b32 s1, vcc_lo, s1
	s_delay_alu instid0(SALU_CYCLE_1)
	s_and_not1_b32 exec_lo, exec_lo, s1
	s_cbranch_execnz .LBB49_49
; %bb.50:
	s_or_b32 exec_lo, exec_lo, s1
	v_mov_b32_e32 v9, 0
	ds_load_b64 v[106:107], v9 offset:72
	s_wait_dscnt 0x0
	v_pk_mul_f32 v[108:109], v[104:105], v[106:107] op_sel:[1,1] op_sel_hi:[0,1]
	s_delay_alu instid0(VALU_DEP_1) | instskip(SKIP_1) | instid1(VALU_DEP_2)
	v_pk_fma_f32 v[110:111], v[104:105], v[106:107], v[108:109] op_sel_hi:[1,0,1]
	v_pk_fma_f32 v[104:105], v[104:105], v[106:107], v[108:109] neg_lo:[0,0,1] neg_hi:[0,0,1]
	v_mov_b32_e32 v105, v111
	scratch_store_b64 off, v[104:105], off offset:72
.LBB49_51:
	s_wait_xcnt 0x0
	s_or_b32 exec_lo, exec_lo, s0
	s_wait_storecnt 0x0
	s_barrier_signal -1
	s_barrier_wait -1
	scratch_load_b64 v[104:105], off, off offset:80
	s_mov_b32 s0, exec_lo
	s_wait_loadcnt 0x0
	ds_store_b64 v1, v[104:105]
	s_wait_dscnt 0x0
	s_barrier_signal -1
	s_barrier_wait -1
	v_cmpx_gt_u32_e32 10, v0
	s_cbranch_execz .LBB49_55
; %bb.52:
	v_dual_mov_b32 v104, 0 :: v_dual_add_nc_u32 v9, -1, v0
	v_add_nc_u32_e32 v11, 0x190, v102
	v_mov_b32_e32 v13, v102
	s_mov_b32 s1, 0
	s_delay_alu instid0(VALU_DEP_3)
	v_mov_b32_e32 v105, v104
.LBB49_53:                              ; =>This Inner Loop Header: Depth=1
	scratch_load_b64 v[106:107], v13, off
	ds_load_b64 v[108:109], v11
	s_wait_xcnt 0x0
	v_dual_add_nc_u32 v11, 8, v11 :: v_dual_add_nc_u32 v13, 8, v13
	s_wait_loadcnt_dscnt 0x0
	v_pk_mul_f32 v[110:111], v[108:109], v[106:107] op_sel:[1,1] op_sel_hi:[0,1]
	s_delay_alu instid0(VALU_DEP_1) | instskip(SKIP_2) | instid1(VALU_DEP_3)
	v_pk_fma_f32 v[112:113], v[108:109], v[106:107], v[110:111] op_sel_hi:[1,0,1]
	v_add_nc_u32_e32 v9, 1, v9
	v_pk_fma_f32 v[106:107], v[108:109], v[106:107], v[110:111] neg_lo:[0,0,1] neg_hi:[0,0,1]
	v_mov_b32_e32 v107, v113
	s_delay_alu instid0(VALU_DEP_3) | instskip(NEXT) | instid1(VALU_DEP_2)
	v_cmp_lt_u32_e32 vcc_lo, 8, v9
	v_pk_add_f32 v[104:105], v[104:105], v[106:107]
	s_or_b32 s1, vcc_lo, s1
	s_delay_alu instid0(SALU_CYCLE_1)
	s_and_not1_b32 exec_lo, exec_lo, s1
	s_cbranch_execnz .LBB49_53
; %bb.54:
	s_or_b32 exec_lo, exec_lo, s1
	v_mov_b32_e32 v9, 0
	ds_load_b64 v[106:107], v9 offset:80
	s_wait_dscnt 0x0
	v_pk_mul_f32 v[108:109], v[104:105], v[106:107] op_sel:[1,1] op_sel_hi:[0,1]
	s_delay_alu instid0(VALU_DEP_1) | instskip(SKIP_1) | instid1(VALU_DEP_2)
	v_pk_fma_f32 v[110:111], v[104:105], v[106:107], v[108:109] op_sel_hi:[1,0,1]
	v_pk_fma_f32 v[104:105], v[104:105], v[106:107], v[108:109] neg_lo:[0,0,1] neg_hi:[0,0,1]
	v_mov_b32_e32 v105, v111
	scratch_store_b64 off, v[104:105], off offset:80
.LBB49_55:
	s_wait_xcnt 0x0
	s_or_b32 exec_lo, exec_lo, s0
	s_wait_storecnt 0x0
	s_barrier_signal -1
	s_barrier_wait -1
	scratch_load_b64 v[104:105], off, off offset:88
	s_mov_b32 s0, exec_lo
	s_wait_loadcnt 0x0
	ds_store_b64 v1, v[104:105]
	s_wait_dscnt 0x0
	s_barrier_signal -1
	s_barrier_wait -1
	v_cmpx_gt_u32_e32 11, v0
	s_cbranch_execz .LBB49_59
; %bb.56:
	v_dual_mov_b32 v104, 0 :: v_dual_add_nc_u32 v9, -1, v0
	v_add_nc_u32_e32 v11, 0x190, v102
	v_mov_b32_e32 v13, v102
	s_mov_b32 s1, 0
	s_delay_alu instid0(VALU_DEP_3)
	v_mov_b32_e32 v105, v104
.LBB49_57:                              ; =>This Inner Loop Header: Depth=1
	scratch_load_b64 v[106:107], v13, off
	ds_load_b64 v[108:109], v11
	s_wait_xcnt 0x0
	v_dual_add_nc_u32 v11, 8, v11 :: v_dual_add_nc_u32 v13, 8, v13
	s_wait_loadcnt_dscnt 0x0
	v_pk_mul_f32 v[110:111], v[108:109], v[106:107] op_sel:[1,1] op_sel_hi:[0,1]
	s_delay_alu instid0(VALU_DEP_1) | instskip(SKIP_2) | instid1(VALU_DEP_3)
	v_pk_fma_f32 v[112:113], v[108:109], v[106:107], v[110:111] op_sel_hi:[1,0,1]
	v_add_nc_u32_e32 v9, 1, v9
	v_pk_fma_f32 v[106:107], v[108:109], v[106:107], v[110:111] neg_lo:[0,0,1] neg_hi:[0,0,1]
	v_mov_b32_e32 v107, v113
	s_delay_alu instid0(VALU_DEP_3) | instskip(NEXT) | instid1(VALU_DEP_2)
	v_cmp_lt_u32_e32 vcc_lo, 9, v9
	v_pk_add_f32 v[104:105], v[104:105], v[106:107]
	s_or_b32 s1, vcc_lo, s1
	s_delay_alu instid0(SALU_CYCLE_1)
	s_and_not1_b32 exec_lo, exec_lo, s1
	s_cbranch_execnz .LBB49_57
; %bb.58:
	s_or_b32 exec_lo, exec_lo, s1
	v_mov_b32_e32 v9, 0
	ds_load_b64 v[106:107], v9 offset:88
	s_wait_dscnt 0x0
	v_pk_mul_f32 v[108:109], v[104:105], v[106:107] op_sel:[1,1] op_sel_hi:[0,1]
	s_delay_alu instid0(VALU_DEP_1) | instskip(SKIP_1) | instid1(VALU_DEP_2)
	v_pk_fma_f32 v[110:111], v[104:105], v[106:107], v[108:109] op_sel_hi:[1,0,1]
	v_pk_fma_f32 v[104:105], v[104:105], v[106:107], v[108:109] neg_lo:[0,0,1] neg_hi:[0,0,1]
	v_mov_b32_e32 v105, v111
	scratch_store_b64 off, v[104:105], off offset:88
.LBB49_59:
	s_wait_xcnt 0x0
	s_or_b32 exec_lo, exec_lo, s0
	s_wait_storecnt 0x0
	s_barrier_signal -1
	s_barrier_wait -1
	scratch_load_b64 v[104:105], off, off offset:96
	s_mov_b32 s0, exec_lo
	s_wait_loadcnt 0x0
	ds_store_b64 v1, v[104:105]
	s_wait_dscnt 0x0
	s_barrier_signal -1
	s_barrier_wait -1
	v_cmpx_gt_u32_e32 12, v0
	s_cbranch_execz .LBB49_63
; %bb.60:
	v_dual_mov_b32 v104, 0 :: v_dual_add_nc_u32 v9, -1, v0
	v_add_nc_u32_e32 v11, 0x190, v102
	v_mov_b32_e32 v13, v102
	s_mov_b32 s1, 0
	s_delay_alu instid0(VALU_DEP_3)
	v_mov_b32_e32 v105, v104
.LBB49_61:                              ; =>This Inner Loop Header: Depth=1
	scratch_load_b64 v[106:107], v13, off
	ds_load_b64 v[108:109], v11
	s_wait_xcnt 0x0
	v_dual_add_nc_u32 v11, 8, v11 :: v_dual_add_nc_u32 v13, 8, v13
	s_wait_loadcnt_dscnt 0x0
	v_pk_mul_f32 v[110:111], v[108:109], v[106:107] op_sel:[1,1] op_sel_hi:[0,1]
	s_delay_alu instid0(VALU_DEP_1) | instskip(SKIP_2) | instid1(VALU_DEP_3)
	v_pk_fma_f32 v[112:113], v[108:109], v[106:107], v[110:111] op_sel_hi:[1,0,1]
	v_add_nc_u32_e32 v9, 1, v9
	v_pk_fma_f32 v[106:107], v[108:109], v[106:107], v[110:111] neg_lo:[0,0,1] neg_hi:[0,0,1]
	v_mov_b32_e32 v107, v113
	s_delay_alu instid0(VALU_DEP_3) | instskip(NEXT) | instid1(VALU_DEP_2)
	v_cmp_lt_u32_e32 vcc_lo, 10, v9
	v_pk_add_f32 v[104:105], v[104:105], v[106:107]
	s_or_b32 s1, vcc_lo, s1
	s_delay_alu instid0(SALU_CYCLE_1)
	s_and_not1_b32 exec_lo, exec_lo, s1
	s_cbranch_execnz .LBB49_61
; %bb.62:
	s_or_b32 exec_lo, exec_lo, s1
	v_mov_b32_e32 v9, 0
	ds_load_b64 v[106:107], v9 offset:96
	s_wait_dscnt 0x0
	v_pk_mul_f32 v[108:109], v[104:105], v[106:107] op_sel:[1,1] op_sel_hi:[0,1]
	s_delay_alu instid0(VALU_DEP_1) | instskip(SKIP_1) | instid1(VALU_DEP_2)
	v_pk_fma_f32 v[110:111], v[104:105], v[106:107], v[108:109] op_sel_hi:[1,0,1]
	v_pk_fma_f32 v[104:105], v[104:105], v[106:107], v[108:109] neg_lo:[0,0,1] neg_hi:[0,0,1]
	v_mov_b32_e32 v105, v111
	scratch_store_b64 off, v[104:105], off offset:96
.LBB49_63:
	s_wait_xcnt 0x0
	s_or_b32 exec_lo, exec_lo, s0
	s_wait_storecnt 0x0
	s_barrier_signal -1
	s_barrier_wait -1
	scratch_load_b64 v[104:105], off, off offset:104
	s_mov_b32 s0, exec_lo
	s_wait_loadcnt 0x0
	ds_store_b64 v1, v[104:105]
	s_wait_dscnt 0x0
	s_barrier_signal -1
	s_barrier_wait -1
	v_cmpx_gt_u32_e32 13, v0
	s_cbranch_execz .LBB49_67
; %bb.64:
	v_dual_mov_b32 v104, 0 :: v_dual_add_nc_u32 v9, -1, v0
	v_add_nc_u32_e32 v11, 0x190, v102
	v_mov_b32_e32 v13, v102
	s_mov_b32 s1, 0
	s_delay_alu instid0(VALU_DEP_3)
	v_mov_b32_e32 v105, v104
.LBB49_65:                              ; =>This Inner Loop Header: Depth=1
	scratch_load_b64 v[106:107], v13, off
	ds_load_b64 v[108:109], v11
	s_wait_xcnt 0x0
	v_dual_add_nc_u32 v11, 8, v11 :: v_dual_add_nc_u32 v13, 8, v13
	s_wait_loadcnt_dscnt 0x0
	v_pk_mul_f32 v[110:111], v[108:109], v[106:107] op_sel:[1,1] op_sel_hi:[0,1]
	s_delay_alu instid0(VALU_DEP_1) | instskip(SKIP_2) | instid1(VALU_DEP_3)
	v_pk_fma_f32 v[112:113], v[108:109], v[106:107], v[110:111] op_sel_hi:[1,0,1]
	v_add_nc_u32_e32 v9, 1, v9
	v_pk_fma_f32 v[106:107], v[108:109], v[106:107], v[110:111] neg_lo:[0,0,1] neg_hi:[0,0,1]
	v_mov_b32_e32 v107, v113
	s_delay_alu instid0(VALU_DEP_3) | instskip(NEXT) | instid1(VALU_DEP_2)
	v_cmp_lt_u32_e32 vcc_lo, 11, v9
	v_pk_add_f32 v[104:105], v[104:105], v[106:107]
	s_or_b32 s1, vcc_lo, s1
	s_delay_alu instid0(SALU_CYCLE_1)
	s_and_not1_b32 exec_lo, exec_lo, s1
	s_cbranch_execnz .LBB49_65
; %bb.66:
	s_or_b32 exec_lo, exec_lo, s1
	v_mov_b32_e32 v9, 0
	ds_load_b64 v[106:107], v9 offset:104
	s_wait_dscnt 0x0
	v_pk_mul_f32 v[108:109], v[104:105], v[106:107] op_sel:[1,1] op_sel_hi:[0,1]
	s_delay_alu instid0(VALU_DEP_1) | instskip(SKIP_1) | instid1(VALU_DEP_2)
	v_pk_fma_f32 v[110:111], v[104:105], v[106:107], v[108:109] op_sel_hi:[1,0,1]
	v_pk_fma_f32 v[104:105], v[104:105], v[106:107], v[108:109] neg_lo:[0,0,1] neg_hi:[0,0,1]
	v_mov_b32_e32 v105, v111
	scratch_store_b64 off, v[104:105], off offset:104
.LBB49_67:
	s_wait_xcnt 0x0
	s_or_b32 exec_lo, exec_lo, s0
	s_wait_storecnt 0x0
	s_barrier_signal -1
	s_barrier_wait -1
	scratch_load_b64 v[104:105], off, off offset:112
	s_mov_b32 s0, exec_lo
	s_wait_loadcnt 0x0
	ds_store_b64 v1, v[104:105]
	s_wait_dscnt 0x0
	s_barrier_signal -1
	s_barrier_wait -1
	v_cmpx_gt_u32_e32 14, v0
	s_cbranch_execz .LBB49_71
; %bb.68:
	v_dual_mov_b32 v104, 0 :: v_dual_add_nc_u32 v9, -1, v0
	v_add_nc_u32_e32 v11, 0x190, v102
	v_mov_b32_e32 v13, v102
	s_mov_b32 s1, 0
	s_delay_alu instid0(VALU_DEP_3)
	v_mov_b32_e32 v105, v104
.LBB49_69:                              ; =>This Inner Loop Header: Depth=1
	scratch_load_b64 v[106:107], v13, off
	ds_load_b64 v[108:109], v11
	s_wait_xcnt 0x0
	v_dual_add_nc_u32 v11, 8, v11 :: v_dual_add_nc_u32 v13, 8, v13
	s_wait_loadcnt_dscnt 0x0
	v_pk_mul_f32 v[110:111], v[108:109], v[106:107] op_sel:[1,1] op_sel_hi:[0,1]
	s_delay_alu instid0(VALU_DEP_1) | instskip(SKIP_2) | instid1(VALU_DEP_3)
	v_pk_fma_f32 v[112:113], v[108:109], v[106:107], v[110:111] op_sel_hi:[1,0,1]
	v_add_nc_u32_e32 v9, 1, v9
	v_pk_fma_f32 v[106:107], v[108:109], v[106:107], v[110:111] neg_lo:[0,0,1] neg_hi:[0,0,1]
	v_mov_b32_e32 v107, v113
	s_delay_alu instid0(VALU_DEP_3) | instskip(NEXT) | instid1(VALU_DEP_2)
	v_cmp_lt_u32_e32 vcc_lo, 12, v9
	v_pk_add_f32 v[104:105], v[104:105], v[106:107]
	s_or_b32 s1, vcc_lo, s1
	s_delay_alu instid0(SALU_CYCLE_1)
	s_and_not1_b32 exec_lo, exec_lo, s1
	s_cbranch_execnz .LBB49_69
; %bb.70:
	s_or_b32 exec_lo, exec_lo, s1
	v_mov_b32_e32 v9, 0
	ds_load_b64 v[106:107], v9 offset:112
	s_wait_dscnt 0x0
	v_pk_mul_f32 v[108:109], v[104:105], v[106:107] op_sel:[1,1] op_sel_hi:[0,1]
	s_delay_alu instid0(VALU_DEP_1) | instskip(SKIP_1) | instid1(VALU_DEP_2)
	v_pk_fma_f32 v[110:111], v[104:105], v[106:107], v[108:109] op_sel_hi:[1,0,1]
	v_pk_fma_f32 v[104:105], v[104:105], v[106:107], v[108:109] neg_lo:[0,0,1] neg_hi:[0,0,1]
	v_mov_b32_e32 v105, v111
	scratch_store_b64 off, v[104:105], off offset:112
.LBB49_71:
	s_wait_xcnt 0x0
	s_or_b32 exec_lo, exec_lo, s0
	s_wait_storecnt 0x0
	s_barrier_signal -1
	s_barrier_wait -1
	scratch_load_b64 v[104:105], off, off offset:120
	s_mov_b32 s0, exec_lo
	s_wait_loadcnt 0x0
	ds_store_b64 v1, v[104:105]
	s_wait_dscnt 0x0
	s_barrier_signal -1
	s_barrier_wait -1
	v_cmpx_gt_u32_e32 15, v0
	s_cbranch_execz .LBB49_75
; %bb.72:
	v_dual_mov_b32 v104, 0 :: v_dual_add_nc_u32 v9, -1, v0
	v_add_nc_u32_e32 v11, 0x190, v102
	v_mov_b32_e32 v13, v102
	s_mov_b32 s1, 0
	s_delay_alu instid0(VALU_DEP_3)
	v_mov_b32_e32 v105, v104
.LBB49_73:                              ; =>This Inner Loop Header: Depth=1
	scratch_load_b64 v[106:107], v13, off
	ds_load_b64 v[108:109], v11
	s_wait_xcnt 0x0
	v_dual_add_nc_u32 v11, 8, v11 :: v_dual_add_nc_u32 v13, 8, v13
	s_wait_loadcnt_dscnt 0x0
	v_pk_mul_f32 v[110:111], v[108:109], v[106:107] op_sel:[1,1] op_sel_hi:[0,1]
	s_delay_alu instid0(VALU_DEP_1) | instskip(SKIP_2) | instid1(VALU_DEP_3)
	v_pk_fma_f32 v[112:113], v[108:109], v[106:107], v[110:111] op_sel_hi:[1,0,1]
	v_add_nc_u32_e32 v9, 1, v9
	v_pk_fma_f32 v[106:107], v[108:109], v[106:107], v[110:111] neg_lo:[0,0,1] neg_hi:[0,0,1]
	v_mov_b32_e32 v107, v113
	s_delay_alu instid0(VALU_DEP_3) | instskip(NEXT) | instid1(VALU_DEP_2)
	v_cmp_lt_u32_e32 vcc_lo, 13, v9
	v_pk_add_f32 v[104:105], v[104:105], v[106:107]
	s_or_b32 s1, vcc_lo, s1
	s_delay_alu instid0(SALU_CYCLE_1)
	s_and_not1_b32 exec_lo, exec_lo, s1
	s_cbranch_execnz .LBB49_73
; %bb.74:
	s_or_b32 exec_lo, exec_lo, s1
	v_mov_b32_e32 v9, 0
	ds_load_b64 v[106:107], v9 offset:120
	s_wait_dscnt 0x0
	v_pk_mul_f32 v[108:109], v[104:105], v[106:107] op_sel:[1,1] op_sel_hi:[0,1]
	s_delay_alu instid0(VALU_DEP_1) | instskip(SKIP_1) | instid1(VALU_DEP_2)
	v_pk_fma_f32 v[110:111], v[104:105], v[106:107], v[108:109] op_sel_hi:[1,0,1]
	v_pk_fma_f32 v[104:105], v[104:105], v[106:107], v[108:109] neg_lo:[0,0,1] neg_hi:[0,0,1]
	v_mov_b32_e32 v105, v111
	scratch_store_b64 off, v[104:105], off offset:120
.LBB49_75:
	s_wait_xcnt 0x0
	s_or_b32 exec_lo, exec_lo, s0
	s_wait_storecnt 0x0
	s_barrier_signal -1
	s_barrier_wait -1
	scratch_load_b64 v[104:105], off, off offset:128
	s_mov_b32 s0, exec_lo
	s_wait_loadcnt 0x0
	ds_store_b64 v1, v[104:105]
	s_wait_dscnt 0x0
	s_barrier_signal -1
	s_barrier_wait -1
	v_cmpx_gt_u32_e32 16, v0
	s_cbranch_execz .LBB49_79
; %bb.76:
	v_dual_mov_b32 v104, 0 :: v_dual_add_nc_u32 v9, -1, v0
	v_add_nc_u32_e32 v11, 0x190, v102
	v_mov_b32_e32 v13, v102
	s_mov_b32 s1, 0
	s_delay_alu instid0(VALU_DEP_3)
	v_mov_b32_e32 v105, v104
.LBB49_77:                              ; =>This Inner Loop Header: Depth=1
	scratch_load_b64 v[106:107], v13, off
	ds_load_b64 v[108:109], v11
	s_wait_xcnt 0x0
	v_dual_add_nc_u32 v11, 8, v11 :: v_dual_add_nc_u32 v13, 8, v13
	s_wait_loadcnt_dscnt 0x0
	v_pk_mul_f32 v[110:111], v[108:109], v[106:107] op_sel:[1,1] op_sel_hi:[0,1]
	s_delay_alu instid0(VALU_DEP_1) | instskip(SKIP_2) | instid1(VALU_DEP_3)
	v_pk_fma_f32 v[112:113], v[108:109], v[106:107], v[110:111] op_sel_hi:[1,0,1]
	v_add_nc_u32_e32 v9, 1, v9
	v_pk_fma_f32 v[106:107], v[108:109], v[106:107], v[110:111] neg_lo:[0,0,1] neg_hi:[0,0,1]
	v_mov_b32_e32 v107, v113
	s_delay_alu instid0(VALU_DEP_3) | instskip(NEXT) | instid1(VALU_DEP_2)
	v_cmp_lt_u32_e32 vcc_lo, 14, v9
	v_pk_add_f32 v[104:105], v[104:105], v[106:107]
	s_or_b32 s1, vcc_lo, s1
	s_delay_alu instid0(SALU_CYCLE_1)
	s_and_not1_b32 exec_lo, exec_lo, s1
	s_cbranch_execnz .LBB49_77
; %bb.78:
	s_or_b32 exec_lo, exec_lo, s1
	v_mov_b32_e32 v9, 0
	ds_load_b64 v[106:107], v9 offset:128
	s_wait_dscnt 0x0
	v_pk_mul_f32 v[108:109], v[104:105], v[106:107] op_sel:[1,1] op_sel_hi:[0,1]
	s_delay_alu instid0(VALU_DEP_1) | instskip(SKIP_1) | instid1(VALU_DEP_2)
	v_pk_fma_f32 v[110:111], v[104:105], v[106:107], v[108:109] op_sel_hi:[1,0,1]
	v_pk_fma_f32 v[104:105], v[104:105], v[106:107], v[108:109] neg_lo:[0,0,1] neg_hi:[0,0,1]
	v_mov_b32_e32 v105, v111
	scratch_store_b64 off, v[104:105], off offset:128
.LBB49_79:
	s_wait_xcnt 0x0
	s_or_b32 exec_lo, exec_lo, s0
	s_wait_storecnt 0x0
	s_barrier_signal -1
	s_barrier_wait -1
	scratch_load_b64 v[104:105], off, off offset:136
	s_mov_b32 s0, exec_lo
	s_wait_loadcnt 0x0
	ds_store_b64 v1, v[104:105]
	s_wait_dscnt 0x0
	s_barrier_signal -1
	s_barrier_wait -1
	v_cmpx_gt_u32_e32 17, v0
	s_cbranch_execz .LBB49_83
; %bb.80:
	v_dual_mov_b32 v104, 0 :: v_dual_add_nc_u32 v9, -1, v0
	v_add_nc_u32_e32 v11, 0x190, v102
	v_mov_b32_e32 v13, v102
	s_mov_b32 s1, 0
	s_delay_alu instid0(VALU_DEP_3)
	v_mov_b32_e32 v105, v104
.LBB49_81:                              ; =>This Inner Loop Header: Depth=1
	scratch_load_b64 v[106:107], v13, off
	ds_load_b64 v[108:109], v11
	s_wait_xcnt 0x0
	v_dual_add_nc_u32 v11, 8, v11 :: v_dual_add_nc_u32 v13, 8, v13
	s_wait_loadcnt_dscnt 0x0
	v_pk_mul_f32 v[110:111], v[108:109], v[106:107] op_sel:[1,1] op_sel_hi:[0,1]
	s_delay_alu instid0(VALU_DEP_1) | instskip(SKIP_2) | instid1(VALU_DEP_3)
	v_pk_fma_f32 v[112:113], v[108:109], v[106:107], v[110:111] op_sel_hi:[1,0,1]
	v_add_nc_u32_e32 v9, 1, v9
	v_pk_fma_f32 v[106:107], v[108:109], v[106:107], v[110:111] neg_lo:[0,0,1] neg_hi:[0,0,1]
	v_mov_b32_e32 v107, v113
	s_delay_alu instid0(VALU_DEP_3) | instskip(NEXT) | instid1(VALU_DEP_2)
	v_cmp_lt_u32_e32 vcc_lo, 15, v9
	v_pk_add_f32 v[104:105], v[104:105], v[106:107]
	s_or_b32 s1, vcc_lo, s1
	s_delay_alu instid0(SALU_CYCLE_1)
	s_and_not1_b32 exec_lo, exec_lo, s1
	s_cbranch_execnz .LBB49_81
; %bb.82:
	s_or_b32 exec_lo, exec_lo, s1
	v_mov_b32_e32 v9, 0
	ds_load_b64 v[106:107], v9 offset:136
	s_wait_dscnt 0x0
	v_pk_mul_f32 v[108:109], v[104:105], v[106:107] op_sel:[1,1] op_sel_hi:[0,1]
	s_delay_alu instid0(VALU_DEP_1) | instskip(SKIP_1) | instid1(VALU_DEP_2)
	v_pk_fma_f32 v[110:111], v[104:105], v[106:107], v[108:109] op_sel_hi:[1,0,1]
	v_pk_fma_f32 v[104:105], v[104:105], v[106:107], v[108:109] neg_lo:[0,0,1] neg_hi:[0,0,1]
	v_mov_b32_e32 v105, v111
	scratch_store_b64 off, v[104:105], off offset:136
.LBB49_83:
	s_wait_xcnt 0x0
	s_or_b32 exec_lo, exec_lo, s0
	s_wait_storecnt 0x0
	s_barrier_signal -1
	s_barrier_wait -1
	scratch_load_b64 v[104:105], off, off offset:144
	s_mov_b32 s0, exec_lo
	s_wait_loadcnt 0x0
	ds_store_b64 v1, v[104:105]
	s_wait_dscnt 0x0
	s_barrier_signal -1
	s_barrier_wait -1
	v_cmpx_gt_u32_e32 18, v0
	s_cbranch_execz .LBB49_87
; %bb.84:
	v_dual_mov_b32 v104, 0 :: v_dual_add_nc_u32 v9, -1, v0
	v_add_nc_u32_e32 v11, 0x190, v102
	v_mov_b32_e32 v13, v102
	s_mov_b32 s1, 0
	s_delay_alu instid0(VALU_DEP_3)
	v_mov_b32_e32 v105, v104
.LBB49_85:                              ; =>This Inner Loop Header: Depth=1
	scratch_load_b64 v[106:107], v13, off
	ds_load_b64 v[108:109], v11
	s_wait_xcnt 0x0
	v_dual_add_nc_u32 v11, 8, v11 :: v_dual_add_nc_u32 v13, 8, v13
	s_wait_loadcnt_dscnt 0x0
	v_pk_mul_f32 v[110:111], v[108:109], v[106:107] op_sel:[1,1] op_sel_hi:[0,1]
	s_delay_alu instid0(VALU_DEP_1) | instskip(SKIP_2) | instid1(VALU_DEP_3)
	v_pk_fma_f32 v[112:113], v[108:109], v[106:107], v[110:111] op_sel_hi:[1,0,1]
	v_add_nc_u32_e32 v9, 1, v9
	v_pk_fma_f32 v[106:107], v[108:109], v[106:107], v[110:111] neg_lo:[0,0,1] neg_hi:[0,0,1]
	v_mov_b32_e32 v107, v113
	s_delay_alu instid0(VALU_DEP_3) | instskip(NEXT) | instid1(VALU_DEP_2)
	v_cmp_lt_u32_e32 vcc_lo, 16, v9
	v_pk_add_f32 v[104:105], v[104:105], v[106:107]
	s_or_b32 s1, vcc_lo, s1
	s_delay_alu instid0(SALU_CYCLE_1)
	s_and_not1_b32 exec_lo, exec_lo, s1
	s_cbranch_execnz .LBB49_85
; %bb.86:
	s_or_b32 exec_lo, exec_lo, s1
	v_mov_b32_e32 v9, 0
	ds_load_b64 v[106:107], v9 offset:144
	s_wait_dscnt 0x0
	v_pk_mul_f32 v[108:109], v[104:105], v[106:107] op_sel:[1,1] op_sel_hi:[0,1]
	s_delay_alu instid0(VALU_DEP_1) | instskip(SKIP_1) | instid1(VALU_DEP_2)
	v_pk_fma_f32 v[110:111], v[104:105], v[106:107], v[108:109] op_sel_hi:[1,0,1]
	v_pk_fma_f32 v[104:105], v[104:105], v[106:107], v[108:109] neg_lo:[0,0,1] neg_hi:[0,0,1]
	v_mov_b32_e32 v105, v111
	scratch_store_b64 off, v[104:105], off offset:144
.LBB49_87:
	s_wait_xcnt 0x0
	s_or_b32 exec_lo, exec_lo, s0
	s_wait_storecnt 0x0
	s_barrier_signal -1
	s_barrier_wait -1
	scratch_load_b64 v[104:105], off, off offset:152
	s_mov_b32 s0, exec_lo
	s_wait_loadcnt 0x0
	ds_store_b64 v1, v[104:105]
	s_wait_dscnt 0x0
	s_barrier_signal -1
	s_barrier_wait -1
	v_cmpx_gt_u32_e32 19, v0
	s_cbranch_execz .LBB49_91
; %bb.88:
	v_dual_mov_b32 v104, 0 :: v_dual_add_nc_u32 v9, -1, v0
	v_add_nc_u32_e32 v11, 0x190, v102
	v_mov_b32_e32 v13, v102
	s_mov_b32 s1, 0
	s_delay_alu instid0(VALU_DEP_3)
	v_mov_b32_e32 v105, v104
.LBB49_89:                              ; =>This Inner Loop Header: Depth=1
	scratch_load_b64 v[106:107], v13, off
	ds_load_b64 v[108:109], v11
	s_wait_xcnt 0x0
	v_dual_add_nc_u32 v11, 8, v11 :: v_dual_add_nc_u32 v13, 8, v13
	s_wait_loadcnt_dscnt 0x0
	v_pk_mul_f32 v[110:111], v[108:109], v[106:107] op_sel:[1,1] op_sel_hi:[0,1]
	s_delay_alu instid0(VALU_DEP_1) | instskip(SKIP_2) | instid1(VALU_DEP_3)
	v_pk_fma_f32 v[112:113], v[108:109], v[106:107], v[110:111] op_sel_hi:[1,0,1]
	v_add_nc_u32_e32 v9, 1, v9
	v_pk_fma_f32 v[106:107], v[108:109], v[106:107], v[110:111] neg_lo:[0,0,1] neg_hi:[0,0,1]
	v_mov_b32_e32 v107, v113
	s_delay_alu instid0(VALU_DEP_3) | instskip(NEXT) | instid1(VALU_DEP_2)
	v_cmp_lt_u32_e32 vcc_lo, 17, v9
	v_pk_add_f32 v[104:105], v[104:105], v[106:107]
	s_or_b32 s1, vcc_lo, s1
	s_delay_alu instid0(SALU_CYCLE_1)
	s_and_not1_b32 exec_lo, exec_lo, s1
	s_cbranch_execnz .LBB49_89
; %bb.90:
	s_or_b32 exec_lo, exec_lo, s1
	v_mov_b32_e32 v9, 0
	ds_load_b64 v[106:107], v9 offset:152
	s_wait_dscnt 0x0
	v_pk_mul_f32 v[108:109], v[104:105], v[106:107] op_sel:[1,1] op_sel_hi:[0,1]
	s_delay_alu instid0(VALU_DEP_1) | instskip(SKIP_1) | instid1(VALU_DEP_2)
	v_pk_fma_f32 v[110:111], v[104:105], v[106:107], v[108:109] op_sel_hi:[1,0,1]
	v_pk_fma_f32 v[104:105], v[104:105], v[106:107], v[108:109] neg_lo:[0,0,1] neg_hi:[0,0,1]
	v_mov_b32_e32 v105, v111
	scratch_store_b64 off, v[104:105], off offset:152
.LBB49_91:
	s_wait_xcnt 0x0
	s_or_b32 exec_lo, exec_lo, s0
	s_wait_storecnt 0x0
	s_barrier_signal -1
	s_barrier_wait -1
	scratch_load_b64 v[104:105], off, off offset:160
	s_mov_b32 s0, exec_lo
	s_wait_loadcnt 0x0
	ds_store_b64 v1, v[104:105]
	s_wait_dscnt 0x0
	s_barrier_signal -1
	s_barrier_wait -1
	v_cmpx_gt_u32_e32 20, v0
	s_cbranch_execz .LBB49_95
; %bb.92:
	v_dual_mov_b32 v104, 0 :: v_dual_add_nc_u32 v9, -1, v0
	v_add_nc_u32_e32 v11, 0x190, v102
	v_mov_b32_e32 v13, v102
	s_mov_b32 s1, 0
	s_delay_alu instid0(VALU_DEP_3)
	v_mov_b32_e32 v105, v104
.LBB49_93:                              ; =>This Inner Loop Header: Depth=1
	scratch_load_b64 v[106:107], v13, off
	ds_load_b64 v[108:109], v11
	s_wait_xcnt 0x0
	v_dual_add_nc_u32 v11, 8, v11 :: v_dual_add_nc_u32 v13, 8, v13
	s_wait_loadcnt_dscnt 0x0
	v_pk_mul_f32 v[110:111], v[108:109], v[106:107] op_sel:[1,1] op_sel_hi:[0,1]
	s_delay_alu instid0(VALU_DEP_1) | instskip(SKIP_2) | instid1(VALU_DEP_3)
	v_pk_fma_f32 v[112:113], v[108:109], v[106:107], v[110:111] op_sel_hi:[1,0,1]
	v_add_nc_u32_e32 v9, 1, v9
	v_pk_fma_f32 v[106:107], v[108:109], v[106:107], v[110:111] neg_lo:[0,0,1] neg_hi:[0,0,1]
	v_mov_b32_e32 v107, v113
	s_delay_alu instid0(VALU_DEP_3) | instskip(NEXT) | instid1(VALU_DEP_2)
	v_cmp_lt_u32_e32 vcc_lo, 18, v9
	v_pk_add_f32 v[104:105], v[104:105], v[106:107]
	s_or_b32 s1, vcc_lo, s1
	s_delay_alu instid0(SALU_CYCLE_1)
	s_and_not1_b32 exec_lo, exec_lo, s1
	s_cbranch_execnz .LBB49_93
; %bb.94:
	s_or_b32 exec_lo, exec_lo, s1
	v_mov_b32_e32 v9, 0
	ds_load_b64 v[106:107], v9 offset:160
	s_wait_dscnt 0x0
	v_pk_mul_f32 v[108:109], v[104:105], v[106:107] op_sel:[1,1] op_sel_hi:[0,1]
	s_delay_alu instid0(VALU_DEP_1) | instskip(SKIP_1) | instid1(VALU_DEP_2)
	v_pk_fma_f32 v[110:111], v[104:105], v[106:107], v[108:109] op_sel_hi:[1,0,1]
	v_pk_fma_f32 v[104:105], v[104:105], v[106:107], v[108:109] neg_lo:[0,0,1] neg_hi:[0,0,1]
	v_mov_b32_e32 v105, v111
	scratch_store_b64 off, v[104:105], off offset:160
.LBB49_95:
	s_wait_xcnt 0x0
	s_or_b32 exec_lo, exec_lo, s0
	s_wait_storecnt 0x0
	s_barrier_signal -1
	s_barrier_wait -1
	scratch_load_b64 v[104:105], off, off offset:168
	s_mov_b32 s0, exec_lo
	s_wait_loadcnt 0x0
	ds_store_b64 v1, v[104:105]
	s_wait_dscnt 0x0
	s_barrier_signal -1
	s_barrier_wait -1
	v_cmpx_gt_u32_e32 21, v0
	s_cbranch_execz .LBB49_99
; %bb.96:
	v_dual_mov_b32 v104, 0 :: v_dual_add_nc_u32 v9, -1, v0
	v_add_nc_u32_e32 v11, 0x190, v102
	v_mov_b32_e32 v13, v102
	s_mov_b32 s1, 0
	s_delay_alu instid0(VALU_DEP_3)
	v_mov_b32_e32 v105, v104
.LBB49_97:                              ; =>This Inner Loop Header: Depth=1
	scratch_load_b64 v[106:107], v13, off
	ds_load_b64 v[108:109], v11
	s_wait_xcnt 0x0
	v_dual_add_nc_u32 v11, 8, v11 :: v_dual_add_nc_u32 v13, 8, v13
	s_wait_loadcnt_dscnt 0x0
	v_pk_mul_f32 v[110:111], v[108:109], v[106:107] op_sel:[1,1] op_sel_hi:[0,1]
	s_delay_alu instid0(VALU_DEP_1) | instskip(SKIP_2) | instid1(VALU_DEP_3)
	v_pk_fma_f32 v[112:113], v[108:109], v[106:107], v[110:111] op_sel_hi:[1,0,1]
	v_add_nc_u32_e32 v9, 1, v9
	v_pk_fma_f32 v[106:107], v[108:109], v[106:107], v[110:111] neg_lo:[0,0,1] neg_hi:[0,0,1]
	v_mov_b32_e32 v107, v113
	s_delay_alu instid0(VALU_DEP_3) | instskip(NEXT) | instid1(VALU_DEP_2)
	v_cmp_lt_u32_e32 vcc_lo, 19, v9
	v_pk_add_f32 v[104:105], v[104:105], v[106:107]
	s_or_b32 s1, vcc_lo, s1
	s_delay_alu instid0(SALU_CYCLE_1)
	s_and_not1_b32 exec_lo, exec_lo, s1
	s_cbranch_execnz .LBB49_97
; %bb.98:
	s_or_b32 exec_lo, exec_lo, s1
	v_mov_b32_e32 v9, 0
	ds_load_b64 v[106:107], v9 offset:168
	s_wait_dscnt 0x0
	v_pk_mul_f32 v[108:109], v[104:105], v[106:107] op_sel:[1,1] op_sel_hi:[0,1]
	s_delay_alu instid0(VALU_DEP_1) | instskip(SKIP_1) | instid1(VALU_DEP_2)
	v_pk_fma_f32 v[110:111], v[104:105], v[106:107], v[108:109] op_sel_hi:[1,0,1]
	v_pk_fma_f32 v[104:105], v[104:105], v[106:107], v[108:109] neg_lo:[0,0,1] neg_hi:[0,0,1]
	v_mov_b32_e32 v105, v111
	scratch_store_b64 off, v[104:105], off offset:168
.LBB49_99:
	s_wait_xcnt 0x0
	s_or_b32 exec_lo, exec_lo, s0
	s_wait_storecnt 0x0
	s_barrier_signal -1
	s_barrier_wait -1
	scratch_load_b64 v[104:105], off, off offset:176
	s_mov_b32 s0, exec_lo
	s_wait_loadcnt 0x0
	ds_store_b64 v1, v[104:105]
	s_wait_dscnt 0x0
	s_barrier_signal -1
	s_barrier_wait -1
	v_cmpx_gt_u32_e32 22, v0
	s_cbranch_execz .LBB49_103
; %bb.100:
	v_dual_mov_b32 v104, 0 :: v_dual_add_nc_u32 v9, -1, v0
	v_add_nc_u32_e32 v11, 0x190, v102
	v_mov_b32_e32 v13, v102
	s_mov_b32 s1, 0
	s_delay_alu instid0(VALU_DEP_3)
	v_mov_b32_e32 v105, v104
.LBB49_101:                             ; =>This Inner Loop Header: Depth=1
	scratch_load_b64 v[106:107], v13, off
	ds_load_b64 v[108:109], v11
	s_wait_xcnt 0x0
	v_dual_add_nc_u32 v11, 8, v11 :: v_dual_add_nc_u32 v13, 8, v13
	s_wait_loadcnt_dscnt 0x0
	v_pk_mul_f32 v[110:111], v[108:109], v[106:107] op_sel:[1,1] op_sel_hi:[0,1]
	s_delay_alu instid0(VALU_DEP_1) | instskip(SKIP_2) | instid1(VALU_DEP_3)
	v_pk_fma_f32 v[112:113], v[108:109], v[106:107], v[110:111] op_sel_hi:[1,0,1]
	v_add_nc_u32_e32 v9, 1, v9
	v_pk_fma_f32 v[106:107], v[108:109], v[106:107], v[110:111] neg_lo:[0,0,1] neg_hi:[0,0,1]
	v_mov_b32_e32 v107, v113
	s_delay_alu instid0(VALU_DEP_3) | instskip(NEXT) | instid1(VALU_DEP_2)
	v_cmp_lt_u32_e32 vcc_lo, 20, v9
	v_pk_add_f32 v[104:105], v[104:105], v[106:107]
	s_or_b32 s1, vcc_lo, s1
	s_delay_alu instid0(SALU_CYCLE_1)
	s_and_not1_b32 exec_lo, exec_lo, s1
	s_cbranch_execnz .LBB49_101
; %bb.102:
	s_or_b32 exec_lo, exec_lo, s1
	v_mov_b32_e32 v9, 0
	ds_load_b64 v[106:107], v9 offset:176
	s_wait_dscnt 0x0
	v_pk_mul_f32 v[108:109], v[104:105], v[106:107] op_sel:[1,1] op_sel_hi:[0,1]
	s_delay_alu instid0(VALU_DEP_1) | instskip(SKIP_1) | instid1(VALU_DEP_2)
	v_pk_fma_f32 v[110:111], v[104:105], v[106:107], v[108:109] op_sel_hi:[1,0,1]
	v_pk_fma_f32 v[104:105], v[104:105], v[106:107], v[108:109] neg_lo:[0,0,1] neg_hi:[0,0,1]
	v_mov_b32_e32 v105, v111
	scratch_store_b64 off, v[104:105], off offset:176
.LBB49_103:
	s_wait_xcnt 0x0
	s_or_b32 exec_lo, exec_lo, s0
	s_wait_storecnt 0x0
	s_barrier_signal -1
	s_barrier_wait -1
	scratch_load_b64 v[104:105], off, off offset:184
	s_mov_b32 s0, exec_lo
	s_wait_loadcnt 0x0
	ds_store_b64 v1, v[104:105]
	s_wait_dscnt 0x0
	s_barrier_signal -1
	s_barrier_wait -1
	v_cmpx_gt_u32_e32 23, v0
	s_cbranch_execz .LBB49_107
; %bb.104:
	v_dual_mov_b32 v104, 0 :: v_dual_add_nc_u32 v9, -1, v0
	v_add_nc_u32_e32 v11, 0x190, v102
	v_mov_b32_e32 v13, v102
	s_mov_b32 s1, 0
	s_delay_alu instid0(VALU_DEP_3)
	v_mov_b32_e32 v105, v104
.LBB49_105:                             ; =>This Inner Loop Header: Depth=1
	scratch_load_b64 v[106:107], v13, off
	ds_load_b64 v[108:109], v11
	s_wait_xcnt 0x0
	v_dual_add_nc_u32 v11, 8, v11 :: v_dual_add_nc_u32 v13, 8, v13
	s_wait_loadcnt_dscnt 0x0
	v_pk_mul_f32 v[110:111], v[108:109], v[106:107] op_sel:[1,1] op_sel_hi:[0,1]
	s_delay_alu instid0(VALU_DEP_1) | instskip(SKIP_2) | instid1(VALU_DEP_3)
	v_pk_fma_f32 v[112:113], v[108:109], v[106:107], v[110:111] op_sel_hi:[1,0,1]
	v_add_nc_u32_e32 v9, 1, v9
	v_pk_fma_f32 v[106:107], v[108:109], v[106:107], v[110:111] neg_lo:[0,0,1] neg_hi:[0,0,1]
	v_mov_b32_e32 v107, v113
	s_delay_alu instid0(VALU_DEP_3) | instskip(NEXT) | instid1(VALU_DEP_2)
	v_cmp_lt_u32_e32 vcc_lo, 21, v9
	v_pk_add_f32 v[104:105], v[104:105], v[106:107]
	s_or_b32 s1, vcc_lo, s1
	s_delay_alu instid0(SALU_CYCLE_1)
	s_and_not1_b32 exec_lo, exec_lo, s1
	s_cbranch_execnz .LBB49_105
; %bb.106:
	s_or_b32 exec_lo, exec_lo, s1
	v_mov_b32_e32 v9, 0
	ds_load_b64 v[106:107], v9 offset:184
	s_wait_dscnt 0x0
	v_pk_mul_f32 v[108:109], v[104:105], v[106:107] op_sel:[1,1] op_sel_hi:[0,1]
	s_delay_alu instid0(VALU_DEP_1) | instskip(SKIP_1) | instid1(VALU_DEP_2)
	v_pk_fma_f32 v[110:111], v[104:105], v[106:107], v[108:109] op_sel_hi:[1,0,1]
	v_pk_fma_f32 v[104:105], v[104:105], v[106:107], v[108:109] neg_lo:[0,0,1] neg_hi:[0,0,1]
	v_mov_b32_e32 v105, v111
	scratch_store_b64 off, v[104:105], off offset:184
.LBB49_107:
	s_wait_xcnt 0x0
	s_or_b32 exec_lo, exec_lo, s0
	s_wait_storecnt 0x0
	s_barrier_signal -1
	s_barrier_wait -1
	scratch_load_b64 v[104:105], off, off offset:192
	;; [unrolled: 52-line block ×27, first 2 shown]
	s_mov_b32 s0, exec_lo
	s_wait_loadcnt 0x0
	ds_store_b64 v1, v[104:105]
	s_wait_dscnt 0x0
	s_barrier_signal -1
	s_barrier_wait -1
	v_cmpx_ne_u32_e32 49, v0
	s_cbranch_execz .LBB49_211
; %bb.208:
	v_dual_mov_b32 v104, 0 :: v_dual_mov_b32 v9, v102
	s_mov_b32 s1, 0
	s_delay_alu instid0(VALU_DEP_1)
	v_mov_b32_e32 v105, v104
.LBB49_209:                             ; =>This Inner Loop Header: Depth=1
	scratch_load_b64 v[102:103], v9, off
	ds_load_b64 v[106:107], v1
	v_add_nc_u32_e32 v1, 8, v1
	s_wait_xcnt 0x0
	v_add_nc_u32_e32 v9, 8, v9
	s_wait_loadcnt_dscnt 0x0
	v_pk_mul_f32 v[108:109], v[106:107], v[102:103] op_sel:[1,1] op_sel_hi:[0,1]
	s_delay_alu instid0(VALU_DEP_1) | instskip(SKIP_2) | instid1(VALU_DEP_3)
	v_pk_fma_f32 v[110:111], v[106:107], v[102:103], v[108:109] op_sel_hi:[1,0,1]
	v_add_nc_u32_e32 v7, 1, v7
	v_pk_fma_f32 v[102:103], v[106:107], v[102:103], v[108:109] neg_lo:[0,0,1] neg_hi:[0,0,1]
	v_mov_b32_e32 v103, v111
	s_delay_alu instid0(VALU_DEP_3) | instskip(NEXT) | instid1(VALU_DEP_2)
	v_cmp_lt_u32_e32 vcc_lo, 47, v7
	v_pk_add_f32 v[104:105], v[104:105], v[102:103]
	s_or_b32 s1, vcc_lo, s1
	s_delay_alu instid0(SALU_CYCLE_1)
	s_and_not1_b32 exec_lo, exec_lo, s1
	s_cbranch_execnz .LBB49_209
; %bb.210:
	s_or_b32 exec_lo, exec_lo, s1
	v_mov_b32_e32 v1, 0
	ds_load_b64 v[102:103], v1 offset:392
	s_wait_dscnt 0x0
	v_pk_mul_f32 v[106:107], v[104:105], v[102:103] op_sel:[1,1] op_sel_hi:[0,1]
	s_delay_alu instid0(VALU_DEP_1) | instskip(SKIP_1) | instid1(VALU_DEP_2)
	v_pk_fma_f32 v[108:109], v[104:105], v[102:103], v[106:107] op_sel_hi:[1,0,1]
	v_pk_fma_f32 v[102:103], v[104:105], v[102:103], v[106:107] neg_lo:[0,0,1] neg_hi:[0,0,1]
	v_mov_b32_e32 v103, v109
	scratch_store_b64 off, v[102:103], off offset:392
.LBB49_211:
	s_wait_xcnt 0x0
	s_or_b32 exec_lo, exec_lo, s0
	s_mov_b32 s1, -1
	s_wait_storecnt 0x0
	s_barrier_signal -1
	s_barrier_wait -1
.LBB49_212:
	s_and_b32 vcc_lo, exec_lo, s1
	s_cbranch_vccz .LBB49_214
; %bb.213:
	v_mov_b32_e32 v1, 0
	s_lshl_b64 s[0:1], s[16:17], 2
	s_delay_alu instid0(SALU_CYCLE_1)
	s_add_nc_u64 s[0:1], s[6:7], s[0:1]
	global_load_b32 v1, v1, s[0:1]
	s_wait_loadcnt 0x0
	v_cmp_ne_u32_e32 vcc_lo, 0, v1
	s_cbranch_vccz .LBB49_215
.LBB49_214:
	s_sendmsg sendmsg(MSG_DEALLOC_VGPRS)
	s_endpgm
.LBB49_215:
	s_wait_xcnt 0x0
	v_lshl_add_u32 v1, v0, 3, 0x190
	s_mov_b32 s0, exec_lo
	v_cmpx_eq_u32_e32 49, v0
	s_cbranch_execz .LBB49_217
; %bb.216:
	scratch_load_b64 v[102:103], off, off offset:384
	v_mov_b64_e32 v[104:105], 0
	scratch_store_b64 off, v[104:105], off offset:384
	s_wait_loadcnt 0x0
	ds_store_b64 v1, v[102:103]
.LBB49_217:
	s_wait_xcnt 0x0
	s_or_b32 exec_lo, exec_lo, s0
	s_wait_storecnt_dscnt 0x0
	s_barrier_signal -1
	s_barrier_wait -1
	s_clause 0x1
	scratch_load_b64 v[102:103], off, off offset:392
	scratch_load_b64 v[104:105], off, off offset:384
	v_mov_b32_e32 v7, 0
	s_mov_b32 s0, exec_lo
	ds_load_b64 v[106:107], v7 offset:792
	s_wait_loadcnt_dscnt 0x100
	v_pk_mul_f32 v[108:109], v[106:107], v[102:103] op_sel:[1,1] op_sel_hi:[0,1]
	s_delay_alu instid0(VALU_DEP_1) | instskip(SKIP_1) | instid1(VALU_DEP_2)
	v_pk_fma_f32 v[110:111], v[106:107], v[102:103], v[108:109] op_sel_hi:[1,0,1]
	v_pk_fma_f32 v[102:103], v[106:107], v[102:103], v[108:109] neg_lo:[0,0,1] neg_hi:[0,0,1]
	v_mov_b32_e32 v103, v111
	s_delay_alu instid0(VALU_DEP_1) | instskip(SKIP_1) | instid1(VALU_DEP_1)
	v_pk_add_f32 v[102:103], v[102:103], 0 op_sel_hi:[1,0]
	s_wait_loadcnt 0x0
	v_pk_add_f32 v[102:103], v[104:105], v[102:103] neg_lo:[0,1] neg_hi:[0,1]
	scratch_store_b64 off, v[102:103], off offset:384
	s_wait_xcnt 0x0
	v_cmpx_lt_u32_e32 47, v0
	s_cbranch_execz .LBB49_219
; %bb.218:
	scratch_load_b64 v[102:103], off, off offset:376
	v_mov_b64_e32 v[104:105], 0
	scratch_store_b64 off, v[104:105], off offset:376
	s_wait_loadcnt 0x0
	ds_store_b64 v1, v[102:103]
.LBB49_219:
	s_wait_xcnt 0x0
	s_or_b32 exec_lo, exec_lo, s0
	s_wait_storecnt_dscnt 0x0
	s_barrier_signal -1
	s_barrier_wait -1
	s_clause 0x1
	scratch_load_b128 v[102:105], off, off offset:384
	scratch_load_b64 v[110:111], off, off offset:376
	ds_load_b128 v[106:109], v7 offset:784
	s_mov_b32 s0, exec_lo
	s_wait_dscnt 0x0
	v_dual_mov_b32 v112, v109 :: v_dual_mov_b32 v113, v108
	s_wait_loadcnt 0x1
	v_pk_mul_f32 v[114:115], v[106:107], v[102:103] op_sel:[1,1] op_sel_hi:[0,1]
	s_delay_alu instid0(VALU_DEP_1) | instskip(SKIP_2) | instid1(VALU_DEP_3)
	v_pk_fma_f32 v[118:119], v[106:107], v[102:103], v[114:115] op_sel_hi:[1,0,1]
	v_mov_b32_e32 v116, v105
	v_pk_fma_f32 v[102:103], v[106:107], v[102:103], v[114:115] neg_lo:[0,0,1] neg_hi:[0,0,1]
	v_mov_b32_e32 v103, v119
	s_delay_alu instid0(VALU_DEP_3) | instskip(NEXT) | instid1(VALU_DEP_2)
	v_pk_mul_f32 v[112:113], v[112:113], v[116:117] op_sel_hi:[1,0]
	v_pk_add_f32 v[102:103], v[102:103], 0 op_sel_hi:[1,0]
	s_delay_alu instid0(VALU_DEP_2) | instskip(SKIP_1) | instid1(VALU_DEP_2)
	v_pk_fma_f32 v[106:107], v[108:109], v[104:105], v[112:113] op_sel_hi:[1,0,1]
	v_pk_fma_f32 v[104:105], v[108:109], v[104:105], v[112:113] neg_lo:[0,0,1] neg_hi:[0,0,1]
	v_mov_b32_e32 v105, v107
	s_delay_alu instid0(VALU_DEP_1) | instskip(SKIP_1) | instid1(VALU_DEP_1)
	v_pk_add_f32 v[102:103], v[102:103], v[104:105]
	s_wait_loadcnt 0x0
	v_pk_add_f32 v[102:103], v[110:111], v[102:103] neg_lo:[0,1] neg_hi:[0,1]
	scratch_store_b64 off, v[102:103], off offset:376
	s_wait_xcnt 0x0
	v_cmpx_lt_u32_e32 46, v0
	s_cbranch_execz .LBB49_221
; %bb.220:
	scratch_load_b64 v[102:103], off, off offset:368
	v_mov_b64_e32 v[104:105], 0
	scratch_store_b64 off, v[104:105], off offset:368
	s_wait_loadcnt 0x0
	ds_store_b64 v1, v[102:103]
.LBB49_221:
	s_wait_xcnt 0x0
	s_or_b32 exec_lo, exec_lo, s0
	s_wait_storecnt_dscnt 0x0
	s_barrier_signal -1
	s_barrier_wait -1
	s_clause 0x2
	scratch_load_b128 v[102:105], off, off offset:376
	scratch_load_b64 v[110:111], off, off offset:392
	scratch_load_b64 v[112:113], off, off offset:368
	v_mov_b32_e32 v7, 0
	ds_load_2addr_b64 v[106:109], v7 offset0:97 offset1:98
	ds_load_b64 v[114:115], v7 offset:792
	s_mov_b32 s0, exec_lo
	s_wait_dscnt 0x1
	v_dual_mov_b32 v116, v109 :: v_dual_mov_b32 v117, v108
	s_wait_loadcnt 0x2
	v_mov_b32_e32 v120, v105
	v_pk_mul_f32 v[118:119], v[106:107], v[102:103] op_sel:[1,1] op_sel_hi:[0,1]
	s_delay_alu instid0(VALU_DEP_2) | instskip(NEXT) | instid1(VALU_DEP_2)
	v_pk_mul_f32 v[116:117], v[116:117], v[120:121] op_sel_hi:[1,0]
	v_pk_fma_f32 v[122:123], v[106:107], v[102:103], v[118:119] op_sel_hi:[1,0,1]
	v_pk_fma_f32 v[102:103], v[106:107], v[102:103], v[118:119] neg_lo:[0,0,1] neg_hi:[0,0,1]
	s_wait_loadcnt_dscnt 0x100
	v_pk_mul_f32 v[118:119], v[114:115], v[110:111] op_sel:[1,1] op_sel_hi:[0,1]
	v_pk_fma_f32 v[106:107], v[108:109], v[104:105], v[116:117] op_sel_hi:[1,0,1]
	v_mov_b32_e32 v103, v123
	v_pk_fma_f32 v[104:105], v[108:109], v[104:105], v[116:117] neg_lo:[0,0,1] neg_hi:[0,0,1]
	s_delay_alu instid0(VALU_DEP_4) | instskip(NEXT) | instid1(VALU_DEP_4)
	v_pk_fma_f32 v[108:109], v[114:115], v[110:111], v[118:119] neg_lo:[0,0,1] neg_hi:[0,0,1]
	v_mov_b32_e32 v105, v107
	s_delay_alu instid0(VALU_DEP_4) | instskip(SKIP_1) | instid1(VALU_DEP_2)
	v_pk_add_f32 v[102:103], v[102:103], 0 op_sel_hi:[1,0]
	v_pk_fma_f32 v[106:107], v[114:115], v[110:111], v[118:119] op_sel_hi:[1,0,1]
	v_pk_add_f32 v[102:103], v[102:103], v[104:105]
	s_delay_alu instid0(VALU_DEP_2) | instskip(NEXT) | instid1(VALU_DEP_1)
	v_mov_b32_e32 v109, v107
	v_pk_add_f32 v[102:103], v[102:103], v[108:109]
	s_wait_loadcnt 0x0
	s_delay_alu instid0(VALU_DEP_1)
	v_pk_add_f32 v[102:103], v[112:113], v[102:103] neg_lo:[0,1] neg_hi:[0,1]
	scratch_store_b64 off, v[102:103], off offset:368
	s_wait_xcnt 0x0
	v_cmpx_lt_u32_e32 45, v0
	s_cbranch_execz .LBB49_223
; %bb.222:
	scratch_load_b64 v[102:103], off, off offset:360
	v_mov_b64_e32 v[104:105], 0
	scratch_store_b64 off, v[104:105], off offset:360
	s_wait_loadcnt 0x0
	ds_store_b64 v1, v[102:103]
.LBB49_223:
	s_wait_xcnt 0x0
	s_or_b32 exec_lo, exec_lo, s0
	s_wait_storecnt_dscnt 0x0
	s_barrier_signal -1
	s_barrier_wait -1
	s_clause 0x2
	scratch_load_b128 v[102:105], off, off offset:368
	scratch_load_b128 v[106:109], off, off offset:384
	scratch_load_b64 v[118:119], off, off offset:360
	ds_load_b128 v[110:113], v7 offset:768
	ds_load_b128 v[114:117], v7 offset:784
	s_mov_b32 s0, exec_lo
	s_wait_dscnt 0x1
	v_dual_mov_b32 v120, v113 :: v_dual_mov_b32 v121, v112
	s_wait_loadcnt_dscnt 0x200
	v_dual_mov_b32 v126, v117 :: v_dual_mov_b32 v124, v105
	v_pk_mul_f32 v[122:123], v[110:111], v[102:103] op_sel:[1,1] op_sel_hi:[0,1]
	s_delay_alu instid0(VALU_DEP_2) | instskip(NEXT) | instid1(VALU_DEP_2)
	v_pk_mul_f32 v[120:121], v[120:121], v[124:125] op_sel_hi:[1,0]
	v_pk_fma_f32 v[128:129], v[110:111], v[102:103], v[122:123] op_sel_hi:[1,0,1]
	v_pk_fma_f32 v[102:103], v[110:111], v[102:103], v[122:123] neg_lo:[0,0,1] neg_hi:[0,0,1]
	v_mov_b32_e32 v127, v116
	s_wait_loadcnt 0x1
	v_pk_mul_f32 v[124:125], v[114:115], v[106:107] op_sel:[1,1] op_sel_hi:[0,1]
	v_pk_fma_f32 v[110:111], v[112:113], v[104:105], v[120:121] op_sel_hi:[1,0,1]
	v_dual_mov_b32 v103, v129 :: v_dual_mov_b32 v110, v109
	v_pk_fma_f32 v[104:105], v[112:113], v[104:105], v[120:121] neg_lo:[0,0,1] neg_hi:[0,0,1]
	s_delay_alu instid0(VALU_DEP_4) | instskip(NEXT) | instid1(VALU_DEP_4)
	v_pk_fma_f32 v[122:123], v[114:115], v[106:107], v[124:125] op_sel_hi:[1,0,1]
	v_mov_b32_e32 v105, v111
	s_delay_alu instid0(VALU_DEP_4) | instskip(SKIP_2) | instid1(VALU_DEP_3)
	v_pk_add_f32 v[102:103], v[102:103], 0 op_sel_hi:[1,0]
	v_pk_mul_f32 v[110:111], v[126:127], v[110:111] op_sel_hi:[1,0]
	v_pk_fma_f32 v[106:107], v[114:115], v[106:107], v[124:125] neg_lo:[0,0,1] neg_hi:[0,0,1]
	v_pk_add_f32 v[102:103], v[102:103], v[104:105]
	s_delay_alu instid0(VALU_DEP_3) | instskip(SKIP_2) | instid1(VALU_DEP_3)
	v_pk_fma_f32 v[104:105], v[116:117], v[108:109], v[110:111] op_sel_hi:[1,0,1]
	v_mov_b32_e32 v107, v123
	v_pk_fma_f32 v[108:109], v[116:117], v[108:109], v[110:111] neg_lo:[0,0,1] neg_hi:[0,0,1]
	v_mov_b32_e32 v109, v105
	s_delay_alu instid0(VALU_DEP_3) | instskip(NEXT) | instid1(VALU_DEP_1)
	v_pk_add_f32 v[102:103], v[102:103], v[106:107]
	v_pk_add_f32 v[102:103], v[102:103], v[108:109]
	s_wait_loadcnt 0x0
	s_delay_alu instid0(VALU_DEP_1)
	v_pk_add_f32 v[102:103], v[118:119], v[102:103] neg_lo:[0,1] neg_hi:[0,1]
	scratch_store_b64 off, v[102:103], off offset:360
	s_wait_xcnt 0x0
	v_cmpx_lt_u32_e32 44, v0
	s_cbranch_execz .LBB49_225
; %bb.224:
	scratch_load_b64 v[102:103], off, off offset:352
	v_mov_b64_e32 v[104:105], 0
	scratch_store_b64 off, v[104:105], off offset:352
	s_wait_loadcnt 0x0
	ds_store_b64 v1, v[102:103]
.LBB49_225:
	s_wait_xcnt 0x0
	s_or_b32 exec_lo, exec_lo, s0
	s_wait_storecnt_dscnt 0x0
	s_barrier_signal -1
	s_barrier_wait -1
	s_clause 0x3
	scratch_load_b128 v[102:105], off, off offset:360
	scratch_load_b128 v[106:109], off, off offset:376
	scratch_load_b64 v[118:119], off, off offset:392
	scratch_load_b64 v[120:121], off, off offset:352
	v_mov_b32_e32 v7, 0
	ds_load_2addr_b64 v[110:113], v7 offset0:95 offset1:96
	ds_load_2addr_b64 v[114:117], v7 offset0:97 offset1:98
	s_mov_b32 s0, exec_lo
	s_wait_dscnt 0x1
	v_dual_mov_b32 v122, v113 :: v_dual_mov_b32 v123, v112
	ds_load_b64 v[128:129], v7 offset:792
	s_wait_dscnt 0x1
	v_dual_mov_b32 v130, v117 :: v_dual_mov_b32 v131, v116
	s_wait_loadcnt 0x3
	v_pk_mul_f32 v[124:125], v[110:111], v[102:103] op_sel:[1,1] op_sel_hi:[0,1]
	v_mov_b32_e32 v126, v105
	s_delay_alu instid0(VALU_DEP_2) | instskip(NEXT) | instid1(VALU_DEP_2)
	v_pk_fma_f32 v[132:133], v[110:111], v[102:103], v[124:125] op_sel_hi:[1,0,1]
	v_pk_mul_f32 v[122:123], v[122:123], v[126:127] op_sel_hi:[1,0]
	v_pk_fma_f32 v[102:103], v[110:111], v[102:103], v[124:125] neg_lo:[0,0,1] neg_hi:[0,0,1]
	s_wait_loadcnt 0x2
	v_pk_mul_f32 v[126:127], v[114:115], v[106:107] op_sel:[1,1] op_sel_hi:[0,1]
	v_dual_mov_b32 v132, v109 :: v_dual_mov_b32 v103, v133
	v_pk_fma_f32 v[110:111], v[112:113], v[104:105], v[122:123] op_sel_hi:[1,0,1]
	v_pk_fma_f32 v[104:105], v[112:113], v[104:105], v[122:123] neg_lo:[0,0,1] neg_hi:[0,0,1]
	s_delay_alu instid0(VALU_DEP_4) | instskip(NEXT) | instid1(VALU_DEP_4)
	v_pk_fma_f32 v[124:125], v[114:115], v[106:107], v[126:127] op_sel_hi:[1,0,1]
	v_pk_mul_f32 v[130:131], v[130:131], v[132:133] op_sel_hi:[1,0]
	v_pk_add_f32 v[102:103], v[102:103], 0 op_sel_hi:[1,0]
	v_mov_b32_e32 v105, v111
	v_pk_fma_f32 v[106:107], v[114:115], v[106:107], v[126:127] neg_lo:[0,0,1] neg_hi:[0,0,1]
	v_mov_b32_e32 v107, v125
	v_pk_fma_f32 v[110:111], v[116:117], v[108:109], v[130:131] op_sel_hi:[1,0,1]
	v_pk_fma_f32 v[108:109], v[116:117], v[108:109], v[130:131] neg_lo:[0,0,1] neg_hi:[0,0,1]
	v_pk_add_f32 v[102:103], v[102:103], v[104:105]
	s_wait_loadcnt_dscnt 0x100
	v_pk_mul_f32 v[104:105], v[128:129], v[118:119] op_sel:[1,1] op_sel_hi:[0,1]
	s_delay_alu instid0(VALU_DEP_2) | instskip(NEXT) | instid1(VALU_DEP_2)
	v_pk_add_f32 v[102:103], v[102:103], v[106:107]
	v_pk_fma_f32 v[106:107], v[128:129], v[118:119], v[104:105] op_sel_hi:[1,0,1]
	v_mov_b32_e32 v109, v111
	v_pk_fma_f32 v[104:105], v[128:129], v[118:119], v[104:105] neg_lo:[0,0,1] neg_hi:[0,0,1]
	s_delay_alu instid0(VALU_DEP_3) | instskip(NEXT) | instid1(VALU_DEP_3)
	v_mov_b32_e32 v105, v107
	v_pk_add_f32 v[102:103], v[102:103], v[108:109]
	s_delay_alu instid0(VALU_DEP_1) | instskip(SKIP_1) | instid1(VALU_DEP_1)
	v_pk_add_f32 v[102:103], v[102:103], v[104:105]
	s_wait_loadcnt 0x0
	v_pk_add_f32 v[102:103], v[120:121], v[102:103] neg_lo:[0,1] neg_hi:[0,1]
	scratch_store_b64 off, v[102:103], off offset:352
	s_wait_xcnt 0x0
	v_cmpx_lt_u32_e32 43, v0
	s_cbranch_execz .LBB49_227
; %bb.226:
	scratch_load_b64 v[102:103], off, off offset:344
	v_mov_b64_e32 v[104:105], 0
	scratch_store_b64 off, v[104:105], off offset:344
	s_wait_loadcnt 0x0
	ds_store_b64 v1, v[102:103]
.LBB49_227:
	s_wait_xcnt 0x0
	s_or_b32 exec_lo, exec_lo, s0
	s_wait_storecnt_dscnt 0x0
	s_barrier_signal -1
	s_barrier_wait -1
	s_clause 0x3
	scratch_load_b128 v[102:105], off, off offset:352
	scratch_load_b128 v[106:109], off, off offset:368
	;; [unrolled: 1-line block ×3, first 2 shown]
	scratch_load_b64 v[126:127], off, off offset:344
	ds_load_b128 v[114:117], v7 offset:752
	ds_load_b128 v[118:121], v7 offset:768
	;; [unrolled: 1-line block ×3, first 2 shown]
	s_mov_b32 s0, exec_lo
	s_wait_dscnt 0x2
	v_dual_mov_b32 v128, v117 :: v_dual_mov_b32 v129, v116
	s_wait_dscnt 0x1
	v_dual_mov_b32 v130, v121 :: v_dual_mov_b32 v131, v120
	;; [unrolled: 2-line block ×3, first 2 shown]
	s_wait_loadcnt 0x3
	v_pk_mul_f32 v[132:133], v[114:115], v[102:103] op_sel:[1,1] op_sel_hi:[0,1]
	v_mov_b32_e32 v134, v105
	s_delay_alu instid0(VALU_DEP_2) | instskip(NEXT) | instid1(VALU_DEP_2)
	v_pk_fma_f32 v[138:139], v[114:115], v[102:103], v[132:133] op_sel_hi:[1,0,1]
	v_pk_mul_f32 v[128:129], v[128:129], v[134:135] op_sel_hi:[1,0]
	v_pk_fma_f32 v[102:103], v[114:115], v[102:103], v[132:133] neg_lo:[0,0,1] neg_hi:[0,0,1]
	s_wait_loadcnt 0x2
	v_pk_mul_f32 v[134:135], v[118:119], v[106:107] op_sel:[1,1] op_sel_hi:[0,1]
	v_mov_b32_e32 v138, v109
	v_pk_fma_f32 v[114:115], v[116:117], v[104:105], v[128:129] op_sel_hi:[1,0,1]
	v_mov_b32_e32 v103, v139
	v_pk_fma_f32 v[104:105], v[116:117], v[104:105], v[128:129] neg_lo:[0,0,1] neg_hi:[0,0,1]
	v_pk_fma_f32 v[132:133], v[118:119], v[106:107], v[134:135] op_sel_hi:[1,0,1]
	v_pk_mul_f32 v[130:131], v[130:131], v[138:139] op_sel_hi:[1,0]
	v_mov_b32_e32 v105, v115
	v_pk_add_f32 v[102:103], v[102:103], 0 op_sel_hi:[1,0]
	v_pk_fma_f32 v[106:107], v[118:119], v[106:107], v[134:135] neg_lo:[0,0,1] neg_hi:[0,0,1]
	s_wait_loadcnt 0x1
	v_pk_mul_f32 v[114:115], v[122:123], v[110:111] op_sel:[1,1] op_sel_hi:[0,1]
	v_mov_b32_e32 v107, v133
	v_pk_fma_f32 v[116:117], v[120:121], v[108:109], v[130:131] op_sel_hi:[1,0,1]
	v_pk_add_f32 v[102:103], v[102:103], v[104:105]
	v_mov_b32_e32 v104, v113
	v_pk_fma_f32 v[108:109], v[120:121], v[108:109], v[130:131] neg_lo:[0,0,1] neg_hi:[0,0,1]
	v_pk_fma_f32 v[118:119], v[122:123], v[110:111], v[114:115] op_sel_hi:[1,0,1]
	v_mov_b32_e32 v109, v117
	v_pk_add_f32 v[102:103], v[102:103], v[106:107]
	v_pk_mul_f32 v[104:105], v[136:137], v[104:105] op_sel_hi:[1,0]
	v_pk_fma_f32 v[106:107], v[122:123], v[110:111], v[114:115] neg_lo:[0,0,1] neg_hi:[0,0,1]
	v_mov_b32_e32 v107, v119
	s_delay_alu instid0(VALU_DEP_4) | instskip(NEXT) | instid1(VALU_DEP_4)
	v_pk_add_f32 v[102:103], v[102:103], v[108:109]
	v_pk_fma_f32 v[108:109], v[124:125], v[112:113], v[104:105] op_sel_hi:[1,0,1]
	v_pk_fma_f32 v[104:105], v[124:125], v[112:113], v[104:105] neg_lo:[0,0,1] neg_hi:[0,0,1]
	s_delay_alu instid0(VALU_DEP_3) | instskip(NEXT) | instid1(VALU_DEP_3)
	v_pk_add_f32 v[102:103], v[102:103], v[106:107]
	v_mov_b32_e32 v105, v109
	s_delay_alu instid0(VALU_DEP_1) | instskip(SKIP_1) | instid1(VALU_DEP_1)
	v_pk_add_f32 v[102:103], v[102:103], v[104:105]
	s_wait_loadcnt 0x0
	v_pk_add_f32 v[102:103], v[126:127], v[102:103] neg_lo:[0,1] neg_hi:[0,1]
	scratch_store_b64 off, v[102:103], off offset:344
	s_wait_xcnt 0x0
	v_cmpx_lt_u32_e32 42, v0
	s_cbranch_execz .LBB49_229
; %bb.228:
	scratch_load_b64 v[102:103], off, off offset:336
	v_mov_b64_e32 v[104:105], 0
	scratch_store_b64 off, v[104:105], off offset:336
	s_wait_loadcnt 0x0
	ds_store_b64 v1, v[102:103]
.LBB49_229:
	s_wait_xcnt 0x0
	s_or_b32 exec_lo, exec_lo, s0
	s_wait_storecnt_dscnt 0x0
	s_barrier_signal -1
	s_barrier_wait -1
	s_clause 0x4
	scratch_load_b128 v[102:105], off, off offset:344
	scratch_load_b128 v[106:109], off, off offset:360
	;; [unrolled: 1-line block ×3, first 2 shown]
	scratch_load_b64 v[126:127], off, off offset:392
	scratch_load_b64 v[128:129], off, off offset:336
	v_mov_b32_e32 v7, 0
	ds_load_2addr_b64 v[114:117], v7 offset0:93 offset1:94
	ds_load_2addr_b64 v[118:121], v7 offset0:95 offset1:96
	;; [unrolled: 1-line block ×3, first 2 shown]
	ds_load_b64 v[130:131], v7 offset:792
	s_mov_b32 s0, exec_lo
	s_wait_dscnt 0x3
	v_dual_mov_b32 v132, v117 :: v_dual_mov_b32 v133, v116
	s_wait_dscnt 0x2
	v_dual_mov_b32 v134, v121 :: v_dual_mov_b32 v135, v120
	;; [unrolled: 2-line block ×3, first 2 shown]
	s_wait_loadcnt 0x4
	v_pk_mul_f32 v[136:137], v[114:115], v[102:103] op_sel:[1,1] op_sel_hi:[0,1]
	v_mov_b32_e32 v138, v105
	s_wait_loadcnt 0x3
	v_pk_mul_f32 v[142:143], v[118:119], v[106:107] op_sel:[1,1] op_sel_hi:[0,1]
	s_wait_loadcnt 0x2
	v_pk_mul_f32 v[146:147], v[122:123], v[110:111] op_sel:[1,1] op_sel_hi:[0,1]
	v_pk_fma_f32 v[144:145], v[114:115], v[102:103], v[136:137] op_sel_hi:[1,0,1]
	v_pk_mul_f32 v[132:133], v[132:133], v[138:139] op_sel_hi:[1,0]
	v_pk_fma_f32 v[102:103], v[114:115], v[102:103], v[136:137] neg_lo:[0,0,1] neg_hi:[0,0,1]
	v_mov_b32_e32 v138, v109
	v_pk_fma_f32 v[136:137], v[118:119], v[106:107], v[142:143] op_sel_hi:[1,0,1]
	v_mov_b32_e32 v103, v145
	v_pk_fma_f32 v[114:115], v[116:117], v[104:105], v[132:133] op_sel_hi:[1,0,1]
	v_pk_fma_f32 v[104:105], v[116:117], v[104:105], v[132:133] neg_lo:[0,0,1] neg_hi:[0,0,1]
	v_pk_mul_f32 v[134:135], v[134:135], v[138:139] op_sel_hi:[1,0]
	v_pk_fma_f32 v[106:107], v[118:119], v[106:107], v[142:143] neg_lo:[0,0,1] neg_hi:[0,0,1]
	v_pk_add_f32 v[102:103], v[102:103], 0 op_sel_hi:[1,0]
	v_dual_mov_b32 v105, v115 :: v_dual_mov_b32 v114, v113
	s_delay_alu instid0(VALU_DEP_4) | instskip(SKIP_2) | instid1(VALU_DEP_4)
	v_pk_fma_f32 v[116:117], v[120:121], v[108:109], v[134:135] op_sel_hi:[1,0,1]
	v_mov_b32_e32 v107, v137
	v_pk_fma_f32 v[108:109], v[120:121], v[108:109], v[134:135] neg_lo:[0,0,1] neg_hi:[0,0,1]
	v_pk_add_f32 v[102:103], v[102:103], v[104:105]
	v_pk_fma_f32 v[104:105], v[122:123], v[110:111], v[146:147] op_sel_hi:[1,0,1]
	v_pk_mul_f32 v[114:115], v[140:141], v[114:115] op_sel_hi:[1,0]
	v_mov_b32_e32 v109, v117
	s_delay_alu instid0(VALU_DEP_4)
	v_pk_add_f32 v[102:103], v[102:103], v[106:107]
	v_pk_fma_f32 v[106:107], v[122:123], v[110:111], v[146:147] neg_lo:[0,0,1] neg_hi:[0,0,1]
	v_mov_b32_e32 v107, v105
	v_pk_fma_f32 v[104:105], v[124:125], v[112:113], v[114:115] op_sel_hi:[1,0,1]
	v_pk_fma_f32 v[110:111], v[124:125], v[112:113], v[114:115] neg_lo:[0,0,1] neg_hi:[0,0,1]
	v_pk_add_f32 v[102:103], v[102:103], v[108:109]
	s_wait_loadcnt_dscnt 0x100
	v_pk_mul_f32 v[108:109], v[130:131], v[126:127] op_sel:[1,1] op_sel_hi:[0,1]
	v_mov_b32_e32 v111, v105
	s_delay_alu instid0(VALU_DEP_3) | instskip(NEXT) | instid1(VALU_DEP_3)
	v_pk_add_f32 v[102:103], v[102:103], v[106:107]
	v_pk_fma_f32 v[104:105], v[130:131], v[126:127], v[108:109] op_sel_hi:[1,0,1]
	v_pk_fma_f32 v[106:107], v[130:131], v[126:127], v[108:109] neg_lo:[0,0,1] neg_hi:[0,0,1]
	s_delay_alu instid0(VALU_DEP_3) | instskip(NEXT) | instid1(VALU_DEP_3)
	v_pk_add_f32 v[102:103], v[102:103], v[110:111]
	v_mov_b32_e32 v107, v105
	s_delay_alu instid0(VALU_DEP_1) | instskip(SKIP_1) | instid1(VALU_DEP_1)
	v_pk_add_f32 v[102:103], v[102:103], v[106:107]
	s_wait_loadcnt 0x0
	v_pk_add_f32 v[102:103], v[128:129], v[102:103] neg_lo:[0,1] neg_hi:[0,1]
	scratch_store_b64 off, v[102:103], off offset:336
	s_wait_xcnt 0x0
	v_cmpx_lt_u32_e32 41, v0
	s_cbranch_execz .LBB49_231
; %bb.230:
	scratch_load_b64 v[102:103], off, off offset:328
	v_mov_b64_e32 v[104:105], 0
	scratch_store_b64 off, v[104:105], off offset:328
	s_wait_loadcnt 0x0
	ds_store_b64 v1, v[102:103]
.LBB49_231:
	s_wait_xcnt 0x0
	s_or_b32 exec_lo, exec_lo, s0
	s_wait_storecnt_dscnt 0x0
	s_barrier_signal -1
	s_barrier_wait -1
	s_clause 0x4
	scratch_load_b128 v[102:105], off, off offset:336
	scratch_load_b128 v[106:109], off, off offset:352
	;; [unrolled: 1-line block ×4, first 2 shown]
	scratch_load_b64 v[134:135], off, off offset:328
	ds_load_b128 v[118:121], v7 offset:736
	ds_load_b128 v[122:125], v7 offset:752
	;; [unrolled: 1-line block ×4, first 2 shown]
	s_mov_b32 s0, exec_lo
	s_wait_dscnt 0x3
	v_dual_mov_b32 v136, v121 :: v_dual_mov_b32 v137, v120
	s_wait_dscnt 0x2
	v_dual_mov_b32 v138, v125 :: v_dual_mov_b32 v139, v124
	;; [unrolled: 2-line block ×3, first 2 shown]
	v_dual_mov_b32 v141, v128 :: v_dual_mov_b32 v146, v133
	s_wait_loadcnt 0x4
	v_mov_b32_e32 v144, v105
	v_pk_mul_f32 v[142:143], v[118:119], v[102:103] op_sel:[1,1] op_sel_hi:[0,1]
	s_wait_loadcnt 0x3
	v_pk_mul_f32 v[148:149], v[122:123], v[106:107] op_sel:[1,1] op_sel_hi:[0,1]
	s_wait_loadcnt 0x2
	v_pk_mul_f32 v[152:153], v[126:127], v[110:111] op_sel:[1,1] op_sel_hi:[0,1]
	v_pk_mul_f32 v[136:137], v[136:137], v[144:145] op_sel_hi:[1,0]
	v_pk_fma_f32 v[150:151], v[118:119], v[102:103], v[142:143] op_sel_hi:[1,0,1]
	v_pk_fma_f32 v[102:103], v[118:119], v[102:103], v[142:143] neg_lo:[0,0,1] neg_hi:[0,0,1]
	v_mov_b32_e32 v144, v109
	v_pk_fma_f32 v[142:143], v[122:123], v[106:107], v[148:149] op_sel_hi:[1,0,1]
	v_pk_fma_f32 v[118:119], v[120:121], v[104:105], v[136:137] op_sel_hi:[1,0,1]
	v_mov_b32_e32 v103, v151
	v_pk_fma_f32 v[104:105], v[120:121], v[104:105], v[136:137] neg_lo:[0,0,1] neg_hi:[0,0,1]
	v_pk_mul_f32 v[138:139], v[138:139], v[144:145] op_sel_hi:[1,0]
	s_delay_alu instid0(VALU_DEP_4) | instskip(NEXT) | instid1(VALU_DEP_4)
	v_dual_mov_b32 v118, v113 :: v_dual_mov_b32 v105, v119
	v_pk_add_f32 v[102:103], v[102:103], 0 op_sel_hi:[1,0]
	v_pk_fma_f32 v[106:107], v[122:123], v[106:107], v[148:149] neg_lo:[0,0,1] neg_hi:[0,0,1]
	v_mov_b32_e32 v107, v143
	v_pk_fma_f32 v[120:121], v[124:125], v[108:109], v[138:139] op_sel_hi:[1,0,1]
	v_pk_mul_f32 v[118:119], v[140:141], v[118:119] op_sel_hi:[1,0]
	v_pk_add_f32 v[102:103], v[102:103], v[104:105]
	v_pk_fma_f32 v[104:105], v[126:127], v[110:111], v[152:153] op_sel_hi:[1,0,1]
	v_pk_fma_f32 v[108:109], v[124:125], v[108:109], v[138:139] neg_lo:[0,0,1] neg_hi:[0,0,1]
	v_mov_b32_e32 v109, v121
	v_pk_fma_f32 v[110:111], v[126:127], v[110:111], v[152:153] neg_lo:[0,0,1] neg_hi:[0,0,1]
	v_pk_add_f32 v[102:103], v[102:103], v[106:107]
	v_mov_b32_e32 v111, v105
	v_pk_fma_f32 v[104:105], v[128:129], v[112:113], v[118:119] op_sel_hi:[1,0,1]
	s_wait_loadcnt 0x1
	v_pk_mul_f32 v[106:107], v[130:131], v[114:115] op_sel:[1,1] op_sel_hi:[0,1]
	v_mov_b32_e32 v104, v117
	v_pk_add_f32 v[102:103], v[102:103], v[108:109]
	v_pk_fma_f32 v[112:113], v[128:129], v[112:113], v[118:119] neg_lo:[0,0,1] neg_hi:[0,0,1]
	v_mov_b32_e32 v113, v105
	v_pk_fma_f32 v[108:109], v[130:131], v[114:115], v[106:107] op_sel_hi:[1,0,1]
	v_pk_mul_f32 v[104:105], v[146:147], v[104:105] op_sel_hi:[1,0]
	v_pk_add_f32 v[102:103], v[102:103], v[110:111]
	v_pk_fma_f32 v[106:107], v[130:131], v[114:115], v[106:107] neg_lo:[0,0,1] neg_hi:[0,0,1]
	s_delay_alu instid0(VALU_DEP_4) | instskip(NEXT) | instid1(VALU_DEP_4)
	v_mov_b32_e32 v107, v109
	v_pk_fma_f32 v[108:109], v[132:133], v[116:117], v[104:105] op_sel_hi:[1,0,1]
	s_delay_alu instid0(VALU_DEP_4) | instskip(SKIP_1) | instid1(VALU_DEP_3)
	v_pk_add_f32 v[102:103], v[102:103], v[112:113]
	v_pk_fma_f32 v[104:105], v[132:133], v[116:117], v[104:105] neg_lo:[0,0,1] neg_hi:[0,0,1]
	v_mov_b32_e32 v105, v109
	s_delay_alu instid0(VALU_DEP_3) | instskip(NEXT) | instid1(VALU_DEP_1)
	v_pk_add_f32 v[102:103], v[102:103], v[106:107]
	v_pk_add_f32 v[102:103], v[102:103], v[104:105]
	s_wait_loadcnt 0x0
	s_delay_alu instid0(VALU_DEP_1)
	v_pk_add_f32 v[102:103], v[134:135], v[102:103] neg_lo:[0,1] neg_hi:[0,1]
	scratch_store_b64 off, v[102:103], off offset:328
	s_wait_xcnt 0x0
	v_cmpx_lt_u32_e32 40, v0
	s_cbranch_execz .LBB49_233
; %bb.232:
	scratch_load_b64 v[102:103], off, off offset:320
	v_mov_b64_e32 v[104:105], 0
	scratch_store_b64 off, v[104:105], off offset:320
	s_wait_loadcnt 0x0
	ds_store_b64 v1, v[102:103]
.LBB49_233:
	s_wait_xcnt 0x0
	s_or_b32 exec_lo, exec_lo, s0
	s_wait_storecnt_dscnt 0x0
	s_barrier_signal -1
	s_barrier_wait -1
	s_clause 0x5
	scratch_load_b128 v[102:105], off, off offset:328
	scratch_load_b128 v[106:109], off, off offset:344
	;; [unrolled: 1-line block ×4, first 2 shown]
	scratch_load_b64 v[134:135], off, off offset:392
	scratch_load_b64 v[136:137], off, off offset:320
	v_mov_b32_e32 v7, 0
	ds_load_2addr_b64 v[118:121], v7 offset0:91 offset1:92
	ds_load_2addr_b64 v[122:125], v7 offset0:93 offset1:94
	;; [unrolled: 1-line block ×4, first 2 shown]
	ds_load_b64 v[138:139], v7 offset:792
	s_mov_b32 s0, exec_lo
	s_wait_dscnt 0x4
	v_dual_mov_b32 v140, v121 :: v_dual_mov_b32 v141, v120
	s_wait_dscnt 0x1
	v_dual_mov_b32 v142, v125 :: v_dual_mov_b32 v147, v132
	v_dual_mov_b32 v143, v124 :: v_dual_mov_b32 v144, v129
	;; [unrolled: 1-line block ×3, first 2 shown]
	s_wait_loadcnt 0x5
	v_dual_mov_b32 v148, v105 :: v_dual_mul_f32 v149, v118, v103
	v_mul_f32_e32 v9, v119, v103
	s_wait_loadcnt 0x4
	v_pk_mul_f32 v[150:151], v[122:123], v[106:107] op_sel:[1,1] op_sel_hi:[0,1]
	v_mov_b32_e32 v152, v109
	s_wait_loadcnt 0x3
	v_pk_mul_f32 v[154:155], v[126:127], v[110:111] op_sel:[1,1] op_sel_hi:[0,1]
	v_pk_mul_f32 v[140:141], v[140:141], v[148:149] op_sel_hi:[1,0]
	v_fmac_f32_e32 v149, v119, v102
	v_dual_fma_f32 v148, v118, v102, -v9 :: v_dual_mov_b32 v102, v113
	v_pk_fma_f32 v[156:157], v[122:123], v[106:107], v[150:151] op_sel_hi:[1,0,1]
	s_delay_alu instid0(VALU_DEP_4)
	v_pk_fma_f32 v[118:119], v[120:121], v[104:105], v[140:141] op_sel_hi:[1,0,1]
	v_pk_fma_f32 v[104:105], v[120:121], v[104:105], v[140:141] neg_lo:[0,0,1] neg_hi:[0,0,1]
	v_pk_mul_f32 v[142:143], v[142:143], v[152:153] op_sel_hi:[1,0]
	v_pk_add_f32 v[148:149], v[148:149], 0 op_sel_hi:[1,0]
	v_pk_fma_f32 v[106:107], v[122:123], v[106:107], v[150:151] neg_lo:[0,0,1] neg_hi:[0,0,1]
	v_dual_mov_b32 v105, v119 :: v_dual_mov_b32 v107, v157
	s_delay_alu instid0(VALU_DEP_4) | instskip(SKIP_2) | instid1(VALU_DEP_4)
	v_pk_fma_f32 v[120:121], v[124:125], v[108:109], v[142:143] op_sel_hi:[1,0,1]
	v_pk_fma_f32 v[108:109], v[124:125], v[108:109], v[142:143] neg_lo:[0,0,1] neg_hi:[0,0,1]
	v_pk_fma_f32 v[122:123], v[126:127], v[110:111], v[154:155] op_sel_hi:[1,0,1]
	v_pk_add_f32 v[104:105], v[148:149], v[104:105]
	v_pk_mul_f32 v[102:103], v[144:145], v[102:103] op_sel_hi:[1,0]
	v_mov_b32_e32 v109, v121
	v_pk_fma_f32 v[110:111], v[126:127], v[110:111], v[154:155] neg_lo:[0,0,1] neg_hi:[0,0,1]
	s_wait_loadcnt 0x2
	v_pk_mul_f32 v[118:119], v[130:131], v[114:115] op_sel:[1,1] op_sel_hi:[0,1]
	v_pk_add_f32 v[104:105], v[104:105], v[106:107]
	v_mov_b32_e32 v106, v117
	v_pk_fma_f32 v[120:121], v[128:129], v[112:113], v[102:103] op_sel_hi:[1,0,1]
	v_mov_b32_e32 v111, v123
	v_pk_fma_f32 v[102:103], v[128:129], v[112:113], v[102:103] neg_lo:[0,0,1] neg_hi:[0,0,1]
	v_pk_add_f32 v[104:105], v[104:105], v[108:109]
	v_pk_fma_f32 v[108:109], v[130:131], v[114:115], v[118:119] op_sel_hi:[1,0,1]
	v_pk_mul_f32 v[106:107], v[146:147], v[106:107] op_sel_hi:[1,0]
	v_mov_b32_e32 v103, v121
	s_delay_alu instid0(VALU_DEP_4)
	v_pk_add_f32 v[104:105], v[104:105], v[110:111]
	v_pk_fma_f32 v[110:111], v[130:131], v[114:115], v[118:119] neg_lo:[0,0,1] neg_hi:[0,0,1]
	v_mov_b32_e32 v111, v109
	v_pk_fma_f32 v[108:109], v[132:133], v[116:117], v[106:107] op_sel_hi:[1,0,1]
	v_pk_fma_f32 v[106:107], v[132:133], v[116:117], v[106:107] neg_lo:[0,0,1] neg_hi:[0,0,1]
	v_pk_add_f32 v[102:103], v[104:105], v[102:103]
	s_wait_loadcnt_dscnt 0x100
	v_pk_mul_f32 v[104:105], v[138:139], v[134:135] op_sel:[1,1] op_sel_hi:[0,1]
	v_mov_b32_e32 v107, v109
	s_delay_alu instid0(VALU_DEP_3) | instskip(NEXT) | instid1(VALU_DEP_3)
	v_pk_add_f32 v[102:103], v[102:103], v[110:111]
	v_pk_fma_f32 v[108:109], v[138:139], v[134:135], v[104:105] op_sel_hi:[1,0,1]
	v_pk_fma_f32 v[104:105], v[138:139], v[134:135], v[104:105] neg_lo:[0,0,1] neg_hi:[0,0,1]
	s_delay_alu instid0(VALU_DEP_3) | instskip(NEXT) | instid1(VALU_DEP_3)
	v_pk_add_f32 v[102:103], v[102:103], v[106:107]
	v_mov_b32_e32 v105, v109
	s_delay_alu instid0(VALU_DEP_1) | instskip(SKIP_1) | instid1(VALU_DEP_1)
	v_pk_add_f32 v[102:103], v[102:103], v[104:105]
	s_wait_loadcnt 0x0
	v_pk_add_f32 v[102:103], v[136:137], v[102:103] neg_lo:[0,1] neg_hi:[0,1]
	scratch_store_b64 off, v[102:103], off offset:320
	s_wait_xcnt 0x0
	v_cmpx_lt_u32_e32 39, v0
	s_cbranch_execz .LBB49_235
; %bb.234:
	scratch_load_b64 v[102:103], off, off offset:312
	v_mov_b64_e32 v[104:105], 0
	scratch_store_b64 off, v[104:105], off offset:312
	s_wait_loadcnt 0x0
	ds_store_b64 v1, v[102:103]
.LBB49_235:
	s_wait_xcnt 0x0
	s_or_b32 exec_lo, exec_lo, s0
	s_wait_storecnt_dscnt 0x0
	s_barrier_signal -1
	s_barrier_wait -1
	s_clause 0x5
	scratch_load_b128 v[102:105], off, off offset:320
	scratch_load_b128 v[106:109], off, off offset:336
	;; [unrolled: 1-line block ×5, first 2 shown]
	scratch_load_b64 v[142:143], off, off offset:312
	ds_load_b128 v[122:125], v7 offset:736
	ds_load_b128 v[126:129], v7 offset:752
	;; [unrolled: 1-line block ×5, first 2 shown]
	s_mov_b32 s0, exec_lo
	s_wait_dscnt 0x4
	v_dual_mov_b32 v144, v125 :: v_dual_mov_b32 v145, v124
	s_wait_dscnt 0x3
	v_dual_mov_b32 v146, v129 :: v_dual_mov_b32 v147, v128
	;; [unrolled: 2-line block ×4, first 2 shown]
	s_wait_loadcnt_dscnt 0x500
	v_dual_mul_f32 v153, v138, v103 :: v_dual_mul_f32 v155, v140, v105
	v_dual_mul_f32 v7, v139, v103 :: v_dual_mul_f32 v9, v141, v105
	s_wait_loadcnt 0x4
	v_pk_mul_f32 v[156:157], v[122:123], v[106:107] op_sel:[1,1] op_sel_hi:[0,1]
	s_wait_loadcnt 0x3
	v_dual_mov_b32 v158, v109 :: v_dual_mov_b32 v162, v113
	v_dual_fmac_f32 v153, v139, v102 :: v_dual_fma_f32 v152, v138, v102, -v7
	v_dual_fmac_f32 v155, v141, v104 :: v_dual_fma_f32 v154, v140, v104, -v9
	v_pk_fma_f32 v[102:103], v[122:123], v[106:107], v[156:157] op_sel_hi:[1,0,1]
	s_delay_alu instid0(VALU_DEP_4) | instskip(NEXT) | instid1(VALU_DEP_4)
	v_pk_mul_f32 v[104:105], v[144:145], v[158:159] op_sel_hi:[1,0]
	v_pk_add_f32 v[138:139], v[152:153], 0 op_sel_hi:[1,0]
	v_pk_fma_f32 v[106:107], v[122:123], v[106:107], v[156:157] neg_lo:[0,0,1] neg_hi:[0,0,1]
	v_pk_mul_f32 v[160:161], v[126:127], v[110:111] op_sel:[1,1] op_sel_hi:[0,1]
	v_mov_b32_e32 v107, v103
	v_pk_fma_f32 v[102:103], v[124:125], v[108:109], v[104:105] op_sel_hi:[1,0,1]
	v_pk_add_f32 v[122:123], v[138:139], v[154:155]
	v_pk_fma_f32 v[104:105], v[124:125], v[108:109], v[104:105] neg_lo:[0,0,1] neg_hi:[0,0,1]
	v_pk_fma_f32 v[138:139], v[126:127], v[110:111], v[160:161] op_sel_hi:[1,0,1]
	v_pk_mul_f32 v[144:145], v[146:147], v[162:163] op_sel_hi:[1,0]
	v_mov_b32_e32 v105, v103
	v_pk_add_f32 v[102:103], v[122:123], v[106:107]
	s_wait_loadcnt 0x2
	v_pk_mul_f32 v[140:141], v[130:131], v[114:115] op_sel:[1,1] op_sel_hi:[0,1]
	v_mov_b32_e32 v106, v117
	v_pk_fma_f32 v[108:109], v[126:127], v[110:111], v[160:161] neg_lo:[0,0,1] neg_hi:[0,0,1]
	v_mov_b32_e32 v109, v139
	v_pk_fma_f32 v[110:111], v[128:129], v[112:113], v[144:145] op_sel_hi:[1,0,1]
	v_pk_add_f32 v[102:103], v[102:103], v[104:105]
	v_pk_fma_f32 v[104:105], v[130:131], v[114:115], v[140:141] op_sel_hi:[1,0,1]
	v_pk_mul_f32 v[106:107], v[148:149], v[106:107] op_sel_hi:[1,0]
	v_pk_fma_f32 v[112:113], v[128:129], v[112:113], v[144:145] neg_lo:[0,0,1] neg_hi:[0,0,1]
	v_mov_b32_e32 v113, v111
	v_pk_add_f32 v[102:103], v[102:103], v[108:109]
	v_pk_fma_f32 v[110:111], v[130:131], v[114:115], v[140:141] neg_lo:[0,0,1] neg_hi:[0,0,1]
	v_mov_b32_e32 v111, v105
	v_pk_fma_f32 v[104:105], v[132:133], v[116:117], v[106:107] op_sel_hi:[1,0,1]
	s_wait_loadcnt 0x1
	v_pk_mul_f32 v[108:109], v[134:135], v[118:119] op_sel:[1,1] op_sel_hi:[0,1]
	v_pk_add_f32 v[102:103], v[102:103], v[112:113]
	v_mov_b32_e32 v104, v121
	v_pk_fma_f32 v[106:107], v[132:133], v[116:117], v[106:107] neg_lo:[0,0,1] neg_hi:[0,0,1]
	v_mov_b32_e32 v107, v105
	v_pk_fma_f32 v[112:113], v[134:135], v[118:119], v[108:109] op_sel_hi:[1,0,1]
	v_pk_add_f32 v[102:103], v[102:103], v[110:111]
	v_pk_mul_f32 v[104:105], v[150:151], v[104:105] op_sel_hi:[1,0]
	v_pk_fma_f32 v[108:109], v[134:135], v[118:119], v[108:109] neg_lo:[0,0,1] neg_hi:[0,0,1]
	s_delay_alu instid0(VALU_DEP_3) | instskip(NEXT) | instid1(VALU_DEP_3)
	v_pk_add_f32 v[102:103], v[102:103], v[106:107]
	v_pk_fma_f32 v[106:107], v[136:137], v[120:121], v[104:105] op_sel_hi:[1,0,1]
	v_mov_b32_e32 v109, v113
	v_pk_fma_f32 v[104:105], v[136:137], v[120:121], v[104:105] neg_lo:[0,0,1] neg_hi:[0,0,1]
	s_delay_alu instid0(VALU_DEP_3) | instskip(NEXT) | instid1(VALU_DEP_3)
	v_mov_b32_e32 v105, v107
	v_pk_add_f32 v[102:103], v[102:103], v[108:109]
	s_delay_alu instid0(VALU_DEP_1) | instskip(SKIP_1) | instid1(VALU_DEP_1)
	v_pk_add_f32 v[102:103], v[102:103], v[104:105]
	s_wait_loadcnt 0x0
	v_pk_add_f32 v[102:103], v[142:143], v[102:103] neg_lo:[0,1] neg_hi:[0,1]
	scratch_store_b64 off, v[102:103], off offset:312
	s_wait_xcnt 0x0
	v_cmpx_lt_u32_e32 38, v0
	s_cbranch_execz .LBB49_237
; %bb.236:
	scratch_load_b64 v[102:103], off, off offset:304
	v_mov_b64_e32 v[104:105], 0
	scratch_store_b64 off, v[104:105], off offset:304
	s_wait_loadcnt 0x0
	ds_store_b64 v1, v[102:103]
.LBB49_237:
	s_wait_xcnt 0x0
	s_or_b32 exec_lo, exec_lo, s0
	s_wait_storecnt_dscnt 0x0
	s_barrier_signal -1
	s_barrier_wait -1
	s_clause 0x6
	scratch_load_b128 v[102:105], off, off offset:312
	scratch_load_b128 v[106:109], off, off offset:328
	;; [unrolled: 1-line block ×5, first 2 shown]
	scratch_load_b64 v[142:143], off, off offset:392
	scratch_load_b64 v[144:145], off, off offset:304
	v_mov_b32_e32 v7, 0
	ds_load_2addr_b64 v[122:125], v7 offset0:91 offset1:92
	ds_load_2addr_b64 v[126:129], v7 offset0:93 offset1:94
	;; [unrolled: 1-line block ×5, first 2 shown]
	ds_load_b64 v[146:147], v7 offset:792
	s_mov_b32 s0, exec_lo
	s_wait_dscnt 0x5
	v_dual_mov_b32 v148, v125 :: v_dual_mov_b32 v149, v124
	s_wait_dscnt 0x2
	v_dual_mov_b32 v150, v129 :: v_dual_mov_b32 v155, v136
	v_dual_mov_b32 v151, v128 :: v_dual_mov_b32 v152, v133
	;; [unrolled: 1-line block ×3, first 2 shown]
	s_wait_loadcnt_dscnt 0x601
	v_dual_mul_f32 v9, v138, v103 :: v_dual_mul_f32 v11, v139, v103
	v_dual_mul_f32 v13, v141, v105 :: v_dual_mul_f32 v157, v140, v105
	s_wait_loadcnt 0x5
	v_dual_mul_f32 v159, v122, v107 :: v_dual_mul_f32 v15, v123, v107
	s_wait_loadcnt 0x4
	v_dual_mov_b32 v158, v109 :: v_dual_mov_b32 v162, v113
	v_dual_fmac_f32 v9, v139, v102 :: v_dual_fma_f32 v11, v138, v102, -v11
	v_fmac_f32_e32 v157, v141, v104
	v_pk_mul_f32 v[160:161], v[126:127], v[110:111] op_sel:[1,1] op_sel_hi:[0,1]
	s_delay_alu instid0(VALU_DEP_3)
	v_dual_fma_f32 v156, v140, v104, -v13 :: v_dual_add_f32 v105, 0, v9
	v_pk_mul_f32 v[102:103], v[148:149], v[158:159] op_sel_hi:[1,0]
	s_wait_loadcnt 0x3
	v_dual_add_f32 v104, 0, v11 :: v_dual_mov_b32 v138, v117
	v_fmac_f32_e32 v159, v123, v106
	v_fma_f32 v158, v122, v106, -v15
	v_pk_fma_f32 v[106:107], v[124:125], v[108:109], v[102:103] op_sel_hi:[1,0,1]
	s_delay_alu instid0(VALU_DEP_4) | instskip(SKIP_4) | instid1(VALU_DEP_4)
	v_pk_add_f32 v[104:105], v[104:105], v[156:157]
	v_pk_fma_f32 v[122:123], v[126:127], v[110:111], v[160:161] op_sel_hi:[1,0,1]
	v_pk_fma_f32 v[102:103], v[124:125], v[108:109], v[102:103] neg_lo:[0,0,1] neg_hi:[0,0,1]
	v_pk_fma_f32 v[108:109], v[126:127], v[110:111], v[160:161] neg_lo:[0,0,1] neg_hi:[0,0,1]
	v_pk_mul_f32 v[140:141], v[150:151], v[162:163] op_sel_hi:[1,0]
	v_dual_mov_b32 v103, v107 :: v_dual_mov_b32 v109, v123
	v_pk_add_f32 v[104:105], v[104:105], v[158:159]
	v_pk_mul_f32 v[164:165], v[130:131], v[114:115] op_sel:[1,1] op_sel_hi:[0,1]
	s_delay_alu instid0(VALU_DEP_4)
	v_pk_fma_f32 v[110:111], v[128:129], v[112:113], v[140:141] op_sel_hi:[1,0,1]
	v_pk_fma_f32 v[112:113], v[128:129], v[112:113], v[140:141] neg_lo:[0,0,1] neg_hi:[0,0,1]
	v_pk_mul_f32 v[122:123], v[152:153], v[138:139] op_sel_hi:[1,0]
	v_pk_add_f32 v[102:103], v[104:105], v[102:103]
	v_pk_fma_f32 v[104:105], v[130:131], v[114:115], v[164:165] op_sel_hi:[1,0,1]
	s_wait_loadcnt 0x2
	v_dual_mov_b32 v113, v111 :: v_dual_mov_b32 v104, v121
	v_pk_mul_f32 v[106:107], v[134:135], v[118:119] op_sel:[1,1] op_sel_hi:[0,1]
	v_pk_add_f32 v[102:103], v[102:103], v[108:109]
	v_pk_fma_f32 v[108:109], v[130:131], v[114:115], v[164:165] neg_lo:[0,0,1] neg_hi:[0,0,1]
	v_pk_fma_f32 v[110:111], v[132:133], v[116:117], v[122:123] op_sel_hi:[1,0,1]
	v_mov_b32_e32 v109, v105
	v_pk_fma_f32 v[114:115], v[132:133], v[116:117], v[122:123] neg_lo:[0,0,1] neg_hi:[0,0,1]
	v_pk_add_f32 v[102:103], v[102:103], v[112:113]
	v_pk_fma_f32 v[112:113], v[134:135], v[118:119], v[106:107] op_sel_hi:[1,0,1]
	v_pk_mul_f32 v[104:105], v[154:155], v[104:105] op_sel_hi:[1,0]
	v_mov_b32_e32 v115, v111
	v_pk_fma_f32 v[106:107], v[134:135], v[118:119], v[106:107] neg_lo:[0,0,1] neg_hi:[0,0,1]
	v_pk_add_f32 v[102:103], v[102:103], v[108:109]
	s_wait_loadcnt_dscnt 0x100
	v_pk_mul_f32 v[110:111], v[146:147], v[142:143] op_sel:[1,1] op_sel_hi:[0,1]
	v_pk_fma_f32 v[108:109], v[136:137], v[120:121], v[104:105] op_sel_hi:[1,0,1]
	v_mov_b32_e32 v107, v113
	v_pk_fma_f32 v[104:105], v[136:137], v[120:121], v[104:105] neg_lo:[0,0,1] neg_hi:[0,0,1]
	v_pk_add_f32 v[102:103], v[102:103], v[114:115]
	s_delay_alu instid0(VALU_DEP_4) | instskip(SKIP_1) | instid1(VALU_DEP_3)
	v_mov_b32_e32 v105, v109
	v_pk_fma_f32 v[108:109], v[146:147], v[142:143], v[110:111] neg_lo:[0,0,1] neg_hi:[0,0,1]
	v_pk_add_f32 v[102:103], v[102:103], v[106:107]
	v_pk_fma_f32 v[106:107], v[146:147], v[142:143], v[110:111] op_sel_hi:[1,0,1]
	s_delay_alu instid0(VALU_DEP_2) | instskip(NEXT) | instid1(VALU_DEP_2)
	v_pk_add_f32 v[102:103], v[102:103], v[104:105]
	v_mov_b32_e32 v109, v107
	s_delay_alu instid0(VALU_DEP_1) | instskip(SKIP_1) | instid1(VALU_DEP_1)
	v_pk_add_f32 v[102:103], v[102:103], v[108:109]
	s_wait_loadcnt 0x0
	v_pk_add_f32 v[102:103], v[144:145], v[102:103] neg_lo:[0,1] neg_hi:[0,1]
	scratch_store_b64 off, v[102:103], off offset:304
	s_wait_xcnt 0x0
	v_cmpx_lt_u32_e32 37, v0
	s_cbranch_execz .LBB49_239
; %bb.238:
	scratch_load_b64 v[102:103], off, off offset:296
	v_mov_b64_e32 v[104:105], 0
	scratch_store_b64 off, v[104:105], off offset:296
	s_wait_loadcnt 0x0
	ds_store_b64 v1, v[102:103]
.LBB49_239:
	s_wait_xcnt 0x0
	s_or_b32 exec_lo, exec_lo, s0
	s_wait_storecnt_dscnt 0x0
	s_barrier_signal -1
	s_barrier_wait -1
	s_clause 0x6
	scratch_load_b128 v[102:105], off, off offset:304
	scratch_load_b128 v[106:109], off, off offset:320
	;; [unrolled: 1-line block ×6, first 2 shown]
	scratch_load_b64 v[150:151], off, off offset:296
	ds_load_b128 v[126:129], v7 offset:736
	ds_load_b128 v[130:133], v7 offset:752
	ds_load_b128 v[134:137], v7 offset:768
	ds_load_b128 v[138:141], v7 offset:784
	ds_load_b128 v[142:145], v7 offset:704
	ds_load_b128 v[146:149], v7 offset:720
	s_mov_b32 s0, exec_lo
	s_wait_dscnt 0x5
	v_dual_mov_b32 v152, v129 :: v_dual_mov_b32 v153, v128
	s_wait_dscnt 0x4
	v_dual_mov_b32 v154, v133 :: v_dual_mov_b32 v155, v132
	;; [unrolled: 2-line block ×4, first 2 shown]
	s_wait_loadcnt_dscnt 0x601
	v_dual_mul_f32 v7, v142, v103 :: v_dual_mul_f32 v9, v144, v105
	v_dual_mul_f32 v11, v143, v103 :: v_dual_mul_f32 v13, v145, v105
	s_wait_loadcnt 0x4
	s_delay_alu instid0(VALU_DEP_2)
	v_dual_mov_b32 v166, v113 :: v_dual_fmac_f32 v7, v143, v102
	s_wait_dscnt 0x0
	v_dual_mul_f32 v161, v146, v107 :: v_dual_mul_f32 v163, v148, v109
	v_dual_fma_f32 v11, v142, v102, -v11 :: v_dual_fmac_f32 v9, v145, v104
	v_dual_mul_f32 v15, v147, v107 :: v_dual_mul_f32 v17, v149, v109
	v_dual_fma_f32 v13, v144, v104, -v13 :: v_dual_add_f32 v7, 0, v7
	s_wait_loadcnt 0x3
	s_delay_alu instid0(VALU_DEP_3) | instskip(SKIP_3) | instid1(VALU_DEP_4)
	v_dual_add_f32 v11, 0, v11 :: v_dual_mov_b32 v104, v117
	v_pk_mul_f32 v[164:165], v[126:127], v[110:111] op_sel:[1,1] op_sel_hi:[0,1]
	v_dual_fmac_f32 v161, v147, v106 :: v_dual_fma_f32 v160, v146, v106, -v15
	v_dual_add_f32 v107, v7, v9 :: v_dual_fmac_f32 v163, v149, v108
	v_dual_add_f32 v106, v11, v13 :: v_dual_fma_f32 v162, v148, v108, -v17
	s_delay_alu instid0(VALU_DEP_4) | instskip(SKIP_2) | instid1(VALU_DEP_4)
	v_pk_fma_f32 v[108:109], v[126:127], v[110:111], v[164:165] op_sel_hi:[1,0,1]
	v_pk_mul_f32 v[142:143], v[152:153], v[166:167] op_sel_hi:[1,0]
	v_pk_fma_f32 v[110:111], v[126:127], v[110:111], v[164:165] neg_lo:[0,0,1] neg_hi:[0,0,1]
	v_pk_add_f32 v[106:107], v[106:107], v[160:161]
	v_pk_mul_f32 v[102:103], v[130:131], v[114:115] op_sel:[1,1] op_sel_hi:[0,1]
	v_mov_b32_e32 v111, v109
	v_pk_fma_f32 v[108:109], v[128:129], v[112:113], v[142:143] op_sel_hi:[1,0,1]
	v_pk_fma_f32 v[112:113], v[128:129], v[112:113], v[142:143] neg_lo:[0,0,1] neg_hi:[0,0,1]
	v_pk_add_f32 v[106:107], v[106:107], v[162:163]
	v_pk_fma_f32 v[126:127], v[130:131], v[114:115], v[102:103] op_sel_hi:[1,0,1]
	v_pk_mul_f32 v[104:105], v[154:155], v[104:105] op_sel_hi:[1,0]
	v_mov_b32_e32 v113, v109
	v_pk_fma_f32 v[102:103], v[130:131], v[114:115], v[102:103] neg_lo:[0,0,1] neg_hi:[0,0,1]
	v_pk_add_f32 v[106:107], v[106:107], v[110:111]
	s_wait_loadcnt 0x2
	v_pk_mul_f32 v[144:145], v[134:135], v[118:119] op_sel:[1,1] op_sel_hi:[0,1]
	v_dual_mov_b32 v108, v121 :: v_dual_mov_b32 v103, v127
	v_pk_fma_f32 v[110:111], v[132:133], v[116:117], v[104:105] op_sel_hi:[1,0,1]
	v_pk_add_f32 v[106:107], v[106:107], v[112:113]
	v_pk_fma_f32 v[104:105], v[132:133], v[116:117], v[104:105] neg_lo:[0,0,1] neg_hi:[0,0,1]
	v_pk_fma_f32 v[112:113], v[134:135], v[118:119], v[144:145] op_sel_hi:[1,0,1]
	v_pk_mul_f32 v[108:109], v[156:157], v[108:109] op_sel_hi:[1,0]
	v_mov_b32_e32 v105, v111
	v_pk_add_f32 v[102:103], v[106:107], v[102:103]
	v_pk_fma_f32 v[110:111], v[134:135], v[118:119], v[144:145] neg_lo:[0,0,1] neg_hi:[0,0,1]
	s_wait_loadcnt 0x1
	v_pk_mul_f32 v[106:107], v[138:139], v[122:123] op_sel:[1,1] op_sel_hi:[0,1]
	v_mov_b32_e32 v111, v113
	v_pk_fma_f32 v[112:113], v[136:137], v[120:121], v[108:109] op_sel_hi:[1,0,1]
	v_pk_add_f32 v[102:103], v[102:103], v[104:105]
	v_mov_b32_e32 v104, v125
	v_pk_fma_f32 v[108:109], v[136:137], v[120:121], v[108:109] neg_lo:[0,0,1] neg_hi:[0,0,1]
	v_pk_fma_f32 v[114:115], v[138:139], v[122:123], v[106:107] op_sel_hi:[1,0,1]
	v_mov_b32_e32 v109, v113
	v_pk_add_f32 v[102:103], v[102:103], v[110:111]
	v_pk_mul_f32 v[104:105], v[158:159], v[104:105] op_sel_hi:[1,0]
	v_pk_fma_f32 v[106:107], v[138:139], v[122:123], v[106:107] neg_lo:[0,0,1] neg_hi:[0,0,1]
	s_delay_alu instid0(VALU_DEP_3) | instskip(NEXT) | instid1(VALU_DEP_3)
	v_pk_add_f32 v[102:103], v[102:103], v[108:109]
	v_pk_fma_f32 v[108:109], v[140:141], v[124:125], v[104:105] op_sel_hi:[1,0,1]
	v_mov_b32_e32 v107, v115
	v_pk_fma_f32 v[104:105], v[140:141], v[124:125], v[104:105] neg_lo:[0,0,1] neg_hi:[0,0,1]
	s_delay_alu instid0(VALU_DEP_3) | instskip(NEXT) | instid1(VALU_DEP_3)
	v_mov_b32_e32 v105, v109
	v_pk_add_f32 v[102:103], v[102:103], v[106:107]
	s_delay_alu instid0(VALU_DEP_1) | instskip(SKIP_1) | instid1(VALU_DEP_1)
	v_pk_add_f32 v[102:103], v[102:103], v[104:105]
	s_wait_loadcnt 0x0
	v_pk_add_f32 v[102:103], v[150:151], v[102:103] neg_lo:[0,1] neg_hi:[0,1]
	scratch_store_b64 off, v[102:103], off offset:296
	s_wait_xcnt 0x0
	v_cmpx_lt_u32_e32 36, v0
	s_cbranch_execz .LBB49_241
; %bb.240:
	scratch_load_b64 v[102:103], off, off offset:288
	v_mov_b64_e32 v[104:105], 0
	scratch_store_b64 off, v[104:105], off offset:288
	s_wait_loadcnt 0x0
	ds_store_b64 v1, v[102:103]
.LBB49_241:
	s_wait_xcnt 0x0
	s_or_b32 exec_lo, exec_lo, s0
	s_wait_storecnt_dscnt 0x0
	s_barrier_signal -1
	s_barrier_wait -1
	s_clause 0x7
	scratch_load_b128 v[102:105], off, off offset:296
	scratch_load_b128 v[106:109], off, off offset:312
	;; [unrolled: 1-line block ×6, first 2 shown]
	scratch_load_b64 v[150:151], off, off offset:392
	scratch_load_b64 v[152:153], off, off offset:288
	v_mov_b32_e32 v7, 0
	ds_load_2addr_b64 v[126:129], v7 offset0:91 offset1:92
	ds_load_2addr_b64 v[130:133], v7 offset0:93 offset1:94
	;; [unrolled: 1-line block ×6, first 2 shown]
	ds_load_b64 v[154:155], v7 offset:792
	s_mov_b32 s0, exec_lo
	s_wait_dscnt 0x6
	v_dual_mov_b32 v156, v129 :: v_dual_mov_b32 v157, v128
	s_wait_dscnt 0x3
	v_dual_mov_b32 v158, v133 :: v_dual_mov_b32 v163, v140
	v_dual_mov_b32 v159, v132 :: v_dual_mov_b32 v160, v137
	;; [unrolled: 1-line block ×3, first 2 shown]
	s_wait_loadcnt_dscnt 0x702
	v_dual_mul_f32 v9, v142, v103 :: v_dual_mul_f32 v15, v143, v103
	v_dual_mul_f32 v17, v145, v105 :: v_dual_mul_f32 v11, v144, v105
	s_wait_loadcnt_dscnt 0x601
	s_delay_alu instid0(VALU_DEP_2) | instskip(NEXT) | instid1(VALU_DEP_3)
	v_dual_mul_f32 v13, v146, v107 :: v_dual_fmac_f32 v9, v143, v102
	v_dual_fma_f32 v15, v142, v102, -v15 :: v_dual_mul_f32 v19, v147, v107
	v_mul_f32_e32 v21, v149, v109
	s_wait_loadcnt 0x4
	v_dual_mov_b32 v102, v117 :: v_dual_fma_f32 v17, v144, v104, -v17
	v_dual_fmac_f32 v11, v145, v104 :: v_dual_add_f32 v9, 0, v9
	v_dual_add_f32 v15, 0, v15 :: v_dual_fmac_f32 v13, v147, v106
	v_dual_mul_f32 v165, v148, v109 :: v_dual_mul_f32 v167, v126, v111
	v_dual_mul_f32 v23, v127, v111 :: v_dual_mov_b32 v166, v113
	s_delay_alu instid0(VALU_DEP_4) | instskip(NEXT) | instid1(VALU_DEP_3)
	v_dual_fma_f32 v19, v146, v106, -v19 :: v_dual_add_f32 v9, v9, v11
	v_dual_add_f32 v11, v15, v17 :: v_dual_fmac_f32 v165, v149, v108
	v_pk_mul_f32 v[168:169], v[130:131], v[114:115] op_sel:[1,1] op_sel_hi:[0,1]
	s_delay_alu instid0(VALU_DEP_3)
	v_dual_fma_f32 v164, v148, v108, -v21 :: v_dual_add_f32 v109, v9, v13
	v_pk_mul_f32 v[106:107], v[156:157], v[166:167] op_sel_hi:[1,0]
	s_wait_loadcnt 0x3
	v_dual_add_f32 v108, v11, v19 :: v_dual_mov_b32 v142, v121
	v_fmac_f32_e32 v167, v127, v110
	v_fma_f32 v166, v126, v110, -v23
	v_pk_fma_f32 v[110:111], v[128:129], v[112:113], v[106:107] op_sel_hi:[1,0,1]
	s_delay_alu instid0(VALU_DEP_4) | instskip(SKIP_4) | instid1(VALU_DEP_4)
	v_pk_add_f32 v[108:109], v[108:109], v[164:165]
	v_pk_fma_f32 v[126:127], v[130:131], v[114:115], v[168:169] op_sel_hi:[1,0,1]
	v_pk_fma_f32 v[106:107], v[128:129], v[112:113], v[106:107] neg_lo:[0,0,1] neg_hi:[0,0,1]
	v_pk_fma_f32 v[112:113], v[130:131], v[114:115], v[168:169] neg_lo:[0,0,1] neg_hi:[0,0,1]
	v_pk_mul_f32 v[102:103], v[158:159], v[102:103] op_sel_hi:[1,0]
	v_dual_mov_b32 v107, v111 :: v_dual_mov_b32 v113, v127
	v_pk_add_f32 v[108:109], v[108:109], v[166:167]
	v_pk_mul_f32 v[104:105], v[134:135], v[118:119] op_sel:[1,1] op_sel_hi:[0,1]
	s_delay_alu instid0(VALU_DEP_4)
	v_pk_fma_f32 v[114:115], v[132:133], v[116:117], v[102:103] op_sel_hi:[1,0,1]
	v_pk_fma_f32 v[102:103], v[132:133], v[116:117], v[102:103] neg_lo:[0,0,1] neg_hi:[0,0,1]
	v_pk_mul_f32 v[126:127], v[160:161], v[142:143] op_sel_hi:[1,0]
	v_pk_add_f32 v[106:107], v[108:109], v[106:107]
	v_pk_fma_f32 v[108:109], v[134:135], v[118:119], v[104:105] op_sel_hi:[1,0,1]
	s_wait_loadcnt 0x2
	v_dual_mov_b32 v103, v115 :: v_dual_mov_b32 v108, v125
	v_pk_fma_f32 v[104:105], v[134:135], v[118:119], v[104:105] neg_lo:[0,0,1] neg_hi:[0,0,1]
	v_pk_add_f32 v[106:107], v[106:107], v[112:113]
	v_pk_mul_f32 v[110:111], v[138:139], v[122:123] op_sel:[1,1] op_sel_hi:[0,1]
	v_pk_fma_f32 v[112:113], v[136:137], v[120:121], v[126:127] op_sel_hi:[1,0,1]
	v_mov_b32_e32 v105, v109
	v_pk_fma_f32 v[114:115], v[136:137], v[120:121], v[126:127] neg_lo:[0,0,1] neg_hi:[0,0,1]
	v_pk_add_f32 v[102:103], v[106:107], v[102:103]
	v_pk_fma_f32 v[106:107], v[138:139], v[122:123], v[110:111] op_sel_hi:[1,0,1]
	v_pk_mul_f32 v[108:109], v[162:163], v[108:109] op_sel_hi:[1,0]
	v_mov_b32_e32 v115, v113
	s_delay_alu instid0(VALU_DEP_4)
	v_pk_add_f32 v[102:103], v[102:103], v[104:105]
	v_pk_fma_f32 v[104:105], v[138:139], v[122:123], v[110:111] neg_lo:[0,0,1] neg_hi:[0,0,1]
	v_mov_b32_e32 v105, v107
	v_pk_fma_f32 v[106:107], v[140:141], v[124:125], v[108:109] op_sel_hi:[1,0,1]
	s_wait_loadcnt_dscnt 0x100
	v_pk_mul_f32 v[110:111], v[154:155], v[150:151] op_sel:[1,1] op_sel_hi:[0,1]
	v_pk_add_f32 v[102:103], v[102:103], v[114:115]
	v_pk_fma_f32 v[108:109], v[140:141], v[124:125], v[108:109] neg_lo:[0,0,1] neg_hi:[0,0,1]
	v_mov_b32_e32 v109, v107
	s_delay_alu instid0(VALU_DEP_4) | instskip(NEXT) | instid1(VALU_DEP_4)
	v_pk_fma_f32 v[106:107], v[154:155], v[150:151], v[110:111] neg_lo:[0,0,1] neg_hi:[0,0,1]
	v_pk_add_f32 v[102:103], v[102:103], v[104:105]
	v_pk_fma_f32 v[104:105], v[154:155], v[150:151], v[110:111] op_sel_hi:[1,0,1]
	s_delay_alu instid0(VALU_DEP_2) | instskip(NEXT) | instid1(VALU_DEP_2)
	v_pk_add_f32 v[102:103], v[102:103], v[108:109]
	v_mov_b32_e32 v107, v105
	s_delay_alu instid0(VALU_DEP_1) | instskip(SKIP_1) | instid1(VALU_DEP_1)
	v_pk_add_f32 v[102:103], v[102:103], v[106:107]
	s_wait_loadcnt 0x0
	v_pk_add_f32 v[102:103], v[152:153], v[102:103] neg_lo:[0,1] neg_hi:[0,1]
	scratch_store_b64 off, v[102:103], off offset:288
	s_wait_xcnt 0x0
	v_cmpx_lt_u32_e32 35, v0
	s_cbranch_execz .LBB49_243
; %bb.242:
	scratch_load_b64 v[102:103], off, off offset:280
	v_mov_b64_e32 v[104:105], 0
	scratch_store_b64 off, v[104:105], off offset:280
	s_wait_loadcnt 0x0
	ds_store_b64 v1, v[102:103]
.LBB49_243:
	s_wait_xcnt 0x0
	s_or_b32 exec_lo, exec_lo, s0
	s_wait_storecnt_dscnt 0x0
	s_barrier_signal -1
	s_barrier_wait -1
	s_clause 0x7
	scratch_load_b128 v[102:105], off, off offset:288
	scratch_load_b128 v[106:109], off, off offset:304
	;; [unrolled: 1-line block ×7, first 2 shown]
	scratch_load_b64 v[158:159], off, off offset:280
	ds_load_b128 v[130:133], v7 offset:736
	ds_load_b128 v[134:137], v7 offset:752
	ds_load_b128 v[138:141], v7 offset:768
	ds_load_b128 v[142:145], v7 offset:784
	ds_load_b128 v[146:149], v7 offset:688
	ds_load_b128 v[150:153], v7 offset:704
	ds_load_b128 v[154:157], v7 offset:720
	s_mov_b32 s0, exec_lo
	s_wait_dscnt 0x6
	v_dual_mov_b32 v160, v133 :: v_dual_mov_b32 v161, v132
	s_wait_dscnt 0x5
	v_dual_mov_b32 v162, v137 :: v_dual_mov_b32 v163, v136
	;; [unrolled: 2-line block ×4, first 2 shown]
	s_wait_loadcnt_dscnt 0x702
	v_dual_mul_f32 v7, v146, v103 :: v_dual_mul_f32 v9, v148, v105
	v_dual_mul_f32 v15, v147, v103 :: v_dual_mul_f32 v17, v149, v105
	s_wait_loadcnt_dscnt 0x601
	v_dual_mul_f32 v11, v150, v107 :: v_dual_mul_f32 v13, v152, v109
	s_delay_alu instid0(VALU_DEP_3) | instskip(NEXT) | instid1(VALU_DEP_3)
	v_dual_fmac_f32 v7, v147, v102 :: v_dual_fmac_f32 v9, v149, v104
	v_dual_fma_f32 v15, v146, v102, -v15 :: v_dual_fma_f32 v17, v148, v104, -v17
	v_dual_mul_f32 v19, v151, v107 :: v_dual_mul_f32 v21, v153, v109
	s_wait_loadcnt 0x4
	s_delay_alu instid0(VALU_DEP_3) | instskip(NEXT) | instid1(VALU_DEP_3)
	v_dual_add_f32 v7, 0, v7 :: v_dual_mov_b32 v104, v117
	v_dual_add_f32 v15, 0, v15 :: v_dual_fmac_f32 v11, v151, v106
	s_delay_alu instid0(VALU_DEP_2) | instskip(SKIP_2) | instid1(VALU_DEP_3)
	v_dual_fma_f32 v19, v150, v106, -v19 :: v_dual_add_f32 v7, v7, v9
	s_wait_dscnt 0x0
	v_dual_mul_f32 v169, v154, v111 :: v_dual_mul_f32 v171, v156, v113
	v_dual_add_f32 v9, v15, v17 :: v_dual_fmac_f32 v13, v153, v108
	v_dual_mul_f32 v23, v155, v111 :: v_dual_mul_f32 v25, v157, v113
	v_dual_fma_f32 v15, v152, v108, -v21 :: v_dual_add_f32 v7, v7, v11
	s_delay_alu instid0(VALU_DEP_3) | instskip(SKIP_3) | instid1(VALU_DEP_3)
	v_dual_add_f32 v9, v9, v19 :: v_dual_fmac_f32 v169, v155, v110
	v_pk_mul_f32 v[102:103], v[130:131], v[114:115] op_sel:[1,1] op_sel_hi:[0,1]
	s_wait_loadcnt 0x3
	v_dual_mov_b32 v108, v121 :: v_dual_fma_f32 v168, v154, v110, -v23
	v_dual_add_f32 v111, v7, v13 :: v_dual_add_f32 v110, v9, v15
	v_dual_fmac_f32 v171, v157, v112 :: v_dual_fma_f32 v170, v156, v112, -v25
	v_pk_fma_f32 v[112:113], v[130:131], v[114:115], v[102:103] op_sel_hi:[1,0,1]
	v_pk_mul_f32 v[104:105], v[160:161], v[104:105] op_sel_hi:[1,0]
	s_delay_alu instid0(VALU_DEP_4)
	v_pk_add_f32 v[110:111], v[110:111], v[168:169]
	v_pk_fma_f32 v[102:103], v[130:131], v[114:115], v[102:103] neg_lo:[0,0,1] neg_hi:[0,0,1]
	v_pk_mul_f32 v[106:107], v[134:135], v[118:119] op_sel:[1,1] op_sel_hi:[0,1]
	v_mov_b32_e32 v103, v113
	v_pk_fma_f32 v[112:113], v[132:133], v[116:117], v[104:105] op_sel_hi:[1,0,1]
	v_pk_add_f32 v[110:111], v[110:111], v[170:171]
	v_pk_fma_f32 v[104:105], v[132:133], v[116:117], v[104:105] neg_lo:[0,0,1] neg_hi:[0,0,1]
	v_pk_fma_f32 v[114:115], v[134:135], v[118:119], v[106:107] op_sel_hi:[1,0,1]
	v_pk_mul_f32 v[108:109], v[162:163], v[108:109] op_sel_hi:[1,0]
	v_mov_b32_e32 v105, v113
	v_pk_add_f32 v[102:103], v[110:111], v[102:103]
	s_wait_loadcnt 0x2
	v_pk_mul_f32 v[146:147], v[138:139], v[122:123] op_sel:[1,1] op_sel_hi:[0,1]
	v_mov_b32_e32 v110, v125
	v_pk_fma_f32 v[106:107], v[134:135], v[118:119], v[106:107] neg_lo:[0,0,1] neg_hi:[0,0,1]
	v_mov_b32_e32 v107, v115
	v_pk_fma_f32 v[112:113], v[136:137], v[120:121], v[108:109] op_sel_hi:[1,0,1]
	v_pk_add_f32 v[102:103], v[102:103], v[104:105]
	v_pk_fma_f32 v[104:105], v[138:139], v[122:123], v[146:147] op_sel_hi:[1,0,1]
	v_pk_mul_f32 v[110:111], v[164:165], v[110:111] op_sel_hi:[1,0]
	v_pk_fma_f32 v[108:109], v[136:137], v[120:121], v[108:109] neg_lo:[0,0,1] neg_hi:[0,0,1]
	v_mov_b32_e32 v109, v113
	v_pk_add_f32 v[102:103], v[102:103], v[106:107]
	v_pk_fma_f32 v[112:113], v[138:139], v[122:123], v[146:147] neg_lo:[0,0,1] neg_hi:[0,0,1]
	v_mov_b32_e32 v113, v105
	v_pk_fma_f32 v[104:105], v[140:141], v[124:125], v[110:111] op_sel_hi:[1,0,1]
	s_wait_loadcnt 0x1
	v_pk_mul_f32 v[106:107], v[142:143], v[126:127] op_sel:[1,1] op_sel_hi:[0,1]
	v_pk_add_f32 v[102:103], v[102:103], v[108:109]
	v_mov_b32_e32 v104, v129
	v_pk_fma_f32 v[110:111], v[140:141], v[124:125], v[110:111] neg_lo:[0,0,1] neg_hi:[0,0,1]
	v_mov_b32_e32 v111, v105
	v_pk_fma_f32 v[108:109], v[142:143], v[126:127], v[106:107] op_sel_hi:[1,0,1]
	v_pk_add_f32 v[102:103], v[102:103], v[112:113]
	v_pk_mul_f32 v[104:105], v[166:167], v[104:105] op_sel_hi:[1,0]
	v_pk_fma_f32 v[106:107], v[142:143], v[126:127], v[106:107] neg_lo:[0,0,1] neg_hi:[0,0,1]
	s_delay_alu instid0(VALU_DEP_4) | instskip(NEXT) | instid1(VALU_DEP_4)
	v_mov_b32_e32 v107, v109
	v_pk_add_f32 v[102:103], v[102:103], v[110:111]
	s_delay_alu instid0(VALU_DEP_4) | instskip(SKIP_1) | instid1(VALU_DEP_2)
	v_pk_fma_f32 v[108:109], v[144:145], v[128:129], v[104:105] op_sel_hi:[1,0,1]
	v_pk_fma_f32 v[104:105], v[144:145], v[128:129], v[104:105] neg_lo:[0,0,1] neg_hi:[0,0,1]
	v_mov_b32_e32 v105, v109
	s_delay_alu instid0(VALU_DEP_4) | instskip(NEXT) | instid1(VALU_DEP_1)
	v_pk_add_f32 v[102:103], v[102:103], v[106:107]
	v_pk_add_f32 v[102:103], v[102:103], v[104:105]
	s_wait_loadcnt 0x0
	s_delay_alu instid0(VALU_DEP_1)
	v_pk_add_f32 v[102:103], v[158:159], v[102:103] neg_lo:[0,1] neg_hi:[0,1]
	scratch_store_b64 off, v[102:103], off offset:280
	s_wait_xcnt 0x0
	v_cmpx_lt_u32_e32 34, v0
	s_cbranch_execz .LBB49_245
; %bb.244:
	scratch_load_b64 v[102:103], off, off offset:272
	v_mov_b64_e32 v[104:105], 0
	scratch_store_b64 off, v[104:105], off offset:272
	s_wait_loadcnt 0x0
	ds_store_b64 v1, v[102:103]
.LBB49_245:
	s_wait_xcnt 0x0
	s_or_b32 exec_lo, exec_lo, s0
	s_wait_storecnt_dscnt 0x0
	s_barrier_signal -1
	s_barrier_wait -1
	s_clause 0x8
	scratch_load_b128 v[102:105], off, off offset:280
	scratch_load_b128 v[106:109], off, off offset:296
	;; [unrolled: 1-line block ×7, first 2 shown]
	scratch_load_b64 v[158:159], off, off offset:392
	scratch_load_b64 v[160:161], off, off offset:272
	v_mov_b32_e32 v7, 0
	ds_load_2addr_b64 v[130:133], v7 offset0:91 offset1:92
	ds_load_2addr_b64 v[134:137], v7 offset0:93 offset1:94
	;; [unrolled: 1-line block ×7, first 2 shown]
	ds_load_b64 v[162:163], v7 offset:792
	s_mov_b32 s0, exec_lo
	s_wait_dscnt 0x7
	v_dual_mov_b32 v164, v133 :: v_dual_mov_b32 v165, v132
	s_wait_dscnt 0x4
	v_dual_mov_b32 v166, v137 :: v_dual_mov_b32 v171, v144
	v_dual_mov_b32 v167, v136 :: v_dual_mov_b32 v168, v141
	;; [unrolled: 1-line block ×3, first 2 shown]
	s_wait_loadcnt_dscnt 0x803
	v_dual_mul_f32 v9, v146, v103 :: v_dual_mul_f32 v19, v147, v103
	v_dual_mul_f32 v21, v149, v105 :: v_dual_mul_f32 v11, v148, v105
	s_wait_loadcnt_dscnt 0x702
	v_mul_f32_e32 v13, v150, v107
	s_wait_loadcnt 0x5
	v_dual_mul_f32 v31, v131, v115 :: v_dual_fma_f32 v19, v146, v102, -v19
	v_dual_fmac_f32 v9, v147, v102 :: v_dual_mov_b32 v102, v117
	v_dual_mul_f32 v23, v151, v107 :: v_dual_mul_f32 v25, v153, v109
	v_dual_fmac_f32 v11, v149, v104 :: v_dual_fma_f32 v21, v148, v104, -v21
	s_delay_alu instid0(VALU_DEP_3) | instskip(SKIP_3) | instid1(VALU_DEP_3)
	v_dual_add_f32 v9, 0, v9 :: v_dual_add_f32 v19, 0, v19
	s_wait_dscnt 0x1
	v_dual_mul_f32 v15, v152, v109 :: v_dual_mul_f32 v17, v154, v111
	v_dual_fmac_f32 v13, v151, v106 :: v_dual_fma_f32 v23, v150, v106, -v23
	v_dual_add_f32 v9, v9, v11 :: v_dual_add_f32 v11, v19, v21
	v_dual_mul_f32 v27, v155, v111 :: v_dual_mul_f32 v29, v157, v113
	s_wait_loadcnt 0x4
	v_dual_mov_b32 v106, v121 :: v_dual_fma_f32 v19, v152, v108, -v25
	s_delay_alu instid0(VALU_DEP_3) | instskip(SKIP_2) | instid1(VALU_DEP_2)
	v_dual_fmac_f32 v15, v153, v108 :: v_dual_add_f32 v11, v11, v23
	v_dual_add_f32 v9, v9, v13 :: v_dual_fmac_f32 v17, v155, v110
	v_dual_mul_f32 v173, v156, v113 :: v_dual_mul_f32 v175, v130, v115
	v_dual_fma_f32 v13, v154, v110, -v27 :: v_dual_add_f32 v9, v9, v15
	s_delay_alu instid0(VALU_DEP_2) | instskip(SKIP_1) | instid1(VALU_DEP_3)
	v_dual_add_f32 v11, v11, v19 :: v_dual_fmac_f32 v173, v157, v112
	v_pk_mul_f32 v[104:105], v[134:135], v[118:119] op_sel:[1,1] op_sel_hi:[0,1]
	v_dual_fma_f32 v172, v156, v112, -v29 :: v_dual_add_f32 v111, v9, v17
	v_pk_mul_f32 v[102:103], v[164:165], v[102:103] op_sel_hi:[1,0]
	s_wait_loadcnt 0x3
	v_dual_add_f32 v110, v11, v13 :: v_dual_mov_b32 v112, v125
	v_fmac_f32_e32 v175, v131, v114
	v_fma_f32 v174, v130, v114, -v31
	v_pk_fma_f32 v[114:115], v[132:133], v[116:117], v[102:103] op_sel_hi:[1,0,1]
	s_delay_alu instid0(VALU_DEP_4) | instskip(SKIP_4) | instid1(VALU_DEP_4)
	v_pk_add_f32 v[110:111], v[110:111], v[172:173]
	v_pk_fma_f32 v[130:131], v[134:135], v[118:119], v[104:105] op_sel_hi:[1,0,1]
	v_pk_fma_f32 v[102:103], v[132:133], v[116:117], v[102:103] neg_lo:[0,0,1] neg_hi:[0,0,1]
	v_pk_fma_f32 v[104:105], v[134:135], v[118:119], v[104:105] neg_lo:[0,0,1] neg_hi:[0,0,1]
	v_pk_mul_f32 v[106:107], v[166:167], v[106:107] op_sel_hi:[1,0]
	v_dual_mov_b32 v103, v115 :: v_dual_mov_b32 v105, v131
	v_pk_add_f32 v[110:111], v[110:111], v[174:175]
	v_pk_mul_f32 v[108:109], v[138:139], v[122:123] op_sel:[1,1] op_sel_hi:[0,1]
	s_delay_alu instid0(VALU_DEP_4)
	v_pk_fma_f32 v[116:117], v[136:137], v[120:121], v[106:107] op_sel_hi:[1,0,1]
	v_pk_fma_f32 v[106:107], v[136:137], v[120:121], v[106:107] neg_lo:[0,0,1] neg_hi:[0,0,1]
	v_pk_mul_f32 v[112:113], v[168:169], v[112:113] op_sel_hi:[1,0]
	v_pk_add_f32 v[102:103], v[110:111], v[102:103]
	v_pk_fma_f32 v[110:111], v[138:139], v[122:123], v[108:109] op_sel_hi:[1,0,1]
	v_mov_b32_e32 v107, v117
	v_pk_fma_f32 v[108:109], v[138:139], v[122:123], v[108:109] neg_lo:[0,0,1] neg_hi:[0,0,1]
	s_wait_loadcnt 0x2
	v_pk_mul_f32 v[114:115], v[142:143], v[126:127] op_sel:[1,1] op_sel_hi:[0,1]
	v_pk_add_f32 v[102:103], v[102:103], v[104:105]
	v_dual_mov_b32 v104, v129 :: v_dual_mov_b32 v109, v111
	v_pk_fma_f32 v[110:111], v[140:141], v[124:125], v[112:113] op_sel_hi:[1,0,1]
	v_pk_fma_f32 v[112:113], v[140:141], v[124:125], v[112:113] neg_lo:[0,0,1] neg_hi:[0,0,1]
	s_delay_alu instid0(VALU_DEP_4)
	v_pk_add_f32 v[102:103], v[102:103], v[106:107]
	v_pk_fma_f32 v[106:107], v[142:143], v[126:127], v[114:115] op_sel_hi:[1,0,1]
	v_pk_mul_f32 v[104:105], v[170:171], v[104:105] op_sel_hi:[1,0]
	v_mov_b32_e32 v113, v111
	s_wait_loadcnt_dscnt 0x100
	v_pk_mul_f32 v[110:111], v[162:163], v[158:159] op_sel:[1,1] op_sel_hi:[0,1]
	v_pk_add_f32 v[102:103], v[102:103], v[108:109]
	v_pk_fma_f32 v[108:109], v[142:143], v[126:127], v[114:115] neg_lo:[0,0,1] neg_hi:[0,0,1]
	v_mov_b32_e32 v109, v107
	v_pk_fma_f32 v[106:107], v[144:145], v[128:129], v[104:105] op_sel_hi:[1,0,1]
	v_pk_fma_f32 v[104:105], v[144:145], v[128:129], v[104:105] neg_lo:[0,0,1] neg_hi:[0,0,1]
	v_pk_add_f32 v[102:103], v[102:103], v[112:113]
	s_delay_alu instid0(VALU_DEP_3) | instskip(SKIP_1) | instid1(VALU_DEP_3)
	v_mov_b32_e32 v105, v107
	v_pk_fma_f32 v[106:107], v[162:163], v[158:159], v[110:111] op_sel_hi:[1,0,1]
	v_pk_add_f32 v[102:103], v[102:103], v[108:109]
	v_pk_fma_f32 v[108:109], v[162:163], v[158:159], v[110:111] neg_lo:[0,0,1] neg_hi:[0,0,1]
	s_delay_alu instid0(VALU_DEP_3) | instskip(NEXT) | instid1(VALU_DEP_3)
	v_mov_b32_e32 v109, v107
	v_pk_add_f32 v[102:103], v[102:103], v[104:105]
	s_delay_alu instid0(VALU_DEP_1) | instskip(SKIP_1) | instid1(VALU_DEP_1)
	v_pk_add_f32 v[102:103], v[102:103], v[108:109]
	s_wait_loadcnt 0x0
	v_pk_add_f32 v[102:103], v[160:161], v[102:103] neg_lo:[0,1] neg_hi:[0,1]
	scratch_store_b64 off, v[102:103], off offset:272
	s_wait_xcnt 0x0
	v_cmpx_lt_u32_e32 33, v0
	s_cbranch_execz .LBB49_247
; %bb.246:
	scratch_load_b64 v[102:103], off, off offset:264
	v_mov_b64_e32 v[104:105], 0
	scratch_store_b64 off, v[104:105], off offset:264
	s_wait_loadcnt 0x0
	ds_store_b64 v1, v[102:103]
.LBB49_247:
	s_wait_xcnt 0x0
	s_or_b32 exec_lo, exec_lo, s0
	s_wait_storecnt_dscnt 0x0
	s_barrier_signal -1
	s_barrier_wait -1
	s_clause 0x8
	scratch_load_b128 v[102:105], off, off offset:272
	scratch_load_b128 v[106:109], off, off offset:288
	;; [unrolled: 1-line block ×8, first 2 shown]
	scratch_load_b64 v[166:167], off, off offset:264
	ds_load_b128 v[134:137], v7 offset:736
	ds_load_b128 v[138:141], v7 offset:752
	;; [unrolled: 1-line block ×8, first 2 shown]
	s_mov_b32 s0, exec_lo
	s_wait_dscnt 0x7
	v_dual_mov_b32 v168, v137 :: v_dual_mov_b32 v169, v136
	s_wait_dscnt 0x6
	v_dual_mov_b32 v170, v141 :: v_dual_mov_b32 v171, v140
	;; [unrolled: 2-line block ×4, first 2 shown]
	s_wait_loadcnt_dscnt 0x803
	v_dual_mul_f32 v7, v150, v103 :: v_dual_mul_f32 v9, v152, v105
	v_dual_mul_f32 v19, v151, v103 :: v_dual_mul_f32 v21, v153, v105
	s_wait_loadcnt_dscnt 0x702
	v_dual_mul_f32 v11, v154, v107 :: v_dual_mul_f32 v13, v156, v109
	s_delay_alu instid0(VALU_DEP_3) | instskip(SKIP_3) | instid1(VALU_DEP_3)
	v_dual_fmac_f32 v7, v151, v102 :: v_dual_fmac_f32 v9, v153, v104
	s_wait_loadcnt_dscnt 0x500
	v_dual_fma_f32 v19, v150, v102, -v19 :: v_dual_mul_f32 v31, v163, v115
	v_dual_mul_f32 v23, v155, v107 :: v_dual_mul_f32 v25, v157, v109
	v_dual_fma_f32 v21, v152, v104, -v21 :: v_dual_add_f32 v7, 0, v7
	s_delay_alu instid0(VALU_DEP_3) | instskip(SKIP_1) | instid1(VALU_DEP_3)
	v_dual_add_f32 v19, 0, v19 :: v_dual_mul_f32 v33, v165, v117
	v_dual_fmac_f32 v11, v155, v106 :: v_dual_fmac_f32 v13, v157, v108
	v_dual_fma_f32 v23, v154, v106, -v23 :: v_dual_add_f32 v7, v7, v9
	s_delay_alu instid0(VALU_DEP_3) | instskip(SKIP_4) | instid1(VALU_DEP_3)
	v_dual_add_f32 v9, v19, v21 :: v_dual_fma_f32 v19, v156, v108, -v25
	v_dual_mul_f32 v15, v158, v111 :: v_dual_mul_f32 v17, v160, v113
	v_dual_mul_f32 v27, v159, v111 :: v_dual_mul_f32 v29, v161, v113
	s_wait_loadcnt 0x4
	v_dual_add_f32 v7, v7, v11 :: v_dual_mov_b32 v104, v121
	v_dual_add_f32 v9, v9, v23 :: v_dual_fmac_f32 v15, v159, v110
	s_delay_alu instid0(VALU_DEP_2) | instskip(SKIP_1) | instid1(VALU_DEP_3)
	v_dual_fma_f32 v11, v158, v110, -v27 :: v_dual_add_f32 v7, v7, v13
	v_dual_mul_f32 v177, v162, v115 :: v_dual_mul_f32 v179, v164, v117
	v_dual_add_f32 v9, v9, v19 :: v_dual_fma_f32 v13, v160, v112, -v29
	s_delay_alu instid0(VALU_DEP_3) | instskip(SKIP_1) | instid1(VALU_DEP_3)
	v_dual_fmac_f32 v17, v161, v112 :: v_dual_add_f32 v7, v7, v15
	v_pk_mul_f32 v[102:103], v[134:135], v[118:119] op_sel:[1,1] op_sel_hi:[0,1]
	v_dual_add_f32 v9, v9, v11 :: v_dual_fmac_f32 v177, v163, v114
	s_wait_loadcnt 0x3
	v_dual_mov_b32 v108, v125 :: v_dual_fma_f32 v176, v162, v114, -v31
	v_dual_add_f32 v111, v7, v17 :: v_dual_fmac_f32 v179, v165, v116
	s_delay_alu instid0(VALU_DEP_3) | instskip(SKIP_3) | instid1(VALU_DEP_4)
	v_dual_add_f32 v110, v9, v13 :: v_dual_fma_f32 v178, v164, v116, -v33
	v_pk_fma_f32 v[112:113], v[134:135], v[118:119], v[102:103] op_sel_hi:[1,0,1]
	v_pk_mul_f32 v[104:105], v[168:169], v[104:105] op_sel_hi:[1,0]
	v_pk_fma_f32 v[102:103], v[134:135], v[118:119], v[102:103] neg_lo:[0,0,1] neg_hi:[0,0,1]
	v_pk_add_f32 v[110:111], v[110:111], v[176:177]
	v_pk_mul_f32 v[106:107], v[138:139], v[122:123] op_sel:[1,1] op_sel_hi:[0,1]
	v_mov_b32_e32 v103, v113
	v_pk_fma_f32 v[112:113], v[136:137], v[120:121], v[104:105] op_sel_hi:[1,0,1]
	v_pk_fma_f32 v[104:105], v[136:137], v[120:121], v[104:105] neg_lo:[0,0,1] neg_hi:[0,0,1]
	v_pk_add_f32 v[110:111], v[110:111], v[178:179]
	v_pk_fma_f32 v[116:117], v[138:139], v[122:123], v[106:107] op_sel_hi:[1,0,1]
	v_pk_mul_f32 v[108:109], v[170:171], v[108:109] op_sel_hi:[1,0]
	v_mov_b32_e32 v105, v113
	s_wait_loadcnt 0x2
	v_pk_mul_f32 v[114:115], v[142:143], v[126:127] op_sel:[1,1] op_sel_hi:[0,1]
	v_pk_add_f32 v[102:103], v[110:111], v[102:103]
	v_mov_b32_e32 v110, v129
	v_pk_fma_f32 v[106:107], v[138:139], v[122:123], v[106:107] neg_lo:[0,0,1] neg_hi:[0,0,1]
	v_mov_b32_e32 v107, v117
	v_pk_fma_f32 v[112:113], v[140:141], v[124:125], v[108:109] op_sel_hi:[1,0,1]
	v_pk_add_f32 v[102:103], v[102:103], v[104:105]
	v_pk_fma_f32 v[104:105], v[142:143], v[126:127], v[114:115] op_sel_hi:[1,0,1]
	v_pk_mul_f32 v[110:111], v[172:173], v[110:111] op_sel_hi:[1,0]
	v_pk_fma_f32 v[108:109], v[140:141], v[124:125], v[108:109] neg_lo:[0,0,1] neg_hi:[0,0,1]
	v_mov_b32_e32 v109, v113
	v_pk_add_f32 v[102:103], v[102:103], v[106:107]
	v_pk_fma_f32 v[112:113], v[142:143], v[126:127], v[114:115] neg_lo:[0,0,1] neg_hi:[0,0,1]
	v_mov_b32_e32 v113, v105
	v_pk_fma_f32 v[104:105], v[144:145], v[128:129], v[110:111] op_sel_hi:[1,0,1]
	s_wait_loadcnt 0x1
	v_pk_mul_f32 v[106:107], v[146:147], v[130:131] op_sel:[1,1] op_sel_hi:[0,1]
	v_pk_add_f32 v[102:103], v[102:103], v[108:109]
	v_mov_b32_e32 v104, v133
	v_pk_fma_f32 v[110:111], v[144:145], v[128:129], v[110:111] neg_lo:[0,0,1] neg_hi:[0,0,1]
	v_mov_b32_e32 v111, v105
	v_pk_fma_f32 v[108:109], v[146:147], v[130:131], v[106:107] op_sel_hi:[1,0,1]
	v_pk_add_f32 v[102:103], v[102:103], v[112:113]
	v_pk_mul_f32 v[104:105], v[174:175], v[104:105] op_sel_hi:[1,0]
	v_pk_fma_f32 v[106:107], v[146:147], v[130:131], v[106:107] neg_lo:[0,0,1] neg_hi:[0,0,1]
	s_delay_alu instid0(VALU_DEP_4) | instskip(NEXT) | instid1(VALU_DEP_4)
	v_mov_b32_e32 v107, v109
	v_pk_add_f32 v[102:103], v[102:103], v[110:111]
	s_delay_alu instid0(VALU_DEP_4) | instskip(SKIP_1) | instid1(VALU_DEP_2)
	v_pk_fma_f32 v[108:109], v[148:149], v[132:133], v[104:105] op_sel_hi:[1,0,1]
	v_pk_fma_f32 v[104:105], v[148:149], v[132:133], v[104:105] neg_lo:[0,0,1] neg_hi:[0,0,1]
	v_mov_b32_e32 v105, v109
	s_delay_alu instid0(VALU_DEP_4) | instskip(NEXT) | instid1(VALU_DEP_1)
	v_pk_add_f32 v[102:103], v[102:103], v[106:107]
	v_pk_add_f32 v[102:103], v[102:103], v[104:105]
	s_wait_loadcnt 0x0
	s_delay_alu instid0(VALU_DEP_1)
	v_pk_add_f32 v[102:103], v[166:167], v[102:103] neg_lo:[0,1] neg_hi:[0,1]
	scratch_store_b64 off, v[102:103], off offset:264
	s_wait_xcnt 0x0
	v_cmpx_lt_u32_e32 32, v0
	s_cbranch_execz .LBB49_249
; %bb.248:
	scratch_load_b64 v[102:103], off, off offset:256
	v_mov_b64_e32 v[104:105], 0
	scratch_store_b64 off, v[104:105], off offset:256
	s_wait_loadcnt 0x0
	ds_store_b64 v1, v[102:103]
.LBB49_249:
	s_wait_xcnt 0x0
	s_or_b32 exec_lo, exec_lo, s0
	s_wait_storecnt_dscnt 0x0
	s_barrier_signal -1
	s_barrier_wait -1
	s_clause 0x9
	scratch_load_b128 v[102:105], off, off offset:264
	scratch_load_b128 v[106:109], off, off offset:280
	;; [unrolled: 1-line block ×8, first 2 shown]
	scratch_load_b64 v[166:167], off, off offset:392
	scratch_load_b64 v[168:169], off, off offset:256
	v_mov_b32_e32 v7, 0
	ds_load_2addr_b64 v[134:137], v7 offset0:91 offset1:92
	ds_load_2addr_b64 v[138:141], v7 offset0:93 offset1:94
	ds_load_2addr_b64 v[142:145], v7 offset0:95 offset1:96
	ds_load_2addr_b64 v[146:149], v7 offset0:97 offset1:98
	ds_load_2addr_b64 v[150:153], v7 offset0:83 offset1:84
	ds_load_2addr_b64 v[154:157], v7 offset0:85 offset1:86
	ds_load_2addr_b64 v[158:161], v7 offset0:87 offset1:88
	ds_load_2addr_b64 v[162:165], v7 offset0:89 offset1:90
	ds_load_b64 v[170:171], v7 offset:792
	s_mov_b32 s0, exec_lo
	s_wait_dscnt 0x8
	v_dual_mov_b32 v172, v137 :: v_dual_mov_b32 v173, v136
	s_wait_dscnt 0x5
	v_dual_mov_b32 v174, v141 :: v_dual_mov_b32 v179, v148
	v_dual_mov_b32 v175, v140 :: v_dual_mov_b32 v176, v145
	;; [unrolled: 1-line block ×3, first 2 shown]
	s_wait_loadcnt_dscnt 0x904
	v_dual_mul_f32 v9, v150, v103 :: v_dual_mul_f32 v23, v151, v103
	v_dual_mul_f32 v25, v153, v105 :: v_dual_mul_f32 v11, v152, v105
	s_wait_loadcnt_dscnt 0x803
	v_mul_f32_e32 v13, v154, v107
	s_wait_loadcnt_dscnt 0x601
	v_dual_mul_f32 v35, v163, v115 :: v_dual_fma_f32 v23, v150, v102, -v23
	v_dual_fmac_f32 v9, v151, v102 :: v_dual_mul_f32 v37, v165, v117
	v_dual_mul_f32 v27, v155, v107 :: v_dual_mul_f32 v29, v157, v109
	v_dual_fmac_f32 v11, v153, v104 :: v_dual_fma_f32 v25, v152, v104, -v25
	s_delay_alu instid0(VALU_DEP_3) | instskip(SKIP_3) | instid1(VALU_DEP_3)
	v_dual_add_f32 v9, 0, v9 :: v_dual_add_f32 v23, 0, v23
	v_dual_mul_f32 v15, v156, v109 :: v_dual_mul_f32 v17, v158, v111
	s_wait_loadcnt 0x5
	v_dual_mul_f32 v39, v135, v119 :: v_dual_fma_f32 v27, v154, v106, -v27
	v_dual_fmac_f32 v13, v155, v106 :: v_dual_add_f32 v9, v9, v11
	v_dual_add_f32 v11, v23, v25 :: v_dual_mov_b32 v102, v121
	v_dual_mul_f32 v31, v159, v111 :: v_dual_mul_f32 v33, v161, v113
	v_dual_fmac_f32 v15, v157, v108 :: v_dual_fma_f32 v23, v156, v108, -v29
	s_delay_alu instid0(VALU_DEP_3) | instskip(SKIP_1) | instid1(VALU_DEP_4)
	v_dual_add_f32 v9, v9, v13 :: v_dual_add_f32 v11, v11, v27
	v_dual_mul_f32 v19, v160, v113 :: v_dual_mul_f32 v21, v162, v115
	v_dual_fmac_f32 v17, v159, v110 :: v_dual_fma_f32 v13, v158, v110, -v31
	s_delay_alu instid0(VALU_DEP_3) | instskip(SKIP_3) | instid1(VALU_DEP_3)
	v_dual_add_f32 v9, v9, v15 :: v_dual_fma_f32 v15, v160, v112, -v33
	s_wait_loadcnt 0x4
	v_dual_add_f32 v11, v11, v23 :: v_dual_mov_b32 v106, v125
	v_fmac_f32_e32 v19, v161, v112
	v_dual_add_f32 v9, v9, v17 :: v_dual_fmac_f32 v21, v163, v114
	s_delay_alu instid0(VALU_DEP_3) | instskip(SKIP_1) | instid1(VALU_DEP_3)
	v_add_f32_e32 v11, v11, v13
	v_dual_mul_f32 v181, v164, v117 :: v_dual_mul_f32 v183, v134, v119
	v_dual_fma_f32 v13, v162, v114, -v35 :: v_dual_add_f32 v9, v9, v19
	s_delay_alu instid0(VALU_DEP_2) | instskip(SKIP_1) | instid1(VALU_DEP_3)
	v_dual_add_f32 v11, v11, v15 :: v_dual_fmac_f32 v181, v165, v116
	v_pk_mul_f32 v[104:105], v[138:139], v[122:123] op_sel:[1,1] op_sel_hi:[0,1]
	v_dual_fma_f32 v180, v164, v116, -v37 :: v_dual_add_f32 v111, v9, v21
	v_pk_mul_f32 v[102:103], v[172:173], v[102:103] op_sel_hi:[1,0]
	s_wait_loadcnt 0x3
	v_dual_add_f32 v110, v11, v13 :: v_dual_mov_b32 v112, v129
	v_pk_fma_f32 v[116:117], v[138:139], v[122:123], v[104:105] op_sel_hi:[1,0,1]
	v_fmac_f32_e32 v183, v135, v118
	v_pk_fma_f32 v[114:115], v[136:137], v[120:121], v[102:103] op_sel_hi:[1,0,1]
	v_fma_f32 v182, v134, v118, -v39
	v_pk_add_f32 v[110:111], v[110:111], v[180:181]
	v_pk_fma_f32 v[102:103], v[136:137], v[120:121], v[102:103] neg_lo:[0,0,1] neg_hi:[0,0,1]
	v_pk_fma_f32 v[104:105], v[138:139], v[122:123], v[104:105] neg_lo:[0,0,1] neg_hi:[0,0,1]
	v_pk_mul_f32 v[106:107], v[174:175], v[106:107] op_sel_hi:[1,0]
	v_dual_mov_b32 v103, v115 :: v_dual_mov_b32 v105, v117
	v_pk_add_f32 v[110:111], v[110:111], v[182:183]
	v_pk_mul_f32 v[108:109], v[142:143], v[126:127] op_sel:[1,1] op_sel_hi:[0,1]
	s_delay_alu instid0(VALU_DEP_4)
	v_pk_fma_f32 v[116:117], v[140:141], v[124:125], v[106:107] op_sel_hi:[1,0,1]
	v_pk_fma_f32 v[106:107], v[140:141], v[124:125], v[106:107] neg_lo:[0,0,1] neg_hi:[0,0,1]
	v_pk_mul_f32 v[112:113], v[176:177], v[112:113] op_sel_hi:[1,0]
	v_pk_add_f32 v[102:103], v[110:111], v[102:103]
	v_pk_fma_f32 v[110:111], v[142:143], v[126:127], v[108:109] op_sel_hi:[1,0,1]
	v_mov_b32_e32 v107, v117
	v_pk_fma_f32 v[108:109], v[142:143], v[126:127], v[108:109] neg_lo:[0,0,1] neg_hi:[0,0,1]
	s_wait_loadcnt 0x2
	v_pk_mul_f32 v[114:115], v[146:147], v[130:131] op_sel:[1,1] op_sel_hi:[0,1]
	v_pk_add_f32 v[102:103], v[102:103], v[104:105]
	v_dual_mov_b32 v104, v133 :: v_dual_mov_b32 v109, v111
	v_pk_fma_f32 v[110:111], v[144:145], v[128:129], v[112:113] op_sel_hi:[1,0,1]
	v_pk_fma_f32 v[112:113], v[144:145], v[128:129], v[112:113] neg_lo:[0,0,1] neg_hi:[0,0,1]
	s_delay_alu instid0(VALU_DEP_4)
	v_pk_add_f32 v[102:103], v[102:103], v[106:107]
	v_pk_fma_f32 v[106:107], v[146:147], v[130:131], v[114:115] op_sel_hi:[1,0,1]
	v_pk_mul_f32 v[104:105], v[178:179], v[104:105] op_sel_hi:[1,0]
	v_mov_b32_e32 v113, v111
	s_wait_loadcnt_dscnt 0x100
	v_pk_mul_f32 v[110:111], v[170:171], v[166:167] op_sel:[1,1] op_sel_hi:[0,1]
	v_pk_add_f32 v[102:103], v[102:103], v[108:109]
	v_pk_fma_f32 v[108:109], v[146:147], v[130:131], v[114:115] neg_lo:[0,0,1] neg_hi:[0,0,1]
	v_mov_b32_e32 v109, v107
	v_pk_fma_f32 v[106:107], v[148:149], v[132:133], v[104:105] op_sel_hi:[1,0,1]
	v_pk_fma_f32 v[104:105], v[148:149], v[132:133], v[104:105] neg_lo:[0,0,1] neg_hi:[0,0,1]
	v_pk_add_f32 v[102:103], v[102:103], v[112:113]
	s_delay_alu instid0(VALU_DEP_3) | instskip(SKIP_1) | instid1(VALU_DEP_3)
	v_mov_b32_e32 v105, v107
	v_pk_fma_f32 v[106:107], v[170:171], v[166:167], v[110:111] op_sel_hi:[1,0,1]
	v_pk_add_f32 v[102:103], v[102:103], v[108:109]
	v_pk_fma_f32 v[108:109], v[170:171], v[166:167], v[110:111] neg_lo:[0,0,1] neg_hi:[0,0,1]
	s_delay_alu instid0(VALU_DEP_3) | instskip(NEXT) | instid1(VALU_DEP_3)
	v_mov_b32_e32 v109, v107
	v_pk_add_f32 v[102:103], v[102:103], v[104:105]
	s_delay_alu instid0(VALU_DEP_1) | instskip(SKIP_1) | instid1(VALU_DEP_1)
	v_pk_add_f32 v[102:103], v[102:103], v[108:109]
	s_wait_loadcnt 0x0
	v_pk_add_f32 v[102:103], v[168:169], v[102:103] neg_lo:[0,1] neg_hi:[0,1]
	scratch_store_b64 off, v[102:103], off offset:256
	s_wait_xcnt 0x0
	v_cmpx_lt_u32_e32 31, v0
	s_cbranch_execz .LBB49_251
; %bb.250:
	scratch_load_b64 v[102:103], off, off offset:248
	v_mov_b64_e32 v[104:105], 0
	scratch_store_b64 off, v[104:105], off offset:248
	s_wait_loadcnt 0x0
	ds_store_b64 v1, v[102:103]
.LBB49_251:
	s_wait_xcnt 0x0
	s_or_b32 exec_lo, exec_lo, s0
	s_wait_storecnt_dscnt 0x0
	s_barrier_signal -1
	s_barrier_wait -1
	s_clause 0x9
	scratch_load_b128 v[102:105], off, off offset:256
	scratch_load_b128 v[106:109], off, off offset:272
	;; [unrolled: 1-line block ×9, first 2 shown]
	scratch_load_b64 v[174:175], off, off offset:248
	ds_load_b128 v[138:141], v7 offset:736
	ds_load_b128 v[142:145], v7 offset:752
	;; [unrolled: 1-line block ×9, first 2 shown]
	s_mov_b32 s0, exec_lo
	s_wait_dscnt 0x8
	v_dual_mov_b32 v176, v141 :: v_dual_mov_b32 v177, v140
	s_wait_dscnt 0x7
	v_dual_mov_b32 v178, v145 :: v_dual_mov_b32 v179, v144
	;; [unrolled: 2-line block ×4, first 2 shown]
	s_wait_loadcnt_dscnt 0x904
	v_dual_mul_f32 v7, v154, v103 :: v_dual_mul_f32 v9, v156, v105
	v_dual_mul_f32 v23, v155, v103 :: v_dual_mul_f32 v25, v157, v105
	s_wait_loadcnt_dscnt 0x803
	v_dual_mul_f32 v11, v158, v107 :: v_dual_mul_f32 v13, v160, v109
	s_delay_alu instid0(VALU_DEP_3) | instskip(SKIP_3) | instid1(VALU_DEP_3)
	v_dual_fmac_f32 v7, v155, v102 :: v_dual_fmac_f32 v9, v157, v104
	s_wait_loadcnt_dscnt 0x601
	v_dual_fma_f32 v23, v154, v102, -v23 :: v_dual_mul_f32 v35, v167, v115
	v_dual_mul_f32 v27, v159, v107 :: v_dual_mul_f32 v29, v161, v109
	v_dual_fma_f32 v25, v156, v104, -v25 :: v_dual_add_f32 v7, 0, v7
	s_delay_alu instid0(VALU_DEP_3) | instskip(SKIP_1) | instid1(VALU_DEP_3)
	v_dual_add_f32 v23, 0, v23 :: v_dual_mul_f32 v37, v169, v117
	v_dual_fmac_f32 v11, v159, v106 :: v_dual_fmac_f32 v13, v161, v108
	v_dual_fma_f32 v27, v158, v106, -v27 :: v_dual_add_f32 v7, v7, v9
	s_delay_alu instid0(VALU_DEP_3) | instskip(SKIP_2) | instid1(VALU_DEP_4)
	v_dual_add_f32 v9, v23, v25 :: v_dual_fma_f32 v25, v160, v108, -v29
	v_dual_mul_f32 v15, v162, v111 :: v_dual_mul_f32 v17, v164, v113
	v_dual_mul_f32 v31, v163, v111 :: v_dual_mul_f32 v33, v165, v113
	v_add_f32_e32 v7, v7, v11
	s_delay_alu instid0(VALU_DEP_3) | instskip(NEXT) | instid1(VALU_DEP_3)
	v_dual_add_f32 v9, v9, v27 :: v_dual_fmac_f32 v15, v163, v110
	v_fma_f32 v27, v162, v110, -v31
	v_dual_mul_f32 v19, v166, v115 :: v_dual_mul_f32 v21, v168, v117
	s_delay_alu instid0(VALU_DEP_4) | instskip(NEXT) | instid1(VALU_DEP_4)
	v_dual_add_f32 v7, v7, v13 :: v_dual_fmac_f32 v17, v165, v112
	v_dual_add_f32 v9, v9, v25 :: v_dual_fma_f32 v13, v164, v112, -v33
	s_wait_loadcnt 0x4
	s_delay_alu instid0(VALU_DEP_2) | instskip(NEXT) | instid1(VALU_DEP_2)
	v_dual_mov_b32 v104, v125 :: v_dual_add_f32 v7, v7, v15
	v_dual_fmac_f32 v19, v167, v114 :: v_dual_add_f32 v9, v9, v27
	v_fma_f32 v15, v166, v114, -v35
	s_wait_dscnt 0x0
	v_dual_mul_f32 v185, v170, v119 :: v_dual_mul_f32 v187, v172, v121
	v_add_f32_e32 v7, v7, v17
	v_dual_add_f32 v9, v9, v13 :: v_dual_fma_f32 v13, v168, v116, -v37
	v_dual_mul_f32 v23, v171, v119 :: v_dual_mul_f32 v11, v173, v121
	s_delay_alu instid0(VALU_DEP_3) | instskip(NEXT) | instid1(VALU_DEP_3)
	v_dual_fmac_f32 v21, v169, v116 :: v_dual_add_f32 v7, v7, v19
	v_dual_add_f32 v9, v9, v15 :: v_dual_fmac_f32 v185, v171, v118
	v_pk_mul_f32 v[102:103], v[138:139], v[122:123] op_sel:[1,1] op_sel_hi:[0,1]
	s_wait_loadcnt 0x3
	v_dual_mov_b32 v108, v129 :: v_dual_fma_f32 v184, v170, v118, -v23
	v_dual_add_f32 v111, v7, v21 :: v_dual_fmac_f32 v187, v173, v120
	v_dual_add_f32 v110, v9, v13 :: v_dual_fma_f32 v186, v172, v120, -v11
	v_pk_fma_f32 v[112:113], v[138:139], v[122:123], v[102:103] op_sel_hi:[1,0,1]
	v_pk_mul_f32 v[104:105], v[176:177], v[104:105] op_sel_hi:[1,0]
	v_pk_fma_f32 v[102:103], v[138:139], v[122:123], v[102:103] neg_lo:[0,0,1] neg_hi:[0,0,1]
	s_delay_alu instid0(VALU_DEP_4)
	v_pk_add_f32 v[110:111], v[110:111], v[184:185]
	v_pk_mul_f32 v[106:107], v[142:143], v[126:127] op_sel:[1,1] op_sel_hi:[0,1]
	v_mov_b32_e32 v103, v113
	v_pk_fma_f32 v[112:113], v[140:141], v[124:125], v[104:105] op_sel_hi:[1,0,1]
	v_pk_fma_f32 v[104:105], v[140:141], v[124:125], v[104:105] neg_lo:[0,0,1] neg_hi:[0,0,1]
	v_pk_add_f32 v[110:111], v[110:111], v[186:187]
	v_pk_fma_f32 v[116:117], v[142:143], v[126:127], v[106:107] op_sel_hi:[1,0,1]
	v_pk_mul_f32 v[108:109], v[178:179], v[108:109] op_sel_hi:[1,0]
	v_mov_b32_e32 v105, v113
	s_wait_loadcnt 0x2
	v_pk_mul_f32 v[114:115], v[146:147], v[130:131] op_sel:[1,1] op_sel_hi:[0,1]
	v_pk_add_f32 v[102:103], v[110:111], v[102:103]
	v_mov_b32_e32 v110, v133
	v_pk_fma_f32 v[106:107], v[142:143], v[126:127], v[106:107] neg_lo:[0,0,1] neg_hi:[0,0,1]
	v_mov_b32_e32 v107, v117
	v_pk_fma_f32 v[112:113], v[144:145], v[128:129], v[108:109] op_sel_hi:[1,0,1]
	v_pk_add_f32 v[102:103], v[102:103], v[104:105]
	v_pk_fma_f32 v[104:105], v[146:147], v[130:131], v[114:115] op_sel_hi:[1,0,1]
	v_pk_mul_f32 v[110:111], v[180:181], v[110:111] op_sel_hi:[1,0]
	v_pk_fma_f32 v[108:109], v[144:145], v[128:129], v[108:109] neg_lo:[0,0,1] neg_hi:[0,0,1]
	v_mov_b32_e32 v109, v113
	v_pk_add_f32 v[102:103], v[102:103], v[106:107]
	v_pk_fma_f32 v[112:113], v[146:147], v[130:131], v[114:115] neg_lo:[0,0,1] neg_hi:[0,0,1]
	v_mov_b32_e32 v113, v105
	v_pk_fma_f32 v[104:105], v[148:149], v[132:133], v[110:111] op_sel_hi:[1,0,1]
	s_wait_loadcnt 0x1
	v_pk_mul_f32 v[106:107], v[150:151], v[134:135] op_sel:[1,1] op_sel_hi:[0,1]
	v_pk_add_f32 v[102:103], v[102:103], v[108:109]
	v_mov_b32_e32 v104, v137
	v_pk_fma_f32 v[110:111], v[148:149], v[132:133], v[110:111] neg_lo:[0,0,1] neg_hi:[0,0,1]
	v_mov_b32_e32 v111, v105
	v_pk_fma_f32 v[108:109], v[150:151], v[134:135], v[106:107] op_sel_hi:[1,0,1]
	v_pk_add_f32 v[102:103], v[102:103], v[112:113]
	v_pk_mul_f32 v[104:105], v[182:183], v[104:105] op_sel_hi:[1,0]
	v_pk_fma_f32 v[106:107], v[150:151], v[134:135], v[106:107] neg_lo:[0,0,1] neg_hi:[0,0,1]
	s_delay_alu instid0(VALU_DEP_4) | instskip(NEXT) | instid1(VALU_DEP_4)
	v_mov_b32_e32 v107, v109
	v_pk_add_f32 v[102:103], v[102:103], v[110:111]
	s_delay_alu instid0(VALU_DEP_4) | instskip(SKIP_1) | instid1(VALU_DEP_2)
	v_pk_fma_f32 v[108:109], v[152:153], v[136:137], v[104:105] op_sel_hi:[1,0,1]
	v_pk_fma_f32 v[104:105], v[152:153], v[136:137], v[104:105] neg_lo:[0,0,1] neg_hi:[0,0,1]
	v_mov_b32_e32 v105, v109
	s_delay_alu instid0(VALU_DEP_4) | instskip(NEXT) | instid1(VALU_DEP_1)
	v_pk_add_f32 v[102:103], v[102:103], v[106:107]
	v_pk_add_f32 v[102:103], v[102:103], v[104:105]
	s_wait_loadcnt 0x0
	s_delay_alu instid0(VALU_DEP_1)
	v_pk_add_f32 v[102:103], v[174:175], v[102:103] neg_lo:[0,1] neg_hi:[0,1]
	scratch_store_b64 off, v[102:103], off offset:248
	s_wait_xcnt 0x0
	v_cmpx_lt_u32_e32 30, v0
	s_cbranch_execz .LBB49_253
; %bb.252:
	scratch_load_b64 v[102:103], off, off offset:240
	v_mov_b64_e32 v[104:105], 0
	scratch_store_b64 off, v[104:105], off offset:240
	s_wait_loadcnt 0x0
	ds_store_b64 v1, v[102:103]
.LBB49_253:
	s_wait_xcnt 0x0
	s_or_b32 exec_lo, exec_lo, s0
	s_wait_storecnt_dscnt 0x0
	s_barrier_signal -1
	s_barrier_wait -1
	s_clause 0xa
	scratch_load_b128 v[102:105], off, off offset:248
	scratch_load_b128 v[106:109], off, off offset:264
	;; [unrolled: 1-line block ×9, first 2 shown]
	scratch_load_b64 v[174:175], off, off offset:392
	scratch_load_b64 v[176:177], off, off offset:240
	v_mov_b32_e32 v7, 0
	ds_load_2addr_b64 v[138:141], v7 offset0:91 offset1:92
	ds_load_2addr_b64 v[142:145], v7 offset0:93 offset1:94
	;; [unrolled: 1-line block ×9, first 2 shown]
	ds_load_b64 v[178:179], v7 offset:792
	s_mov_b32 s0, exec_lo
	s_wait_dscnt 0x9
	v_dual_mov_b32 v180, v141 :: v_dual_mov_b32 v181, v140
	s_wait_dscnt 0x6
	v_dual_mov_b32 v182, v145 :: v_dual_mov_b32 v187, v152
	v_dual_mov_b32 v183, v144 :: v_dual_mov_b32 v184, v149
	;; [unrolled: 1-line block ×3, first 2 shown]
	s_wait_loadcnt_dscnt 0xa05
	v_dual_mul_f32 v9, v154, v103 :: v_dual_mul_f32 v27, v155, v103
	v_dual_mul_f32 v29, v157, v105 :: v_dual_mul_f32 v11, v156, v105
	s_wait_loadcnt_dscnt 0x904
	v_mul_f32_e32 v13, v158, v107
	s_wait_loadcnt_dscnt 0x702
	v_dual_mul_f32 v39, v167, v115 :: v_dual_fma_f32 v27, v154, v102, -v27
	v_dual_fmac_f32 v9, v155, v102 :: v_dual_mul_f32 v41, v169, v117
	v_dual_mul_f32 v31, v159, v107 :: v_dual_mul_f32 v33, v161, v109
	v_dual_fmac_f32 v11, v157, v104 :: v_dual_fma_f32 v29, v156, v104, -v29
	s_delay_alu instid0(VALU_DEP_3) | instskip(SKIP_3) | instid1(VALU_DEP_3)
	v_dual_add_f32 v9, 0, v9 :: v_dual_add_f32 v27, 0, v27
	v_dual_mul_f32 v15, v160, v109 :: v_dual_mul_f32 v17, v162, v111
	s_wait_loadcnt_dscnt 0x601
	v_dual_mul_f32 v43, v171, v119 :: v_dual_fma_f32 v31, v158, v106, -v31
	v_dual_fmac_f32 v13, v159, v106 :: v_dual_add_f32 v9, v9, v11
	s_delay_alu instid0(VALU_DEP_3) | instskip(SKIP_2) | instid1(VALU_DEP_3)
	v_dual_add_f32 v11, v27, v29 :: v_dual_fmac_f32 v15, v161, v108
	v_dual_mul_f32 v35, v163, v111 :: v_dual_mul_f32 v37, v165, v113
	v_dual_mul_f32 v27, v173, v121 :: v_dual_fma_f32 v29, v160, v108, -v33
	v_dual_add_f32 v9, v9, v13 :: v_dual_add_f32 v11, v11, v31
	v_dual_mul_f32 v19, v164, v113 :: v_dual_mul_f32 v21, v166, v115
	s_wait_loadcnt 0x5
	v_dual_mul_f32 v13, v139, v123 :: v_dual_fma_f32 v31, v162, v110, -v35
	s_delay_alu instid0(VALU_DEP_3) | instskip(SKIP_2) | instid1(VALU_DEP_2)
	v_dual_fmac_f32 v17, v163, v110 :: v_dual_add_f32 v9, v9, v15
	v_dual_add_f32 v11, v11, v29 :: v_dual_mov_b32 v102, v125
	v_dual_fmac_f32 v19, v165, v112 :: v_dual_fma_f32 v15, v164, v112, -v37
	v_dual_add_f32 v9, v9, v17 :: v_dual_add_f32 v11, v11, v31
	v_dual_mul_f32 v23, v168, v117 :: v_dual_mul_f32 v25, v170, v119
	v_dual_fmac_f32 v21, v167, v114 :: v_dual_fma_f32 v17, v166, v114, -v39
	s_delay_alu instid0(VALU_DEP_3) | instskip(SKIP_3) | instid1(VALU_DEP_3)
	v_add_f32_e32 v9, v9, v19
	s_wait_loadcnt 0x4
	v_dual_add_f32 v11, v11, v15 :: v_dual_mov_b32 v106, v129
	v_dual_fmac_f32 v23, v169, v116 :: v_dual_fma_f32 v15, v168, v116, -v41
	v_dual_add_f32 v9, v9, v21 :: v_dual_fmac_f32 v25, v171, v118
	s_delay_alu instid0(VALU_DEP_3) | instskip(SKIP_1) | instid1(VALU_DEP_3)
	v_add_f32_e32 v11, v11, v17
	v_dual_mul_f32 v189, v172, v121 :: v_dual_mul_f32 v191, v138, v123
	v_dual_fma_f32 v17, v170, v118, -v43 :: v_dual_add_f32 v9, v9, v23
	s_delay_alu instid0(VALU_DEP_2) | instskip(SKIP_2) | instid1(VALU_DEP_4)
	v_dual_add_f32 v11, v11, v15 :: v_dual_fmac_f32 v189, v173, v120
	v_fma_f32 v188, v172, v120, -v27
	v_pk_mul_f32 v[102:103], v[180:181], v[102:103] op_sel_hi:[1,0]
	v_add_f32_e32 v111, v9, v25
	s_wait_loadcnt 0x3
	v_dual_add_f32 v110, v11, v17 :: v_dual_mov_b32 v112, v133
	v_pk_mul_f32 v[104:105], v[142:143], v[126:127] op_sel:[1,1] op_sel_hi:[0,1]
	v_dual_fmac_f32 v191, v139, v122 :: v_dual_fma_f32 v190, v138, v122, -v13
	v_pk_fma_f32 v[114:115], v[140:141], v[124:125], v[102:103] op_sel_hi:[1,0,1]
	s_delay_alu instid0(VALU_DEP_4)
	v_pk_add_f32 v[110:111], v[110:111], v[188:189]
	v_pk_fma_f32 v[102:103], v[140:141], v[124:125], v[102:103] neg_lo:[0,0,1] neg_hi:[0,0,1]
	v_pk_fma_f32 v[116:117], v[142:143], v[126:127], v[104:105] op_sel_hi:[1,0,1]
	v_pk_mul_f32 v[106:107], v[182:183], v[106:107] op_sel_hi:[1,0]
	v_mov_b32_e32 v103, v115
	v_pk_add_f32 v[110:111], v[110:111], v[190:191]
	v_pk_fma_f32 v[104:105], v[142:143], v[126:127], v[104:105] neg_lo:[0,0,1] neg_hi:[0,0,1]
	v_pk_mul_f32 v[108:109], v[146:147], v[130:131] op_sel:[1,1] op_sel_hi:[0,1]
	v_mov_b32_e32 v105, v117
	v_pk_fma_f32 v[116:117], v[144:145], v[128:129], v[106:107] op_sel_hi:[1,0,1]
	v_pk_add_f32 v[102:103], v[110:111], v[102:103]
	v_pk_fma_f32 v[106:107], v[144:145], v[128:129], v[106:107] neg_lo:[0,0,1] neg_hi:[0,0,1]
	v_pk_fma_f32 v[110:111], v[146:147], v[130:131], v[108:109] op_sel_hi:[1,0,1]
	v_pk_mul_f32 v[112:113], v[184:185], v[112:113] op_sel_hi:[1,0]
	v_mov_b32_e32 v107, v117
	v_pk_add_f32 v[102:103], v[102:103], v[104:105]
	v_pk_fma_f32 v[108:109], v[146:147], v[130:131], v[108:109] neg_lo:[0,0,1] neg_hi:[0,0,1]
	s_wait_loadcnt 0x2
	v_pk_mul_f32 v[114:115], v[150:151], v[134:135] op_sel:[1,1] op_sel_hi:[0,1]
	v_dual_mov_b32 v104, v137 :: v_dual_mov_b32 v109, v111
	v_pk_fma_f32 v[110:111], v[148:149], v[132:133], v[112:113] op_sel_hi:[1,0,1]
	v_pk_add_f32 v[102:103], v[102:103], v[106:107]
	v_pk_fma_f32 v[112:113], v[148:149], v[132:133], v[112:113] neg_lo:[0,0,1] neg_hi:[0,0,1]
	v_pk_fma_f32 v[106:107], v[150:151], v[134:135], v[114:115] op_sel_hi:[1,0,1]
	v_pk_mul_f32 v[104:105], v[186:187], v[104:105] op_sel_hi:[1,0]
	v_mov_b32_e32 v113, v111
	v_pk_add_f32 v[102:103], v[102:103], v[108:109]
	v_pk_fma_f32 v[108:109], v[150:151], v[134:135], v[114:115] neg_lo:[0,0,1] neg_hi:[0,0,1]
	v_mov_b32_e32 v109, v107
	v_pk_fma_f32 v[106:107], v[152:153], v[136:137], v[104:105] op_sel_hi:[1,0,1]
	s_wait_loadcnt_dscnt 0x100
	v_pk_mul_f32 v[110:111], v[178:179], v[174:175] op_sel:[1,1] op_sel_hi:[0,1]
	v_pk_add_f32 v[102:103], v[102:103], v[112:113]
	v_pk_fma_f32 v[104:105], v[152:153], v[136:137], v[104:105] neg_lo:[0,0,1] neg_hi:[0,0,1]
	v_mov_b32_e32 v105, v107
	s_delay_alu instid0(VALU_DEP_4) | instskip(NEXT) | instid1(VALU_DEP_4)
	v_pk_fma_f32 v[106:107], v[178:179], v[174:175], v[110:111] op_sel_hi:[1,0,1]
	v_pk_add_f32 v[102:103], v[102:103], v[108:109]
	v_pk_fma_f32 v[108:109], v[178:179], v[174:175], v[110:111] neg_lo:[0,0,1] neg_hi:[0,0,1]
	s_delay_alu instid0(VALU_DEP_3) | instskip(NEXT) | instid1(VALU_DEP_3)
	v_mov_b32_e32 v109, v107
	v_pk_add_f32 v[102:103], v[102:103], v[104:105]
	s_delay_alu instid0(VALU_DEP_1) | instskip(SKIP_1) | instid1(VALU_DEP_1)
	v_pk_add_f32 v[102:103], v[102:103], v[108:109]
	s_wait_loadcnt 0x0
	v_pk_add_f32 v[102:103], v[176:177], v[102:103] neg_lo:[0,1] neg_hi:[0,1]
	scratch_store_b64 off, v[102:103], off offset:240
	s_wait_xcnt 0x0
	v_cmpx_lt_u32_e32 29, v0
	s_cbranch_execz .LBB49_255
; %bb.254:
	scratch_load_b64 v[102:103], off, off offset:232
	v_mov_b64_e32 v[104:105], 0
	scratch_store_b64 off, v[104:105], off offset:232
	s_wait_loadcnt 0x0
	ds_store_b64 v1, v[102:103]
.LBB49_255:
	s_wait_xcnt 0x0
	s_or_b32 exec_lo, exec_lo, s0
	s_wait_storecnt_dscnt 0x0
	s_barrier_signal -1
	s_barrier_wait -1
	s_clause 0xa
	scratch_load_b128 v[102:105], off, off offset:240
	scratch_load_b128 v[106:109], off, off offset:256
	;; [unrolled: 1-line block ×10, first 2 shown]
	scratch_load_b64 v[182:183], off, off offset:232
	ds_load_b128 v[142:145], v7 offset:736
	ds_load_b128 v[146:149], v7 offset:752
	;; [unrolled: 1-line block ×10, first 2 shown]
	s_mov_b32 s0, exec_lo
	s_wait_dscnt 0x9
	v_dual_mov_b32 v184, v145 :: v_dual_mov_b32 v185, v144
	s_wait_dscnt 0x8
	v_dual_mov_b32 v186, v149 :: v_dual_mov_b32 v187, v148
	;; [unrolled: 2-line block ×4, first 2 shown]
	s_wait_loadcnt_dscnt 0xa05
	v_dual_mul_f32 v7, v158, v103 :: v_dual_mul_f32 v9, v160, v105
	v_dual_mul_f32 v27, v159, v103 :: v_dual_mul_f32 v29, v161, v105
	s_wait_loadcnt_dscnt 0x904
	v_dual_mul_f32 v11, v162, v107 :: v_dual_mul_f32 v13, v164, v109
	s_delay_alu instid0(VALU_DEP_3) | instskip(SKIP_3) | instid1(VALU_DEP_3)
	v_dual_fmac_f32 v7, v159, v102 :: v_dual_fmac_f32 v9, v161, v104
	s_wait_loadcnt_dscnt 0x702
	v_dual_fma_f32 v27, v158, v102, -v27 :: v_dual_mul_f32 v39, v171, v115
	v_dual_mul_f32 v31, v163, v107 :: v_dual_mul_f32 v33, v165, v109
	v_dual_fma_f32 v29, v160, v104, -v29 :: v_dual_add_f32 v7, 0, v7
	s_delay_alu instid0(VALU_DEP_3) | instskip(SKIP_1) | instid1(VALU_DEP_3)
	v_dual_add_f32 v27, 0, v27 :: v_dual_mul_f32 v41, v173, v117
	v_dual_fmac_f32 v11, v163, v106 :: v_dual_fmac_f32 v13, v165, v108
	v_dual_fma_f32 v31, v162, v106, -v31 :: v_dual_add_f32 v7, v7, v9
	s_delay_alu instid0(VALU_DEP_3) | instskip(SKIP_2) | instid1(VALU_DEP_4)
	v_dual_add_f32 v9, v27, v29 :: v_dual_fma_f32 v29, v164, v108, -v33
	v_dual_mul_f32 v15, v166, v111 :: v_dual_mul_f32 v17, v168, v113
	v_dual_mul_f32 v35, v167, v111 :: v_dual_mul_f32 v37, v169, v113
	v_add_f32_e32 v7, v7, v11
	s_delay_alu instid0(VALU_DEP_3) | instskip(NEXT) | instid1(VALU_DEP_3)
	v_dual_add_f32 v9, v9, v31 :: v_dual_fmac_f32 v15, v167, v110
	v_fma_f32 v31, v166, v110, -v35
	v_dual_mul_f32 v19, v170, v115 :: v_dual_mul_f32 v21, v172, v117
	s_delay_alu instid0(VALU_DEP_4) | instskip(SKIP_2) | instid1(VALU_DEP_2)
	v_dual_add_f32 v7, v7, v13 :: v_dual_fmac_f32 v17, v169, v112
	s_wait_loadcnt_dscnt 0x500
	v_dual_add_f32 v9, v9, v29 :: v_dual_mul_f32 v13, v179, v123
	v_dual_fma_f32 v29, v168, v112, -v37 :: v_dual_add_f32 v7, v7, v15
	v_mul_f32_e32 v15, v181, v125
	s_delay_alu instid0(VALU_DEP_3) | instskip(NEXT) | instid1(VALU_DEP_3)
	v_dual_add_f32 v9, v9, v31 :: v_dual_fmac_f32 v19, v171, v114
	v_dual_fma_f32 v31, v170, v114, -v39 :: v_dual_add_f32 v7, v7, v17
	v_fmac_f32_e32 v21, v173, v116
	s_delay_alu instid0(VALU_DEP_3) | instskip(SKIP_4) | instid1(VALU_DEP_3)
	v_dual_add_f32 v9, v9, v29 :: v_dual_fma_f32 v17, v172, v116, -v41
	v_dual_mul_f32 v23, v174, v119 :: v_dual_mul_f32 v25, v176, v121
	v_dual_mul_f32 v27, v175, v119 :: v_dual_mul_f32 v11, v177, v121
	s_wait_loadcnt 0x4
	v_dual_add_f32 v7, v7, v19 :: v_dual_mov_b32 v104, v129
	v_dual_add_f32 v9, v9, v31 :: v_dual_fmac_f32 v23, v175, v118
	s_delay_alu instid0(VALU_DEP_2) | instskip(SKIP_1) | instid1(VALU_DEP_3)
	v_dual_fma_f32 v19, v174, v118, -v27 :: v_dual_add_f32 v7, v7, v21
	v_dual_mul_f32 v193, v178, v123 :: v_dual_mul_f32 v195, v180, v125
	v_dual_add_f32 v9, v9, v17 :: v_dual_fma_f32 v11, v176, v120, -v11
	s_delay_alu instid0(VALU_DEP_3) | instskip(SKIP_1) | instid1(VALU_DEP_3)
	v_dual_fmac_f32 v25, v177, v120 :: v_dual_add_f32 v7, v7, v23
	v_pk_mul_f32 v[102:103], v[142:143], v[126:127] op_sel:[1,1] op_sel_hi:[0,1]
	v_dual_add_f32 v9, v9, v19 :: v_dual_fmac_f32 v193, v179, v122
	s_wait_loadcnt 0x3
	v_dual_mov_b32 v108, v133 :: v_dual_fma_f32 v192, v178, v122, -v13
	s_delay_alu instid0(VALU_DEP_2)
	v_dual_add_f32 v111, v7, v25 :: v_dual_add_f32 v110, v9, v11
	v_fmac_f32_e32 v195, v181, v124
	v_pk_fma_f32 v[112:113], v[142:143], v[126:127], v[102:103] op_sel_hi:[1,0,1]
	v_fma_f32 v194, v180, v124, -v15
	v_pk_mul_f32 v[104:105], v[184:185], v[104:105] op_sel_hi:[1,0]
	v_pk_add_f32 v[110:111], v[110:111], v[192:193]
	v_pk_fma_f32 v[102:103], v[142:143], v[126:127], v[102:103] neg_lo:[0,0,1] neg_hi:[0,0,1]
	v_pk_mul_f32 v[106:107], v[146:147], v[130:131] op_sel:[1,1] op_sel_hi:[0,1]
	v_mov_b32_e32 v103, v113
	v_pk_fma_f32 v[112:113], v[144:145], v[128:129], v[104:105] op_sel_hi:[1,0,1]
	v_pk_add_f32 v[110:111], v[110:111], v[194:195]
	v_pk_fma_f32 v[104:105], v[144:145], v[128:129], v[104:105] neg_lo:[0,0,1] neg_hi:[0,0,1]
	v_pk_fma_f32 v[116:117], v[146:147], v[130:131], v[106:107] op_sel_hi:[1,0,1]
	v_pk_mul_f32 v[108:109], v[186:187], v[108:109] op_sel_hi:[1,0]
	v_mov_b32_e32 v105, v113
	v_pk_add_f32 v[102:103], v[110:111], v[102:103]
	s_wait_loadcnt 0x2
	v_pk_mul_f32 v[114:115], v[150:151], v[134:135] op_sel:[1,1] op_sel_hi:[0,1]
	v_mov_b32_e32 v110, v137
	v_pk_fma_f32 v[106:107], v[146:147], v[130:131], v[106:107] neg_lo:[0,0,1] neg_hi:[0,0,1]
	v_pk_fma_f32 v[112:113], v[148:149], v[132:133], v[108:109] op_sel_hi:[1,0,1]
	v_mov_b32_e32 v107, v117
	v_pk_add_f32 v[102:103], v[102:103], v[104:105]
	v_pk_fma_f32 v[104:105], v[150:151], v[134:135], v[114:115] op_sel_hi:[1,0,1]
	v_pk_mul_f32 v[110:111], v[188:189], v[110:111] op_sel_hi:[1,0]
	v_pk_fma_f32 v[108:109], v[148:149], v[132:133], v[108:109] neg_lo:[0,0,1] neg_hi:[0,0,1]
	v_mov_b32_e32 v109, v113
	v_pk_add_f32 v[102:103], v[102:103], v[106:107]
	v_pk_fma_f32 v[112:113], v[150:151], v[134:135], v[114:115] neg_lo:[0,0,1] neg_hi:[0,0,1]
	v_mov_b32_e32 v113, v105
	v_pk_fma_f32 v[104:105], v[152:153], v[136:137], v[110:111] op_sel_hi:[1,0,1]
	s_wait_loadcnt 0x1
	v_pk_mul_f32 v[106:107], v[154:155], v[138:139] op_sel:[1,1] op_sel_hi:[0,1]
	v_pk_add_f32 v[102:103], v[102:103], v[108:109]
	v_mov_b32_e32 v104, v141
	v_pk_fma_f32 v[110:111], v[152:153], v[136:137], v[110:111] neg_lo:[0,0,1] neg_hi:[0,0,1]
	s_delay_alu instid0(VALU_DEP_4)
	v_pk_fma_f32 v[108:109], v[154:155], v[138:139], v[106:107] op_sel_hi:[1,0,1]
	v_mov_b32_e32 v111, v105
	v_pk_add_f32 v[102:103], v[102:103], v[112:113]
	v_pk_mul_f32 v[104:105], v[190:191], v[104:105] op_sel_hi:[1,0]
	v_pk_fma_f32 v[106:107], v[154:155], v[138:139], v[106:107] neg_lo:[0,0,1] neg_hi:[0,0,1]
	v_mov_b32_e32 v107, v109
	s_delay_alu instid0(VALU_DEP_4) | instskip(NEXT) | instid1(VALU_DEP_4)
	v_pk_add_f32 v[102:103], v[102:103], v[110:111]
	v_pk_fma_f32 v[108:109], v[156:157], v[140:141], v[104:105] op_sel_hi:[1,0,1]
	v_pk_fma_f32 v[104:105], v[156:157], v[140:141], v[104:105] neg_lo:[0,0,1] neg_hi:[0,0,1]
	s_delay_alu instid0(VALU_DEP_3) | instskip(NEXT) | instid1(VALU_DEP_3)
	v_pk_add_f32 v[102:103], v[102:103], v[106:107]
	v_mov_b32_e32 v105, v109
	s_delay_alu instid0(VALU_DEP_1) | instskip(SKIP_1) | instid1(VALU_DEP_1)
	v_pk_add_f32 v[102:103], v[102:103], v[104:105]
	s_wait_loadcnt 0x0
	v_pk_add_f32 v[102:103], v[182:183], v[102:103] neg_lo:[0,1] neg_hi:[0,1]
	scratch_store_b64 off, v[102:103], off offset:232
	s_wait_xcnt 0x0
	v_cmpx_lt_u32_e32 28, v0
	s_cbranch_execz .LBB49_257
; %bb.256:
	scratch_load_b64 v[102:103], off, off offset:224
	v_mov_b64_e32 v[104:105], 0
	scratch_store_b64 off, v[104:105], off offset:224
	s_wait_loadcnt 0x0
	ds_store_b64 v1, v[102:103]
.LBB49_257:
	s_wait_xcnt 0x0
	s_or_b32 exec_lo, exec_lo, s0
	s_wait_storecnt_dscnt 0x0
	s_barrier_signal -1
	s_barrier_wait -1
	s_clause 0xb
	scratch_load_b128 v[102:105], off, off offset:232
	scratch_load_b128 v[106:109], off, off offset:248
	;; [unrolled: 1-line block ×10, first 2 shown]
	scratch_load_b64 v[182:183], off, off offset:392
	scratch_load_b64 v[184:185], off, off offset:224
	v_mov_b32_e32 v7, 0
	ds_load_2addr_b64 v[142:145], v7 offset0:91 offset1:92
	ds_load_2addr_b64 v[146:149], v7 offset0:93 offset1:94
	;; [unrolled: 1-line block ×10, first 2 shown]
	ds_load_b64 v[186:187], v7 offset:792
	s_mov_b32 s0, exec_lo
	s_wait_dscnt 0xa
	v_dual_mov_b32 v188, v145 :: v_dual_mov_b32 v189, v144
	s_wait_dscnt 0x7
	v_dual_mov_b32 v190, v149 :: v_dual_mov_b32 v195, v156
	v_dual_mov_b32 v191, v148 :: v_dual_mov_b32 v192, v153
	;; [unrolled: 1-line block ×3, first 2 shown]
	s_wait_loadcnt_dscnt 0xb06
	v_dual_mul_f32 v9, v158, v103 :: v_dual_mul_f32 v31, v159, v103
	v_dual_mul_f32 v33, v161, v105 :: v_dual_mul_f32 v11, v160, v105
	s_wait_loadcnt_dscnt 0xa05
	v_mul_f32_e32 v13, v162, v107
	s_wait_loadcnt_dscnt 0x803
	v_dual_mul_f32 v43, v171, v115 :: v_dual_fma_f32 v31, v158, v102, -v31
	v_dual_fmac_f32 v9, v159, v102 :: v_dual_mul_f32 v45, v173, v117
	v_dual_mul_f32 v35, v163, v107 :: v_dual_mul_f32 v37, v165, v109
	v_dual_fmac_f32 v11, v161, v104 :: v_dual_fma_f32 v33, v160, v104, -v33
	s_delay_alu instid0(VALU_DEP_3) | instskip(SKIP_3) | instid1(VALU_DEP_3)
	v_dual_add_f32 v9, 0, v9 :: v_dual_add_f32 v31, 0, v31
	v_dual_mul_f32 v15, v164, v109 :: v_dual_mul_f32 v17, v166, v111
	s_wait_loadcnt_dscnt 0x702
	v_dual_mul_f32 v47, v175, v119 :: v_dual_fma_f32 v35, v162, v106, -v35
	v_dual_fmac_f32 v13, v163, v106 :: v_dual_add_f32 v9, v9, v11
	s_delay_alu instid0(VALU_DEP_3) | instskip(SKIP_2) | instid1(VALU_DEP_3)
	v_dual_add_f32 v11, v31, v33 :: v_dual_fmac_f32 v15, v165, v108
	v_dual_mul_f32 v39, v167, v111 :: v_dual_mul_f32 v41, v169, v113
	v_dual_mul_f32 v31, v177, v121 :: v_dual_fma_f32 v33, v164, v108, -v37
	v_dual_add_f32 v9, v9, v13 :: v_dual_add_f32 v11, v11, v35
	v_dual_mul_f32 v19, v168, v113 :: v_dual_mul_f32 v21, v170, v115
	s_wait_loadcnt_dscnt 0x601
	v_dual_mul_f32 v13, v179, v123 :: v_dual_fma_f32 v35, v166, v110, -v39
	s_delay_alu instid0(VALU_DEP_3) | instskip(NEXT) | instid1(VALU_DEP_3)
	v_dual_fmac_f32 v17, v167, v110 :: v_dual_add_f32 v9, v9, v15
	v_dual_add_f32 v11, v11, v33 :: v_dual_fmac_f32 v19, v169, v112
	v_dual_mul_f32 v15, v181, v125 :: v_dual_fma_f32 v33, v168, v112, -v41
	s_delay_alu instid0(VALU_DEP_2) | instskip(SKIP_3) | instid1(VALU_DEP_3)
	v_dual_add_f32 v9, v9, v17 :: v_dual_add_f32 v11, v11, v35
	v_dual_mul_f32 v23, v172, v117 :: v_dual_mul_f32 v25, v174, v119
	s_wait_loadcnt 0x5
	v_dual_mul_f32 v17, v143, v127 :: v_dual_fma_f32 v35, v170, v114, -v43
	v_dual_fmac_f32 v21, v171, v114 :: v_dual_add_f32 v9, v9, v19
	v_dual_add_f32 v11, v11, v33 :: v_dual_mov_b32 v102, v129
	v_dual_fmac_f32 v23, v173, v116 :: v_dual_fma_f32 v19, v172, v116, -v45
	s_delay_alu instid0(VALU_DEP_2) | instskip(SKIP_2) | instid1(VALU_DEP_3)
	v_dual_add_f32 v9, v9, v21 :: v_dual_add_f32 v11, v11, v35
	v_dual_mul_f32 v27, v176, v121 :: v_dual_mul_f32 v29, v178, v123
	v_dual_fmac_f32 v25, v175, v118 :: v_dual_fma_f32 v21, v174, v118, -v47
	v_add_f32_e32 v9, v9, v23
	s_wait_loadcnt 0x4
	v_dual_add_f32 v11, v11, v19 :: v_dual_mov_b32 v106, v133
	v_fmac_f32_e32 v27, v177, v120
	s_delay_alu instid0(VALU_DEP_3) | instskip(SKIP_1) | instid1(VALU_DEP_4)
	v_dual_fma_f32 v19, v176, v120, -v31 :: v_dual_add_f32 v9, v9, v25
	v_fmac_f32_e32 v29, v179, v122
	v_add_f32_e32 v11, v11, v21
	v_dual_mul_f32 v197, v180, v125 :: v_dual_mul_f32 v199, v142, v127
	s_delay_alu instid0(VALU_DEP_4) | instskip(NEXT) | instid1(VALU_DEP_2)
	v_dual_fma_f32 v13, v178, v122, -v13 :: v_dual_add_f32 v9, v9, v27
	v_dual_add_f32 v11, v11, v19 :: v_dual_fmac_f32 v197, v181, v124
	v_fma_f32 v196, v180, v124, -v15
	v_pk_mul_f32 v[102:103], v[188:189], v[102:103] op_sel_hi:[1,0]
	s_delay_alu instid0(VALU_DEP_4)
	v_add_f32_e32 v111, v9, v29
	s_wait_loadcnt 0x3
	v_dual_add_f32 v110, v11, v13 :: v_dual_mov_b32 v112, v137
	v_pk_mul_f32 v[104:105], v[146:147], v[130:131] op_sel:[1,1] op_sel_hi:[0,1]
	v_dual_fmac_f32 v199, v143, v126 :: v_dual_fma_f32 v198, v142, v126, -v17
	v_pk_fma_f32 v[114:115], v[144:145], v[128:129], v[102:103] op_sel_hi:[1,0,1]
	s_delay_alu instid0(VALU_DEP_4)
	v_pk_add_f32 v[110:111], v[110:111], v[196:197]
	v_pk_fma_f32 v[102:103], v[144:145], v[128:129], v[102:103] neg_lo:[0,0,1] neg_hi:[0,0,1]
	v_pk_fma_f32 v[116:117], v[146:147], v[130:131], v[104:105] op_sel_hi:[1,0,1]
	v_pk_mul_f32 v[106:107], v[190:191], v[106:107] op_sel_hi:[1,0]
	v_mov_b32_e32 v103, v115
	v_pk_add_f32 v[110:111], v[110:111], v[198:199]
	v_pk_fma_f32 v[104:105], v[146:147], v[130:131], v[104:105] neg_lo:[0,0,1] neg_hi:[0,0,1]
	v_pk_mul_f32 v[108:109], v[150:151], v[134:135] op_sel:[1,1] op_sel_hi:[0,1]
	v_mov_b32_e32 v105, v117
	v_pk_fma_f32 v[116:117], v[148:149], v[132:133], v[106:107] op_sel_hi:[1,0,1]
	v_pk_add_f32 v[102:103], v[110:111], v[102:103]
	v_pk_fma_f32 v[106:107], v[148:149], v[132:133], v[106:107] neg_lo:[0,0,1] neg_hi:[0,0,1]
	v_pk_fma_f32 v[110:111], v[150:151], v[134:135], v[108:109] op_sel_hi:[1,0,1]
	v_pk_mul_f32 v[112:113], v[192:193], v[112:113] op_sel_hi:[1,0]
	v_mov_b32_e32 v107, v117
	v_pk_add_f32 v[102:103], v[102:103], v[104:105]
	v_pk_fma_f32 v[108:109], v[150:151], v[134:135], v[108:109] neg_lo:[0,0,1] neg_hi:[0,0,1]
	s_wait_loadcnt 0x2
	v_pk_mul_f32 v[114:115], v[154:155], v[138:139] op_sel:[1,1] op_sel_hi:[0,1]
	v_dual_mov_b32 v104, v141 :: v_dual_mov_b32 v109, v111
	v_pk_fma_f32 v[110:111], v[152:153], v[136:137], v[112:113] op_sel_hi:[1,0,1]
	v_pk_add_f32 v[102:103], v[102:103], v[106:107]
	v_pk_fma_f32 v[112:113], v[152:153], v[136:137], v[112:113] neg_lo:[0,0,1] neg_hi:[0,0,1]
	v_pk_fma_f32 v[106:107], v[154:155], v[138:139], v[114:115] op_sel_hi:[1,0,1]
	v_pk_mul_f32 v[104:105], v[194:195], v[104:105] op_sel_hi:[1,0]
	v_mov_b32_e32 v113, v111
	v_pk_add_f32 v[102:103], v[102:103], v[108:109]
	v_pk_fma_f32 v[108:109], v[154:155], v[138:139], v[114:115] neg_lo:[0,0,1] neg_hi:[0,0,1]
	v_mov_b32_e32 v109, v107
	v_pk_fma_f32 v[106:107], v[156:157], v[140:141], v[104:105] op_sel_hi:[1,0,1]
	s_wait_loadcnt_dscnt 0x100
	v_pk_mul_f32 v[110:111], v[186:187], v[182:183] op_sel:[1,1] op_sel_hi:[0,1]
	v_pk_add_f32 v[102:103], v[102:103], v[112:113]
	v_pk_fma_f32 v[104:105], v[156:157], v[140:141], v[104:105] neg_lo:[0,0,1] neg_hi:[0,0,1]
	v_mov_b32_e32 v105, v107
	s_delay_alu instid0(VALU_DEP_4) | instskip(NEXT) | instid1(VALU_DEP_4)
	v_pk_fma_f32 v[106:107], v[186:187], v[182:183], v[110:111] op_sel_hi:[1,0,1]
	v_pk_add_f32 v[102:103], v[102:103], v[108:109]
	v_pk_fma_f32 v[108:109], v[186:187], v[182:183], v[110:111] neg_lo:[0,0,1] neg_hi:[0,0,1]
	s_delay_alu instid0(VALU_DEP_3) | instskip(NEXT) | instid1(VALU_DEP_3)
	v_mov_b32_e32 v109, v107
	v_pk_add_f32 v[102:103], v[102:103], v[104:105]
	s_delay_alu instid0(VALU_DEP_1) | instskip(SKIP_1) | instid1(VALU_DEP_1)
	v_pk_add_f32 v[102:103], v[102:103], v[108:109]
	s_wait_loadcnt 0x0
	v_pk_add_f32 v[102:103], v[184:185], v[102:103] neg_lo:[0,1] neg_hi:[0,1]
	scratch_store_b64 off, v[102:103], off offset:224
	s_wait_xcnt 0x0
	v_cmpx_lt_u32_e32 27, v0
	s_cbranch_execz .LBB49_259
; %bb.258:
	scratch_load_b64 v[102:103], off, off offset:216
	v_mov_b64_e32 v[104:105], 0
	scratch_store_b64 off, v[104:105], off offset:216
	s_wait_loadcnt 0x0
	ds_store_b64 v1, v[102:103]
.LBB49_259:
	s_wait_xcnt 0x0
	s_or_b32 exec_lo, exec_lo, s0
	s_wait_storecnt_dscnt 0x0
	s_barrier_signal -1
	s_barrier_wait -1
	s_clause 0xb
	scratch_load_b128 v[102:105], off, off offset:224
	scratch_load_b128 v[106:109], off, off offset:240
	;; [unrolled: 1-line block ×11, first 2 shown]
	scratch_load_b64 v[190:191], off, off offset:216
	ds_load_b128 v[146:149], v7 offset:736
	ds_load_b128 v[150:153], v7 offset:752
	;; [unrolled: 1-line block ×11, first 2 shown]
	s_mov_b32 s0, exec_lo
	s_wait_dscnt 0xa
	v_dual_mov_b32 v192, v149 :: v_dual_mov_b32 v193, v148
	s_wait_dscnt 0x9
	v_dual_mov_b32 v194, v153 :: v_dual_mov_b32 v195, v152
	;; [unrolled: 2-line block ×4, first 2 shown]
	s_wait_loadcnt_dscnt 0xb06
	v_dual_mul_f32 v7, v162, v103 :: v_dual_mul_f32 v9, v164, v105
	v_dual_mul_f32 v31, v163, v103 :: v_dual_mul_f32 v33, v165, v105
	s_wait_loadcnt_dscnt 0xa05
	v_dual_mul_f32 v11, v166, v107 :: v_dual_mul_f32 v13, v168, v109
	s_delay_alu instid0(VALU_DEP_3) | instskip(SKIP_3) | instid1(VALU_DEP_3)
	v_dual_fmac_f32 v7, v163, v102 :: v_dual_fmac_f32 v9, v165, v104
	s_wait_loadcnt_dscnt 0x803
	v_dual_fma_f32 v31, v162, v102, -v31 :: v_dual_mul_f32 v43, v175, v115
	v_dual_mul_f32 v35, v167, v107 :: v_dual_mul_f32 v37, v169, v109
	v_dual_fma_f32 v33, v164, v104, -v33 :: v_dual_add_f32 v7, 0, v7
	s_delay_alu instid0(VALU_DEP_3) | instskip(SKIP_1) | instid1(VALU_DEP_3)
	v_dual_add_f32 v31, 0, v31 :: v_dual_mul_f32 v45, v177, v117
	v_dual_fmac_f32 v11, v167, v106 :: v_dual_fmac_f32 v13, v169, v108
	v_dual_fma_f32 v35, v166, v106, -v35 :: v_dual_add_f32 v7, v7, v9
	s_delay_alu instid0(VALU_DEP_3) | instskip(SKIP_2) | instid1(VALU_DEP_4)
	v_dual_add_f32 v9, v31, v33 :: v_dual_fma_f32 v33, v168, v108, -v37
	v_dual_mul_f32 v15, v170, v111 :: v_dual_mul_f32 v17, v172, v113
	v_dual_mul_f32 v39, v171, v111 :: v_dual_mul_f32 v41, v173, v113
	v_add_f32_e32 v7, v7, v11
	s_delay_alu instid0(VALU_DEP_3) | instskip(NEXT) | instid1(VALU_DEP_3)
	v_dual_add_f32 v9, v9, v35 :: v_dual_fmac_f32 v15, v171, v110
	v_fma_f32 v35, v170, v110, -v39
	v_dual_mul_f32 v19, v174, v115 :: v_dual_mul_f32 v21, v176, v117
	s_delay_alu instid0(VALU_DEP_4) | instskip(SKIP_2) | instid1(VALU_DEP_2)
	v_dual_add_f32 v7, v7, v13 :: v_dual_fmac_f32 v17, v173, v112
	s_wait_loadcnt_dscnt 0x601
	v_dual_add_f32 v9, v9, v33 :: v_dual_mul_f32 v13, v183, v123
	v_dual_fma_f32 v33, v172, v112, -v41 :: v_dual_add_f32 v7, v7, v15
	v_mul_f32_e32 v15, v185, v125
	s_delay_alu instid0(VALU_DEP_3) | instskip(NEXT) | instid1(VALU_DEP_3)
	v_dual_add_f32 v9, v9, v35 :: v_dual_fmac_f32 v19, v175, v114
	v_dual_fma_f32 v35, v174, v114, -v43 :: v_dual_add_f32 v7, v7, v17
	v_fmac_f32_e32 v21, v177, v116
	s_wait_loadcnt_dscnt 0x500
	s_delay_alu instid0(VALU_DEP_3) | instskip(SKIP_3) | instid1(VALU_DEP_3)
	v_dual_add_f32 v9, v9, v33 :: v_dual_mul_f32 v17, v187, v127
	v_dual_mul_f32 v23, v178, v119 :: v_dual_mul_f32 v25, v180, v121
	v_dual_mul_f32 v31, v179, v119 :: v_dual_mul_f32 v11, v181, v121
	v_dual_fma_f32 v33, v176, v116, -v45 :: v_dual_add_f32 v7, v7, v19
	v_dual_add_f32 v9, v9, v35 :: v_dual_fmac_f32 v23, v179, v118
	s_delay_alu instid0(VALU_DEP_3) | instskip(NEXT) | instid1(VALU_DEP_3)
	v_dual_mul_f32 v19, v189, v129 :: v_dual_fma_f32 v31, v178, v118, -v31
	v_dual_add_f32 v7, v7, v21 :: v_dual_fmac_f32 v25, v181, v120
	s_delay_alu instid0(VALU_DEP_3) | instskip(SKIP_2) | instid1(VALU_DEP_3)
	v_dual_add_f32 v9, v9, v33 :: v_dual_fma_f32 v11, v180, v120, -v11
	v_dual_mul_f32 v27, v182, v123 :: v_dual_mul_f32 v29, v184, v125
	s_wait_loadcnt 0x4
	v_dual_add_f32 v7, v7, v23 :: v_dual_mov_b32 v104, v133
	s_delay_alu instid0(VALU_DEP_2) | instskip(NEXT) | instid1(VALU_DEP_2)
	v_dual_add_f32 v9, v9, v31 :: v_dual_fmac_f32 v27, v183, v122
	v_dual_fma_f32 v13, v182, v122, -v13 :: v_dual_add_f32 v7, v7, v25
	v_dual_mul_f32 v201, v186, v127 :: v_dual_mul_f32 v203, v188, v129
	s_delay_alu instid0(VALU_DEP_3) | instskip(NEXT) | instid1(VALU_DEP_3)
	v_dual_add_f32 v9, v9, v11 :: v_dual_fma_f32 v11, v184, v124, -v15
	v_dual_fmac_f32 v29, v185, v124 :: v_dual_add_f32 v7, v7, v27
	v_pk_mul_f32 v[102:103], v[146:147], v[130:131] op_sel:[1,1] op_sel_hi:[0,1]
	s_delay_alu instid0(VALU_DEP_3) | instskip(SKIP_2) | instid1(VALU_DEP_2)
	v_dual_add_f32 v9, v9, v13 :: v_dual_fmac_f32 v201, v187, v126
	s_wait_loadcnt 0x3
	v_dual_mov_b32 v108, v137 :: v_dual_fma_f32 v200, v186, v126, -v17
	v_dual_add_f32 v111, v7, v29 :: v_dual_add_f32 v110, v9, v11
	v_fmac_f32_e32 v203, v189, v128
	v_pk_fma_f32 v[112:113], v[146:147], v[130:131], v[102:103] op_sel_hi:[1,0,1]
	v_fma_f32 v202, v188, v128, -v19
	v_pk_mul_f32 v[104:105], v[192:193], v[104:105] op_sel_hi:[1,0]
	v_pk_add_f32 v[110:111], v[110:111], v[200:201]
	v_pk_fma_f32 v[102:103], v[146:147], v[130:131], v[102:103] neg_lo:[0,0,1] neg_hi:[0,0,1]
	v_pk_mul_f32 v[106:107], v[150:151], v[134:135] op_sel:[1,1] op_sel_hi:[0,1]
	v_mov_b32_e32 v103, v113
	v_pk_fma_f32 v[112:113], v[148:149], v[132:133], v[104:105] op_sel_hi:[1,0,1]
	v_pk_add_f32 v[110:111], v[110:111], v[202:203]
	v_pk_fma_f32 v[104:105], v[148:149], v[132:133], v[104:105] neg_lo:[0,0,1] neg_hi:[0,0,1]
	v_pk_fma_f32 v[116:117], v[150:151], v[134:135], v[106:107] op_sel_hi:[1,0,1]
	v_pk_mul_f32 v[108:109], v[194:195], v[108:109] op_sel_hi:[1,0]
	v_mov_b32_e32 v105, v113
	v_pk_add_f32 v[102:103], v[110:111], v[102:103]
	s_wait_loadcnt 0x2
	v_pk_mul_f32 v[114:115], v[154:155], v[138:139] op_sel:[1,1] op_sel_hi:[0,1]
	v_mov_b32_e32 v110, v141
	v_pk_fma_f32 v[106:107], v[150:151], v[134:135], v[106:107] neg_lo:[0,0,1] neg_hi:[0,0,1]
	v_pk_fma_f32 v[112:113], v[152:153], v[136:137], v[108:109] op_sel_hi:[1,0,1]
	v_mov_b32_e32 v107, v117
	v_pk_add_f32 v[102:103], v[102:103], v[104:105]
	v_pk_fma_f32 v[104:105], v[154:155], v[138:139], v[114:115] op_sel_hi:[1,0,1]
	v_pk_mul_f32 v[110:111], v[196:197], v[110:111] op_sel_hi:[1,0]
	v_pk_fma_f32 v[108:109], v[152:153], v[136:137], v[108:109] neg_lo:[0,0,1] neg_hi:[0,0,1]
	v_mov_b32_e32 v109, v113
	v_pk_add_f32 v[102:103], v[102:103], v[106:107]
	v_pk_fma_f32 v[112:113], v[154:155], v[138:139], v[114:115] neg_lo:[0,0,1] neg_hi:[0,0,1]
	v_mov_b32_e32 v113, v105
	v_pk_fma_f32 v[104:105], v[156:157], v[140:141], v[110:111] op_sel_hi:[1,0,1]
	s_wait_loadcnt 0x1
	v_pk_mul_f32 v[106:107], v[158:159], v[142:143] op_sel:[1,1] op_sel_hi:[0,1]
	v_pk_add_f32 v[102:103], v[102:103], v[108:109]
	v_mov_b32_e32 v104, v145
	v_pk_fma_f32 v[110:111], v[156:157], v[140:141], v[110:111] neg_lo:[0,0,1] neg_hi:[0,0,1]
	s_delay_alu instid0(VALU_DEP_4)
	v_pk_fma_f32 v[108:109], v[158:159], v[142:143], v[106:107] op_sel_hi:[1,0,1]
	v_mov_b32_e32 v111, v105
	v_pk_add_f32 v[102:103], v[102:103], v[112:113]
	v_pk_mul_f32 v[104:105], v[198:199], v[104:105] op_sel_hi:[1,0]
	v_pk_fma_f32 v[106:107], v[158:159], v[142:143], v[106:107] neg_lo:[0,0,1] neg_hi:[0,0,1]
	v_mov_b32_e32 v107, v109
	s_delay_alu instid0(VALU_DEP_4) | instskip(NEXT) | instid1(VALU_DEP_4)
	v_pk_add_f32 v[102:103], v[102:103], v[110:111]
	v_pk_fma_f32 v[108:109], v[160:161], v[144:145], v[104:105] op_sel_hi:[1,0,1]
	v_pk_fma_f32 v[104:105], v[160:161], v[144:145], v[104:105] neg_lo:[0,0,1] neg_hi:[0,0,1]
	s_delay_alu instid0(VALU_DEP_3) | instskip(NEXT) | instid1(VALU_DEP_3)
	v_pk_add_f32 v[102:103], v[102:103], v[106:107]
	v_mov_b32_e32 v105, v109
	s_delay_alu instid0(VALU_DEP_1) | instskip(SKIP_1) | instid1(VALU_DEP_1)
	v_pk_add_f32 v[102:103], v[102:103], v[104:105]
	s_wait_loadcnt 0x0
	v_pk_add_f32 v[102:103], v[190:191], v[102:103] neg_lo:[0,1] neg_hi:[0,1]
	scratch_store_b64 off, v[102:103], off offset:216
	s_wait_xcnt 0x0
	v_cmpx_lt_u32_e32 26, v0
	s_cbranch_execz .LBB49_261
; %bb.260:
	scratch_load_b64 v[102:103], off, off offset:208
	v_mov_b64_e32 v[104:105], 0
	scratch_store_b64 off, v[104:105], off offset:208
	s_wait_loadcnt 0x0
	ds_store_b64 v1, v[102:103]
.LBB49_261:
	s_wait_xcnt 0x0
	s_or_b32 exec_lo, exec_lo, s0
	s_wait_storecnt_dscnt 0x0
	s_barrier_signal -1
	s_barrier_wait -1
	s_clause 0xc
	scratch_load_b128 v[102:105], off, off offset:216
	scratch_load_b128 v[106:109], off, off offset:232
	;; [unrolled: 1-line block ×11, first 2 shown]
	scratch_load_b64 v[190:191], off, off offset:392
	scratch_load_b64 v[192:193], off, off offset:208
	v_mov_b32_e32 v7, 0
	ds_load_2addr_b64 v[146:149], v7 offset0:91 offset1:92
	ds_load_2addr_b64 v[150:153], v7 offset0:93 offset1:94
	;; [unrolled: 1-line block ×11, first 2 shown]
	ds_load_b64 v[194:195], v7 offset:792
	s_mov_b32 s0, exec_lo
	s_wait_dscnt 0xb
	v_dual_mov_b32 v196, v149 :: v_dual_mov_b32 v197, v148
	s_wait_dscnt 0x8
	v_dual_mov_b32 v198, v153 :: v_dual_mov_b32 v203, v160
	v_dual_mov_b32 v199, v152 :: v_dual_mov_b32 v200, v157
	;; [unrolled: 1-line block ×3, first 2 shown]
	s_wait_loadcnt_dscnt 0xc07
	v_dual_mul_f32 v9, v162, v103 :: v_dual_mul_f32 v35, v163, v103
	v_dual_mul_f32 v37, v165, v105 :: v_dual_mul_f32 v11, v164, v105
	s_wait_loadcnt_dscnt 0xb06
	v_mul_f32_e32 v13, v166, v107
	s_wait_loadcnt_dscnt 0x904
	v_dual_mul_f32 v47, v175, v115 :: v_dual_fma_f32 v35, v162, v102, -v35
	v_dual_fmac_f32 v9, v163, v102 :: v_dual_mul_f32 v49, v177, v117
	v_dual_mul_f32 v39, v167, v107 :: v_dual_mul_f32 v41, v169, v109
	v_dual_fmac_f32 v11, v165, v104 :: v_dual_fma_f32 v37, v164, v104, -v37
	s_delay_alu instid0(VALU_DEP_3) | instskip(SKIP_3) | instid1(VALU_DEP_3)
	v_dual_add_f32 v9, 0, v9 :: v_dual_add_f32 v35, 0, v35
	v_dual_mul_f32 v15, v168, v109 :: v_dual_mul_f32 v17, v170, v111
	s_wait_loadcnt_dscnt 0x803
	v_dual_mul_f32 v51, v179, v119 :: v_dual_fma_f32 v39, v166, v106, -v39
	v_dual_fmac_f32 v13, v167, v106 :: v_dual_add_f32 v9, v9, v11
	s_delay_alu instid0(VALU_DEP_3) | instskip(SKIP_2) | instid1(VALU_DEP_3)
	v_dual_add_f32 v11, v35, v37 :: v_dual_fmac_f32 v15, v169, v108
	v_dual_mul_f32 v43, v171, v111 :: v_dual_mul_f32 v45, v173, v113
	v_dual_mul_f32 v35, v181, v121 :: v_dual_fma_f32 v37, v168, v108, -v41
	v_dual_add_f32 v9, v9, v13 :: v_dual_add_f32 v11, v11, v39
	v_dual_mul_f32 v19, v172, v113 :: v_dual_mul_f32 v21, v174, v115
	s_wait_loadcnt_dscnt 0x701
	v_dual_mul_f32 v13, v187, v123 :: v_dual_fma_f32 v39, v170, v110, -v43
	s_delay_alu instid0(VALU_DEP_3) | instskip(NEXT) | instid1(VALU_DEP_3)
	v_dual_fmac_f32 v17, v171, v110 :: v_dual_add_f32 v9, v9, v15
	v_dual_add_f32 v11, v11, v37 :: v_dual_fmac_f32 v19, v173, v112
	v_dual_mul_f32 v15, v189, v125 :: v_dual_fma_f32 v37, v172, v112, -v45
	s_delay_alu instid0(VALU_DEP_2) | instskip(SKIP_3) | instid1(VALU_DEP_3)
	v_dual_add_f32 v9, v9, v17 :: v_dual_add_f32 v11, v11, v39
	v_dual_mul_f32 v23, v176, v117 :: v_dual_mul_f32 v25, v178, v119
	s_wait_loadcnt 0x6
	v_dual_mul_f32 v17, v183, v127 :: v_dual_fma_f32 v39, v174, v114, -v47
	v_dual_fmac_f32 v21, v175, v114 :: v_dual_add_f32 v9, v9, v19
	s_delay_alu instid0(VALU_DEP_3) | instskip(SKIP_1) | instid1(VALU_DEP_2)
	v_dual_add_f32 v11, v11, v37 :: v_dual_fmac_f32 v23, v177, v116
	v_dual_mul_f32 v19, v185, v129 :: v_dual_fma_f32 v37, v176, v116, -v49
	v_dual_add_f32 v9, v9, v21 :: v_dual_add_f32 v11, v11, v39
	v_dual_mul_f32 v27, v180, v121 :: v_dual_mul_f32 v29, v186, v123
	s_wait_loadcnt 0x5
	v_dual_mul_f32 v21, v147, v131 :: v_dual_fma_f32 v39, v178, v118, -v51
	s_delay_alu instid0(VALU_DEP_3) | instskip(SKIP_2) | instid1(VALU_DEP_3)
	v_dual_fmac_f32 v25, v179, v118 :: v_dual_add_f32 v9, v9, v23
	v_dual_add_f32 v11, v11, v37 :: v_dual_mov_b32 v102, v133
	v_fmac_f32_e32 v27, v181, v120
	v_dual_fma_f32 v23, v180, v120, -v35 :: v_dual_add_f32 v9, v9, v25
	s_delay_alu instid0(VALU_DEP_3) | instskip(SKIP_1) | instid1(VALU_DEP_3)
	v_dual_add_f32 v11, v11, v39 :: v_dual_mul_f32 v31, v188, v125
	v_dual_mul_f32 v33, v182, v127 :: v_dual_fmac_f32 v29, v187, v122
	v_dual_add_f32 v9, v9, v27 :: v_dual_fma_f32 v13, v186, v122, -v13
	s_wait_loadcnt 0x4
	s_delay_alu instid0(VALU_DEP_3) | instskip(SKIP_3) | instid1(VALU_DEP_4)
	v_dual_add_f32 v11, v11, v23 :: v_dual_mov_b32 v106, v137
	v_fma_f32 v15, v188, v124, -v15
	v_fmac_f32_e32 v31, v189, v124
	v_dual_add_f32 v9, v9, v29 :: v_dual_fmac_f32 v33, v183, v126
	v_add_f32_e32 v11, v11, v13
	v_dual_mul_f32 v205, v184, v129 :: v_dual_mul_f32 v207, v146, v131
	s_delay_alu instid0(VALU_DEP_3) | instskip(NEXT) | instid1(VALU_DEP_2)
	v_dual_fma_f32 v13, v182, v126, -v17 :: v_dual_add_f32 v9, v9, v31
	v_dual_add_f32 v11, v11, v15 :: v_dual_fmac_f32 v205, v185, v128
	v_fma_f32 v204, v184, v128, -v19
	v_pk_mul_f32 v[102:103], v[196:197], v[102:103] op_sel_hi:[1,0]
	s_delay_alu instid0(VALU_DEP_4)
	v_add_f32_e32 v111, v9, v33
	s_wait_loadcnt 0x3
	v_dual_add_f32 v110, v11, v13 :: v_dual_mov_b32 v112, v141
	v_pk_mul_f32 v[104:105], v[150:151], v[134:135] op_sel:[1,1] op_sel_hi:[0,1]
	v_dual_fmac_f32 v207, v147, v130 :: v_dual_fma_f32 v206, v146, v130, -v21
	v_pk_fma_f32 v[114:115], v[148:149], v[132:133], v[102:103] op_sel_hi:[1,0,1]
	s_delay_alu instid0(VALU_DEP_4)
	v_pk_add_f32 v[110:111], v[110:111], v[204:205]
	v_pk_fma_f32 v[102:103], v[148:149], v[132:133], v[102:103] neg_lo:[0,0,1] neg_hi:[0,0,1]
	v_pk_fma_f32 v[116:117], v[150:151], v[134:135], v[104:105] op_sel_hi:[1,0,1]
	v_pk_mul_f32 v[106:107], v[198:199], v[106:107] op_sel_hi:[1,0]
	v_mov_b32_e32 v103, v115
	v_pk_add_f32 v[110:111], v[110:111], v[206:207]
	v_pk_fma_f32 v[104:105], v[150:151], v[134:135], v[104:105] neg_lo:[0,0,1] neg_hi:[0,0,1]
	v_pk_mul_f32 v[108:109], v[154:155], v[138:139] op_sel:[1,1] op_sel_hi:[0,1]
	v_mov_b32_e32 v105, v117
	v_pk_fma_f32 v[116:117], v[152:153], v[136:137], v[106:107] op_sel_hi:[1,0,1]
	v_pk_add_f32 v[102:103], v[110:111], v[102:103]
	v_pk_fma_f32 v[106:107], v[152:153], v[136:137], v[106:107] neg_lo:[0,0,1] neg_hi:[0,0,1]
	v_pk_fma_f32 v[110:111], v[154:155], v[138:139], v[108:109] op_sel_hi:[1,0,1]
	v_pk_mul_f32 v[112:113], v[200:201], v[112:113] op_sel_hi:[1,0]
	v_mov_b32_e32 v107, v117
	v_pk_add_f32 v[102:103], v[102:103], v[104:105]
	v_pk_fma_f32 v[108:109], v[154:155], v[138:139], v[108:109] neg_lo:[0,0,1] neg_hi:[0,0,1]
	s_wait_loadcnt 0x2
	v_pk_mul_f32 v[114:115], v[158:159], v[142:143] op_sel:[1,1] op_sel_hi:[0,1]
	v_dual_mov_b32 v104, v145 :: v_dual_mov_b32 v109, v111
	v_pk_fma_f32 v[110:111], v[156:157], v[140:141], v[112:113] op_sel_hi:[1,0,1]
	v_pk_add_f32 v[102:103], v[102:103], v[106:107]
	v_pk_fma_f32 v[112:113], v[156:157], v[140:141], v[112:113] neg_lo:[0,0,1] neg_hi:[0,0,1]
	v_pk_fma_f32 v[106:107], v[158:159], v[142:143], v[114:115] op_sel_hi:[1,0,1]
	v_pk_mul_f32 v[104:105], v[202:203], v[104:105] op_sel_hi:[1,0]
	v_mov_b32_e32 v113, v111
	v_pk_add_f32 v[102:103], v[102:103], v[108:109]
	v_pk_fma_f32 v[108:109], v[158:159], v[142:143], v[114:115] neg_lo:[0,0,1] neg_hi:[0,0,1]
	v_mov_b32_e32 v109, v107
	v_pk_fma_f32 v[106:107], v[160:161], v[144:145], v[104:105] op_sel_hi:[1,0,1]
	s_wait_loadcnt_dscnt 0x100
	v_pk_mul_f32 v[110:111], v[194:195], v[190:191] op_sel:[1,1] op_sel_hi:[0,1]
	v_pk_add_f32 v[102:103], v[102:103], v[112:113]
	v_pk_fma_f32 v[104:105], v[160:161], v[144:145], v[104:105] neg_lo:[0,0,1] neg_hi:[0,0,1]
	v_mov_b32_e32 v105, v107
	s_delay_alu instid0(VALU_DEP_4) | instskip(NEXT) | instid1(VALU_DEP_4)
	v_pk_fma_f32 v[106:107], v[194:195], v[190:191], v[110:111] op_sel_hi:[1,0,1]
	v_pk_add_f32 v[102:103], v[102:103], v[108:109]
	v_pk_fma_f32 v[108:109], v[194:195], v[190:191], v[110:111] neg_lo:[0,0,1] neg_hi:[0,0,1]
	s_delay_alu instid0(VALU_DEP_3) | instskip(NEXT) | instid1(VALU_DEP_3)
	v_mov_b32_e32 v109, v107
	v_pk_add_f32 v[102:103], v[102:103], v[104:105]
	s_delay_alu instid0(VALU_DEP_1) | instskip(SKIP_1) | instid1(VALU_DEP_1)
	v_pk_add_f32 v[102:103], v[102:103], v[108:109]
	s_wait_loadcnt 0x0
	v_pk_add_f32 v[102:103], v[192:193], v[102:103] neg_lo:[0,1] neg_hi:[0,1]
	scratch_store_b64 off, v[102:103], off offset:208
	s_wait_xcnt 0x0
	v_cmpx_lt_u32_e32 25, v0
	s_cbranch_execz .LBB49_263
; %bb.262:
	scratch_load_b64 v[102:103], off, off offset:200
	v_mov_b64_e32 v[104:105], 0
	scratch_store_b64 off, v[104:105], off offset:200
	s_wait_loadcnt 0x0
	ds_store_b64 v1, v[102:103]
.LBB49_263:
	s_wait_xcnt 0x0
	s_or_b32 exec_lo, exec_lo, s0
	s_wait_storecnt_dscnt 0x0
	s_barrier_signal -1
	s_barrier_wait -1
	s_clause 0xc
	scratch_load_b128 v[102:105], off, off offset:208
	scratch_load_b128 v[106:109], off, off offset:224
	scratch_load_b128 v[110:113], off, off offset:240
	scratch_load_b128 v[114:117], off, off offset:256
	scratch_load_b128 v[118:121], off, off offset:272
	scratch_load_b128 v[122:125], off, off offset:288
	scratch_load_b128 v[126:129], off, off offset:304
	scratch_load_b128 v[130:133], off, off offset:320
	scratch_load_b128 v[134:137], off, off offset:336
	scratch_load_b128 v[138:141], off, off offset:352
	scratch_load_b128 v[142:145], off, off offset:368
	scratch_load_b128 v[146:149], off, off offset:384
	scratch_load_b64 v[198:199], off, off offset:200
	ds_load_b128 v[150:153], v7 offset:736
	ds_load_b128 v[154:157], v7 offset:752
	ds_load_b128 v[158:161], v7 offset:768
	ds_load_b128 v[162:165], v7 offset:784
	ds_load_b128 v[166:169], v7 offset:608
	ds_load_b128 v[170:173], v7 offset:624
	ds_load_b128 v[174:177], v7 offset:640
	ds_load_b128 v[178:181], v7 offset:656
	ds_load_b128 v[182:185], v7 offset:672
	ds_load_b128 v[186:189], v7 offset:688
	ds_load_b128 v[190:193], v7 offset:704
	ds_load_b128 v[194:197], v7 offset:720
	s_mov_b32 s0, exec_lo
	s_wait_dscnt 0xb
	v_dual_mov_b32 v200, v153 :: v_dual_mov_b32 v201, v152
	s_wait_dscnt 0xa
	v_dual_mov_b32 v202, v157 :: v_dual_mov_b32 v203, v156
	;; [unrolled: 2-line block ×4, first 2 shown]
	s_wait_loadcnt_dscnt 0xc07
	v_dual_mul_f32 v7, v166, v103 :: v_dual_mul_f32 v9, v168, v105
	v_dual_mul_f32 v35, v167, v103 :: v_dual_mul_f32 v37, v169, v105
	s_wait_loadcnt_dscnt 0xb06
	v_dual_mul_f32 v11, v170, v107 :: v_dual_mul_f32 v13, v172, v109
	s_delay_alu instid0(VALU_DEP_3) | instskip(SKIP_3) | instid1(VALU_DEP_3)
	v_dual_fmac_f32 v7, v167, v102 :: v_dual_fmac_f32 v9, v169, v104
	s_wait_loadcnt_dscnt 0x904
	v_dual_fma_f32 v35, v166, v102, -v35 :: v_dual_mul_f32 v47, v179, v115
	v_dual_mul_f32 v39, v171, v107 :: v_dual_mul_f32 v41, v173, v109
	v_dual_fma_f32 v37, v168, v104, -v37 :: v_dual_add_f32 v7, 0, v7
	s_delay_alu instid0(VALU_DEP_3) | instskip(SKIP_1) | instid1(VALU_DEP_3)
	v_dual_add_f32 v35, 0, v35 :: v_dual_mul_f32 v49, v181, v117
	v_dual_fmac_f32 v11, v171, v106 :: v_dual_fmac_f32 v13, v173, v108
	v_dual_fma_f32 v39, v170, v106, -v39 :: v_dual_add_f32 v7, v7, v9
	s_delay_alu instid0(VALU_DEP_3) | instskip(SKIP_2) | instid1(VALU_DEP_4)
	v_dual_add_f32 v9, v35, v37 :: v_dual_fma_f32 v37, v172, v108, -v41
	v_dual_mul_f32 v15, v174, v111 :: v_dual_mul_f32 v17, v176, v113
	v_dual_mul_f32 v43, v175, v111 :: v_dual_mul_f32 v45, v177, v113
	v_add_f32_e32 v7, v7, v11
	s_delay_alu instid0(VALU_DEP_3) | instskip(NEXT) | instid1(VALU_DEP_3)
	v_dual_add_f32 v9, v9, v39 :: v_dual_fmac_f32 v15, v175, v110
	v_fma_f32 v39, v174, v110, -v43
	v_dual_mul_f32 v19, v178, v115 :: v_dual_mul_f32 v21, v180, v117
	s_delay_alu instid0(VALU_DEP_4) | instskip(SKIP_2) | instid1(VALU_DEP_2)
	v_dual_add_f32 v7, v7, v13 :: v_dual_fmac_f32 v17, v177, v112
	s_wait_loadcnt_dscnt 0x702
	v_dual_add_f32 v9, v9, v37 :: v_dual_mul_f32 v13, v187, v123
	v_dual_fma_f32 v37, v176, v112, -v45 :: v_dual_add_f32 v7, v7, v15
	v_mul_f32_e32 v15, v189, v125
	s_delay_alu instid0(VALU_DEP_3) | instskip(NEXT) | instid1(VALU_DEP_3)
	v_dual_add_f32 v9, v9, v39 :: v_dual_fmac_f32 v19, v179, v114
	v_dual_fma_f32 v39, v178, v114, -v47 :: v_dual_add_f32 v7, v7, v17
	v_fmac_f32_e32 v21, v181, v116
	s_wait_loadcnt_dscnt 0x601
	s_delay_alu instid0(VALU_DEP_3) | instskip(SKIP_3) | instid1(VALU_DEP_3)
	v_dual_add_f32 v9, v9, v37 :: v_dual_mul_f32 v17, v191, v127
	v_dual_mul_f32 v23, v182, v119 :: v_dual_mul_f32 v25, v184, v121
	v_dual_mul_f32 v35, v183, v119 :: v_dual_mul_f32 v11, v185, v121
	v_dual_fma_f32 v37, v180, v116, -v49 :: v_dual_add_f32 v7, v7, v19
	v_dual_add_f32 v9, v9, v39 :: v_dual_fmac_f32 v23, v183, v118
	s_delay_alu instid0(VALU_DEP_3) | instskip(NEXT) | instid1(VALU_DEP_3)
	v_dual_mul_f32 v19, v193, v129 :: v_dual_fma_f32 v35, v182, v118, -v35
	v_dual_add_f32 v7, v7, v21 :: v_dual_fmac_f32 v25, v185, v120
	s_wait_loadcnt_dscnt 0x500
	s_delay_alu instid0(VALU_DEP_3) | instskip(SKIP_1) | instid1(VALU_DEP_3)
	v_dual_add_f32 v9, v9, v37 :: v_dual_mul_f32 v21, v195, v131
	v_dual_mul_f32 v27, v186, v123 :: v_dual_mul_f32 v29, v188, v125
	v_dual_fma_f32 v11, v184, v120, -v11 :: v_dual_add_f32 v7, v7, v23
	s_delay_alu instid0(VALU_DEP_2) | instskip(SKIP_1) | instid1(VALU_DEP_2)
	v_dual_add_f32 v9, v9, v35 :: v_dual_fmac_f32 v27, v187, v122
	v_dual_mul_f32 v23, v197, v133 :: v_dual_fma_f32 v13, v186, v122, -v13
	v_dual_add_f32 v7, v7, v25 :: v_dual_add_f32 v9, v9, v11
	v_dual_mul_f32 v31, v190, v127 :: v_dual_mul_f32 v33, v192, v129
	v_dual_fmac_f32 v29, v189, v124 :: v_dual_fma_f32 v11, v188, v124, -v15
	s_delay_alu instid0(VALU_DEP_3) | instskip(SKIP_1) | instid1(VALU_DEP_3)
	v_dual_add_f32 v7, v7, v27 :: v_dual_add_f32 v9, v9, v13
	s_wait_loadcnt 0x4
	v_dual_mov_b32 v104, v137 :: v_dual_fmac_f32 v31, v191, v126
	s_delay_alu instid0(VALU_DEP_2) | instskip(NEXT) | instid1(VALU_DEP_3)
	v_dual_fma_f32 v13, v190, v126, -v17 :: v_dual_add_f32 v7, v7, v29
	v_dual_add_f32 v9, v9, v11 :: v_dual_fma_f32 v11, v192, v128, -v19
	v_dual_mul_f32 v209, v194, v131 :: v_dual_mul_f32 v211, v196, v133
	s_delay_alu instid0(VALU_DEP_3) | instskip(NEXT) | instid1(VALU_DEP_2)
	v_dual_fmac_f32 v33, v193, v128 :: v_dual_add_f32 v7, v7, v31
	v_dual_add_f32 v9, v9, v13 :: v_dual_fmac_f32 v209, v195, v130
	v_pk_mul_f32 v[102:103], v[150:151], v[134:135] op_sel:[1,1] op_sel_hi:[0,1]
	s_wait_loadcnt 0x3
	v_dual_mov_b32 v108, v141 :: v_dual_fma_f32 v208, v194, v130, -v21
	s_delay_alu instid0(VALU_DEP_3)
	v_dual_add_f32 v111, v7, v33 :: v_dual_add_f32 v110, v9, v11
	v_fmac_f32_e32 v211, v197, v132
	v_pk_fma_f32 v[112:113], v[150:151], v[134:135], v[102:103] op_sel_hi:[1,0,1]
	v_fma_f32 v210, v196, v132, -v23
	v_pk_mul_f32 v[104:105], v[200:201], v[104:105] op_sel_hi:[1,0]
	v_pk_add_f32 v[110:111], v[110:111], v[208:209]
	v_pk_fma_f32 v[102:103], v[150:151], v[134:135], v[102:103] neg_lo:[0,0,1] neg_hi:[0,0,1]
	v_pk_mul_f32 v[106:107], v[154:155], v[138:139] op_sel:[1,1] op_sel_hi:[0,1]
	v_mov_b32_e32 v103, v113
	v_pk_fma_f32 v[112:113], v[152:153], v[136:137], v[104:105] op_sel_hi:[1,0,1]
	v_pk_add_f32 v[110:111], v[110:111], v[210:211]
	v_pk_fma_f32 v[104:105], v[152:153], v[136:137], v[104:105] neg_lo:[0,0,1] neg_hi:[0,0,1]
	v_pk_fma_f32 v[116:117], v[154:155], v[138:139], v[106:107] op_sel_hi:[1,0,1]
	v_pk_mul_f32 v[108:109], v[202:203], v[108:109] op_sel_hi:[1,0]
	v_mov_b32_e32 v105, v113
	v_pk_add_f32 v[102:103], v[110:111], v[102:103]
	s_wait_loadcnt 0x2
	v_pk_mul_f32 v[114:115], v[158:159], v[142:143] op_sel:[1,1] op_sel_hi:[0,1]
	v_mov_b32_e32 v110, v145
	v_pk_fma_f32 v[106:107], v[154:155], v[138:139], v[106:107] neg_lo:[0,0,1] neg_hi:[0,0,1]
	v_pk_fma_f32 v[112:113], v[156:157], v[140:141], v[108:109] op_sel_hi:[1,0,1]
	v_mov_b32_e32 v107, v117
	v_pk_add_f32 v[102:103], v[102:103], v[104:105]
	v_pk_fma_f32 v[104:105], v[158:159], v[142:143], v[114:115] op_sel_hi:[1,0,1]
	v_pk_mul_f32 v[110:111], v[204:205], v[110:111] op_sel_hi:[1,0]
	v_pk_fma_f32 v[108:109], v[156:157], v[140:141], v[108:109] neg_lo:[0,0,1] neg_hi:[0,0,1]
	v_mov_b32_e32 v109, v113
	v_pk_add_f32 v[102:103], v[102:103], v[106:107]
	v_pk_fma_f32 v[112:113], v[158:159], v[142:143], v[114:115] neg_lo:[0,0,1] neg_hi:[0,0,1]
	v_mov_b32_e32 v113, v105
	v_pk_fma_f32 v[104:105], v[160:161], v[144:145], v[110:111] op_sel_hi:[1,0,1]
	s_wait_loadcnt 0x1
	v_pk_mul_f32 v[106:107], v[162:163], v[146:147] op_sel:[1,1] op_sel_hi:[0,1]
	v_pk_add_f32 v[102:103], v[102:103], v[108:109]
	v_mov_b32_e32 v104, v149
	v_pk_fma_f32 v[110:111], v[160:161], v[144:145], v[110:111] neg_lo:[0,0,1] neg_hi:[0,0,1]
	s_delay_alu instid0(VALU_DEP_4)
	v_pk_fma_f32 v[108:109], v[162:163], v[146:147], v[106:107] op_sel_hi:[1,0,1]
	v_mov_b32_e32 v111, v105
	v_pk_add_f32 v[102:103], v[102:103], v[112:113]
	v_pk_mul_f32 v[104:105], v[206:207], v[104:105] op_sel_hi:[1,0]
	v_pk_fma_f32 v[106:107], v[162:163], v[146:147], v[106:107] neg_lo:[0,0,1] neg_hi:[0,0,1]
	v_mov_b32_e32 v107, v109
	s_delay_alu instid0(VALU_DEP_4) | instskip(NEXT) | instid1(VALU_DEP_4)
	v_pk_add_f32 v[102:103], v[102:103], v[110:111]
	v_pk_fma_f32 v[108:109], v[164:165], v[148:149], v[104:105] op_sel_hi:[1,0,1]
	v_pk_fma_f32 v[104:105], v[164:165], v[148:149], v[104:105] neg_lo:[0,0,1] neg_hi:[0,0,1]
	s_delay_alu instid0(VALU_DEP_3) | instskip(NEXT) | instid1(VALU_DEP_3)
	v_pk_add_f32 v[102:103], v[102:103], v[106:107]
	v_mov_b32_e32 v105, v109
	s_delay_alu instid0(VALU_DEP_1) | instskip(SKIP_1) | instid1(VALU_DEP_1)
	v_pk_add_f32 v[102:103], v[102:103], v[104:105]
	s_wait_loadcnt 0x0
	v_pk_add_f32 v[102:103], v[198:199], v[102:103] neg_lo:[0,1] neg_hi:[0,1]
	scratch_store_b64 off, v[102:103], off offset:200
	s_wait_xcnt 0x0
	v_cmpx_lt_u32_e32 24, v0
	s_cbranch_execz .LBB49_265
; %bb.264:
	scratch_load_b64 v[102:103], off, off offset:192
	v_mov_b64_e32 v[104:105], 0
	scratch_store_b64 off, v[104:105], off offset:192
	s_wait_loadcnt 0x0
	ds_store_b64 v1, v[102:103]
.LBB49_265:
	s_wait_xcnt 0x0
	s_or_b32 exec_lo, exec_lo, s0
	s_wait_storecnt_dscnt 0x0
	s_barrier_signal -1
	s_barrier_wait -1
	s_clause 0xd
	scratch_load_b128 v[102:105], off, off offset:200
	scratch_load_b128 v[106:109], off, off offset:216
	;; [unrolled: 1-line block ×12, first 2 shown]
	scratch_load_b64 v[198:199], off, off offset:392
	scratch_load_b64 v[200:201], off, off offset:192
	v_mov_b32_e32 v7, 0
	ds_load_2addr_b64 v[150:153], v7 offset0:91 offset1:92
	ds_load_2addr_b64 v[154:157], v7 offset0:93 offset1:94
	;; [unrolled: 1-line block ×12, first 2 shown]
	ds_load_b64 v[202:203], v7 offset:792
	s_mov_b32 s0, exec_lo
	s_wait_dscnt 0xc
	v_dual_mov_b32 v204, v153 :: v_dual_mov_b32 v205, v152
	s_wait_dscnt 0x9
	v_dual_mov_b32 v206, v157 :: v_dual_mov_b32 v211, v164
	v_dual_mov_b32 v207, v156 :: v_dual_mov_b32 v208, v161
	;; [unrolled: 1-line block ×3, first 2 shown]
	s_wait_loadcnt_dscnt 0xd08
	v_dual_mul_f32 v9, v166, v103 :: v_dual_mul_f32 v39, v167, v103
	v_dual_mul_f32 v41, v169, v105 :: v_dual_mul_f32 v11, v168, v105
	s_wait_loadcnt_dscnt 0xc07
	v_mul_f32_e32 v13, v170, v107
	s_wait_loadcnt_dscnt 0xa05
	v_dual_mul_f32 v51, v179, v115 :: v_dual_fma_f32 v39, v166, v102, -v39
	v_dual_fmac_f32 v9, v167, v102 :: v_dual_mul_f32 v53, v181, v117
	v_dual_mul_f32 v43, v171, v107 :: v_dual_mul_f32 v45, v173, v109
	v_dual_fmac_f32 v11, v169, v104 :: v_dual_fma_f32 v41, v168, v104, -v41
	s_delay_alu instid0(VALU_DEP_3) | instskip(SKIP_3) | instid1(VALU_DEP_3)
	v_dual_add_f32 v9, 0, v9 :: v_dual_add_f32 v39, 0, v39
	v_dual_mul_f32 v15, v172, v109 :: v_dual_mul_f32 v17, v174, v111
	s_wait_loadcnt_dscnt 0x904
	v_dual_mul_f32 v55, v183, v119 :: v_dual_fma_f32 v43, v170, v106, -v43
	v_dual_fmac_f32 v13, v171, v106 :: v_dual_add_f32 v9, v9, v11
	s_delay_alu instid0(VALU_DEP_3) | instskip(SKIP_2) | instid1(VALU_DEP_3)
	v_dual_add_f32 v11, v39, v41 :: v_dual_fmac_f32 v15, v173, v108
	v_dual_mul_f32 v47, v175, v111 :: v_dual_mul_f32 v49, v177, v113
	v_dual_mul_f32 v39, v185, v121 :: v_dual_fma_f32 v41, v172, v108, -v45
	v_dual_add_f32 v9, v9, v13 :: v_dual_add_f32 v11, v11, v43
	v_dual_mul_f32 v19, v176, v113 :: v_dual_mul_f32 v21, v178, v115
	s_wait_loadcnt_dscnt 0x803
	v_dual_mul_f32 v13, v187, v123 :: v_dual_fma_f32 v43, v174, v110, -v47
	s_delay_alu instid0(VALU_DEP_3) | instskip(NEXT) | instid1(VALU_DEP_3)
	v_dual_fmac_f32 v17, v175, v110 :: v_dual_add_f32 v9, v9, v15
	v_dual_add_f32 v11, v11, v41 :: v_dual_fmac_f32 v19, v177, v112
	v_dual_mul_f32 v15, v189, v125 :: v_dual_fma_f32 v41, v176, v112, -v49
	s_delay_alu instid0(VALU_DEP_2) | instskip(SKIP_3) | instid1(VALU_DEP_3)
	v_dual_add_f32 v9, v9, v17 :: v_dual_add_f32 v11, v11, v43
	v_dual_mul_f32 v23, v180, v117 :: v_dual_mul_f32 v25, v182, v119
	s_wait_loadcnt_dscnt 0x702
	v_dual_mul_f32 v17, v191, v127 :: v_dual_fma_f32 v43, v178, v114, -v51
	v_dual_fmac_f32 v21, v179, v114 :: v_dual_add_f32 v9, v9, v19
	s_delay_alu instid0(VALU_DEP_3) | instskip(SKIP_1) | instid1(VALU_DEP_2)
	v_dual_add_f32 v11, v11, v41 :: v_dual_fmac_f32 v23, v181, v116
	v_dual_mul_f32 v19, v193, v129 :: v_dual_fma_f32 v41, v180, v116, -v53
	v_dual_add_f32 v9, v9, v21 :: v_dual_add_f32 v11, v11, v43
	v_dual_mul_f32 v27, v184, v121 :: v_dual_mul_f32 v29, v186, v123
	s_wait_loadcnt_dscnt 0x601
	v_dual_mul_f32 v21, v195, v131 :: v_dual_fma_f32 v43, v182, v118, -v55
	s_delay_alu instid0(VALU_DEP_3) | instskip(NEXT) | instid1(VALU_DEP_3)
	v_dual_fmac_f32 v25, v183, v118 :: v_dual_add_f32 v9, v9, v23
	v_dual_add_f32 v11, v11, v41 :: v_dual_fmac_f32 v27, v185, v120
	v_dual_mul_f32 v23, v197, v133 :: v_dual_fma_f32 v39, v184, v120, -v39
	s_delay_alu instid0(VALU_DEP_2) | instskip(SKIP_3) | instid1(VALU_DEP_3)
	v_dual_add_f32 v9, v9, v25 :: v_dual_add_f32 v11, v11, v43
	v_dual_mul_f32 v31, v188, v125 :: v_dual_mul_f32 v33, v190, v127
	s_wait_loadcnt 0x5
	v_dual_mul_f32 v25, v151, v135 :: v_dual_fma_f32 v13, v186, v122, -v13
	v_dual_fmac_f32 v29, v187, v122 :: v_dual_add_f32 v9, v9, v27
	v_dual_add_f32 v11, v11, v39 :: v_dual_mov_b32 v102, v137
	v_fmac_f32_e32 v31, v189, v124
	s_delay_alu instid0(VALU_DEP_3) | instskip(NEXT) | instid1(VALU_DEP_3)
	v_dual_fma_f32 v15, v188, v124, -v15 :: v_dual_add_f32 v9, v9, v29
	v_add_f32_e32 v11, v11, v13
	v_dual_mul_f32 v35, v192, v129 :: v_dual_mul_f32 v37, v194, v131
	s_delay_alu instid0(VALU_DEP_3) | instskip(NEXT) | instid1(VALU_DEP_3)
	v_dual_fmac_f32 v33, v191, v126 :: v_dual_add_f32 v9, v9, v31
	v_dual_fma_f32 v13, v190, v126, -v17 :: v_dual_add_f32 v11, v11, v15
	s_wait_loadcnt 0x4
	v_dual_mov_b32 v106, v141 :: v_dual_fma_f32 v15, v192, v128, -v19
	v_fmac_f32_e32 v35, v193, v128
	v_dual_add_f32 v9, v9, v33 :: v_dual_fmac_f32 v37, v195, v130
	v_add_f32_e32 v11, v11, v13
	v_dual_mul_f32 v213, v196, v133 :: v_dual_mul_f32 v215, v150, v135
	s_delay_alu instid0(VALU_DEP_3) | instskip(NEXT) | instid1(VALU_DEP_2)
	v_dual_fma_f32 v13, v194, v130, -v21 :: v_dual_add_f32 v9, v9, v35
	v_dual_add_f32 v11, v11, v15 :: v_dual_fmac_f32 v213, v197, v132
	v_fma_f32 v212, v196, v132, -v23
	v_pk_mul_f32 v[102:103], v[204:205], v[102:103] op_sel_hi:[1,0]
	s_delay_alu instid0(VALU_DEP_4)
	v_add_f32_e32 v111, v9, v37
	s_wait_loadcnt 0x3
	v_dual_add_f32 v110, v11, v13 :: v_dual_mov_b32 v112, v145
	v_pk_mul_f32 v[104:105], v[154:155], v[138:139] op_sel:[1,1] op_sel_hi:[0,1]
	v_dual_fmac_f32 v215, v151, v134 :: v_dual_fma_f32 v214, v150, v134, -v25
	v_pk_fma_f32 v[114:115], v[152:153], v[136:137], v[102:103] op_sel_hi:[1,0,1]
	s_delay_alu instid0(VALU_DEP_4)
	v_pk_add_f32 v[110:111], v[110:111], v[212:213]
	v_pk_fma_f32 v[102:103], v[152:153], v[136:137], v[102:103] neg_lo:[0,0,1] neg_hi:[0,0,1]
	v_pk_fma_f32 v[116:117], v[154:155], v[138:139], v[104:105] op_sel_hi:[1,0,1]
	v_pk_mul_f32 v[106:107], v[206:207], v[106:107] op_sel_hi:[1,0]
	v_mov_b32_e32 v103, v115
	v_pk_add_f32 v[110:111], v[110:111], v[214:215]
	v_pk_fma_f32 v[104:105], v[154:155], v[138:139], v[104:105] neg_lo:[0,0,1] neg_hi:[0,0,1]
	v_pk_mul_f32 v[108:109], v[158:159], v[142:143] op_sel:[1,1] op_sel_hi:[0,1]
	v_mov_b32_e32 v105, v117
	v_pk_fma_f32 v[116:117], v[156:157], v[140:141], v[106:107] op_sel_hi:[1,0,1]
	v_pk_add_f32 v[102:103], v[110:111], v[102:103]
	v_pk_fma_f32 v[106:107], v[156:157], v[140:141], v[106:107] neg_lo:[0,0,1] neg_hi:[0,0,1]
	v_pk_fma_f32 v[110:111], v[158:159], v[142:143], v[108:109] op_sel_hi:[1,0,1]
	v_pk_mul_f32 v[112:113], v[208:209], v[112:113] op_sel_hi:[1,0]
	v_mov_b32_e32 v107, v117
	v_pk_add_f32 v[102:103], v[102:103], v[104:105]
	v_pk_fma_f32 v[108:109], v[158:159], v[142:143], v[108:109] neg_lo:[0,0,1] neg_hi:[0,0,1]
	s_wait_loadcnt 0x2
	v_pk_mul_f32 v[114:115], v[162:163], v[146:147] op_sel:[1,1] op_sel_hi:[0,1]
	v_dual_mov_b32 v104, v149 :: v_dual_mov_b32 v109, v111
	v_pk_fma_f32 v[110:111], v[160:161], v[144:145], v[112:113] op_sel_hi:[1,0,1]
	v_pk_add_f32 v[102:103], v[102:103], v[106:107]
	v_pk_fma_f32 v[112:113], v[160:161], v[144:145], v[112:113] neg_lo:[0,0,1] neg_hi:[0,0,1]
	v_pk_fma_f32 v[106:107], v[162:163], v[146:147], v[114:115] op_sel_hi:[1,0,1]
	v_pk_mul_f32 v[104:105], v[210:211], v[104:105] op_sel_hi:[1,0]
	v_mov_b32_e32 v113, v111
	v_pk_add_f32 v[102:103], v[102:103], v[108:109]
	v_pk_fma_f32 v[108:109], v[162:163], v[146:147], v[114:115] neg_lo:[0,0,1] neg_hi:[0,0,1]
	v_mov_b32_e32 v109, v107
	v_pk_fma_f32 v[106:107], v[164:165], v[148:149], v[104:105] op_sel_hi:[1,0,1]
	s_wait_loadcnt_dscnt 0x100
	v_pk_mul_f32 v[110:111], v[202:203], v[198:199] op_sel:[1,1] op_sel_hi:[0,1]
	v_pk_add_f32 v[102:103], v[102:103], v[112:113]
	v_pk_fma_f32 v[104:105], v[164:165], v[148:149], v[104:105] neg_lo:[0,0,1] neg_hi:[0,0,1]
	v_mov_b32_e32 v105, v107
	s_delay_alu instid0(VALU_DEP_4) | instskip(NEXT) | instid1(VALU_DEP_4)
	v_pk_fma_f32 v[106:107], v[202:203], v[198:199], v[110:111] op_sel_hi:[1,0,1]
	v_pk_add_f32 v[102:103], v[102:103], v[108:109]
	v_pk_fma_f32 v[108:109], v[202:203], v[198:199], v[110:111] neg_lo:[0,0,1] neg_hi:[0,0,1]
	s_delay_alu instid0(VALU_DEP_3) | instskip(NEXT) | instid1(VALU_DEP_3)
	v_mov_b32_e32 v109, v107
	v_pk_add_f32 v[102:103], v[102:103], v[104:105]
	s_delay_alu instid0(VALU_DEP_1) | instskip(SKIP_1) | instid1(VALU_DEP_1)
	v_pk_add_f32 v[102:103], v[102:103], v[108:109]
	s_wait_loadcnt 0x0
	v_pk_add_f32 v[102:103], v[200:201], v[102:103] neg_lo:[0,1] neg_hi:[0,1]
	scratch_store_b64 off, v[102:103], off offset:192
	s_wait_xcnt 0x0
	v_cmpx_lt_u32_e32 23, v0
	s_cbranch_execz .LBB49_267
; %bb.266:
	scratch_load_b64 v[102:103], off, off offset:184
	v_mov_b64_e32 v[104:105], 0
	scratch_store_b64 off, v[104:105], off offset:184
	s_wait_loadcnt 0x0
	ds_store_b64 v1, v[102:103]
.LBB49_267:
	s_wait_xcnt 0x0
	s_or_b32 exec_lo, exec_lo, s0
	s_wait_storecnt_dscnt 0x0
	s_barrier_signal -1
	s_barrier_wait -1
	s_clause 0xd
	scratch_load_b128 v[102:105], off, off offset:192
	scratch_load_b128 v[106:109], off, off offset:208
	;; [unrolled: 1-line block ×13, first 2 shown]
	scratch_load_b64 v[206:207], off, off offset:184
	ds_load_b128 v[154:157], v7 offset:736
	ds_load_b128 v[158:161], v7 offset:752
	;; [unrolled: 1-line block ×13, first 2 shown]
	s_mov_b32 s0, exec_lo
	s_wait_dscnt 0xc
	v_dual_mov_b32 v208, v157 :: v_dual_mov_b32 v209, v156
	s_wait_dscnt 0xb
	v_dual_mov_b32 v210, v161 :: v_dual_mov_b32 v211, v160
	;; [unrolled: 2-line block ×4, first 2 shown]
	s_wait_loadcnt_dscnt 0xd08
	v_dual_mul_f32 v7, v170, v103 :: v_dual_mul_f32 v9, v172, v105
	v_dual_mul_f32 v39, v171, v103 :: v_dual_mul_f32 v41, v173, v105
	s_wait_loadcnt_dscnt 0xc07
	v_dual_mul_f32 v11, v174, v107 :: v_dual_mul_f32 v13, v176, v109
	s_delay_alu instid0(VALU_DEP_3) | instskip(SKIP_3) | instid1(VALU_DEP_3)
	v_dual_fmac_f32 v7, v171, v102 :: v_dual_fmac_f32 v9, v173, v104
	s_wait_loadcnt_dscnt 0xa05
	v_dual_fma_f32 v39, v170, v102, -v39 :: v_dual_mul_f32 v51, v183, v115
	v_dual_mul_f32 v43, v175, v107 :: v_dual_mul_f32 v45, v177, v109
	v_dual_fma_f32 v41, v172, v104, -v41 :: v_dual_add_f32 v7, 0, v7
	s_delay_alu instid0(VALU_DEP_3) | instskip(SKIP_1) | instid1(VALU_DEP_3)
	v_dual_add_f32 v39, 0, v39 :: v_dual_mul_f32 v53, v185, v117
	v_dual_fmac_f32 v11, v175, v106 :: v_dual_fmac_f32 v13, v177, v108
	v_dual_fma_f32 v43, v174, v106, -v43 :: v_dual_add_f32 v7, v7, v9
	s_delay_alu instid0(VALU_DEP_3) | instskip(SKIP_2) | instid1(VALU_DEP_4)
	v_dual_add_f32 v9, v39, v41 :: v_dual_fma_f32 v41, v176, v108, -v45
	v_dual_mul_f32 v15, v178, v111 :: v_dual_mul_f32 v17, v180, v113
	v_dual_mul_f32 v47, v179, v111 :: v_dual_mul_f32 v49, v181, v113
	v_add_f32_e32 v7, v7, v11
	s_delay_alu instid0(VALU_DEP_3) | instskip(NEXT) | instid1(VALU_DEP_3)
	v_dual_add_f32 v9, v9, v43 :: v_dual_fmac_f32 v15, v179, v110
	v_fma_f32 v43, v178, v110, -v47
	v_dual_mul_f32 v19, v182, v115 :: v_dual_mul_f32 v21, v184, v117
	s_delay_alu instid0(VALU_DEP_4) | instskip(SKIP_2) | instid1(VALU_DEP_2)
	v_dual_add_f32 v7, v7, v13 :: v_dual_fmac_f32 v17, v181, v112
	s_wait_loadcnt_dscnt 0x802
	v_dual_add_f32 v9, v9, v41 :: v_dual_mul_f32 v13, v195, v123
	v_dual_fma_f32 v41, v180, v112, -v49 :: v_dual_add_f32 v7, v7, v15
	v_mul_f32_e32 v15, v197, v125
	s_delay_alu instid0(VALU_DEP_3) | instskip(NEXT) | instid1(VALU_DEP_3)
	v_dual_add_f32 v9, v9, v43 :: v_dual_fmac_f32 v19, v183, v114
	v_dual_fma_f32 v43, v182, v114, -v51 :: v_dual_add_f32 v7, v7, v17
	v_fmac_f32_e32 v21, v185, v116
	s_wait_loadcnt_dscnt 0x701
	s_delay_alu instid0(VALU_DEP_3) | instskip(SKIP_3) | instid1(VALU_DEP_3)
	v_dual_add_f32 v9, v9, v41 :: v_dual_mul_f32 v17, v199, v127
	v_dual_mul_f32 v23, v190, v119 :: v_dual_mul_f32 v25, v192, v121
	v_dual_mul_f32 v39, v191, v119 :: v_dual_mul_f32 v11, v193, v121
	v_dual_fma_f32 v41, v184, v116, -v53 :: v_dual_add_f32 v7, v7, v19
	v_dual_add_f32 v9, v9, v43 :: v_dual_fmac_f32 v23, v191, v118
	s_delay_alu instid0(VALU_DEP_3) | instskip(NEXT) | instid1(VALU_DEP_3)
	v_dual_mul_f32 v19, v201, v129 :: v_dual_fma_f32 v39, v190, v118, -v39
	v_dual_add_f32 v7, v7, v21 :: v_dual_fmac_f32 v25, v193, v120
	s_wait_loadcnt_dscnt 0x600
	s_delay_alu instid0(VALU_DEP_3) | instskip(SKIP_1) | instid1(VALU_DEP_3)
	v_dual_add_f32 v9, v9, v41 :: v_dual_mul_f32 v21, v203, v131
	v_dual_mul_f32 v27, v194, v123 :: v_dual_mul_f32 v29, v196, v125
	v_dual_fma_f32 v11, v192, v120, -v11 :: v_dual_add_f32 v7, v7, v23
	s_delay_alu instid0(VALU_DEP_2) | instskip(SKIP_1) | instid1(VALU_DEP_2)
	v_dual_add_f32 v9, v9, v39 :: v_dual_fmac_f32 v27, v195, v122
	v_dual_mul_f32 v23, v205, v133 :: v_dual_fma_f32 v13, v194, v122, -v13
	v_dual_add_f32 v7, v7, v25 :: v_dual_add_f32 v9, v9, v11
	v_dual_mul_f32 v31, v198, v127 :: v_dual_mul_f32 v33, v200, v129
	s_wait_loadcnt 0x5
	v_dual_mul_f32 v11, v187, v135 :: v_dual_fmac_f32 v29, v197, v124
	s_delay_alu instid0(VALU_DEP_3) | instskip(NEXT) | instid1(VALU_DEP_3)
	v_dual_fma_f32 v15, v196, v124, -v15 :: v_dual_add_f32 v7, v7, v27
	v_dual_add_f32 v9, v9, v13 :: v_dual_fmac_f32 v31, v199, v126
	v_dual_mul_f32 v13, v189, v137 :: v_dual_fma_f32 v17, v198, v126, -v17
	s_delay_alu instid0(VALU_DEP_2) | instskip(SKIP_2) | instid1(VALU_DEP_3)
	v_dual_add_f32 v7, v7, v29 :: v_dual_add_f32 v9, v9, v15
	v_dual_mul_f32 v35, v202, v131 :: v_dual_mul_f32 v37, v204, v133
	v_dual_fmac_f32 v33, v201, v128 :: v_dual_fma_f32 v15, v200, v128, -v19
	v_dual_add_f32 v7, v7, v31 :: v_dual_add_f32 v9, v9, v17
	s_wait_loadcnt 0x4
	s_delay_alu instid0(VALU_DEP_3) | instskip(NEXT) | instid1(VALU_DEP_2)
	v_dual_mov_b32 v104, v141 :: v_dual_fmac_f32 v35, v203, v130
	v_dual_fma_f32 v17, v202, v130, -v21 :: v_dual_add_f32 v7, v7, v33
	s_delay_alu instid0(VALU_DEP_3) | instskip(SKIP_1) | instid1(VALU_DEP_3)
	v_dual_add_f32 v9, v9, v15 :: v_dual_fma_f32 v15, v204, v132, -v23
	v_dual_mul_f32 v217, v186, v135 :: v_dual_mul_f32 v219, v188, v137
	v_dual_fmac_f32 v37, v205, v132 :: v_dual_add_f32 v7, v7, v35
	s_delay_alu instid0(VALU_DEP_2) | instskip(SKIP_3) | instid1(VALU_DEP_3)
	v_dual_add_f32 v9, v9, v17 :: v_dual_fmac_f32 v217, v187, v134
	v_pk_mul_f32 v[102:103], v[154:155], v[138:139] op_sel:[1,1] op_sel_hi:[0,1]
	s_wait_loadcnt 0x3
	v_dual_mov_b32 v108, v145 :: v_dual_fma_f32 v216, v186, v134, -v11
	v_dual_add_f32 v111, v7, v37 :: v_dual_add_f32 v110, v9, v15
	v_dual_fmac_f32 v219, v189, v136 :: v_dual_fma_f32 v218, v188, v136, -v13
	v_pk_fma_f32 v[112:113], v[154:155], v[138:139], v[102:103] op_sel_hi:[1,0,1]
	v_pk_mul_f32 v[104:105], v[208:209], v[104:105] op_sel_hi:[1,0]
	s_delay_alu instid0(VALU_DEP_4)
	v_pk_add_f32 v[110:111], v[110:111], v[216:217]
	v_pk_fma_f32 v[102:103], v[154:155], v[138:139], v[102:103] neg_lo:[0,0,1] neg_hi:[0,0,1]
	v_pk_mul_f32 v[106:107], v[158:159], v[142:143] op_sel:[1,1] op_sel_hi:[0,1]
	v_mov_b32_e32 v103, v113
	v_pk_fma_f32 v[112:113], v[156:157], v[140:141], v[104:105] op_sel_hi:[1,0,1]
	v_pk_add_f32 v[110:111], v[110:111], v[218:219]
	v_pk_fma_f32 v[104:105], v[156:157], v[140:141], v[104:105] neg_lo:[0,0,1] neg_hi:[0,0,1]
	v_pk_fma_f32 v[116:117], v[158:159], v[142:143], v[106:107] op_sel_hi:[1,0,1]
	v_pk_mul_f32 v[108:109], v[210:211], v[108:109] op_sel_hi:[1,0]
	v_mov_b32_e32 v105, v113
	v_pk_add_f32 v[102:103], v[110:111], v[102:103]
	s_wait_loadcnt 0x2
	v_pk_mul_f32 v[114:115], v[162:163], v[146:147] op_sel:[1,1] op_sel_hi:[0,1]
	v_mov_b32_e32 v110, v149
	v_pk_fma_f32 v[106:107], v[158:159], v[142:143], v[106:107] neg_lo:[0,0,1] neg_hi:[0,0,1]
	v_mov_b32_e32 v107, v117
	v_pk_fma_f32 v[112:113], v[160:161], v[144:145], v[108:109] op_sel_hi:[1,0,1]
	v_pk_add_f32 v[102:103], v[102:103], v[104:105]
	v_pk_fma_f32 v[104:105], v[162:163], v[146:147], v[114:115] op_sel_hi:[1,0,1]
	v_pk_mul_f32 v[110:111], v[212:213], v[110:111] op_sel_hi:[1,0]
	v_pk_fma_f32 v[108:109], v[160:161], v[144:145], v[108:109] neg_lo:[0,0,1] neg_hi:[0,0,1]
	v_mov_b32_e32 v109, v113
	v_pk_add_f32 v[102:103], v[102:103], v[106:107]
	v_pk_fma_f32 v[112:113], v[162:163], v[146:147], v[114:115] neg_lo:[0,0,1] neg_hi:[0,0,1]
	v_mov_b32_e32 v113, v105
	v_pk_fma_f32 v[104:105], v[164:165], v[148:149], v[110:111] op_sel_hi:[1,0,1]
	s_wait_loadcnt 0x1
	v_pk_mul_f32 v[106:107], v[166:167], v[150:151] op_sel:[1,1] op_sel_hi:[0,1]
	v_pk_add_f32 v[102:103], v[102:103], v[108:109]
	v_mov_b32_e32 v104, v153
	v_pk_fma_f32 v[110:111], v[164:165], v[148:149], v[110:111] neg_lo:[0,0,1] neg_hi:[0,0,1]
	v_mov_b32_e32 v111, v105
	v_pk_fma_f32 v[108:109], v[166:167], v[150:151], v[106:107] op_sel_hi:[1,0,1]
	v_pk_add_f32 v[102:103], v[102:103], v[112:113]
	v_pk_mul_f32 v[104:105], v[214:215], v[104:105] op_sel_hi:[1,0]
	v_pk_fma_f32 v[106:107], v[166:167], v[150:151], v[106:107] neg_lo:[0,0,1] neg_hi:[0,0,1]
	s_delay_alu instid0(VALU_DEP_4) | instskip(NEXT) | instid1(VALU_DEP_4)
	v_mov_b32_e32 v107, v109
	v_pk_add_f32 v[102:103], v[102:103], v[110:111]
	s_delay_alu instid0(VALU_DEP_4) | instskip(SKIP_1) | instid1(VALU_DEP_2)
	v_pk_fma_f32 v[108:109], v[168:169], v[152:153], v[104:105] op_sel_hi:[1,0,1]
	v_pk_fma_f32 v[104:105], v[168:169], v[152:153], v[104:105] neg_lo:[0,0,1] neg_hi:[0,0,1]
	v_mov_b32_e32 v105, v109
	s_delay_alu instid0(VALU_DEP_4) | instskip(NEXT) | instid1(VALU_DEP_1)
	v_pk_add_f32 v[102:103], v[102:103], v[106:107]
	v_pk_add_f32 v[102:103], v[102:103], v[104:105]
	s_wait_loadcnt 0x0
	s_delay_alu instid0(VALU_DEP_1)
	v_pk_add_f32 v[102:103], v[206:207], v[102:103] neg_lo:[0,1] neg_hi:[0,1]
	scratch_store_b64 off, v[102:103], off offset:184
	s_wait_xcnt 0x0
	v_cmpx_lt_u32_e32 22, v0
	s_cbranch_execz .LBB49_269
; %bb.268:
	scratch_load_b64 v[102:103], off, off offset:176
	v_mov_b64_e32 v[104:105], 0
	scratch_store_b64 off, v[104:105], off offset:176
	s_wait_loadcnt 0x0
	ds_store_b64 v1, v[102:103]
.LBB49_269:
	s_wait_xcnt 0x0
	s_or_b32 exec_lo, exec_lo, s0
	s_wait_storecnt_dscnt 0x0
	s_barrier_signal -1
	s_barrier_wait -1
	s_clause 0xe
	scratch_load_b128 v[102:105], off, off offset:184
	scratch_load_b128 v[106:109], off, off offset:200
	scratch_load_b128 v[110:113], off, off offset:216
	scratch_load_b128 v[114:117], off, off offset:232
	scratch_load_b128 v[118:121], off, off offset:248
	scratch_load_b128 v[122:125], off, off offset:264
	scratch_load_b128 v[126:129], off, off offset:280
	scratch_load_b128 v[130:133], off, off offset:296
	scratch_load_b128 v[134:137], off, off offset:312
	scratch_load_b128 v[138:141], off, off offset:328
	scratch_load_b128 v[142:145], off, off offset:344
	scratch_load_b128 v[146:149], off, off offset:360
	scratch_load_b128 v[150:153], off, off offset:376
	scratch_load_b64 v[206:207], off, off offset:392
	scratch_load_b64 v[208:209], off, off offset:176
	v_mov_b32_e32 v7, 0
	ds_load_2addr_b64 v[154:157], v7 offset0:91 offset1:92
	ds_load_2addr_b64 v[158:161], v7 offset0:93 offset1:94
	;; [unrolled: 1-line block ×13, first 2 shown]
	ds_load_b64 v[210:211], v7 offset:792
	s_mov_b32 s0, exec_lo
	s_wait_dscnt 0xd
	v_dual_mov_b32 v212, v157 :: v_dual_mov_b32 v213, v156
	s_wait_dscnt 0xa
	v_dual_mov_b32 v214, v161 :: v_dual_mov_b32 v219, v168
	v_dual_mov_b32 v215, v160 :: v_dual_mov_b32 v216, v165
	;; [unrolled: 1-line block ×3, first 2 shown]
	s_wait_loadcnt_dscnt 0xe09
	v_dual_mul_f32 v9, v170, v103 :: v_dual_mul_f32 v43, v171, v103
	v_dual_mul_f32 v45, v173, v105 :: v_dual_mul_f32 v11, v172, v105
	s_wait_loadcnt_dscnt 0xd08
	v_mul_f32_e32 v13, v174, v107
	s_wait_loadcnt_dscnt 0xb05
	v_dual_mul_f32 v55, v187, v115 :: v_dual_fma_f32 v43, v170, v102, -v43
	v_dual_fmac_f32 v9, v171, v102 :: v_dual_mul_f32 v57, v189, v117
	v_dual_mul_f32 v47, v175, v107 :: v_dual_mul_f32 v49, v177, v109
	v_dual_fmac_f32 v11, v173, v104 :: v_dual_fma_f32 v45, v172, v104, -v45
	s_delay_alu instid0(VALU_DEP_3) | instskip(SKIP_3) | instid1(VALU_DEP_3)
	v_dual_add_f32 v9, 0, v9 :: v_dual_add_f32 v43, 0, v43
	v_dual_mul_f32 v15, v176, v109 :: v_dual_mul_f32 v17, v178, v111
	s_wait_loadcnt_dscnt 0xa04
	v_dual_mul_f32 v59, v191, v119 :: v_dual_fma_f32 v47, v174, v106, -v47
	v_dual_fmac_f32 v13, v175, v106 :: v_dual_add_f32 v9, v9, v11
	s_delay_alu instid0(VALU_DEP_3) | instskip(SKIP_2) | instid1(VALU_DEP_3)
	v_dual_add_f32 v11, v43, v45 :: v_dual_fmac_f32 v15, v177, v108
	v_dual_mul_f32 v51, v179, v111 :: v_dual_mul_f32 v53, v181, v113
	v_dual_mul_f32 v43, v193, v121 :: v_dual_fma_f32 v45, v176, v108, -v49
	v_dual_add_f32 v9, v9, v13 :: v_dual_add_f32 v11, v11, v47
	v_dual_mul_f32 v19, v180, v113 :: v_dual_mul_f32 v21, v186, v115
	s_wait_loadcnt_dscnt 0x903
	v_dual_mul_f32 v13, v195, v123 :: v_dual_fma_f32 v47, v178, v110, -v51
	s_delay_alu instid0(VALU_DEP_3) | instskip(NEXT) | instid1(VALU_DEP_3)
	v_dual_fmac_f32 v17, v179, v110 :: v_dual_add_f32 v9, v9, v15
	v_dual_add_f32 v11, v11, v45 :: v_dual_fmac_f32 v19, v181, v112
	v_dual_mul_f32 v15, v197, v125 :: v_dual_fma_f32 v45, v180, v112, -v53
	s_delay_alu instid0(VALU_DEP_2) | instskip(SKIP_3) | instid1(VALU_DEP_3)
	v_dual_add_f32 v9, v9, v17 :: v_dual_add_f32 v11, v11, v47
	v_dual_mul_f32 v23, v188, v117 :: v_dual_mul_f32 v25, v190, v119
	s_wait_loadcnt_dscnt 0x802
	v_dual_mul_f32 v17, v199, v127 :: v_dual_fma_f32 v47, v186, v114, -v55
	v_dual_fmac_f32 v21, v187, v114 :: v_dual_add_f32 v9, v9, v19
	s_delay_alu instid0(VALU_DEP_3) | instskip(SKIP_1) | instid1(VALU_DEP_2)
	v_dual_add_f32 v11, v11, v45 :: v_dual_fmac_f32 v23, v189, v116
	v_dual_mul_f32 v19, v201, v129 :: v_dual_fma_f32 v45, v188, v116, -v57
	v_dual_add_f32 v9, v9, v21 :: v_dual_add_f32 v11, v11, v47
	v_dual_mul_f32 v27, v192, v121 :: v_dual_mul_f32 v29, v194, v123
	s_wait_loadcnt_dscnt 0x701
	v_dual_mul_f32 v21, v203, v131 :: v_dual_fma_f32 v47, v190, v118, -v59
	s_delay_alu instid0(VALU_DEP_3) | instskip(NEXT) | instid1(VALU_DEP_3)
	v_dual_fmac_f32 v25, v191, v118 :: v_dual_add_f32 v9, v9, v23
	v_dual_add_f32 v11, v11, v45 :: v_dual_fmac_f32 v27, v193, v120
	v_dual_mul_f32 v23, v205, v133 :: v_dual_fma_f32 v43, v192, v120, -v43
	s_delay_alu instid0(VALU_DEP_2) | instskip(SKIP_3) | instid1(VALU_DEP_3)
	v_dual_add_f32 v9, v9, v25 :: v_dual_add_f32 v11, v11, v47
	v_dual_mul_f32 v31, v196, v125 :: v_dual_mul_f32 v33, v198, v127
	s_wait_loadcnt 0x6
	v_dual_mul_f32 v25, v183, v135 :: v_dual_fma_f32 v13, v194, v122, -v13
	v_dual_fmac_f32 v29, v195, v122 :: v_dual_add_f32 v9, v9, v27
	v_dual_add_f32 v11, v11, v43 :: v_dual_mul_f32 v27, v185, v137
	v_fmac_f32_e32 v31, v197, v124
	s_delay_alu instid0(VALU_DEP_3) | instskip(NEXT) | instid1(VALU_DEP_3)
	v_dual_fma_f32 v15, v196, v124, -v15 :: v_dual_add_f32 v9, v9, v29
	v_add_f32_e32 v11, v11, v13
	v_dual_mul_f32 v35, v200, v129 :: v_dual_mul_f32 v37, v202, v131
	s_wait_loadcnt 0x5
	v_dual_mul_f32 v13, v155, v139 :: v_dual_fma_f32 v17, v198, v126, -v17
	v_dual_fmac_f32 v33, v199, v126 :: v_dual_add_f32 v9, v9, v31
	v_dual_add_f32 v11, v11, v15 :: v_dual_mov_b32 v102, v141
	v_fmac_f32_e32 v35, v201, v128
	s_delay_alu instid0(VALU_DEP_3) | instskip(NEXT) | instid1(VALU_DEP_3)
	v_dual_fma_f32 v15, v200, v128, -v19 :: v_dual_add_f32 v9, v9, v33
	v_add_f32_e32 v11, v11, v17
	v_dual_mul_f32 v39, v204, v133 :: v_dual_mul_f32 v41, v182, v135
	s_delay_alu instid0(VALU_DEP_3) | instskip(NEXT) | instid1(VALU_DEP_3)
	v_dual_fmac_f32 v37, v203, v130 :: v_dual_add_f32 v9, v9, v35
	v_dual_fma_f32 v17, v202, v130, -v21 :: v_dual_add_f32 v11, v11, v15
	s_wait_loadcnt 0x4
	v_dual_mov_b32 v106, v145 :: v_dual_fma_f32 v15, v204, v132, -v23
	v_fmac_f32_e32 v39, v205, v132
	v_dual_add_f32 v9, v9, v37 :: v_dual_fmac_f32 v41, v183, v134
	v_add_f32_e32 v11, v11, v17
	v_dual_mul_f32 v221, v184, v137 :: v_dual_mul_f32 v223, v154, v139
	s_delay_alu instid0(VALU_DEP_3) | instskip(NEXT) | instid1(VALU_DEP_2)
	v_dual_fma_f32 v17, v182, v134, -v25 :: v_dual_add_f32 v9, v9, v39
	v_dual_add_f32 v11, v11, v15 :: v_dual_fmac_f32 v221, v185, v136
	v_fma_f32 v220, v184, v136, -v27
	v_pk_mul_f32 v[102:103], v[212:213], v[102:103] op_sel_hi:[1,0]
	s_delay_alu instid0(VALU_DEP_4)
	v_add_f32_e32 v111, v9, v41
	s_wait_loadcnt 0x3
	v_dual_add_f32 v110, v11, v17 :: v_dual_mov_b32 v112, v149
	v_pk_mul_f32 v[104:105], v[158:159], v[142:143] op_sel:[1,1] op_sel_hi:[0,1]
	v_dual_fmac_f32 v223, v155, v138 :: v_dual_fma_f32 v222, v154, v138, -v13
	v_pk_fma_f32 v[114:115], v[156:157], v[140:141], v[102:103] op_sel_hi:[1,0,1]
	s_delay_alu instid0(VALU_DEP_4)
	v_pk_add_f32 v[110:111], v[110:111], v[220:221]
	v_pk_fma_f32 v[102:103], v[156:157], v[140:141], v[102:103] neg_lo:[0,0,1] neg_hi:[0,0,1]
	v_pk_fma_f32 v[116:117], v[158:159], v[142:143], v[104:105] op_sel_hi:[1,0,1]
	v_pk_mul_f32 v[106:107], v[214:215], v[106:107] op_sel_hi:[1,0]
	v_mov_b32_e32 v103, v115
	v_pk_add_f32 v[110:111], v[110:111], v[222:223]
	v_pk_fma_f32 v[104:105], v[158:159], v[142:143], v[104:105] neg_lo:[0,0,1] neg_hi:[0,0,1]
	v_pk_mul_f32 v[108:109], v[162:163], v[146:147] op_sel:[1,1] op_sel_hi:[0,1]
	v_mov_b32_e32 v105, v117
	v_pk_fma_f32 v[116:117], v[160:161], v[144:145], v[106:107] op_sel_hi:[1,0,1]
	v_pk_add_f32 v[102:103], v[110:111], v[102:103]
	v_pk_fma_f32 v[106:107], v[160:161], v[144:145], v[106:107] neg_lo:[0,0,1] neg_hi:[0,0,1]
	v_pk_fma_f32 v[110:111], v[162:163], v[146:147], v[108:109] op_sel_hi:[1,0,1]
	v_pk_mul_f32 v[112:113], v[216:217], v[112:113] op_sel_hi:[1,0]
	v_mov_b32_e32 v107, v117
	v_pk_add_f32 v[102:103], v[102:103], v[104:105]
	v_pk_fma_f32 v[108:109], v[162:163], v[146:147], v[108:109] neg_lo:[0,0,1] neg_hi:[0,0,1]
	s_wait_loadcnt 0x2
	v_pk_mul_f32 v[114:115], v[166:167], v[150:151] op_sel:[1,1] op_sel_hi:[0,1]
	v_dual_mov_b32 v104, v153 :: v_dual_mov_b32 v109, v111
	v_pk_fma_f32 v[110:111], v[164:165], v[148:149], v[112:113] op_sel_hi:[1,0,1]
	v_pk_add_f32 v[102:103], v[102:103], v[106:107]
	v_pk_fma_f32 v[112:113], v[164:165], v[148:149], v[112:113] neg_lo:[0,0,1] neg_hi:[0,0,1]
	v_pk_fma_f32 v[106:107], v[166:167], v[150:151], v[114:115] op_sel_hi:[1,0,1]
	v_pk_mul_f32 v[104:105], v[218:219], v[104:105] op_sel_hi:[1,0]
	v_mov_b32_e32 v113, v111
	v_pk_add_f32 v[102:103], v[102:103], v[108:109]
	v_pk_fma_f32 v[108:109], v[166:167], v[150:151], v[114:115] neg_lo:[0,0,1] neg_hi:[0,0,1]
	v_mov_b32_e32 v109, v107
	v_pk_fma_f32 v[106:107], v[168:169], v[152:153], v[104:105] op_sel_hi:[1,0,1]
	s_wait_loadcnt_dscnt 0x100
	v_pk_mul_f32 v[110:111], v[210:211], v[206:207] op_sel:[1,1] op_sel_hi:[0,1]
	v_pk_add_f32 v[102:103], v[102:103], v[112:113]
	v_pk_fma_f32 v[104:105], v[168:169], v[152:153], v[104:105] neg_lo:[0,0,1] neg_hi:[0,0,1]
	v_mov_b32_e32 v105, v107
	s_delay_alu instid0(VALU_DEP_4) | instskip(NEXT) | instid1(VALU_DEP_4)
	v_pk_fma_f32 v[106:107], v[210:211], v[206:207], v[110:111] op_sel_hi:[1,0,1]
	v_pk_add_f32 v[102:103], v[102:103], v[108:109]
	v_pk_fma_f32 v[108:109], v[210:211], v[206:207], v[110:111] neg_lo:[0,0,1] neg_hi:[0,0,1]
	s_delay_alu instid0(VALU_DEP_3) | instskip(NEXT) | instid1(VALU_DEP_3)
	v_mov_b32_e32 v109, v107
	v_pk_add_f32 v[102:103], v[102:103], v[104:105]
	s_delay_alu instid0(VALU_DEP_1) | instskip(SKIP_1) | instid1(VALU_DEP_1)
	v_pk_add_f32 v[102:103], v[102:103], v[108:109]
	s_wait_loadcnt 0x0
	v_pk_add_f32 v[102:103], v[208:209], v[102:103] neg_lo:[0,1] neg_hi:[0,1]
	scratch_store_b64 off, v[102:103], off offset:176
	s_wait_xcnt 0x0
	v_cmpx_lt_u32_e32 21, v0
	s_cbranch_execz .LBB49_271
; %bb.270:
	scratch_load_b64 v[102:103], off, off offset:168
	v_mov_b64_e32 v[104:105], 0
	scratch_store_b64 off, v[104:105], off offset:168
	s_wait_loadcnt 0x0
	ds_store_b64 v1, v[102:103]
.LBB49_271:
	s_wait_xcnt 0x0
	s_or_b32 exec_lo, exec_lo, s0
	s_wait_storecnt_dscnt 0x0
	s_barrier_signal -1
	s_barrier_wait -1
	s_clause 0xe
	scratch_load_b128 v[102:105], off, off offset:176
	scratch_load_b128 v[106:109], off, off offset:192
	;; [unrolled: 1-line block ×14, first 2 shown]
	scratch_load_b64 v[214:215], off, off offset:168
	ds_load_b128 v[158:161], v7 offset:736
	ds_load_b128 v[162:165], v7 offset:752
	;; [unrolled: 1-line block ×14, first 2 shown]
	s_mov_b32 s0, exec_lo
	s_wait_dscnt 0xd
	v_dual_mov_b32 v216, v161 :: v_dual_mov_b32 v217, v160
	s_wait_dscnt 0xc
	v_dual_mov_b32 v218, v165 :: v_dual_mov_b32 v219, v164
	;; [unrolled: 2-line block ×4, first 2 shown]
	s_wait_loadcnt_dscnt 0xe09
	v_dual_mul_f32 v7, v174, v103 :: v_dual_mul_f32 v9, v176, v105
	v_dual_mul_f32 v43, v175, v103 :: v_dual_mul_f32 v45, v177, v105
	s_wait_loadcnt_dscnt 0xd08
	v_dual_mul_f32 v11, v178, v107 :: v_dual_mul_f32 v13, v180, v109
	s_delay_alu instid0(VALU_DEP_3) | instskip(SKIP_3) | instid1(VALU_DEP_3)
	v_dual_fmac_f32 v7, v175, v102 :: v_dual_fmac_f32 v9, v177, v104
	s_wait_loadcnt_dscnt 0xb06
	v_dual_fma_f32 v43, v174, v102, -v43 :: v_dual_mul_f32 v55, v187, v115
	v_dual_mul_f32 v47, v179, v107 :: v_dual_mul_f32 v49, v181, v109
	v_dual_fma_f32 v45, v176, v104, -v45 :: v_dual_add_f32 v7, 0, v7
	s_delay_alu instid0(VALU_DEP_3) | instskip(SKIP_1) | instid1(VALU_DEP_3)
	v_dual_add_f32 v43, 0, v43 :: v_dual_mul_f32 v57, v189, v117
	v_dual_fmac_f32 v11, v179, v106 :: v_dual_fmac_f32 v13, v181, v108
	v_dual_fma_f32 v47, v178, v106, -v47 :: v_dual_add_f32 v7, v7, v9
	s_delay_alu instid0(VALU_DEP_3) | instskip(SKIP_2) | instid1(VALU_DEP_4)
	v_dual_add_f32 v9, v43, v45 :: v_dual_fma_f32 v45, v180, v108, -v49
	v_dual_mul_f32 v15, v182, v111 :: v_dual_mul_f32 v17, v184, v113
	v_dual_mul_f32 v51, v183, v111 :: v_dual_mul_f32 v53, v185, v113
	v_add_f32_e32 v7, v7, v11
	s_delay_alu instid0(VALU_DEP_3) | instskip(NEXT) | instid1(VALU_DEP_3)
	v_dual_add_f32 v9, v9, v47 :: v_dual_fmac_f32 v15, v183, v110
	v_fma_f32 v47, v182, v110, -v51
	v_dual_mul_f32 v19, v186, v115 :: v_dual_mul_f32 v21, v188, v117
	s_delay_alu instid0(VALU_DEP_4) | instskip(SKIP_2) | instid1(VALU_DEP_2)
	v_dual_add_f32 v7, v7, v13 :: v_dual_fmac_f32 v17, v185, v112
	s_wait_loadcnt_dscnt 0x904
	v_dual_add_f32 v9, v9, v45 :: v_dual_mul_f32 v13, v195, v123
	v_dual_fma_f32 v45, v184, v112, -v53 :: v_dual_add_f32 v7, v7, v15
	v_mul_f32_e32 v15, v197, v125
	s_delay_alu instid0(VALU_DEP_3) | instskip(NEXT) | instid1(VALU_DEP_3)
	v_dual_add_f32 v9, v9, v47 :: v_dual_fmac_f32 v19, v187, v114
	v_dual_fma_f32 v47, v186, v114, -v55 :: v_dual_add_f32 v7, v7, v17
	v_fmac_f32_e32 v21, v189, v116
	s_wait_loadcnt_dscnt 0x803
	s_delay_alu instid0(VALU_DEP_3) | instskip(SKIP_3) | instid1(VALU_DEP_3)
	v_dual_add_f32 v9, v9, v45 :: v_dual_mul_f32 v17, v199, v127
	v_dual_mul_f32 v23, v190, v119 :: v_dual_mul_f32 v25, v192, v121
	v_dual_mul_f32 v43, v191, v119 :: v_dual_mul_f32 v11, v193, v121
	v_dual_fma_f32 v45, v188, v116, -v57 :: v_dual_add_f32 v7, v7, v19
	v_dual_add_f32 v9, v9, v47 :: v_dual_fmac_f32 v23, v191, v118
	s_delay_alu instid0(VALU_DEP_3) | instskip(NEXT) | instid1(VALU_DEP_3)
	v_dual_mul_f32 v19, v201, v129 :: v_dual_fma_f32 v43, v190, v118, -v43
	v_dual_add_f32 v7, v7, v21 :: v_dual_fmac_f32 v25, v193, v120
	s_wait_loadcnt_dscnt 0x702
	s_delay_alu instid0(VALU_DEP_3) | instskip(SKIP_1) | instid1(VALU_DEP_3)
	v_dual_add_f32 v9, v9, v45 :: v_dual_mul_f32 v21, v203, v131
	v_dual_mul_f32 v27, v194, v123 :: v_dual_mul_f32 v29, v196, v125
	v_dual_fma_f32 v11, v192, v120, -v11 :: v_dual_add_f32 v7, v7, v23
	s_delay_alu instid0(VALU_DEP_2) | instskip(SKIP_1) | instid1(VALU_DEP_2)
	v_dual_add_f32 v9, v9, v43 :: v_dual_fmac_f32 v27, v195, v122
	v_dual_mul_f32 v23, v205, v133 :: v_dual_fma_f32 v13, v194, v122, -v13
	v_dual_add_f32 v7, v7, v25 :: v_dual_add_f32 v9, v9, v11
	v_dual_mul_f32 v31, v198, v127 :: v_dual_mul_f32 v33, v200, v129
	s_wait_loadcnt_dscnt 0x601
	v_dual_mul_f32 v11, v207, v135 :: v_dual_fmac_f32 v29, v197, v124
	s_delay_alu instid0(VALU_DEP_3) | instskip(NEXT) | instid1(VALU_DEP_3)
	v_dual_fma_f32 v15, v196, v124, -v15 :: v_dual_add_f32 v7, v7, v27
	v_dual_add_f32 v9, v9, v13 :: v_dual_fmac_f32 v31, v199, v126
	v_dual_mul_f32 v13, v209, v137 :: v_dual_fma_f32 v17, v198, v126, -v17
	s_delay_alu instid0(VALU_DEP_2) | instskip(SKIP_3) | instid1(VALU_DEP_3)
	v_dual_add_f32 v7, v7, v29 :: v_dual_add_f32 v9, v9, v15
	v_dual_mul_f32 v35, v202, v131 :: v_dual_mul_f32 v37, v204, v133
	s_wait_loadcnt_dscnt 0x500
	v_dual_mul_f32 v15, v211, v139 :: v_dual_fmac_f32 v33, v201, v128
	v_dual_fma_f32 v19, v200, v128, -v19 :: v_dual_add_f32 v7, v7, v31
	s_delay_alu instid0(VALU_DEP_3) | instskip(SKIP_1) | instid1(VALU_DEP_2)
	v_dual_add_f32 v9, v9, v17 :: v_dual_fmac_f32 v35, v203, v130
	v_dual_mul_f32 v17, v213, v141 :: v_dual_fma_f32 v21, v202, v130, -v21
	v_dual_add_f32 v7, v7, v33 :: v_dual_add_f32 v9, v9, v19
	v_dual_mul_f32 v39, v206, v135 :: v_dual_mul_f32 v41, v208, v137
	v_dual_fmac_f32 v37, v205, v132 :: v_dual_fma_f32 v19, v204, v132, -v23
	s_delay_alu instid0(VALU_DEP_3) | instskip(SKIP_1) | instid1(VALU_DEP_3)
	v_dual_add_f32 v7, v7, v35 :: v_dual_add_f32 v9, v9, v21
	s_wait_loadcnt 0x4
	v_dual_mov_b32 v104, v145 :: v_dual_fmac_f32 v39, v207, v134
	s_delay_alu instid0(VALU_DEP_2) | instskip(NEXT) | instid1(VALU_DEP_3)
	v_dual_fma_f32 v11, v206, v134, -v11 :: v_dual_add_f32 v7, v7, v37
	v_dual_add_f32 v9, v9, v19 :: v_dual_fma_f32 v13, v208, v136, -v13
	v_dual_mul_f32 v225, v210, v139 :: v_dual_mul_f32 v227, v212, v141
	s_delay_alu instid0(VALU_DEP_3) | instskip(NEXT) | instid1(VALU_DEP_2)
	v_dual_fmac_f32 v41, v209, v136 :: v_dual_add_f32 v7, v7, v39
	v_dual_add_f32 v9, v9, v11 :: v_dual_fmac_f32 v225, v211, v138
	v_pk_mul_f32 v[102:103], v[158:159], v[142:143] op_sel:[1,1] op_sel_hi:[0,1]
	s_wait_loadcnt 0x3
	v_dual_mov_b32 v108, v149 :: v_dual_fma_f32 v224, v210, v138, -v15
	v_dual_add_f32 v111, v7, v41 :: v_dual_fmac_f32 v227, v213, v140
	v_dual_add_f32 v110, v9, v13 :: v_dual_fma_f32 v226, v212, v140, -v17
	v_pk_fma_f32 v[112:113], v[158:159], v[142:143], v[102:103] op_sel_hi:[1,0,1]
	v_pk_mul_f32 v[104:105], v[216:217], v[104:105] op_sel_hi:[1,0]
	v_pk_fma_f32 v[102:103], v[158:159], v[142:143], v[102:103] neg_lo:[0,0,1] neg_hi:[0,0,1]
	s_delay_alu instid0(VALU_DEP_4)
	v_pk_add_f32 v[110:111], v[110:111], v[224:225]
	v_pk_mul_f32 v[106:107], v[162:163], v[146:147] op_sel:[1,1] op_sel_hi:[0,1]
	v_mov_b32_e32 v103, v113
	v_pk_fma_f32 v[112:113], v[160:161], v[144:145], v[104:105] op_sel_hi:[1,0,1]
	v_pk_fma_f32 v[104:105], v[160:161], v[144:145], v[104:105] neg_lo:[0,0,1] neg_hi:[0,0,1]
	v_pk_add_f32 v[110:111], v[110:111], v[226:227]
	v_pk_fma_f32 v[116:117], v[162:163], v[146:147], v[106:107] op_sel_hi:[1,0,1]
	v_pk_mul_f32 v[108:109], v[218:219], v[108:109] op_sel_hi:[1,0]
	v_mov_b32_e32 v105, v113
	s_wait_loadcnt 0x2
	v_pk_mul_f32 v[114:115], v[166:167], v[150:151] op_sel:[1,1] op_sel_hi:[0,1]
	v_pk_add_f32 v[102:103], v[110:111], v[102:103]
	v_mov_b32_e32 v110, v153
	v_pk_fma_f32 v[106:107], v[162:163], v[146:147], v[106:107] neg_lo:[0,0,1] neg_hi:[0,0,1]
	v_mov_b32_e32 v107, v117
	v_pk_fma_f32 v[112:113], v[164:165], v[148:149], v[108:109] op_sel_hi:[1,0,1]
	v_pk_add_f32 v[102:103], v[102:103], v[104:105]
	v_pk_fma_f32 v[104:105], v[166:167], v[150:151], v[114:115] op_sel_hi:[1,0,1]
	v_pk_mul_f32 v[110:111], v[220:221], v[110:111] op_sel_hi:[1,0]
	v_pk_fma_f32 v[108:109], v[164:165], v[148:149], v[108:109] neg_lo:[0,0,1] neg_hi:[0,0,1]
	v_mov_b32_e32 v109, v113
	v_pk_add_f32 v[102:103], v[102:103], v[106:107]
	v_pk_fma_f32 v[112:113], v[166:167], v[150:151], v[114:115] neg_lo:[0,0,1] neg_hi:[0,0,1]
	v_mov_b32_e32 v113, v105
	v_pk_fma_f32 v[104:105], v[168:169], v[152:153], v[110:111] op_sel_hi:[1,0,1]
	s_wait_loadcnt 0x1
	v_pk_mul_f32 v[106:107], v[170:171], v[154:155] op_sel:[1,1] op_sel_hi:[0,1]
	v_pk_add_f32 v[102:103], v[102:103], v[108:109]
	v_mov_b32_e32 v104, v157
	v_pk_fma_f32 v[110:111], v[168:169], v[152:153], v[110:111] neg_lo:[0,0,1] neg_hi:[0,0,1]
	v_mov_b32_e32 v111, v105
	v_pk_fma_f32 v[108:109], v[170:171], v[154:155], v[106:107] op_sel_hi:[1,0,1]
	v_pk_add_f32 v[102:103], v[102:103], v[112:113]
	v_pk_mul_f32 v[104:105], v[222:223], v[104:105] op_sel_hi:[1,0]
	v_pk_fma_f32 v[106:107], v[170:171], v[154:155], v[106:107] neg_lo:[0,0,1] neg_hi:[0,0,1]
	s_delay_alu instid0(VALU_DEP_4) | instskip(NEXT) | instid1(VALU_DEP_4)
	v_mov_b32_e32 v107, v109
	v_pk_add_f32 v[102:103], v[102:103], v[110:111]
	s_delay_alu instid0(VALU_DEP_4) | instskip(SKIP_1) | instid1(VALU_DEP_2)
	v_pk_fma_f32 v[108:109], v[172:173], v[156:157], v[104:105] op_sel_hi:[1,0,1]
	v_pk_fma_f32 v[104:105], v[172:173], v[156:157], v[104:105] neg_lo:[0,0,1] neg_hi:[0,0,1]
	v_mov_b32_e32 v105, v109
	s_delay_alu instid0(VALU_DEP_4) | instskip(NEXT) | instid1(VALU_DEP_1)
	v_pk_add_f32 v[102:103], v[102:103], v[106:107]
	v_pk_add_f32 v[102:103], v[102:103], v[104:105]
	s_wait_loadcnt 0x0
	s_delay_alu instid0(VALU_DEP_1)
	v_pk_add_f32 v[102:103], v[214:215], v[102:103] neg_lo:[0,1] neg_hi:[0,1]
	scratch_store_b64 off, v[102:103], off offset:168
	s_wait_xcnt 0x0
	v_cmpx_lt_u32_e32 20, v0
	s_cbranch_execz .LBB49_273
; %bb.272:
	scratch_load_b64 v[102:103], off, off offset:160
	v_mov_b64_e32 v[104:105], 0
	scratch_store_b64 off, v[104:105], off offset:160
	s_wait_loadcnt 0x0
	ds_store_b64 v1, v[102:103]
.LBB49_273:
	s_wait_xcnt 0x0
	s_or_b32 exec_lo, exec_lo, s0
	s_wait_storecnt_dscnt 0x0
	s_barrier_signal -1
	s_barrier_wait -1
	s_clause 0xf
	scratch_load_b128 v[102:105], off, off offset:168
	scratch_load_b128 v[106:109], off, off offset:184
	;; [unrolled: 1-line block ×14, first 2 shown]
	scratch_load_b64 v[214:215], off, off offset:392
	scratch_load_b64 v[216:217], off, off offset:160
	v_mov_b32_e32 v7, 0
	ds_load_2addr_b64 v[158:161], v7 offset0:91 offset1:92
	ds_load_2addr_b64 v[162:165], v7 offset0:93 offset1:94
	;; [unrolled: 1-line block ×14, first 2 shown]
	ds_load_b64 v[218:219], v7 offset:792
	s_mov_b32 s0, exec_lo
	s_wait_dscnt 0xe
	v_dual_mov_b32 v220, v161 :: v_dual_mov_b32 v221, v160
	s_wait_dscnt 0xb
	v_dual_mov_b32 v222, v165 :: v_dual_mov_b32 v227, v172
	v_dual_mov_b32 v223, v164 :: v_dual_mov_b32 v224, v169
	;; [unrolled: 1-line block ×3, first 2 shown]
	s_wait_loadcnt_dscnt 0xf0a
	v_dual_mul_f32 v9, v174, v103 :: v_dual_mul_f32 v47, v175, v103
	v_dual_mul_f32 v49, v177, v105 :: v_dual_mul_f32 v11, v176, v105
	s_wait_loadcnt_dscnt 0xe09
	v_mul_f32_e32 v13, v178, v107
	s_wait_loadcnt_dscnt 0xc07
	v_dual_mul_f32 v59, v187, v115 :: v_dual_fma_f32 v47, v174, v102, -v47
	v_dual_fmac_f32 v9, v175, v102 :: v_dual_mul_f32 v61, v189, v117
	v_dual_mul_f32 v51, v179, v107 :: v_dual_mul_f32 v53, v181, v109
	v_dual_fmac_f32 v11, v177, v104 :: v_dual_fma_f32 v49, v176, v104, -v49
	s_delay_alu instid0(VALU_DEP_3) | instskip(SKIP_3) | instid1(VALU_DEP_3)
	v_dual_add_f32 v9, 0, v9 :: v_dual_add_f32 v47, 0, v47
	v_dual_mul_f32 v15, v180, v109 :: v_dual_mul_f32 v17, v182, v111
	s_wait_loadcnt_dscnt 0xb06
	v_dual_mul_f32 v63, v191, v119 :: v_dual_fma_f32 v51, v178, v106, -v51
	v_dual_fmac_f32 v13, v179, v106 :: v_dual_add_f32 v9, v9, v11
	s_delay_alu instid0(VALU_DEP_3) | instskip(SKIP_2) | instid1(VALU_DEP_3)
	v_dual_add_f32 v11, v47, v49 :: v_dual_fmac_f32 v15, v181, v108
	v_dual_mul_f32 v55, v183, v111 :: v_dual_mul_f32 v57, v185, v113
	v_dual_mul_f32 v47, v193, v121 :: v_dual_fma_f32 v49, v180, v108, -v53
	v_dual_add_f32 v9, v9, v13 :: v_dual_add_f32 v11, v11, v51
	v_dual_mul_f32 v19, v184, v113 :: v_dual_mul_f32 v21, v186, v115
	s_wait_loadcnt_dscnt 0xa05
	v_dual_mul_f32 v13, v195, v123 :: v_dual_fma_f32 v51, v182, v110, -v55
	s_delay_alu instid0(VALU_DEP_3) | instskip(NEXT) | instid1(VALU_DEP_3)
	v_dual_fmac_f32 v17, v183, v110 :: v_dual_add_f32 v9, v9, v15
	v_dual_add_f32 v11, v11, v49 :: v_dual_fmac_f32 v19, v185, v112
	v_dual_mul_f32 v15, v197, v125 :: v_dual_fma_f32 v49, v184, v112, -v57
	s_delay_alu instid0(VALU_DEP_2) | instskip(SKIP_3) | instid1(VALU_DEP_3)
	v_dual_add_f32 v9, v9, v17 :: v_dual_add_f32 v11, v11, v51
	v_dual_mul_f32 v23, v188, v117 :: v_dual_mul_f32 v25, v190, v119
	s_wait_loadcnt_dscnt 0x904
	v_dual_mul_f32 v17, v199, v127 :: v_dual_fma_f32 v51, v186, v114, -v59
	v_dual_fmac_f32 v21, v187, v114 :: v_dual_add_f32 v9, v9, v19
	s_delay_alu instid0(VALU_DEP_3) | instskip(SKIP_1) | instid1(VALU_DEP_2)
	v_dual_add_f32 v11, v11, v49 :: v_dual_fmac_f32 v23, v189, v116
	v_dual_mul_f32 v19, v201, v129 :: v_dual_fma_f32 v49, v188, v116, -v61
	v_dual_add_f32 v9, v9, v21 :: v_dual_add_f32 v11, v11, v51
	v_dual_mul_f32 v27, v192, v121 :: v_dual_mul_f32 v29, v194, v123
	s_wait_loadcnt_dscnt 0x803
	v_dual_mul_f32 v21, v203, v131 :: v_dual_fma_f32 v51, v190, v118, -v63
	s_delay_alu instid0(VALU_DEP_3) | instskip(NEXT) | instid1(VALU_DEP_3)
	v_dual_fmac_f32 v25, v191, v118 :: v_dual_add_f32 v9, v9, v23
	v_dual_add_f32 v11, v11, v49 :: v_dual_fmac_f32 v27, v193, v120
	v_dual_mul_f32 v23, v205, v133 :: v_dual_fma_f32 v47, v192, v120, -v47
	s_delay_alu instid0(VALU_DEP_2) | instskip(SKIP_3) | instid1(VALU_DEP_3)
	v_dual_add_f32 v9, v9, v25 :: v_dual_add_f32 v11, v11, v51
	v_dual_mul_f32 v31, v196, v125 :: v_dual_mul_f32 v33, v198, v127
	s_wait_loadcnt_dscnt 0x702
	v_dual_mul_f32 v25, v207, v135 :: v_dual_fma_f32 v13, v194, v122, -v13
	v_dual_fmac_f32 v29, v195, v122 :: v_dual_add_f32 v9, v9, v27
	v_dual_add_f32 v11, v11, v47 :: v_dual_mul_f32 v27, v209, v137
	v_fmac_f32_e32 v31, v197, v124
	s_delay_alu instid0(VALU_DEP_3) | instskip(NEXT) | instid1(VALU_DEP_3)
	v_dual_fma_f32 v15, v196, v124, -v15 :: v_dual_add_f32 v9, v9, v29
	v_add_f32_e32 v11, v11, v13
	v_dual_mul_f32 v35, v200, v129 :: v_dual_mul_f32 v37, v202, v131
	s_wait_loadcnt_dscnt 0x601
	v_dual_mul_f32 v13, v211, v139 :: v_dual_fma_f32 v17, v198, v126, -v17
	v_dual_fmac_f32 v33, v199, v126 :: v_dual_add_f32 v9, v9, v31
	v_dual_add_f32 v11, v11, v15 :: v_dual_mul_f32 v15, v213, v141
	v_fmac_f32_e32 v35, v201, v128
	s_delay_alu instid0(VALU_DEP_3) | instskip(NEXT) | instid1(VALU_DEP_3)
	v_dual_fma_f32 v19, v200, v128, -v19 :: v_dual_add_f32 v9, v9, v33
	v_add_f32_e32 v11, v11, v17
	v_dual_mul_f32 v39, v204, v133 :: v_dual_mul_f32 v41, v206, v135
	s_wait_loadcnt 0x5
	v_dual_mul_f32 v17, v159, v143 :: v_dual_fma_f32 v21, v202, v130, -v21
	v_dual_fmac_f32 v37, v203, v130 :: v_dual_add_f32 v9, v9, v35
	v_dual_add_f32 v11, v11, v19 :: v_dual_mov_b32 v102, v145
	v_fmac_f32_e32 v39, v205, v132
	s_delay_alu instid0(VALU_DEP_3) | instskip(NEXT) | instid1(VALU_DEP_3)
	v_dual_fma_f32 v19, v204, v132, -v23 :: v_dual_add_f32 v9, v9, v37
	v_add_f32_e32 v11, v11, v21
	v_dual_mul_f32 v43, v208, v137 :: v_dual_mul_f32 v45, v210, v139
	s_delay_alu instid0(VALU_DEP_3) | instskip(NEXT) | instid1(VALU_DEP_3)
	v_dual_fmac_f32 v41, v207, v134 :: v_dual_add_f32 v9, v9, v39
	v_dual_fma_f32 v21, v206, v134, -v25 :: v_dual_add_f32 v11, v11, v19
	s_wait_loadcnt 0x4
	v_dual_mov_b32 v106, v149 :: v_dual_fma_f32 v19, v208, v136, -v27
	v_fmac_f32_e32 v43, v209, v136
	v_dual_add_f32 v9, v9, v41 :: v_dual_fmac_f32 v45, v211, v138
	v_add_f32_e32 v11, v11, v21
	v_dual_mul_f32 v229, v212, v141 :: v_dual_mul_f32 v231, v158, v143
	s_delay_alu instid0(VALU_DEP_3) | instskip(NEXT) | instid1(VALU_DEP_2)
	v_dual_fma_f32 v13, v210, v138, -v13 :: v_dual_add_f32 v9, v9, v43
	v_dual_add_f32 v11, v11, v19 :: v_dual_fmac_f32 v229, v213, v140
	v_fma_f32 v228, v212, v140, -v15
	v_pk_mul_f32 v[102:103], v[220:221], v[102:103] op_sel_hi:[1,0]
	s_delay_alu instid0(VALU_DEP_4)
	v_add_f32_e32 v111, v9, v45
	s_wait_loadcnt 0x3
	v_dual_add_f32 v110, v11, v13 :: v_dual_mov_b32 v112, v153
	v_pk_mul_f32 v[104:105], v[162:163], v[146:147] op_sel:[1,1] op_sel_hi:[0,1]
	v_dual_fmac_f32 v231, v159, v142 :: v_dual_fma_f32 v230, v158, v142, -v17
	v_pk_fma_f32 v[114:115], v[160:161], v[144:145], v[102:103] op_sel_hi:[1,0,1]
	s_delay_alu instid0(VALU_DEP_4)
	v_pk_add_f32 v[110:111], v[110:111], v[228:229]
	v_pk_fma_f32 v[102:103], v[160:161], v[144:145], v[102:103] neg_lo:[0,0,1] neg_hi:[0,0,1]
	v_pk_fma_f32 v[116:117], v[162:163], v[146:147], v[104:105] op_sel_hi:[1,0,1]
	v_pk_mul_f32 v[106:107], v[222:223], v[106:107] op_sel_hi:[1,0]
	v_mov_b32_e32 v103, v115
	v_pk_add_f32 v[110:111], v[110:111], v[230:231]
	v_pk_fma_f32 v[104:105], v[162:163], v[146:147], v[104:105] neg_lo:[0,0,1] neg_hi:[0,0,1]
	v_pk_mul_f32 v[108:109], v[166:167], v[150:151] op_sel:[1,1] op_sel_hi:[0,1]
	v_mov_b32_e32 v105, v117
	v_pk_fma_f32 v[116:117], v[164:165], v[148:149], v[106:107] op_sel_hi:[1,0,1]
	v_pk_add_f32 v[102:103], v[110:111], v[102:103]
	v_pk_fma_f32 v[106:107], v[164:165], v[148:149], v[106:107] neg_lo:[0,0,1] neg_hi:[0,0,1]
	v_pk_fma_f32 v[110:111], v[166:167], v[150:151], v[108:109] op_sel_hi:[1,0,1]
	v_pk_mul_f32 v[112:113], v[224:225], v[112:113] op_sel_hi:[1,0]
	v_mov_b32_e32 v107, v117
	v_pk_add_f32 v[102:103], v[102:103], v[104:105]
	v_pk_fma_f32 v[108:109], v[166:167], v[150:151], v[108:109] neg_lo:[0,0,1] neg_hi:[0,0,1]
	s_wait_loadcnt 0x2
	v_pk_mul_f32 v[114:115], v[170:171], v[154:155] op_sel:[1,1] op_sel_hi:[0,1]
	v_dual_mov_b32 v104, v157 :: v_dual_mov_b32 v109, v111
	v_pk_fma_f32 v[110:111], v[168:169], v[152:153], v[112:113] op_sel_hi:[1,0,1]
	v_pk_add_f32 v[102:103], v[102:103], v[106:107]
	v_pk_fma_f32 v[112:113], v[168:169], v[152:153], v[112:113] neg_lo:[0,0,1] neg_hi:[0,0,1]
	v_pk_fma_f32 v[106:107], v[170:171], v[154:155], v[114:115] op_sel_hi:[1,0,1]
	v_pk_mul_f32 v[104:105], v[226:227], v[104:105] op_sel_hi:[1,0]
	v_mov_b32_e32 v113, v111
	v_pk_add_f32 v[102:103], v[102:103], v[108:109]
	v_pk_fma_f32 v[108:109], v[170:171], v[154:155], v[114:115] neg_lo:[0,0,1] neg_hi:[0,0,1]
	v_mov_b32_e32 v109, v107
	v_pk_fma_f32 v[106:107], v[172:173], v[156:157], v[104:105] op_sel_hi:[1,0,1]
	s_wait_loadcnt_dscnt 0x100
	v_pk_mul_f32 v[110:111], v[218:219], v[214:215] op_sel:[1,1] op_sel_hi:[0,1]
	v_pk_add_f32 v[102:103], v[102:103], v[112:113]
	v_pk_fma_f32 v[104:105], v[172:173], v[156:157], v[104:105] neg_lo:[0,0,1] neg_hi:[0,0,1]
	v_mov_b32_e32 v105, v107
	s_delay_alu instid0(VALU_DEP_4) | instskip(NEXT) | instid1(VALU_DEP_4)
	v_pk_fma_f32 v[106:107], v[218:219], v[214:215], v[110:111] op_sel_hi:[1,0,1]
	v_pk_add_f32 v[102:103], v[102:103], v[108:109]
	v_pk_fma_f32 v[108:109], v[218:219], v[214:215], v[110:111] neg_lo:[0,0,1] neg_hi:[0,0,1]
	s_delay_alu instid0(VALU_DEP_3) | instskip(NEXT) | instid1(VALU_DEP_3)
	v_mov_b32_e32 v109, v107
	v_pk_add_f32 v[102:103], v[102:103], v[104:105]
	s_delay_alu instid0(VALU_DEP_1) | instskip(SKIP_1) | instid1(VALU_DEP_1)
	v_pk_add_f32 v[102:103], v[102:103], v[108:109]
	s_wait_loadcnt 0x0
	v_pk_add_f32 v[102:103], v[216:217], v[102:103] neg_lo:[0,1] neg_hi:[0,1]
	scratch_store_b64 off, v[102:103], off offset:160
	s_wait_xcnt 0x0
	v_cmpx_lt_u32_e32 19, v0
	s_cbranch_execz .LBB49_275
; %bb.274:
	scratch_load_b64 v[102:103], off, off offset:152
	v_mov_b64_e32 v[104:105], 0
	scratch_store_b64 off, v[104:105], off offset:152
	s_wait_loadcnt 0x0
	ds_store_b64 v1, v[102:103]
.LBB49_275:
	s_wait_xcnt 0x0
	s_or_b32 exec_lo, exec_lo, s0
	s_wait_storecnt_dscnt 0x0
	s_barrier_signal -1
	s_barrier_wait -1
	s_clause 0xf
	scratch_load_b128 v[102:105], off, off offset:160
	scratch_load_b128 v[106:109], off, off offset:176
	;; [unrolled: 1-line block ×15, first 2 shown]
	scratch_load_b64 v[222:223], off, off offset:152
	ds_load_b128 v[162:165], v7 offset:736
	ds_load_b128 v[166:169], v7 offset:752
	;; [unrolled: 1-line block ×15, first 2 shown]
	s_mov_b32 s0, exec_lo
	s_wait_dscnt 0xe
	v_dual_mov_b32 v224, v165 :: v_dual_mov_b32 v225, v164
	s_wait_dscnt 0xd
	v_dual_mov_b32 v226, v169 :: v_dual_mov_b32 v227, v168
	;; [unrolled: 2-line block ×4, first 2 shown]
	s_wait_loadcnt_dscnt 0xf0a
	v_dual_mul_f32 v7, v178, v103 :: v_dual_mul_f32 v9, v180, v105
	v_dual_mul_f32 v47, v179, v103 :: v_dual_mul_f32 v49, v181, v105
	s_wait_loadcnt_dscnt 0xe09
	v_dual_mul_f32 v11, v182, v107 :: v_dual_mul_f32 v13, v184, v109
	s_delay_alu instid0(VALU_DEP_3) | instskip(SKIP_3) | instid1(VALU_DEP_3)
	v_dual_fmac_f32 v7, v179, v102 :: v_dual_fmac_f32 v9, v181, v104
	s_wait_loadcnt_dscnt 0xc06
	v_dual_fma_f32 v47, v178, v102, -v47 :: v_dual_mul_f32 v59, v195, v115
	v_dual_mul_f32 v51, v183, v107 :: v_dual_mul_f32 v53, v185, v109
	v_dual_fma_f32 v49, v180, v104, -v49 :: v_dual_add_f32 v7, 0, v7
	s_delay_alu instid0(VALU_DEP_3) | instskip(SKIP_1) | instid1(VALU_DEP_3)
	v_dual_add_f32 v47, 0, v47 :: v_dual_mul_f32 v61, v197, v117
	v_dual_fmac_f32 v11, v183, v106 :: v_dual_fmac_f32 v13, v185, v108
	v_dual_fma_f32 v51, v182, v106, -v51 :: v_dual_add_f32 v7, v7, v9
	s_delay_alu instid0(VALU_DEP_3) | instskip(SKIP_2) | instid1(VALU_DEP_4)
	v_dual_add_f32 v9, v47, v49 :: v_dual_fma_f32 v49, v184, v108, -v53
	v_dual_mul_f32 v15, v190, v111 :: v_dual_mul_f32 v17, v192, v113
	v_dual_mul_f32 v55, v191, v111 :: v_dual_mul_f32 v57, v193, v113
	v_add_f32_e32 v7, v7, v11
	s_delay_alu instid0(VALU_DEP_3) | instskip(NEXT) | instid1(VALU_DEP_3)
	v_dual_add_f32 v9, v9, v51 :: v_dual_fmac_f32 v15, v191, v110
	v_fma_f32 v51, v190, v110, -v55
	v_dual_mul_f32 v19, v194, v115 :: v_dual_mul_f32 v21, v196, v117
	s_delay_alu instid0(VALU_DEP_4) | instskip(SKIP_2) | instid1(VALU_DEP_2)
	v_dual_add_f32 v7, v7, v13 :: v_dual_fmac_f32 v17, v193, v112
	s_wait_loadcnt_dscnt 0xa04
	v_dual_add_f32 v9, v9, v49 :: v_dual_mul_f32 v13, v203, v123
	v_dual_fma_f32 v49, v192, v112, -v57 :: v_dual_add_f32 v7, v7, v15
	v_mul_f32_e32 v15, v205, v125
	s_delay_alu instid0(VALU_DEP_3) | instskip(NEXT) | instid1(VALU_DEP_3)
	v_dual_add_f32 v9, v9, v51 :: v_dual_fmac_f32 v19, v195, v114
	v_dual_fma_f32 v51, v194, v114, -v59 :: v_dual_add_f32 v7, v7, v17
	v_fmac_f32_e32 v21, v197, v116
	s_wait_loadcnt_dscnt 0x903
	s_delay_alu instid0(VALU_DEP_3) | instskip(SKIP_3) | instid1(VALU_DEP_3)
	v_dual_add_f32 v9, v9, v49 :: v_dual_mul_f32 v17, v207, v127
	v_dual_mul_f32 v23, v198, v119 :: v_dual_mul_f32 v25, v200, v121
	v_dual_mul_f32 v47, v199, v119 :: v_dual_mul_f32 v11, v201, v121
	v_dual_fma_f32 v49, v196, v116, -v61 :: v_dual_add_f32 v7, v7, v19
	v_dual_add_f32 v9, v9, v51 :: v_dual_fmac_f32 v23, v199, v118
	s_delay_alu instid0(VALU_DEP_3) | instskip(NEXT) | instid1(VALU_DEP_3)
	v_dual_mul_f32 v19, v209, v129 :: v_dual_fma_f32 v47, v198, v118, -v47
	v_dual_add_f32 v7, v7, v21 :: v_dual_fmac_f32 v25, v201, v120
	s_wait_loadcnt_dscnt 0x802
	s_delay_alu instid0(VALU_DEP_3) | instskip(SKIP_1) | instid1(VALU_DEP_3)
	v_dual_add_f32 v9, v9, v49 :: v_dual_mul_f32 v21, v211, v131
	v_dual_mul_f32 v27, v202, v123 :: v_dual_mul_f32 v29, v204, v125
	v_dual_fma_f32 v11, v200, v120, -v11 :: v_dual_add_f32 v7, v7, v23
	s_delay_alu instid0(VALU_DEP_2) | instskip(SKIP_1) | instid1(VALU_DEP_2)
	v_dual_add_f32 v9, v9, v47 :: v_dual_fmac_f32 v27, v203, v122
	v_dual_mul_f32 v23, v213, v133 :: v_dual_fma_f32 v13, v202, v122, -v13
	v_dual_add_f32 v7, v7, v25 :: v_dual_add_f32 v9, v9, v11
	v_dual_mul_f32 v31, v206, v127 :: v_dual_mul_f32 v33, v208, v129
	s_wait_loadcnt_dscnt 0x701
	v_dual_mul_f32 v11, v215, v135 :: v_dual_fmac_f32 v29, v205, v124
	s_delay_alu instid0(VALU_DEP_3) | instskip(NEXT) | instid1(VALU_DEP_3)
	v_dual_fma_f32 v15, v204, v124, -v15 :: v_dual_add_f32 v7, v7, v27
	v_dual_add_f32 v9, v9, v13 :: v_dual_fmac_f32 v31, v207, v126
	v_dual_mul_f32 v13, v217, v137 :: v_dual_fma_f32 v17, v206, v126, -v17
	s_delay_alu instid0(VALU_DEP_2) | instskip(SKIP_3) | instid1(VALU_DEP_3)
	v_dual_add_f32 v7, v7, v29 :: v_dual_add_f32 v9, v9, v15
	v_dual_mul_f32 v35, v210, v131 :: v_dual_mul_f32 v37, v212, v133
	s_wait_loadcnt_dscnt 0x600
	v_dual_mul_f32 v15, v219, v139 :: v_dual_fmac_f32 v33, v209, v128
	v_dual_fma_f32 v19, v208, v128, -v19 :: v_dual_add_f32 v7, v7, v31
	s_delay_alu instid0(VALU_DEP_3) | instskip(SKIP_1) | instid1(VALU_DEP_2)
	v_dual_add_f32 v9, v9, v17 :: v_dual_fmac_f32 v35, v211, v130
	v_dual_mul_f32 v17, v221, v141 :: v_dual_fma_f32 v21, v210, v130, -v21
	v_dual_add_f32 v7, v7, v33 :: v_dual_add_f32 v9, v9, v19
	v_dual_mul_f32 v39, v214, v135 :: v_dual_mul_f32 v41, v216, v137
	s_wait_loadcnt 0x5
	v_dual_mul_f32 v19, v187, v143 :: v_dual_fmac_f32 v37, v213, v132
	s_delay_alu instid0(VALU_DEP_3) | instskip(NEXT) | instid1(VALU_DEP_3)
	v_dual_fma_f32 v23, v212, v132, -v23 :: v_dual_add_f32 v7, v7, v35
	v_dual_add_f32 v9, v9, v21 :: v_dual_fmac_f32 v39, v215, v134
	v_dual_mul_f32 v21, v189, v145 :: v_dual_fma_f32 v11, v214, v134, -v11
	s_delay_alu instid0(VALU_DEP_2) | instskip(SKIP_1) | instid1(VALU_DEP_2)
	v_dual_add_f32 v7, v7, v37 :: v_dual_add_f32 v9, v9, v23
	v_dual_mul_f32 v43, v218, v139 :: v_dual_mul_f32 v45, v220, v141
	v_dual_fmac_f32 v41, v217, v136 :: v_dual_add_f32 v7, v7, v39
	s_delay_alu instid0(VALU_DEP_3) | instskip(SKIP_1) | instid1(VALU_DEP_3)
	v_dual_fma_f32 v13, v216, v136, -v13 :: v_dual_add_f32 v9, v9, v11
	s_wait_loadcnt 0x4
	v_dual_mov_b32 v104, v149 :: v_dual_fmac_f32 v43, v219, v138
	s_delay_alu instid0(VALU_DEP_3) | instskip(NEXT) | instid1(VALU_DEP_3)
	v_dual_fma_f32 v11, v218, v138, -v15 :: v_dual_add_f32 v7, v7, v41
	v_dual_add_f32 v9, v9, v13 :: v_dual_fma_f32 v13, v220, v140, -v17
	v_dual_mul_f32 v233, v186, v143 :: v_dual_mul_f32 v235, v188, v145
	s_delay_alu instid0(VALU_DEP_3) | instskip(NEXT) | instid1(VALU_DEP_2)
	v_dual_fmac_f32 v45, v221, v140 :: v_dual_add_f32 v7, v7, v43
	v_dual_add_f32 v9, v9, v11 :: v_dual_fmac_f32 v233, v187, v142
	v_pk_mul_f32 v[102:103], v[162:163], v[146:147] op_sel:[1,1] op_sel_hi:[0,1]
	s_wait_loadcnt 0x3
	v_dual_mov_b32 v108, v153 :: v_dual_fma_f32 v232, v186, v142, -v19
	v_dual_add_f32 v111, v7, v45 :: v_dual_fmac_f32 v235, v189, v144
	v_dual_add_f32 v110, v9, v13 :: v_dual_fma_f32 v234, v188, v144, -v21
	v_pk_fma_f32 v[112:113], v[162:163], v[146:147], v[102:103] op_sel_hi:[1,0,1]
	v_pk_mul_f32 v[104:105], v[224:225], v[104:105] op_sel_hi:[1,0]
	v_pk_fma_f32 v[102:103], v[162:163], v[146:147], v[102:103] neg_lo:[0,0,1] neg_hi:[0,0,1]
	s_delay_alu instid0(VALU_DEP_4)
	v_pk_add_f32 v[110:111], v[110:111], v[232:233]
	v_pk_mul_f32 v[106:107], v[166:167], v[150:151] op_sel:[1,1] op_sel_hi:[0,1]
	v_mov_b32_e32 v103, v113
	v_pk_fma_f32 v[112:113], v[164:165], v[148:149], v[104:105] op_sel_hi:[1,0,1]
	v_pk_fma_f32 v[104:105], v[164:165], v[148:149], v[104:105] neg_lo:[0,0,1] neg_hi:[0,0,1]
	v_pk_add_f32 v[110:111], v[110:111], v[234:235]
	v_pk_fma_f32 v[116:117], v[166:167], v[150:151], v[106:107] op_sel_hi:[1,0,1]
	v_pk_mul_f32 v[108:109], v[226:227], v[108:109] op_sel_hi:[1,0]
	v_mov_b32_e32 v105, v113
	s_wait_loadcnt 0x2
	v_pk_mul_f32 v[114:115], v[170:171], v[154:155] op_sel:[1,1] op_sel_hi:[0,1]
	v_pk_add_f32 v[102:103], v[110:111], v[102:103]
	v_mov_b32_e32 v110, v157
	v_pk_fma_f32 v[106:107], v[166:167], v[150:151], v[106:107] neg_lo:[0,0,1] neg_hi:[0,0,1]
	v_mov_b32_e32 v107, v117
	v_pk_fma_f32 v[112:113], v[168:169], v[152:153], v[108:109] op_sel_hi:[1,0,1]
	v_pk_add_f32 v[102:103], v[102:103], v[104:105]
	v_pk_fma_f32 v[104:105], v[170:171], v[154:155], v[114:115] op_sel_hi:[1,0,1]
	v_pk_mul_f32 v[110:111], v[228:229], v[110:111] op_sel_hi:[1,0]
	v_pk_fma_f32 v[108:109], v[168:169], v[152:153], v[108:109] neg_lo:[0,0,1] neg_hi:[0,0,1]
	v_mov_b32_e32 v109, v113
	v_pk_add_f32 v[102:103], v[102:103], v[106:107]
	v_pk_fma_f32 v[112:113], v[170:171], v[154:155], v[114:115] neg_lo:[0,0,1] neg_hi:[0,0,1]
	v_mov_b32_e32 v113, v105
	v_pk_fma_f32 v[104:105], v[172:173], v[156:157], v[110:111] op_sel_hi:[1,0,1]
	s_wait_loadcnt 0x1
	v_pk_mul_f32 v[106:107], v[174:175], v[158:159] op_sel:[1,1] op_sel_hi:[0,1]
	v_pk_add_f32 v[102:103], v[102:103], v[108:109]
	v_mov_b32_e32 v104, v161
	v_pk_fma_f32 v[110:111], v[172:173], v[156:157], v[110:111] neg_lo:[0,0,1] neg_hi:[0,0,1]
	v_mov_b32_e32 v111, v105
	v_pk_fma_f32 v[108:109], v[174:175], v[158:159], v[106:107] op_sel_hi:[1,0,1]
	v_pk_add_f32 v[102:103], v[102:103], v[112:113]
	v_pk_mul_f32 v[104:105], v[230:231], v[104:105] op_sel_hi:[1,0]
	v_pk_fma_f32 v[106:107], v[174:175], v[158:159], v[106:107] neg_lo:[0,0,1] neg_hi:[0,0,1]
	s_delay_alu instid0(VALU_DEP_4) | instskip(NEXT) | instid1(VALU_DEP_4)
	v_mov_b32_e32 v107, v109
	v_pk_add_f32 v[102:103], v[102:103], v[110:111]
	s_delay_alu instid0(VALU_DEP_4) | instskip(SKIP_1) | instid1(VALU_DEP_2)
	v_pk_fma_f32 v[108:109], v[176:177], v[160:161], v[104:105] op_sel_hi:[1,0,1]
	v_pk_fma_f32 v[104:105], v[176:177], v[160:161], v[104:105] neg_lo:[0,0,1] neg_hi:[0,0,1]
	v_mov_b32_e32 v105, v109
	s_delay_alu instid0(VALU_DEP_4) | instskip(NEXT) | instid1(VALU_DEP_1)
	v_pk_add_f32 v[102:103], v[102:103], v[106:107]
	v_pk_add_f32 v[102:103], v[102:103], v[104:105]
	s_wait_loadcnt 0x0
	s_delay_alu instid0(VALU_DEP_1)
	v_pk_add_f32 v[102:103], v[222:223], v[102:103] neg_lo:[0,1] neg_hi:[0,1]
	scratch_store_b64 off, v[102:103], off offset:152
	s_wait_xcnt 0x0
	v_cmpx_lt_u32_e32 18, v0
	s_cbranch_execz .LBB49_277
; %bb.276:
	scratch_load_b64 v[102:103], off, off offset:144
	v_mov_b64_e32 v[104:105], 0
	scratch_store_b64 off, v[104:105], off offset:144
	s_wait_loadcnt 0x0
	ds_store_b64 v1, v[102:103]
.LBB49_277:
	s_wait_xcnt 0x0
	s_or_b32 exec_lo, exec_lo, s0
	s_wait_storecnt_dscnt 0x0
	s_barrier_signal -1
	s_barrier_wait -1
	s_clause 0x10
	scratch_load_b128 v[102:105], off, off offset:152
	scratch_load_b128 v[106:109], off, off offset:168
	;; [unrolled: 1-line block ×15, first 2 shown]
	scratch_load_b64 v[222:223], off, off offset:392
	scratch_load_b64 v[224:225], off, off offset:144
	v_mov_b32_e32 v7, 0
	ds_load_2addr_b64 v[162:165], v7 offset0:91 offset1:92
	ds_load_2addr_b64 v[166:169], v7 offset0:93 offset1:94
	;; [unrolled: 1-line block ×15, first 2 shown]
	ds_load_b64 v[226:227], v7 offset:792
	s_mov_b32 s0, exec_lo
	s_wait_dscnt 0xf
	v_dual_mov_b32 v228, v165 :: v_dual_mov_b32 v229, v164
	s_wait_dscnt 0xc
	v_dual_mov_b32 v230, v169 :: v_dual_mov_b32 v235, v176
	v_dual_mov_b32 v231, v168 :: v_dual_mov_b32 v232, v173
	;; [unrolled: 1-line block ×3, first 2 shown]
	s_wait_loadcnt_dscnt 0x100b
	v_dual_mul_f32 v9, v178, v103 :: v_dual_mul_f32 v51, v179, v103
	v_dual_mul_f32 v53, v181, v105 :: v_dual_mul_f32 v11, v180, v105
	s_wait_loadcnt_dscnt 0xf09
	v_mul_f32_e32 v13, v186, v107
	s_wait_loadcnt_dscnt 0xd07
	v_dual_mul_f32 v63, v195, v115 :: v_dual_fma_f32 v51, v178, v102, -v51
	v_dual_fmac_f32 v9, v179, v102 :: v_dual_mul_f32 v65, v197, v117
	v_dual_mul_f32 v55, v187, v107 :: v_dual_mul_f32 v57, v189, v109
	v_dual_fmac_f32 v11, v181, v104 :: v_dual_fma_f32 v53, v180, v104, -v53
	s_delay_alu instid0(VALU_DEP_3) | instskip(SKIP_3) | instid1(VALU_DEP_3)
	v_dual_add_f32 v9, 0, v9 :: v_dual_add_f32 v51, 0, v51
	v_dual_mul_f32 v15, v188, v109 :: v_dual_mul_f32 v17, v190, v111
	s_wait_loadcnt_dscnt 0xc06
	v_dual_mul_f32 v67, v199, v119 :: v_dual_fma_f32 v55, v186, v106, -v55
	v_dual_fmac_f32 v13, v187, v106 :: v_dual_add_f32 v9, v9, v11
	s_delay_alu instid0(VALU_DEP_3) | instskip(SKIP_2) | instid1(VALU_DEP_3)
	v_dual_add_f32 v11, v51, v53 :: v_dual_fmac_f32 v15, v189, v108
	v_dual_mul_f32 v59, v191, v111 :: v_dual_mul_f32 v61, v193, v113
	v_dual_mul_f32 v51, v201, v121 :: v_dual_fma_f32 v53, v188, v108, -v57
	v_dual_add_f32 v9, v9, v13 :: v_dual_add_f32 v11, v11, v55
	v_dual_mul_f32 v19, v192, v113 :: v_dual_mul_f32 v21, v194, v115
	s_wait_loadcnt_dscnt 0xb05
	v_dual_mul_f32 v13, v203, v123 :: v_dual_fma_f32 v55, v190, v110, -v59
	s_delay_alu instid0(VALU_DEP_3) | instskip(NEXT) | instid1(VALU_DEP_3)
	v_dual_fmac_f32 v17, v191, v110 :: v_dual_add_f32 v9, v9, v15
	v_dual_add_f32 v11, v11, v53 :: v_dual_fmac_f32 v19, v193, v112
	v_dual_mul_f32 v15, v205, v125 :: v_dual_fma_f32 v53, v192, v112, -v61
	s_delay_alu instid0(VALU_DEP_2) | instskip(SKIP_3) | instid1(VALU_DEP_3)
	v_dual_add_f32 v9, v9, v17 :: v_dual_add_f32 v11, v11, v55
	v_dual_mul_f32 v23, v196, v117 :: v_dual_mul_f32 v25, v198, v119
	s_wait_loadcnt_dscnt 0xa04
	v_dual_mul_f32 v17, v207, v127 :: v_dual_fma_f32 v55, v194, v114, -v63
	v_dual_fmac_f32 v21, v195, v114 :: v_dual_add_f32 v9, v9, v19
	s_delay_alu instid0(VALU_DEP_3) | instskip(SKIP_1) | instid1(VALU_DEP_2)
	v_dual_add_f32 v11, v11, v53 :: v_dual_fmac_f32 v23, v197, v116
	v_dual_mul_f32 v19, v209, v129 :: v_dual_fma_f32 v53, v196, v116, -v65
	v_dual_add_f32 v9, v9, v21 :: v_dual_add_f32 v11, v11, v55
	v_dual_mul_f32 v27, v200, v121 :: v_dual_mul_f32 v29, v202, v123
	s_wait_loadcnt_dscnt 0x903
	v_dual_mul_f32 v21, v211, v131 :: v_dual_fma_f32 v55, v198, v118, -v67
	s_delay_alu instid0(VALU_DEP_3) | instskip(NEXT) | instid1(VALU_DEP_3)
	v_dual_fmac_f32 v25, v199, v118 :: v_dual_add_f32 v9, v9, v23
	v_dual_add_f32 v11, v11, v53 :: v_dual_fmac_f32 v27, v201, v120
	v_dual_mul_f32 v23, v213, v133 :: v_dual_fma_f32 v51, v200, v120, -v51
	s_delay_alu instid0(VALU_DEP_2) | instskip(SKIP_3) | instid1(VALU_DEP_3)
	v_dual_add_f32 v9, v9, v25 :: v_dual_add_f32 v11, v11, v55
	v_dual_mul_f32 v31, v204, v125 :: v_dual_mul_f32 v33, v206, v127
	s_wait_loadcnt_dscnt 0x802
	v_dual_mul_f32 v25, v215, v135 :: v_dual_fma_f32 v13, v202, v122, -v13
	v_dual_fmac_f32 v29, v203, v122 :: v_dual_add_f32 v9, v9, v27
	v_dual_add_f32 v11, v11, v51 :: v_dual_mul_f32 v27, v217, v137
	v_fmac_f32_e32 v31, v205, v124
	s_delay_alu instid0(VALU_DEP_3) | instskip(NEXT) | instid1(VALU_DEP_3)
	v_dual_fma_f32 v15, v204, v124, -v15 :: v_dual_add_f32 v9, v9, v29
	v_add_f32_e32 v11, v11, v13
	v_dual_mul_f32 v35, v208, v129 :: v_dual_mul_f32 v37, v210, v131
	s_wait_loadcnt_dscnt 0x701
	v_dual_mul_f32 v13, v219, v139 :: v_dual_fma_f32 v17, v206, v126, -v17
	v_dual_fmac_f32 v33, v207, v126 :: v_dual_add_f32 v9, v9, v31
	v_dual_add_f32 v11, v11, v15 :: v_dual_mul_f32 v15, v221, v141
	v_fmac_f32_e32 v35, v209, v128
	s_delay_alu instid0(VALU_DEP_3) | instskip(NEXT) | instid1(VALU_DEP_3)
	v_dual_fma_f32 v19, v208, v128, -v19 :: v_dual_add_f32 v9, v9, v33
	v_add_f32_e32 v11, v11, v17
	v_dual_mul_f32 v39, v212, v133 :: v_dual_mul_f32 v41, v214, v135
	s_wait_loadcnt 0x6
	v_dual_mul_f32 v17, v183, v143 :: v_dual_fma_f32 v21, v210, v130, -v21
	v_dual_fmac_f32 v37, v211, v130 :: v_dual_add_f32 v9, v9, v35
	v_dual_add_f32 v11, v11, v19 :: v_dual_mul_f32 v19, v185, v145
	v_fmac_f32_e32 v39, v213, v132
	s_delay_alu instid0(VALU_DEP_3) | instskip(NEXT) | instid1(VALU_DEP_3)
	v_dual_fma_f32 v23, v212, v132, -v23 :: v_dual_add_f32 v9, v9, v37
	v_add_f32_e32 v11, v11, v21
	v_dual_mul_f32 v43, v216, v137 :: v_dual_mul_f32 v45, v218, v139
	s_wait_loadcnt 0x5
	v_dual_mul_f32 v21, v163, v147 :: v_dual_fma_f32 v25, v214, v134, -v25
	v_dual_fmac_f32 v41, v215, v134 :: v_dual_add_f32 v9, v9, v39
	v_dual_add_f32 v11, v11, v23 :: v_dual_mov_b32 v102, v149
	v_fmac_f32_e32 v43, v217, v136
	s_delay_alu instid0(VALU_DEP_3) | instskip(NEXT) | instid1(VALU_DEP_3)
	v_dual_fma_f32 v23, v216, v136, -v27 :: v_dual_add_f32 v9, v9, v41
	v_add_f32_e32 v11, v11, v25
	v_dual_mul_f32 v47, v220, v141 :: v_dual_mul_f32 v49, v182, v143
	s_delay_alu instid0(VALU_DEP_3) | instskip(NEXT) | instid1(VALU_DEP_3)
	v_dual_fmac_f32 v45, v219, v138 :: v_dual_add_f32 v9, v9, v43
	v_dual_fma_f32 v13, v218, v138, -v13 :: v_dual_add_f32 v11, v11, v23
	s_wait_loadcnt 0x4
	v_dual_mov_b32 v106, v153 :: v_dual_fma_f32 v15, v220, v140, -v15
	v_fmac_f32_e32 v47, v221, v140
	v_dual_add_f32 v9, v9, v45 :: v_dual_fmac_f32 v49, v183, v142
	v_add_f32_e32 v11, v11, v13
	v_dual_mul_f32 v237, v184, v145 :: v_dual_mul_f32 v239, v162, v147
	s_delay_alu instid0(VALU_DEP_3) | instskip(NEXT) | instid1(VALU_DEP_2)
	v_dual_fma_f32 v13, v182, v142, -v17 :: v_dual_add_f32 v9, v9, v47
	v_dual_add_f32 v11, v11, v15 :: v_dual_fmac_f32 v237, v185, v144
	v_fma_f32 v236, v184, v144, -v19
	v_pk_mul_f32 v[102:103], v[228:229], v[102:103] op_sel_hi:[1,0]
	s_delay_alu instid0(VALU_DEP_4)
	v_add_f32_e32 v111, v9, v49
	s_wait_loadcnt 0x3
	v_dual_add_f32 v110, v11, v13 :: v_dual_mov_b32 v112, v157
	v_pk_mul_f32 v[104:105], v[166:167], v[150:151] op_sel:[1,1] op_sel_hi:[0,1]
	v_dual_fmac_f32 v239, v163, v146 :: v_dual_fma_f32 v238, v162, v146, -v21
	v_pk_fma_f32 v[114:115], v[164:165], v[148:149], v[102:103] op_sel_hi:[1,0,1]
	s_delay_alu instid0(VALU_DEP_4)
	v_pk_add_f32 v[110:111], v[110:111], v[236:237]
	v_pk_fma_f32 v[102:103], v[164:165], v[148:149], v[102:103] neg_lo:[0,0,1] neg_hi:[0,0,1]
	v_pk_fma_f32 v[116:117], v[166:167], v[150:151], v[104:105] op_sel_hi:[1,0,1]
	v_pk_mul_f32 v[106:107], v[230:231], v[106:107] op_sel_hi:[1,0]
	v_mov_b32_e32 v103, v115
	v_pk_add_f32 v[110:111], v[110:111], v[238:239]
	v_pk_fma_f32 v[104:105], v[166:167], v[150:151], v[104:105] neg_lo:[0,0,1] neg_hi:[0,0,1]
	v_pk_mul_f32 v[108:109], v[170:171], v[154:155] op_sel:[1,1] op_sel_hi:[0,1]
	v_mov_b32_e32 v105, v117
	v_pk_fma_f32 v[116:117], v[168:169], v[152:153], v[106:107] op_sel_hi:[1,0,1]
	v_pk_add_f32 v[102:103], v[110:111], v[102:103]
	v_pk_fma_f32 v[106:107], v[168:169], v[152:153], v[106:107] neg_lo:[0,0,1] neg_hi:[0,0,1]
	v_pk_fma_f32 v[110:111], v[170:171], v[154:155], v[108:109] op_sel_hi:[1,0,1]
	v_pk_mul_f32 v[112:113], v[232:233], v[112:113] op_sel_hi:[1,0]
	v_mov_b32_e32 v107, v117
	v_pk_add_f32 v[102:103], v[102:103], v[104:105]
	v_pk_fma_f32 v[108:109], v[170:171], v[154:155], v[108:109] neg_lo:[0,0,1] neg_hi:[0,0,1]
	s_wait_loadcnt 0x2
	v_pk_mul_f32 v[114:115], v[174:175], v[158:159] op_sel:[1,1] op_sel_hi:[0,1]
	v_dual_mov_b32 v104, v161 :: v_dual_mov_b32 v109, v111
	v_pk_fma_f32 v[110:111], v[172:173], v[156:157], v[112:113] op_sel_hi:[1,0,1]
	v_pk_add_f32 v[102:103], v[102:103], v[106:107]
	v_pk_fma_f32 v[112:113], v[172:173], v[156:157], v[112:113] neg_lo:[0,0,1] neg_hi:[0,0,1]
	v_pk_fma_f32 v[106:107], v[174:175], v[158:159], v[114:115] op_sel_hi:[1,0,1]
	v_pk_mul_f32 v[104:105], v[234:235], v[104:105] op_sel_hi:[1,0]
	v_mov_b32_e32 v113, v111
	v_pk_add_f32 v[102:103], v[102:103], v[108:109]
	v_pk_fma_f32 v[108:109], v[174:175], v[158:159], v[114:115] neg_lo:[0,0,1] neg_hi:[0,0,1]
	v_mov_b32_e32 v109, v107
	v_pk_fma_f32 v[106:107], v[176:177], v[160:161], v[104:105] op_sel_hi:[1,0,1]
	s_wait_loadcnt_dscnt 0x100
	v_pk_mul_f32 v[110:111], v[226:227], v[222:223] op_sel:[1,1] op_sel_hi:[0,1]
	v_pk_add_f32 v[102:103], v[102:103], v[112:113]
	v_pk_fma_f32 v[104:105], v[176:177], v[160:161], v[104:105] neg_lo:[0,0,1] neg_hi:[0,0,1]
	v_mov_b32_e32 v105, v107
	s_delay_alu instid0(VALU_DEP_4) | instskip(NEXT) | instid1(VALU_DEP_4)
	v_pk_fma_f32 v[106:107], v[226:227], v[222:223], v[110:111] op_sel_hi:[1,0,1]
	v_pk_add_f32 v[102:103], v[102:103], v[108:109]
	v_pk_fma_f32 v[108:109], v[226:227], v[222:223], v[110:111] neg_lo:[0,0,1] neg_hi:[0,0,1]
	s_delay_alu instid0(VALU_DEP_3) | instskip(NEXT) | instid1(VALU_DEP_3)
	v_mov_b32_e32 v109, v107
	v_pk_add_f32 v[102:103], v[102:103], v[104:105]
	s_delay_alu instid0(VALU_DEP_1) | instskip(SKIP_1) | instid1(VALU_DEP_1)
	v_pk_add_f32 v[102:103], v[102:103], v[108:109]
	s_wait_loadcnt 0x0
	v_pk_add_f32 v[102:103], v[224:225], v[102:103] neg_lo:[0,1] neg_hi:[0,1]
	scratch_store_b64 off, v[102:103], off offset:144
	s_wait_xcnt 0x0
	v_cmpx_lt_u32_e32 17, v0
	s_cbranch_execz .LBB49_279
; %bb.278:
	scratch_load_b64 v[102:103], off, off offset:136
	v_mov_b64_e32 v[104:105], 0
	scratch_store_b64 off, v[104:105], off offset:136
	s_wait_loadcnt 0x0
	ds_store_b64 v1, v[102:103]
.LBB49_279:
	s_wait_xcnt 0x0
	s_or_b32 exec_lo, exec_lo, s0
	s_wait_storecnt_dscnt 0x0
	s_barrier_signal -1
	s_barrier_wait -1
	s_clause 0x10
	scratch_load_b128 v[102:105], off, off offset:144
	scratch_load_b128 v[106:109], off, off offset:160
	;; [unrolled: 1-line block ×16, first 2 shown]
	scratch_load_b64 v[230:231], off, off offset:136
	ds_load_b128 v[166:169], v7 offset:736
	ds_load_b128 v[170:173], v7 offset:752
	;; [unrolled: 1-line block ×16, first 2 shown]
	s_mov_b32 s0, exec_lo
	s_wait_dscnt 0xf
	v_dual_mov_b32 v232, v169 :: v_dual_mov_b32 v233, v168
	s_wait_dscnt 0xe
	v_dual_mov_b32 v234, v173 :: v_dual_mov_b32 v235, v172
	;; [unrolled: 2-line block ×4, first 2 shown]
	s_wait_loadcnt_dscnt 0x100b
	v_dual_mul_f32 v7, v182, v103 :: v_dual_mul_f32 v9, v184, v105
	v_dual_mul_f32 v51, v183, v103 :: v_dual_mul_f32 v53, v185, v105
	s_wait_loadcnt_dscnt 0xf0a
	v_dual_mul_f32 v11, v186, v107 :: v_dual_mul_f32 v13, v188, v109
	s_delay_alu instid0(VALU_DEP_3) | instskip(SKIP_3) | instid1(VALU_DEP_3)
	v_dual_fmac_f32 v7, v183, v102 :: v_dual_fmac_f32 v9, v185, v104
	s_wait_loadcnt_dscnt 0xd08
	v_dual_fma_f32 v51, v182, v102, -v51 :: v_dual_mul_f32 v63, v195, v115
	v_dual_mul_f32 v55, v187, v107 :: v_dual_mul_f32 v57, v189, v109
	v_dual_fma_f32 v53, v184, v104, -v53 :: v_dual_add_f32 v7, 0, v7
	s_delay_alu instid0(VALU_DEP_3) | instskip(SKIP_1) | instid1(VALU_DEP_3)
	v_dual_add_f32 v51, 0, v51 :: v_dual_mul_f32 v65, v197, v117
	v_dual_fmac_f32 v11, v187, v106 :: v_dual_fmac_f32 v13, v189, v108
	v_dual_fma_f32 v55, v186, v106, -v55 :: v_dual_add_f32 v7, v7, v9
	s_delay_alu instid0(VALU_DEP_3) | instskip(SKIP_2) | instid1(VALU_DEP_4)
	v_dual_add_f32 v9, v51, v53 :: v_dual_fma_f32 v53, v188, v108, -v57
	v_dual_mul_f32 v15, v190, v111 :: v_dual_mul_f32 v17, v192, v113
	v_dual_mul_f32 v59, v191, v111 :: v_dual_mul_f32 v61, v193, v113
	v_add_f32_e32 v7, v7, v11
	s_delay_alu instid0(VALU_DEP_3) | instskip(NEXT) | instid1(VALU_DEP_3)
	v_dual_add_f32 v9, v9, v55 :: v_dual_fmac_f32 v15, v191, v110
	v_fma_f32 v55, v190, v110, -v59
	v_dual_mul_f32 v19, v194, v115 :: v_dual_mul_f32 v21, v196, v117
	s_delay_alu instid0(VALU_DEP_4) | instskip(SKIP_2) | instid1(VALU_DEP_2)
	v_dual_add_f32 v7, v7, v13 :: v_dual_fmac_f32 v17, v193, v112
	s_wait_loadcnt_dscnt 0xb06
	v_dual_add_f32 v9, v9, v53 :: v_dual_mul_f32 v13, v203, v123
	v_dual_fma_f32 v53, v192, v112, -v61 :: v_dual_add_f32 v7, v7, v15
	v_mul_f32_e32 v15, v205, v125
	s_delay_alu instid0(VALU_DEP_3) | instskip(NEXT) | instid1(VALU_DEP_3)
	v_dual_add_f32 v9, v9, v55 :: v_dual_fmac_f32 v19, v195, v114
	v_dual_fma_f32 v55, v194, v114, -v63 :: v_dual_add_f32 v7, v7, v17
	v_fmac_f32_e32 v21, v197, v116
	s_wait_loadcnt_dscnt 0xa05
	s_delay_alu instid0(VALU_DEP_3) | instskip(SKIP_3) | instid1(VALU_DEP_3)
	v_dual_add_f32 v9, v9, v53 :: v_dual_mul_f32 v17, v207, v127
	v_dual_mul_f32 v23, v198, v119 :: v_dual_mul_f32 v25, v200, v121
	v_dual_mul_f32 v51, v199, v119 :: v_dual_mul_f32 v11, v201, v121
	v_dual_fma_f32 v53, v196, v116, -v65 :: v_dual_add_f32 v7, v7, v19
	v_dual_add_f32 v9, v9, v55 :: v_dual_fmac_f32 v23, v199, v118
	s_delay_alu instid0(VALU_DEP_3) | instskip(NEXT) | instid1(VALU_DEP_3)
	v_dual_mul_f32 v19, v209, v129 :: v_dual_fma_f32 v51, v198, v118, -v51
	v_dual_add_f32 v7, v7, v21 :: v_dual_fmac_f32 v25, v201, v120
	s_wait_loadcnt_dscnt 0x904
	s_delay_alu instid0(VALU_DEP_3) | instskip(SKIP_1) | instid1(VALU_DEP_3)
	v_dual_add_f32 v9, v9, v53 :: v_dual_mul_f32 v21, v211, v131
	v_dual_mul_f32 v27, v202, v123 :: v_dual_mul_f32 v29, v204, v125
	v_dual_fma_f32 v11, v200, v120, -v11 :: v_dual_add_f32 v7, v7, v23
	s_delay_alu instid0(VALU_DEP_2) | instskip(SKIP_1) | instid1(VALU_DEP_2)
	v_dual_add_f32 v9, v9, v51 :: v_dual_fmac_f32 v27, v203, v122
	v_dual_mul_f32 v23, v213, v133 :: v_dual_fma_f32 v13, v202, v122, -v13
	v_dual_add_f32 v7, v7, v25 :: v_dual_add_f32 v9, v9, v11
	v_dual_mul_f32 v31, v206, v127 :: v_dual_mul_f32 v33, v208, v129
	s_wait_loadcnt_dscnt 0x803
	v_dual_mul_f32 v11, v215, v135 :: v_dual_fmac_f32 v29, v205, v124
	s_delay_alu instid0(VALU_DEP_3) | instskip(NEXT) | instid1(VALU_DEP_3)
	v_dual_fma_f32 v15, v204, v124, -v15 :: v_dual_add_f32 v7, v7, v27
	v_dual_add_f32 v9, v9, v13 :: v_dual_fmac_f32 v31, v207, v126
	v_dual_mul_f32 v13, v217, v137 :: v_dual_fma_f32 v17, v206, v126, -v17
	s_delay_alu instid0(VALU_DEP_2) | instskip(SKIP_3) | instid1(VALU_DEP_3)
	v_dual_add_f32 v7, v7, v29 :: v_dual_add_f32 v9, v9, v15
	v_dual_mul_f32 v35, v210, v131 :: v_dual_mul_f32 v37, v212, v133
	s_wait_loadcnt_dscnt 0x702
	v_dual_mul_f32 v15, v219, v139 :: v_dual_fmac_f32 v33, v209, v128
	v_dual_fma_f32 v19, v208, v128, -v19 :: v_dual_add_f32 v7, v7, v31
	s_delay_alu instid0(VALU_DEP_3) | instskip(SKIP_1) | instid1(VALU_DEP_2)
	v_dual_add_f32 v9, v9, v17 :: v_dual_fmac_f32 v35, v211, v130
	v_dual_mul_f32 v17, v221, v141 :: v_dual_fma_f32 v21, v210, v130, -v21
	v_dual_add_f32 v7, v7, v33 :: v_dual_add_f32 v9, v9, v19
	v_dual_mul_f32 v39, v214, v135 :: v_dual_mul_f32 v41, v216, v137
	s_wait_loadcnt_dscnt 0x601
	v_dual_mul_f32 v19, v223, v143 :: v_dual_fmac_f32 v37, v213, v132
	s_delay_alu instid0(VALU_DEP_3) | instskip(NEXT) | instid1(VALU_DEP_3)
	v_dual_fma_f32 v23, v212, v132, -v23 :: v_dual_add_f32 v7, v7, v35
	v_dual_add_f32 v9, v9, v21 :: v_dual_fmac_f32 v39, v215, v134
	v_dual_mul_f32 v21, v225, v145 :: v_dual_fma_f32 v11, v214, v134, -v11
	s_delay_alu instid0(VALU_DEP_2) | instskip(SKIP_3) | instid1(VALU_DEP_3)
	v_dual_add_f32 v7, v7, v37 :: v_dual_add_f32 v9, v9, v23
	v_dual_mul_f32 v43, v218, v139 :: v_dual_mul_f32 v45, v220, v141
	s_wait_loadcnt_dscnt 0x500
	v_dual_mul_f32 v23, v227, v147 :: v_dual_fmac_f32 v41, v217, v136
	v_dual_fma_f32 v13, v216, v136, -v13 :: v_dual_add_f32 v7, v7, v39
	s_delay_alu instid0(VALU_DEP_3) | instskip(SKIP_1) | instid1(VALU_DEP_3)
	v_dual_add_f32 v9, v9, v11 :: v_dual_fmac_f32 v43, v219, v138
	v_dual_mul_f32 v11, v229, v149 :: v_dual_fma_f32 v15, v218, v138, -v15
	v_dual_add_f32 v7, v7, v41 :: v_dual_fmac_f32 v45, v221, v140
	s_delay_alu instid0(VALU_DEP_3) | instskip(SKIP_2) | instid1(VALU_DEP_3)
	v_dual_add_f32 v9, v9, v13 :: v_dual_fma_f32 v13, v220, v140, -v17
	v_dual_mul_f32 v47, v222, v143 :: v_dual_mul_f32 v49, v224, v145
	s_wait_loadcnt 0x4
	v_dual_add_f32 v7, v7, v43 :: v_dual_mov_b32 v104, v153
	s_delay_alu instid0(VALU_DEP_2) | instskip(NEXT) | instid1(VALU_DEP_2)
	v_dual_add_f32 v9, v9, v15 :: v_dual_fmac_f32 v47, v223, v142
	v_dual_fma_f32 v15, v222, v142, -v19 :: v_dual_add_f32 v7, v7, v45
	v_dual_mul_f32 v241, v226, v147 :: v_dual_mul_f32 v243, v228, v149
	s_delay_alu instid0(VALU_DEP_3) | instskip(NEXT) | instid1(VALU_DEP_3)
	v_dual_add_f32 v9, v9, v13 :: v_dual_fma_f32 v13, v224, v144, -v21
	v_dual_fmac_f32 v49, v225, v144 :: v_dual_add_f32 v7, v7, v47
	v_pk_mul_f32 v[102:103], v[166:167], v[150:151] op_sel:[1,1] op_sel_hi:[0,1]
	s_delay_alu instid0(VALU_DEP_3) | instskip(SKIP_3) | instid1(VALU_DEP_3)
	v_dual_add_f32 v9, v9, v15 :: v_dual_fmac_f32 v241, v227, v146
	s_wait_loadcnt 0x3
	v_dual_mov_b32 v108, v157 :: v_dual_fma_f32 v240, v226, v146, -v23
	v_dual_add_f32 v111, v7, v49 :: v_dual_fmac_f32 v243, v229, v148
	v_dual_add_f32 v110, v9, v13 :: v_dual_fma_f32 v242, v228, v148, -v11
	v_pk_fma_f32 v[112:113], v[166:167], v[150:151], v[102:103] op_sel_hi:[1,0,1]
	v_pk_mul_f32 v[104:105], v[232:233], v[104:105] op_sel_hi:[1,0]
	v_pk_fma_f32 v[102:103], v[166:167], v[150:151], v[102:103] neg_lo:[0,0,1] neg_hi:[0,0,1]
	s_delay_alu instid0(VALU_DEP_4)
	v_pk_add_f32 v[110:111], v[110:111], v[240:241]
	v_pk_mul_f32 v[106:107], v[170:171], v[154:155] op_sel:[1,1] op_sel_hi:[0,1]
	v_mov_b32_e32 v103, v113
	v_pk_fma_f32 v[112:113], v[168:169], v[152:153], v[104:105] op_sel_hi:[1,0,1]
	v_pk_fma_f32 v[104:105], v[168:169], v[152:153], v[104:105] neg_lo:[0,0,1] neg_hi:[0,0,1]
	v_pk_add_f32 v[110:111], v[110:111], v[242:243]
	v_pk_fma_f32 v[116:117], v[170:171], v[154:155], v[106:107] op_sel_hi:[1,0,1]
	v_pk_mul_f32 v[108:109], v[234:235], v[108:109] op_sel_hi:[1,0]
	v_mov_b32_e32 v105, v113
	s_wait_loadcnt 0x2
	v_pk_mul_f32 v[114:115], v[174:175], v[158:159] op_sel:[1,1] op_sel_hi:[0,1]
	v_pk_add_f32 v[102:103], v[110:111], v[102:103]
	v_mov_b32_e32 v110, v161
	v_pk_fma_f32 v[106:107], v[170:171], v[154:155], v[106:107] neg_lo:[0,0,1] neg_hi:[0,0,1]
	v_mov_b32_e32 v107, v117
	v_pk_fma_f32 v[112:113], v[172:173], v[156:157], v[108:109] op_sel_hi:[1,0,1]
	v_pk_add_f32 v[102:103], v[102:103], v[104:105]
	v_pk_fma_f32 v[104:105], v[174:175], v[158:159], v[114:115] op_sel_hi:[1,0,1]
	v_pk_mul_f32 v[110:111], v[236:237], v[110:111] op_sel_hi:[1,0]
	v_pk_fma_f32 v[108:109], v[172:173], v[156:157], v[108:109] neg_lo:[0,0,1] neg_hi:[0,0,1]
	v_mov_b32_e32 v109, v113
	v_pk_add_f32 v[102:103], v[102:103], v[106:107]
	v_pk_fma_f32 v[112:113], v[174:175], v[158:159], v[114:115] neg_lo:[0,0,1] neg_hi:[0,0,1]
	v_mov_b32_e32 v113, v105
	v_pk_fma_f32 v[104:105], v[176:177], v[160:161], v[110:111] op_sel_hi:[1,0,1]
	s_wait_loadcnt 0x1
	v_pk_mul_f32 v[106:107], v[178:179], v[162:163] op_sel:[1,1] op_sel_hi:[0,1]
	v_pk_add_f32 v[102:103], v[102:103], v[108:109]
	v_mov_b32_e32 v104, v165
	v_pk_fma_f32 v[110:111], v[176:177], v[160:161], v[110:111] neg_lo:[0,0,1] neg_hi:[0,0,1]
	v_mov_b32_e32 v111, v105
	v_pk_fma_f32 v[108:109], v[178:179], v[162:163], v[106:107] op_sel_hi:[1,0,1]
	v_pk_add_f32 v[102:103], v[102:103], v[112:113]
	v_pk_mul_f32 v[104:105], v[238:239], v[104:105] op_sel_hi:[1,0]
	v_pk_fma_f32 v[106:107], v[178:179], v[162:163], v[106:107] neg_lo:[0,0,1] neg_hi:[0,0,1]
	s_delay_alu instid0(VALU_DEP_4) | instskip(NEXT) | instid1(VALU_DEP_4)
	v_mov_b32_e32 v107, v109
	v_pk_add_f32 v[102:103], v[102:103], v[110:111]
	s_delay_alu instid0(VALU_DEP_4) | instskip(SKIP_1) | instid1(VALU_DEP_2)
	v_pk_fma_f32 v[108:109], v[180:181], v[164:165], v[104:105] op_sel_hi:[1,0,1]
	v_pk_fma_f32 v[104:105], v[180:181], v[164:165], v[104:105] neg_lo:[0,0,1] neg_hi:[0,0,1]
	v_mov_b32_e32 v105, v109
	s_delay_alu instid0(VALU_DEP_4) | instskip(NEXT) | instid1(VALU_DEP_1)
	v_pk_add_f32 v[102:103], v[102:103], v[106:107]
	v_pk_add_f32 v[102:103], v[102:103], v[104:105]
	s_wait_loadcnt 0x0
	s_delay_alu instid0(VALU_DEP_1)
	v_pk_add_f32 v[102:103], v[230:231], v[102:103] neg_lo:[0,1] neg_hi:[0,1]
	scratch_store_b64 off, v[102:103], off offset:136
	s_wait_xcnt 0x0
	v_cmpx_lt_u32_e32 16, v0
	s_cbranch_execz .LBB49_281
; %bb.280:
	scratch_load_b64 v[102:103], off, off offset:128
	v_mov_b64_e32 v[104:105], 0
	scratch_store_b64 off, v[104:105], off offset:128
	s_wait_loadcnt 0x0
	ds_store_b64 v1, v[102:103]
.LBB49_281:
	s_wait_xcnt 0x0
	s_or_b32 exec_lo, exec_lo, s0
	s_wait_storecnt_dscnt 0x0
	s_barrier_signal -1
	s_barrier_wait -1
	s_clause 0x11
	scratch_load_b128 v[102:105], off, off offset:136
	scratch_load_b128 v[106:109], off, off offset:152
	;; [unrolled: 1-line block ×16, first 2 shown]
	scratch_load_b64 v[230:231], off, off offset:392
	scratch_load_b64 v[232:233], off, off offset:128
	v_mov_b32_e32 v7, 0
	ds_load_2addr_b64 v[166:169], v7 offset0:91 offset1:92
	ds_load_2addr_b64 v[170:173], v7 offset0:93 offset1:94
	;; [unrolled: 1-line block ×16, first 2 shown]
	ds_load_b64 v[234:235], v7 offset:792
	s_mov_b32 s0, exec_lo
	s_wait_dscnt 0x10
	v_dual_mov_b32 v236, v169 :: v_dual_mov_b32 v237, v168
	s_wait_dscnt 0xd
	v_dual_mov_b32 v238, v173 :: v_dual_mov_b32 v243, v180
	v_dual_mov_b32 v239, v172 :: v_dual_mov_b32 v240, v177
	;; [unrolled: 1-line block ×3, first 2 shown]
	s_wait_loadcnt_dscnt 0x110c
	v_dual_mul_f32 v9, v182, v103 :: v_dual_mul_f32 v55, v183, v103
	v_dual_mul_f32 v57, v185, v105 :: v_dual_mul_f32 v11, v184, v105
	s_wait_loadcnt_dscnt 0x100b
	v_mul_f32_e32 v13, v186, v107
	s_wait_loadcnt_dscnt 0xe09
	v_dual_mul_f32 v67, v195, v115 :: v_dual_fma_f32 v55, v182, v102, -v55
	v_dual_fmac_f32 v9, v183, v102 :: v_dual_mul_f32 v69, v197, v117
	v_dual_mul_f32 v59, v187, v107 :: v_dual_mul_f32 v61, v189, v109
	v_dual_fmac_f32 v11, v185, v104 :: v_dual_fma_f32 v57, v184, v104, -v57
	s_delay_alu instid0(VALU_DEP_3) | instskip(SKIP_3) | instid1(VALU_DEP_3)
	v_dual_add_f32 v9, 0, v9 :: v_dual_add_f32 v55, 0, v55
	v_dual_mul_f32 v15, v188, v109 :: v_dual_mul_f32 v17, v190, v111
	s_wait_loadcnt_dscnt 0xd08
	v_dual_mul_f32 v71, v199, v119 :: v_dual_fma_f32 v59, v186, v106, -v59
	v_dual_fmac_f32 v13, v187, v106 :: v_dual_add_f32 v9, v9, v11
	s_delay_alu instid0(VALU_DEP_3) | instskip(SKIP_2) | instid1(VALU_DEP_3)
	v_dual_add_f32 v11, v55, v57 :: v_dual_fmac_f32 v15, v189, v108
	v_dual_mul_f32 v63, v191, v111 :: v_dual_mul_f32 v65, v193, v113
	v_dual_mul_f32 v55, v201, v121 :: v_dual_fma_f32 v57, v188, v108, -v61
	v_dual_add_f32 v9, v9, v13 :: v_dual_add_f32 v11, v11, v59
	v_dual_mul_f32 v19, v192, v113 :: v_dual_mul_f32 v21, v194, v115
	s_wait_loadcnt_dscnt 0xc07
	v_dual_mul_f32 v13, v203, v123 :: v_dual_fma_f32 v59, v190, v110, -v63
	s_delay_alu instid0(VALU_DEP_3) | instskip(NEXT) | instid1(VALU_DEP_3)
	v_dual_fmac_f32 v17, v191, v110 :: v_dual_add_f32 v9, v9, v15
	v_dual_add_f32 v11, v11, v57 :: v_dual_fmac_f32 v19, v193, v112
	v_dual_mul_f32 v15, v205, v125 :: v_dual_fma_f32 v57, v192, v112, -v65
	s_delay_alu instid0(VALU_DEP_2) | instskip(SKIP_3) | instid1(VALU_DEP_3)
	v_dual_add_f32 v9, v9, v17 :: v_dual_add_f32 v11, v11, v59
	v_dual_mul_f32 v23, v196, v117 :: v_dual_mul_f32 v25, v198, v119
	s_wait_loadcnt_dscnt 0xb06
	v_dual_mul_f32 v17, v207, v127 :: v_dual_fma_f32 v59, v194, v114, -v67
	v_dual_fmac_f32 v21, v195, v114 :: v_dual_add_f32 v9, v9, v19
	s_delay_alu instid0(VALU_DEP_3) | instskip(SKIP_1) | instid1(VALU_DEP_2)
	v_dual_add_f32 v11, v11, v57 :: v_dual_fmac_f32 v23, v197, v116
	v_dual_mul_f32 v19, v209, v129 :: v_dual_fma_f32 v57, v196, v116, -v69
	v_dual_add_f32 v9, v9, v21 :: v_dual_add_f32 v11, v11, v59
	v_dual_mul_f32 v27, v200, v121 :: v_dual_mul_f32 v29, v202, v123
	s_wait_loadcnt_dscnt 0xa05
	v_dual_mul_f32 v21, v211, v131 :: v_dual_fma_f32 v59, v198, v118, -v71
	s_delay_alu instid0(VALU_DEP_3) | instskip(NEXT) | instid1(VALU_DEP_3)
	v_dual_fmac_f32 v25, v199, v118 :: v_dual_add_f32 v9, v9, v23
	v_dual_add_f32 v11, v11, v57 :: v_dual_fmac_f32 v27, v201, v120
	v_dual_mul_f32 v23, v213, v133 :: v_dual_fma_f32 v55, v200, v120, -v55
	s_delay_alu instid0(VALU_DEP_2) | instskip(SKIP_3) | instid1(VALU_DEP_3)
	v_dual_add_f32 v9, v9, v25 :: v_dual_add_f32 v11, v11, v59
	v_dual_mul_f32 v31, v204, v125 :: v_dual_mul_f32 v33, v206, v127
	s_wait_loadcnt_dscnt 0x904
	v_dual_mul_f32 v25, v215, v135 :: v_dual_fma_f32 v13, v202, v122, -v13
	v_dual_fmac_f32 v29, v203, v122 :: v_dual_add_f32 v9, v9, v27
	v_dual_add_f32 v11, v11, v55 :: v_dual_mul_f32 v27, v217, v137
	v_fmac_f32_e32 v31, v205, v124
	s_delay_alu instid0(VALU_DEP_3) | instskip(NEXT) | instid1(VALU_DEP_3)
	v_dual_fma_f32 v15, v204, v124, -v15 :: v_dual_add_f32 v9, v9, v29
	v_add_f32_e32 v11, v11, v13
	v_dual_mul_f32 v35, v208, v129 :: v_dual_mul_f32 v37, v210, v131
	s_wait_loadcnt_dscnt 0x803
	v_dual_mul_f32 v13, v219, v139 :: v_dual_fma_f32 v17, v206, v126, -v17
	v_dual_fmac_f32 v33, v207, v126 :: v_dual_add_f32 v9, v9, v31
	v_dual_add_f32 v11, v11, v15 :: v_dual_mul_f32 v15, v221, v141
	v_fmac_f32_e32 v35, v209, v128
	s_delay_alu instid0(VALU_DEP_3) | instskip(NEXT) | instid1(VALU_DEP_3)
	v_dual_fma_f32 v19, v208, v128, -v19 :: v_dual_add_f32 v9, v9, v33
	v_add_f32_e32 v11, v11, v17
	;; [unrolled: 9-line block ×4, first 2 shown]
	v_dual_mul_f32 v47, v220, v141 :: v_dual_mul_f32 v49, v222, v143
	s_wait_loadcnt 0x5
	v_dual_mul_f32 v25, v167, v151 :: v_dual_fma_f32 v13, v218, v138, -v13
	v_dual_fmac_f32 v45, v219, v138 :: v_dual_add_f32 v9, v9, v43
	v_dual_add_f32 v11, v11, v27 :: v_dual_mov_b32 v102, v153
	v_fmac_f32_e32 v47, v221, v140
	s_delay_alu instid0(VALU_DEP_3) | instskip(NEXT) | instid1(VALU_DEP_3)
	v_dual_fma_f32 v15, v220, v140, -v15 :: v_dual_add_f32 v9, v9, v45
	v_add_f32_e32 v11, v11, v13
	v_dual_mul_f32 v51, v224, v145 :: v_dual_mul_f32 v53, v226, v147
	s_delay_alu instid0(VALU_DEP_3) | instskip(NEXT) | instid1(VALU_DEP_3)
	v_dual_fmac_f32 v49, v223, v142 :: v_dual_add_f32 v9, v9, v47
	v_dual_fma_f32 v13, v222, v142, -v17 :: v_dual_add_f32 v11, v11, v15
	s_wait_loadcnt 0x4
	v_dual_mov_b32 v106, v157 :: v_dual_fma_f32 v15, v224, v144, -v19
	v_fmac_f32_e32 v51, v225, v144
	v_dual_add_f32 v9, v9, v49 :: v_dual_fmac_f32 v53, v227, v146
	v_add_f32_e32 v11, v11, v13
	v_dual_mul_f32 v245, v228, v149 :: v_dual_mul_f32 v247, v166, v151
	s_delay_alu instid0(VALU_DEP_3) | instskip(NEXT) | instid1(VALU_DEP_2)
	v_dual_fma_f32 v13, v226, v146, -v21 :: v_dual_add_f32 v9, v9, v51
	v_dual_add_f32 v11, v11, v15 :: v_dual_fmac_f32 v245, v229, v148
	v_fma_f32 v244, v228, v148, -v23
	v_pk_mul_f32 v[102:103], v[236:237], v[102:103] op_sel_hi:[1,0]
	s_delay_alu instid0(VALU_DEP_4)
	v_add_f32_e32 v111, v9, v53
	s_wait_loadcnt 0x3
	v_dual_add_f32 v110, v11, v13 :: v_dual_mov_b32 v112, v161
	v_pk_mul_f32 v[104:105], v[170:171], v[154:155] op_sel:[1,1] op_sel_hi:[0,1]
	v_dual_fmac_f32 v247, v167, v150 :: v_dual_fma_f32 v246, v166, v150, -v25
	v_pk_fma_f32 v[114:115], v[168:169], v[152:153], v[102:103] op_sel_hi:[1,0,1]
	s_delay_alu instid0(VALU_DEP_4)
	v_pk_add_f32 v[110:111], v[110:111], v[244:245]
	v_pk_fma_f32 v[102:103], v[168:169], v[152:153], v[102:103] neg_lo:[0,0,1] neg_hi:[0,0,1]
	v_pk_fma_f32 v[116:117], v[170:171], v[154:155], v[104:105] op_sel_hi:[1,0,1]
	v_pk_mul_f32 v[106:107], v[238:239], v[106:107] op_sel_hi:[1,0]
	v_mov_b32_e32 v103, v115
	v_pk_add_f32 v[110:111], v[110:111], v[246:247]
	v_pk_fma_f32 v[104:105], v[170:171], v[154:155], v[104:105] neg_lo:[0,0,1] neg_hi:[0,0,1]
	v_pk_mul_f32 v[108:109], v[174:175], v[158:159] op_sel:[1,1] op_sel_hi:[0,1]
	v_mov_b32_e32 v105, v117
	v_pk_fma_f32 v[116:117], v[172:173], v[156:157], v[106:107] op_sel_hi:[1,0,1]
	v_pk_add_f32 v[102:103], v[110:111], v[102:103]
	v_pk_fma_f32 v[106:107], v[172:173], v[156:157], v[106:107] neg_lo:[0,0,1] neg_hi:[0,0,1]
	v_pk_fma_f32 v[110:111], v[174:175], v[158:159], v[108:109] op_sel_hi:[1,0,1]
	v_pk_mul_f32 v[112:113], v[240:241], v[112:113] op_sel_hi:[1,0]
	v_mov_b32_e32 v107, v117
	v_pk_add_f32 v[102:103], v[102:103], v[104:105]
	v_pk_fma_f32 v[108:109], v[174:175], v[158:159], v[108:109] neg_lo:[0,0,1] neg_hi:[0,0,1]
	s_wait_loadcnt 0x2
	v_pk_mul_f32 v[114:115], v[178:179], v[162:163] op_sel:[1,1] op_sel_hi:[0,1]
	v_dual_mov_b32 v104, v165 :: v_dual_mov_b32 v109, v111
	v_pk_fma_f32 v[110:111], v[176:177], v[160:161], v[112:113] op_sel_hi:[1,0,1]
	v_pk_add_f32 v[102:103], v[102:103], v[106:107]
	v_pk_fma_f32 v[112:113], v[176:177], v[160:161], v[112:113] neg_lo:[0,0,1] neg_hi:[0,0,1]
	v_pk_fma_f32 v[106:107], v[178:179], v[162:163], v[114:115] op_sel_hi:[1,0,1]
	v_pk_mul_f32 v[104:105], v[242:243], v[104:105] op_sel_hi:[1,0]
	v_mov_b32_e32 v113, v111
	v_pk_add_f32 v[102:103], v[102:103], v[108:109]
	v_pk_fma_f32 v[108:109], v[178:179], v[162:163], v[114:115] neg_lo:[0,0,1] neg_hi:[0,0,1]
	v_mov_b32_e32 v109, v107
	v_pk_fma_f32 v[106:107], v[180:181], v[164:165], v[104:105] op_sel_hi:[1,0,1]
	s_wait_loadcnt_dscnt 0x100
	v_pk_mul_f32 v[110:111], v[234:235], v[230:231] op_sel:[1,1] op_sel_hi:[0,1]
	v_pk_add_f32 v[102:103], v[102:103], v[112:113]
	v_pk_fma_f32 v[104:105], v[180:181], v[164:165], v[104:105] neg_lo:[0,0,1] neg_hi:[0,0,1]
	v_mov_b32_e32 v105, v107
	s_delay_alu instid0(VALU_DEP_4) | instskip(NEXT) | instid1(VALU_DEP_4)
	v_pk_fma_f32 v[106:107], v[234:235], v[230:231], v[110:111] op_sel_hi:[1,0,1]
	v_pk_add_f32 v[102:103], v[102:103], v[108:109]
	v_pk_fma_f32 v[108:109], v[234:235], v[230:231], v[110:111] neg_lo:[0,0,1] neg_hi:[0,0,1]
	s_delay_alu instid0(VALU_DEP_3) | instskip(NEXT) | instid1(VALU_DEP_3)
	v_mov_b32_e32 v109, v107
	v_pk_add_f32 v[102:103], v[102:103], v[104:105]
	s_delay_alu instid0(VALU_DEP_1) | instskip(SKIP_1) | instid1(VALU_DEP_1)
	v_pk_add_f32 v[102:103], v[102:103], v[108:109]
	s_wait_loadcnt 0x0
	v_pk_add_f32 v[102:103], v[232:233], v[102:103] neg_lo:[0,1] neg_hi:[0,1]
	scratch_store_b64 off, v[102:103], off offset:128
	s_wait_xcnt 0x0
	v_cmpx_lt_u32_e32 15, v0
	s_cbranch_execz .LBB49_283
; %bb.282:
	scratch_load_b64 v[102:103], off, off offset:120
	v_mov_b64_e32 v[104:105], 0
	scratch_store_b64 off, v[104:105], off offset:120
	s_wait_loadcnt 0x0
	ds_store_b64 v1, v[102:103]
.LBB49_283:
	s_wait_xcnt 0x0
	s_or_b32 exec_lo, exec_lo, s0
	s_wait_storecnt_dscnt 0x0
	s_barrier_signal -1
	s_barrier_wait -1
	s_clause 0x11
	scratch_load_b128 v[102:105], off, off offset:128
	scratch_load_b128 v[106:109], off, off offset:144
	;; [unrolled: 1-line block ×17, first 2 shown]
	scratch_load_b64 v[238:239], off, off offset:120
	ds_load_b128 v[170:173], v7 offset:736
	ds_load_b128 v[174:177], v7 offset:752
	;; [unrolled: 1-line block ×17, first 2 shown]
	s_mov_b32 s0, exec_lo
	s_wait_dscnt 0x10
	v_dual_mov_b32 v240, v173 :: v_dual_mov_b32 v241, v172
	s_wait_dscnt 0xf
	v_dual_mov_b32 v242, v177 :: v_dual_mov_b32 v243, v176
	;; [unrolled: 2-line block ×4, first 2 shown]
	s_wait_loadcnt_dscnt 0x110b
	v_dual_mul_f32 v7, v190, v103 :: v_dual_mul_f32 v9, v192, v105
	v_dual_mul_f32 v55, v191, v103 :: v_dual_mul_f32 v57, v193, v105
	s_wait_loadcnt_dscnt 0x100a
	v_dual_mul_f32 v11, v194, v107 :: v_dual_mul_f32 v13, v196, v109
	s_delay_alu instid0(VALU_DEP_3) | instskip(SKIP_3) | instid1(VALU_DEP_3)
	v_dual_fmac_f32 v7, v191, v102 :: v_dual_fmac_f32 v9, v193, v104
	s_wait_loadcnt_dscnt 0xe08
	v_dual_fma_f32 v55, v190, v102, -v55 :: v_dual_mul_f32 v67, v203, v115
	v_dual_mul_f32 v59, v195, v107 :: v_dual_mul_f32 v61, v197, v109
	v_dual_fma_f32 v57, v192, v104, -v57 :: v_dual_add_f32 v7, 0, v7
	s_delay_alu instid0(VALU_DEP_3) | instskip(SKIP_1) | instid1(VALU_DEP_3)
	v_dual_add_f32 v55, 0, v55 :: v_dual_mul_f32 v69, v205, v117
	v_dual_fmac_f32 v11, v195, v106 :: v_dual_fmac_f32 v13, v197, v108
	v_dual_fma_f32 v59, v194, v106, -v59 :: v_dual_add_f32 v7, v7, v9
	s_delay_alu instid0(VALU_DEP_3) | instskip(SKIP_2) | instid1(VALU_DEP_4)
	v_dual_add_f32 v9, v55, v57 :: v_dual_fma_f32 v57, v196, v108, -v61
	v_dual_mul_f32 v15, v198, v111 :: v_dual_mul_f32 v17, v200, v113
	v_dual_mul_f32 v63, v199, v111 :: v_dual_mul_f32 v65, v201, v113
	v_add_f32_e32 v7, v7, v11
	s_delay_alu instid0(VALU_DEP_3) | instskip(NEXT) | instid1(VALU_DEP_3)
	v_dual_add_f32 v9, v9, v59 :: v_dual_fmac_f32 v15, v199, v110
	v_fma_f32 v59, v198, v110, -v63
	v_dual_mul_f32 v19, v202, v115 :: v_dual_mul_f32 v21, v204, v117
	s_delay_alu instid0(VALU_DEP_4) | instskip(SKIP_2) | instid1(VALU_DEP_2)
	v_dual_add_f32 v7, v7, v13 :: v_dual_fmac_f32 v17, v201, v112
	s_wait_loadcnt_dscnt 0xc06
	v_dual_add_f32 v9, v9, v57 :: v_dual_mul_f32 v13, v211, v123
	v_dual_fma_f32 v57, v200, v112, -v65 :: v_dual_add_f32 v7, v7, v15
	v_mul_f32_e32 v15, v213, v125
	s_delay_alu instid0(VALU_DEP_3) | instskip(NEXT) | instid1(VALU_DEP_3)
	v_dual_add_f32 v9, v9, v59 :: v_dual_fmac_f32 v19, v203, v114
	v_dual_fma_f32 v59, v202, v114, -v67 :: v_dual_add_f32 v7, v7, v17
	v_fmac_f32_e32 v21, v205, v116
	s_wait_loadcnt_dscnt 0xb05
	s_delay_alu instid0(VALU_DEP_3) | instskip(SKIP_3) | instid1(VALU_DEP_3)
	v_dual_add_f32 v9, v9, v57 :: v_dual_mul_f32 v17, v215, v127
	v_dual_mul_f32 v23, v206, v119 :: v_dual_mul_f32 v25, v208, v121
	v_dual_mul_f32 v55, v207, v119 :: v_dual_mul_f32 v11, v209, v121
	v_dual_fma_f32 v57, v204, v116, -v69 :: v_dual_add_f32 v7, v7, v19
	v_dual_add_f32 v9, v9, v59 :: v_dual_fmac_f32 v23, v207, v118
	s_delay_alu instid0(VALU_DEP_3) | instskip(NEXT) | instid1(VALU_DEP_3)
	v_dual_mul_f32 v19, v217, v129 :: v_dual_fma_f32 v55, v206, v118, -v55
	v_dual_add_f32 v7, v7, v21 :: v_dual_fmac_f32 v25, v209, v120
	s_wait_loadcnt_dscnt 0xa04
	s_delay_alu instid0(VALU_DEP_3) | instskip(SKIP_1) | instid1(VALU_DEP_3)
	v_dual_add_f32 v9, v9, v57 :: v_dual_mul_f32 v21, v219, v131
	v_dual_mul_f32 v27, v210, v123 :: v_dual_mul_f32 v29, v212, v125
	v_dual_fma_f32 v11, v208, v120, -v11 :: v_dual_add_f32 v7, v7, v23
	s_delay_alu instid0(VALU_DEP_2) | instskip(SKIP_1) | instid1(VALU_DEP_2)
	v_dual_add_f32 v9, v9, v55 :: v_dual_fmac_f32 v27, v211, v122
	v_dual_mul_f32 v23, v221, v133 :: v_dual_fma_f32 v13, v210, v122, -v13
	v_dual_add_f32 v7, v7, v25 :: v_dual_add_f32 v9, v9, v11
	v_dual_mul_f32 v31, v214, v127 :: v_dual_mul_f32 v33, v216, v129
	s_wait_loadcnt_dscnt 0x903
	v_dual_mul_f32 v11, v223, v135 :: v_dual_fmac_f32 v29, v213, v124
	s_delay_alu instid0(VALU_DEP_3) | instskip(NEXT) | instid1(VALU_DEP_3)
	v_dual_fma_f32 v15, v212, v124, -v15 :: v_dual_add_f32 v7, v7, v27
	v_dual_add_f32 v9, v9, v13 :: v_dual_fmac_f32 v31, v215, v126
	v_dual_mul_f32 v13, v225, v137 :: v_dual_fma_f32 v17, v214, v126, -v17
	s_delay_alu instid0(VALU_DEP_2) | instskip(SKIP_3) | instid1(VALU_DEP_3)
	v_dual_add_f32 v7, v7, v29 :: v_dual_add_f32 v9, v9, v15
	v_dual_mul_f32 v35, v218, v131 :: v_dual_mul_f32 v37, v220, v133
	s_wait_loadcnt_dscnt 0x802
	v_dual_mul_f32 v15, v227, v139 :: v_dual_fmac_f32 v33, v217, v128
	v_dual_fma_f32 v19, v216, v128, -v19 :: v_dual_add_f32 v7, v7, v31
	s_delay_alu instid0(VALU_DEP_3) | instskip(SKIP_1) | instid1(VALU_DEP_2)
	v_dual_add_f32 v9, v9, v17 :: v_dual_fmac_f32 v35, v219, v130
	v_dual_mul_f32 v17, v229, v141 :: v_dual_fma_f32 v21, v218, v130, -v21
	v_dual_add_f32 v7, v7, v33 :: v_dual_add_f32 v9, v9, v19
	v_dual_mul_f32 v39, v222, v135 :: v_dual_mul_f32 v41, v224, v137
	s_wait_loadcnt_dscnt 0x701
	v_dual_mul_f32 v19, v231, v143 :: v_dual_fmac_f32 v37, v221, v132
	s_delay_alu instid0(VALU_DEP_3) | instskip(NEXT) | instid1(VALU_DEP_3)
	v_dual_fma_f32 v23, v220, v132, -v23 :: v_dual_add_f32 v7, v7, v35
	v_dual_add_f32 v9, v9, v21 :: v_dual_fmac_f32 v39, v223, v134
	v_dual_mul_f32 v21, v233, v145 :: v_dual_fma_f32 v11, v222, v134, -v11
	s_delay_alu instid0(VALU_DEP_2) | instskip(SKIP_3) | instid1(VALU_DEP_3)
	v_dual_add_f32 v7, v7, v37 :: v_dual_add_f32 v9, v9, v23
	v_dual_mul_f32 v43, v226, v139 :: v_dual_mul_f32 v45, v228, v141
	s_wait_loadcnt_dscnt 0x600
	v_dual_mul_f32 v23, v235, v147 :: v_dual_fmac_f32 v41, v225, v136
	v_dual_fma_f32 v13, v224, v136, -v13 :: v_dual_add_f32 v7, v7, v39
	s_delay_alu instid0(VALU_DEP_3) | instskip(SKIP_1) | instid1(VALU_DEP_3)
	v_dual_add_f32 v9, v9, v11 :: v_dual_fmac_f32 v43, v227, v138
	v_dual_mul_f32 v11, v237, v149 :: v_dual_fma_f32 v15, v226, v138, -v15
	v_dual_add_f32 v7, v7, v41 :: v_dual_fmac_f32 v45, v229, v140
	s_wait_loadcnt 0x5
	s_delay_alu instid0(VALU_DEP_3) | instskip(SKIP_1) | instid1(VALU_DEP_3)
	v_dual_add_f32 v9, v9, v13 :: v_dual_mul_f32 v13, v187, v151
	v_dual_mul_f32 v47, v230, v143 :: v_dual_mul_f32 v49, v232, v145
	v_dual_fma_f32 v17, v228, v140, -v17 :: v_dual_add_f32 v7, v7, v43
	s_delay_alu instid0(VALU_DEP_2) | instskip(SKIP_1) | instid1(VALU_DEP_3)
	v_dual_add_f32 v9, v9, v15 :: v_dual_fmac_f32 v47, v231, v142
	v_dual_mul_f32 v15, v189, v153 :: v_dual_fma_f32 v19, v230, v142, -v19
	v_dual_add_f32 v7, v7, v45 :: v_dual_fmac_f32 v49, v233, v144
	s_delay_alu instid0(VALU_DEP_3) | instskip(SKIP_2) | instid1(VALU_DEP_3)
	v_dual_add_f32 v9, v9, v17 :: v_dual_fma_f32 v17, v232, v144, -v21
	v_dual_mul_f32 v51, v234, v147 :: v_dual_mul_f32 v53, v236, v149
	s_wait_loadcnt 0x4
	v_dual_add_f32 v7, v7, v47 :: v_dual_mov_b32 v104, v157
	s_delay_alu instid0(VALU_DEP_2) | instskip(NEXT) | instid1(VALU_DEP_2)
	v_dual_add_f32 v9, v9, v19 :: v_dual_fmac_f32 v51, v235, v146
	v_dual_fma_f32 v19, v234, v146, -v23 :: v_dual_add_f32 v7, v7, v49
	v_dual_mul_f32 v249, v186, v151 :: v_dual_mul_f32 v251, v188, v153
	s_delay_alu instid0(VALU_DEP_3) | instskip(NEXT) | instid1(VALU_DEP_3)
	v_dual_add_f32 v9, v9, v17 :: v_dual_fma_f32 v11, v236, v148, -v11
	v_dual_fmac_f32 v53, v237, v148 :: v_dual_add_f32 v7, v7, v51
	v_pk_mul_f32 v[102:103], v[170:171], v[154:155] op_sel:[1,1] op_sel_hi:[0,1]
	s_delay_alu instid0(VALU_DEP_3) | instskip(SKIP_2) | instid1(VALU_DEP_2)
	v_dual_add_f32 v9, v9, v19 :: v_dual_fmac_f32 v249, v187, v150
	s_wait_loadcnt 0x3
	v_dual_mov_b32 v108, v161 :: v_dual_fma_f32 v248, v186, v150, -v13
	v_dual_add_f32 v111, v7, v53 :: v_dual_add_f32 v110, v9, v11
	v_fmac_f32_e32 v251, v189, v152
	v_pk_fma_f32 v[112:113], v[170:171], v[154:155], v[102:103] op_sel_hi:[1,0,1]
	v_fma_f32 v250, v188, v152, -v15
	v_pk_mul_f32 v[104:105], v[240:241], v[104:105] op_sel_hi:[1,0]
	v_pk_add_f32 v[110:111], v[110:111], v[248:249]
	v_pk_fma_f32 v[102:103], v[170:171], v[154:155], v[102:103] neg_lo:[0,0,1] neg_hi:[0,0,1]
	v_pk_mul_f32 v[106:107], v[174:175], v[158:159] op_sel:[1,1] op_sel_hi:[0,1]
	v_mov_b32_e32 v103, v113
	v_pk_fma_f32 v[112:113], v[172:173], v[156:157], v[104:105] op_sel_hi:[1,0,1]
	v_pk_add_f32 v[110:111], v[110:111], v[250:251]
	v_pk_fma_f32 v[104:105], v[172:173], v[156:157], v[104:105] neg_lo:[0,0,1] neg_hi:[0,0,1]
	v_pk_fma_f32 v[116:117], v[174:175], v[158:159], v[106:107] op_sel_hi:[1,0,1]
	v_pk_mul_f32 v[108:109], v[242:243], v[108:109] op_sel_hi:[1,0]
	v_mov_b32_e32 v105, v113
	v_pk_add_f32 v[102:103], v[110:111], v[102:103]
	s_wait_loadcnt 0x2
	v_pk_mul_f32 v[114:115], v[178:179], v[162:163] op_sel:[1,1] op_sel_hi:[0,1]
	v_mov_b32_e32 v110, v165
	v_pk_fma_f32 v[106:107], v[174:175], v[158:159], v[106:107] neg_lo:[0,0,1] neg_hi:[0,0,1]
	v_pk_fma_f32 v[112:113], v[176:177], v[160:161], v[108:109] op_sel_hi:[1,0,1]
	v_mov_b32_e32 v107, v117
	v_pk_add_f32 v[102:103], v[102:103], v[104:105]
	v_pk_fma_f32 v[104:105], v[178:179], v[162:163], v[114:115] op_sel_hi:[1,0,1]
	v_pk_mul_f32 v[110:111], v[244:245], v[110:111] op_sel_hi:[1,0]
	v_pk_fma_f32 v[108:109], v[176:177], v[160:161], v[108:109] neg_lo:[0,0,1] neg_hi:[0,0,1]
	v_mov_b32_e32 v109, v113
	v_pk_add_f32 v[102:103], v[102:103], v[106:107]
	v_pk_fma_f32 v[112:113], v[178:179], v[162:163], v[114:115] neg_lo:[0,0,1] neg_hi:[0,0,1]
	v_mov_b32_e32 v113, v105
	v_pk_fma_f32 v[104:105], v[180:181], v[164:165], v[110:111] op_sel_hi:[1,0,1]
	s_wait_loadcnt 0x1
	v_pk_mul_f32 v[106:107], v[182:183], v[166:167] op_sel:[1,1] op_sel_hi:[0,1]
	v_pk_add_f32 v[102:103], v[102:103], v[108:109]
	v_mov_b32_e32 v104, v169
	v_pk_fma_f32 v[110:111], v[180:181], v[164:165], v[110:111] neg_lo:[0,0,1] neg_hi:[0,0,1]
	s_delay_alu instid0(VALU_DEP_4)
	v_pk_fma_f32 v[108:109], v[182:183], v[166:167], v[106:107] op_sel_hi:[1,0,1]
	v_mov_b32_e32 v111, v105
	v_pk_add_f32 v[102:103], v[102:103], v[112:113]
	v_pk_mul_f32 v[104:105], v[246:247], v[104:105] op_sel_hi:[1,0]
	v_pk_fma_f32 v[106:107], v[182:183], v[166:167], v[106:107] neg_lo:[0,0,1] neg_hi:[0,0,1]
	v_mov_b32_e32 v107, v109
	s_delay_alu instid0(VALU_DEP_4) | instskip(NEXT) | instid1(VALU_DEP_4)
	v_pk_add_f32 v[102:103], v[102:103], v[110:111]
	v_pk_fma_f32 v[108:109], v[184:185], v[168:169], v[104:105] op_sel_hi:[1,0,1]
	v_pk_fma_f32 v[104:105], v[184:185], v[168:169], v[104:105] neg_lo:[0,0,1] neg_hi:[0,0,1]
	s_delay_alu instid0(VALU_DEP_3) | instskip(NEXT) | instid1(VALU_DEP_3)
	v_pk_add_f32 v[102:103], v[102:103], v[106:107]
	v_mov_b32_e32 v105, v109
	s_delay_alu instid0(VALU_DEP_1) | instskip(SKIP_1) | instid1(VALU_DEP_1)
	v_pk_add_f32 v[102:103], v[102:103], v[104:105]
	s_wait_loadcnt 0x0
	v_pk_add_f32 v[102:103], v[238:239], v[102:103] neg_lo:[0,1] neg_hi:[0,1]
	scratch_store_b64 off, v[102:103], off offset:120
	s_wait_xcnt 0x0
	v_cmpx_lt_u32_e32 14, v0
	s_cbranch_execz .LBB49_285
; %bb.284:
	scratch_load_b64 v[102:103], off, off offset:112
	v_mov_b64_e32 v[104:105], 0
	scratch_store_b64 off, v[104:105], off offset:112
	s_wait_loadcnt 0x0
	ds_store_b64 v1, v[102:103]
.LBB49_285:
	s_wait_xcnt 0x0
	s_or_b32 exec_lo, exec_lo, s0
	s_wait_storecnt_dscnt 0x0
	s_barrier_signal -1
	s_barrier_wait -1
	s_clause 0x12
	scratch_load_b128 v[102:105], off, off offset:120
	scratch_load_b128 v[106:109], off, off offset:136
	;; [unrolled: 1-line block ×17, first 2 shown]
	scratch_load_b64 v[238:239], off, off offset:392
	scratch_load_b64 v[240:241], off, off offset:112
	v_mov_b32_e32 v7, 0
	ds_load_2addr_b64 v[170:173], v7 offset0:91 offset1:92
	ds_load_2addr_b64 v[174:177], v7 offset0:93 offset1:94
	;; [unrolled: 1-line block ×17, first 2 shown]
	ds_load_b64 v[242:243], v7 offset:792
	s_mov_b32 s0, exec_lo
	s_wait_dscnt 0x11
	v_dual_mov_b32 v244, v173 :: v_dual_mov_b32 v245, v172
	s_wait_dscnt 0x10
	v_dual_mov_b32 v246, v177 :: v_dual_mov_b32 v247, v176
	;; [unrolled: 2-line block ×3, first 2 shown]
	v_dual_mov_b32 v249, v180 :: v_dual_mov_b32 v250, v189
	s_wait_loadcnt_dscnt 0x120c
	v_dual_mul_f32 v9, v190, v103 :: v_dual_mul_f32 v59, v191, v103
	v_dual_mul_f32 v61, v193, v105 :: v_dual_mul_f32 v11, v192, v105
	s_wait_loadcnt_dscnt 0x110b
	v_mul_f32_e32 v13, v194, v107
	s_wait_loadcnt_dscnt 0xf09
	v_dual_mul_f32 v71, v203, v115 :: v_dual_fma_f32 v59, v190, v102, -v59
	v_dual_fmac_f32 v9, v191, v102 :: v_dual_mul_f32 v73, v205, v117
	v_dual_mul_f32 v63, v195, v107 :: v_dual_mul_f32 v65, v197, v109
	v_dual_fmac_f32 v11, v193, v104 :: v_dual_fma_f32 v61, v192, v104, -v61
	s_delay_alu instid0(VALU_DEP_3) | instskip(SKIP_3) | instid1(VALU_DEP_3)
	v_dual_add_f32 v9, 0, v9 :: v_dual_add_f32 v59, 0, v59
	v_dual_mul_f32 v15, v196, v109 :: v_dual_mul_f32 v17, v198, v111
	s_wait_loadcnt_dscnt 0xe08
	v_dual_mul_f32 v75, v207, v119 :: v_dual_fma_f32 v63, v194, v106, -v63
	v_dual_fmac_f32 v13, v195, v106 :: v_dual_add_f32 v9, v9, v11
	s_delay_alu instid0(VALU_DEP_3) | instskip(SKIP_2) | instid1(VALU_DEP_3)
	v_dual_add_f32 v11, v59, v61 :: v_dual_fmac_f32 v15, v197, v108
	v_dual_mul_f32 v67, v199, v111 :: v_dual_mul_f32 v69, v201, v113
	v_dual_mul_f32 v59, v209, v121 :: v_dual_fma_f32 v61, v196, v108, -v65
	v_dual_add_f32 v9, v9, v13 :: v_dual_add_f32 v11, v11, v63
	v_dual_mul_f32 v19, v200, v113 :: v_dual_mul_f32 v21, v202, v115
	s_wait_loadcnt_dscnt 0xd07
	v_dual_mul_f32 v13, v211, v123 :: v_dual_fma_f32 v63, v198, v110, -v67
	s_delay_alu instid0(VALU_DEP_3) | instskip(NEXT) | instid1(VALU_DEP_3)
	v_dual_fmac_f32 v17, v199, v110 :: v_dual_add_f32 v9, v9, v15
	v_dual_add_f32 v11, v11, v61 :: v_dual_fmac_f32 v19, v201, v112
	v_dual_mul_f32 v15, v213, v125 :: v_dual_fma_f32 v61, v200, v112, -v69
	s_delay_alu instid0(VALU_DEP_2) | instskip(SKIP_3) | instid1(VALU_DEP_3)
	v_dual_add_f32 v9, v9, v17 :: v_dual_add_f32 v11, v11, v63
	v_dual_mul_f32 v23, v204, v117 :: v_dual_mul_f32 v25, v206, v119
	s_wait_loadcnt_dscnt 0xc06
	v_dual_mul_f32 v17, v215, v127 :: v_dual_fma_f32 v63, v202, v114, -v71
	v_dual_fmac_f32 v21, v203, v114 :: v_dual_add_f32 v9, v9, v19
	s_delay_alu instid0(VALU_DEP_3) | instskip(SKIP_1) | instid1(VALU_DEP_2)
	v_dual_add_f32 v11, v11, v61 :: v_dual_fmac_f32 v23, v205, v116
	v_dual_mul_f32 v19, v217, v129 :: v_dual_fma_f32 v61, v204, v116, -v73
	v_dual_add_f32 v9, v9, v21 :: v_dual_add_f32 v11, v11, v63
	v_dual_mul_f32 v27, v208, v121 :: v_dual_mul_f32 v29, v210, v123
	s_wait_loadcnt_dscnt 0xb05
	v_dual_mul_f32 v21, v219, v131 :: v_dual_fma_f32 v63, v206, v118, -v75
	s_delay_alu instid0(VALU_DEP_3) | instskip(NEXT) | instid1(VALU_DEP_3)
	v_dual_fmac_f32 v25, v207, v118 :: v_dual_add_f32 v9, v9, v23
	v_dual_add_f32 v11, v11, v61 :: v_dual_fmac_f32 v27, v209, v120
	v_dual_mul_f32 v23, v221, v133 :: v_dual_fma_f32 v59, v208, v120, -v59
	s_delay_alu instid0(VALU_DEP_2) | instskip(SKIP_3) | instid1(VALU_DEP_3)
	v_dual_add_f32 v9, v9, v25 :: v_dual_add_f32 v11, v11, v63
	v_dual_mul_f32 v31, v212, v125 :: v_dual_mul_f32 v33, v214, v127
	s_wait_loadcnt_dscnt 0xa04
	v_dual_mul_f32 v25, v223, v135 :: v_dual_fma_f32 v13, v210, v122, -v13
	v_dual_fmac_f32 v29, v211, v122 :: v_dual_add_f32 v9, v9, v27
	v_dual_add_f32 v11, v11, v59 :: v_dual_mul_f32 v27, v225, v137
	v_fmac_f32_e32 v31, v213, v124
	s_delay_alu instid0(VALU_DEP_3) | instskip(NEXT) | instid1(VALU_DEP_3)
	v_dual_fma_f32 v15, v212, v124, -v15 :: v_dual_add_f32 v9, v9, v29
	v_add_f32_e32 v11, v11, v13
	v_dual_mul_f32 v35, v216, v129 :: v_dual_mul_f32 v37, v218, v131
	s_wait_loadcnt_dscnt 0x903
	v_dual_mul_f32 v13, v227, v139 :: v_dual_fma_f32 v17, v214, v126, -v17
	v_dual_fmac_f32 v33, v215, v126 :: v_dual_add_f32 v9, v9, v31
	v_dual_add_f32 v11, v11, v15 :: v_dual_mul_f32 v15, v229, v141
	v_fmac_f32_e32 v35, v217, v128
	s_delay_alu instid0(VALU_DEP_3) | instskip(NEXT) | instid1(VALU_DEP_3)
	v_dual_fma_f32 v19, v216, v128, -v19 :: v_dual_add_f32 v9, v9, v33
	v_add_f32_e32 v11, v11, v17
	;; [unrolled: 9-line block ×4, first 2 shown]
	v_dual_mul_f32 v47, v228, v141 :: v_dual_mul_f32 v49, v230, v143
	s_wait_loadcnt 0x6
	v_dual_mul_f32 v25, v183, v151 :: v_dual_fma_f32 v13, v226, v138, -v13
	v_dual_fmac_f32 v45, v227, v138 :: v_dual_add_f32 v9, v9, v43
	v_dual_add_f32 v11, v11, v27 :: v_dual_mul_f32 v27, v185, v153
	v_fmac_f32_e32 v47, v229, v140
	s_delay_alu instid0(VALU_DEP_3) | instskip(NEXT) | instid1(VALU_DEP_3)
	v_dual_fma_f32 v15, v228, v140, -v15 :: v_dual_add_f32 v9, v9, v45
	v_add_f32_e32 v11, v11, v13
	v_dual_mul_f32 v51, v232, v145 :: v_dual_mul_f32 v53, v234, v147
	s_wait_loadcnt 0x5
	v_dual_mul_f32 v13, v171, v155 :: v_dual_fma_f32 v17, v230, v142, -v17
	v_dual_fmac_f32 v49, v231, v142 :: v_dual_add_f32 v9, v9, v47
	v_dual_add_f32 v11, v11, v15 :: v_dual_mov_b32 v102, v157
	v_fmac_f32_e32 v51, v233, v144
	s_delay_alu instid0(VALU_DEP_3) | instskip(NEXT) | instid1(VALU_DEP_3)
	v_dual_fma_f32 v15, v232, v144, -v19 :: v_dual_add_f32 v9, v9, v49
	v_add_f32_e32 v11, v11, v17
	v_dual_mul_f32 v55, v236, v149 :: v_dual_mul_f32 v57, v182, v151
	s_delay_alu instid0(VALU_DEP_3) | instskip(NEXT) | instid1(VALU_DEP_3)
	v_dual_fmac_f32 v53, v235, v146 :: v_dual_add_f32 v9, v9, v51
	v_dual_fma_f32 v17, v234, v146, -v21 :: v_dual_add_f32 v11, v11, v15
	s_wait_loadcnt 0x4
	v_dual_mov_b32 v106, v161 :: v_dual_fma_f32 v15, v236, v148, -v23
	v_fmac_f32_e32 v55, v237, v148
	v_dual_add_f32 v9, v9, v53 :: v_dual_fmac_f32 v57, v183, v150
	v_add_f32_e32 v11, v11, v17
	v_dual_mul_f32 v253, v184, v153 :: v_dual_mul_f32 v255, v170, v155
	s_delay_alu instid0(VALU_DEP_3) | instskip(NEXT) | instid1(VALU_DEP_2)
	v_dual_fma_f32 v17, v182, v150, -v25 :: v_dual_add_f32 v9, v9, v55
	v_dual_add_f32 v11, v11, v15 :: v_dual_fmac_f32 v253, v185, v152
	v_fma_f32 v252, v184, v152, -v27
	v_pk_mul_f32 v[102:103], v[244:245], v[102:103] op_sel_hi:[1,0]
	s_delay_alu instid0(VALU_DEP_4)
	v_add_f32_e32 v111, v9, v57
	s_wait_loadcnt 0x3
	v_dual_add_f32 v110, v11, v17 :: v_dual_mov_b32 v112, v165
	v_pk_mul_f32 v[104:105], v[174:175], v[158:159] op_sel:[1,1] op_sel_hi:[0,1]
	v_dual_fmac_f32 v255, v171, v154 :: v_dual_fma_f32 v254, v170, v154, -v13
	v_pk_fma_f32 v[114:115], v[172:173], v[156:157], v[102:103] op_sel_hi:[1,0,1]
	s_delay_alu instid0(VALU_DEP_4)
	v_pk_add_f32 v[110:111], v[110:111], v[252:253]
	v_pk_fma_f32 v[102:103], v[172:173], v[156:157], v[102:103] neg_lo:[0,0,1] neg_hi:[0,0,1]
	v_pk_fma_f32 v[116:117], v[174:175], v[158:159], v[104:105] op_sel_hi:[1,0,1]
	v_pk_mul_f32 v[106:107], v[246:247], v[106:107] op_sel_hi:[1,0]
	v_mov_b32_e32 v103, v115
	v_pk_add_f32 v[110:111], v[110:111], v[254:255]
	v_pk_fma_f32 v[104:105], v[174:175], v[158:159], v[104:105] neg_lo:[0,0,1] neg_hi:[0,0,1]
	v_pk_mul_f32 v[108:109], v[178:179], v[162:163] op_sel:[1,1] op_sel_hi:[0,1]
	v_mov_b32_e32 v105, v117
	v_pk_fma_f32 v[116:117], v[176:177], v[160:161], v[106:107] op_sel_hi:[1,0,1]
	v_pk_add_f32 v[102:103], v[110:111], v[102:103]
	v_pk_fma_f32 v[106:107], v[176:177], v[160:161], v[106:107] neg_lo:[0,0,1] neg_hi:[0,0,1]
	v_pk_fma_f32 v[110:111], v[178:179], v[162:163], v[108:109] op_sel_hi:[1,0,1]
	v_pk_mul_f32 v[112:113], v[248:249], v[112:113] op_sel_hi:[1,0]
	v_mov_b32_e32 v107, v117
	v_pk_add_f32 v[102:103], v[102:103], v[104:105]
	v_pk_fma_f32 v[108:109], v[178:179], v[162:163], v[108:109] neg_lo:[0,0,1] neg_hi:[0,0,1]
	s_wait_loadcnt 0x2
	v_pk_mul_f32 v[114:115], v[186:187], v[166:167] op_sel:[1,1] op_sel_hi:[0,1]
	v_dual_mov_b32 v104, v169 :: v_dual_mov_b32 v109, v111
	v_pk_fma_f32 v[110:111], v[180:181], v[164:165], v[112:113] op_sel_hi:[1,0,1]
	v_pk_add_f32 v[102:103], v[102:103], v[106:107]
	v_pk_fma_f32 v[112:113], v[180:181], v[164:165], v[112:113] neg_lo:[0,0,1] neg_hi:[0,0,1]
	v_pk_fma_f32 v[106:107], v[186:187], v[166:167], v[114:115] op_sel_hi:[1,0,1]
	v_pk_mul_f32 v[104:105], v[250:251], v[104:105] op_sel_hi:[1,0]
	v_mov_b32_e32 v113, v111
	v_pk_add_f32 v[102:103], v[102:103], v[108:109]
	v_pk_fma_f32 v[108:109], v[186:187], v[166:167], v[114:115] neg_lo:[0,0,1] neg_hi:[0,0,1]
	v_mov_b32_e32 v109, v107
	v_pk_fma_f32 v[106:107], v[188:189], v[168:169], v[104:105] op_sel_hi:[1,0,1]
	s_wait_loadcnt_dscnt 0x100
	v_pk_mul_f32 v[110:111], v[242:243], v[238:239] op_sel:[1,1] op_sel_hi:[0,1]
	v_pk_add_f32 v[102:103], v[102:103], v[112:113]
	v_pk_fma_f32 v[104:105], v[188:189], v[168:169], v[104:105] neg_lo:[0,0,1] neg_hi:[0,0,1]
	v_mov_b32_e32 v105, v107
	s_delay_alu instid0(VALU_DEP_4) | instskip(NEXT) | instid1(VALU_DEP_4)
	v_pk_fma_f32 v[106:107], v[242:243], v[238:239], v[110:111] op_sel_hi:[1,0,1]
	v_pk_add_f32 v[102:103], v[102:103], v[108:109]
	v_pk_fma_f32 v[108:109], v[242:243], v[238:239], v[110:111] neg_lo:[0,0,1] neg_hi:[0,0,1]
	s_delay_alu instid0(VALU_DEP_3) | instskip(NEXT) | instid1(VALU_DEP_3)
	v_mov_b32_e32 v109, v107
	v_pk_add_f32 v[102:103], v[102:103], v[104:105]
	s_delay_alu instid0(VALU_DEP_1) | instskip(SKIP_1) | instid1(VALU_DEP_1)
	v_pk_add_f32 v[102:103], v[102:103], v[108:109]
	s_wait_loadcnt 0x0
	v_pk_add_f32 v[102:103], v[240:241], v[102:103] neg_lo:[0,1] neg_hi:[0,1]
	scratch_store_b64 off, v[102:103], off offset:112
	s_wait_xcnt 0x0
	v_cmpx_lt_u32_e32 13, v0
	s_cbranch_execz .LBB49_287
; %bb.286:
	scratch_load_b64 v[102:103], off, off offset:104
	v_mov_b64_e32 v[104:105], 0
	scratch_store_b64 off, v[104:105], off offset:104
	s_wait_loadcnt 0x0
	ds_store_b64 v1, v[102:103]
.LBB49_287:
	s_wait_xcnt 0x0
	s_or_b32 exec_lo, exec_lo, s0
	s_wait_storecnt_dscnt 0x0
	s_barrier_signal -1
	s_barrier_wait -1
	s_clause 0x12
	scratch_load_b128 v[102:105], off, off offset:112
	scratch_load_b128 v[106:109], off, off offset:128
	;; [unrolled: 1-line block ×18, first 2 shown]
	scratch_load_b64 v[246:247], off, off offset:104
	ds_load_b128 v[174:177], v7 offset:736
	ds_load_b128 v[178:181], v7 offset:752
	;; [unrolled: 1-line block ×18, first 2 shown]
	s_mov_b32 s0, exec_lo
	s_wait_dscnt 0x11
	v_dual_mov_b32 v248, v177 :: v_dual_mov_b32 v249, v176
	s_wait_dscnt 0x10
	v_dual_mov_b32 v250, v181 :: v_dual_mov_b32 v251, v180
	;; [unrolled: 2-line block ×4, first 2 shown]
	s_wait_loadcnt_dscnt 0x120d
	v_dual_mul_f32 v7, v190, v103 :: v_dual_mul_f32 v9, v192, v105
	v_dual_mul_f32 v59, v191, v103 :: v_dual_mul_f32 v61, v193, v105
	s_wait_loadcnt_dscnt 0x110c
	v_dual_mul_f32 v11, v194, v107 :: v_dual_mul_f32 v13, v196, v109
	s_delay_alu instid0(VALU_DEP_3) | instskip(SKIP_3) | instid1(VALU_DEP_3)
	v_dual_fmac_f32 v7, v191, v102 :: v_dual_fmac_f32 v9, v193, v104
	s_wait_loadcnt_dscnt 0xf0a
	v_dual_fma_f32 v59, v190, v102, -v59 :: v_dual_mul_f32 v71, v203, v115
	v_dual_mul_f32 v63, v195, v107 :: v_dual_mul_f32 v65, v197, v109
	v_dual_fma_f32 v61, v192, v104, -v61 :: v_dual_add_f32 v7, 0, v7
	s_delay_alu instid0(VALU_DEP_3) | instskip(SKIP_1) | instid1(VALU_DEP_3)
	v_dual_add_f32 v59, 0, v59 :: v_dual_mul_f32 v73, v205, v117
	v_dual_fmac_f32 v11, v195, v106 :: v_dual_fmac_f32 v13, v197, v108
	v_dual_fma_f32 v63, v194, v106, -v63 :: v_dual_add_f32 v7, v7, v9
	s_delay_alu instid0(VALU_DEP_3) | instskip(SKIP_2) | instid1(VALU_DEP_4)
	v_dual_add_f32 v9, v59, v61 :: v_dual_fma_f32 v61, v196, v108, -v65
	v_dual_mul_f32 v15, v198, v111 :: v_dual_mul_f32 v17, v200, v113
	v_dual_mul_f32 v67, v199, v111 :: v_dual_mul_f32 v69, v201, v113
	v_add_f32_e32 v7, v7, v11
	s_delay_alu instid0(VALU_DEP_3) | instskip(NEXT) | instid1(VALU_DEP_3)
	v_dual_add_f32 v9, v9, v63 :: v_dual_fmac_f32 v15, v199, v110
	v_fma_f32 v63, v198, v110, -v67
	v_dual_mul_f32 v19, v202, v115 :: v_dual_mul_f32 v21, v204, v117
	s_delay_alu instid0(VALU_DEP_4) | instskip(SKIP_2) | instid1(VALU_DEP_2)
	v_dual_add_f32 v7, v7, v13 :: v_dual_fmac_f32 v17, v201, v112
	s_wait_loadcnt_dscnt 0xd08
	v_dual_add_f32 v9, v9, v61 :: v_dual_mul_f32 v13, v211, v123
	v_dual_fma_f32 v61, v200, v112, -v69 :: v_dual_add_f32 v7, v7, v15
	v_mul_f32_e32 v15, v213, v125
	s_delay_alu instid0(VALU_DEP_3) | instskip(NEXT) | instid1(VALU_DEP_3)
	v_dual_add_f32 v9, v9, v63 :: v_dual_fmac_f32 v19, v203, v114
	v_dual_fma_f32 v63, v202, v114, -v71 :: v_dual_add_f32 v7, v7, v17
	v_fmac_f32_e32 v21, v205, v116
	s_wait_loadcnt_dscnt 0xc07
	s_delay_alu instid0(VALU_DEP_3) | instskip(SKIP_3) | instid1(VALU_DEP_3)
	v_dual_add_f32 v9, v9, v61 :: v_dual_mul_f32 v17, v215, v127
	v_dual_mul_f32 v23, v206, v119 :: v_dual_mul_f32 v25, v208, v121
	v_dual_mul_f32 v59, v207, v119 :: v_dual_mul_f32 v11, v209, v121
	v_dual_fma_f32 v61, v204, v116, -v73 :: v_dual_add_f32 v7, v7, v19
	v_dual_add_f32 v9, v9, v63 :: v_dual_fmac_f32 v23, v207, v118
	s_delay_alu instid0(VALU_DEP_3) | instskip(NEXT) | instid1(VALU_DEP_3)
	v_dual_mul_f32 v19, v217, v129 :: v_dual_fma_f32 v59, v206, v118, -v59
	v_dual_add_f32 v7, v7, v21 :: v_dual_fmac_f32 v25, v209, v120
	s_wait_loadcnt_dscnt 0xb06
	s_delay_alu instid0(VALU_DEP_3) | instskip(SKIP_1) | instid1(VALU_DEP_3)
	v_dual_add_f32 v9, v9, v61 :: v_dual_mul_f32 v21, v219, v131
	v_dual_mul_f32 v27, v210, v123 :: v_dual_mul_f32 v29, v212, v125
	v_dual_fma_f32 v11, v208, v120, -v11 :: v_dual_add_f32 v7, v7, v23
	s_delay_alu instid0(VALU_DEP_2) | instskip(SKIP_1) | instid1(VALU_DEP_2)
	v_dual_add_f32 v9, v9, v59 :: v_dual_fmac_f32 v27, v211, v122
	v_dual_mul_f32 v23, v221, v133 :: v_dual_fma_f32 v13, v210, v122, -v13
	v_dual_add_f32 v7, v7, v25 :: v_dual_add_f32 v9, v9, v11
	v_dual_mul_f32 v31, v214, v127 :: v_dual_mul_f32 v33, v216, v129
	s_wait_loadcnt_dscnt 0xa05
	v_dual_mul_f32 v11, v223, v135 :: v_dual_fmac_f32 v29, v213, v124
	s_delay_alu instid0(VALU_DEP_3) | instskip(NEXT) | instid1(VALU_DEP_3)
	v_dual_fma_f32 v15, v212, v124, -v15 :: v_dual_add_f32 v7, v7, v27
	v_dual_add_f32 v9, v9, v13 :: v_dual_fmac_f32 v31, v215, v126
	v_dual_mul_f32 v13, v225, v137 :: v_dual_fma_f32 v17, v214, v126, -v17
	s_delay_alu instid0(VALU_DEP_2) | instskip(SKIP_3) | instid1(VALU_DEP_3)
	v_dual_add_f32 v7, v7, v29 :: v_dual_add_f32 v9, v9, v15
	v_dual_mul_f32 v35, v218, v131 :: v_dual_mul_f32 v37, v220, v133
	s_wait_loadcnt_dscnt 0x904
	v_dual_mul_f32 v15, v227, v139 :: v_dual_fmac_f32 v33, v217, v128
	v_dual_fma_f32 v19, v216, v128, -v19 :: v_dual_add_f32 v7, v7, v31
	s_delay_alu instid0(VALU_DEP_3) | instskip(SKIP_1) | instid1(VALU_DEP_2)
	v_dual_add_f32 v9, v9, v17 :: v_dual_fmac_f32 v35, v219, v130
	v_dual_mul_f32 v17, v229, v141 :: v_dual_fma_f32 v21, v218, v130, -v21
	v_dual_add_f32 v7, v7, v33 :: v_dual_add_f32 v9, v9, v19
	v_dual_mul_f32 v39, v222, v135 :: v_dual_mul_f32 v41, v224, v137
	s_wait_loadcnt_dscnt 0x803
	v_dual_mul_f32 v19, v231, v143 :: v_dual_fmac_f32 v37, v221, v132
	s_delay_alu instid0(VALU_DEP_3) | instskip(NEXT) | instid1(VALU_DEP_3)
	v_dual_fma_f32 v23, v220, v132, -v23 :: v_dual_add_f32 v7, v7, v35
	v_dual_add_f32 v9, v9, v21 :: v_dual_fmac_f32 v39, v223, v134
	v_dual_mul_f32 v21, v233, v145 :: v_dual_fma_f32 v11, v222, v134, -v11
	s_delay_alu instid0(VALU_DEP_2) | instskip(SKIP_3) | instid1(VALU_DEP_3)
	v_dual_add_f32 v7, v7, v37 :: v_dual_add_f32 v9, v9, v23
	v_dual_mul_f32 v43, v226, v139 :: v_dual_mul_f32 v45, v228, v141
	s_wait_loadcnt_dscnt 0x702
	v_dual_mul_f32 v23, v235, v147 :: v_dual_fmac_f32 v41, v225, v136
	v_dual_fma_f32 v13, v224, v136, -v13 :: v_dual_add_f32 v7, v7, v39
	s_delay_alu instid0(VALU_DEP_3) | instskip(SKIP_1) | instid1(VALU_DEP_3)
	v_dual_add_f32 v9, v9, v11 :: v_dual_fmac_f32 v43, v227, v138
	v_dual_mul_f32 v11, v237, v149 :: v_dual_fma_f32 v15, v226, v138, -v15
	v_dual_add_f32 v7, v7, v41 :: v_dual_fmac_f32 v45, v229, v140
	s_wait_loadcnt_dscnt 0x601
	s_delay_alu instid0(VALU_DEP_3) | instskip(SKIP_1) | instid1(VALU_DEP_3)
	v_dual_add_f32 v9, v9, v13 :: v_dual_mul_f32 v13, v239, v151
	v_dual_mul_f32 v47, v230, v143 :: v_dual_mul_f32 v49, v232, v145
	v_dual_fma_f32 v17, v228, v140, -v17 :: v_dual_add_f32 v7, v7, v43
	s_delay_alu instid0(VALU_DEP_2) | instskip(SKIP_1) | instid1(VALU_DEP_3)
	v_dual_add_f32 v9, v9, v15 :: v_dual_fmac_f32 v47, v231, v142
	v_dual_mul_f32 v15, v241, v153 :: v_dual_fma_f32 v19, v230, v142, -v19
	v_dual_add_f32 v7, v7, v45 :: v_dual_fmac_f32 v49, v233, v144
	s_wait_loadcnt_dscnt 0x500
	s_delay_alu instid0(VALU_DEP_3) | instskip(SKIP_1) | instid1(VALU_DEP_3)
	v_dual_add_f32 v9, v9, v17 :: v_dual_mul_f32 v17, v243, v155
	v_dual_mul_f32 v51, v234, v147 :: v_dual_mul_f32 v53, v236, v149
	v_dual_fma_f32 v21, v232, v144, -v21 :: v_dual_add_f32 v7, v7, v47
	s_delay_alu instid0(VALU_DEP_2) | instskip(SKIP_1) | instid1(VALU_DEP_3)
	v_dual_add_f32 v9, v9, v19 :: v_dual_fmac_f32 v51, v235, v146
	v_dual_mul_f32 v19, v245, v157 :: v_dual_fma_f32 v23, v234, v146, -v23
	v_dual_add_f32 v7, v7, v49 :: v_dual_fmac_f32 v53, v237, v148
	s_delay_alu instid0(VALU_DEP_3) | instskip(SKIP_2) | instid1(VALU_DEP_3)
	v_dual_add_f32 v9, v9, v21 :: v_dual_fma_f32 v11, v236, v148, -v11
	v_dual_mul_f32 v55, v238, v151 :: v_dual_mul_f32 v57, v240, v153
	s_wait_loadcnt 0x4
	v_dual_add_f32 v7, v7, v51 :: v_dual_mov_b32 v104, v161
	s_delay_alu instid0(VALU_DEP_2) | instskip(NEXT) | instid1(VALU_DEP_2)
	v_dual_add_f32 v9, v9, v23 :: v_dual_fmac_f32 v55, v239, v150
	v_dual_fma_f32 v13, v238, v150, -v13 :: v_dual_add_f32 v7, v7, v53
	s_set_vgpr_msb 64                       ;  msbs: dst=1 src0=0 src1=0 src2=0
	v_dual_mul_f32 v1 /*v257*/, v242, v155 :: v_dual_mul_f32 v3 /*v259*/, v244, v157
	s_set_vgpr_msb 0                        ;  msbs: dst=0 src0=0 src1=0 src2=0
	v_dual_add_f32 v9, v9, v11 :: v_dual_fma_f32 v11, v240, v152, -v15
	v_dual_fmac_f32 v57, v241, v152 :: v_dual_add_f32 v7, v7, v55
	v_pk_mul_f32 v[102:103], v[174:175], v[158:159] op_sel:[1,1] op_sel_hi:[0,1]
	s_delay_alu instid0(VALU_DEP_3)
	v_add_f32_e32 v9, v9, v13
	s_wait_loadcnt 0x3
	v_mov_b32_e32 v108, v165
	s_set_vgpr_msb 64                       ;  msbs: dst=1 src0=0 src1=0 src2=0
	v_dual_fmac_f32 v1 /*v257*/, v243, v154 :: v_dual_fmac_f32 v3 /*v259*/, v245, v156
	v_dual_fma_f32 v0 /*v256*/, v242, v154, -v17 :: v_dual_fma_f32 v2 /*v258*/, v244, v156, -v19
	s_set_vgpr_msb 0                        ;  msbs: dst=0 src0=0 src1=0 src2=0
	v_dual_add_f32 v111, v7, v57 :: v_dual_add_f32 v110, v9, v11
	v_pk_fma_f32 v[112:113], v[174:175], v[158:159], v[102:103] op_sel_hi:[1,0,1]
	v_pk_mul_f32 v[104:105], v[248:249], v[104:105] op_sel_hi:[1,0]
	v_pk_fma_f32 v[102:103], v[174:175], v[158:159], v[102:103] neg_lo:[0,0,1] neg_hi:[0,0,1]
	v_pk_mul_f32 v[106:107], v[178:179], v[162:163] op_sel:[1,1] op_sel_hi:[0,1]
	s_set_vgpr_msb 4                        ;  msbs: dst=0 src0=0 src1=1 src2=0
	v_pk_add_f32 v[110:111], v[110:111], v[0:1] /*v[256:257]*/
	v_mov_b32_e32 v103, v113
	s_set_vgpr_msb 0                        ;  msbs: dst=0 src0=0 src1=0 src2=0
	v_pk_fma_f32 v[112:113], v[176:177], v[160:161], v[104:105] op_sel_hi:[1,0,1]
	v_pk_fma_f32 v[104:105], v[176:177], v[160:161], v[104:105] neg_lo:[0,0,1] neg_hi:[0,0,1]
	v_pk_fma_f32 v[116:117], v[178:179], v[162:163], v[106:107] op_sel_hi:[1,0,1]
	s_set_vgpr_msb 4                        ;  msbs: dst=0 src0=0 src1=1 src2=0
	v_pk_add_f32 v[110:111], v[110:111], v[2:3] /*v[258:259]*/
	s_set_vgpr_msb 0                        ;  msbs: dst=0 src0=0 src1=0 src2=0
	v_pk_mul_f32 v[108:109], v[250:251], v[108:109] op_sel_hi:[1,0]
	v_mov_b32_e32 v105, v113
	s_wait_loadcnt 0x2
	v_pk_mul_f32 v[114:115], v[182:183], v[166:167] op_sel:[1,1] op_sel_hi:[0,1]
	v_pk_fma_f32 v[106:107], v[178:179], v[162:163], v[106:107] neg_lo:[0,0,1] neg_hi:[0,0,1]
	v_pk_add_f32 v[102:103], v[110:111], v[102:103]
	v_dual_mov_b32 v110, v169 :: v_dual_mov_b32 v107, v117
	v_pk_fma_f32 v[112:113], v[180:181], v[164:165], v[108:109] op_sel_hi:[1,0,1]
	v_pk_fma_f32 v[108:109], v[180:181], v[164:165], v[108:109] neg_lo:[0,0,1] neg_hi:[0,0,1]
	s_delay_alu instid0(VALU_DEP_4)
	v_pk_add_f32 v[102:103], v[102:103], v[104:105]
	v_pk_fma_f32 v[104:105], v[182:183], v[166:167], v[114:115] op_sel_hi:[1,0,1]
	v_pk_mul_f32 v[110:111], v[252:253], v[110:111] op_sel_hi:[1,0]
	v_mov_b32_e32 v109, v113
	v_pk_fma_f32 v[112:113], v[182:183], v[166:167], v[114:115] neg_lo:[0,0,1] neg_hi:[0,0,1]
	v_pk_add_f32 v[102:103], v[102:103], v[106:107]
	v_mov_b32_e32 v113, v105
	v_pk_fma_f32 v[104:105], v[184:185], v[168:169], v[110:111] op_sel_hi:[1,0,1]
	s_wait_loadcnt 0x1
	v_pk_mul_f32 v[106:107], v[186:187], v[170:171] op_sel:[1,1] op_sel_hi:[0,1]
	v_mov_b32_e32 v104, v173
	v_pk_add_f32 v[102:103], v[102:103], v[108:109]
	v_pk_fma_f32 v[110:111], v[184:185], v[168:169], v[110:111] neg_lo:[0,0,1] neg_hi:[0,0,1]
	v_mov_b32_e32 v111, v105
	v_pk_fma_f32 v[108:109], v[186:187], v[170:171], v[106:107] op_sel_hi:[1,0,1]
	v_pk_mul_f32 v[104:105], v[254:255], v[104:105] op_sel_hi:[1,0]
	v_pk_add_f32 v[102:103], v[102:103], v[112:113]
	v_pk_fma_f32 v[106:107], v[186:187], v[170:171], v[106:107] neg_lo:[0,0,1] neg_hi:[0,0,1]
	s_delay_alu instid0(VALU_DEP_4) | instskip(NEXT) | instid1(VALU_DEP_4)
	v_mov_b32_e32 v107, v109
	v_pk_fma_f32 v[108:109], v[188:189], v[172:173], v[104:105] op_sel_hi:[1,0,1]
	s_delay_alu instid0(VALU_DEP_4) | instskip(SKIP_1) | instid1(VALU_DEP_3)
	v_pk_add_f32 v[102:103], v[102:103], v[110:111]
	v_pk_fma_f32 v[104:105], v[188:189], v[172:173], v[104:105] neg_lo:[0,0,1] neg_hi:[0,0,1]
	v_mov_b32_e32 v105, v109
	s_delay_alu instid0(VALU_DEP_3) | instskip(NEXT) | instid1(VALU_DEP_1)
	v_pk_add_f32 v[102:103], v[102:103], v[106:107]
	v_pk_add_f32 v[102:103], v[102:103], v[104:105]
	s_wait_loadcnt 0x0
	s_delay_alu instid0(VALU_DEP_1)
	v_pk_add_f32 v[102:103], v[246:247], v[102:103] neg_lo:[0,1] neg_hi:[0,1]
	scratch_store_b64 off, v[102:103], off offset:104
	s_wait_xcnt 0x0
	v_cmpx_lt_u32_e32 12, v0
	s_cbranch_execz .LBB49_289
; %bb.288:
	scratch_load_b64 v[102:103], off, off offset:96
	v_mov_b64_e32 v[104:105], 0
	scratch_store_b64 off, v[104:105], off offset:96
	s_wait_loadcnt 0x0
	ds_store_b64 v1, v[102:103]
.LBB49_289:
	s_wait_xcnt 0x0
	s_or_b32 exec_lo, exec_lo, s0
	s_wait_storecnt_dscnt 0x0
	s_barrier_signal -1
	s_barrier_wait -1
	s_clause 0x13
	scratch_load_b128 v[102:105], off, off offset:104
	scratch_load_b128 v[106:109], off, off offset:120
	;; [unrolled: 1-line block ×18, first 2 shown]
	scratch_load_b64 v[246:247], off, off offset:392
	scratch_load_b64 v[248:249], off, off offset:96
	v_mov_b32_e32 v7, 0
	ds_load_2addr_b64 v[174:177], v7 offset0:91 offset1:92
	ds_load_2addr_b64 v[178:181], v7 offset0:93 offset1:94
	;; [unrolled: 1-line block ×18, first 2 shown]
	ds_load_b64 v[250:251], v7 offset:792
	s_mov_b32 s0, exec_lo
	s_wait_dscnt 0x11
	v_dual_mov_b32 v252, v177 :: v_dual_mov_b32 v255, v180
	v_dual_mov_b32 v253, v176 :: v_dual_mov_b32 v254, v181
	s_wait_dscnt 0x10
	s_set_vgpr_msb 64                       ;  msbs: dst=1 src0=0 src1=0 src2=0
	v_dual_mov_b32 v0 /*v256*/, v185 :: v_dual_mov_b32 v1 /*v257*/, v184
	s_wait_dscnt 0xd
	v_dual_mov_b32 v2 /*v258*/, v197 :: v_dual_mov_b32 v3 /*v259*/, v196
	s_wait_loadcnt 0x13
	s_set_vgpr_msb 0                        ;  msbs: dst=0 src0=0 src1=0 src2=0
	v_dual_mul_f32 v9, v186, v103 :: v_dual_mul_f32 v63, v187, v103
	v_dual_mul_f32 v65, v189, v105 :: v_dual_mul_f32 v11, v188, v105
	s_wait_loadcnt 0x12
	v_mul_f32_e32 v13, v190, v107
	s_wait_loadcnt_dscnt 0x100b
	v_dual_mul_f32 v75, v203, v115 :: v_dual_fma_f32 v63, v186, v102, -v63
	v_dual_fmac_f32 v9, v187, v102 :: v_dual_mul_f32 v77, v205, v117
	v_dual_mul_f32 v67, v191, v107 :: v_dual_mul_f32 v69, v193, v109
	v_dual_fmac_f32 v11, v189, v104 :: v_dual_fma_f32 v65, v188, v104, -v65
	s_delay_alu instid0(VALU_DEP_3) | instskip(SKIP_3) | instid1(VALU_DEP_3)
	v_dual_add_f32 v9, 0, v9 :: v_dual_add_f32 v63, 0, v63
	v_dual_mul_f32 v15, v192, v109 :: v_dual_mul_f32 v17, v198, v111
	s_wait_loadcnt_dscnt 0xf0a
	v_dual_mul_f32 v79, v207, v119 :: v_dual_fma_f32 v67, v190, v106, -v67
	v_dual_fmac_f32 v13, v191, v106 :: v_dual_add_f32 v9, v9, v11
	s_delay_alu instid0(VALU_DEP_3) | instskip(SKIP_2) | instid1(VALU_DEP_3)
	v_dual_add_f32 v11, v63, v65 :: v_dual_fmac_f32 v15, v193, v108
	v_dual_mul_f32 v71, v199, v111 :: v_dual_mul_f32 v73, v201, v113
	v_dual_mul_f32 v63, v209, v121 :: v_dual_fma_f32 v65, v192, v108, -v69
	v_dual_add_f32 v9, v9, v13 :: v_dual_add_f32 v11, v11, v67
	v_dual_mul_f32 v19, v200, v113 :: v_dual_mul_f32 v21, v202, v115
	s_wait_loadcnt_dscnt 0xe09
	v_dual_mul_f32 v13, v211, v123 :: v_dual_fma_f32 v67, v198, v110, -v71
	s_delay_alu instid0(VALU_DEP_3) | instskip(NEXT) | instid1(VALU_DEP_3)
	v_dual_fmac_f32 v17, v199, v110 :: v_dual_add_f32 v9, v9, v15
	v_dual_add_f32 v11, v11, v65 :: v_dual_fmac_f32 v19, v201, v112
	v_dual_mul_f32 v15, v213, v125 :: v_dual_fma_f32 v65, v200, v112, -v73
	s_delay_alu instid0(VALU_DEP_2) | instskip(SKIP_3) | instid1(VALU_DEP_3)
	v_dual_add_f32 v9, v9, v17 :: v_dual_add_f32 v11, v11, v67
	v_dual_mul_f32 v23, v204, v117 :: v_dual_mul_f32 v25, v206, v119
	s_wait_loadcnt_dscnt 0xd08
	v_dual_mul_f32 v17, v215, v127 :: v_dual_fma_f32 v67, v202, v114, -v75
	v_dual_fmac_f32 v21, v203, v114 :: v_dual_add_f32 v9, v9, v19
	s_delay_alu instid0(VALU_DEP_3) | instskip(SKIP_1) | instid1(VALU_DEP_2)
	v_dual_add_f32 v11, v11, v65 :: v_dual_fmac_f32 v23, v205, v116
	v_dual_mul_f32 v19, v217, v129 :: v_dual_fma_f32 v65, v204, v116, -v77
	v_dual_add_f32 v9, v9, v21 :: v_dual_add_f32 v11, v11, v67
	v_dual_mul_f32 v27, v208, v121 :: v_dual_mul_f32 v29, v210, v123
	s_wait_loadcnt_dscnt 0xc07
	v_dual_mul_f32 v21, v219, v131 :: v_dual_fma_f32 v67, v206, v118, -v79
	s_delay_alu instid0(VALU_DEP_3) | instskip(NEXT) | instid1(VALU_DEP_3)
	v_dual_fmac_f32 v25, v207, v118 :: v_dual_add_f32 v9, v9, v23
	v_dual_add_f32 v11, v11, v65 :: v_dual_fmac_f32 v27, v209, v120
	v_dual_mul_f32 v23, v221, v133 :: v_dual_fma_f32 v63, v208, v120, -v63
	s_delay_alu instid0(VALU_DEP_2) | instskip(SKIP_3) | instid1(VALU_DEP_3)
	v_dual_add_f32 v9, v9, v25 :: v_dual_add_f32 v11, v11, v67
	v_dual_mul_f32 v31, v212, v125 :: v_dual_mul_f32 v33, v214, v127
	s_wait_loadcnt_dscnt 0xb06
	v_dual_mul_f32 v25, v223, v135 :: v_dual_fma_f32 v13, v210, v122, -v13
	v_dual_fmac_f32 v29, v211, v122 :: v_dual_add_f32 v9, v9, v27
	v_dual_add_f32 v11, v11, v63 :: v_dual_mul_f32 v27, v225, v137
	v_fmac_f32_e32 v31, v213, v124
	s_delay_alu instid0(VALU_DEP_3) | instskip(NEXT) | instid1(VALU_DEP_3)
	v_dual_fma_f32 v15, v212, v124, -v15 :: v_dual_add_f32 v9, v9, v29
	v_add_f32_e32 v11, v11, v13
	v_dual_mul_f32 v35, v216, v129 :: v_dual_mul_f32 v37, v218, v131
	s_wait_loadcnt_dscnt 0xa05
	v_dual_mul_f32 v13, v227, v139 :: v_dual_fma_f32 v17, v214, v126, -v17
	v_dual_fmac_f32 v33, v215, v126 :: v_dual_add_f32 v9, v9, v31
	v_dual_add_f32 v11, v11, v15 :: v_dual_mul_f32 v15, v229, v141
	v_fmac_f32_e32 v35, v217, v128
	s_delay_alu instid0(VALU_DEP_3) | instskip(NEXT) | instid1(VALU_DEP_3)
	v_dual_fma_f32 v19, v216, v128, -v19 :: v_dual_add_f32 v9, v9, v33
	v_add_f32_e32 v11, v11, v17
	;; [unrolled: 9-line block ×6, first 2 shown]
	v_dual_mul_f32 v55, v236, v149 :: v_dual_mul_f32 v57, v238, v151
	s_wait_loadcnt 0x5
	v_dual_mul_f32 v17, v175, v159 :: v_dual_fma_f32 v21, v234, v146, -v21
	v_dual_fmac_f32 v53, v235, v146 :: v_dual_add_f32 v9, v9, v51
	v_dual_add_f32 v11, v11, v19 :: v_dual_mov_b32 v102, v161
	v_fmac_f32_e32 v55, v237, v148
	s_delay_alu instid0(VALU_DEP_3) | instskip(NEXT) | instid1(VALU_DEP_3)
	v_dual_fma_f32 v19, v236, v148, -v23 :: v_dual_add_f32 v9, v9, v53
	v_add_f32_e32 v11, v11, v21
	v_dual_mul_f32 v59, v240, v153 :: v_dual_mul_f32 v61, v242, v155
	s_delay_alu instid0(VALU_DEP_3) | instskip(NEXT) | instid1(VALU_DEP_3)
	v_dual_fmac_f32 v57, v239, v150 :: v_dual_add_f32 v9, v9, v55
	v_dual_fma_f32 v21, v238, v150, -v25 :: v_dual_add_f32 v11, v11, v19
	s_wait_loadcnt 0x4
	v_dual_mov_b32 v106, v165 :: v_dual_fma_f32 v19, v240, v152, -v27
	v_fmac_f32_e32 v59, v241, v152
	v_dual_add_f32 v9, v9, v57 :: v_dual_fmac_f32 v61, v243, v154
	v_add_f32_e32 v11, v11, v21
	s_set_vgpr_msb 64                       ;  msbs: dst=1 src0=0 src1=0 src2=0
	v_dual_mul_f32 v5 /*v261*/, v244, v157 :: v_dual_mul_f32 v7 /*v263*/, v174, v159
	s_set_vgpr_msb 0                        ;  msbs: dst=0 src0=0 src1=0 src2=0
	v_dual_fma_f32 v13, v242, v154, -v13 :: v_dual_add_f32 v9, v9, v59
	v_add_f32_e32 v11, v11, v19
	s_set_vgpr_msb 64                       ;  msbs: dst=1 src0=0 src1=0 src2=0
	v_dual_fmac_f32 v5 /*v261*/, v245, v156 :: v_dual_fmac_f32 v7 /*v263*/, v175, v158
	v_dual_fma_f32 v4 /*v260*/, v244, v156, -v15 :: v_dual_fma_f32 v6 /*v262*/, v174, v158, -v17
	s_set_vgpr_msb 0                        ;  msbs: dst=0 src0=0 src1=0 src2=0
	v_pk_mul_f32 v[102:103], v[252:253], v[102:103] op_sel_hi:[1,0]
	v_add_f32_e32 v111, v9, v61
	s_wait_loadcnt 0x3
	v_dual_add_f32 v110, v11, v13 :: v_dual_mov_b32 v112, v169
	v_pk_mul_f32 v[104:105], v[178:179], v[162:163] op_sel:[1,1] op_sel_hi:[0,1]
	v_pk_fma_f32 v[114:115], v[176:177], v[160:161], v[102:103] op_sel_hi:[1,0,1]
	v_pk_fma_f32 v[102:103], v[176:177], v[160:161], v[102:103] neg_lo:[0,0,1] neg_hi:[0,0,1]
	s_set_vgpr_msb 4                        ;  msbs: dst=0 src0=0 src1=1 src2=0
	v_pk_add_f32 v[110:111], v[110:111], v[4:5] /*v[260:261]*/
	s_set_vgpr_msb 0                        ;  msbs: dst=0 src0=0 src1=0 src2=0
	v_pk_mul_f32 v[106:107], v[254:255], v[106:107] op_sel_hi:[1,0]
	v_pk_fma_f32 v[116:117], v[178:179], v[162:163], v[104:105] op_sel_hi:[1,0,1]
	v_mov_b32_e32 v103, v115
	v_pk_fma_f32 v[104:105], v[178:179], v[162:163], v[104:105] neg_lo:[0,0,1] neg_hi:[0,0,1]
	s_set_vgpr_msb 4                        ;  msbs: dst=0 src0=0 src1=1 src2=0
	v_pk_add_f32 v[110:111], v[110:111], v[6:7] /*v[262:263]*/
	s_set_vgpr_msb 0                        ;  msbs: dst=0 src0=0 src1=0 src2=0
	v_pk_mul_f32 v[108:109], v[182:183], v[166:167] op_sel:[1,1] op_sel_hi:[0,1]
	v_mov_b32_e32 v105, v117
	v_pk_fma_f32 v[116:117], v[180:181], v[164:165], v[106:107] op_sel_hi:[1,0,1]
	v_pk_fma_f32 v[106:107], v[180:181], v[164:165], v[106:107] neg_lo:[0,0,1] neg_hi:[0,0,1]
	v_pk_add_f32 v[102:103], v[110:111], v[102:103]
	v_pk_fma_f32 v[110:111], v[182:183], v[166:167], v[108:109] op_sel_hi:[1,0,1]
	s_set_vgpr_msb 1                        ;  msbs: dst=0 src0=1 src1=0 src2=0
	v_pk_mul_f32 v[112:113], v[0:1] /*v[256:257]*/, v[112:113] op_sel_hi:[1,0]
	s_set_vgpr_msb 0                        ;  msbs: dst=0 src0=0 src1=0 src2=0
	v_mov_b32_e32 v107, v117
	v_pk_fma_f32 v[108:109], v[182:183], v[166:167], v[108:109] neg_lo:[0,0,1] neg_hi:[0,0,1]
	v_pk_add_f32 v[102:103], v[102:103], v[104:105]
	s_wait_loadcnt 0x2
	v_pk_mul_f32 v[114:115], v[194:195], v[170:171] op_sel:[1,1] op_sel_hi:[0,1]
	v_dual_mov_b32 v104, v173 :: v_dual_mov_b32 v109, v111
	v_pk_fma_f32 v[110:111], v[184:185], v[168:169], v[112:113] op_sel_hi:[1,0,1]
	v_pk_add_f32 v[102:103], v[102:103], v[106:107]
	v_pk_fma_f32 v[112:113], v[184:185], v[168:169], v[112:113] neg_lo:[0,0,1] neg_hi:[0,0,1]
	v_pk_fma_f32 v[106:107], v[194:195], v[170:171], v[114:115] op_sel_hi:[1,0,1]
	s_set_vgpr_msb 1                        ;  msbs: dst=0 src0=1 src1=0 src2=0
	v_pk_mul_f32 v[104:105], v[2:3] /*v[258:259]*/, v[104:105] op_sel_hi:[1,0]
	s_set_vgpr_msb 0                        ;  msbs: dst=0 src0=0 src1=0 src2=0
	v_mov_b32_e32 v113, v111
	v_pk_add_f32 v[102:103], v[102:103], v[108:109]
	v_pk_fma_f32 v[108:109], v[194:195], v[170:171], v[114:115] neg_lo:[0,0,1] neg_hi:[0,0,1]
	v_mov_b32_e32 v109, v107
	v_pk_fma_f32 v[106:107], v[196:197], v[172:173], v[104:105] op_sel_hi:[1,0,1]
	s_wait_loadcnt_dscnt 0x100
	v_pk_mul_f32 v[110:111], v[250:251], v[246:247] op_sel:[1,1] op_sel_hi:[0,1]
	v_pk_add_f32 v[102:103], v[102:103], v[112:113]
	v_pk_fma_f32 v[104:105], v[196:197], v[172:173], v[104:105] neg_lo:[0,0,1] neg_hi:[0,0,1]
	v_mov_b32_e32 v105, v107
	s_delay_alu instid0(VALU_DEP_4) | instskip(NEXT) | instid1(VALU_DEP_4)
	v_pk_fma_f32 v[106:107], v[250:251], v[246:247], v[110:111] op_sel_hi:[1,0,1]
	v_pk_add_f32 v[102:103], v[102:103], v[108:109]
	v_pk_fma_f32 v[108:109], v[250:251], v[246:247], v[110:111] neg_lo:[0,0,1] neg_hi:[0,0,1]
	s_delay_alu instid0(VALU_DEP_3) | instskip(NEXT) | instid1(VALU_DEP_3)
	v_mov_b32_e32 v109, v107
	v_pk_add_f32 v[102:103], v[102:103], v[104:105]
	s_delay_alu instid0(VALU_DEP_1) | instskip(SKIP_1) | instid1(VALU_DEP_1)
	v_pk_add_f32 v[102:103], v[102:103], v[108:109]
	s_wait_loadcnt 0x0
	v_pk_add_f32 v[102:103], v[248:249], v[102:103] neg_lo:[0,1] neg_hi:[0,1]
	scratch_store_b64 off, v[102:103], off offset:96
	s_wait_xcnt 0x0
	v_cmpx_lt_u32_e32 11, v0
	s_cbranch_execz .LBB49_291
; %bb.290:
	scratch_load_b64 v[102:103], off, off offset:88
	v_mov_b64_e32 v[104:105], 0
	scratch_store_b64 off, v[104:105], off offset:88
	s_wait_loadcnt 0x0
	ds_store_b64 v1, v[102:103]
.LBB49_291:
	s_wait_xcnt 0x0
	s_or_b32 exec_lo, exec_lo, s0
	s_wait_storecnt_dscnt 0x0
	s_barrier_signal -1
	s_barrier_wait -1
	s_clause 0x13
	scratch_load_b128 v[102:105], off, off offset:96
	scratch_load_b128 v[106:109], off, off offset:112
	;; [unrolled: 1-line block ×19, first 2 shown]
	scratch_load_b64 v[254:255], off, off offset:88
	ds_load_b128 v[178:181], v7 offset:736
	ds_load_b128 v[182:185], v7 offset:752
	;; [unrolled: 1-line block ×19, first 2 shown]
	s_mov_b32 s0, exec_lo
	s_wait_dscnt 0x12
	s_set_vgpr_msb 64                       ;  msbs: dst=1 src0=0 src1=0 src2=0
	v_dual_mov_b32 v0 /*v256*/, v181 :: v_dual_mov_b32 v1 /*v257*/, v180
	s_wait_dscnt 0x11
	v_dual_mov_b32 v2 /*v258*/, v185 :: v_dual_mov_b32 v3 /*v259*/, v184
	s_wait_dscnt 0xf
	;; [unrolled: 2-line block ×3, first 2 shown]
	v_dual_mov_b32 v6 /*v262*/, v197 :: v_dual_mov_b32 v7 /*v263*/, v196
	s_wait_loadcnt_dscnt 0x130d
	s_set_vgpr_msb 0                        ;  msbs: dst=0 src0=0 src1=0 src2=0
	v_dual_mul_f32 v7, v198, v103 :: v_dual_mul_f32 v9, v200, v105
	v_dual_mul_f32 v63, v199, v103 :: v_dual_mul_f32 v65, v201, v105
	s_wait_loadcnt_dscnt 0x120c
	v_dual_mul_f32 v11, v202, v107 :: v_dual_mul_f32 v13, v204, v109
	s_delay_alu instid0(VALU_DEP_3) | instskip(SKIP_3) | instid1(VALU_DEP_3)
	v_dual_fmac_f32 v7, v199, v102 :: v_dual_fmac_f32 v9, v201, v104
	s_wait_loadcnt_dscnt 0x100a
	v_dual_fma_f32 v63, v198, v102, -v63 :: v_dual_mul_f32 v75, v211, v115
	v_dual_mul_f32 v67, v203, v107 :: v_dual_mul_f32 v69, v205, v109
	v_dual_fma_f32 v65, v200, v104, -v65 :: v_dual_add_f32 v7, 0, v7
	s_delay_alu instid0(VALU_DEP_3) | instskip(SKIP_1) | instid1(VALU_DEP_3)
	v_dual_add_f32 v63, 0, v63 :: v_dual_mul_f32 v77, v213, v117
	v_dual_fmac_f32 v11, v203, v106 :: v_dual_fmac_f32 v13, v205, v108
	v_dual_fma_f32 v67, v202, v106, -v67 :: v_dual_add_f32 v7, v7, v9
	s_delay_alu instid0(VALU_DEP_3) | instskip(SKIP_2) | instid1(VALU_DEP_4)
	v_dual_add_f32 v9, v63, v65 :: v_dual_fma_f32 v65, v204, v108, -v69
	v_dual_mul_f32 v15, v206, v111 :: v_dual_mul_f32 v17, v208, v113
	v_dual_mul_f32 v71, v207, v111 :: v_dual_mul_f32 v73, v209, v113
	v_add_f32_e32 v7, v7, v11
	s_delay_alu instid0(VALU_DEP_3) | instskip(NEXT) | instid1(VALU_DEP_3)
	v_dual_add_f32 v9, v9, v67 :: v_dual_fmac_f32 v15, v207, v110
	v_fma_f32 v67, v206, v110, -v71
	v_dual_mul_f32 v19, v210, v115 :: v_dual_mul_f32 v21, v212, v117
	s_delay_alu instid0(VALU_DEP_4) | instskip(SKIP_2) | instid1(VALU_DEP_2)
	v_dual_add_f32 v7, v7, v13 :: v_dual_fmac_f32 v17, v209, v112
	s_wait_loadcnt_dscnt 0xe08
	v_dual_add_f32 v9, v9, v65 :: v_dual_mul_f32 v13, v219, v123
	v_dual_fma_f32 v65, v208, v112, -v73 :: v_dual_add_f32 v7, v7, v15
	v_mul_f32_e32 v15, v221, v125
	s_delay_alu instid0(VALU_DEP_3) | instskip(NEXT) | instid1(VALU_DEP_3)
	v_dual_add_f32 v9, v9, v67 :: v_dual_fmac_f32 v19, v211, v114
	v_dual_fma_f32 v67, v210, v114, -v75 :: v_dual_add_f32 v7, v7, v17
	v_fmac_f32_e32 v21, v213, v116
	s_wait_loadcnt_dscnt 0xd07
	s_delay_alu instid0(VALU_DEP_3) | instskip(SKIP_3) | instid1(VALU_DEP_3)
	v_dual_add_f32 v9, v9, v65 :: v_dual_mul_f32 v17, v223, v127
	v_dual_mul_f32 v23, v214, v119 :: v_dual_mul_f32 v25, v216, v121
	v_dual_mul_f32 v63, v215, v119 :: v_dual_mul_f32 v11, v217, v121
	v_dual_fma_f32 v65, v212, v116, -v77 :: v_dual_add_f32 v7, v7, v19
	v_dual_add_f32 v9, v9, v67 :: v_dual_fmac_f32 v23, v215, v118
	s_delay_alu instid0(VALU_DEP_3) | instskip(NEXT) | instid1(VALU_DEP_3)
	v_dual_mul_f32 v19, v225, v129 :: v_dual_fma_f32 v63, v214, v118, -v63
	v_dual_add_f32 v7, v7, v21 :: v_dual_fmac_f32 v25, v217, v120
	s_wait_loadcnt_dscnt 0xc06
	s_delay_alu instid0(VALU_DEP_3) | instskip(SKIP_1) | instid1(VALU_DEP_3)
	v_dual_add_f32 v9, v9, v65 :: v_dual_mul_f32 v21, v227, v131
	v_dual_mul_f32 v27, v218, v123 :: v_dual_mul_f32 v29, v220, v125
	v_dual_fma_f32 v11, v216, v120, -v11 :: v_dual_add_f32 v7, v7, v23
	s_delay_alu instid0(VALU_DEP_2) | instskip(SKIP_1) | instid1(VALU_DEP_2)
	v_dual_add_f32 v9, v9, v63 :: v_dual_fmac_f32 v27, v219, v122
	v_dual_mul_f32 v23, v229, v133 :: v_dual_fma_f32 v13, v218, v122, -v13
	v_dual_add_f32 v7, v7, v25 :: v_dual_add_f32 v9, v9, v11
	v_dual_mul_f32 v31, v222, v127 :: v_dual_mul_f32 v33, v224, v129
	s_wait_loadcnt_dscnt 0xb05
	v_dual_mul_f32 v11, v231, v135 :: v_dual_fmac_f32 v29, v221, v124
	s_delay_alu instid0(VALU_DEP_3) | instskip(NEXT) | instid1(VALU_DEP_3)
	v_dual_fma_f32 v15, v220, v124, -v15 :: v_dual_add_f32 v7, v7, v27
	v_dual_add_f32 v9, v9, v13 :: v_dual_fmac_f32 v31, v223, v126
	v_dual_mul_f32 v13, v233, v137 :: v_dual_fma_f32 v17, v222, v126, -v17
	s_delay_alu instid0(VALU_DEP_2) | instskip(SKIP_3) | instid1(VALU_DEP_3)
	v_dual_add_f32 v7, v7, v29 :: v_dual_add_f32 v9, v9, v15
	v_dual_mul_f32 v35, v226, v131 :: v_dual_mul_f32 v37, v228, v133
	s_wait_loadcnt_dscnt 0xa04
	v_dual_mul_f32 v15, v235, v139 :: v_dual_fmac_f32 v33, v225, v128
	v_dual_fma_f32 v19, v224, v128, -v19 :: v_dual_add_f32 v7, v7, v31
	s_delay_alu instid0(VALU_DEP_3) | instskip(SKIP_1) | instid1(VALU_DEP_2)
	v_dual_add_f32 v9, v9, v17 :: v_dual_fmac_f32 v35, v227, v130
	v_dual_mul_f32 v17, v237, v141 :: v_dual_fma_f32 v21, v226, v130, -v21
	v_dual_add_f32 v7, v7, v33 :: v_dual_add_f32 v9, v9, v19
	v_dual_mul_f32 v39, v230, v135 :: v_dual_mul_f32 v41, v232, v137
	s_wait_loadcnt_dscnt 0x903
	v_dual_mul_f32 v19, v239, v143 :: v_dual_fmac_f32 v37, v229, v132
	s_delay_alu instid0(VALU_DEP_3) | instskip(NEXT) | instid1(VALU_DEP_3)
	v_dual_fma_f32 v23, v228, v132, -v23 :: v_dual_add_f32 v7, v7, v35
	v_dual_add_f32 v9, v9, v21 :: v_dual_fmac_f32 v39, v231, v134
	v_dual_mul_f32 v21, v241, v145 :: v_dual_fma_f32 v11, v230, v134, -v11
	s_delay_alu instid0(VALU_DEP_2) | instskip(SKIP_3) | instid1(VALU_DEP_3)
	v_dual_add_f32 v7, v7, v37 :: v_dual_add_f32 v9, v9, v23
	v_dual_mul_f32 v43, v234, v139 :: v_dual_mul_f32 v45, v236, v141
	s_wait_loadcnt_dscnt 0x802
	v_dual_mul_f32 v23, v243, v147 :: v_dual_fmac_f32 v41, v233, v136
	v_dual_fma_f32 v13, v232, v136, -v13 :: v_dual_add_f32 v7, v7, v39
	s_delay_alu instid0(VALU_DEP_3) | instskip(SKIP_1) | instid1(VALU_DEP_3)
	v_dual_add_f32 v9, v9, v11 :: v_dual_fmac_f32 v43, v235, v138
	v_dual_mul_f32 v11, v245, v149 :: v_dual_fma_f32 v15, v234, v138, -v15
	v_dual_add_f32 v7, v7, v41 :: v_dual_fmac_f32 v45, v237, v140
	s_wait_loadcnt_dscnt 0x701
	s_delay_alu instid0(VALU_DEP_3) | instskip(SKIP_1) | instid1(VALU_DEP_3)
	v_dual_add_f32 v9, v9, v13 :: v_dual_mul_f32 v13, v247, v151
	v_dual_mul_f32 v47, v238, v143 :: v_dual_mul_f32 v49, v240, v145
	v_dual_fma_f32 v17, v236, v140, -v17 :: v_dual_add_f32 v7, v7, v43
	s_delay_alu instid0(VALU_DEP_2) | instskip(SKIP_1) | instid1(VALU_DEP_3)
	v_dual_add_f32 v9, v9, v15 :: v_dual_fmac_f32 v47, v239, v142
	v_dual_mul_f32 v15, v249, v153 :: v_dual_fma_f32 v19, v238, v142, -v19
	v_dual_add_f32 v7, v7, v45 :: v_dual_fmac_f32 v49, v241, v144
	s_wait_loadcnt_dscnt 0x600
	s_delay_alu instid0(VALU_DEP_3) | instskip(SKIP_1) | instid1(VALU_DEP_3)
	v_dual_add_f32 v9, v9, v17 :: v_dual_mul_f32 v17, v251, v155
	v_dual_mul_f32 v51, v242, v147 :: v_dual_mul_f32 v53, v244, v149
	v_dual_fma_f32 v21, v240, v144, -v21 :: v_dual_add_f32 v7, v7, v47
	s_delay_alu instid0(VALU_DEP_2) | instskip(SKIP_1) | instid1(VALU_DEP_3)
	v_dual_add_f32 v9, v9, v19 :: v_dual_fmac_f32 v51, v243, v146
	v_dual_mul_f32 v19, v253, v157 :: v_dual_fma_f32 v23, v242, v146, -v23
	v_dual_add_f32 v7, v7, v49 :: v_dual_fmac_f32 v53, v245, v148
	s_wait_loadcnt 0x5
	s_delay_alu instid0(VALU_DEP_3) | instskip(SKIP_1) | instid1(VALU_DEP_3)
	v_dual_add_f32 v9, v9, v21 :: v_dual_mul_f32 v21, v187, v159
	v_dual_mul_f32 v55, v246, v151 :: v_dual_mul_f32 v57, v248, v153
	v_dual_fma_f32 v11, v244, v148, -v11 :: v_dual_add_f32 v7, v7, v51
	s_delay_alu instid0(VALU_DEP_2) | instskip(SKIP_1) | instid1(VALU_DEP_2)
	v_dual_add_f32 v9, v9, v23 :: v_dual_fmac_f32 v55, v247, v150
	v_dual_mul_f32 v23, v189, v161 :: v_dual_fma_f32 v13, v246, v150, -v13
	v_dual_add_f32 v7, v7, v53 :: v_dual_add_f32 v9, v9, v11
	v_dual_mul_f32 v59, v250, v155 :: v_dual_mul_f32 v61, v252, v157
	v_dual_fmac_f32 v57, v249, v152 :: v_dual_fma_f32 v11, v248, v152, -v15
	s_delay_alu instid0(VALU_DEP_3) | instskip(SKIP_1) | instid1(VALU_DEP_3)
	v_dual_add_f32 v7, v7, v55 :: v_dual_add_f32 v9, v9, v13
	s_wait_loadcnt 0x4
	v_dual_mov_b32 v104, v165 :: v_dual_fmac_f32 v59, v251, v154
	s_delay_alu instid0(VALU_DEP_2) | instskip(NEXT) | instid1(VALU_DEP_3)
	v_dual_fma_f32 v13, v250, v154, -v17 :: v_dual_add_f32 v7, v7, v57
	v_dual_add_f32 v9, v9, v11 :: v_dual_fma_f32 v11, v252, v156, -v19
	s_set_vgpr_msb 64                       ;  msbs: dst=1 src0=0 src1=0 src2=0
	v_dual_mul_f32 v9 /*v265*/, v186, v159 :: v_dual_mul_f32 v11 /*v267*/, v188, v161
	s_set_vgpr_msb 0                        ;  msbs: dst=0 src0=0 src1=0 src2=0
	v_dual_fmac_f32 v61, v253, v156 :: v_dual_add_f32 v7, v7, v59
	v_add_f32_e32 v9, v9, v13
	v_pk_mul_f32 v[102:103], v[178:179], v[162:163] op_sel:[1,1] op_sel_hi:[0,1]
	s_wait_loadcnt 0x3
	v_mov_b32_e32 v108, v169
	s_set_vgpr_msb 64                       ;  msbs: dst=1 src0=0 src1=0 src2=0
	v_dual_fmac_f32 v9 /*v265*/, v187, v158 :: v_dual_fmac_f32 v11 /*v267*/, v189, v160
	v_dual_fma_f32 v8 /*v264*/, v186, v158, -v21 :: v_dual_fma_f32 v10 /*v266*/, v188, v160, -v23
	s_set_vgpr_msb 0                        ;  msbs: dst=0 src0=0 src1=0 src2=0
	v_dual_add_f32 v111, v7, v61 :: v_dual_add_f32 v110, v9, v11
	v_pk_fma_f32 v[112:113], v[178:179], v[162:163], v[102:103] op_sel_hi:[1,0,1]
	s_set_vgpr_msb 1                        ;  msbs: dst=0 src0=1 src1=0 src2=0
	v_pk_mul_f32 v[104:105], v[0:1] /*v[256:257]*/, v[104:105] op_sel_hi:[1,0]
	s_set_vgpr_msb 0                        ;  msbs: dst=0 src0=0 src1=0 src2=0
	v_pk_fma_f32 v[102:103], v[178:179], v[162:163], v[102:103] neg_lo:[0,0,1] neg_hi:[0,0,1]
	v_pk_mul_f32 v[106:107], v[182:183], v[166:167] op_sel:[1,1] op_sel_hi:[0,1]
	s_set_vgpr_msb 4                        ;  msbs: dst=0 src0=0 src1=1 src2=0
	v_pk_add_f32 v[110:111], v[110:111], v[8:9] /*v[264:265]*/
	v_mov_b32_e32 v103, v113
	s_set_vgpr_msb 0                        ;  msbs: dst=0 src0=0 src1=0 src2=0
	v_pk_fma_f32 v[112:113], v[180:181], v[164:165], v[104:105] op_sel_hi:[1,0,1]
	v_pk_fma_f32 v[104:105], v[180:181], v[164:165], v[104:105] neg_lo:[0,0,1] neg_hi:[0,0,1]
	v_pk_fma_f32 v[116:117], v[182:183], v[166:167], v[106:107] op_sel_hi:[1,0,1]
	s_set_vgpr_msb 4                        ;  msbs: dst=0 src0=0 src1=1 src2=0
	v_pk_add_f32 v[110:111], v[110:111], v[10:11] /*v[266:267]*/
	s_set_vgpr_msb 1                        ;  msbs: dst=0 src0=1 src1=0 src2=0
	v_pk_mul_f32 v[108:109], v[2:3] /*v[258:259]*/, v[108:109] op_sel_hi:[1,0]
	s_set_vgpr_msb 0                        ;  msbs: dst=0 src0=0 src1=0 src2=0
	v_mov_b32_e32 v105, v113
	s_wait_loadcnt 0x2
	v_pk_mul_f32 v[114:115], v[190:191], v[170:171] op_sel:[1,1] op_sel_hi:[0,1]
	v_pk_fma_f32 v[106:107], v[182:183], v[166:167], v[106:107] neg_lo:[0,0,1] neg_hi:[0,0,1]
	v_pk_add_f32 v[102:103], v[110:111], v[102:103]
	v_dual_mov_b32 v110, v173 :: v_dual_mov_b32 v107, v117
	v_pk_fma_f32 v[112:113], v[184:185], v[168:169], v[108:109] op_sel_hi:[1,0,1]
	v_pk_fma_f32 v[108:109], v[184:185], v[168:169], v[108:109] neg_lo:[0,0,1] neg_hi:[0,0,1]
	s_delay_alu instid0(VALU_DEP_4)
	v_pk_add_f32 v[102:103], v[102:103], v[104:105]
	v_pk_fma_f32 v[104:105], v[190:191], v[170:171], v[114:115] op_sel_hi:[1,0,1]
	s_set_vgpr_msb 1                        ;  msbs: dst=0 src0=1 src1=0 src2=0
	v_pk_mul_f32 v[110:111], v[4:5] /*v[260:261]*/, v[110:111] op_sel_hi:[1,0]
	s_set_vgpr_msb 0                        ;  msbs: dst=0 src0=0 src1=0 src2=0
	v_mov_b32_e32 v109, v113
	v_pk_fma_f32 v[112:113], v[190:191], v[170:171], v[114:115] neg_lo:[0,0,1] neg_hi:[0,0,1]
	v_pk_add_f32 v[102:103], v[102:103], v[106:107]
	v_mov_b32_e32 v113, v105
	v_pk_fma_f32 v[104:105], v[192:193], v[172:173], v[110:111] op_sel_hi:[1,0,1]
	s_wait_loadcnt 0x1
	v_pk_mul_f32 v[106:107], v[194:195], v[174:175] op_sel:[1,1] op_sel_hi:[0,1]
	v_mov_b32_e32 v104, v177
	v_pk_add_f32 v[102:103], v[102:103], v[108:109]
	v_pk_fma_f32 v[110:111], v[192:193], v[172:173], v[110:111] neg_lo:[0,0,1] neg_hi:[0,0,1]
	v_mov_b32_e32 v111, v105
	v_pk_fma_f32 v[108:109], v[194:195], v[174:175], v[106:107] op_sel_hi:[1,0,1]
	s_set_vgpr_msb 1                        ;  msbs: dst=0 src0=1 src1=0 src2=0
	v_pk_mul_f32 v[104:105], v[6:7] /*v[262:263]*/, v[104:105] op_sel_hi:[1,0]
	s_set_vgpr_msb 0                        ;  msbs: dst=0 src0=0 src1=0 src2=0
	v_pk_add_f32 v[102:103], v[102:103], v[112:113]
	v_pk_fma_f32 v[106:107], v[194:195], v[174:175], v[106:107] neg_lo:[0,0,1] neg_hi:[0,0,1]
	v_mov_b32_e32 v107, v109
	v_pk_fma_f32 v[108:109], v[196:197], v[176:177], v[104:105] op_sel_hi:[1,0,1]
	s_delay_alu instid0(VALU_DEP_4) | instskip(SKIP_1) | instid1(VALU_DEP_3)
	v_pk_add_f32 v[102:103], v[102:103], v[110:111]
	v_pk_fma_f32 v[104:105], v[196:197], v[176:177], v[104:105] neg_lo:[0,0,1] neg_hi:[0,0,1]
	v_mov_b32_e32 v105, v109
	s_delay_alu instid0(VALU_DEP_3) | instskip(NEXT) | instid1(VALU_DEP_1)
	v_pk_add_f32 v[102:103], v[102:103], v[106:107]
	v_pk_add_f32 v[102:103], v[102:103], v[104:105]
	s_wait_loadcnt 0x0
	s_delay_alu instid0(VALU_DEP_1)
	v_pk_add_f32 v[102:103], v[254:255], v[102:103] neg_lo:[0,1] neg_hi:[0,1]
	scratch_store_b64 off, v[102:103], off offset:88
	s_wait_xcnt 0x0
	v_cmpx_lt_u32_e32 10, v0
	s_cbranch_execz .LBB49_293
; %bb.292:
	scratch_load_b64 v[102:103], off, off offset:80
	v_mov_b64_e32 v[104:105], 0
	scratch_store_b64 off, v[104:105], off offset:80
	s_wait_loadcnt 0x0
	ds_store_b64 v1, v[102:103]
.LBB49_293:
	s_wait_xcnt 0x0
	s_or_b32 exec_lo, exec_lo, s0
	s_wait_storecnt_dscnt 0x0
	s_barrier_signal -1
	s_barrier_wait -1
	s_clause 0x15
	scratch_load_b128 v[102:105], off, off offset:88
	scratch_load_b128 v[106:109], off, off offset:104
	;; [unrolled: 1-line block ×19, first 2 shown]
	scratch_load_b64 v[254:255], off, off offset:392
	s_set_vgpr_msb 64                       ;  msbs: dst=1 src0=0 src1=0 src2=0
	scratch_load_b64 v[0:1] /*v[256:257]*/, off, off offset:80
	s_set_vgpr_msb 0                        ;  msbs: dst=0 src0=0 src1=0 src2=0
	v_mov_b32_e32 v7, 0
	ds_load_2addr_b64 v[178:181], v7 offset0:91 offset1:92
	ds_load_2addr_b64 v[182:185], v7 offset0:89 offset1:90
	;; [unrolled: 1-line block ×19, first 2 shown]
	s_set_vgpr_msb 64                       ;  msbs: dst=1 src0=0 src1=0 src2=0
	ds_load_b64 v[2:3] /*v[258:259]*/, v7 offset:792
	s_wait_dscnt 0x13
	v_dual_mov_b32 v4 /*v260*/, v181 :: v_dual_mov_b32 v5 /*v261*/, v180
	s_wait_dscnt 0x11
	v_dual_mov_b32 v6 /*v262*/, v189 :: v_dual_mov_b32 v7 /*v263*/, v188
	;; [unrolled: 2-line block ×4, first 2 shown]
	s_mov_b32 s0, exec_lo
	s_wait_loadcnt 0x14
	s_set_vgpr_msb 0                        ;  msbs: dst=0 src0=0 src1=0 src2=0
	v_dual_mul_f32 v9, v194, v103 :: v_dual_mul_f32 v67, v195, v103
	v_dual_mul_f32 v69, v197, v105 :: v_dual_mul_f32 v11, v196, v105
	s_wait_loadcnt 0x13
	v_mul_f32_e32 v13, v198, v107
	s_wait_loadcnt_dscnt 0x110b
	v_dual_mul_f32 v79, v211, v115 :: v_dual_fma_f32 v67, v194, v102, -v67
	v_dual_fmac_f32 v9, v195, v102 :: v_dual_mul_f32 v81, v213, v117
	v_dual_mul_f32 v71, v199, v107 :: v_dual_mul_f32 v73, v201, v109
	v_dual_fmac_f32 v11, v197, v104 :: v_dual_fma_f32 v69, v196, v104, -v69
	s_delay_alu instid0(VALU_DEP_3) | instskip(SKIP_3) | instid1(VALU_DEP_3)
	v_dual_add_f32 v9, 0, v9 :: v_dual_add_f32 v67, 0, v67
	v_dual_mul_f32 v15, v200, v109 :: v_dual_mul_f32 v17, v206, v111
	s_wait_loadcnt_dscnt 0x100a
	v_dual_mul_f32 v83, v215, v119 :: v_dual_fma_f32 v71, v198, v106, -v71
	v_dual_fmac_f32 v13, v199, v106 :: v_dual_add_f32 v9, v9, v11
	s_delay_alu instid0(VALU_DEP_3) | instskip(SKIP_2) | instid1(VALU_DEP_3)
	v_dual_add_f32 v11, v67, v69 :: v_dual_fmac_f32 v15, v201, v108
	v_dual_mul_f32 v75, v207, v111 :: v_dual_mul_f32 v77, v209, v113
	v_dual_mul_f32 v67, v217, v121 :: v_dual_fma_f32 v69, v200, v108, -v73
	v_dual_add_f32 v9, v9, v13 :: v_dual_add_f32 v11, v11, v71
	v_dual_mul_f32 v19, v208, v113 :: v_dual_mul_f32 v21, v210, v115
	s_wait_loadcnt_dscnt 0xf09
	v_dual_mul_f32 v13, v219, v123 :: v_dual_fma_f32 v71, v206, v110, -v75
	s_delay_alu instid0(VALU_DEP_3) | instskip(NEXT) | instid1(VALU_DEP_3)
	v_dual_fmac_f32 v17, v207, v110 :: v_dual_add_f32 v9, v9, v15
	v_dual_add_f32 v11, v11, v69 :: v_dual_fmac_f32 v19, v209, v112
	v_dual_mul_f32 v15, v221, v125 :: v_dual_fma_f32 v69, v208, v112, -v77
	s_delay_alu instid0(VALU_DEP_2) | instskip(SKIP_3) | instid1(VALU_DEP_3)
	v_dual_add_f32 v9, v9, v17 :: v_dual_add_f32 v11, v11, v71
	v_dual_mul_f32 v23, v212, v117 :: v_dual_mul_f32 v25, v214, v119
	s_wait_loadcnt_dscnt 0xe08
	v_dual_mul_f32 v17, v223, v127 :: v_dual_fma_f32 v71, v210, v114, -v79
	v_dual_fmac_f32 v21, v211, v114 :: v_dual_add_f32 v9, v9, v19
	s_delay_alu instid0(VALU_DEP_3) | instskip(SKIP_1) | instid1(VALU_DEP_2)
	v_dual_add_f32 v11, v11, v69 :: v_dual_fmac_f32 v23, v213, v116
	v_dual_mul_f32 v19, v225, v129 :: v_dual_fma_f32 v69, v212, v116, -v81
	v_dual_add_f32 v9, v9, v21 :: v_dual_add_f32 v11, v11, v71
	v_dual_mul_f32 v27, v216, v121 :: v_dual_mul_f32 v29, v218, v123
	s_wait_loadcnt_dscnt 0xd07
	v_dual_mul_f32 v21, v227, v131 :: v_dual_fma_f32 v71, v214, v118, -v83
	s_delay_alu instid0(VALU_DEP_3) | instskip(NEXT) | instid1(VALU_DEP_3)
	v_dual_fmac_f32 v25, v215, v118 :: v_dual_add_f32 v9, v9, v23
	v_dual_add_f32 v11, v11, v69 :: v_dual_fmac_f32 v27, v217, v120
	v_dual_mul_f32 v23, v229, v133 :: v_dual_fma_f32 v67, v216, v120, -v67
	s_delay_alu instid0(VALU_DEP_2) | instskip(SKIP_3) | instid1(VALU_DEP_3)
	v_dual_add_f32 v9, v9, v25 :: v_dual_add_f32 v11, v11, v71
	v_dual_mul_f32 v31, v220, v125 :: v_dual_mul_f32 v33, v222, v127
	s_wait_loadcnt_dscnt 0xc06
	v_dual_mul_f32 v25, v231, v135 :: v_dual_fma_f32 v13, v218, v122, -v13
	v_dual_fmac_f32 v29, v219, v122 :: v_dual_add_f32 v9, v9, v27
	v_dual_add_f32 v11, v11, v67 :: v_dual_mul_f32 v27, v233, v137
	v_fmac_f32_e32 v31, v221, v124
	s_delay_alu instid0(VALU_DEP_3) | instskip(NEXT) | instid1(VALU_DEP_3)
	v_dual_fma_f32 v15, v220, v124, -v15 :: v_dual_add_f32 v9, v9, v29
	v_add_f32_e32 v11, v11, v13
	v_dual_mul_f32 v35, v224, v129 :: v_dual_mul_f32 v37, v226, v131
	s_wait_loadcnt_dscnt 0xb05
	v_dual_mul_f32 v13, v235, v139 :: v_dual_fma_f32 v17, v222, v126, -v17
	v_dual_fmac_f32 v33, v223, v126 :: v_dual_add_f32 v9, v9, v31
	v_dual_add_f32 v11, v11, v15 :: v_dual_mul_f32 v15, v237, v141
	v_fmac_f32_e32 v35, v225, v128
	s_delay_alu instid0(VALU_DEP_3) | instskip(NEXT) | instid1(VALU_DEP_3)
	v_dual_fma_f32 v19, v224, v128, -v19 :: v_dual_add_f32 v9, v9, v33
	v_add_f32_e32 v11, v11, v17
	;; [unrolled: 9-line block ×6, first 2 shown]
	v_dual_mul_f32 v55, v244, v149 :: v_dual_mul_f32 v57, v246, v151
	s_wait_loadcnt 0x6
	v_dual_mul_f32 v17, v183, v159 :: v_dual_fma_f32 v21, v242, v146, -v21
	v_dual_fmac_f32 v53, v243, v146 :: v_dual_add_f32 v9, v9, v51
	v_dual_add_f32 v11, v11, v19 :: v_dual_mul_f32 v19, v185, v161
	v_fmac_f32_e32 v55, v245, v148
	s_delay_alu instid0(VALU_DEP_3) | instskip(NEXT) | instid1(VALU_DEP_3)
	v_dual_fma_f32 v23, v244, v148, -v23 :: v_dual_add_f32 v9, v9, v53
	v_add_f32_e32 v11, v11, v21
	v_dual_mul_f32 v59, v248, v153 :: v_dual_mul_f32 v61, v250, v155
	s_wait_loadcnt 0x5
	v_dual_mul_f32 v21, v179, v163 :: v_dual_fma_f32 v25, v246, v150, -v25
	v_dual_fmac_f32 v57, v247, v150 :: v_dual_add_f32 v9, v9, v55
	v_dual_add_f32 v11, v11, v23 :: v_dual_mov_b32 v102, v165
	v_fmac_f32_e32 v59, v249, v152
	s_delay_alu instid0(VALU_DEP_3) | instskip(NEXT) | instid1(VALU_DEP_3)
	v_dual_fma_f32 v23, v248, v152, -v27 :: v_dual_add_f32 v9, v9, v57
	v_add_f32_e32 v11, v11, v25
	v_dual_mul_f32 v63, v252, v157 :: v_dual_mul_f32 v65, v182, v159
	s_delay_alu instid0(VALU_DEP_3) | instskip(NEXT) | instid1(VALU_DEP_3)
	v_dual_fmac_f32 v61, v251, v154 :: v_dual_add_f32 v9, v9, v59
	v_dual_fma_f32 v13, v250, v154, -v13 :: v_dual_add_f32 v11, v11, v23
	s_wait_loadcnt 0x4
	v_dual_mov_b32 v106, v169 :: v_dual_fma_f32 v15, v252, v156, -v15
	v_fmac_f32_e32 v63, v253, v156
	v_dual_add_f32 v9, v9, v61 :: v_dual_fmac_f32 v65, v183, v158
	v_add_f32_e32 v11, v11, v13
	s_set_vgpr_msb 64                       ;  msbs: dst=1 src0=0 src1=0 src2=0
	v_dual_mul_f32 v13 /*v269*/, v184, v161 :: v_dual_mul_f32 v15 /*v271*/, v178, v163
	s_set_vgpr_msb 0                        ;  msbs: dst=0 src0=0 src1=0 src2=0
	v_dual_fma_f32 v13, v182, v158, -v17 :: v_dual_add_f32 v9, v9, v63
	v_add_f32_e32 v11, v11, v15
	s_set_vgpr_msb 64                       ;  msbs: dst=1 src0=0 src1=0 src2=0
	v_dual_fmac_f32 v13 /*v269*/, v185, v160 :: v_dual_fmac_f32 v15 /*v271*/, v179, v162
	v_dual_fma_f32 v12 /*v268*/, v184, v160, -v19 :: v_dual_fma_f32 v14 /*v270*/, v178, v162, -v21
	s_set_vgpr_msb 1                        ;  msbs: dst=0 src0=1 src1=0 src2=0
	v_pk_mul_f32 v[102:103], v[4:5] /*v[260:261]*/, v[102:103] op_sel_hi:[1,0]
	s_set_vgpr_msb 0                        ;  msbs: dst=0 src0=0 src1=0 src2=0
	v_add_f32_e32 v111, v9, v65
	s_wait_loadcnt 0x3
	v_dual_add_f32 v110, v11, v13 :: v_dual_mov_b32 v112, v173
	v_pk_mul_f32 v[104:105], v[186:187], v[166:167] op_sel:[1,1] op_sel_hi:[0,1]
	v_pk_fma_f32 v[114:115], v[180:181], v[164:165], v[102:103] op_sel_hi:[1,0,1]
	v_pk_fma_f32 v[102:103], v[180:181], v[164:165], v[102:103] neg_lo:[0,0,1] neg_hi:[0,0,1]
	s_set_vgpr_msb 4                        ;  msbs: dst=0 src0=0 src1=1 src2=0
	v_pk_add_f32 v[110:111], v[110:111], v[12:13] /*v[268:269]*/
	s_set_vgpr_msb 1                        ;  msbs: dst=0 src0=1 src1=0 src2=0
	v_pk_mul_f32 v[106:107], v[6:7] /*v[262:263]*/, v[106:107] op_sel_hi:[1,0]
	s_set_vgpr_msb 0                        ;  msbs: dst=0 src0=0 src1=0 src2=0
	v_pk_fma_f32 v[116:117], v[186:187], v[166:167], v[104:105] op_sel_hi:[1,0,1]
	v_mov_b32_e32 v103, v115
	v_pk_fma_f32 v[104:105], v[186:187], v[166:167], v[104:105] neg_lo:[0,0,1] neg_hi:[0,0,1]
	s_set_vgpr_msb 4                        ;  msbs: dst=0 src0=0 src1=1 src2=0
	v_pk_add_f32 v[110:111], v[110:111], v[14:15] /*v[270:271]*/
	s_set_vgpr_msb 0                        ;  msbs: dst=0 src0=0 src1=0 src2=0
	v_pk_mul_f32 v[108:109], v[190:191], v[170:171] op_sel:[1,1] op_sel_hi:[0,1]
	v_mov_b32_e32 v105, v117
	v_pk_fma_f32 v[116:117], v[188:189], v[168:169], v[106:107] op_sel_hi:[1,0,1]
	v_pk_fma_f32 v[106:107], v[188:189], v[168:169], v[106:107] neg_lo:[0,0,1] neg_hi:[0,0,1]
	v_pk_add_f32 v[102:103], v[110:111], v[102:103]
	v_pk_fma_f32 v[110:111], v[190:191], v[170:171], v[108:109] op_sel_hi:[1,0,1]
	s_set_vgpr_msb 1                        ;  msbs: dst=0 src0=1 src1=0 src2=0
	v_pk_mul_f32 v[112:113], v[8:9] /*v[264:265]*/, v[112:113] op_sel_hi:[1,0]
	s_set_vgpr_msb 0                        ;  msbs: dst=0 src0=0 src1=0 src2=0
	v_mov_b32_e32 v107, v117
	v_pk_fma_f32 v[108:109], v[190:191], v[170:171], v[108:109] neg_lo:[0,0,1] neg_hi:[0,0,1]
	v_pk_add_f32 v[102:103], v[102:103], v[104:105]
	s_wait_loadcnt 0x2
	v_pk_mul_f32 v[114:115], v[202:203], v[174:175] op_sel:[1,1] op_sel_hi:[0,1]
	v_dual_mov_b32 v104, v177 :: v_dual_mov_b32 v109, v111
	v_pk_fma_f32 v[110:111], v[192:193], v[172:173], v[112:113] op_sel_hi:[1,0,1]
	v_pk_add_f32 v[102:103], v[102:103], v[106:107]
	v_pk_fma_f32 v[112:113], v[192:193], v[172:173], v[112:113] neg_lo:[0,0,1] neg_hi:[0,0,1]
	v_pk_fma_f32 v[106:107], v[202:203], v[174:175], v[114:115] op_sel_hi:[1,0,1]
	s_set_vgpr_msb 1                        ;  msbs: dst=0 src0=1 src1=0 src2=0
	v_pk_mul_f32 v[104:105], v[10:11] /*v[266:267]*/, v[104:105] op_sel_hi:[1,0]
	s_set_vgpr_msb 0                        ;  msbs: dst=0 src0=0 src1=0 src2=0
	v_mov_b32_e32 v113, v111
	v_pk_add_f32 v[102:103], v[102:103], v[108:109]
	v_pk_fma_f32 v[108:109], v[202:203], v[174:175], v[114:115] neg_lo:[0,0,1] neg_hi:[0,0,1]
	v_mov_b32_e32 v109, v107
	v_pk_fma_f32 v[106:107], v[204:205], v[176:177], v[104:105] op_sel_hi:[1,0,1]
	s_wait_loadcnt_dscnt 0x100
	s_set_vgpr_msb 1                        ;  msbs: dst=0 src0=1 src1=0 src2=0
	v_pk_mul_f32 v[110:111], v[2:3] /*v[258:259]*/, v[254:255] op_sel:[1,1] op_sel_hi:[0,1]
	s_set_vgpr_msb 0                        ;  msbs: dst=0 src0=0 src1=0 src2=0
	v_pk_add_f32 v[102:103], v[102:103], v[112:113]
	v_pk_fma_f32 v[104:105], v[204:205], v[176:177], v[104:105] neg_lo:[0,0,1] neg_hi:[0,0,1]
	v_mov_b32_e32 v105, v107
	s_set_vgpr_msb 1                        ;  msbs: dst=0 src0=1 src1=0 src2=0
	v_pk_fma_f32 v[106:107], v[2:3] /*v[258:259]*/, v[254:255], v[110:111] op_sel_hi:[1,0,1]
	s_set_vgpr_msb 0                        ;  msbs: dst=0 src0=0 src1=0 src2=0
	v_pk_add_f32 v[102:103], v[102:103], v[108:109]
	s_set_vgpr_msb 1                        ;  msbs: dst=0 src0=1 src1=0 src2=0
	v_pk_fma_f32 v[108:109], v[2:3] /*v[258:259]*/, v[254:255], v[110:111] neg_lo:[0,0,1] neg_hi:[0,0,1]
	s_set_vgpr_msb 0                        ;  msbs: dst=0 src0=0 src1=0 src2=0
	v_mov_b32_e32 v109, v107
	v_pk_add_f32 v[102:103], v[102:103], v[104:105]
	s_delay_alu instid0(VALU_DEP_1) | instskip(SKIP_2) | instid1(VALU_DEP_1)
	v_pk_add_f32 v[102:103], v[102:103], v[108:109]
	s_wait_loadcnt 0x0
	s_set_vgpr_msb 1                        ;  msbs: dst=0 src0=1 src1=0 src2=0
	v_pk_add_f32 v[102:103], v[0:1] /*v[256:257]*/, v[102:103] neg_lo:[0,1] neg_hi:[0,1]
	scratch_store_b64 off, v[102:103], off offset:80
	s_wait_xcnt 0x0
	v_cmpx_lt_u32_e32 9, v0
	s_set_vgpr_msb 0                        ;  msbs: dst=0 src0=0 src1=0 src2=0
	s_cbranch_execz .LBB49_295
; %bb.294:
	scratch_load_b64 v[102:103], off, off offset:72
	v_mov_b64_e32 v[104:105], 0
	scratch_store_b64 off, v[104:105], off offset:72
	s_wait_loadcnt 0x0
	ds_store_b64 v1, v[102:103]
.LBB49_295:
	s_wait_xcnt 0x0
	s_or_b32 exec_lo, exec_lo, s0
	s_wait_storecnt_dscnt 0x0
	s_barrier_signal -1
	s_barrier_wait -1
	ds_load_b128 v[102:105], v7 offset:480
	ds_load_b128 v[106:109], v7 offset:496
	;; [unrolled: 1-line block ×4, first 2 shown]
	s_clause 0xf
	scratch_load_b128 v[118:121], off, off offset:80
	scratch_load_b128 v[122:125], off, off offset:96
	;; [unrolled: 1-line block ×16, first 2 shown]
	ds_load_b128 v[214:217], v7 offset:704
	ds_load_b128 v[222:225], v7 offset:720
	;; [unrolled: 1-line block ×12, first 2 shown]
	s_clause 0x3
	scratch_load_b128 v[230:233], off, off offset:336
	scratch_load_b128 v[234:237], off, off offset:352
	;; [unrolled: 1-line block ×4, first 2 shown]
	s_mov_b32 s0, exec_lo
	s_wait_loadcnt_dscnt 0x130f
	v_dual_mul_f32 v9, v102, v119 :: v_dual_mul_f32 v11, v104, v121
	s_delay_alu instid0(VALU_DEP_1) | instskip(SKIP_2) | instid1(VALU_DEP_1)
	v_dual_fmac_f32 v9, v103, v118 :: v_dual_fmac_f32 v11, v105, v120
	s_wait_loadcnt_dscnt 0xe0a
	v_dual_mul_f32 v249, v222, v227 :: v_dual_mul_f32 v251, v224, v229
	v_dual_add_f32 v9, 0, v9 :: v_dual_fmac_f32 v249, v223, v226
	s_delay_alu instid0(VALU_DEP_2) | instskip(NEXT) | instid1(VALU_DEP_2)
	v_fmac_f32_e32 v251, v225, v228
	v_add_f32_e32 v9, v9, v11
	v_mul_f32_e32 v11, v106, v123
	s_delay_alu instid0(VALU_DEP_1) | instskip(NEXT) | instid1(VALU_DEP_1)
	v_fmac_f32_e32 v11, v107, v122
	v_dual_add_f32 v9, v9, v11 :: v_dual_mul_f32 v11, v108, v125
	s_delay_alu instid0(VALU_DEP_1) | instskip(NEXT) | instid1(VALU_DEP_1)
	v_fmac_f32_e32 v11, v109, v124
	v_add_f32_e32 v9, v9, v11
	v_mul_f32_e32 v11, v110, v127
	s_delay_alu instid0(VALU_DEP_1) | instskip(NEXT) | instid1(VALU_DEP_1)
	v_fmac_f32_e32 v11, v111, v126
	v_dual_add_f32 v9, v9, v11 :: v_dual_mul_f32 v11, v112, v129
	s_delay_alu instid0(VALU_DEP_1) | instskip(NEXT) | instid1(VALU_DEP_1)
	;; [unrolled: 7-line block ×3, first 2 shown]
	v_fmac_f32_e32 v11, v117, v132
	v_add_f32_e32 v9, v9, v11
	s_wait_loadcnt_dscnt 0xd09
	v_mul_f32_e32 v11, v134, v139
	s_delay_alu instid0(VALU_DEP_1) | instskip(NEXT) | instid1(VALU_DEP_1)
	v_fmac_f32_e32 v11, v135, v138
	v_dual_add_f32 v9, v9, v11 :: v_dual_mul_f32 v11, v136, v141
	s_delay_alu instid0(VALU_DEP_1) | instskip(NEXT) | instid1(VALU_DEP_1)
	v_fmac_f32_e32 v11, v137, v140
	v_add_f32_e32 v9, v9, v11
	s_wait_loadcnt_dscnt 0xc08
	v_mul_f32_e32 v11, v142, v147
	s_delay_alu instid0(VALU_DEP_1) | instskip(NEXT) | instid1(VALU_DEP_1)
	v_fmac_f32_e32 v11, v143, v146
	v_dual_add_f32 v9, v9, v11 :: v_dual_mul_f32 v11, v144, v149
	s_delay_alu instid0(VALU_DEP_1) | instskip(NEXT) | instid1(VALU_DEP_1)
	;; [unrolled: 8-line block ×10, first 2 shown]
	v_fmac_f32_e32 v11, v209, v212
	v_add_f32_e32 v9, v9, v11
	v_mul_f32_e32 v11, v214, v219
	s_delay_alu instid0(VALU_DEP_1) | instskip(NEXT) | instid1(VALU_DEP_1)
	v_fmac_f32_e32 v11, v215, v218
	v_dual_add_f32 v9, v9, v11 :: v_dual_mul_f32 v11, v216, v221
	s_delay_alu instid0(VALU_DEP_1) | instskip(NEXT) | instid1(VALU_DEP_1)
	v_fmac_f32_e32 v11, v217, v220
	v_add_f32_e32 v247, v9, v11
	v_dual_mul_f32 v9, v103, v119 :: v_dual_mul_f32 v11, v105, v121
	s_delay_alu instid0(VALU_DEP_1) | instskip(NEXT) | instid1(VALU_DEP_1)
	v_dual_fma_f32 v9, v102, v118, -v9 :: v_dual_fma_f32 v11, v104, v120, -v11
	v_add_f32_e32 v9, 0, v9
	s_delay_alu instid0(VALU_DEP_1) | instskip(SKIP_1) | instid1(VALU_DEP_1)
	v_add_f32_e32 v9, v9, v11
	v_mul_f32_e32 v11, v107, v123
	v_fma_f32 v11, v106, v122, -v11
	s_delay_alu instid0(VALU_DEP_1) | instskip(SKIP_1) | instid1(VALU_DEP_1)
	v_add_f32_e32 v9, v9, v11
	v_mul_f32_e32 v11, v109, v125
	v_fma_f32 v11, v108, v124, -v11
	;; [unrolled: 4-line block ×6, first 2 shown]
	ds_load_b128 v[102:105], v7 offset:736
	ds_load_b128 v[106:109], v7 offset:752
	;; [unrolled: 1-line block ×4, first 2 shown]
	v_add_f32_e32 v9, v9, v11
	v_mul_f32_e32 v11, v135, v139
	s_delay_alu instid0(VALU_DEP_1) | instskip(NEXT) | instid1(VALU_DEP_1)
	v_fma_f32 v11, v134, v138, -v11
	v_add_f32_e32 v9, v9, v11
	v_mul_f32_e32 v11, v137, v141
	s_wait_loadcnt_dscnt 0x303
	v_pk_mul_f32 v[120:121], v[102:103], v[230:231] op_sel:[1,1] op_sel_hi:[0,1]
	s_delay_alu instid0(VALU_DEP_2) | instskip(NEXT) | instid1(VALU_DEP_2)
	v_fma_f32 v11, v136, v140, -v11
	v_pk_fma_f32 v[122:123], v[102:103], v[230:231], v[120:121] neg_lo:[0,0,1] neg_hi:[0,0,1]
	v_pk_fma_f32 v[102:103], v[102:103], v[230:231], v[120:121] op_sel_hi:[1,0,1]
	v_mov_b32_e32 v120, v233
	s_delay_alu instid0(VALU_DEP_4) | instskip(SKIP_1) | instid1(VALU_DEP_1)
	v_add_f32_e32 v9, v9, v11
	v_mul_f32_e32 v11, v143, v147
	v_dual_mov_b32 v123, v103 :: v_dual_fma_f32 v11, v142, v146, -v11
	s_delay_alu instid0(VALU_DEP_1) | instskip(SKIP_1) | instid1(VALU_DEP_1)
	v_add_f32_e32 v9, v9, v11
	v_mul_f32_e32 v11, v145, v149
	v_fma_f32 v11, v144, v148, -v11
	s_delay_alu instid0(VALU_DEP_1) | instskip(SKIP_1) | instid1(VALU_DEP_1)
	v_add_f32_e32 v9, v9, v11
	v_mul_f32_e32 v11, v151, v155
	v_fma_f32 v11, v150, v154, -v11
	;; [unrolled: 4-line block ×19, first 2 shown]
	s_delay_alu instid0(VALU_DEP_1) | instskip(SKIP_1) | instid1(VALU_DEP_1)
	v_add_f32_e32 v246, v9, v11
	v_mul_f32_e32 v9, v223, v227
	v_dual_fma_f32 v248, v222, v226, -v9 :: v_dual_mul_f32 v9, v225, v229
	s_delay_alu instid0(VALU_DEP_1) | instskip(NEXT) | instid1(VALU_DEP_2)
	v_pk_add_f32 v[118:119], v[246:247], v[248:249]
	v_fma_f32 v250, v224, v228, -v9
	s_delay_alu instid0(VALU_DEP_1) | instskip(NEXT) | instid1(VALU_DEP_1)
	v_pk_add_f32 v[118:119], v[118:119], v[250:251]
	v_pk_add_f32 v[102:103], v[118:119], v[122:123]
	v_dual_mov_b32 v118, v105 :: v_dual_mov_b32 v119, v104
	s_delay_alu instid0(VALU_DEP_1) | instskip(NEXT) | instid1(VALU_DEP_1)
	v_pk_mul_f32 v[118:119], v[118:119], v[120:121] op_sel_hi:[1,0]
	v_pk_fma_f32 v[120:121], v[104:105], v[232:233], v[118:119] neg_lo:[0,0,1] neg_hi:[0,0,1]
	v_pk_fma_f32 v[104:105], v[104:105], v[232:233], v[118:119] op_sel_hi:[1,0,1]
	s_delay_alu instid0(VALU_DEP_1) | instskip(SKIP_2) | instid1(VALU_DEP_2)
	v_mov_b32_e32 v121, v105
	s_wait_loadcnt_dscnt 0x202
	v_pk_mul_f32 v[104:105], v[106:107], v[234:235] op_sel:[1,1] op_sel_hi:[0,1]
	v_pk_add_f32 v[102:103], v[102:103], v[120:121]
	s_delay_alu instid0(VALU_DEP_2) | instskip(SKIP_2) | instid1(VALU_DEP_2)
	v_pk_fma_f32 v[118:119], v[106:107], v[234:235], v[104:105] neg_lo:[0,0,1] neg_hi:[0,0,1]
	v_pk_fma_f32 v[104:105], v[106:107], v[234:235], v[104:105] op_sel_hi:[1,0,1]
	v_dual_mov_b32 v104, v109 :: v_dual_mov_b32 v106, v237
	v_dual_mov_b32 v119, v105 :: v_dual_mov_b32 v105, v108
	s_delay_alu instid0(VALU_DEP_1) | instskip(NEXT) | instid1(VALU_DEP_2)
	v_pk_add_f32 v[102:103], v[102:103], v[118:119]
	v_pk_mul_f32 v[104:105], v[104:105], v[106:107] op_sel_hi:[1,0]
	s_delay_alu instid0(VALU_DEP_1) | instskip(SKIP_1) | instid1(VALU_DEP_1)
	v_pk_fma_f32 v[106:107], v[108:109], v[236:237], v[104:105] neg_lo:[0,0,1] neg_hi:[0,0,1]
	v_pk_fma_f32 v[104:105], v[108:109], v[236:237], v[104:105] op_sel_hi:[1,0,1]
	v_mov_b32_e32 v107, v105
	s_wait_loadcnt_dscnt 0x101
	v_pk_mul_f32 v[104:105], v[110:111], v[238:239] op_sel:[1,1] op_sel_hi:[0,1]
	s_delay_alu instid0(VALU_DEP_2) | instskip(NEXT) | instid1(VALU_DEP_2)
	v_pk_add_f32 v[102:103], v[102:103], v[106:107]
	v_pk_fma_f32 v[106:107], v[110:111], v[238:239], v[104:105] neg_lo:[0,0,1] neg_hi:[0,0,1]
	v_pk_fma_f32 v[104:105], v[110:111], v[238:239], v[104:105] op_sel_hi:[1,0,1]
	s_delay_alu instid0(VALU_DEP_1) | instskip(SKIP_1) | instid1(VALU_DEP_2)
	v_dual_mov_b32 v104, v113 :: v_dual_mov_b32 v107, v105
	v_mov_b32_e32 v105, v112
	v_pk_add_f32 v[102:103], v[102:103], v[106:107]
	v_mov_b32_e32 v106, v241
	s_delay_alu instid0(VALU_DEP_1) | instskip(NEXT) | instid1(VALU_DEP_1)
	v_pk_mul_f32 v[104:105], v[104:105], v[106:107] op_sel_hi:[1,0]
	v_pk_fma_f32 v[106:107], v[112:113], v[240:241], v[104:105] neg_lo:[0,0,1] neg_hi:[0,0,1]
	v_pk_fma_f32 v[104:105], v[112:113], v[240:241], v[104:105] op_sel_hi:[1,0,1]
	s_delay_alu instid0(VALU_DEP_1) | instskip(SKIP_2) | instid1(VALU_DEP_2)
	v_mov_b32_e32 v107, v105
	s_wait_loadcnt_dscnt 0x0
	v_pk_mul_f32 v[104:105], v[114:115], v[242:243] op_sel:[1,1] op_sel_hi:[0,1]
	v_pk_add_f32 v[102:103], v[102:103], v[106:107]
	s_delay_alu instid0(VALU_DEP_2) | instskip(SKIP_1) | instid1(VALU_DEP_1)
	v_pk_fma_f32 v[106:107], v[114:115], v[242:243], v[104:105] neg_lo:[0,0,1] neg_hi:[0,0,1]
	v_pk_fma_f32 v[104:105], v[114:115], v[242:243], v[104:105] op_sel_hi:[1,0,1]
	v_dual_mov_b32 v104, v117 :: v_dual_mov_b32 v107, v105
	v_mov_b32_e32 v105, v116
	s_delay_alu instid0(VALU_DEP_2) | instskip(SKIP_1) | instid1(VALU_DEP_1)
	v_pk_add_f32 v[102:103], v[102:103], v[106:107]
	v_mov_b32_e32 v106, v245
	v_pk_mul_f32 v[104:105], v[104:105], v[106:107] op_sel_hi:[1,0]
	s_delay_alu instid0(VALU_DEP_1) | instskip(SKIP_1) | instid1(VALU_DEP_1)
	v_pk_fma_f32 v[106:107], v[116:117], v[244:245], v[104:105] neg_lo:[0,0,1] neg_hi:[0,0,1]
	v_pk_fma_f32 v[104:105], v[116:117], v[244:245], v[104:105] op_sel_hi:[1,0,1]
	v_mov_b32_e32 v107, v105
	scratch_load_b64 v[104:105], off, off offset:72
	v_pk_add_f32 v[102:103], v[102:103], v[106:107]
	s_wait_loadcnt 0x0
	s_delay_alu instid0(VALU_DEP_1)
	v_pk_add_f32 v[102:103], v[104:105], v[102:103] neg_lo:[0,1] neg_hi:[0,1]
	scratch_store_b64 off, v[102:103], off offset:72
	s_wait_xcnt 0x0
	v_cmpx_lt_u32_e32 8, v0
	s_cbranch_execz .LBB49_297
; %bb.296:
	scratch_load_b64 v[102:103], off, off offset:64
	v_mov_b64_e32 v[104:105], 0
	scratch_store_b64 off, v[104:105], off offset:64
	s_wait_loadcnt 0x0
	ds_store_b64 v1, v[102:103]
.LBB49_297:
	s_wait_xcnt 0x0
	s_or_b32 exec_lo, exec_lo, s0
	s_wait_storecnt_dscnt 0x0
	s_barrier_signal -1
	s_barrier_wait -1
	s_clause 0x10
	scratch_load_b128 v[106:109], off, off offset:72
	scratch_load_b128 v[114:117], off, off offset:88
	;; [unrolled: 1-line block ×17, first 2 shown]
	v_mov_b32_e32 v7, 0
	s_mov_b32 s0, exec_lo
	ds_load_2addr_b64 v[102:105], v7 offset0:59 offset1:60
	ds_load_2addr_b64 v[110:113], v7 offset0:61 offset1:62
	s_wait_loadcnt_dscnt 0x1001
	v_mul_f32_e32 v9, v102, v107
	ds_load_2addr_b64 v[214:217], v7 offset0:87 offset1:88
	ds_load_2addr_b64 v[222:225], v7 offset0:89 offset1:90
	v_mul_f32_e32 v11, v104, v109
	ds_load_2addr_b64 v[118:121], v7 offset0:63 offset1:64
	ds_load_2addr_b64 v[126:129], v7 offset0:65 offset1:66
	v_fmac_f32_e32 v9, v103, v106
	ds_load_2addr_b64 v[230:233], v7 offset0:91 offset1:92
	v_fmac_f32_e32 v11, v105, v108
	ds_load_2addr_b64 v[134:137], v7 offset0:67 offset1:68
	ds_load_2addr_b64 v[142:145], v7 offset0:69 offset1:70
	v_add_f32_e32 v9, 0, v9
	ds_load_2addr_b64 v[150:153], v7 offset0:71 offset1:72
	ds_load_2addr_b64 v[158:161], v7 offset0:73 offset1:74
	;; [unrolled: 1-line block ×4, first 2 shown]
	v_add_f32_e32 v9, v9, v11
	s_wait_loadcnt_dscnt 0xf0b
	v_mul_f32_e32 v11, v110, v115
	ds_load_2addr_b64 v[182:185], v7 offset0:79 offset1:80
	ds_load_2addr_b64 v[190:193], v7 offset0:81 offset1:82
	;; [unrolled: 1-line block ×4, first 2 shown]
	s_wait_loadcnt_dscnt 0xd0d
	v_dual_mul_f32 v253, v224, v229 :: v_dual_fmac_f32 v11, v111, v114
	s_clause 0x4
	scratch_load_b128 v[238:241], off, off offset:344
	scratch_load_b128 v[242:245], off, off offset:360
	scratch_load_b128 v[246:249], off, off offset:376
	s_set_vgpr_msb 64                       ;  msbs: dst=1 src0=0 src1=0 src2=0
	scratch_load_b64 v[0:1] /*v[256:257]*/, off, off offset:392
	s_wait_loadcnt_dscnt 0xe0a
	s_set_vgpr_msb 0                        ;  msbs: dst=0 src0=0 src1=0 src2=0
	v_mul_f32_e32 v255, v230, v235
	v_dual_add_f32 v9, v9, v11 :: v_dual_mul_f32 v11, v112, v117
	s_delay_alu instid0(VALU_DEP_2) | instskip(NEXT) | instid1(VALU_DEP_2)
	v_dual_fmac_f32 v253, v225, v228 :: v_dual_fmac_f32 v255, v231, v234
	v_fmac_f32_e32 v11, v113, v116
	s_delay_alu instid0(VALU_DEP_1) | instskip(SKIP_1) | instid1(VALU_DEP_1)
	v_add_f32_e32 v9, v9, v11
	v_mul_f32_e32 v11, v118, v123
	v_fmac_f32_e32 v11, v119, v122
	s_delay_alu instid0(VALU_DEP_1) | instskip(NEXT) | instid1(VALU_DEP_1)
	v_dual_add_f32 v9, v9, v11 :: v_dual_mul_f32 v11, v120, v125
	v_fmac_f32_e32 v11, v121, v124
	s_delay_alu instid0(VALU_DEP_1) | instskip(SKIP_1) | instid1(VALU_DEP_1)
	v_add_f32_e32 v9, v9, v11
	v_mul_f32_e32 v11, v126, v131
	v_fmac_f32_e32 v11, v127, v130
	s_delay_alu instid0(VALU_DEP_1) | instskip(NEXT) | instid1(VALU_DEP_1)
	v_dual_add_f32 v9, v9, v11 :: v_dual_mul_f32 v11, v128, v133
	v_fmac_f32_e32 v11, v129, v132
	s_delay_alu instid0(VALU_DEP_1) | instskip(SKIP_2) | instid1(VALU_DEP_1)
	v_add_f32_e32 v9, v9, v11
	s_wait_loadcnt_dscnt 0xd09
	v_mul_f32_e32 v11, v134, v139
	v_fmac_f32_e32 v11, v135, v138
	s_delay_alu instid0(VALU_DEP_1) | instskip(NEXT) | instid1(VALU_DEP_1)
	v_dual_add_f32 v9, v9, v11 :: v_dual_mul_f32 v11, v136, v141
	v_fmac_f32_e32 v11, v137, v140
	s_delay_alu instid0(VALU_DEP_1) | instskip(SKIP_2) | instid1(VALU_DEP_1)
	v_add_f32_e32 v9, v9, v11
	s_wait_loadcnt_dscnt 0xc08
	;; [unrolled: 8-line block ×10, first 2 shown]
	v_mul_f32_e32 v11, v206, v211
	v_fmac_f32_e32 v11, v207, v210
	s_delay_alu instid0(VALU_DEP_1) | instskip(NEXT) | instid1(VALU_DEP_1)
	v_dual_add_f32 v9, v9, v11 :: v_dual_mul_f32 v11, v208, v213
	v_fmac_f32_e32 v11, v209, v212
	s_delay_alu instid0(VALU_DEP_1) | instskip(SKIP_1) | instid1(VALU_DEP_1)
	v_add_f32_e32 v9, v9, v11
	v_mul_f32_e32 v11, v214, v219
	v_fmac_f32_e32 v11, v215, v218
	s_delay_alu instid0(VALU_DEP_1) | instskip(NEXT) | instid1(VALU_DEP_1)
	v_dual_add_f32 v9, v9, v11 :: v_dual_mul_f32 v11, v216, v221
	v_fmac_f32_e32 v11, v217, v220
	s_delay_alu instid0(VALU_DEP_1) | instskip(SKIP_1) | instid1(VALU_DEP_1)
	v_add_f32_e32 v9, v9, v11
	v_mul_f32_e32 v11, v222, v227
	v_fmac_f32_e32 v11, v223, v226
	s_delay_alu instid0(VALU_DEP_1) | instskip(SKIP_1) | instid1(VALU_DEP_1)
	v_add_f32_e32 v251, v9, v11
	v_dual_mul_f32 v9, v103, v107 :: v_dual_mul_f32 v11, v105, v109
	v_dual_fma_f32 v9, v102, v106, -v9 :: v_dual_fma_f32 v11, v104, v108, -v11
	s_delay_alu instid0(VALU_DEP_1) | instskip(NEXT) | instid1(VALU_DEP_1)
	v_add_f32_e32 v9, 0, v9
	v_add_f32_e32 v9, v9, v11
	v_mul_f32_e32 v11, v111, v115
	s_delay_alu instid0(VALU_DEP_1) | instskip(NEXT) | instid1(VALU_DEP_1)
	v_fma_f32 v11, v110, v114, -v11
	v_add_f32_e32 v9, v9, v11
	v_mul_f32_e32 v11, v113, v117
	s_delay_alu instid0(VALU_DEP_1)
	v_fma_f32 v11, v112, v116, -v11
	ds_load_2addr_b64 v[102:105], v7 offset0:93 offset1:94
	ds_load_2addr_b64 v[106:109], v7 offset0:95 offset1:96
	;; [unrolled: 1-line block ×3, first 2 shown]
	ds_load_b64 v[114:115], v7 offset:792
	v_add_f32_e32 v9, v9, v11
	v_dual_mul_f32 v11, v119, v123 :: v_dual_mov_b32 v119, v232
	s_delay_alu instid0(VALU_DEP_1) | instskip(NEXT) | instid1(VALU_DEP_1)
	v_dual_fma_f32 v11, v118, v122, -v11 :: v_dual_mov_b32 v118, v233
	v_add_f32_e32 v9, v9, v11
	v_mul_f32_e32 v11, v121, v125
	s_delay_alu instid0(VALU_DEP_1) | instskip(NEXT) | instid1(VALU_DEP_1)
	v_dual_fma_f32 v11, v120, v124, -v11 :: v_dual_mov_b32 v120, v237
	v_add_f32_e32 v9, v9, v11
	v_mul_f32_e32 v11, v127, v131
	s_delay_alu instid0(VALU_DEP_3) | instskip(NEXT) | instid1(VALU_DEP_2)
	v_pk_mul_f32 v[118:119], v[118:119], v[120:121] op_sel_hi:[1,0]
	v_fma_f32 v11, v126, v130, -v11
	s_delay_alu instid0(VALU_DEP_2) | instskip(SKIP_1) | instid1(VALU_DEP_3)
	v_pk_fma_f32 v[120:121], v[232:233], v[236:237], v[118:119] neg_lo:[0,0,1] neg_hi:[0,0,1]
	v_pk_fma_f32 v[118:119], v[232:233], v[236:237], v[118:119] op_sel_hi:[1,0,1]
	v_add_f32_e32 v9, v9, v11
	s_delay_alu instid0(VALU_DEP_2) | instskip(SKIP_2) | instid1(VALU_DEP_2)
	v_dual_mul_f32 v11, v129, v133 :: v_dual_mov_b32 v121, v119
	s_wait_loadcnt_dscnt 0x303
	v_pk_mul_f32 v[118:119], v[102:103], v[238:239] op_sel:[1,1] op_sel_hi:[0,1]
	v_fma_f32 v11, v128, v132, -v11
	s_delay_alu instid0(VALU_DEP_1) | instskip(SKIP_1) | instid1(VALU_DEP_1)
	v_add_f32_e32 v9, v9, v11
	v_mul_f32_e32 v11, v135, v139
	v_fma_f32 v11, v134, v138, -v11
	s_delay_alu instid0(VALU_DEP_1) | instskip(SKIP_1) | instid1(VALU_DEP_1)
	v_add_f32_e32 v9, v9, v11
	v_mul_f32_e32 v11, v137, v141
	;; [unrolled: 4-line block ×24, first 2 shown]
	v_dual_fma_f32 v252, v224, v228, -v9 :: v_dual_mul_f32 v9, v231, v235
	s_delay_alu instid0(VALU_DEP_1) | instskip(NEXT) | instid1(VALU_DEP_2)
	v_pk_add_f32 v[116:117], v[250:251], v[252:253]
	v_fma_f32 v254, v230, v234, -v9
	s_delay_alu instid0(VALU_DEP_1) | instskip(NEXT) | instid1(VALU_DEP_1)
	v_pk_add_f32 v[116:117], v[116:117], v[254:255]
	v_pk_add_f32 v[116:117], v[116:117], v[120:121]
	v_pk_fma_f32 v[120:121], v[102:103], v[238:239], v[118:119] neg_lo:[0,0,1] neg_hi:[0,0,1]
	v_pk_fma_f32 v[102:103], v[102:103], v[238:239], v[118:119] op_sel_hi:[1,0,1]
	s_delay_alu instid0(VALU_DEP_1) | instskip(NEXT) | instid1(VALU_DEP_1)
	v_dual_mov_b32 v118, v241 :: v_dual_mov_b32 v121, v103
	v_pk_add_f32 v[102:103], v[116:117], v[120:121]
	v_dual_mov_b32 v116, v105 :: v_dual_mov_b32 v117, v104
	s_delay_alu instid0(VALU_DEP_1) | instskip(NEXT) | instid1(VALU_DEP_1)
	v_pk_mul_f32 v[116:117], v[116:117], v[118:119] op_sel_hi:[1,0]
	v_pk_fma_f32 v[118:119], v[104:105], v[240:241], v[116:117] neg_lo:[0,0,1] neg_hi:[0,0,1]
	v_pk_fma_f32 v[104:105], v[104:105], v[240:241], v[116:117] op_sel_hi:[1,0,1]
	s_delay_alu instid0(VALU_DEP_1) | instskip(SKIP_2) | instid1(VALU_DEP_2)
	v_mov_b32_e32 v119, v105
	s_wait_loadcnt_dscnt 0x202
	v_pk_mul_f32 v[104:105], v[106:107], v[242:243] op_sel:[1,1] op_sel_hi:[0,1]
	v_pk_add_f32 v[102:103], v[102:103], v[118:119]
	s_delay_alu instid0(VALU_DEP_2) | instskip(SKIP_2) | instid1(VALU_DEP_2)
	v_pk_fma_f32 v[116:117], v[106:107], v[242:243], v[104:105] neg_lo:[0,0,1] neg_hi:[0,0,1]
	v_pk_fma_f32 v[104:105], v[106:107], v[242:243], v[104:105] op_sel_hi:[1,0,1]
	v_dual_mov_b32 v104, v109 :: v_dual_mov_b32 v106, v245
	v_dual_mov_b32 v117, v105 :: v_dual_mov_b32 v105, v108
	s_delay_alu instid0(VALU_DEP_1) | instskip(NEXT) | instid1(VALU_DEP_2)
	v_pk_add_f32 v[102:103], v[102:103], v[116:117]
	v_pk_mul_f32 v[104:105], v[104:105], v[106:107] op_sel_hi:[1,0]
	s_delay_alu instid0(VALU_DEP_1) | instskip(SKIP_1) | instid1(VALU_DEP_1)
	v_pk_fma_f32 v[106:107], v[108:109], v[244:245], v[104:105] neg_lo:[0,0,1] neg_hi:[0,0,1]
	v_pk_fma_f32 v[104:105], v[108:109], v[244:245], v[104:105] op_sel_hi:[1,0,1]
	v_mov_b32_e32 v107, v105
	s_wait_loadcnt_dscnt 0x101
	v_pk_mul_f32 v[104:105], v[110:111], v[246:247] op_sel:[1,1] op_sel_hi:[0,1]
	s_delay_alu instid0(VALU_DEP_2) | instskip(NEXT) | instid1(VALU_DEP_2)
	v_pk_add_f32 v[102:103], v[102:103], v[106:107]
	v_pk_fma_f32 v[106:107], v[110:111], v[246:247], v[104:105] neg_lo:[0,0,1] neg_hi:[0,0,1]
	v_pk_fma_f32 v[104:105], v[110:111], v[246:247], v[104:105] op_sel_hi:[1,0,1]
	s_delay_alu instid0(VALU_DEP_1) | instskip(SKIP_1) | instid1(VALU_DEP_2)
	v_dual_mov_b32 v104, v113 :: v_dual_mov_b32 v107, v105
	v_mov_b32_e32 v105, v112
	v_pk_add_f32 v[102:103], v[102:103], v[106:107]
	v_mov_b32_e32 v106, v249
	s_delay_alu instid0(VALU_DEP_1) | instskip(NEXT) | instid1(VALU_DEP_1)
	v_pk_mul_f32 v[104:105], v[104:105], v[106:107] op_sel_hi:[1,0]
	v_pk_fma_f32 v[106:107], v[112:113], v[248:249], v[104:105] neg_lo:[0,0,1] neg_hi:[0,0,1]
	v_pk_fma_f32 v[104:105], v[112:113], v[248:249], v[104:105] op_sel_hi:[1,0,1]
	s_delay_alu instid0(VALU_DEP_1)
	v_mov_b32_e32 v107, v105
	s_wait_loadcnt_dscnt 0x0
	s_set_vgpr_msb 4                        ;  msbs: dst=0 src0=0 src1=1 src2=0
	v_pk_mul_f32 v[104:105], v[114:115], v[0:1] /*v[256:257]*/ op_sel:[1,1] op_sel_hi:[0,1]
	s_set_vgpr_msb 0                        ;  msbs: dst=0 src0=0 src1=0 src2=0
	v_pk_add_f32 v[102:103], v[102:103], v[106:107]
	s_set_vgpr_msb 4                        ;  msbs: dst=0 src0=0 src1=1 src2=0
	s_delay_alu instid0(VALU_DEP_2) | instskip(SKIP_1) | instid1(VALU_DEP_1)
	v_pk_fma_f32 v[106:107], v[114:115], v[0:1] /*v[256:257]*/, v[104:105] neg_lo:[0,0,1] neg_hi:[0,0,1]
	v_pk_fma_f32 v[104:105], v[114:115], v[0:1] /*v[256:257]*/, v[104:105] op_sel_hi:[1,0,1]
	v_mov_b32_e32 v107, v105
	scratch_load_b64 v[104:105], off, off offset:64
	s_set_vgpr_msb 0                        ;  msbs: dst=0 src0=0 src1=0 src2=0
	v_pk_add_f32 v[102:103], v[102:103], v[106:107]
	s_wait_loadcnt 0x0
	s_delay_alu instid0(VALU_DEP_1)
	v_pk_add_f32 v[102:103], v[104:105], v[102:103] neg_lo:[0,1] neg_hi:[0,1]
	scratch_store_b64 off, v[102:103], off offset:64
	s_wait_xcnt 0x0
	v_cmpx_lt_u32_e32 7, v0
	s_cbranch_execz .LBB49_299
; %bb.298:
	scratch_load_b64 v[102:103], off, off offset:56
	v_mov_b64_e32 v[104:105], 0
	scratch_store_b64 off, v[104:105], off offset:56
	s_wait_loadcnt 0x0
	ds_store_b64 v1, v[102:103]
.LBB49_299:
	s_wait_xcnt 0x0
	s_or_b32 exec_lo, exec_lo, s0
	s_wait_storecnt_dscnt 0x0
	s_barrier_signal -1
	s_barrier_wait -1
	ds_load_b128 v[102:105], v7 offset:464
	ds_load_b128 v[106:109], v7 offset:480
	;; [unrolled: 1-line block ×4, first 2 shown]
	s_clause 0xf
	scratch_load_b128 v[118:121], off, off offset:64
	scratch_load_b128 v[122:125], off, off offset:80
	;; [unrolled: 1-line block ×16, first 2 shown]
	ds_load_b128 v[134:137], v7 offset:528
	ds_load_b128 v[142:145], v7 offset:544
	;; [unrolled: 1-line block ×3, first 2 shown]
	scratch_load_b128 v[234:237], off, off offset:320
	ds_load_b128 v[150:153], v7 offset:560
	ds_load_b128 v[158:161], v7 offset:576
	;; [unrolled: 1-line block ×10, first 2 shown]
	s_clause 0x3
	scratch_load_b128 v[238:241], off, off offset:336
	scratch_load_b128 v[242:245], off, off offset:352
	;; [unrolled: 1-line block ×4, first 2 shown]
	s_mov_b32 s0, exec_lo
	s_wait_loadcnt_dscnt 0x1410
	v_dual_mul_f32 v9, v102, v119 :: v_dual_mul_f32 v11, v104, v121
	s_delay_alu instid0(VALU_DEP_1) | instskip(NEXT) | instid1(VALU_DEP_1)
	v_dual_fmac_f32 v9, v103, v118 :: v_dual_fmac_f32 v11, v105, v120
	v_add_f32_e32 v9, 0, v9
	s_delay_alu instid0(VALU_DEP_1)
	v_add_f32_e32 v9, v9, v11
	s_wait_loadcnt_dscnt 0x130f
	v_mul_f32_e32 v11, v106, v123
	s_wait_loadcnt_dscnt 0x40a
	s_set_vgpr_msb 64                       ;  msbs: dst=1 src0=0 src1=0 src2=0
	v_dual_mul_f32 v1 /*v257*/, v230, v235 :: v_dual_mul_f32 v3 /*v259*/, v232, v237
	s_set_vgpr_msb 0                        ;  msbs: dst=0 src0=0 src1=0 src2=0
	v_fmac_f32_e32 v11, v107, v122
	s_set_vgpr_msb 64                       ;  msbs: dst=1 src0=0 src1=0 src2=0
	s_delay_alu instid0(VALU_DEP_2) | instskip(SKIP_1) | instid1(VALU_DEP_2)
	v_dual_fmac_f32 v1 /*v257*/, v231, v234 :: v_dual_fmac_f32 v3 /*v259*/, v233, v236
	s_set_vgpr_msb 0                        ;  msbs: dst=0 src0=0 src1=0 src2=0
	v_dual_add_f32 v9, v9, v11 :: v_dual_mul_f32 v11, v108, v125
	s_delay_alu instid0(VALU_DEP_1) | instskip(NEXT) | instid1(VALU_DEP_1)
	v_fmac_f32_e32 v11, v109, v124
	v_add_f32_e32 v9, v9, v11
	v_mul_f32_e32 v11, v110, v127
	s_delay_alu instid0(VALU_DEP_1) | instskip(NEXT) | instid1(VALU_DEP_1)
	v_fmac_f32_e32 v11, v111, v126
	v_dual_add_f32 v9, v9, v11 :: v_dual_mul_f32 v11, v112, v129
	s_delay_alu instid0(VALU_DEP_1) | instskip(NEXT) | instid1(VALU_DEP_1)
	v_fmac_f32_e32 v11, v113, v128
	v_add_f32_e32 v9, v9, v11
	v_mul_f32_e32 v11, v114, v131
	s_delay_alu instid0(VALU_DEP_1) | instskip(NEXT) | instid1(VALU_DEP_1)
	v_fmac_f32_e32 v11, v115, v130
	;; [unrolled: 7-line block ×4, first 2 shown]
	v_dual_add_f32 v9, v9, v11 :: v_dual_mul_f32 v11, v144, v149
	s_delay_alu instid0(VALU_DEP_1) | instskip(NEXT) | instid1(VALU_DEP_1)
	v_fmac_f32_e32 v11, v145, v148
	v_add_f32_e32 v9, v9, v11
	s_wait_dscnt 0x9
	v_mul_f32_e32 v11, v150, v155
	s_delay_alu instid0(VALU_DEP_1) | instskip(NEXT) | instid1(VALU_DEP_1)
	v_fmac_f32_e32 v11, v151, v154
	v_dual_add_f32 v9, v9, v11 :: v_dual_mul_f32 v11, v152, v157
	s_delay_alu instid0(VALU_DEP_1) | instskip(NEXT) | instid1(VALU_DEP_1)
	v_fmac_f32_e32 v11, v153, v156
	v_add_f32_e32 v9, v9, v11
	s_wait_dscnt 0x8
	v_mul_f32_e32 v11, v158, v163
	s_delay_alu instid0(VALU_DEP_1) | instskip(NEXT) | instid1(VALU_DEP_1)
	v_fmac_f32_e32 v11, v159, v162
	;; [unrolled: 8-line block ×10, first 2 shown]
	v_dual_add_f32 v9, v9, v11 :: v_dual_mul_f32 v11, v224, v229
	s_delay_alu instid0(VALU_DEP_1) | instskip(NEXT) | instid1(VALU_DEP_1)
	v_fmac_f32_e32 v11, v225, v228
	v_add_f32_e32 v255, v9, v11
	v_dual_mul_f32 v9, v103, v119 :: v_dual_mul_f32 v11, v105, v121
	s_delay_alu instid0(VALU_DEP_1) | instskip(NEXT) | instid1(VALU_DEP_1)
	v_dual_fma_f32 v9, v102, v118, -v9 :: v_dual_fma_f32 v11, v104, v120, -v11
	v_add_f32_e32 v9, 0, v9
	s_delay_alu instid0(VALU_DEP_1) | instskip(SKIP_1) | instid1(VALU_DEP_1)
	v_add_f32_e32 v9, v9, v11
	v_mul_f32_e32 v11, v107, v123
	v_fma_f32 v11, v106, v122, -v11
	s_delay_alu instid0(VALU_DEP_1) | instskip(SKIP_1) | instid1(VALU_DEP_1)
	v_add_f32_e32 v9, v9, v11
	v_mul_f32_e32 v11, v109, v125
	v_fma_f32 v11, v108, v124, -v11
	;; [unrolled: 4-line block ×6, first 2 shown]
	ds_load_b128 v[102:105], v7 offset:736
	ds_load_b128 v[106:109], v7 offset:752
	;; [unrolled: 1-line block ×4, first 2 shown]
	v_add_f32_e32 v9, v9, v11
	v_mul_f32_e32 v11, v135, v139
	s_delay_alu instid0(VALU_DEP_1) | instskip(NEXT) | instid1(VALU_DEP_1)
	v_fma_f32 v11, v134, v138, -v11
	v_add_f32_e32 v9, v9, v11
	v_mul_f32_e32 v11, v137, v141
	s_wait_loadcnt_dscnt 0x303
	v_pk_mul_f32 v[120:121], v[102:103], v[238:239] op_sel:[1,1] op_sel_hi:[0,1]
	s_delay_alu instid0(VALU_DEP_2) | instskip(NEXT) | instid1(VALU_DEP_2)
	v_fma_f32 v11, v136, v140, -v11
	v_pk_fma_f32 v[122:123], v[102:103], v[238:239], v[120:121] neg_lo:[0,0,1] neg_hi:[0,0,1]
	v_pk_fma_f32 v[102:103], v[102:103], v[238:239], v[120:121] op_sel_hi:[1,0,1]
	v_mov_b32_e32 v120, v241
	s_delay_alu instid0(VALU_DEP_4) | instskip(SKIP_1) | instid1(VALU_DEP_1)
	v_add_f32_e32 v9, v9, v11
	v_mul_f32_e32 v11, v143, v147
	v_dual_mov_b32 v123, v103 :: v_dual_fma_f32 v11, v142, v146, -v11
	s_delay_alu instid0(VALU_DEP_1) | instskip(SKIP_1) | instid1(VALU_DEP_1)
	v_add_f32_e32 v9, v9, v11
	v_mul_f32_e32 v11, v145, v149
	v_fma_f32 v11, v144, v148, -v11
	s_delay_alu instid0(VALU_DEP_1) | instskip(SKIP_1) | instid1(VALU_DEP_1)
	v_add_f32_e32 v9, v9, v11
	v_mul_f32_e32 v11, v151, v155
	v_fma_f32 v11, v150, v154, -v11
	;; [unrolled: 4-line block ×21, first 2 shown]
	s_delay_alu instid0(VALU_DEP_1) | instskip(SKIP_2) | instid1(VALU_DEP_1)
	v_add_f32_e32 v254, v9, v11
	v_mul_f32_e32 v9, v231, v235
	s_set_vgpr_msb 64                       ;  msbs: dst=1 src0=0 src1=0 src2=0
	v_fma_f32 v0 /*v256*/, v230, v234, -v9
	s_set_vgpr_msb 0                        ;  msbs: dst=0 src0=0 src1=0 src2=0
	v_mul_f32_e32 v9, v233, v237
	s_set_vgpr_msb 64                       ;  msbs: dst=1 src0=0 src1=0 src2=0
	s_delay_alu instid0(VALU_DEP_1) | instskip(SKIP_2) | instid1(VALU_DEP_1)
	v_fma_f32 v2 /*v258*/, v232, v236, -v9
	s_set_vgpr_msb 4                        ;  msbs: dst=0 src0=0 src1=1 src2=0
	v_pk_add_f32 v[118:119], v[254:255], v[0:1] /*v[256:257]*/
	v_pk_add_f32 v[118:119], v[118:119], v[2:3] /*v[258:259]*/
	s_set_vgpr_msb 0                        ;  msbs: dst=0 src0=0 src1=0 src2=0
	s_delay_alu instid0(VALU_DEP_1) | instskip(SKIP_1) | instid1(VALU_DEP_1)
	v_pk_add_f32 v[102:103], v[118:119], v[122:123]
	v_dual_mov_b32 v118, v105 :: v_dual_mov_b32 v119, v104
	v_pk_mul_f32 v[118:119], v[118:119], v[120:121] op_sel_hi:[1,0]
	s_delay_alu instid0(VALU_DEP_1) | instskip(SKIP_1) | instid1(VALU_DEP_1)
	v_pk_fma_f32 v[120:121], v[104:105], v[240:241], v[118:119] neg_lo:[0,0,1] neg_hi:[0,0,1]
	v_pk_fma_f32 v[104:105], v[104:105], v[240:241], v[118:119] op_sel_hi:[1,0,1]
	v_mov_b32_e32 v121, v105
	s_wait_loadcnt_dscnt 0x202
	v_pk_mul_f32 v[104:105], v[106:107], v[242:243] op_sel:[1,1] op_sel_hi:[0,1]
	s_delay_alu instid0(VALU_DEP_2) | instskip(NEXT) | instid1(VALU_DEP_2)
	v_pk_add_f32 v[102:103], v[102:103], v[120:121]
	v_pk_fma_f32 v[118:119], v[106:107], v[242:243], v[104:105] neg_lo:[0,0,1] neg_hi:[0,0,1]
	v_pk_fma_f32 v[104:105], v[106:107], v[242:243], v[104:105] op_sel_hi:[1,0,1]
	v_dual_mov_b32 v104, v109 :: v_dual_mov_b32 v106, v245
	s_delay_alu instid0(VALU_DEP_2) | instskip(NEXT) | instid1(VALU_DEP_1)
	v_dual_mov_b32 v119, v105 :: v_dual_mov_b32 v105, v108
	v_pk_add_f32 v[102:103], v[102:103], v[118:119]
	s_delay_alu instid0(VALU_DEP_2) | instskip(NEXT) | instid1(VALU_DEP_1)
	v_pk_mul_f32 v[104:105], v[104:105], v[106:107] op_sel_hi:[1,0]
	v_pk_fma_f32 v[106:107], v[108:109], v[244:245], v[104:105] neg_lo:[0,0,1] neg_hi:[0,0,1]
	v_pk_fma_f32 v[104:105], v[108:109], v[244:245], v[104:105] op_sel_hi:[1,0,1]
	s_delay_alu instid0(VALU_DEP_1) | instskip(SKIP_2) | instid1(VALU_DEP_2)
	v_mov_b32_e32 v107, v105
	s_wait_loadcnt_dscnt 0x101
	v_pk_mul_f32 v[104:105], v[110:111], v[246:247] op_sel:[1,1] op_sel_hi:[0,1]
	v_pk_add_f32 v[102:103], v[102:103], v[106:107]
	s_delay_alu instid0(VALU_DEP_2) | instskip(SKIP_1) | instid1(VALU_DEP_1)
	v_pk_fma_f32 v[106:107], v[110:111], v[246:247], v[104:105] neg_lo:[0,0,1] neg_hi:[0,0,1]
	v_pk_fma_f32 v[104:105], v[110:111], v[246:247], v[104:105] op_sel_hi:[1,0,1]
	v_dual_mov_b32 v104, v113 :: v_dual_mov_b32 v107, v105
	v_mov_b32_e32 v105, v112
	s_delay_alu instid0(VALU_DEP_2) | instskip(SKIP_1) | instid1(VALU_DEP_1)
	v_pk_add_f32 v[102:103], v[102:103], v[106:107]
	v_mov_b32_e32 v106, v249
	v_pk_mul_f32 v[104:105], v[104:105], v[106:107] op_sel_hi:[1,0]
	s_delay_alu instid0(VALU_DEP_1) | instskip(SKIP_1) | instid1(VALU_DEP_1)
	v_pk_fma_f32 v[106:107], v[112:113], v[248:249], v[104:105] neg_lo:[0,0,1] neg_hi:[0,0,1]
	v_pk_fma_f32 v[104:105], v[112:113], v[248:249], v[104:105] op_sel_hi:[1,0,1]
	v_mov_b32_e32 v107, v105
	s_wait_loadcnt_dscnt 0x0
	v_pk_mul_f32 v[104:105], v[114:115], v[250:251] op_sel:[1,1] op_sel_hi:[0,1]
	s_delay_alu instid0(VALU_DEP_2) | instskip(NEXT) | instid1(VALU_DEP_2)
	v_pk_add_f32 v[102:103], v[102:103], v[106:107]
	v_pk_fma_f32 v[106:107], v[114:115], v[250:251], v[104:105] neg_lo:[0,0,1] neg_hi:[0,0,1]
	v_pk_fma_f32 v[104:105], v[114:115], v[250:251], v[104:105] op_sel_hi:[1,0,1]
	s_delay_alu instid0(VALU_DEP_1) | instskip(SKIP_1) | instid1(VALU_DEP_2)
	v_dual_mov_b32 v104, v117 :: v_dual_mov_b32 v107, v105
	v_mov_b32_e32 v105, v116
	v_pk_add_f32 v[102:103], v[102:103], v[106:107]
	v_mov_b32_e32 v106, v253
	s_delay_alu instid0(VALU_DEP_1) | instskip(NEXT) | instid1(VALU_DEP_1)
	v_pk_mul_f32 v[104:105], v[104:105], v[106:107] op_sel_hi:[1,0]
	v_pk_fma_f32 v[106:107], v[116:117], v[252:253], v[104:105] neg_lo:[0,0,1] neg_hi:[0,0,1]
	v_pk_fma_f32 v[104:105], v[116:117], v[252:253], v[104:105] op_sel_hi:[1,0,1]
	s_delay_alu instid0(VALU_DEP_1) | instskip(SKIP_3) | instid1(VALU_DEP_1)
	v_mov_b32_e32 v107, v105
	scratch_load_b64 v[104:105], off, off offset:56
	v_pk_add_f32 v[102:103], v[102:103], v[106:107]
	s_wait_loadcnt 0x0
	v_pk_add_f32 v[102:103], v[104:105], v[102:103] neg_lo:[0,1] neg_hi:[0,1]
	scratch_store_b64 off, v[102:103], off offset:56
	s_wait_xcnt 0x0
	v_cmpx_lt_u32_e32 6, v0
	s_cbranch_execz .LBB49_301
; %bb.300:
	scratch_load_b64 v[102:103], off, off offset:48
	v_mov_b64_e32 v[104:105], 0
	scratch_store_b64 off, v[104:105], off offset:48
	s_wait_loadcnt 0x0
	ds_store_b64 v1, v[102:103]
.LBB49_301:
	s_wait_xcnt 0x0
	s_or_b32 exec_lo, exec_lo, s0
	s_wait_storecnt_dscnt 0x0
	s_barrier_signal -1
	s_barrier_wait -1
	s_clause 0xf
	scratch_load_b128 v[106:109], off, off offset:56
	scratch_load_b128 v[114:117], off, off offset:72
	;; [unrolled: 1-line block ×16, first 2 shown]
	v_mov_b32_e32 v7, 0
	s_clause 0x1
	scratch_load_b128 v[234:237], off, off offset:312
	scratch_load_b128 v[242:245], off, off offset:328
	s_mov_b32 s0, exec_lo
	ds_load_2addr_b64 v[102:105], v7 offset0:57 offset1:58
	ds_load_2addr_b64 v[110:113], v7 offset0:59 offset1:60
	s_wait_loadcnt_dscnt 0x1101
	v_dual_mul_f32 v9, v102, v107 :: v_dual_mul_f32 v11, v104, v109
	ds_load_2addr_b64 v[118:121], v7 offset0:61 offset1:62
	ds_load_2addr_b64 v[126:129], v7 offset0:63 offset1:64
	;; [unrolled: 1-line block ×4, first 2 shown]
	v_dual_fmac_f32 v9, v103, v106 :: v_dual_fmac_f32 v11, v105, v108
	ds_load_2addr_b64 v[134:137], v7 offset0:65 offset1:66
	ds_load_2addr_b64 v[142:145], v7 offset0:67 offset1:68
	;; [unrolled: 1-line block ×4, first 2 shown]
	v_add_f32_e32 v9, 0, v9
	ds_load_2addr_b64 v[166:169], v7 offset0:73 offset1:74
	ds_load_2addr_b64 v[174:177], v7 offset0:75 offset1:76
	;; [unrolled: 1-line block ×4, first 2 shown]
	v_add_f32_e32 v9, v9, v11
	s_wait_loadcnt_dscnt 0x100c
	v_mul_f32_e32 v11, v110, v115
	ds_load_2addr_b64 v[198:201], v7 offset0:81 offset1:82
	ds_load_2addr_b64 v[206:209], v7 offset0:83 offset1:84
	;; [unrolled: 1-line block ×4, first 2 shown]
	v_fmac_f32_e32 v11, v111, v114
	s_clause 0x4
	scratch_load_b128 v[246:249], off, off offset:344
	scratch_load_b128 v[250:253], off, off offset:360
	;; [unrolled: 1-line block ×3, first 2 shown]
	s_set_vgpr_msb 64                       ;  msbs: dst=1 src0=0 src1=0 src2=0
	scratch_load_b64 v[8:9] /*v[264:265]*/, off, off offset:392
	s_wait_loadcnt_dscnt 0x40c
	v_dual_mul_f32 v5 /*v261*/, v232, v237 :: v_dual_mul_f32 v7 /*v263*/, v238, v243
	s_set_vgpr_msb 0                        ;  msbs: dst=0 src0=0 src1=0 src2=0
	v_dual_add_f32 v9, v9, v11 :: v_dual_mul_f32 v11, v112, v117
	s_set_vgpr_msb 64                       ;  msbs: dst=1 src0=0 src1=0 src2=0
	s_delay_alu instid0(VALU_DEP_2) | instskip(SKIP_1) | instid1(VALU_DEP_2)
	v_fmac_f32_e32 v5 /*v261*/, v233, v236
	s_set_vgpr_msb 0                        ;  msbs: dst=0 src0=0 src1=0 src2=0
	v_fmac_f32_e32 v11, v113, v116
	s_delay_alu instid0(VALU_DEP_1) | instskip(SKIP_1) | instid1(VALU_DEP_1)
	v_add_f32_e32 v9, v9, v11
	v_mul_f32_e32 v11, v118, v123
	v_fmac_f32_e32 v11, v119, v122
	s_delay_alu instid0(VALU_DEP_1) | instskip(NEXT) | instid1(VALU_DEP_1)
	v_dual_add_f32 v9, v9, v11 :: v_dual_mul_f32 v11, v120, v125
	v_fmac_f32_e32 v11, v121, v124
	s_delay_alu instid0(VALU_DEP_1) | instskip(SKIP_1) | instid1(VALU_DEP_1)
	v_add_f32_e32 v9, v9, v11
	v_mul_f32_e32 v11, v126, v131
	v_fmac_f32_e32 v11, v127, v130
	s_delay_alu instid0(VALU_DEP_1) | instskip(NEXT) | instid1(VALU_DEP_1)
	v_dual_add_f32 v9, v9, v11 :: v_dual_mul_f32 v11, v128, v133
	v_fmac_f32_e32 v11, v129, v132
	s_delay_alu instid0(VALU_DEP_1) | instskip(SKIP_2) | instid1(VALU_DEP_1)
	v_add_f32_e32 v9, v9, v11
	s_wait_dscnt 0xb
	v_mul_f32_e32 v11, v134, v139
	v_fmac_f32_e32 v11, v135, v138
	s_delay_alu instid0(VALU_DEP_1) | instskip(NEXT) | instid1(VALU_DEP_1)
	v_dual_add_f32 v9, v9, v11 :: v_dual_mul_f32 v11, v136, v141
	v_fmac_f32_e32 v11, v137, v140
	s_delay_alu instid0(VALU_DEP_1) | instskip(SKIP_2) | instid1(VALU_DEP_1)
	v_add_f32_e32 v9, v9, v11
	s_wait_dscnt 0xa
	;; [unrolled: 8-line block ×12, first 2 shown]
	v_mul_f32_e32 v11, v222, v227
	v_fmac_f32_e32 v11, v223, v226
	s_delay_alu instid0(VALU_DEP_1) | instskip(NEXT) | instid1(VALU_DEP_1)
	v_dual_add_f32 v9, v9, v11 :: v_dual_mul_f32 v11, v224, v229
	v_fmac_f32_e32 v11, v225, v228
	s_delay_alu instid0(VALU_DEP_1) | instskip(SKIP_1) | instid1(VALU_DEP_1)
	v_add_f32_e32 v9, v9, v11
	v_mul_f32_e32 v11, v230, v235
	v_fmac_f32_e32 v11, v231, v234
	s_set_vgpr_msb 64                       ;  msbs: dst=1 src0=0 src1=0 src2=0
	s_delay_alu instid0(VALU_DEP_1) | instskip(SKIP_2) | instid1(VALU_DEP_1)
	v_add_f32_e32 v3 /*v259*/, v9, v11
	s_set_vgpr_msb 0                        ;  msbs: dst=0 src0=0 src1=0 src2=0
	v_dual_mul_f32 v9, v103, v107 :: v_dual_mul_f32 v11, v105, v109
	v_dual_fma_f32 v9, v102, v106, -v9 :: v_dual_fma_f32 v11, v104, v108, -v11
	s_delay_alu instid0(VALU_DEP_1) | instskip(NEXT) | instid1(VALU_DEP_1)
	v_add_f32_e32 v9, 0, v9
	v_add_f32_e32 v9, v9, v11
	v_mul_f32_e32 v11, v111, v115
	s_delay_alu instid0(VALU_DEP_1) | instskip(NEXT) | instid1(VALU_DEP_1)
	v_fma_f32 v11, v110, v114, -v11
	v_add_f32_e32 v9, v9, v11
	v_mul_f32_e32 v11, v113, v117
	s_delay_alu instid0(VALU_DEP_1)
	v_fma_f32 v11, v112, v116, -v11
	ds_load_2addr_b64 v[102:105], v7 offset0:93 offset1:94
	ds_load_2addr_b64 v[106:109], v7 offset0:95 offset1:96
	;; [unrolled: 1-line block ×3, first 2 shown]
	ds_load_b64 v[114:115], v7 offset:792
	v_add_f32_e32 v9, v9, v11
	v_dual_mul_f32 v11, v119, v123 :: v_dual_mov_b32 v119, v240
	s_delay_alu instid0(VALU_DEP_1) | instskip(NEXT) | instid1(VALU_DEP_1)
	v_dual_fma_f32 v11, v118, v122, -v11 :: v_dual_mov_b32 v118, v241
	v_add_f32_e32 v9, v9, v11
	v_mul_f32_e32 v11, v121, v125
	s_delay_alu instid0(VALU_DEP_1) | instskip(NEXT) | instid1(VALU_DEP_1)
	v_dual_fma_f32 v11, v120, v124, -v11 :: v_dual_mov_b32 v120, v245
	v_add_f32_e32 v9, v9, v11
	v_mul_f32_e32 v11, v127, v131
	s_delay_alu instid0(VALU_DEP_3) | instskip(NEXT) | instid1(VALU_DEP_2)
	v_pk_mul_f32 v[118:119], v[118:119], v[120:121] op_sel_hi:[1,0]
	v_fma_f32 v11, v126, v130, -v11
	s_delay_alu instid0(VALU_DEP_2) | instskip(SKIP_1) | instid1(VALU_DEP_3)
	v_pk_fma_f32 v[120:121], v[240:241], v[244:245], v[118:119] neg_lo:[0,0,1] neg_hi:[0,0,1]
	v_pk_fma_f32 v[118:119], v[240:241], v[244:245], v[118:119] op_sel_hi:[1,0,1]
	v_add_f32_e32 v9, v9, v11
	s_delay_alu instid0(VALU_DEP_2) | instskip(SKIP_2) | instid1(VALU_DEP_2)
	v_dual_mul_f32 v11, v129, v133 :: v_dual_mov_b32 v121, v119
	s_wait_loadcnt_dscnt 0x303
	v_pk_mul_f32 v[118:119], v[102:103], v[246:247] op_sel:[1,1] op_sel_hi:[0,1]
	v_fma_f32 v11, v128, v132, -v11
	s_delay_alu instid0(VALU_DEP_1) | instskip(SKIP_1) | instid1(VALU_DEP_1)
	v_add_f32_e32 v9, v9, v11
	v_mul_f32_e32 v11, v135, v139
	v_fma_f32 v11, v134, v138, -v11
	s_delay_alu instid0(VALU_DEP_1) | instskip(SKIP_1) | instid1(VALU_DEP_1)
	v_add_f32_e32 v9, v9, v11
	v_mul_f32_e32 v11, v137, v141
	;; [unrolled: 4-line block ×25, first 2 shown]
	v_fma_f32 v11, v230, v234, -v11
	s_set_vgpr_msb 64                       ;  msbs: dst=1 src0=0 src1=0 src2=0
	s_delay_alu instid0(VALU_DEP_1) | instskip(SKIP_3) | instid1(VALU_DEP_1)
	v_dual_fmac_f32 v7 /*v263*/, v239, v242 :: v_dual_add_f32 v2 /*v258*/, v9, v11
	s_set_vgpr_msb 0                        ;  msbs: dst=0 src0=0 src1=0 src2=0
	v_mul_f32_e32 v9, v233, v237
	s_set_vgpr_msb 64                       ;  msbs: dst=1 src0=0 src1=0 src2=0
	v_fma_f32 v4 /*v260*/, v232, v236, -v9
	s_set_vgpr_msb 0                        ;  msbs: dst=0 src0=0 src1=0 src2=0
	v_mul_f32_e32 v9, v239, v243
	s_set_vgpr_msb 64                       ;  msbs: dst=1 src0=0 src1=0 src2=0
	s_delay_alu instid0(VALU_DEP_1) | instskip(SKIP_3) | instid1(VALU_DEP_1)
	v_fma_f32 v6 /*v262*/, v238, v242, -v9
	s_set_vgpr_msb 5                        ;  msbs: dst=0 src0=1 src1=1 src2=0
	v_pk_add_f32 v[116:117], v[2:3] /*v[258:259]*/, v[4:5] /*v[260:261]*/
	s_set_vgpr_msb 4                        ;  msbs: dst=0 src0=0 src1=1 src2=0
	v_pk_add_f32 v[116:117], v[116:117], v[6:7] /*v[262:263]*/
	s_set_vgpr_msb 0                        ;  msbs: dst=0 src0=0 src1=0 src2=0
	s_delay_alu instid0(VALU_DEP_1) | instskip(SKIP_2) | instid1(VALU_DEP_1)
	v_pk_add_f32 v[116:117], v[116:117], v[120:121]
	v_pk_fma_f32 v[120:121], v[102:103], v[246:247], v[118:119] neg_lo:[0,0,1] neg_hi:[0,0,1]
	v_pk_fma_f32 v[102:103], v[102:103], v[246:247], v[118:119] op_sel_hi:[1,0,1]
	v_dual_mov_b32 v118, v249 :: v_dual_mov_b32 v121, v103
	s_delay_alu instid0(VALU_DEP_1) | instskip(SKIP_1) | instid1(VALU_DEP_1)
	v_pk_add_f32 v[102:103], v[116:117], v[120:121]
	v_dual_mov_b32 v116, v105 :: v_dual_mov_b32 v117, v104
	v_pk_mul_f32 v[116:117], v[116:117], v[118:119] op_sel_hi:[1,0]
	s_delay_alu instid0(VALU_DEP_1) | instskip(SKIP_1) | instid1(VALU_DEP_1)
	v_pk_fma_f32 v[118:119], v[104:105], v[248:249], v[116:117] neg_lo:[0,0,1] neg_hi:[0,0,1]
	v_pk_fma_f32 v[104:105], v[104:105], v[248:249], v[116:117] op_sel_hi:[1,0,1]
	v_mov_b32_e32 v119, v105
	s_wait_loadcnt_dscnt 0x202
	v_pk_mul_f32 v[104:105], v[106:107], v[250:251] op_sel:[1,1] op_sel_hi:[0,1]
	s_delay_alu instid0(VALU_DEP_2) | instskip(NEXT) | instid1(VALU_DEP_2)
	v_pk_add_f32 v[102:103], v[102:103], v[118:119]
	v_pk_fma_f32 v[116:117], v[106:107], v[250:251], v[104:105] neg_lo:[0,0,1] neg_hi:[0,0,1]
	v_pk_fma_f32 v[104:105], v[106:107], v[250:251], v[104:105] op_sel_hi:[1,0,1]
	v_dual_mov_b32 v104, v109 :: v_dual_mov_b32 v106, v253
	s_delay_alu instid0(VALU_DEP_2) | instskip(NEXT) | instid1(VALU_DEP_1)
	v_dual_mov_b32 v117, v105 :: v_dual_mov_b32 v105, v108
	v_pk_add_f32 v[102:103], v[102:103], v[116:117]
	s_delay_alu instid0(VALU_DEP_2) | instskip(NEXT) | instid1(VALU_DEP_1)
	v_pk_mul_f32 v[104:105], v[104:105], v[106:107] op_sel_hi:[1,0]
	v_pk_fma_f32 v[106:107], v[108:109], v[252:253], v[104:105] neg_lo:[0,0,1] neg_hi:[0,0,1]
	v_pk_fma_f32 v[104:105], v[108:109], v[252:253], v[104:105] op_sel_hi:[1,0,1]
	s_delay_alu instid0(VALU_DEP_1) | instskip(SKIP_2) | instid1(VALU_DEP_2)
	v_mov_b32_e32 v107, v105
	s_wait_loadcnt_dscnt 0x101
	v_pk_mul_f32 v[104:105], v[110:111], v[254:255] op_sel:[1,1] op_sel_hi:[0,1]
	v_pk_add_f32 v[102:103], v[102:103], v[106:107]
	s_delay_alu instid0(VALU_DEP_2) | instskip(SKIP_1) | instid1(VALU_DEP_1)
	v_pk_fma_f32 v[106:107], v[110:111], v[254:255], v[104:105] neg_lo:[0,0,1] neg_hi:[0,0,1]
	v_pk_fma_f32 v[104:105], v[110:111], v[254:255], v[104:105] op_sel_hi:[1,0,1]
	v_dual_mov_b32 v104, v113 :: v_dual_mov_b32 v107, v105
	v_mov_b32_e32 v105, v112
	s_delay_alu instid0(VALU_DEP_2) | instskip(SKIP_3) | instid1(VALU_DEP_1)
	v_pk_add_f32 v[102:103], v[102:103], v[106:107]
	s_set_vgpr_msb 1                        ;  msbs: dst=0 src0=1 src1=0 src2=0
	v_mov_b32_e32 v106, v1 /*v257*/
	s_set_vgpr_msb 0                        ;  msbs: dst=0 src0=0 src1=0 src2=0
	v_pk_mul_f32 v[104:105], v[104:105], v[106:107] op_sel_hi:[1,0]
	s_set_vgpr_msb 4                        ;  msbs: dst=0 src0=0 src1=1 src2=0
	s_delay_alu instid0(VALU_DEP_1) | instskip(SKIP_1) | instid1(VALU_DEP_1)
	v_pk_fma_f32 v[106:107], v[112:113], v[0:1] /*v[256:257]*/, v[104:105] neg_lo:[0,0,1] neg_hi:[0,0,1]
	v_pk_fma_f32 v[104:105], v[112:113], v[0:1] /*v[256:257]*/, v[104:105] op_sel_hi:[1,0,1]
	v_mov_b32_e32 v107, v105
	s_wait_loadcnt_dscnt 0x0
	v_pk_mul_f32 v[104:105], v[114:115], v[8:9] /*v[264:265]*/ op_sel:[1,1] op_sel_hi:[0,1]
	s_set_vgpr_msb 0                        ;  msbs: dst=0 src0=0 src1=0 src2=0
	s_delay_alu instid0(VALU_DEP_2) | instskip(SKIP_1) | instid1(VALU_DEP_2)
	v_pk_add_f32 v[102:103], v[102:103], v[106:107]
	s_set_vgpr_msb 4                        ;  msbs: dst=0 src0=0 src1=1 src2=0
	v_pk_fma_f32 v[106:107], v[114:115], v[8:9] /*v[264:265]*/, v[104:105] neg_lo:[0,0,1] neg_hi:[0,0,1]
	v_pk_fma_f32 v[104:105], v[114:115], v[8:9] /*v[264:265]*/, v[104:105] op_sel_hi:[1,0,1]
	s_delay_alu instid0(VALU_DEP_1) | instskip(SKIP_4) | instid1(VALU_DEP_1)
	v_mov_b32_e32 v107, v105
	scratch_load_b64 v[104:105], off, off offset:48
	s_set_vgpr_msb 0                        ;  msbs: dst=0 src0=0 src1=0 src2=0
	v_pk_add_f32 v[102:103], v[102:103], v[106:107]
	s_wait_loadcnt 0x0
	v_pk_add_f32 v[102:103], v[104:105], v[102:103] neg_lo:[0,1] neg_hi:[0,1]
	scratch_store_b64 off, v[102:103], off offset:48
	s_wait_xcnt 0x0
	v_cmpx_lt_u32_e32 5, v0
	s_cbranch_execz .LBB49_303
; %bb.302:
	scratch_load_b64 v[102:103], off, off offset:40
	v_mov_b64_e32 v[104:105], 0
	scratch_store_b64 off, v[104:105], off offset:40
	s_wait_loadcnt 0x0
	ds_store_b64 v1, v[102:103]
.LBB49_303:
	s_wait_xcnt 0x0
	s_or_b32 exec_lo, exec_lo, s0
	s_wait_storecnt_dscnt 0x0
	s_barrier_signal -1
	s_barrier_wait -1
	ds_load_b128 v[102:105], v7 offset:448
	ds_load_b128 v[106:109], v7 offset:464
	;; [unrolled: 1-line block ×4, first 2 shown]
	s_clause 0x11
	scratch_load_b128 v[118:121], off, off offset:48
	scratch_load_b128 v[122:125], off, off offset:64
	;; [unrolled: 1-line block ×18, first 2 shown]
	ds_load_b128 v[134:137], v7 offset:512
	ds_load_b128 v[142:145], v7 offset:528
	;; [unrolled: 1-line block ×14, first 2 shown]
	s_clause 0x4
	scratch_load_b128 v[246:249], off, off offset:336
	scratch_load_b128 v[250:253], off, off offset:352
	;; [unrolled: 1-line block ×3, first 2 shown]
	s_set_vgpr_msb 64                       ;  msbs: dst=1 src0=0 src1=0 src2=0
	scratch_load_b128 v[2:5] /*v[258:261]*/, off, off offset:384
	s_mov_b32 s0, exec_lo
	s_wait_loadcnt_dscnt 0x1511
	s_set_vgpr_msb 0                        ;  msbs: dst=0 src0=0 src1=0 src2=0
	v_dual_mul_f32 v9, v102, v119 :: v_dual_mul_f32 v11, v104, v121
	s_delay_alu instid0(VALU_DEP_1) | instskip(NEXT) | instid1(VALU_DEP_1)
	v_dual_fmac_f32 v9, v103, v118 :: v_dual_fmac_f32 v11, v105, v120
	v_add_f32_e32 v9, 0, v9
	s_delay_alu instid0(VALU_DEP_1)
	v_add_f32_e32 v9, v9, v11
	s_wait_loadcnt_dscnt 0x1410
	v_mul_f32_e32 v11, v106, v123
	s_wait_loadcnt_dscnt 0x40a
	s_set_vgpr_msb 64                       ;  msbs: dst=1 src0=0 src1=0 src2=0
	v_dual_mul_f32 v9 /*v265*/, v238, v243 :: v_dual_mul_f32 v11 /*v267*/, v240, v245
	s_set_vgpr_msb 0                        ;  msbs: dst=0 src0=0 src1=0 src2=0
	v_fmac_f32_e32 v11, v107, v122
	s_set_vgpr_msb 64                       ;  msbs: dst=1 src0=0 src1=0 src2=0
	s_delay_alu instid0(VALU_DEP_2) | instskip(SKIP_1) | instid1(VALU_DEP_2)
	v_dual_fmac_f32 v9 /*v265*/, v239, v242 :: v_dual_fmac_f32 v11 /*v267*/, v241, v244
	s_set_vgpr_msb 0                        ;  msbs: dst=0 src0=0 src1=0 src2=0
	v_dual_add_f32 v9, v9, v11 :: v_dual_mul_f32 v11, v108, v125
	s_delay_alu instid0(VALU_DEP_1) | instskip(NEXT) | instid1(VALU_DEP_1)
	v_fmac_f32_e32 v11, v109, v124
	v_add_f32_e32 v9, v9, v11
	v_mul_f32_e32 v11, v110, v127
	s_delay_alu instid0(VALU_DEP_1) | instskip(NEXT) | instid1(VALU_DEP_1)
	v_fmac_f32_e32 v11, v111, v126
	v_dual_add_f32 v9, v9, v11 :: v_dual_mul_f32 v11, v112, v129
	s_delay_alu instid0(VALU_DEP_1) | instskip(NEXT) | instid1(VALU_DEP_1)
	v_fmac_f32_e32 v11, v113, v128
	v_add_f32_e32 v9, v9, v11
	v_mul_f32_e32 v11, v114, v131
	s_delay_alu instid0(VALU_DEP_1) | instskip(NEXT) | instid1(VALU_DEP_1)
	v_fmac_f32_e32 v11, v115, v130
	;; [unrolled: 7-line block ×4, first 2 shown]
	v_dual_add_f32 v9, v9, v11 :: v_dual_mul_f32 v11, v144, v149
	s_delay_alu instid0(VALU_DEP_1) | instskip(NEXT) | instid1(VALU_DEP_1)
	v_fmac_f32_e32 v11, v145, v148
	v_add_f32_e32 v9, v9, v11
	s_wait_dscnt 0x9
	v_mul_f32_e32 v11, v150, v155
	s_delay_alu instid0(VALU_DEP_1) | instskip(NEXT) | instid1(VALU_DEP_1)
	v_fmac_f32_e32 v11, v151, v154
	v_dual_add_f32 v9, v9, v11 :: v_dual_mul_f32 v11, v152, v157
	s_delay_alu instid0(VALU_DEP_1) | instskip(NEXT) | instid1(VALU_DEP_1)
	v_fmac_f32_e32 v11, v153, v156
	v_add_f32_e32 v9, v9, v11
	s_wait_dscnt 0x8
	v_mul_f32_e32 v11, v158, v163
	s_delay_alu instid0(VALU_DEP_1) | instskip(NEXT) | instid1(VALU_DEP_1)
	v_fmac_f32_e32 v11, v159, v162
	v_dual_add_f32 v9, v9, v11 :: v_dual_mul_f32 v11, v160, v165
	s_delay_alu instid0(VALU_DEP_1) | instskip(NEXT) | instid1(VALU_DEP_1)
	v_fmac_f32_e32 v11, v161, v164
	v_add_f32_e32 v9, v9, v11
	s_wait_dscnt 0x7
	v_mul_f32_e32 v11, v166, v171
	s_delay_alu instid0(VALU_DEP_1) | instskip(NEXT) | instid1(VALU_DEP_1)
	v_fmac_f32_e32 v11, v167, v170
	v_dual_add_f32 v9, v9, v11 :: v_dual_mul_f32 v11, v168, v173
	s_delay_alu instid0(VALU_DEP_1) | instskip(NEXT) | instid1(VALU_DEP_1)
	v_fmac_f32_e32 v11, v169, v172
	v_add_f32_e32 v9, v9, v11
	s_wait_dscnt 0x6
	v_mul_f32_e32 v11, v174, v179
	s_delay_alu instid0(VALU_DEP_1) | instskip(NEXT) | instid1(VALU_DEP_1)
	v_fmac_f32_e32 v11, v175, v178
	v_dual_add_f32 v9, v9, v11 :: v_dual_mul_f32 v11, v176, v181
	s_delay_alu instid0(VALU_DEP_1) | instskip(NEXT) | instid1(VALU_DEP_1)
	v_fmac_f32_e32 v11, v177, v180
	v_add_f32_e32 v9, v9, v11
	s_wait_dscnt 0x5
	v_mul_f32_e32 v11, v182, v187
	s_delay_alu instid0(VALU_DEP_1) | instskip(NEXT) | instid1(VALU_DEP_1)
	v_fmac_f32_e32 v11, v183, v186
	v_dual_add_f32 v9, v9, v11 :: v_dual_mul_f32 v11, v184, v189
	s_delay_alu instid0(VALU_DEP_1) | instskip(NEXT) | instid1(VALU_DEP_1)
	v_fmac_f32_e32 v11, v185, v188
	v_add_f32_e32 v9, v9, v11
	s_wait_dscnt 0x4
	v_mul_f32_e32 v11, v190, v195
	s_delay_alu instid0(VALU_DEP_1) | instskip(NEXT) | instid1(VALU_DEP_1)
	v_fmac_f32_e32 v11, v191, v194
	v_dual_add_f32 v9, v9, v11 :: v_dual_mul_f32 v11, v192, v197
	s_delay_alu instid0(VALU_DEP_1) | instskip(NEXT) | instid1(VALU_DEP_1)
	v_fmac_f32_e32 v11, v193, v196
	v_add_f32_e32 v9, v9, v11
	s_wait_dscnt 0x3
	v_mul_f32_e32 v11, v198, v203
	s_delay_alu instid0(VALU_DEP_1) | instskip(NEXT) | instid1(VALU_DEP_1)
	v_fmac_f32_e32 v11, v199, v202
	v_dual_add_f32 v9, v9, v11 :: v_dual_mul_f32 v11, v200, v205
	s_delay_alu instid0(VALU_DEP_1) | instskip(NEXT) | instid1(VALU_DEP_1)
	v_fmac_f32_e32 v11, v201, v204
	v_add_f32_e32 v9, v9, v11
	s_wait_dscnt 0x2
	v_mul_f32_e32 v11, v206, v211
	s_delay_alu instid0(VALU_DEP_1) | instskip(NEXT) | instid1(VALU_DEP_1)
	v_fmac_f32_e32 v11, v207, v210
	v_dual_add_f32 v9, v9, v11 :: v_dual_mul_f32 v11, v208, v213
	s_delay_alu instid0(VALU_DEP_1) | instskip(NEXT) | instid1(VALU_DEP_1)
	v_fmac_f32_e32 v11, v209, v212
	v_add_f32_e32 v9, v9, v11
	s_wait_dscnt 0x1
	v_mul_f32_e32 v11, v214, v219
	s_delay_alu instid0(VALU_DEP_1) | instskip(NEXT) | instid1(VALU_DEP_1)
	v_fmac_f32_e32 v11, v215, v218
	v_dual_add_f32 v9, v9, v11 :: v_dual_mul_f32 v11, v216, v221
	s_delay_alu instid0(VALU_DEP_1) | instskip(NEXT) | instid1(VALU_DEP_1)
	v_fmac_f32_e32 v11, v217, v220
	v_add_f32_e32 v9, v9, v11
	s_wait_dscnt 0x0
	v_mul_f32_e32 v11, v222, v227
	s_delay_alu instid0(VALU_DEP_1) | instskip(NEXT) | instid1(VALU_DEP_1)
	v_fmac_f32_e32 v11, v223, v226
	v_dual_add_f32 v9, v9, v11 :: v_dual_mul_f32 v11, v224, v229
	s_delay_alu instid0(VALU_DEP_1) | instskip(NEXT) | instid1(VALU_DEP_1)
	v_fmac_f32_e32 v11, v225, v228
	v_add_f32_e32 v9, v9, v11
	v_mul_f32_e32 v11, v230, v235
	s_delay_alu instid0(VALU_DEP_1) | instskip(NEXT) | instid1(VALU_DEP_1)
	v_fmac_f32_e32 v11, v231, v234
	v_dual_add_f32 v9, v9, v11 :: v_dual_mul_f32 v11, v232, v237
	s_delay_alu instid0(VALU_DEP_1) | instskip(SKIP_1) | instid1(VALU_DEP_1)
	v_fmac_f32_e32 v11, v233, v236
	s_set_vgpr_msb 64                       ;  msbs: dst=1 src0=0 src1=0 src2=0
	v_add_f32_e32 v7 /*v263*/, v9, v11
	s_set_vgpr_msb 0                        ;  msbs: dst=0 src0=0 src1=0 src2=0
	v_dual_mul_f32 v9, v103, v119 :: v_dual_mul_f32 v11, v105, v121
	s_delay_alu instid0(VALU_DEP_1) | instskip(NEXT) | instid1(VALU_DEP_1)
	v_dual_fma_f32 v9, v102, v118, -v9 :: v_dual_fma_f32 v11, v104, v120, -v11
	v_add_f32_e32 v9, 0, v9
	s_delay_alu instid0(VALU_DEP_1) | instskip(SKIP_1) | instid1(VALU_DEP_1)
	v_add_f32_e32 v9, v9, v11
	v_mul_f32_e32 v11, v107, v123
	v_fma_f32 v11, v106, v122, -v11
	s_delay_alu instid0(VALU_DEP_1) | instskip(SKIP_1) | instid1(VALU_DEP_1)
	v_add_f32_e32 v9, v9, v11
	v_mul_f32_e32 v11, v109, v125
	v_fma_f32 v11, v108, v124, -v11
	;; [unrolled: 4-line block ×6, first 2 shown]
	ds_load_b128 v[102:105], v7 offset:736
	ds_load_b128 v[106:109], v7 offset:752
	ds_load_b128 v[110:113], v7 offset:768
	ds_load_b128 v[114:117], v7 offset:784
	v_add_f32_e32 v9, v9, v11
	v_mul_f32_e32 v11, v135, v139
	s_delay_alu instid0(VALU_DEP_1) | instskip(NEXT) | instid1(VALU_DEP_1)
	v_fma_f32 v11, v134, v138, -v11
	v_add_f32_e32 v9, v9, v11
	v_mul_f32_e32 v11, v137, v141
	s_wait_loadcnt_dscnt 0x303
	v_pk_mul_f32 v[120:121], v[102:103], v[246:247] op_sel:[1,1] op_sel_hi:[0,1]
	s_delay_alu instid0(VALU_DEP_2) | instskip(NEXT) | instid1(VALU_DEP_2)
	v_fma_f32 v11, v136, v140, -v11
	v_pk_fma_f32 v[122:123], v[102:103], v[246:247], v[120:121] neg_lo:[0,0,1] neg_hi:[0,0,1]
	v_pk_fma_f32 v[102:103], v[102:103], v[246:247], v[120:121] op_sel_hi:[1,0,1]
	v_mov_b32_e32 v120, v249
	s_delay_alu instid0(VALU_DEP_4) | instskip(SKIP_1) | instid1(VALU_DEP_1)
	v_add_f32_e32 v9, v9, v11
	v_mul_f32_e32 v11, v143, v147
	v_dual_mov_b32 v123, v103 :: v_dual_fma_f32 v11, v142, v146, -v11
	s_delay_alu instid0(VALU_DEP_1) | instskip(SKIP_1) | instid1(VALU_DEP_1)
	v_add_f32_e32 v9, v9, v11
	v_mul_f32_e32 v11, v145, v149
	v_fma_f32 v11, v144, v148, -v11
	s_delay_alu instid0(VALU_DEP_1) | instskip(SKIP_1) | instid1(VALU_DEP_1)
	v_add_f32_e32 v9, v9, v11
	v_mul_f32_e32 v11, v151, v155
	v_fma_f32 v11, v150, v154, -v11
	;; [unrolled: 4-line block ×23, first 2 shown]
	s_set_vgpr_msb 64                       ;  msbs: dst=1 src0=0 src1=0 src2=0
	s_delay_alu instid0(VALU_DEP_1) | instskip(SKIP_3) | instid1(VALU_DEP_1)
	v_add_f32_e32 v6 /*v262*/, v9, v11
	s_set_vgpr_msb 0                        ;  msbs: dst=0 src0=0 src1=0 src2=0
	v_mul_f32_e32 v9, v239, v243
	s_set_vgpr_msb 64                       ;  msbs: dst=1 src0=0 src1=0 src2=0
	v_fma_f32 v8 /*v264*/, v238, v242, -v9
	s_set_vgpr_msb 0                        ;  msbs: dst=0 src0=0 src1=0 src2=0
	v_mul_f32_e32 v9, v241, v245
	s_set_vgpr_msb 5                        ;  msbs: dst=0 src0=1 src1=1 src2=0
	s_delay_alu instid0(VALU_DEP_2) | instskip(SKIP_1) | instid1(VALU_DEP_2)
	v_pk_add_f32 v[118:119], v[6:7] /*v[262:263]*/, v[8:9] /*v[264:265]*/
	s_set_vgpr_msb 64                       ;  msbs: dst=1 src0=0 src1=0 src2=0
	v_fma_f32 v10 /*v266*/, v240, v244, -v9
	s_set_vgpr_msb 4                        ;  msbs: dst=0 src0=0 src1=1 src2=0
	s_delay_alu instid0(VALU_DEP_1) | instskip(SKIP_1) | instid1(VALU_DEP_1)
	v_pk_add_f32 v[118:119], v[118:119], v[10:11] /*v[266:267]*/
	s_set_vgpr_msb 0                        ;  msbs: dst=0 src0=0 src1=0 src2=0
	v_pk_add_f32 v[102:103], v[118:119], v[122:123]
	v_dual_mov_b32 v118, v105 :: v_dual_mov_b32 v119, v104
	s_delay_alu instid0(VALU_DEP_1) | instskip(NEXT) | instid1(VALU_DEP_1)
	v_pk_mul_f32 v[118:119], v[118:119], v[120:121] op_sel_hi:[1,0]
	v_pk_fma_f32 v[120:121], v[104:105], v[248:249], v[118:119] neg_lo:[0,0,1] neg_hi:[0,0,1]
	v_pk_fma_f32 v[104:105], v[104:105], v[248:249], v[118:119] op_sel_hi:[1,0,1]
	s_delay_alu instid0(VALU_DEP_1) | instskip(SKIP_2) | instid1(VALU_DEP_2)
	v_mov_b32_e32 v121, v105
	s_wait_loadcnt_dscnt 0x202
	v_pk_mul_f32 v[104:105], v[106:107], v[250:251] op_sel:[1,1] op_sel_hi:[0,1]
	v_pk_add_f32 v[102:103], v[102:103], v[120:121]
	s_delay_alu instid0(VALU_DEP_2) | instskip(SKIP_2) | instid1(VALU_DEP_2)
	v_pk_fma_f32 v[118:119], v[106:107], v[250:251], v[104:105] neg_lo:[0,0,1] neg_hi:[0,0,1]
	v_pk_fma_f32 v[104:105], v[106:107], v[250:251], v[104:105] op_sel_hi:[1,0,1]
	v_dual_mov_b32 v104, v109 :: v_dual_mov_b32 v106, v253
	v_dual_mov_b32 v119, v105 :: v_dual_mov_b32 v105, v108
	s_delay_alu instid0(VALU_DEP_1) | instskip(NEXT) | instid1(VALU_DEP_2)
	v_pk_add_f32 v[102:103], v[102:103], v[118:119]
	v_pk_mul_f32 v[104:105], v[104:105], v[106:107] op_sel_hi:[1,0]
	s_delay_alu instid0(VALU_DEP_1) | instskip(SKIP_1) | instid1(VALU_DEP_1)
	v_pk_fma_f32 v[106:107], v[108:109], v[252:253], v[104:105] neg_lo:[0,0,1] neg_hi:[0,0,1]
	v_pk_fma_f32 v[104:105], v[108:109], v[252:253], v[104:105] op_sel_hi:[1,0,1]
	v_mov_b32_e32 v107, v105
	s_wait_loadcnt_dscnt 0x101
	v_pk_mul_f32 v[104:105], v[110:111], v[254:255] op_sel:[1,1] op_sel_hi:[0,1]
	s_delay_alu instid0(VALU_DEP_2) | instskip(NEXT) | instid1(VALU_DEP_2)
	v_pk_add_f32 v[102:103], v[102:103], v[106:107]
	v_pk_fma_f32 v[106:107], v[110:111], v[254:255], v[104:105] neg_lo:[0,0,1] neg_hi:[0,0,1]
	v_pk_fma_f32 v[104:105], v[110:111], v[254:255], v[104:105] op_sel_hi:[1,0,1]
	s_delay_alu instid0(VALU_DEP_1) | instskip(SKIP_1) | instid1(VALU_DEP_2)
	v_dual_mov_b32 v104, v113 :: v_dual_mov_b32 v107, v105
	v_mov_b32_e32 v105, v112
	v_pk_add_f32 v[102:103], v[102:103], v[106:107]
	s_set_vgpr_msb 1                        ;  msbs: dst=0 src0=1 src1=0 src2=0
	v_mov_b32_e32 v106, v1 /*v257*/
	s_set_vgpr_msb 0                        ;  msbs: dst=0 src0=0 src1=0 src2=0
	s_delay_alu instid0(VALU_DEP_1) | instskip(SKIP_1) | instid1(VALU_DEP_1)
	v_pk_mul_f32 v[104:105], v[104:105], v[106:107] op_sel_hi:[1,0]
	s_set_vgpr_msb 4                        ;  msbs: dst=0 src0=0 src1=1 src2=0
	v_pk_fma_f32 v[106:107], v[112:113], v[0:1] /*v[256:257]*/, v[104:105] neg_lo:[0,0,1] neg_hi:[0,0,1]
	v_pk_fma_f32 v[104:105], v[112:113], v[0:1] /*v[256:257]*/, v[104:105] op_sel_hi:[1,0,1]
	s_delay_alu instid0(VALU_DEP_1) | instskip(SKIP_3) | instid1(VALU_DEP_2)
	v_mov_b32_e32 v107, v105
	s_wait_loadcnt_dscnt 0x0
	v_pk_mul_f32 v[104:105], v[114:115], v[2:3] /*v[258:259]*/ op_sel:[1,1] op_sel_hi:[0,1]
	s_set_vgpr_msb 0                        ;  msbs: dst=0 src0=0 src1=0 src2=0
	v_pk_add_f32 v[102:103], v[102:103], v[106:107]
	s_set_vgpr_msb 4                        ;  msbs: dst=0 src0=0 src1=1 src2=0
	s_delay_alu instid0(VALU_DEP_2) | instskip(SKIP_1) | instid1(VALU_DEP_1)
	v_pk_fma_f32 v[106:107], v[114:115], v[2:3] /*v[258:259]*/, v[104:105] neg_lo:[0,0,1] neg_hi:[0,0,1]
	v_pk_fma_f32 v[104:105], v[114:115], v[2:3] /*v[258:259]*/, v[104:105] op_sel_hi:[1,0,1]
	v_dual_mov_b32 v104, v117 :: v_dual_mov_b32 v107, v105
	v_mov_b32_e32 v105, v116
	s_set_vgpr_msb 0                        ;  msbs: dst=0 src0=0 src1=0 src2=0
	s_delay_alu instid0(VALU_DEP_2) | instskip(SKIP_3) | instid1(VALU_DEP_1)
	v_pk_add_f32 v[102:103], v[102:103], v[106:107]
	s_set_vgpr_msb 1                        ;  msbs: dst=0 src0=1 src1=0 src2=0
	v_mov_b32_e32 v106, v5 /*v261*/
	s_set_vgpr_msb 0                        ;  msbs: dst=0 src0=0 src1=0 src2=0
	v_pk_mul_f32 v[104:105], v[104:105], v[106:107] op_sel_hi:[1,0]
	s_set_vgpr_msb 4                        ;  msbs: dst=0 src0=0 src1=1 src2=0
	s_delay_alu instid0(VALU_DEP_1) | instskip(SKIP_1) | instid1(VALU_DEP_1)
	v_pk_fma_f32 v[106:107], v[116:117], v[4:5] /*v[260:261]*/, v[104:105] neg_lo:[0,0,1] neg_hi:[0,0,1]
	v_pk_fma_f32 v[104:105], v[116:117], v[4:5] /*v[260:261]*/, v[104:105] op_sel_hi:[1,0,1]
	v_mov_b32_e32 v107, v105
	scratch_load_b64 v[104:105], off, off offset:40
	s_set_vgpr_msb 0                        ;  msbs: dst=0 src0=0 src1=0 src2=0
	v_pk_add_f32 v[102:103], v[102:103], v[106:107]
	s_wait_loadcnt 0x0
	s_delay_alu instid0(VALU_DEP_1)
	v_pk_add_f32 v[102:103], v[104:105], v[102:103] neg_lo:[0,1] neg_hi:[0,1]
	scratch_store_b64 off, v[102:103], off offset:40
	s_wait_xcnt 0x0
	v_cmpx_lt_u32_e32 4, v0
	s_cbranch_execz .LBB49_305
; %bb.304:
	scratch_load_b64 v[102:103], off, off offset:32
	v_mov_b64_e32 v[104:105], 0
	scratch_store_b64 off, v[104:105], off offset:32
	s_wait_loadcnt 0x0
	ds_store_b64 v1, v[102:103]
.LBB49_305:
	s_wait_xcnt 0x0
	s_or_b32 exec_lo, exec_lo, s0
	s_wait_storecnt_dscnt 0x0
	s_barrier_signal -1
	s_barrier_wait -1
	s_clause 0xf
	scratch_load_b128 v[106:109], off, off offset:40
	scratch_load_b128 v[114:117], off, off offset:56
	;; [unrolled: 1-line block ×16, first 2 shown]
	v_mov_b32_e32 v7, 0
	s_clause 0x2
	scratch_load_b128 v[234:237], off, off offset:296
	scratch_load_b128 v[242:245], off, off offset:312
	;; [unrolled: 1-line block ×3, first 2 shown]
	s_mov_b32 s0, exec_lo
	ds_load_2addr_b64 v[102:105], v7 offset0:55 offset1:56
	ds_load_2addr_b64 v[110:113], v7 offset0:57 offset1:58
	s_wait_loadcnt_dscnt 0x1201
	v_dual_mul_f32 v9, v102, v107 :: v_dual_mul_f32 v11, v104, v109
	ds_load_2addr_b64 v[118:121], v7 offset0:59 offset1:60
	ds_load_2addr_b64 v[126:129], v7 offset0:61 offset1:62
	;; [unrolled: 1-line block ×4, first 2 shown]
	v_dual_fmac_f32 v9, v103, v106 :: v_dual_fmac_f32 v11, v105, v108
	ds_load_2addr_b64 v[134:137], v7 offset0:63 offset1:64
	ds_load_2addr_b64 v[142:145], v7 offset0:65 offset1:66
	;; [unrolled: 1-line block ×3, first 2 shown]
	v_add_f32_e32 v9, 0, v9
	ds_load_2addr_b64 v[150:153], v7 offset0:67 offset1:68
	ds_load_2addr_b64 v[158:161], v7 offset0:69 offset1:70
	;; [unrolled: 1-line block ×4, first 2 shown]
	v_add_f32_e32 v9, v9, v11
	s_wait_loadcnt_dscnt 0x110b
	v_mul_f32_e32 v11, v110, v115
	ds_load_2addr_b64 v[182:185], v7 offset0:75 offset1:76
	ds_load_2addr_b64 v[190:193], v7 offset0:77 offset1:78
	;; [unrolled: 1-line block ×4, first 2 shown]
	v_fmac_f32_e32 v11, v111, v114
	ds_load_2addr_b64 v[214:217], v7 offset0:83 offset1:84
	ds_load_2addr_b64 v[222:225], v7 offset0:85 offset1:86
	s_clause 0x4
	scratch_load_b128 v[254:257], off, off offset:344
	s_set_vgpr_msb 64                       ;  msbs: dst=1 src0=0 src1=0 src2=0
	scratch_load_b128 v[2:5] /*v[258:261]*/, off, off offset:360
	scratch_load_b128 v[6:9] /*v[262:265]*/, off, off offset:376
	scratch_load_b64 v[16:17] /*v[272:273]*/, off, off offset:392
	s_wait_loadcnt_dscnt 0x50d
	v_mul_f32_e32 v13 /*v269*/, v240, v245
	s_set_vgpr_msb 0                        ;  msbs: dst=0 src0=0 src1=0 src2=0
	v_dual_add_f32 v9, v9, v11 :: v_dual_mul_f32 v11, v112, v117
	s_wait_loadcnt_dscnt 0x40a
	s_set_vgpr_msb 64                       ;  msbs: dst=1 src0=0 src1=0 src2=0
	v_dual_mul_f32 v15 /*v271*/, v246, v251 :: v_dual_fmac_f32 v13 /*v269*/, v241, v244
	s_set_vgpr_msb 0                        ;  msbs: dst=0 src0=0 src1=0 src2=0
	v_fmac_f32_e32 v11, v113, v116
	s_delay_alu instid0(VALU_DEP_1) | instskip(SKIP_1) | instid1(VALU_DEP_1)
	v_add_f32_e32 v9, v9, v11
	v_mul_f32_e32 v11, v118, v123
	v_fmac_f32_e32 v11, v119, v122
	s_delay_alu instid0(VALU_DEP_1) | instskip(NEXT) | instid1(VALU_DEP_1)
	v_dual_add_f32 v9, v9, v11 :: v_dual_mul_f32 v11, v120, v125
	v_fmac_f32_e32 v11, v121, v124
	s_delay_alu instid0(VALU_DEP_1) | instskip(SKIP_1) | instid1(VALU_DEP_1)
	v_add_f32_e32 v9, v9, v11
	v_mul_f32_e32 v11, v126, v131
	v_fmac_f32_e32 v11, v127, v130
	s_delay_alu instid0(VALU_DEP_1) | instskip(NEXT) | instid1(VALU_DEP_1)
	v_dual_add_f32 v9, v9, v11 :: v_dual_mul_f32 v11, v128, v133
	;; [unrolled: 7-line block ×4, first 2 shown]
	v_fmac_f32_e32 v11, v145, v148
	s_delay_alu instid0(VALU_DEP_1) | instskip(SKIP_2) | instid1(VALU_DEP_1)
	v_add_f32_e32 v9, v9, v11
	s_wait_dscnt 0x9
	v_mul_f32_e32 v11, v150, v155
	v_fmac_f32_e32 v11, v151, v154
	s_delay_alu instid0(VALU_DEP_1) | instskip(NEXT) | instid1(VALU_DEP_1)
	v_dual_add_f32 v9, v9, v11 :: v_dual_mul_f32 v11, v152, v157
	v_fmac_f32_e32 v11, v153, v156
	s_delay_alu instid0(VALU_DEP_1) | instskip(SKIP_2) | instid1(VALU_DEP_1)
	v_add_f32_e32 v9, v9, v11
	s_wait_dscnt 0x8
	v_mul_f32_e32 v11, v158, v163
	v_fmac_f32_e32 v11, v159, v162
	s_delay_alu instid0(VALU_DEP_1) | instskip(NEXT) | instid1(VALU_DEP_1)
	v_dual_add_f32 v9, v9, v11 :: v_dual_mul_f32 v11, v160, v165
	;; [unrolled: 8-line block ×10, first 2 shown]
	v_fmac_f32_e32 v11, v225, v228
	s_delay_alu instid0(VALU_DEP_1) | instskip(SKIP_1) | instid1(VALU_DEP_1)
	v_add_f32_e32 v9, v9, v11
	v_mul_f32_e32 v11, v230, v235
	v_fmac_f32_e32 v11, v231, v234
	s_delay_alu instid0(VALU_DEP_1) | instskip(NEXT) | instid1(VALU_DEP_1)
	v_dual_add_f32 v9, v9, v11 :: v_dual_mul_f32 v11, v232, v237
	v_fmac_f32_e32 v11, v233, v236
	s_delay_alu instid0(VALU_DEP_1) | instskip(SKIP_1) | instid1(VALU_DEP_1)
	v_add_f32_e32 v9, v9, v11
	v_mul_f32_e32 v11, v238, v243
	v_fmac_f32_e32 v11, v239, v242
	s_set_vgpr_msb 64                       ;  msbs: dst=1 src0=0 src1=0 src2=0
	s_delay_alu instid0(VALU_DEP_1) | instskip(SKIP_2) | instid1(VALU_DEP_1)
	v_add_f32_e32 v11 /*v267*/, v9, v11
	s_set_vgpr_msb 0                        ;  msbs: dst=0 src0=0 src1=0 src2=0
	v_dual_mul_f32 v9, v103, v107 :: v_dual_mul_f32 v11, v105, v109
	v_dual_fma_f32 v9, v102, v106, -v9 :: v_dual_fma_f32 v11, v104, v108, -v11
	s_delay_alu instid0(VALU_DEP_1) | instskip(NEXT) | instid1(VALU_DEP_1)
	v_add_f32_e32 v9, 0, v9
	v_add_f32_e32 v9, v9, v11
	v_mul_f32_e32 v11, v111, v115
	s_delay_alu instid0(VALU_DEP_1) | instskip(NEXT) | instid1(VALU_DEP_1)
	v_fma_f32 v11, v110, v114, -v11
	v_add_f32_e32 v9, v9, v11
	v_mul_f32_e32 v11, v113, v117
	s_delay_alu instid0(VALU_DEP_1)
	v_fma_f32 v11, v112, v116, -v11
	ds_load_2addr_b64 v[102:105], v7 offset0:93 offset1:94
	ds_load_2addr_b64 v[106:109], v7 offset0:95 offset1:96
	;; [unrolled: 1-line block ×3, first 2 shown]
	ds_load_b64 v[114:115], v7 offset:792
	v_add_f32_e32 v9, v9, v11
	v_dual_mul_f32 v11, v119, v123 :: v_dual_mov_b32 v119, v248
	s_delay_alu instid0(VALU_DEP_1) | instskip(NEXT) | instid1(VALU_DEP_1)
	v_dual_fma_f32 v11, v118, v122, -v11 :: v_dual_mov_b32 v118, v249
	v_add_f32_e32 v9, v9, v11
	v_mul_f32_e32 v11, v121, v125
	s_delay_alu instid0(VALU_DEP_1) | instskip(NEXT) | instid1(VALU_DEP_1)
	v_dual_fma_f32 v11, v120, v124, -v11 :: v_dual_mov_b32 v120, v253
	v_add_f32_e32 v9, v9, v11
	v_mul_f32_e32 v11, v127, v131
	s_delay_alu instid0(VALU_DEP_3) | instskip(NEXT) | instid1(VALU_DEP_2)
	v_pk_mul_f32 v[118:119], v[118:119], v[120:121] op_sel_hi:[1,0]
	v_fma_f32 v11, v126, v130, -v11
	s_delay_alu instid0(VALU_DEP_2) | instskip(SKIP_1) | instid1(VALU_DEP_3)
	v_pk_fma_f32 v[120:121], v[248:249], v[252:253], v[118:119] neg_lo:[0,0,1] neg_hi:[0,0,1]
	v_pk_fma_f32 v[118:119], v[248:249], v[252:253], v[118:119] op_sel_hi:[1,0,1]
	v_add_f32_e32 v9, v9, v11
	s_delay_alu instid0(VALU_DEP_2) | instskip(SKIP_2) | instid1(VALU_DEP_2)
	v_dual_mul_f32 v11, v129, v133 :: v_dual_mov_b32 v121, v119
	s_wait_loadcnt_dscnt 0x303
	v_pk_mul_f32 v[118:119], v[102:103], v[254:255] op_sel:[1,1] op_sel_hi:[0,1]
	v_fma_f32 v11, v128, v132, -v11
	s_delay_alu instid0(VALU_DEP_1) | instskip(SKIP_1) | instid1(VALU_DEP_1)
	v_add_f32_e32 v9, v9, v11
	v_mul_f32_e32 v11, v135, v139
	v_fma_f32 v11, v134, v138, -v11
	s_delay_alu instid0(VALU_DEP_1) | instskip(SKIP_1) | instid1(VALU_DEP_1)
	v_add_f32_e32 v9, v9, v11
	v_mul_f32_e32 v11, v137, v141
	v_fma_f32 v11, v136, v140, -v11
	s_delay_alu instid0(VALU_DEP_1) | instskip(SKIP_1) | instid1(VALU_DEP_1)
	v_add_f32_e32 v9, v9, v11
	v_mul_f32_e32 v11, v143, v147
	v_fma_f32 v11, v142, v146, -v11
	s_delay_alu instid0(VALU_DEP_1) | instskip(SKIP_1) | instid1(VALU_DEP_1)
	v_add_f32_e32 v9, v9, v11
	v_mul_f32_e32 v11, v145, v149
	v_fma_f32 v11, v144, v148, -v11
	s_delay_alu instid0(VALU_DEP_1) | instskip(SKIP_1) | instid1(VALU_DEP_1)
	v_add_f32_e32 v9, v9, v11
	v_mul_f32_e32 v11, v151, v155
	v_fma_f32 v11, v150, v154, -v11
	s_delay_alu instid0(VALU_DEP_1) | instskip(SKIP_1) | instid1(VALU_DEP_1)
	v_add_f32_e32 v9, v9, v11
	v_mul_f32_e32 v11, v153, v157
	v_fma_f32 v11, v152, v156, -v11
	s_delay_alu instid0(VALU_DEP_1) | instskip(SKIP_1) | instid1(VALU_DEP_1)
	v_add_f32_e32 v9, v9, v11
	v_mul_f32_e32 v11, v159, v163
	v_fma_f32 v11, v158, v162, -v11
	s_delay_alu instid0(VALU_DEP_1) | instskip(SKIP_1) | instid1(VALU_DEP_1)
	v_add_f32_e32 v9, v9, v11
	v_mul_f32_e32 v11, v161, v165
	v_fma_f32 v11, v160, v164, -v11
	s_delay_alu instid0(VALU_DEP_1) | instskip(SKIP_1) | instid1(VALU_DEP_1)
	v_add_f32_e32 v9, v9, v11
	v_mul_f32_e32 v11, v167, v171
	v_fma_f32 v11, v166, v170, -v11
	s_delay_alu instid0(VALU_DEP_1) | instskip(SKIP_1) | instid1(VALU_DEP_1)
	v_add_f32_e32 v9, v9, v11
	v_mul_f32_e32 v11, v169, v173
	v_fma_f32 v11, v168, v172, -v11
	s_delay_alu instid0(VALU_DEP_1) | instskip(SKIP_1) | instid1(VALU_DEP_1)
	v_add_f32_e32 v9, v9, v11
	v_mul_f32_e32 v11, v175, v179
	v_fma_f32 v11, v174, v178, -v11
	s_delay_alu instid0(VALU_DEP_1) | instskip(SKIP_1) | instid1(VALU_DEP_1)
	v_add_f32_e32 v9, v9, v11
	v_mul_f32_e32 v11, v177, v181
	v_fma_f32 v11, v176, v180, -v11
	s_delay_alu instid0(VALU_DEP_1) | instskip(SKIP_1) | instid1(VALU_DEP_1)
	v_add_f32_e32 v9, v9, v11
	v_mul_f32_e32 v11, v183, v187
	v_fma_f32 v11, v182, v186, -v11
	s_delay_alu instid0(VALU_DEP_1) | instskip(SKIP_1) | instid1(VALU_DEP_1)
	v_add_f32_e32 v9, v9, v11
	v_mul_f32_e32 v11, v185, v189
	v_fma_f32 v11, v184, v188, -v11
	s_delay_alu instid0(VALU_DEP_1) | instskip(SKIP_1) | instid1(VALU_DEP_1)
	v_add_f32_e32 v9, v9, v11
	v_mul_f32_e32 v11, v191, v195
	v_fma_f32 v11, v190, v194, -v11
	s_delay_alu instid0(VALU_DEP_1) | instskip(SKIP_1) | instid1(VALU_DEP_1)
	v_add_f32_e32 v9, v9, v11
	v_mul_f32_e32 v11, v193, v197
	v_fma_f32 v11, v192, v196, -v11
	s_delay_alu instid0(VALU_DEP_1) | instskip(SKIP_1) | instid1(VALU_DEP_1)
	v_add_f32_e32 v9, v9, v11
	v_mul_f32_e32 v11, v199, v203
	v_fma_f32 v11, v198, v202, -v11
	s_delay_alu instid0(VALU_DEP_1) | instskip(SKIP_1) | instid1(VALU_DEP_1)
	v_add_f32_e32 v9, v9, v11
	v_mul_f32_e32 v11, v201, v205
	v_fma_f32 v11, v200, v204, -v11
	s_delay_alu instid0(VALU_DEP_1) | instskip(SKIP_1) | instid1(VALU_DEP_1)
	v_add_f32_e32 v9, v9, v11
	v_mul_f32_e32 v11, v207, v211
	v_fma_f32 v11, v206, v210, -v11
	s_delay_alu instid0(VALU_DEP_1) | instskip(SKIP_1) | instid1(VALU_DEP_1)
	v_add_f32_e32 v9, v9, v11
	v_mul_f32_e32 v11, v209, v213
	v_fma_f32 v11, v208, v212, -v11
	s_delay_alu instid0(VALU_DEP_1) | instskip(SKIP_1) | instid1(VALU_DEP_1)
	v_add_f32_e32 v9, v9, v11
	v_mul_f32_e32 v11, v215, v219
	v_fma_f32 v11, v214, v218, -v11
	s_delay_alu instid0(VALU_DEP_1) | instskip(SKIP_1) | instid1(VALU_DEP_1)
	v_add_f32_e32 v9, v9, v11
	v_mul_f32_e32 v11, v217, v221
	v_fma_f32 v11, v216, v220, -v11
	s_delay_alu instid0(VALU_DEP_1) | instskip(SKIP_1) | instid1(VALU_DEP_1)
	v_add_f32_e32 v9, v9, v11
	v_mul_f32_e32 v11, v223, v227
	v_fma_f32 v11, v222, v226, -v11
	s_delay_alu instid0(VALU_DEP_1) | instskip(SKIP_1) | instid1(VALU_DEP_1)
	v_add_f32_e32 v9, v9, v11
	v_mul_f32_e32 v11, v225, v229
	v_fma_f32 v11, v224, v228, -v11
	s_delay_alu instid0(VALU_DEP_1) | instskip(SKIP_1) | instid1(VALU_DEP_1)
	v_add_f32_e32 v9, v9, v11
	v_mul_f32_e32 v11, v231, v235
	v_fma_f32 v11, v230, v234, -v11
	s_delay_alu instid0(VALU_DEP_1) | instskip(SKIP_1) | instid1(VALU_DEP_1)
	v_add_f32_e32 v9, v9, v11
	v_mul_f32_e32 v11, v233, v237
	v_fma_f32 v11, v232, v236, -v11
	s_delay_alu instid0(VALU_DEP_1) | instskip(SKIP_1) | instid1(VALU_DEP_1)
	v_add_f32_e32 v9, v9, v11
	v_mul_f32_e32 v11, v239, v243
	v_fma_f32 v11, v238, v242, -v11
	s_set_vgpr_msb 64                       ;  msbs: dst=1 src0=0 src1=0 src2=0
	s_delay_alu instid0(VALU_DEP_1) | instskip(SKIP_3) | instid1(VALU_DEP_1)
	v_dual_fmac_f32 v15 /*v271*/, v247, v250 :: v_dual_add_f32 v10 /*v266*/, v9, v11
	s_set_vgpr_msb 0                        ;  msbs: dst=0 src0=0 src1=0 src2=0
	v_mul_f32_e32 v9, v241, v245
	s_set_vgpr_msb 64                       ;  msbs: dst=1 src0=0 src1=0 src2=0
	v_fma_f32 v12 /*v268*/, v240, v244, -v9
	s_set_vgpr_msb 0                        ;  msbs: dst=0 src0=0 src1=0 src2=0
	v_mul_f32_e32 v9, v247, v251
	s_set_vgpr_msb 64                       ;  msbs: dst=1 src0=0 src1=0 src2=0
	s_delay_alu instid0(VALU_DEP_1) | instskip(SKIP_3) | instid1(VALU_DEP_1)
	v_fma_f32 v14 /*v270*/, v246, v250, -v9
	s_set_vgpr_msb 5                        ;  msbs: dst=0 src0=1 src1=1 src2=0
	v_pk_add_f32 v[116:117], v[10:11] /*v[266:267]*/, v[12:13] /*v[268:269]*/
	s_set_vgpr_msb 4                        ;  msbs: dst=0 src0=0 src1=1 src2=0
	v_pk_add_f32 v[116:117], v[116:117], v[14:15] /*v[270:271]*/
	s_set_vgpr_msb 0                        ;  msbs: dst=0 src0=0 src1=0 src2=0
	s_delay_alu instid0(VALU_DEP_1)
	v_pk_add_f32 v[116:117], v[116:117], v[120:121]
	v_pk_fma_f32 v[120:121], v[102:103], v[254:255], v[118:119] neg_lo:[0,0,1] neg_hi:[0,0,1]
	v_pk_fma_f32 v[102:103], v[102:103], v[254:255], v[118:119] op_sel_hi:[1,0,1]
	s_set_vgpr_msb 1                        ;  msbs: dst=0 src0=1 src1=0 src2=0
	v_mov_b32_e32 v118, v1 /*v257*/
	s_set_vgpr_msb 0                        ;  msbs: dst=0 src0=0 src1=0 src2=0
	s_delay_alu instid0(VALU_DEP_2) | instskip(NEXT) | instid1(VALU_DEP_1)
	v_mov_b32_e32 v121, v103
	v_pk_add_f32 v[102:103], v[116:117], v[120:121]
	v_dual_mov_b32 v116, v105 :: v_dual_mov_b32 v117, v104
	s_delay_alu instid0(VALU_DEP_1) | instskip(SKIP_1) | instid1(VALU_DEP_1)
	v_pk_mul_f32 v[116:117], v[116:117], v[118:119] op_sel_hi:[1,0]
	s_set_vgpr_msb 4                        ;  msbs: dst=0 src0=0 src1=1 src2=0
	v_pk_fma_f32 v[118:119], v[104:105], v[0:1] /*v[256:257]*/, v[116:117] neg_lo:[0,0,1] neg_hi:[0,0,1]
	v_pk_fma_f32 v[104:105], v[104:105], v[0:1] /*v[256:257]*/, v[116:117] op_sel_hi:[1,0,1]
	s_delay_alu instid0(VALU_DEP_1) | instskip(SKIP_3) | instid1(VALU_DEP_2)
	v_mov_b32_e32 v119, v105
	s_wait_loadcnt_dscnt 0x202
	v_pk_mul_f32 v[104:105], v[106:107], v[2:3] /*v[258:259]*/ op_sel:[1,1] op_sel_hi:[0,1]
	s_set_vgpr_msb 0                        ;  msbs: dst=0 src0=0 src1=0 src2=0
	v_pk_add_f32 v[102:103], v[102:103], v[118:119]
	s_set_vgpr_msb 4                        ;  msbs: dst=0 src0=0 src1=1 src2=0
	s_delay_alu instid0(VALU_DEP_2)
	v_pk_fma_f32 v[116:117], v[106:107], v[2:3] /*v[258:259]*/, v[104:105] neg_lo:[0,0,1] neg_hi:[0,0,1]
	v_pk_fma_f32 v[104:105], v[106:107], v[2:3] /*v[258:259]*/, v[104:105] op_sel_hi:[1,0,1]
	v_mov_b32_e32 v104, v109
	s_set_vgpr_msb 1                        ;  msbs: dst=0 src0=1 src1=0 src2=0
	v_mov_b32_e32 v106, v5 /*v261*/
	s_set_vgpr_msb 0                        ;  msbs: dst=0 src0=0 src1=0 src2=0
	v_dual_mov_b32 v117, v105 :: v_dual_mov_b32 v105, v108
	s_delay_alu instid0(VALU_DEP_1) | instskip(NEXT) | instid1(VALU_DEP_2)
	v_pk_add_f32 v[102:103], v[102:103], v[116:117]
	v_pk_mul_f32 v[104:105], v[104:105], v[106:107] op_sel_hi:[1,0]
	s_set_vgpr_msb 4                        ;  msbs: dst=0 src0=0 src1=1 src2=0
	s_delay_alu instid0(VALU_DEP_1) | instskip(SKIP_1) | instid1(VALU_DEP_1)
	v_pk_fma_f32 v[106:107], v[108:109], v[4:5] /*v[260:261]*/, v[104:105] neg_lo:[0,0,1] neg_hi:[0,0,1]
	v_pk_fma_f32 v[104:105], v[108:109], v[4:5] /*v[260:261]*/, v[104:105] op_sel_hi:[1,0,1]
	v_mov_b32_e32 v107, v105
	s_wait_loadcnt_dscnt 0x101
	v_pk_mul_f32 v[104:105], v[110:111], v[6:7] /*v[262:263]*/ op_sel:[1,1] op_sel_hi:[0,1]
	s_set_vgpr_msb 0                        ;  msbs: dst=0 src0=0 src1=0 src2=0
	s_delay_alu instid0(VALU_DEP_2) | instskip(SKIP_1) | instid1(VALU_DEP_2)
	v_pk_add_f32 v[102:103], v[102:103], v[106:107]
	s_set_vgpr_msb 4                        ;  msbs: dst=0 src0=0 src1=1 src2=0
	v_pk_fma_f32 v[106:107], v[110:111], v[6:7] /*v[262:263]*/, v[104:105] neg_lo:[0,0,1] neg_hi:[0,0,1]
	v_pk_fma_f32 v[104:105], v[110:111], v[6:7] /*v[262:263]*/, v[104:105] op_sel_hi:[1,0,1]
	s_delay_alu instid0(VALU_DEP_1) | instskip(SKIP_2) | instid1(VALU_DEP_2)
	v_dual_mov_b32 v104, v113 :: v_dual_mov_b32 v107, v105
	v_mov_b32_e32 v105, v112
	s_set_vgpr_msb 0                        ;  msbs: dst=0 src0=0 src1=0 src2=0
	v_pk_add_f32 v[102:103], v[102:103], v[106:107]
	s_set_vgpr_msb 1                        ;  msbs: dst=0 src0=1 src1=0 src2=0
	v_mov_b32_e32 v106, v9 /*v265*/
	s_set_vgpr_msb 0                        ;  msbs: dst=0 src0=0 src1=0 src2=0
	s_delay_alu instid0(VALU_DEP_1) | instskip(SKIP_1) | instid1(VALU_DEP_1)
	v_pk_mul_f32 v[104:105], v[104:105], v[106:107] op_sel_hi:[1,0]
	s_set_vgpr_msb 4                        ;  msbs: dst=0 src0=0 src1=1 src2=0
	v_pk_fma_f32 v[106:107], v[112:113], v[8:9] /*v[264:265]*/, v[104:105] neg_lo:[0,0,1] neg_hi:[0,0,1]
	v_pk_fma_f32 v[104:105], v[112:113], v[8:9] /*v[264:265]*/, v[104:105] op_sel_hi:[1,0,1]
	s_delay_alu instid0(VALU_DEP_1) | instskip(SKIP_3) | instid1(VALU_DEP_2)
	v_mov_b32_e32 v107, v105
	s_wait_loadcnt_dscnt 0x0
	v_pk_mul_f32 v[104:105], v[114:115], v[16:17] /*v[272:273]*/ op_sel:[1,1] op_sel_hi:[0,1]
	s_set_vgpr_msb 0                        ;  msbs: dst=0 src0=0 src1=0 src2=0
	v_pk_add_f32 v[102:103], v[102:103], v[106:107]
	s_set_vgpr_msb 4                        ;  msbs: dst=0 src0=0 src1=1 src2=0
	s_delay_alu instid0(VALU_DEP_2) | instskip(SKIP_1) | instid1(VALU_DEP_1)
	v_pk_fma_f32 v[106:107], v[114:115], v[16:17] /*v[272:273]*/, v[104:105] neg_lo:[0,0,1] neg_hi:[0,0,1]
	v_pk_fma_f32 v[104:105], v[114:115], v[16:17] /*v[272:273]*/, v[104:105] op_sel_hi:[1,0,1]
	v_mov_b32_e32 v107, v105
	scratch_load_b64 v[104:105], off, off offset:32
	s_set_vgpr_msb 0                        ;  msbs: dst=0 src0=0 src1=0 src2=0
	v_pk_add_f32 v[102:103], v[102:103], v[106:107]
	s_wait_loadcnt 0x0
	s_delay_alu instid0(VALU_DEP_1)
	v_pk_add_f32 v[102:103], v[104:105], v[102:103] neg_lo:[0,1] neg_hi:[0,1]
	scratch_store_b64 off, v[102:103], off offset:32
	s_wait_xcnt 0x0
	v_cmpx_lt_u32_e32 3, v0
	s_cbranch_execz .LBB49_307
; %bb.306:
	scratch_load_b64 v[102:103], off, off offset:24
	v_mov_b64_e32 v[104:105], 0
	scratch_store_b64 off, v[104:105], off offset:24
	s_wait_loadcnt 0x0
	ds_store_b64 v1, v[102:103]
.LBB49_307:
	s_wait_xcnt 0x0
	s_or_b32 exec_lo, exec_lo, s0
	s_wait_storecnt_dscnt 0x0
	s_barrier_signal -1
	s_barrier_wait -1
	ds_load_b128 v[102:105], v7 offset:432
	ds_load_b128 v[106:109], v7 offset:448
	;; [unrolled: 1-line block ×4, first 2 shown]
	s_clause 0x12
	scratch_load_b128 v[118:121], off, off offset:32
	scratch_load_b128 v[122:125], off, off offset:48
	;; [unrolled: 1-line block ×19, first 2 shown]
	ds_load_b128 v[134:137], v7 offset:496
	ds_load_b128 v[142:145], v7 offset:512
	;; [unrolled: 1-line block ×15, first 2 shown]
	s_clause 0x4
	scratch_load_b128 v[254:257], off, off offset:336
	s_set_vgpr_msb 64                       ;  msbs: dst=1 src0=0 src1=0 src2=0
	scratch_load_b128 v[2:5] /*v[258:261]*/, off, off offset:352
	scratch_load_b128 v[6:9] /*v[262:265]*/, off, off offset:368
	;; [unrolled: 1-line block ×3, first 2 shown]
	s_mov_b32 s0, exec_lo
	s_wait_loadcnt_dscnt 0x1612
	s_set_vgpr_msb 0                        ;  msbs: dst=0 src0=0 src1=0 src2=0
	v_dual_mul_f32 v9, v102, v119 :: v_dual_mul_f32 v11, v104, v121
	s_delay_alu instid0(VALU_DEP_1) | instskip(NEXT) | instid1(VALU_DEP_1)
	v_dual_fmac_f32 v9, v103, v118 :: v_dual_fmac_f32 v11, v105, v120
	v_add_f32_e32 v9, 0, v9
	s_delay_alu instid0(VALU_DEP_1)
	v_add_f32_e32 v9, v9, v11
	s_wait_loadcnt_dscnt 0x1511
	v_mul_f32_e32 v11, v106, v123
	s_wait_loadcnt_dscnt 0x40c
	s_set_vgpr_msb 64                       ;  msbs: dst=1 src0=0 src1=0 src2=0
	v_dual_mul_f32 v17 /*v273*/, v246, v251 :: v_dual_mul_f32 v19 /*v275*/, v248, v253
	s_set_vgpr_msb 0                        ;  msbs: dst=0 src0=0 src1=0 src2=0
	v_fmac_f32_e32 v11, v107, v122
	s_set_vgpr_msb 64                       ;  msbs: dst=1 src0=0 src1=0 src2=0
	s_delay_alu instid0(VALU_DEP_2) | instskip(SKIP_1) | instid1(VALU_DEP_2)
	v_dual_fmac_f32 v17 /*v273*/, v247, v250 :: v_dual_fmac_f32 v19 /*v275*/, v249, v252
	s_set_vgpr_msb 0                        ;  msbs: dst=0 src0=0 src1=0 src2=0
	v_dual_add_f32 v9, v9, v11 :: v_dual_mul_f32 v11, v108, v125
	s_delay_alu instid0(VALU_DEP_1) | instskip(NEXT) | instid1(VALU_DEP_1)
	v_fmac_f32_e32 v11, v109, v124
	v_add_f32_e32 v9, v9, v11
	v_mul_f32_e32 v11, v110, v127
	s_delay_alu instid0(VALU_DEP_1) | instskip(NEXT) | instid1(VALU_DEP_1)
	v_fmac_f32_e32 v11, v111, v126
	v_dual_add_f32 v9, v9, v11 :: v_dual_mul_f32 v11, v112, v129
	s_delay_alu instid0(VALU_DEP_1) | instskip(NEXT) | instid1(VALU_DEP_1)
	v_fmac_f32_e32 v11, v113, v128
	v_add_f32_e32 v9, v9, v11
	v_mul_f32_e32 v11, v114, v131
	s_delay_alu instid0(VALU_DEP_1) | instskip(NEXT) | instid1(VALU_DEP_1)
	v_fmac_f32_e32 v11, v115, v130
	;; [unrolled: 7-line block ×4, first 2 shown]
	v_dual_add_f32 v9, v9, v11 :: v_dual_mul_f32 v11, v144, v149
	s_delay_alu instid0(VALU_DEP_1) | instskip(NEXT) | instid1(VALU_DEP_1)
	v_fmac_f32_e32 v11, v145, v148
	v_add_f32_e32 v9, v9, v11
	s_wait_dscnt 0xb
	v_mul_f32_e32 v11, v150, v155
	s_delay_alu instid0(VALU_DEP_1) | instskip(NEXT) | instid1(VALU_DEP_1)
	v_fmac_f32_e32 v11, v151, v154
	v_dual_add_f32 v9, v9, v11 :: v_dual_mul_f32 v11, v152, v157
	s_delay_alu instid0(VALU_DEP_1) | instskip(NEXT) | instid1(VALU_DEP_1)
	v_fmac_f32_e32 v11, v153, v156
	v_add_f32_e32 v9, v9, v11
	s_wait_dscnt 0xa
	v_mul_f32_e32 v11, v158, v163
	s_delay_alu instid0(VALU_DEP_1) | instskip(NEXT) | instid1(VALU_DEP_1)
	v_fmac_f32_e32 v11, v159, v162
	;; [unrolled: 8-line block ×12, first 2 shown]
	v_dual_add_f32 v9, v9, v11 :: v_dual_mul_f32 v11, v240, v245
	s_delay_alu instid0(VALU_DEP_1) | instskip(SKIP_1) | instid1(VALU_DEP_1)
	v_fmac_f32_e32 v11, v241, v244
	s_set_vgpr_msb 64                       ;  msbs: dst=1 src0=0 src1=0 src2=0
	v_add_f32_e32 v15 /*v271*/, v9, v11
	s_set_vgpr_msb 0                        ;  msbs: dst=0 src0=0 src1=0 src2=0
	v_dual_mul_f32 v9, v103, v119 :: v_dual_mul_f32 v11, v105, v121
	s_delay_alu instid0(VALU_DEP_1) | instskip(NEXT) | instid1(VALU_DEP_1)
	v_dual_fma_f32 v9, v102, v118, -v9 :: v_dual_fma_f32 v11, v104, v120, -v11
	v_add_f32_e32 v9, 0, v9
	s_delay_alu instid0(VALU_DEP_1) | instskip(SKIP_1) | instid1(VALU_DEP_1)
	v_add_f32_e32 v9, v9, v11
	v_mul_f32_e32 v11, v107, v123
	v_fma_f32 v11, v106, v122, -v11
	s_delay_alu instid0(VALU_DEP_1) | instskip(SKIP_1) | instid1(VALU_DEP_1)
	v_add_f32_e32 v9, v9, v11
	v_mul_f32_e32 v11, v109, v125
	v_fma_f32 v11, v108, v124, -v11
	;; [unrolled: 4-line block ×6, first 2 shown]
	ds_load_b128 v[102:105], v7 offset:736
	ds_load_b128 v[106:109], v7 offset:752
	;; [unrolled: 1-line block ×4, first 2 shown]
	v_add_f32_e32 v9, v9, v11
	v_mul_f32_e32 v11, v135, v139
	s_delay_alu instid0(VALU_DEP_1) | instskip(NEXT) | instid1(VALU_DEP_1)
	v_fma_f32 v11, v134, v138, -v11
	v_add_f32_e32 v9, v9, v11
	v_mul_f32_e32 v11, v137, v141
	s_wait_loadcnt_dscnt 0x303
	v_pk_mul_f32 v[120:121], v[102:103], v[254:255] op_sel:[1,1] op_sel_hi:[0,1]
	s_delay_alu instid0(VALU_DEP_2) | instskip(NEXT) | instid1(VALU_DEP_2)
	v_fma_f32 v11, v136, v140, -v11
	v_pk_fma_f32 v[122:123], v[102:103], v[254:255], v[120:121] neg_lo:[0,0,1] neg_hi:[0,0,1]
	v_pk_fma_f32 v[102:103], v[102:103], v[254:255], v[120:121] op_sel_hi:[1,0,1]
	s_set_vgpr_msb 1                        ;  msbs: dst=0 src0=1 src1=0 src2=0
	v_mov_b32_e32 v120, v1 /*v257*/
	s_set_vgpr_msb 0                        ;  msbs: dst=0 src0=0 src1=0 src2=0
	v_add_f32_e32 v9, v9, v11
	v_mul_f32_e32 v11, v143, v147
	s_delay_alu instid0(VALU_DEP_1) | instskip(NEXT) | instid1(VALU_DEP_1)
	v_dual_mov_b32 v123, v103 :: v_dual_fma_f32 v11, v142, v146, -v11
	v_add_f32_e32 v9, v9, v11
	v_mul_f32_e32 v11, v145, v149
	s_delay_alu instid0(VALU_DEP_1) | instskip(NEXT) | instid1(VALU_DEP_1)
	v_fma_f32 v11, v144, v148, -v11
	v_add_f32_e32 v9, v9, v11
	v_mul_f32_e32 v11, v151, v155
	s_delay_alu instid0(VALU_DEP_1) | instskip(NEXT) | instid1(VALU_DEP_1)
	v_fma_f32 v11, v150, v154, -v11
	;; [unrolled: 4-line block ×24, first 2 shown]
	v_add_f32_e32 v9, v9, v11
	v_mul_f32_e32 v11, v241, v245
	s_delay_alu instid0(VALU_DEP_1) | instskip(SKIP_1) | instid1(VALU_DEP_1)
	v_fma_f32 v11, v240, v244, -v11
	s_set_vgpr_msb 64                       ;  msbs: dst=1 src0=0 src1=0 src2=0
	v_add_f32_e32 v14 /*v270*/, v9, v11
	s_set_vgpr_msb 0                        ;  msbs: dst=0 src0=0 src1=0 src2=0
	v_mul_f32_e32 v9, v247, v251
	s_set_vgpr_msb 64                       ;  msbs: dst=1 src0=0 src1=0 src2=0
	s_delay_alu instid0(VALU_DEP_1) | instskip(SKIP_3) | instid1(VALU_DEP_2)
	v_fma_f32 v16 /*v272*/, v246, v250, -v9
	s_set_vgpr_msb 0                        ;  msbs: dst=0 src0=0 src1=0 src2=0
	v_mul_f32_e32 v9, v249, v253
	s_set_vgpr_msb 5                        ;  msbs: dst=0 src0=1 src1=1 src2=0
	v_pk_add_f32 v[118:119], v[14:15] /*v[270:271]*/, v[16:17] /*v[272:273]*/
	s_set_vgpr_msb 64                       ;  msbs: dst=1 src0=0 src1=0 src2=0
	s_delay_alu instid0(VALU_DEP_2) | instskip(SKIP_1) | instid1(VALU_DEP_1)
	v_fma_f32 v18 /*v274*/, v248, v252, -v9
	s_set_vgpr_msb 4                        ;  msbs: dst=0 src0=0 src1=1 src2=0
	v_pk_add_f32 v[118:119], v[118:119], v[18:19] /*v[274:275]*/
	s_set_vgpr_msb 0                        ;  msbs: dst=0 src0=0 src1=0 src2=0
	s_delay_alu instid0(VALU_DEP_1) | instskip(SKIP_1) | instid1(VALU_DEP_1)
	v_pk_add_f32 v[102:103], v[118:119], v[122:123]
	v_dual_mov_b32 v118, v105 :: v_dual_mov_b32 v119, v104
	v_pk_mul_f32 v[118:119], v[118:119], v[120:121] op_sel_hi:[1,0]
	s_set_vgpr_msb 4                        ;  msbs: dst=0 src0=0 src1=1 src2=0
	s_delay_alu instid0(VALU_DEP_1) | instskip(SKIP_1) | instid1(VALU_DEP_1)
	v_pk_fma_f32 v[120:121], v[104:105], v[0:1] /*v[256:257]*/, v[118:119] neg_lo:[0,0,1] neg_hi:[0,0,1]
	v_pk_fma_f32 v[104:105], v[104:105], v[0:1] /*v[256:257]*/, v[118:119] op_sel_hi:[1,0,1]
	v_mov_b32_e32 v121, v105
	s_wait_loadcnt_dscnt 0x202
	v_pk_mul_f32 v[104:105], v[106:107], v[2:3] /*v[258:259]*/ op_sel:[1,1] op_sel_hi:[0,1]
	s_set_vgpr_msb 0                        ;  msbs: dst=0 src0=0 src1=0 src2=0
	s_delay_alu instid0(VALU_DEP_2) | instskip(SKIP_1) | instid1(VALU_DEP_2)
	v_pk_add_f32 v[102:103], v[102:103], v[120:121]
	s_set_vgpr_msb 4                        ;  msbs: dst=0 src0=0 src1=1 src2=0
	v_pk_fma_f32 v[118:119], v[106:107], v[2:3] /*v[258:259]*/, v[104:105] neg_lo:[0,0,1] neg_hi:[0,0,1]
	v_pk_fma_f32 v[104:105], v[106:107], v[2:3] /*v[258:259]*/, v[104:105] op_sel_hi:[1,0,1]
	v_mov_b32_e32 v104, v109
	s_set_vgpr_msb 1                        ;  msbs: dst=0 src0=1 src1=0 src2=0
	v_mov_b32_e32 v106, v5 /*v261*/
	s_set_vgpr_msb 0                        ;  msbs: dst=0 src0=0 src1=0 src2=0
	v_dual_mov_b32 v119, v105 :: v_dual_mov_b32 v105, v108
	s_delay_alu instid0(VALU_DEP_1) | instskip(NEXT) | instid1(VALU_DEP_2)
	v_pk_add_f32 v[102:103], v[102:103], v[118:119]
	v_pk_mul_f32 v[104:105], v[104:105], v[106:107] op_sel_hi:[1,0]
	s_set_vgpr_msb 4                        ;  msbs: dst=0 src0=0 src1=1 src2=0
	s_delay_alu instid0(VALU_DEP_1) | instskip(SKIP_1) | instid1(VALU_DEP_1)
	v_pk_fma_f32 v[106:107], v[108:109], v[4:5] /*v[260:261]*/, v[104:105] neg_lo:[0,0,1] neg_hi:[0,0,1]
	v_pk_fma_f32 v[104:105], v[108:109], v[4:5] /*v[260:261]*/, v[104:105] op_sel_hi:[1,0,1]
	v_mov_b32_e32 v107, v105
	s_wait_loadcnt_dscnt 0x101
	v_pk_mul_f32 v[104:105], v[110:111], v[6:7] /*v[262:263]*/ op_sel:[1,1] op_sel_hi:[0,1]
	s_set_vgpr_msb 0                        ;  msbs: dst=0 src0=0 src1=0 src2=0
	s_delay_alu instid0(VALU_DEP_2) | instskip(SKIP_1) | instid1(VALU_DEP_2)
	v_pk_add_f32 v[102:103], v[102:103], v[106:107]
	s_set_vgpr_msb 4                        ;  msbs: dst=0 src0=0 src1=1 src2=0
	v_pk_fma_f32 v[106:107], v[110:111], v[6:7] /*v[262:263]*/, v[104:105] neg_lo:[0,0,1] neg_hi:[0,0,1]
	v_pk_fma_f32 v[104:105], v[110:111], v[6:7] /*v[262:263]*/, v[104:105] op_sel_hi:[1,0,1]
	s_delay_alu instid0(VALU_DEP_1) | instskip(SKIP_2) | instid1(VALU_DEP_2)
	v_dual_mov_b32 v104, v113 :: v_dual_mov_b32 v107, v105
	v_mov_b32_e32 v105, v112
	s_set_vgpr_msb 0                        ;  msbs: dst=0 src0=0 src1=0 src2=0
	v_pk_add_f32 v[102:103], v[102:103], v[106:107]
	s_set_vgpr_msb 1                        ;  msbs: dst=0 src0=1 src1=0 src2=0
	v_mov_b32_e32 v106, v9 /*v265*/
	s_set_vgpr_msb 0                        ;  msbs: dst=0 src0=0 src1=0 src2=0
	s_delay_alu instid0(VALU_DEP_1) | instskip(SKIP_1) | instid1(VALU_DEP_1)
	v_pk_mul_f32 v[104:105], v[104:105], v[106:107] op_sel_hi:[1,0]
	s_set_vgpr_msb 4                        ;  msbs: dst=0 src0=0 src1=1 src2=0
	v_pk_fma_f32 v[106:107], v[112:113], v[8:9] /*v[264:265]*/, v[104:105] neg_lo:[0,0,1] neg_hi:[0,0,1]
	v_pk_fma_f32 v[104:105], v[112:113], v[8:9] /*v[264:265]*/, v[104:105] op_sel_hi:[1,0,1]
	s_delay_alu instid0(VALU_DEP_1) | instskip(SKIP_3) | instid1(VALU_DEP_2)
	v_mov_b32_e32 v107, v105
	s_wait_loadcnt_dscnt 0x0
	v_pk_mul_f32 v[104:105], v[114:115], v[10:11] /*v[266:267]*/ op_sel:[1,1] op_sel_hi:[0,1]
	s_set_vgpr_msb 0                        ;  msbs: dst=0 src0=0 src1=0 src2=0
	v_pk_add_f32 v[102:103], v[102:103], v[106:107]
	s_set_vgpr_msb 4                        ;  msbs: dst=0 src0=0 src1=1 src2=0
	s_delay_alu instid0(VALU_DEP_2) | instskip(SKIP_1) | instid1(VALU_DEP_1)
	v_pk_fma_f32 v[106:107], v[114:115], v[10:11] /*v[266:267]*/, v[104:105] neg_lo:[0,0,1] neg_hi:[0,0,1]
	v_pk_fma_f32 v[104:105], v[114:115], v[10:11] /*v[266:267]*/, v[104:105] op_sel_hi:[1,0,1]
	v_dual_mov_b32 v104, v117 :: v_dual_mov_b32 v107, v105
	v_mov_b32_e32 v105, v116
	s_set_vgpr_msb 0                        ;  msbs: dst=0 src0=0 src1=0 src2=0
	s_delay_alu instid0(VALU_DEP_2) | instskip(SKIP_3) | instid1(VALU_DEP_1)
	v_pk_add_f32 v[102:103], v[102:103], v[106:107]
	s_set_vgpr_msb 1                        ;  msbs: dst=0 src0=1 src1=0 src2=0
	v_mov_b32_e32 v106, v13 /*v269*/
	s_set_vgpr_msb 0                        ;  msbs: dst=0 src0=0 src1=0 src2=0
	v_pk_mul_f32 v[104:105], v[104:105], v[106:107] op_sel_hi:[1,0]
	s_set_vgpr_msb 4                        ;  msbs: dst=0 src0=0 src1=1 src2=0
	s_delay_alu instid0(VALU_DEP_1) | instskip(SKIP_1) | instid1(VALU_DEP_1)
	v_pk_fma_f32 v[106:107], v[116:117], v[12:13] /*v[268:269]*/, v[104:105] neg_lo:[0,0,1] neg_hi:[0,0,1]
	v_pk_fma_f32 v[104:105], v[116:117], v[12:13] /*v[268:269]*/, v[104:105] op_sel_hi:[1,0,1]
	v_mov_b32_e32 v107, v105
	scratch_load_b64 v[104:105], off, off offset:24
	s_set_vgpr_msb 0                        ;  msbs: dst=0 src0=0 src1=0 src2=0
	v_pk_add_f32 v[102:103], v[102:103], v[106:107]
	s_wait_loadcnt 0x0
	s_delay_alu instid0(VALU_DEP_1)
	v_pk_add_f32 v[102:103], v[104:105], v[102:103] neg_lo:[0,1] neg_hi:[0,1]
	scratch_store_b64 off, v[102:103], off offset:24
	s_wait_xcnt 0x0
	v_cmpx_lt_u32_e32 2, v0
	s_cbranch_execz .LBB49_309
; %bb.308:
	scratch_load_b64 v[102:103], off, off offset:16
	v_mov_b64_e32 v[104:105], 0
	scratch_store_b64 off, v[104:105], off offset:16
	s_wait_loadcnt 0x0
	ds_store_b64 v1, v[102:103]
.LBB49_309:
	s_wait_xcnt 0x0
	s_or_b32 exec_lo, exec_lo, s0
	s_wait_storecnt_dscnt 0x0
	s_barrier_signal -1
	s_barrier_wait -1
	s_clause 0xf
	scratch_load_b128 v[106:109], off, off offset:24
	scratch_load_b128 v[114:117], off, off offset:40
	;; [unrolled: 1-line block ×16, first 2 shown]
	v_mov_b32_e32 v81, 0
	s_clause 0x4
	scratch_load_b128 v[234:237], off, off offset:280
	scratch_load_b128 v[242:245], off, off offset:296
	;; [unrolled: 1-line block ×3, first 2 shown]
	s_set_vgpr_msb 64                       ;  msbs: dst=1 src0=0 src1=0 src2=0
	scratch_load_b128 v[2:5] /*v[258:261]*/, off, off offset:328
	s_set_vgpr_msb 0                        ;  msbs: dst=0 src0=0 src1=0 src2=0
	ds_load_2addr_b64 v[102:105], v81 offset0:53 offset1:54
	ds_load_2addr_b64 v[110:113], v81 offset0:55 offset1:56
	s_mov_b32 s0, exec_lo
	s_wait_loadcnt_dscnt 0x1301
	v_dual_mul_f32 v7, v102, v107 :: v_dual_mul_f32 v9, v104, v109
	ds_load_2addr_b64 v[118:121], v81 offset0:57 offset1:58
	ds_load_2addr_b64 v[126:129], v81 offset0:59 offset1:60
	;; [unrolled: 1-line block ×4, first 2 shown]
	v_dual_fmac_f32 v7, v103, v106 :: v_dual_fmac_f32 v9, v105, v108
	ds_load_2addr_b64 v[134:137], v81 offset0:61 offset1:62
	ds_load_2addr_b64 v[142:145], v81 offset0:63 offset1:64
	;; [unrolled: 1-line block ×4, first 2 shown]
	v_add_f32_e32 v7, 0, v7
	ds_load_2addr_b64 v[166:169], v81 offset0:69 offset1:70
	ds_load_2addr_b64 v[174:177], v81 offset0:71 offset1:72
	;; [unrolled: 1-line block ×4, first 2 shown]
	s_wait_loadcnt_dscnt 0x120c
	v_dual_add_f32 v7, v7, v9 :: v_dual_mul_f32 v9, v110, v115
	ds_load_2addr_b64 v[198:201], v81 offset0:77 offset1:78
	ds_load_2addr_b64 v[206:209], v81 offset0:79 offset1:80
	ds_load_2addr_b64 v[214:217], v81 offset0:81 offset1:82
	ds_load_2addr_b64 v[222:225], v81 offset0:83 offset1:84
	v_fmac_f32_e32 v9, v111, v114
	ds_load_2addr_b64 v[230:233], v81 offset0:85 offset1:86
	ds_load_2addr_b64 v[238:241], v81 offset0:87 offset1:88
	s_wait_loadcnt_dscnt 0x10f
	s_set_vgpr_msb 64                       ;  msbs: dst=1 src0=0 src1=0 src2=0
	v_mul_f32_e32 v21 /*v277*/, v248, v253
	s_clause 0x3
	scratch_load_b128 v[6:9] /*v[262:265]*/, off, off offset:344
	scratch_load_b128 v[10:13] /*v[266:269]*/, off, off offset:360
	;; [unrolled: 1-line block ×3, first 2 shown]
	scratch_load_b64 v[24:25] /*v[280:281]*/, off, off offset:392
	s_set_vgpr_msb 0                        ;  msbs: dst=0 src0=0 src1=0 src2=0
	v_add_f32_e32 v7, v7, v9
	v_mul_f32_e32 v9, v112, v117
	s_delay_alu instid0(VALU_DEP_1) | instskip(NEXT) | instid1(VALU_DEP_1)
	v_fmac_f32_e32 v9, v113, v116
	v_dual_add_f32 v7, v7, v9 :: v_dual_mul_f32 v9, v118, v123
	s_delay_alu instid0(VALU_DEP_1) | instskip(NEXT) | instid1(VALU_DEP_1)
	v_fmac_f32_e32 v9, v119, v122
	v_add_f32_e32 v7, v7, v9
	v_mul_f32_e32 v9, v120, v125
	s_delay_alu instid0(VALU_DEP_1) | instskip(NEXT) | instid1(VALU_DEP_1)
	v_fmac_f32_e32 v9, v121, v124
	v_dual_add_f32 v7, v7, v9 :: v_dual_mul_f32 v9, v126, v131
	s_delay_alu instid0(VALU_DEP_1) | instskip(NEXT) | instid1(VALU_DEP_1)
	v_fmac_f32_e32 v9, v127, v130
	v_add_f32_e32 v7, v7, v9
	v_mul_f32_e32 v9, v128, v133
	s_delay_alu instid0(VALU_DEP_1) | instskip(SKIP_1) | instid1(VALU_DEP_1)
	v_fmac_f32_e32 v9, v129, v132
	s_wait_dscnt 0xd
	v_dual_add_f32 v7, v7, v9 :: v_dual_mul_f32 v9, v134, v139
	s_delay_alu instid0(VALU_DEP_1) | instskip(NEXT) | instid1(VALU_DEP_1)
	v_fmac_f32_e32 v9, v135, v138
	v_add_f32_e32 v7, v7, v9
	v_mul_f32_e32 v9, v136, v141
	s_delay_alu instid0(VALU_DEP_1) | instskip(SKIP_1) | instid1(VALU_DEP_1)
	v_fmac_f32_e32 v9, v137, v140
	s_wait_dscnt 0xc
	v_dual_add_f32 v7, v7, v9 :: v_dual_mul_f32 v9, v142, v147
	s_delay_alu instid0(VALU_DEP_1) | instskip(NEXT) | instid1(VALU_DEP_1)
	v_fmac_f32_e32 v9, v143, v146
	v_add_f32_e32 v7, v7, v9
	v_mul_f32_e32 v9, v144, v149
	s_delay_alu instid0(VALU_DEP_1) | instskip(SKIP_1) | instid1(VALU_DEP_1)
	v_fmac_f32_e32 v9, v145, v148
	s_wait_dscnt 0xb
	v_dual_add_f32 v7, v7, v9 :: v_dual_mul_f32 v9, v150, v155
	s_delay_alu instid0(VALU_DEP_1) | instskip(NEXT) | instid1(VALU_DEP_1)
	v_fmac_f32_e32 v9, v151, v154
	v_add_f32_e32 v7, v7, v9
	v_mul_f32_e32 v9, v152, v157
	s_delay_alu instid0(VALU_DEP_1) | instskip(SKIP_1) | instid1(VALU_DEP_1)
	v_fmac_f32_e32 v9, v153, v156
	s_wait_dscnt 0xa
	v_dual_add_f32 v7, v7, v9 :: v_dual_mul_f32 v9, v158, v163
	s_delay_alu instid0(VALU_DEP_1) | instskip(NEXT) | instid1(VALU_DEP_1)
	v_fmac_f32_e32 v9, v159, v162
	v_add_f32_e32 v7, v7, v9
	v_mul_f32_e32 v9, v160, v165
	s_delay_alu instid0(VALU_DEP_1) | instskip(SKIP_1) | instid1(VALU_DEP_1)
	v_fmac_f32_e32 v9, v161, v164
	s_wait_dscnt 0x9
	v_dual_add_f32 v7, v7, v9 :: v_dual_mul_f32 v9, v166, v171
	s_delay_alu instid0(VALU_DEP_1) | instskip(NEXT) | instid1(VALU_DEP_1)
	v_fmac_f32_e32 v9, v167, v170
	v_add_f32_e32 v7, v7, v9
	v_mul_f32_e32 v9, v168, v173
	s_delay_alu instid0(VALU_DEP_1) | instskip(SKIP_1) | instid1(VALU_DEP_1)
	v_fmac_f32_e32 v9, v169, v172
	s_wait_dscnt 0x8
	v_dual_add_f32 v7, v7, v9 :: v_dual_mul_f32 v9, v174, v179
	s_delay_alu instid0(VALU_DEP_1) | instskip(NEXT) | instid1(VALU_DEP_1)
	v_fmac_f32_e32 v9, v175, v178
	v_add_f32_e32 v7, v7, v9
	v_mul_f32_e32 v9, v176, v181
	s_delay_alu instid0(VALU_DEP_1) | instskip(SKIP_1) | instid1(VALU_DEP_1)
	v_fmac_f32_e32 v9, v177, v180
	s_wait_dscnt 0x7
	v_dual_add_f32 v7, v7, v9 :: v_dual_mul_f32 v9, v182, v187
	s_delay_alu instid0(VALU_DEP_1) | instskip(NEXT) | instid1(VALU_DEP_1)
	v_fmac_f32_e32 v9, v183, v186
	v_add_f32_e32 v7, v7, v9
	v_mul_f32_e32 v9, v184, v189
	s_delay_alu instid0(VALU_DEP_1) | instskip(SKIP_1) | instid1(VALU_DEP_1)
	v_fmac_f32_e32 v9, v185, v188
	s_wait_dscnt 0x6
	v_dual_add_f32 v7, v7, v9 :: v_dual_mul_f32 v9, v190, v195
	s_delay_alu instid0(VALU_DEP_1) | instskip(NEXT) | instid1(VALU_DEP_1)
	v_fmac_f32_e32 v9, v191, v194
	v_add_f32_e32 v7, v7, v9
	v_mul_f32_e32 v9, v192, v197
	s_delay_alu instid0(VALU_DEP_1) | instskip(SKIP_1) | instid1(VALU_DEP_1)
	v_fmac_f32_e32 v9, v193, v196
	s_wait_dscnt 0x5
	v_dual_add_f32 v7, v7, v9 :: v_dual_mul_f32 v9, v198, v203
	s_delay_alu instid0(VALU_DEP_1) | instskip(NEXT) | instid1(VALU_DEP_1)
	v_fmac_f32_e32 v9, v199, v202
	v_add_f32_e32 v7, v7, v9
	v_mul_f32_e32 v9, v200, v205
	s_delay_alu instid0(VALU_DEP_1) | instskip(SKIP_1) | instid1(VALU_DEP_1)
	v_fmac_f32_e32 v9, v201, v204
	s_wait_dscnt 0x4
	v_dual_add_f32 v7, v7, v9 :: v_dual_mul_f32 v9, v206, v211
	s_delay_alu instid0(VALU_DEP_1) | instskip(NEXT) | instid1(VALU_DEP_1)
	v_fmac_f32_e32 v9, v207, v210
	v_add_f32_e32 v7, v7, v9
	v_mul_f32_e32 v9, v208, v213
	s_delay_alu instid0(VALU_DEP_1) | instskip(SKIP_1) | instid1(VALU_DEP_1)
	v_fmac_f32_e32 v9, v209, v212
	s_wait_dscnt 0x3
	v_dual_add_f32 v7, v7, v9 :: v_dual_mul_f32 v9, v214, v219
	s_delay_alu instid0(VALU_DEP_1) | instskip(NEXT) | instid1(VALU_DEP_1)
	v_fmac_f32_e32 v9, v215, v218
	v_add_f32_e32 v7, v7, v9
	v_mul_f32_e32 v9, v216, v221
	s_delay_alu instid0(VALU_DEP_1) | instskip(SKIP_1) | instid1(VALU_DEP_1)
	v_fmac_f32_e32 v9, v217, v220
	s_wait_dscnt 0x2
	v_dual_add_f32 v7, v7, v9 :: v_dual_mul_f32 v9, v222, v227
	s_delay_alu instid0(VALU_DEP_1) | instskip(NEXT) | instid1(VALU_DEP_1)
	v_fmac_f32_e32 v9, v223, v226
	v_add_f32_e32 v7, v7, v9
	v_mul_f32_e32 v9, v224, v229
	s_delay_alu instid0(VALU_DEP_1) | instskip(SKIP_1) | instid1(VALU_DEP_1)
	v_fmac_f32_e32 v9, v225, v228
	s_wait_dscnt 0x1
	v_dual_add_f32 v7, v7, v9 :: v_dual_mul_f32 v9, v230, v235
	s_delay_alu instid0(VALU_DEP_1) | instskip(NEXT) | instid1(VALU_DEP_1)
	v_fmac_f32_e32 v9, v231, v234
	v_add_f32_e32 v7, v7, v9
	v_mul_f32_e32 v9, v232, v237
	s_delay_alu instid0(VALU_DEP_1) | instskip(SKIP_1) | instid1(VALU_DEP_1)
	v_fmac_f32_e32 v9, v233, v236
	s_wait_dscnt 0x0
	v_dual_add_f32 v7, v7, v9 :: v_dual_mul_f32 v9, v238, v243
	s_delay_alu instid0(VALU_DEP_1) | instskip(NEXT) | instid1(VALU_DEP_1)
	v_fmac_f32_e32 v9, v239, v242
	v_add_f32_e32 v7, v7, v9
	v_mul_f32_e32 v9, v240, v245
	s_delay_alu instid0(VALU_DEP_1) | instskip(NEXT) | instid1(VALU_DEP_1)
	v_fmac_f32_e32 v9, v241, v244
	v_dual_add_f32 v7, v7, v9 :: v_dual_mul_f32 v9, v246, v251
	s_delay_alu instid0(VALU_DEP_1) | instskip(SKIP_1) | instid1(VALU_DEP_1)
	v_fmac_f32_e32 v9, v247, v250
	s_set_vgpr_msb 64                       ;  msbs: dst=1 src0=0 src1=0 src2=0
	v_add_f32_e32 v19 /*v275*/, v7, v9
	s_set_vgpr_msb 0                        ;  msbs: dst=0 src0=0 src1=0 src2=0
	v_dual_mul_f32 v7, v103, v107 :: v_dual_mul_f32 v9, v105, v109
	s_delay_alu instid0(VALU_DEP_1) | instskip(NEXT) | instid1(VALU_DEP_1)
	v_dual_fma_f32 v7, v102, v106, -v7 :: v_dual_fma_f32 v9, v104, v108, -v9
	v_add_f32_e32 v7, 0, v7
	s_delay_alu instid0(VALU_DEP_1) | instskip(SKIP_1) | instid1(VALU_DEP_1)
	v_add_f32_e32 v7, v7, v9
	v_mul_f32_e32 v9, v111, v115
	v_fma_f32 v9, v110, v114, -v9
	s_delay_alu instid0(VALU_DEP_1) | instskip(SKIP_1) | instid1(VALU_DEP_1)
	v_add_f32_e32 v7, v7, v9
	v_mul_f32_e32 v9, v113, v117
	v_fma_f32 v9, v112, v116, -v9
	ds_load_2addr_b64 v[102:105], v81 offset0:93 offset1:94
	ds_load_2addr_b64 v[106:109], v81 offset0:95 offset1:96
	;; [unrolled: 1-line block ×3, first 2 shown]
	ds_load_b64 v[114:115], v81 offset:792
	v_add_f32_e32 v7, v7, v9
	v_mul_f32_e32 v9, v119, v123
	s_set_vgpr_msb 1                        ;  msbs: dst=0 src0=1 src1=0 src2=0
	v_mov_b32_e32 v119, v0 /*v256*/
	s_set_vgpr_msb 0                        ;  msbs: dst=0 src0=0 src1=0 src2=0
	s_delay_alu instid0(VALU_DEP_2) | instskip(SKIP_3) | instid1(VALU_DEP_2)
	v_fma_f32 v9, v118, v122, -v9
	s_set_vgpr_msb 1                        ;  msbs: dst=0 src0=1 src1=0 src2=0
	v_mov_b32_e32 v118, v1 /*v257*/
	s_set_vgpr_msb 0                        ;  msbs: dst=0 src0=0 src1=0 src2=0
	v_add_f32_e32 v7, v7, v9
	v_mul_f32_e32 v9, v121, v125
	s_delay_alu instid0(VALU_DEP_1)
	v_fma_f32 v9, v120, v124, -v9
	s_wait_loadcnt 0x4
	s_set_vgpr_msb 1                        ;  msbs: dst=0 src0=1 src1=0 src2=0
	v_mov_b32_e32 v120, v5 /*v261*/
	s_set_vgpr_msb 0                        ;  msbs: dst=0 src0=0 src1=0 src2=0
	v_add_f32_e32 v7, v7, v9
	v_mul_f32_e32 v9, v127, v131
	s_delay_alu instid0(VALU_DEP_3) | instskip(NEXT) | instid1(VALU_DEP_2)
	v_pk_mul_f32 v[118:119], v[118:119], v[120:121] op_sel_hi:[1,0]
	v_fma_f32 v9, v126, v130, -v9
	s_set_vgpr_msb 5                        ;  msbs: dst=0 src0=1 src1=1 src2=0
	s_delay_alu instid0(VALU_DEP_2) | instskip(SKIP_3) | instid1(VALU_DEP_2)
	v_pk_fma_f32 v[120:121], v[0:1] /*v[256:257]*/, v[4:5] /*v[260:261]*/, v[118:119] neg_lo:[0,0,1] neg_hi:[0,0,1]
	v_pk_fma_f32 v[118:119], v[0:1] /*v[256:257]*/, v[4:5] /*v[260:261]*/, v[118:119] op_sel_hi:[1,0,1]
	s_set_vgpr_msb 0                        ;  msbs: dst=0 src0=0 src1=0 src2=0
	v_add_f32_e32 v7, v7, v9
	v_dual_mul_f32 v9, v129, v133 :: v_dual_mov_b32 v121, v119
	s_wait_loadcnt_dscnt 0x303
	s_set_vgpr_msb 4                        ;  msbs: dst=0 src0=0 src1=1 src2=0
	v_pk_mul_f32 v[118:119], v[102:103], v[6:7] /*v[262:263]*/ op_sel:[1,1] op_sel_hi:[0,1]
	s_set_vgpr_msb 0                        ;  msbs: dst=0 src0=0 src1=0 src2=0
	v_fma_f32 v9, v128, v132, -v9
	s_delay_alu instid0(VALU_DEP_1) | instskip(SKIP_1) | instid1(VALU_DEP_1)
	v_add_f32_e32 v7, v7, v9
	v_mul_f32_e32 v9, v135, v139
	v_fma_f32 v9, v134, v138, -v9
	s_delay_alu instid0(VALU_DEP_1) | instskip(SKIP_1) | instid1(VALU_DEP_1)
	v_add_f32_e32 v7, v7, v9
	v_mul_f32_e32 v9, v137, v141
	;; [unrolled: 4-line block ×29, first 2 shown]
	v_fma_f32 v9, v246, v250, -v9
	s_set_vgpr_msb 64                       ;  msbs: dst=1 src0=0 src1=0 src2=0
	s_delay_alu instid0(VALU_DEP_1) | instskip(SKIP_3) | instid1(VALU_DEP_1)
	v_add_f32_e32 v18 /*v274*/, v7, v9
	s_set_vgpr_msb 0                        ;  msbs: dst=0 src0=0 src1=0 src2=0
	v_mul_f32_e32 v7, v249, v253
	s_set_vgpr_msb 64                       ;  msbs: dst=1 src0=0 src1=0 src2=0
	v_fma_f32 v20 /*v276*/, v248, v252, -v7
	v_fmac_f32_e32 v21 /*v277*/, v249, v252
	s_set_vgpr_msb 4                        ;  msbs: dst=0 src0=0 src1=1 src2=0
	v_mul_f32_e32 v7, v255, v3 /*v259*/
	s_set_vgpr_msb 0x44                     ;  msbs: dst=1 src0=0 src1=1 src2=0
	v_mul_f32_e32 v23 /*v279*/, v254, v3 /*v259*/
	s_set_vgpr_msb 5                        ;  msbs: dst=0 src0=1 src1=1 src2=0
	v_pk_add_f32 v[116:117], v[18:19] /*v[274:275]*/, v[20:21] /*v[276:277]*/
	s_set_vgpr_msb 0x44                     ;  msbs: dst=1 src0=0 src1=1 src2=0
	v_fma_f32 v22 /*v278*/, v254, v2 /*v258*/, -v7
	v_fmac_f32_e32 v23 /*v279*/, v255, v2 /*v258*/
	s_set_vgpr_msb 4                        ;  msbs: dst=0 src0=0 src1=1 src2=0
	s_delay_alu instid0(VALU_DEP_1) | instskip(SKIP_1) | instid1(VALU_DEP_1)
	v_pk_add_f32 v[116:117], v[116:117], v[22:23] /*v[278:279]*/
	s_set_vgpr_msb 0                        ;  msbs: dst=0 src0=0 src1=0 src2=0
	v_pk_add_f32 v[116:117], v[116:117], v[120:121]
	s_set_vgpr_msb 4                        ;  msbs: dst=0 src0=0 src1=1 src2=0
	v_pk_fma_f32 v[120:121], v[102:103], v[6:7] /*v[262:263]*/, v[118:119] neg_lo:[0,0,1] neg_hi:[0,0,1]
	v_pk_fma_f32 v[102:103], v[102:103], v[6:7] /*v[262:263]*/, v[118:119] op_sel_hi:[1,0,1]
	s_set_vgpr_msb 1                        ;  msbs: dst=0 src0=1 src1=0 src2=0
	v_mov_b32_e32 v118, v9 /*v265*/
	s_set_vgpr_msb 0                        ;  msbs: dst=0 src0=0 src1=0 src2=0
	s_delay_alu instid0(VALU_DEP_2) | instskip(NEXT) | instid1(VALU_DEP_1)
	v_mov_b32_e32 v121, v103
	v_pk_add_f32 v[102:103], v[116:117], v[120:121]
	v_dual_mov_b32 v116, v105 :: v_dual_mov_b32 v117, v104
	s_delay_alu instid0(VALU_DEP_1) | instskip(SKIP_1) | instid1(VALU_DEP_1)
	v_pk_mul_f32 v[116:117], v[116:117], v[118:119] op_sel_hi:[1,0]
	s_set_vgpr_msb 4                        ;  msbs: dst=0 src0=0 src1=1 src2=0
	v_pk_fma_f32 v[118:119], v[104:105], v[8:9] /*v[264:265]*/, v[116:117] neg_lo:[0,0,1] neg_hi:[0,0,1]
	v_pk_fma_f32 v[104:105], v[104:105], v[8:9] /*v[264:265]*/, v[116:117] op_sel_hi:[1,0,1]
	s_delay_alu instid0(VALU_DEP_1) | instskip(SKIP_3) | instid1(VALU_DEP_2)
	v_mov_b32_e32 v119, v105
	s_wait_loadcnt_dscnt 0x202
	v_pk_mul_f32 v[104:105], v[106:107], v[10:11] /*v[266:267]*/ op_sel:[1,1] op_sel_hi:[0,1]
	s_set_vgpr_msb 0                        ;  msbs: dst=0 src0=0 src1=0 src2=0
	v_pk_add_f32 v[102:103], v[102:103], v[118:119]
	s_set_vgpr_msb 4                        ;  msbs: dst=0 src0=0 src1=1 src2=0
	s_delay_alu instid0(VALU_DEP_2)
	v_pk_fma_f32 v[116:117], v[106:107], v[10:11] /*v[266:267]*/, v[104:105] neg_lo:[0,0,1] neg_hi:[0,0,1]
	v_pk_fma_f32 v[104:105], v[106:107], v[10:11] /*v[266:267]*/, v[104:105] op_sel_hi:[1,0,1]
	v_mov_b32_e32 v104, v109
	s_set_vgpr_msb 1                        ;  msbs: dst=0 src0=1 src1=0 src2=0
	v_mov_b32_e32 v106, v13 /*v269*/
	s_set_vgpr_msb 0                        ;  msbs: dst=0 src0=0 src1=0 src2=0
	v_dual_mov_b32 v117, v105 :: v_dual_mov_b32 v105, v108
	s_delay_alu instid0(VALU_DEP_1) | instskip(NEXT) | instid1(VALU_DEP_2)
	v_pk_add_f32 v[102:103], v[102:103], v[116:117]
	v_pk_mul_f32 v[104:105], v[104:105], v[106:107] op_sel_hi:[1,0]
	s_set_vgpr_msb 4                        ;  msbs: dst=0 src0=0 src1=1 src2=0
	s_delay_alu instid0(VALU_DEP_1) | instskip(SKIP_1) | instid1(VALU_DEP_1)
	v_pk_fma_f32 v[106:107], v[108:109], v[12:13] /*v[268:269]*/, v[104:105] neg_lo:[0,0,1] neg_hi:[0,0,1]
	v_pk_fma_f32 v[104:105], v[108:109], v[12:13] /*v[268:269]*/, v[104:105] op_sel_hi:[1,0,1]
	v_mov_b32_e32 v107, v105
	s_wait_loadcnt_dscnt 0x101
	v_pk_mul_f32 v[104:105], v[110:111], v[14:15] /*v[270:271]*/ op_sel:[1,1] op_sel_hi:[0,1]
	s_set_vgpr_msb 0                        ;  msbs: dst=0 src0=0 src1=0 src2=0
	s_delay_alu instid0(VALU_DEP_2) | instskip(SKIP_1) | instid1(VALU_DEP_2)
	v_pk_add_f32 v[102:103], v[102:103], v[106:107]
	s_set_vgpr_msb 4                        ;  msbs: dst=0 src0=0 src1=1 src2=0
	v_pk_fma_f32 v[106:107], v[110:111], v[14:15] /*v[270:271]*/, v[104:105] neg_lo:[0,0,1] neg_hi:[0,0,1]
	v_pk_fma_f32 v[104:105], v[110:111], v[14:15] /*v[270:271]*/, v[104:105] op_sel_hi:[1,0,1]
	s_delay_alu instid0(VALU_DEP_1) | instskip(SKIP_2) | instid1(VALU_DEP_2)
	v_dual_mov_b32 v104, v113 :: v_dual_mov_b32 v107, v105
	v_mov_b32_e32 v105, v112
	s_set_vgpr_msb 0                        ;  msbs: dst=0 src0=0 src1=0 src2=0
	v_pk_add_f32 v[102:103], v[102:103], v[106:107]
	s_set_vgpr_msb 1                        ;  msbs: dst=0 src0=1 src1=0 src2=0
	v_mov_b32_e32 v106, v17 /*v273*/
	s_set_vgpr_msb 0                        ;  msbs: dst=0 src0=0 src1=0 src2=0
	s_delay_alu instid0(VALU_DEP_1) | instskip(SKIP_1) | instid1(VALU_DEP_1)
	v_pk_mul_f32 v[104:105], v[104:105], v[106:107] op_sel_hi:[1,0]
	s_set_vgpr_msb 4                        ;  msbs: dst=0 src0=0 src1=1 src2=0
	v_pk_fma_f32 v[106:107], v[112:113], v[16:17] /*v[272:273]*/, v[104:105] neg_lo:[0,0,1] neg_hi:[0,0,1]
	v_pk_fma_f32 v[104:105], v[112:113], v[16:17] /*v[272:273]*/, v[104:105] op_sel_hi:[1,0,1]
	s_delay_alu instid0(VALU_DEP_1) | instskip(SKIP_3) | instid1(VALU_DEP_2)
	v_mov_b32_e32 v107, v105
	s_wait_loadcnt_dscnt 0x0
	v_pk_mul_f32 v[104:105], v[114:115], v[24:25] /*v[280:281]*/ op_sel:[1,1] op_sel_hi:[0,1]
	s_set_vgpr_msb 0                        ;  msbs: dst=0 src0=0 src1=0 src2=0
	v_pk_add_f32 v[102:103], v[102:103], v[106:107]
	s_set_vgpr_msb 4                        ;  msbs: dst=0 src0=0 src1=1 src2=0
	s_delay_alu instid0(VALU_DEP_2) | instskip(SKIP_1) | instid1(VALU_DEP_1)
	v_pk_fma_f32 v[106:107], v[114:115], v[24:25] /*v[280:281]*/, v[104:105] neg_lo:[0,0,1] neg_hi:[0,0,1]
	v_pk_fma_f32 v[104:105], v[114:115], v[24:25] /*v[280:281]*/, v[104:105] op_sel_hi:[1,0,1]
	v_mov_b32_e32 v107, v105
	scratch_load_b64 v[104:105], off, off offset:16
	s_set_vgpr_msb 0                        ;  msbs: dst=0 src0=0 src1=0 src2=0
	v_pk_add_f32 v[102:103], v[102:103], v[106:107]
	s_wait_loadcnt 0x0
	s_delay_alu instid0(VALU_DEP_1)
	v_pk_add_f32 v[102:103], v[104:105], v[102:103] neg_lo:[0,1] neg_hi:[0,1]
	scratch_store_b64 off, v[102:103], off offset:16
	s_wait_xcnt 0x0
	v_cmpx_lt_u32_e32 1, v0
	s_cbranch_execz .LBB49_311
; %bb.310:
	scratch_load_b64 v[102:103], off, off offset:8
	v_mov_b64_e32 v[104:105], 0
	scratch_store_b64 off, v[104:105], off offset:8
	s_wait_loadcnt 0x0
	ds_store_b64 v1, v[102:103]
.LBB49_311:
	s_wait_xcnt 0x0
	s_or_b32 exec_lo, exec_lo, s0
	s_wait_storecnt_dscnt 0x0
	s_barrier_signal -1
	s_barrier_wait -1
	s_clause 0x17
	scratch_load_b128 v[102:105], off, off offset:16
	scratch_load_b128 v[106:109], off, off offset:32
	;; [unrolled: 1-line block ×24, first 2 shown]
	ds_load_b128 v[198:201], v81 offset:416
	ds_load_b128 v[202:205], v81 offset:432
	;; [unrolled: 1-line block ×4, first 2 shown]
	s_set_vgpr_msb 64                       ;  msbs: dst=1 src0=0 src1=0 src2=0
	scratch_load_b64 v[38:39] /*v[294:295]*/, off, off offset:8
	s_set_vgpr_msb 0                        ;  msbs: dst=0 src0=0 src1=0 src2=0
	ds_load_b128 v[214:217], v81 offset:736
	ds_load_b128 v[218:221], v81 offset:752
	ds_load_b128 v[222:225], v81 offset:480
	ds_load_b128 v[226:229], v81 offset:496
	ds_load_b128 v[230:233], v81 offset:768
	ds_load_b128 v[234:237], v81 offset:784
	ds_load_b128 v[238:241], v81 offset:512
	ds_load_b128 v[242:245], v81 offset:528
	ds_load_b128 v[246:249], v81 offset:544
	ds_load_b128 v[250:253], v81 offset:560
	ds_load_b128 v[254:257], v81 offset:576
	s_set_vgpr_msb 64                       ;  msbs: dst=1 src0=0 src1=0 src2=0
	ds_load_b128 v[2:5] /*v[258:261]*/, v81 offset:592
	ds_load_b128 v[6:9] /*v[262:265]*/, v81 offset:608
	;; [unrolled: 1-line block ×9, first 2 shown]
	s_set_vgpr_msb 0                        ;  msbs: dst=0 src0=0 src1=0 src2=0
	v_ashrrev_i32_e32 v79, 31, v78
	s_wait_dscnt 0x13
	s_set_vgpr_msb 64                       ;  msbs: dst=1 src0=0 src1=0 src2=0
	v_dual_mov_b32 v40 /*v296*/, v217 :: v_dual_mov_b32 v41 /*v297*/, v216
	s_wait_dscnt 0x12
	v_dual_mov_b32 v42 /*v298*/, v221 :: v_dual_mov_b32 v43 /*v299*/, v220
	s_wait_dscnt 0xf
	;; [unrolled: 2-line block ×3, first 2 shown]
	v_dual_mov_b32 v46 /*v302*/, v237 :: v_dual_mov_b32 v47 /*v303*/, v236
	s_set_vgpr_msb 0                        ;  msbs: dst=0 src0=0 src1=0 src2=0
	v_dual_ashrrev_i32 v7, 31, v6 :: v_dual_ashrrev_i32 v9, 31, v8
	v_dual_ashrrev_i32 v11, 31, v10 :: v_dual_ashrrev_i32 v13, 31, v12
	;; [unrolled: 1-line block ×18, first 2 shown]
	s_mov_b32 s0, exec_lo
	s_wait_loadcnt 0x17
	v_dual_mul_f32 v81, v198, v103 :: v_dual_mul_f32 v87, v204, v109
	v_dual_mul_f32 v89, v199, v103 :: v_dual_mul_f32 v83, v200, v105
	;; [unrolled: 1-line block ×3, first 2 shown]
	v_mul_f32_e32 v93, v203, v107
	s_delay_alu instid0(VALU_DEP_3) | instskip(NEXT) | instid1(VALU_DEP_3)
	v_dual_fmac_f32 v81, v199, v102 :: v_dual_fmac_f32 v83, v201, v104
	v_dual_fma_f32 v89, v198, v102, -v89 :: v_dual_fma_f32 v91, v200, v104, -v91
	s_delay_alu instid0(VALU_DEP_4)
	v_dual_fmac_f32 v85, v203, v106 :: v_dual_fmac_f32 v87, v205, v108
	s_wait_loadcnt_dscnt 0xb06
	s_set_vgpr_msb 1                        ;  msbs: dst=0 src0=1 src1=0 src2=0
	v_dual_add_f32 v81, 0, v81 :: v_dual_mul_f32 v203, v10 /*v266*/, v155
	v_add_f32_e32 v89, 0, v89
	s_set_vgpr_msb 0                        ;  msbs: dst=0 src0=0 src1=0 src2=0
	v_dual_mul_f32 v95, v205, v109 :: v_dual_mul_f32 v97, v206, v111
	s_delay_alu instid0(VALU_DEP_3) | instskip(NEXT) | instid1(VALU_DEP_3)
	v_dual_fma_f32 v93, v202, v106, -v93 :: v_dual_add_f32 v81, v81, v83
	v_dual_add_f32 v83, v89, v91 :: v_dual_mul_f32 v103, v212, v117
	v_mul_f32_e32 v105, v207, v111
	s_set_vgpr_msb 64                       ;  msbs: dst=1 src0=0 src1=0 src2=0
	v_dual_mul_f32 v52 /*v308*/, v244, v133 :: v_dual_mul_f32 v53 /*v309*/, v246, v135
	s_set_vgpr_msb 0                        ;  msbs: dst=0 src0=0 src1=0 src2=0
	v_dual_mul_f32 v102, v248, v137 :: v_dual_mul_f32 v104, v247, v135
	v_dual_mul_f32 v135, v249, v137 :: v_dual_mul_f32 v137, v250, v139
	v_dual_fma_f32 v95, v204, v108, -v95 :: v_dual_mul_f32 v139, v251, v139
	v_dual_add_f32 v81, v81, v85 :: v_dual_fmac_f32 v97, v207, v110
	v_dual_add_f32 v83, v83, v93 :: v_dual_fma_f32 v93, v206, v110, -v105
	v_dual_mul_f32 v99, v208, v113 :: v_dual_mul_f32 v101, v210, v115
	v_dual_mul_f32 v107, v209, v113 :: v_dual_mul_f32 v109, v211, v115
	s_delay_alu instid0(VALU_DEP_3) | instskip(NEXT) | instid1(VALU_DEP_2)
	v_dual_mul_f32 v85, v253, v141 :: v_dual_add_f32 v83, v83, v95
	v_dual_add_f32 v81, v81, v87 :: v_dual_fma_f32 v95, v208, v112, -v107
	s_delay_alu instid0(VALU_DEP_4) | instskip(SKIP_1) | instid1(VALU_DEP_3)
	v_fmac_f32_e32 v99, v209, v112
	v_dual_mul_f32 v111, v213, v117 :: v_dual_mul_f32 v113, v222, v119
	v_dual_add_f32 v81, v81, v97 :: v_dual_fmac_f32 v101, v211, v114
	v_dual_add_f32 v83, v83, v93 :: v_dual_fma_f32 v97, v210, v114, -v109
	v_dual_mul_f32 v115, v224, v121 :: v_dual_mul_f32 v117, v226, v123
	s_delay_alu instid0(VALU_DEP_3) | instskip(NEXT) | instid1(VALU_DEP_3)
	v_add_f32_e32 v81, v81, v99
	v_dual_add_f32 v83, v83, v95 :: v_dual_fmac_f32 v103, v213, v116
	v_dual_mul_f32 v119, v223, v119 :: v_dual_mul_f32 v121, v225, v121
	s_delay_alu instid0(VALU_DEP_3) | instskip(NEXT) | instid1(VALU_DEP_2)
	v_dual_fma_f32 v99, v212, v116, -v111 :: v_dual_add_f32 v81, v81, v101
	v_dual_add_f32 v83, v83, v97 :: v_dual_fma_f32 v101, v222, v118, -v119
	v_fmac_f32_e32 v113, v223, v118
	s_set_vgpr_msb 64                       ;  msbs: dst=1 src0=0 src1=0 src2=0
	v_dual_mul_f32 v48 /*v304*/, v228, v125 :: v_dual_mul_f32 v49 /*v305*/, v238, v127
	s_set_vgpr_msb 0                        ;  msbs: dst=0 src0=0 src1=0 src2=0
	v_add_f32_e32 v81, v81, v103
	v_dual_add_f32 v83, v83, v99 :: v_dual_fmac_f32 v115, v225, v120
	v_dual_mul_f32 v123, v227, v123 :: v_dual_mul_f32 v125, v229, v125
	s_delay_alu instid0(VALU_DEP_3) | instskip(NEXT) | instid1(VALU_DEP_2)
	v_dual_fma_f32 v103, v224, v120, -v121 :: v_dual_add_f32 v81, v81, v113
	v_dual_add_f32 v83, v83, v101 :: v_dual_fma_f32 v105, v226, v122, -v123
	v_fmac_f32_e32 v117, v227, v122
	s_set_vgpr_msb 64                       ;  msbs: dst=1 src0=0 src1=0 src2=0
	v_dual_mul_f32 v50 /*v306*/, v240, v129 :: v_dual_mul_f32 v51 /*v307*/, v242, v131
	s_set_vgpr_msb 0                        ;  msbs: dst=0 src0=0 src1=0 src2=0
	v_add_f32_e32 v81, v81, v115
	v_dual_add_f32 v83, v83, v103 :: v_dual_fma_f32 v103, v228, v124, -v125
	v_dual_mul_f32 v127, v239, v127 :: v_dual_mul_f32 v129, v241, v129
	s_set_vgpr_msb 64                       ;  msbs: dst=1 src0=0 src1=0 src2=0
	v_dual_fmac_f32 v48 /*v304*/, v229, v124 :: v_dual_fmac_f32 v49 /*v305*/, v239, v126
	s_set_vgpr_msb 0                        ;  msbs: dst=0 src0=0 src1=0 src2=0
	v_add_f32_e32 v81, v81, v117
	v_dual_add_f32 v83, v83, v105 :: v_dual_fma_f32 v107, v240, v128, -v129
	v_dual_mul_f32 v131, v243, v131 :: v_dual_mul_f32 v133, v245, v133
	v_fma_f32 v105, v238, v126, -v127
	s_set_vgpr_msb 4                        ;  msbs: dst=0 src0=0 src1=1 src2=0
	v_add_f32_e32 v81, v81, v48 /*v304*/
	s_set_vgpr_msb 0                        ;  msbs: dst=0 src0=0 src1=0 src2=0
	v_dual_add_f32 v83, v83, v103 :: v_dual_fma_f32 v110, v242, v130, -v131
	s_set_vgpr_msb 64                       ;  msbs: dst=1 src0=0 src1=0 src2=0
	v_dual_fmac_f32 v50 /*v306*/, v241, v128 :: v_dual_fmac_f32 v51 /*v307*/, v243, v130
	s_set_vgpr_msb 4                        ;  msbs: dst=0 src0=0 src1=1 src2=0
	v_add_f32_e32 v81, v81, v49 /*v305*/
	s_set_vgpr_msb 0                        ;  msbs: dst=0 src0=0 src1=0 src2=0
	v_dual_add_f32 v83, v83, v105 :: v_dual_fma_f32 v111, v244, v132, -v133
	s_set_vgpr_msb 64                       ;  msbs: dst=1 src0=0 src1=0 src2=0
	v_dual_fmac_f32 v52 /*v308*/, v245, v132 :: v_dual_fmac_f32 v53 /*v309*/, v247, v134
	s_set_vgpr_msb 4                        ;  msbs: dst=0 src0=0 src1=1 src2=0
	v_add_f32_e32 v81, v81, v50 /*v306*/
	s_set_vgpr_msb 0                        ;  msbs: dst=0 src0=0 src1=0 src2=0
	v_dual_add_f32 v83, v83, v107 :: v_dual_fma_f32 v104, v246, v134, -v104
	v_fma_f32 v112, v248, v136, -v135
	v_dual_mul_f32 v198, v252, v141 :: v_dual_mul_f32 v199, v254, v143
	s_set_vgpr_msb 4                        ;  msbs: dst=0 src0=0 src1=1 src2=0
	v_add_f32_e32 v81, v81, v51 /*v307*/
	s_set_vgpr_msb 0                        ;  msbs: dst=0 src0=0 src1=0 src2=0
	v_add_f32_e32 v83, v83, v110
	v_dual_mul_f32 v107, v255, v143 :: v_dual_fmac_f32 v102, v249, v136
	v_fma_f32 v114, v250, v138, -v139
	s_set_vgpr_msb 4                        ;  msbs: dst=0 src0=0 src1=1 src2=0
	v_add_f32_e32 v81, v81, v52 /*v308*/
	s_set_vgpr_msb 0                        ;  msbs: dst=0 src0=0 src1=0 src2=0
	v_add_f32_e32 v83, v83, v111
	v_dual_fmac_f32 v137, v251, v138 :: v_dual_fmac_f32 v198, v253, v140
	s_set_vgpr_msb 1                        ;  msbs: dst=0 src0=1 src1=0 src2=0
	v_dual_mul_f32 v200, v0 /*v256*/, v145 :: v_dual_mul_f32 v201, v2 /*v258*/, v147
	s_set_vgpr_msb 4                        ;  msbs: dst=0 src0=0 src1=1 src2=0
	v_add_f32_e32 v81, v81, v53 /*v309*/
	s_set_vgpr_msb 0                        ;  msbs: dst=0 src0=0 src1=0 src2=0
	v_add_f32_e32 v83, v83, v104
	s_wait_loadcnt_dscnt 0x601
	s_set_vgpr_msb 1                        ;  msbs: dst=0 src0=1 src1=0 src2=0
	v_dual_mul_f32 v113, v32 /*v288*/, v177 :: v_dual_mul_f32 v111, v3 /*v259*/, v147
	v_mul_f32_e32 v110, v1 /*v257*/, v145
	s_set_vgpr_msb 0                        ;  msbs: dst=0 src0=0 src1=0 src2=0
	v_dual_add_f32 v81, v81, v102 :: v_dual_add_f32 v83, v83, v112
	s_set_vgpr_msb 1                        ;  msbs: dst=0 src0=1 src1=0 src2=0
	v_dual_fmac_f32 v200, v1 /*v257*/, v144 :: v_dual_fma_f32 v111, v2 /*v258*/, v146, -v111
	s_set_vgpr_msb 0                        ;  msbs: dst=0 src0=0 src1=0 src2=0
	s_delay_alu instid0(VALU_DEP_2)
	v_dual_fmac_f32 v199, v255, v142 :: v_dual_add_f32 v81, v81, v137
	v_dual_fma_f32 v85, v252, v140, -v85 :: v_dual_add_f32 v83, v83, v114
	v_fma_f32 v107, v254, v142, -v107
	s_set_vgpr_msb 1                        ;  msbs: dst=0 src0=1 src1=0 src2=0
	v_dual_mul_f32 v106, v4 /*v260*/, v149 :: v_dual_mul_f32 v108, v6 /*v262*/, v151
	v_dual_mul_f32 v112, v9 /*v265*/, v153 :: v_dual_fmac_f32 v201, v3 /*v259*/, v146
	s_set_vgpr_msb 0                        ;  msbs: dst=0 src0=0 src1=0 src2=0
	v_dual_add_f32 v83, v83, v85 :: v_dual_add_f32 v81, v81, v198
	s_set_vgpr_msb 1                        ;  msbs: dst=0 src0=1 src1=0 src2=0
	v_dual_mul_f32 v85, v11 /*v267*/, v155 :: v_dual_mul_f32 v104, v5 /*v261*/, v149
	v_fma_f32 v110, v0 /*v256*/, v144, -v110
	s_set_vgpr_msb 0                        ;  msbs: dst=0 src0=0 src1=0 src2=0
	v_add_f32_e32 v83, v83, v107
	v_add_f32_e32 v81, v81, v199
	s_wait_loadcnt_dscnt 0x500
	s_set_vgpr_msb 1                        ;  msbs: dst=0 src0=1 src1=0 src2=0
	v_dual_mul_f32 v105, v36 /*v292*/, v181 :: v_dual_mul_f32 v102, v7 /*v263*/, v151
	v_dual_fmac_f32 v106, v5 /*v261*/, v148 :: v_dual_fma_f32 v104, v4 /*v260*/, v148, -v104
	s_set_vgpr_msb 0                        ;  msbs: dst=0 src0=0 src1=0 src2=0
	v_dual_add_f32 v83, v83, v110 :: v_dual_add_f32 v81, v81, v200
	s_set_vgpr_msb 1                        ;  msbs: dst=0 src0=1 src1=0 src2=0
	v_dual_mul_f32 v202, v8 /*v264*/, v153 :: v_dual_mul_f32 v89, v14 /*v270*/, v159
	v_fmac_f32_e32 v108, v7 /*v263*/, v150
	s_set_vgpr_msb 0                        ;  msbs: dst=0 src0=0 src1=0 src2=0
	v_dual_add_f32 v83, v83, v111 :: v_dual_add_f32 v81, v81, v201
	s_set_vgpr_msb 1                        ;  msbs: dst=0 src0=1 src1=0 src2=0
	v_dual_mul_f32 v111, v17 /*v273*/, v161 :: v_dual_fma_f32 v102, v6 /*v262*/, v150, -v102
	v_fmac_f32_e32 v202, v9 /*v265*/, v152
	s_set_vgpr_msb 0                        ;  msbs: dst=0 src0=0 src1=0 src2=0
	v_dual_add_f32 v83, v83, v104 :: v_dual_add_f32 v81, v81, v106
	s_set_vgpr_msb 1                        ;  msbs: dst=0 src0=1 src1=0 src2=0
	v_dual_mul_f32 v104, v19 /*v275*/, v163 :: v_dual_fma_f32 v106, v8 /*v264*/, v152, -v112
	v_dual_mul_f32 v204, v12 /*v268*/, v157 :: v_dual_mul_f32 v87, v18 /*v274*/, v163
	s_set_vgpr_msb 0                        ;  msbs: dst=0 src0=0 src1=0 src2=0
	v_dual_add_f32 v81, v81, v108 :: v_dual_add_f32 v83, v83, v102
	s_set_vgpr_msb 1                        ;  msbs: dst=0 src0=1 src1=0 src2=0
	v_dual_mul_f32 v107, v13 /*v269*/, v157 :: v_dual_mul_f32 v110, v15 /*v271*/, v159
	v_dual_mul_f32 v102, v21 /*v277*/, v165 :: v_dual_fmac_f32 v203, v11 /*v267*/, v154
	v_fma_f32 v85, v10 /*v266*/, v154, -v85
	s_set_vgpr_msb 0                        ;  msbs: dst=0 src0=0 src1=0 src2=0
	v_add_f32_e32 v83, v83, v106
	s_set_vgpr_msb 1                        ;  msbs: dst=0 src0=1 src1=0 src2=0
	v_mul_f32_e32 v106, v23 /*v279*/, v167
	s_set_vgpr_msb 0                        ;  msbs: dst=0 src0=0 src1=0 src2=0
	v_add_f32_e32 v81, v81, v202
	s_set_vgpr_msb 1                        ;  msbs: dst=0 src0=1 src1=0 src2=0
	v_dual_fmac_f32 v204, v13 /*v269*/, v156 :: v_dual_fma_f32 v107, v12 /*v268*/, v156, -v107
	s_set_vgpr_msb 0                        ;  msbs: dst=0 src0=0 src1=0 src2=0
	v_add_f32_e32 v83, v83, v85
	s_set_vgpr_msb 1                        ;  msbs: dst=0 src0=1 src1=0 src2=0
	v_dual_mul_f32 v91, v16 /*v272*/, v161 :: v_dual_mul_f32 v95, v22 /*v278*/, v167
	s_set_vgpr_msb 0                        ;  msbs: dst=0 src0=0 src1=0 src2=0
	v_add_f32_e32 v81, v81, v203
	s_set_vgpr_msb 1                        ;  msbs: dst=0 src0=1 src1=0 src2=0
	v_dual_mul_f32 v85, v25 /*v281*/, v169 :: v_dual_fmac_f32 v89, v15 /*v271*/, v158
	v_fma_f32 v108, v14 /*v270*/, v158, -v110
	s_set_vgpr_msb 0                        ;  msbs: dst=0 src0=0 src1=0 src2=0
	v_dual_add_f32 v83, v83, v107 :: v_dual_add_f32 v81, v81, v204
	s_set_vgpr_msb 1                        ;  msbs: dst=0 src0=1 src1=0 src2=0
	v_dual_mul_f32 v107, v27 /*v283*/, v171 :: v_dual_fmac_f32 v91, v17 /*v273*/, v160
	v_dual_fma_f32 v104, v18 /*v274*/, v162, -v104 :: v_dual_fma_f32 v110, v16 /*v272*/, v160, -v111
	s_set_vgpr_msb 0                        ;  msbs: dst=0 src0=0 src1=0 src2=0
	v_dual_add_f32 v81, v81, v89 :: v_dual_add_f32 v83, v83, v108
	s_set_vgpr_msb 1                        ;  msbs: dst=0 src0=1 src1=0 src2=0
	v_dual_mul_f32 v93, v20 /*v276*/, v165 :: v_dual_mul_f32 v99, v26 /*v282*/, v171
	v_dual_mul_f32 v89, v29 /*v285*/, v173 :: v_dual_fmac_f32 v87, v19 /*v275*/, v162
	s_set_vgpr_msb 0                        ;  msbs: dst=0 src0=0 src1=0 src2=0
	v_dual_add_f32 v81, v81, v91 :: v_dual_add_f32 v83, v83, v110
	s_set_vgpr_msb 1                        ;  msbs: dst=0 src0=1 src1=0 src2=0
	v_dual_mul_f32 v91, v31 /*v287*/, v175 :: v_dual_fma_f32 v102, v20 /*v276*/, v164, -v102
	v_fmac_f32_e32 v93, v21 /*v277*/, v164
	s_set_vgpr_msb 0                        ;  msbs: dst=0 src0=0 src1=0 src2=0
	v_dual_add_f32 v81, v81, v87 :: v_dual_add_f32 v83, v83, v104
	s_set_vgpr_msb 1                        ;  msbs: dst=0 src0=1 src1=0 src2=0
	v_dual_mul_f32 v87, v33 /*v289*/, v177 :: v_dual_fmac_f32 v95, v23 /*v279*/, v166
	v_fma_f32 v104, v22 /*v278*/, v166, -v106
	s_set_vgpr_msb 0                        ;  msbs: dst=0 src0=0 src1=0 src2=0
	v_dual_add_f32 v81, v81, v93 :: v_dual_add_f32 v83, v83, v102
	s_set_vgpr_msb 1                        ;  msbs: dst=0 src0=1 src1=0 src2=0
	v_dual_mul_f32 v97, v24 /*v280*/, v169 :: v_dual_mul_f32 v109, v30 /*v286*/, v175
	v_dual_mul_f32 v93, v35 /*v291*/, v179 :: v_dual_fma_f32 v85, v24 /*v280*/, v168, -v85
	s_set_vgpr_msb 0                        ;  msbs: dst=0 src0=0 src1=0 src2=0
	v_dual_add_f32 v81, v81, v95 :: v_dual_add_f32 v83, v83, v104
	s_set_vgpr_msb 1                        ;  msbs: dst=0 src0=1 src1=0 src2=0
	v_dual_mul_f32 v101, v28 /*v284*/, v173 :: v_dual_mul_f32 v103, v34 /*v290*/, v179
	v_dual_fmac_f32 v97, v25 /*v281*/, v168 :: v_dual_fmac_f32 v99, v27 /*v283*/, v170
	v_dual_mul_f32 v95, v37 /*v293*/, v181 :: v_dual_fma_f32 v102, v26 /*v282*/, v170, -v107
	s_delay_alu instid0(VALU_DEP_3)
	v_fmac_f32_e32 v101, v29 /*v285*/, v172
	s_set_vgpr_msb 0                        ;  msbs: dst=0 src0=0 src1=0 src2=0
	v_add_f32_e32 v83, v83, v85
	v_add_f32_e32 v81, v81, v97
	s_set_vgpr_msb 1                        ;  msbs: dst=0 src0=1 src1=0 src2=0
	v_dual_fma_f32 v85, v28 /*v284*/, v172, -v89 :: v_dual_fma_f32 v89, v30 /*v286*/, v174, -v91
	s_wait_loadcnt 0x4
	s_set_vgpr_msb 0                        ;  msbs: dst=0 src0=0 src1=0 src2=0
	v_pk_mul_f32 v[106:107], v[214:215], v[182:183] op_sel:[1,1] op_sel_hi:[0,1]
	v_dual_add_f32 v83, v83, v102 :: v_dual_add_f32 v81, v81, v99
	v_mov_b32_e32 v108, v185
	s_set_vgpr_msb 1                        ;  msbs: dst=0 src0=1 src1=0 src2=0
	v_fmac_f32_e32 v109, v31 /*v287*/, v174
	v_dual_fmac_f32 v113, v33 /*v289*/, v176 :: v_dual_fmac_f32 v103, v35 /*v291*/, v178
	s_set_vgpr_msb 0                        ;  msbs: dst=0 src0=0 src1=0 src2=0
	v_add_f32_e32 v83, v83, v85
	v_add_f32_e32 v81, v81, v101
	s_set_vgpr_msb 1                        ;  msbs: dst=0 src0=1 src1=0 src2=0
	v_fma_f32 v85, v32 /*v288*/, v176, -v87
	s_wait_loadcnt 0x3
	s_set_vgpr_msb 0                        ;  msbs: dst=0 src0=0 src1=0 src2=0
	v_mov_b32_e32 v112, v189
	v_pk_fma_f32 v[116:117], v[214:215], v[182:183], v[106:107] op_sel_hi:[1,0,1]
	v_add_f32_e32 v83, v83, v89
	s_set_vgpr_msb 1                        ;  msbs: dst=0 src0=1 src1=0 src2=0
	v_dual_fma_f32 v102, v34 /*v290*/, v178, -v93 :: v_dual_fma_f32 v104, v36 /*v292*/, v180, -v95
	s_set_vgpr_msb 0                        ;  msbs: dst=0 src0=0 src1=0 src2=0
	v_pk_fma_f32 v[106:107], v[214:215], v[182:183], v[106:107] neg_lo:[0,0,1] neg_hi:[0,0,1]
	s_set_vgpr_msb 1                        ;  msbs: dst=0 src0=1 src1=0 src2=0
	v_dual_fmac_f32 v105, v37 /*v293*/, v180 :: v_dual_ashrrev_i32 v87, 31, v86
	s_set_vgpr_msb 0                        ;  msbs: dst=0 src0=0 src1=0 src2=0
	v_dual_add_f32 v114, v83, v85 :: v_dual_mov_b32 v107, v117
	v_dual_ashrrev_i32 v83, 31, v82 :: v_dual_add_f32 v81, v81, v109
	v_ashrrev_i32_e32 v85, 31, v84
	s_set_vgpr_msb 1                        ;  msbs: dst=0 src0=1 src1=0 src2=0
	v_pk_mul_f32 v[108:109], v[40:41] /*v[296:297]*/, v[108:109] op_sel_hi:[1,0]
	s_set_vgpr_msb 0                        ;  msbs: dst=0 src0=0 src1=0 src2=0
	v_pk_mul_f32 v[110:111], v[218:219], v[186:187] op_sel:[1,1] op_sel_hi:[0,1]
	v_dual_ashrrev_i32 v89, 31, v88 :: v_dual_ashrrev_i32 v91, 31, v90
	v_dual_add_f32 v115, v81, v113 :: v_dual_ashrrev_i32 v81, 31, v80
	v_pk_fma_f32 v[116:117], v[216:217], v[184:185], v[108:109] op_sel_hi:[1,0,1]
	s_set_vgpr_msb 1                        ;  msbs: dst=0 src0=1 src1=0 src2=0
	v_pk_mul_f32 v[112:113], v[42:43] /*v[298:299]*/, v[112:113] op_sel_hi:[1,0]
	s_set_vgpr_msb 0                        ;  msbs: dst=0 src0=0 src1=0 src2=0
	v_pk_fma_f32 v[108:109], v[216:217], v[184:185], v[108:109] neg_lo:[0,0,1] neg_hi:[0,0,1]
	v_pk_add_f32 v[102:103], v[114:115], v[102:103]
	s_wait_loadcnt 0x2
	v_pk_mul_f32 v[114:115], v[230:231], v[190:191] op_sel:[1,1] op_sel_hi:[0,1]
	v_dual_mov_b32 v109, v117 :: v_dual_ashrrev_i32 v93, 31, v92
	v_ashrrev_i32_e32 v95, 31, v94
	v_pk_add_f32 v[102:103], v[102:103], v[104:105]
	v_pk_fma_f32 v[104:105], v[218:219], v[186:187], v[110:111] op_sel_hi:[1,0,1]
	v_dual_mov_b32 v104, v193 :: v_dual_ashrrev_i32 v97, 31, v96
	v_ashrrev_i32_e32 v99, 31, v98
	s_delay_alu instid0(VALU_DEP_4)
	v_pk_add_f32 v[102:103], v[102:103], v[106:107]
	v_pk_fma_f32 v[106:107], v[218:219], v[186:187], v[110:111] neg_lo:[0,0,1] neg_hi:[0,0,1]
	v_pk_fma_f32 v[110:111], v[220:221], v[188:189], v[112:113] op_sel_hi:[1,0,1]
	v_pk_fma_f32 v[112:113], v[220:221], v[188:189], v[112:113] neg_lo:[0,0,1] neg_hi:[0,0,1]
	v_ashrrev_i32_e32 v101, 31, v100
	v_pk_add_f32 v[102:103], v[102:103], v[108:109]
	v_pk_fma_f32 v[108:109], v[230:231], v[190:191], v[114:115] op_sel_hi:[1,0,1]
	v_mov_b32_e32 v107, v105
	s_set_vgpr_msb 1                        ;  msbs: dst=0 src0=1 src1=0 src2=0
	v_pk_mul_f32 v[104:105], v[44:45] /*v[300:301]*/, v[104:105] op_sel_hi:[1,0]
	s_set_vgpr_msb 0                        ;  msbs: dst=0 src0=0 src1=0 src2=0
	v_mov_b32_e32 v113, v111
	v_pk_fma_f32 v[110:111], v[230:231], v[190:191], v[114:115] neg_lo:[0,0,1] neg_hi:[0,0,1]
	v_mov_b32_e32 v111, v109
	v_pk_add_f32 v[102:103], v[102:103], v[106:107]
	v_pk_fma_f32 v[108:109], v[232:233], v[192:193], v[104:105] op_sel_hi:[1,0,1]
	s_wait_loadcnt 0x1
	v_pk_mul_f32 v[106:107], v[234:235], v[194:195] op_sel:[1,1] op_sel_hi:[0,1]
	v_mov_b32_e32 v108, v197
	v_pk_fma_f32 v[104:105], v[232:233], v[192:193], v[104:105] neg_lo:[0,0,1] neg_hi:[0,0,1]
	v_pk_add_f32 v[102:103], v[102:103], v[112:113]
	v_mov_b32_e32 v105, v109
	v_pk_fma_f32 v[112:113], v[234:235], v[194:195], v[106:107] op_sel_hi:[1,0,1]
	s_set_vgpr_msb 1                        ;  msbs: dst=0 src0=1 src1=0 src2=0
	v_pk_mul_f32 v[108:109], v[46:47] /*v[302:303]*/, v[108:109] op_sel_hi:[1,0]
	s_set_vgpr_msb 0                        ;  msbs: dst=0 src0=0 src1=0 src2=0
	v_pk_fma_f32 v[106:107], v[234:235], v[194:195], v[106:107] neg_lo:[0,0,1] neg_hi:[0,0,1]
	v_pk_add_f32 v[102:103], v[102:103], v[110:111]
	s_delay_alu instid0(VALU_DEP_1) | instskip(SKIP_3) | instid1(VALU_DEP_3)
	v_pk_add_f32 v[102:103], v[102:103], v[104:105]
	v_pk_fma_f32 v[104:105], v[236:237], v[196:197], v[108:109] op_sel_hi:[1,0,1]
	v_mov_b32_e32 v107, v113
	v_pk_fma_f32 v[108:109], v[236:237], v[196:197], v[108:109] neg_lo:[0,0,1] neg_hi:[0,0,1]
	v_mov_b32_e32 v109, v105
	s_delay_alu instid0(VALU_DEP_3) | instskip(NEXT) | instid1(VALU_DEP_1)
	v_pk_add_f32 v[102:103], v[102:103], v[106:107]
	v_pk_add_f32 v[102:103], v[102:103], v[108:109]
	s_wait_loadcnt 0x0
	s_set_vgpr_msb 1                        ;  msbs: dst=0 src0=1 src1=0 src2=0
	s_delay_alu instid0(VALU_DEP_1)
	v_pk_add_f32 v[102:103], v[38:39] /*v[294:295]*/, v[102:103] neg_lo:[0,1] neg_hi:[0,1]
	scratch_store_b64 off, v[102:103], off offset:8
	s_wait_xcnt 0x0
	v_cmpx_ne_u32_e32 0, v0
	s_set_vgpr_msb 0                        ;  msbs: dst=0 src0=0 src1=0 src2=0
	s_cbranch_execz .LBB49_313
; %bb.312:
	scratch_load_b64 v[102:103], off, off
	v_mov_b64_e32 v[104:105], 0
	scratch_store_b64 off, v[104:105], off
	s_wait_loadcnt 0x0
	ds_store_b64 v1, v[102:103]
.LBB49_313:
	s_wait_xcnt 0x0
	s_or_b32 exec_lo, exec_lo, s0
	s_wait_storecnt_dscnt 0x0
	s_barrier_signal -1
	s_barrier_wait -1
	s_clause 0xf
	scratch_load_b128 v[108:111], off, off offset:8
	scratch_load_b128 v[116:119], off, off offset:24
	;; [unrolled: 1-line block ×16, first 2 shown]
	v_mov_b32_e32 v102, 0
	s_clause 0x4
	scratch_load_b128 v[236:239], off, off offset:264
	scratch_load_b128 v[244:247], off, off offset:280
	;; [unrolled: 1-line block ×3, first 2 shown]
	s_set_vgpr_msb 64                       ;  msbs: dst=1 src0=0 src1=0 src2=0
	scratch_load_b128 v[4:7] /*v[260:263]*/, off, off offset:312
	s_set_vgpr_msb 0                        ;  msbs: dst=0 src0=0 src1=0 src2=0
	ds_load_2addr_b64 v[104:107], v102 offset0:51 offset1:52
	ds_load_2addr_b64 v[112:115], v102 offset0:53 offset1:54
	s_set_vgpr_msb 64                       ;  msbs: dst=1 src0=0 src1=0 src2=0
	scratch_load_b128 v[12:15] /*v[268:271]*/, off, off offset:328
	s_and_b32 vcc_lo, exec_lo, s18
	s_wait_loadcnt_dscnt 0x1401
	s_set_vgpr_msb 0                        ;  msbs: dst=0 src0=0 src1=0 src2=0
	v_dual_mul_f32 v0, v104, v109 :: v_dual_mul_f32 v1, v106, v111
	ds_load_2addr_b64 v[120:123], v102 offset0:55 offset1:56
	ds_load_2addr_b64 v[128:131], v102 offset0:57 offset1:58
	;; [unrolled: 1-line block ×4, first 2 shown]
	v_dual_fmac_f32 v0, v105, v108 :: v_dual_fmac_f32 v1, v107, v110
	ds_load_2addr_b64 v[152:155], v102 offset0:63 offset1:64
	ds_load_2addr_b64 v[160:163], v102 offset0:65 offset1:66
	;; [unrolled: 1-line block ×4, first 2 shown]
	v_add_f32_e32 v0, 0, v0
	ds_load_2addr_b64 v[184:187], v102 offset0:71 offset1:72
	ds_load_2addr_b64 v[192:195], v102 offset0:73 offset1:74
	ds_load_2addr_b64 v[200:203], v102 offset0:75 offset1:76
	ds_load_2addr_b64 v[208:211], v102 offset0:77 offset1:78
	v_add_f32_e32 v0, v0, v1
	s_wait_loadcnt_dscnt 0x130c
	v_mul_f32_e32 v1, v112, v117
	ds_load_2addr_b64 v[216:219], v102 offset0:79 offset1:80
	ds_load_2addr_b64 v[224:227], v102 offset0:81 offset1:82
	;; [unrolled: 1-line block ×4, first 2 shown]
	v_fmac_f32_e32 v1, v113, v116
	ds_load_2addr_b64 v[248:251], v102 offset0:87 offset1:88
	s_set_vgpr_msb 64                       ;  msbs: dst=1 src0=0 src1=0 src2=0
	ds_load_2addr_b64 v[0:3] /*v[256:259]*/, v102 offset0:89 offset1:90
	ds_load_2addr_b64 v[8:11] /*v[264:267]*/, v102 offset0:91 offset1:92
	s_clause 0x3
	scratch_load_b128 v[16:19] /*v[272:275]*/, off, off offset:344
	scratch_load_b128 v[20:23] /*v[276:279]*/, off, off offset:360
	;; [unrolled: 1-line block ×3, first 2 shown]
	scratch_load_b64 v[32:33] /*v[288:289]*/, off, off offset:392
	s_set_vgpr_msb 0                        ;  msbs: dst=0 src0=0 src1=0 src2=0
	v_dual_add_f32 v0, v0, v1 :: v_dual_mul_f32 v1, v114, v119
	v_mul_f32_e32 v103, v107, v111
	s_delay_alu instid0(VALU_DEP_2) | instskip(NEXT) | instid1(VALU_DEP_1)
	v_fmac_f32_e32 v1, v115, v118
	v_dual_fma_f32 v103, v106, v110, -v103 :: v_dual_add_f32 v0, v0, v1
	s_wait_loadcnt_dscnt 0x1612
	v_mul_f32_e32 v1, v120, v125
	s_delay_alu instid0(VALU_DEP_1)
	v_fmac_f32_e32 v1, v121, v124
	s_wait_loadcnt_dscnt 0x400
	s_set_vgpr_msb 0x45                     ;  msbs: dst=1 src0=1 src1=1 src2=0
	v_dual_mul_f32 v29 /*v285*/, v2 /*v258*/, v7 /*v263*/ :: v_dual_mul_f32 v31 /*v287*/, v8 /*v264*/, v13 /*v269*/
	s_set_vgpr_msb 0                        ;  msbs: dst=0 src0=0 src1=0 src2=0
	v_dual_add_f32 v0, v0, v1 :: v_dual_mul_f32 v1, v122, v127
	s_set_vgpr_msb 0x45                     ;  msbs: dst=1 src0=1 src1=1 src2=0
	s_delay_alu instid0(VALU_DEP_2) | instskip(SKIP_1) | instid1(VALU_DEP_2)
	v_dual_fmac_f32 v29 /*v285*/, v3 /*v259*/, v6 /*v262*/ :: v_dual_fmac_f32 v31 /*v287*/, v9 /*v265*/, v12 /*v268*/
	s_set_vgpr_msb 0                        ;  msbs: dst=0 src0=0 src1=0 src2=0
	v_fmac_f32_e32 v1, v123, v126
	s_delay_alu instid0(VALU_DEP_1) | instskip(SKIP_1) | instid1(VALU_DEP_1)
	v_add_f32_e32 v0, v0, v1
	v_mul_f32_e32 v1, v128, v133
	v_fmac_f32_e32 v1, v129, v132
	s_delay_alu instid0(VALU_DEP_1) | instskip(NEXT) | instid1(VALU_DEP_1)
	v_dual_add_f32 v0, v0, v1 :: v_dual_mul_f32 v1, v130, v135
	v_fmac_f32_e32 v1, v131, v134
	s_delay_alu instid0(VALU_DEP_1) | instskip(SKIP_1) | instid1(VALU_DEP_1)
	v_add_f32_e32 v0, v0, v1
	v_mul_f32_e32 v1, v136, v141
	v_fmac_f32_e32 v1, v137, v140
	s_delay_alu instid0(VALU_DEP_1) | instskip(NEXT) | instid1(VALU_DEP_1)
	v_dual_add_f32 v0, v0, v1 :: v_dual_mul_f32 v1, v138, v143
	;; [unrolled: 7-line block ×16, first 2 shown]
	v_fmac_f32_e32 v1, v251, v254
	s_delay_alu instid0(VALU_DEP_1) | instskip(SKIP_2) | instid1(VALU_DEP_1)
	v_add_f32_e32 v0, v0, v1
	s_set_vgpr_msb 5                        ;  msbs: dst=0 src0=1 src1=1 src2=0
	v_mul_f32_e32 v1, v0 /*v256*/, v5 /*v261*/
	v_fmac_f32_e32 v1, v1 /*v257*/, v4 /*v260*/
	s_set_vgpr_msb 0                        ;  msbs: dst=0 src0=0 src1=0 src2=0
	s_delay_alu instid0(VALU_DEP_1) | instskip(SKIP_1) | instid1(VALU_DEP_1)
	v_add_f32_e32 v1, v0, v1
	v_mul_f32_e32 v0, v105, v109
	v_fma_f32 v0, v104, v108, -v0
	s_delay_alu instid0(VALU_DEP_1) | instskip(NEXT) | instid1(VALU_DEP_1)
	v_add_f32_e32 v0, 0, v0
	v_dual_add_f32 v0, v0, v103 :: v_dual_mul_f32 v103, v113, v117
	s_delay_alu instid0(VALU_DEP_1) | instskip(NEXT) | instid1(VALU_DEP_1)
	v_fma_f32 v103, v112, v116, -v103
	v_add_f32_e32 v0, v0, v103
	v_mul_f32_e32 v103, v115, v119
	s_set_vgpr_msb 1                        ;  msbs: dst=0 src0=1 src1=0 src2=0
	v_mov_b32_e32 v119, v10 /*v266*/
	s_set_vgpr_msb 0                        ;  msbs: dst=0 src0=0 src1=0 src2=0
	s_delay_alu instid0(VALU_DEP_2)
	v_fma_f32 v103, v114, v118, -v103
	s_set_vgpr_msb 1                        ;  msbs: dst=0 src0=1 src1=0 src2=0
	v_mov_b32_e32 v118, v11 /*v267*/
	s_set_vgpr_msb 0                        ;  msbs: dst=0 src0=0 src1=0 src2=0
	ds_load_2addr_b64 v[104:107], v102 offset0:93 offset1:94
	ds_load_2addr_b64 v[108:111], v102 offset0:95 offset1:96
	;; [unrolled: 1-line block ×3, first 2 shown]
	ds_load_b64 v[116:117], v102 offset:792
	v_dual_add_f32 v0, v0, v103 :: v_dual_mul_f32 v103, v121, v125
	s_delay_alu instid0(VALU_DEP_1) | instskip(SKIP_3) | instid1(VALU_DEP_2)
	v_fma_f32 v103, v120, v124, -v103
	s_set_vgpr_msb 1                        ;  msbs: dst=0 src0=1 src1=0 src2=0
	v_mov_b32_e32 v120, v15 /*v271*/
	s_set_vgpr_msb 0                        ;  msbs: dst=0 src0=0 src1=0 src2=0
	v_add_f32_e32 v0, v0, v103
	v_mul_f32_e32 v103, v123, v127
	s_delay_alu instid0(VALU_DEP_3) | instskip(NEXT) | instid1(VALU_DEP_2)
	v_pk_mul_f32 v[118:119], v[118:119], v[120:121] op_sel_hi:[1,0]
	v_fma_f32 v103, v122, v126, -v103
	s_set_vgpr_msb 5                        ;  msbs: dst=0 src0=1 src1=1 src2=0
	s_delay_alu instid0(VALU_DEP_2) | instskip(SKIP_3) | instid1(VALU_DEP_2)
	v_pk_fma_f32 v[120:121], v[10:11] /*v[266:267]*/, v[14:15] /*v[270:271]*/, v[118:119] neg_lo:[0,0,1] neg_hi:[0,0,1]
	v_pk_fma_f32 v[118:119], v[10:11] /*v[266:267]*/, v[14:15] /*v[270:271]*/, v[118:119] op_sel_hi:[1,0,1]
	s_set_vgpr_msb 0                        ;  msbs: dst=0 src0=0 src1=0 src2=0
	v_dual_add_f32 v0, v0, v103 :: v_dual_mul_f32 v103, v129, v133
	v_mov_b32_e32 v121, v119
	s_wait_loadcnt_dscnt 0x303
	s_set_vgpr_msb 4                        ;  msbs: dst=0 src0=0 src1=1 src2=0
	v_pk_mul_f32 v[118:119], v[104:105], v[16:17] /*v[272:273]*/ op_sel:[1,1] op_sel_hi:[0,1]
	s_set_vgpr_msb 0                        ;  msbs: dst=0 src0=0 src1=0 src2=0
	v_fma_f32 v103, v128, v132, -v103
	s_delay_alu instid0(VALU_DEP_1) | instskip(SKIP_1) | instid1(VALU_DEP_1)
	v_add_f32_e32 v0, v0, v103
	v_mul_f32_e32 v103, v131, v135
	v_fma_f32 v103, v130, v134, -v103
	s_delay_alu instid0(VALU_DEP_1) | instskip(NEXT) | instid1(VALU_DEP_1)
	v_dual_add_f32 v0, v0, v103 :: v_dual_mul_f32 v103, v137, v141
	v_fma_f32 v103, v136, v140, -v103
	s_delay_alu instid0(VALU_DEP_1) | instskip(SKIP_1) | instid1(VALU_DEP_1)
	v_add_f32_e32 v0, v0, v103
	v_mul_f32_e32 v103, v139, v143
	v_fma_f32 v103, v138, v142, -v103
	s_delay_alu instid0(VALU_DEP_1) | instskip(NEXT) | instid1(VALU_DEP_1)
	v_dual_add_f32 v0, v0, v103 :: v_dual_mul_f32 v103, v145, v149
	;; [unrolled: 7-line block ×15, first 2 shown]
	v_fma_f32 v103, v248, v252, -v103
	s_delay_alu instid0(VALU_DEP_1) | instskip(SKIP_1) | instid1(VALU_DEP_1)
	v_add_f32_e32 v0, v0, v103
	v_mul_f32_e32 v103, v251, v255
	v_fma_f32 v103, v250, v254, -v103
	s_delay_alu instid0(VALU_DEP_1) | instskip(SKIP_2) | instid1(VALU_DEP_1)
	v_add_f32_e32 v0, v0, v103
	s_set_vgpr_msb 5                        ;  msbs: dst=0 src0=1 src1=1 src2=0
	v_mul_f32_e32 v103, v1 /*v257*/, v5 /*v261*/
	v_fma_f32 v103, v0 /*v256*/, v4 /*v260*/, -v103
	s_set_vgpr_msb 0                        ;  msbs: dst=0 src0=0 src1=0 src2=0
	s_delay_alu instid0(VALU_DEP_1) | instskip(SKIP_3) | instid1(VALU_DEP_1)
	v_add_f32_e32 v0, v0, v103
	s_set_vgpr_msb 5                        ;  msbs: dst=0 src0=1 src1=1 src2=0
	v_mul_f32_e32 v103, v3 /*v259*/, v7 /*v263*/
	s_set_vgpr_msb 0x45                     ;  msbs: dst=1 src0=1 src1=1 src2=0
	v_fma_f32 v28 /*v284*/, v2 /*v258*/, v6 /*v262*/, -v103
	s_set_vgpr_msb 5                        ;  msbs: dst=0 src0=1 src1=1 src2=0
	v_mul_f32_e32 v103, v9 /*v265*/, v13 /*v269*/
	s_set_vgpr_msb 0x45                     ;  msbs: dst=1 src0=1 src1=1 src2=0
	s_delay_alu instid0(VALU_DEP_1) | instskip(SKIP_2) | instid1(VALU_DEP_1)
	v_fma_f32 v30 /*v286*/, v8 /*v264*/, v12 /*v268*/, -v103
	s_set_vgpr_msb 4                        ;  msbs: dst=0 src0=0 src1=1 src2=0
	v_pk_add_f32 v[0:1], v[0:1], v[28:29] /*v[284:285]*/
	v_pk_add_f32 v[0:1], v[0:1], v[30:31] /*v[286:287]*/
	s_set_vgpr_msb 0                        ;  msbs: dst=0 src0=0 src1=0 src2=0
	s_delay_alu instid0(VALU_DEP_1)
	v_pk_add_f32 v[0:1], v[0:1], v[120:121]
	s_set_vgpr_msb 4                        ;  msbs: dst=0 src0=0 src1=1 src2=0
	v_pk_fma_f32 v[120:121], v[104:105], v[16:17] /*v[272:273]*/, v[118:119] neg_lo:[0,0,1] neg_hi:[0,0,1]
	v_pk_fma_f32 v[104:105], v[104:105], v[16:17] /*v[272:273]*/, v[118:119] op_sel_hi:[1,0,1]
	v_mov_b32_e32 v104, v107
	s_set_vgpr_msb 1                        ;  msbs: dst=0 src0=1 src1=0 src2=0
	v_mov_b32_e32 v118, v19 /*v275*/
	s_set_vgpr_msb 0                        ;  msbs: dst=0 src0=0 src1=0 src2=0
	v_dual_mov_b32 v121, v105 :: v_dual_mov_b32 v105, v106
	s_delay_alu instid0(VALU_DEP_1) | instskip(NEXT) | instid1(VALU_DEP_2)
	v_pk_add_f32 v[0:1], v[0:1], v[120:121]
	v_pk_mul_f32 v[104:105], v[104:105], v[118:119] op_sel_hi:[1,0]
	s_set_vgpr_msb 4                        ;  msbs: dst=0 src0=0 src1=1 src2=0
	s_delay_alu instid0(VALU_DEP_1) | instskip(SKIP_1) | instid1(VALU_DEP_1)
	v_pk_fma_f32 v[118:119], v[106:107], v[18:19] /*v[274:275]*/, v[104:105] neg_lo:[0,0,1] neg_hi:[0,0,1]
	v_pk_fma_f32 v[104:105], v[106:107], v[18:19] /*v[274:275]*/, v[104:105] op_sel_hi:[1,0,1]
	v_mov_b32_e32 v119, v105
	s_wait_loadcnt_dscnt 0x202
	v_pk_mul_f32 v[104:105], v[108:109], v[20:21] /*v[276:277]*/ op_sel:[1,1] op_sel_hi:[0,1]
	s_set_vgpr_msb 0                        ;  msbs: dst=0 src0=0 src1=0 src2=0
	s_delay_alu instid0(VALU_DEP_2) | instskip(SKIP_1) | instid1(VALU_DEP_2)
	v_pk_add_f32 v[0:1], v[0:1], v[118:119]
	s_set_vgpr_msb 4                        ;  msbs: dst=0 src0=0 src1=1 src2=0
	v_pk_fma_f32 v[106:107], v[108:109], v[20:21] /*v[276:277]*/, v[104:105] neg_lo:[0,0,1] neg_hi:[0,0,1]
	v_pk_fma_f32 v[104:105], v[108:109], v[20:21] /*v[276:277]*/, v[104:105] op_sel_hi:[1,0,1]
	s_delay_alu instid0(VALU_DEP_1) | instskip(SKIP_2) | instid1(VALU_DEP_2)
	v_dual_mov_b32 v104, v111 :: v_dual_mov_b32 v107, v105
	v_mov_b32_e32 v105, v110
	s_set_vgpr_msb 0                        ;  msbs: dst=0 src0=0 src1=0 src2=0
	v_pk_add_f32 v[0:1], v[0:1], v[106:107]
	s_set_vgpr_msb 1                        ;  msbs: dst=0 src0=1 src1=0 src2=0
	v_mov_b32_e32 v106, v23 /*v279*/
	s_set_vgpr_msb 0                        ;  msbs: dst=0 src0=0 src1=0 src2=0
	s_delay_alu instid0(VALU_DEP_1) | instskip(SKIP_1) | instid1(VALU_DEP_1)
	v_pk_mul_f32 v[104:105], v[104:105], v[106:107] op_sel_hi:[1,0]
	s_set_vgpr_msb 4                        ;  msbs: dst=0 src0=0 src1=1 src2=0
	v_pk_fma_f32 v[106:107], v[110:111], v[22:23] /*v[278:279]*/, v[104:105] neg_lo:[0,0,1] neg_hi:[0,0,1]
	v_pk_fma_f32 v[104:105], v[110:111], v[22:23] /*v[278:279]*/, v[104:105] op_sel_hi:[1,0,1]
	s_delay_alu instid0(VALU_DEP_1) | instskip(SKIP_3) | instid1(VALU_DEP_2)
	v_mov_b32_e32 v107, v105
	s_wait_loadcnt_dscnt 0x101
	v_pk_mul_f32 v[104:105], v[112:113], v[24:25] /*v[280:281]*/ op_sel:[1,1] op_sel_hi:[0,1]
	s_set_vgpr_msb 0                        ;  msbs: dst=0 src0=0 src1=0 src2=0
	v_pk_add_f32 v[0:1], v[0:1], v[106:107]
	s_set_vgpr_msb 4                        ;  msbs: dst=0 src0=0 src1=1 src2=0
	s_delay_alu instid0(VALU_DEP_2) | instskip(SKIP_1) | instid1(VALU_DEP_1)
	v_pk_fma_f32 v[106:107], v[112:113], v[24:25] /*v[280:281]*/, v[104:105] neg_lo:[0,0,1] neg_hi:[0,0,1]
	v_pk_fma_f32 v[104:105], v[112:113], v[24:25] /*v[280:281]*/, v[104:105] op_sel_hi:[1,0,1]
	v_dual_mov_b32 v104, v115 :: v_dual_mov_b32 v107, v105
	v_mov_b32_e32 v105, v114
	s_set_vgpr_msb 0                        ;  msbs: dst=0 src0=0 src1=0 src2=0
	s_delay_alu instid0(VALU_DEP_2) | instskip(SKIP_3) | instid1(VALU_DEP_1)
	v_pk_add_f32 v[0:1], v[0:1], v[106:107]
	s_set_vgpr_msb 1                        ;  msbs: dst=0 src0=1 src1=0 src2=0
	v_mov_b32_e32 v106, v27 /*v283*/
	s_set_vgpr_msb 0                        ;  msbs: dst=0 src0=0 src1=0 src2=0
	v_pk_mul_f32 v[104:105], v[104:105], v[106:107] op_sel_hi:[1,0]
	s_set_vgpr_msb 4                        ;  msbs: dst=0 src0=0 src1=1 src2=0
	s_delay_alu instid0(VALU_DEP_1) | instskip(SKIP_1) | instid1(VALU_DEP_1)
	v_pk_fma_f32 v[106:107], v[114:115], v[26:27] /*v[282:283]*/, v[104:105] neg_lo:[0,0,1] neg_hi:[0,0,1]
	v_pk_fma_f32 v[104:105], v[114:115], v[26:27] /*v[282:283]*/, v[104:105] op_sel_hi:[1,0,1]
	v_mov_b32_e32 v107, v105
	s_wait_loadcnt_dscnt 0x0
	v_pk_mul_f32 v[104:105], v[116:117], v[32:33] /*v[288:289]*/ op_sel:[1,1] op_sel_hi:[0,1]
	s_set_vgpr_msb 0                        ;  msbs: dst=0 src0=0 src1=0 src2=0
	s_delay_alu instid0(VALU_DEP_2) | instskip(SKIP_1) | instid1(VALU_DEP_2)
	v_pk_add_f32 v[0:1], v[0:1], v[106:107]
	s_set_vgpr_msb 4                        ;  msbs: dst=0 src0=0 src1=1 src2=0
	v_pk_fma_f32 v[106:107], v[116:117], v[32:33] /*v[288:289]*/, v[104:105] neg_lo:[0,0,1] neg_hi:[0,0,1]
	v_pk_fma_f32 v[104:105], v[116:117], v[32:33] /*v[288:289]*/, v[104:105] op_sel_hi:[1,0,1]
	s_delay_alu instid0(VALU_DEP_1) | instskip(SKIP_4) | instid1(VALU_DEP_1)
	v_mov_b32_e32 v107, v105
	scratch_load_b64 v[104:105], off, off
	s_set_vgpr_msb 0                        ;  msbs: dst=0 src0=0 src1=0 src2=0
	v_pk_add_f32 v[0:1], v[0:1], v[106:107]
	s_wait_loadcnt 0x0
	v_pk_add_f32 v[0:1], v[104:105], v[0:1] neg_lo:[0,1] neg_hi:[0,1]
	scratch_store_b64 off, v[0:1], off
	s_cbranch_vccz .LBB49_412
; %bb.314:
	global_load_b32 v0, v102, s[2:3] offset:192
	s_wait_loadcnt 0x0
	v_cmp_ne_u32_e32 vcc_lo, 49, v0
	s_cbranch_vccz .LBB49_316
; %bb.315:
	v_lshlrev_b32_e32 v0, 3, v0
	s_delay_alu instid0(VALU_DEP_1)
	v_mov_b32_e32 v104, v0
	scratch_load_b64 v[0:1], v104, off offset:-8
	scratch_load_b64 v[102:103], off, off offset:384
	s_wait_loadcnt 0x1
	scratch_store_b64 off, v[0:1], off offset:384
	s_wait_loadcnt 0x0
	scratch_store_b64 v104, v[102:103], off offset:-8
.LBB49_316:
	s_wait_xcnt 0x1
	v_mov_b32_e32 v0, 0
	global_load_b32 v1, v0, s[2:3] offset:188
	s_wait_loadcnt 0x0
	v_cmp_eq_u32_e32 vcc_lo, 48, v1
	s_cbranch_vccnz .LBB49_318
; %bb.317:
	v_lshlrev_b32_e32 v1, 3, v1
	scratch_load_b64 v[102:103], v1, off offset:-8
	scratch_load_b64 v[104:105], off, off offset:376
	s_wait_loadcnt 0x1
	scratch_store_b64 off, v[102:103], off offset:376
	s_wait_loadcnt 0x0
	scratch_store_b64 v1, v[104:105], off offset:-8
.LBB49_318:
	global_load_b32 v0, v0, s[2:3] offset:184
	s_wait_loadcnt 0x0
	v_cmp_eq_u32_e32 vcc_lo, 47, v0
	s_cbranch_vccnz .LBB49_320
; %bb.319:
	s_wait_xcnt 0x0
	v_lshlrev_b32_e32 v0, 3, v0
	s_delay_alu instid0(VALU_DEP_1)
	v_mov_b32_e32 v104, v0
	scratch_load_b64 v[0:1], v104, off offset:-8
	scratch_load_b64 v[102:103], off, off offset:368
	s_wait_loadcnt 0x1
	scratch_store_b64 off, v[0:1], off offset:368
	s_wait_loadcnt 0x0
	scratch_store_b64 v104, v[102:103], off offset:-8
.LBB49_320:
	s_wait_xcnt 0x0
	v_mov_b32_e32 v0, 0
	global_load_b32 v1, v0, s[2:3] offset:180
	s_wait_loadcnt 0x0
	v_cmp_eq_u32_e32 vcc_lo, 46, v1
	s_cbranch_vccnz .LBB49_322
; %bb.321:
	v_lshlrev_b32_e32 v1, 3, v1
	scratch_load_b64 v[102:103], v1, off offset:-8
	scratch_load_b64 v[104:105], off, off offset:360
	s_wait_loadcnt 0x1
	scratch_store_b64 off, v[102:103], off offset:360
	s_wait_loadcnt 0x0
	scratch_store_b64 v1, v[104:105], off offset:-8
.LBB49_322:
	global_load_b32 v0, v0, s[2:3] offset:176
	s_wait_loadcnt 0x0
	v_cmp_eq_u32_e32 vcc_lo, 45, v0
	s_cbranch_vccnz .LBB49_324
; %bb.323:
	s_wait_xcnt 0x0
	v_lshlrev_b32_e32 v0, 3, v0
	s_delay_alu instid0(VALU_DEP_1)
	v_mov_b32_e32 v104, v0
	scratch_load_b64 v[0:1], v104, off offset:-8
	scratch_load_b64 v[102:103], off, off offset:352
	s_wait_loadcnt 0x1
	scratch_store_b64 off, v[0:1], off offset:352
	s_wait_loadcnt 0x0
	scratch_store_b64 v104, v[102:103], off offset:-8
.LBB49_324:
	;; [unrolled: 31-line block ×23, first 2 shown]
	s_wait_xcnt 0x0
	v_mov_b32_e32 v0, 0
	global_load_b32 v1, v0, s[2:3] offset:4
	s_wait_loadcnt 0x0
	v_cmp_eq_u32_e32 vcc_lo, 2, v1
	s_cbranch_vccnz .LBB49_410
; %bb.409:
	v_lshlrev_b32_e32 v1, 3, v1
	scratch_load_b64 v[102:103], v1, off offset:-8
	scratch_load_b64 v[104:105], off, off offset:8
	s_wait_loadcnt 0x1
	scratch_store_b64 off, v[102:103], off offset:8
	s_wait_loadcnt 0x0
	scratch_store_b64 v1, v[104:105], off offset:-8
.LBB49_410:
	global_load_b32 v102, v0, s[2:3]
	scratch_load_b64 v[0:1], off, off
	s_wait_loadcnt 0x1
	v_cmp_eq_u32_e32 vcc_lo, 1, v102
	s_cbranch_vccnz .LBB49_412
; %bb.411:
	v_lshlrev_b32_e32 v102, 3, v102
	s_delay_alu instid0(VALU_DEP_1)
	v_mov_b32_e32 v104, v102
	scratch_load_b64 v[102:103], v104, off offset:-8
	s_wait_loadcnt 0x0
	scratch_store_b64 off, v[102:103], off
	scratch_store_b64 v104, v[0:1], off offset:-8
	scratch_load_b64 v[0:1], off, off
.LBB49_412:
	s_clause 0x18
	scratch_load_b128 v[102:105], off, off offset:8
	scratch_load_b128 v[106:109], off, off offset:24
	;; [unrolled: 1-line block ×24, first 2 shown]
	scratch_load_b64 v[198:199], off, off offset:392
	v_lshl_add_u64 v[6:7], v[6:7], 3, s[4:5]
	v_lshl_add_u64 v[8:9], v[8:9], 3, s[4:5]
	v_lshl_add_u64 v[10:11], v[10:11], 3, s[4:5]
	v_lshl_add_u64 v[12:13], v[12:13], 3, s[4:5]
	v_lshl_add_u64 v[14:15], v[14:15], 3, s[4:5]
	v_lshl_add_u64 v[16:17], v[16:17], 3, s[4:5]
	v_lshl_add_u64 v[18:19], v[18:19], 3, s[4:5]
	v_lshl_add_u64 v[20:21], v[20:21], 3, s[4:5]
	v_lshl_add_u64 v[22:23], v[22:23], 3, s[4:5]
	v_lshl_add_u64 v[24:25], v[24:25], 3, s[4:5]
	v_lshl_add_u64 v[26:27], v[26:27], 3, s[4:5]
	v_lshl_add_u64 v[28:29], v[28:29], 3, s[4:5]
	v_lshl_add_u64 v[30:31], v[30:31], 3, s[4:5]
	v_lshl_add_u64 v[32:33], v[32:33], 3, s[4:5]
	v_lshl_add_u64 v[34:35], v[34:35], 3, s[4:5]
	v_lshl_add_u64 v[36:37], v[36:37], 3, s[4:5]
	v_lshl_add_u64 v[38:39], v[38:39], 3, s[4:5]
	v_lshl_add_u64 v[40:41], v[40:41], 3, s[4:5]
	v_lshl_add_u64 v[42:43], v[42:43], 3, s[4:5]
	v_lshl_add_u64 v[44:45], v[44:45], 3, s[4:5]
	v_lshl_add_u64 v[46:47], v[46:47], 3, s[4:5]
	v_lshl_add_u64 v[48:49], v[48:49], 3, s[4:5]
	v_lshl_add_u64 v[50:51], v[50:51], 3, s[4:5]
	v_lshl_add_u64 v[52:53], v[52:53], 3, s[4:5]
	v_lshl_add_u64 v[54:55], v[54:55], 3, s[4:5]
	v_lshl_add_u64 v[56:57], v[56:57], 3, s[4:5]
	v_lshl_add_u64 v[58:59], v[58:59], 3, s[4:5]
	v_lshl_add_u64 v[60:61], v[60:61], 3, s[4:5]
	v_lshl_add_u64 v[62:63], v[62:63], 3, s[4:5]
	v_lshl_add_u64 v[64:65], v[64:65], 3, s[4:5]
	v_lshl_add_u64 v[66:67], v[66:67], 3, s[4:5]
	v_lshl_add_u64 v[68:69], v[68:69], 3, s[4:5]
	v_lshl_add_u64 v[70:71], v[70:71], 3, s[4:5]
	v_lshl_add_u64 v[72:73], v[72:73], 3, s[4:5]
	v_lshl_add_u64 v[74:75], v[74:75], 3, s[4:5]
	v_lshl_add_u64 v[76:77], v[76:77], 3, s[4:5]
	v_lshl_add_u64 v[78:79], v[78:79], 3, s[4:5]
	v_lshl_add_u64 v[80:81], v[80:81], 3, s[4:5]
	v_lshl_add_u64 v[82:83], v[82:83], 3, s[4:5]
	v_lshl_add_u64 v[84:85], v[84:85], 3, s[4:5]
	v_lshl_add_u64 v[86:87], v[86:87], 3, s[4:5]
	v_lshl_add_u64 v[88:89], v[88:89], 3, s[4:5]
	v_lshl_add_u64 v[90:91], v[90:91], 3, s[4:5]
	v_lshl_add_u64 v[92:93], v[92:93], 3, s[4:5]
	v_lshl_add_u64 v[94:95], v[94:95], 3, s[4:5]
	v_lshl_add_u64 v[96:97], v[96:97], 3, s[4:5]
	v_lshl_add_u64 v[98:99], v[98:99], 3, s[4:5]
	v_lshl_add_u64 v[100:101], v[100:101], 3, s[4:5]
	s_wait_loadcnt 0x19
	global_store_b64 v[2:3], v[0:1], off
	s_wait_loadcnt 0x18
	s_clause 0x1
	global_store_b64 v[4:5], v[102:103], off
	global_store_b64 v[6:7], v[104:105], off
	s_wait_loadcnt 0x17
	s_clause 0x1
	global_store_b64 v[8:9], v[106:107], off
	;; [unrolled: 4-line block ×24, first 2 shown]
	global_store_b64 v[98:99], v[196:197], off
	s_wait_loadcnt 0x0
	global_store_b64 v[100:101], v[198:199], off
	s_sendmsg sendmsg(MSG_DEALLOC_VGPRS)
	s_endpgm
	.section	.rodata,"a",@progbits
	.p2align	6, 0x0
	.amdhsa_kernel _ZN9rocsolver6v33100L18getri_kernel_smallILi50E19rocblas_complex_numIfEPS3_EEvT1_iilPiilS6_bb
		.amdhsa_group_segment_fixed_size 804
		.amdhsa_private_segment_fixed_size 416
		.amdhsa_kernarg_size 60
		.amdhsa_user_sgpr_count 2
		.amdhsa_user_sgpr_dispatch_ptr 0
		.amdhsa_user_sgpr_queue_ptr 0
		.amdhsa_user_sgpr_kernarg_segment_ptr 1
		.amdhsa_user_sgpr_dispatch_id 0
		.amdhsa_user_sgpr_kernarg_preload_length 0
		.amdhsa_user_sgpr_kernarg_preload_offset 0
		.amdhsa_user_sgpr_private_segment_size 0
		.amdhsa_wavefront_size32 1
		.amdhsa_uses_dynamic_stack 0
		.amdhsa_enable_private_segment 1
		.amdhsa_system_sgpr_workgroup_id_x 1
		.amdhsa_system_sgpr_workgroup_id_y 0
		.amdhsa_system_sgpr_workgroup_id_z 0
		.amdhsa_system_sgpr_workgroup_info 0
		.amdhsa_system_vgpr_workitem_id 0
		.amdhsa_next_free_vgpr 310
		.amdhsa_next_free_sgpr 19
		.amdhsa_named_barrier_count 0
		.amdhsa_reserve_vcc 1
		.amdhsa_float_round_mode_32 0
		.amdhsa_float_round_mode_16_64 0
		.amdhsa_float_denorm_mode_32 3
		.amdhsa_float_denorm_mode_16_64 3
		.amdhsa_fp16_overflow 0
		.amdhsa_memory_ordered 1
		.amdhsa_forward_progress 1
		.amdhsa_inst_pref_size 255
		.amdhsa_round_robin_scheduling 0
		.amdhsa_exception_fp_ieee_invalid_op 0
		.amdhsa_exception_fp_denorm_src 0
		.amdhsa_exception_fp_ieee_div_zero 0
		.amdhsa_exception_fp_ieee_overflow 0
		.amdhsa_exception_fp_ieee_underflow 0
		.amdhsa_exception_fp_ieee_inexact 0
		.amdhsa_exception_int_div_zero 0
	.end_amdhsa_kernel
	.section	.text._ZN9rocsolver6v33100L18getri_kernel_smallILi50E19rocblas_complex_numIfEPS3_EEvT1_iilPiilS6_bb,"axG",@progbits,_ZN9rocsolver6v33100L18getri_kernel_smallILi50E19rocblas_complex_numIfEPS3_EEvT1_iilPiilS6_bb,comdat
.Lfunc_end49:
	.size	_ZN9rocsolver6v33100L18getri_kernel_smallILi50E19rocblas_complex_numIfEPS3_EEvT1_iilPiilS6_bb, .Lfunc_end49-_ZN9rocsolver6v33100L18getri_kernel_smallILi50E19rocblas_complex_numIfEPS3_EEvT1_iilPiilS6_bb
                                        ; -- End function
	.set _ZN9rocsolver6v33100L18getri_kernel_smallILi50E19rocblas_complex_numIfEPS3_EEvT1_iilPiilS6_bb.num_vgpr, 310
	.set _ZN9rocsolver6v33100L18getri_kernel_smallILi50E19rocblas_complex_numIfEPS3_EEvT1_iilPiilS6_bb.num_agpr, 0
	.set _ZN9rocsolver6v33100L18getri_kernel_smallILi50E19rocblas_complex_numIfEPS3_EEvT1_iilPiilS6_bb.numbered_sgpr, 19
	.set _ZN9rocsolver6v33100L18getri_kernel_smallILi50E19rocblas_complex_numIfEPS3_EEvT1_iilPiilS6_bb.num_named_barrier, 0
	.set _ZN9rocsolver6v33100L18getri_kernel_smallILi50E19rocblas_complex_numIfEPS3_EEvT1_iilPiilS6_bb.private_seg_size, 416
	.set _ZN9rocsolver6v33100L18getri_kernel_smallILi50E19rocblas_complex_numIfEPS3_EEvT1_iilPiilS6_bb.uses_vcc, 1
	.set _ZN9rocsolver6v33100L18getri_kernel_smallILi50E19rocblas_complex_numIfEPS3_EEvT1_iilPiilS6_bb.uses_flat_scratch, 1
	.set _ZN9rocsolver6v33100L18getri_kernel_smallILi50E19rocblas_complex_numIfEPS3_EEvT1_iilPiilS6_bb.has_dyn_sized_stack, 0
	.set _ZN9rocsolver6v33100L18getri_kernel_smallILi50E19rocblas_complex_numIfEPS3_EEvT1_iilPiilS6_bb.has_recursion, 0
	.set _ZN9rocsolver6v33100L18getri_kernel_smallILi50E19rocblas_complex_numIfEPS3_EEvT1_iilPiilS6_bb.has_indirect_call, 0
	.section	.AMDGPU.csdata,"",@progbits
; Kernel info:
; codeLenInByte = 93216
; TotalNumSgprs: 21
; NumVgprs: 310
; ScratchSize: 416
; MemoryBound: 0
; FloatMode: 240
; IeeeMode: 1
; LDSByteSize: 804 bytes/workgroup (compile time only)
; SGPRBlocks: 0
; VGPRBlocks: 19
; NumSGPRsForWavesPerEU: 21
; NumVGPRsForWavesPerEU: 310
; NamedBarCnt: 0
; Occupancy: 3
; WaveLimiterHint : 1
; COMPUTE_PGM_RSRC2:SCRATCH_EN: 1
; COMPUTE_PGM_RSRC2:USER_SGPR: 2
; COMPUTE_PGM_RSRC2:TRAP_HANDLER: 0
; COMPUTE_PGM_RSRC2:TGID_X_EN: 1
; COMPUTE_PGM_RSRC2:TGID_Y_EN: 0
; COMPUTE_PGM_RSRC2:TGID_Z_EN: 0
; COMPUTE_PGM_RSRC2:TIDIG_COMP_CNT: 0
	.section	.text._ZN9rocsolver6v33100L18getri_kernel_smallILi51E19rocblas_complex_numIfEPS3_EEvT1_iilPiilS6_bb,"axG",@progbits,_ZN9rocsolver6v33100L18getri_kernel_smallILi51E19rocblas_complex_numIfEPS3_EEvT1_iilPiilS6_bb,comdat
	.globl	_ZN9rocsolver6v33100L18getri_kernel_smallILi51E19rocblas_complex_numIfEPS3_EEvT1_iilPiilS6_bb ; -- Begin function _ZN9rocsolver6v33100L18getri_kernel_smallILi51E19rocblas_complex_numIfEPS3_EEvT1_iilPiilS6_bb
	.p2align	8
	.type	_ZN9rocsolver6v33100L18getri_kernel_smallILi51E19rocblas_complex_numIfEPS3_EEvT1_iilPiilS6_bb,@function
_ZN9rocsolver6v33100L18getri_kernel_smallILi51E19rocblas_complex_numIfEPS3_EEvT1_iilPiilS6_bb: ; @_ZN9rocsolver6v33100L18getri_kernel_smallILi51E19rocblas_complex_numIfEPS3_EEvT1_iilPiilS6_bb
; %bb.0:
	s_mov_b32 s2, exec_lo
	v_cmpx_gt_u32_e32 51, v0
	s_cbranch_execz .LBB50_218
; %bb.1:
	s_clause 0x2
	s_load_b32 s2, s[0:1], 0x38
	s_load_b128 s[12:15], s[0:1], 0x10
	s_load_b128 s[4:7], s[0:1], 0x28
	s_getreg_b32 s9, hwreg(HW_REG_IB_STS2, 6, 4)
	s_wait_kmcnt 0x0
	s_bitcmp1_b32 s2, 8
	s_cselect_b32 s18, -1, 0
	s_bfe_u32 s3, ttmp6, 0x4000c
	s_and_b32 s8, ttmp6, 15
	s_add_co_i32 s3, s3, 1
	s_delay_alu instid0(SALU_CYCLE_1) | instskip(NEXT) | instid1(SALU_CYCLE_1)
	s_mul_i32 s3, ttmp9, s3
	s_add_co_i32 s8, s8, s3
	s_cmp_eq_u32 s9, 0
	s_cselect_b32 s16, ttmp9, s8
	s_bfe_u32 s2, s2, 0x10008
	s_ashr_i32 s17, s16, 31
	s_cmp_eq_u32 s2, 0
                                        ; implicit-def: $sgpr2_sgpr3
	s_cbranch_scc1 .LBB50_3
; %bb.2:
	s_load_b32 s2, s[0:1], 0x20
	s_mul_u64 s[4:5], s[4:5], s[16:17]
	s_delay_alu instid0(SALU_CYCLE_1) | instskip(NEXT) | instid1(SALU_CYCLE_1)
	s_lshl_b64 s[4:5], s[4:5], 2
	s_add_nc_u64 s[4:5], s[14:15], s[4:5]
	s_wait_kmcnt 0x0
	s_ashr_i32 s3, s2, 31
	s_delay_alu instid0(SALU_CYCLE_1) | instskip(NEXT) | instid1(SALU_CYCLE_1)
	s_lshl_b64 s[2:3], s[2:3], 2
	s_add_nc_u64 s[2:3], s[4:5], s[2:3]
.LBB50_3:
	s_clause 0x1
	s_load_b128 s[8:11], s[0:1], 0x0
	s_load_b32 s14, s[0:1], 0x38
	s_wait_xcnt 0x0
	s_mul_u64 s[0:1], s[12:13], s[16:17]
	v_mov_b32_e32 v105, 0
	s_lshl_b64 s[0:1], s[0:1], 3
	s_wait_kmcnt 0x0
	v_add3_u32 v4, s11, s11, v0
	s_ashr_i32 s5, s10, 31
	s_mov_b32 s4, s10
	s_add_nc_u64 s[0:1], s[8:9], s[0:1]
	s_lshl_b64 s[4:5], s[4:5], 3
	v_add_nc_u32_e32 v8, s11, v4
	s_add_nc_u64 s[4:5], s[0:1], s[4:5]
	s_ashr_i32 s1, s11, 31
	s_mov_b32 s0, s11
	s_bitcmp0_b32 s14, 0
	v_add_nc_u32_e32 v10, s11, v8
	s_delay_alu instid0(VALU_DEP_1) | instskip(NEXT) | instid1(VALU_DEP_1)
	v_add_nc_u32_e32 v12, s11, v10
	v_add_nc_u32_e32 v14, s11, v12
	s_delay_alu instid0(VALU_DEP_1) | instskip(NEXT) | instid1(VALU_DEP_1)
	v_add_nc_u32_e32 v16, s11, v14
	;; [unrolled: 3-line block ×15, first 2 shown]
	v_add_nc_u32_e32 v70, s11, v68
	s_delay_alu instid0(VALU_DEP_1) | instskip(NEXT) | instid1(VALU_DEP_1)
	v_dual_lshlrev_b32 v104, 3, v0 :: v_dual_add_nc_u32 v72, s11, v70
	v_add_nc_u64_e32 v[2:3], s[4:5], v[104:105]
	s_delay_alu instid0(VALU_DEP_2) | instskip(NEXT) | instid1(VALU_DEP_2)
	v_add_nc_u32_e32 v74, s11, v72
	v_lshl_add_u64 v[6:7], s[0:1], 3, v[2:3]
	s_mov_b32 s1, -1
	s_delay_alu instid0(VALU_DEP_2)
	v_add_nc_u32_e32 v76, s11, v74
	s_clause 0x9
	global_load_b64 v[106:107], v0, s[4:5] scale_offset
	global_load_b64 v[108:109], v[6:7], off
	global_load_b64 v[110:111], v4, s[4:5] scale_offset
	global_load_b64 v[112:113], v8, s[4:5] scale_offset
	;; [unrolled: 1-line block ×8, first 2 shown]
	v_add_nc_u32_e32 v78, s11, v76
	s_clause 0xf
	global_load_b64 v[126:127], v22, s[4:5] scale_offset
	global_load_b64 v[128:129], v24, s[4:5] scale_offset
	;; [unrolled: 1-line block ×16, first 2 shown]
	v_add_nc_u32_e32 v80, s11, v78
	s_clause 0xb
	global_load_b64 v[158:159], v54, s[4:5] scale_offset
	global_load_b64 v[160:161], v56, s[4:5] scale_offset
	;; [unrolled: 1-line block ×12, first 2 shown]
	v_add_nc_u32_e32 v82, s11, v80
	s_delay_alu instid0(VALU_DEP_1) | instskip(NEXT) | instid1(VALU_DEP_1)
	v_add_nc_u32_e32 v84, s11, v82
	v_add_nc_u32_e32 v86, s11, v84
	s_delay_alu instid0(VALU_DEP_1)
	v_add_nc_u32_e32 v88, s11, v86
	s_clause 0x3
	global_load_b64 v[182:183], v78, s[4:5] scale_offset
	global_load_b64 v[184:185], v80, s[4:5] scale_offset
	;; [unrolled: 1-line block ×4, first 2 shown]
	v_add_nc_u32_e32 v90, s11, v88
	s_delay_alu instid0(VALU_DEP_1) | instskip(NEXT) | instid1(VALU_DEP_1)
	v_add_nc_u32_e32 v92, s11, v90
	v_add_nc_u32_e32 v94, s11, v92
	s_delay_alu instid0(VALU_DEP_1)
	v_add_nc_u32_e32 v96, s11, v94
	s_clause 0x3
	global_load_b64 v[190:191], v86, s[4:5] scale_offset
	global_load_b64 v[192:193], v88, s[4:5] scale_offset
	;; [unrolled: 1-line block ×4, first 2 shown]
	v_add_nc_u32_e32 v98, s11, v96
	s_delay_alu instid0(VALU_DEP_1) | instskip(NEXT) | instid1(VALU_DEP_1)
	v_add_nc_u32_e32 v100, s11, v98
	v_add_nc_u32_e32 v102, s11, v100
	s_clause 0x4
	global_load_b64 v[198:199], v94, s[4:5] scale_offset
	global_load_b64 v[200:201], v96, s[4:5] scale_offset
	;; [unrolled: 1-line block ×5, first 2 shown]
	s_wait_loadcnt 0x31
	scratch_store_b128 off, v[106:109], off
	s_wait_loadcnt 0x2f
	scratch_store_b128 off, v[110:113], off offset:16
	s_wait_loadcnt 0x2d
	scratch_store_b128 off, v[114:117], off offset:32
	;; [unrolled: 2-line block ×24, first 2 shown]
	s_wait_loadcnt 0x0
	scratch_store_b64 off, v[206:207], off offset:400
	s_cbranch_scc1 .LBB50_216
; %bb.4:
	v_cmp_eq_u32_e64 s0, 0, v0
	s_wait_xcnt 0x0
	s_and_saveexec_b32 s1, s0
; %bb.5:
	v_mov_b32_e32 v1, 0
	ds_store_b32 v1, v1 offset:408
; %bb.6:
	s_or_b32 exec_lo, exec_lo, s1
	s_wait_storecnt_dscnt 0x0
	s_barrier_signal -1
	s_barrier_wait -1
	scratch_load_b64 v[106:107], v0, off scale_offset
	s_wait_loadcnt 0x0
	v_cmp_eq_f32_e32 vcc_lo, 0, v106
	v_cmp_eq_f32_e64 s1, 0, v107
	s_and_b32 s1, vcc_lo, s1
	s_delay_alu instid0(SALU_CYCLE_1)
	s_and_saveexec_b32 s8, s1
	s_cbranch_execz .LBB50_10
; %bb.7:
	v_mov_b32_e32 v1, 0
	s_mov_b32 s9, 0
	ds_load_b32 v5, v1 offset:408
	s_wait_dscnt 0x0
	v_readfirstlane_b32 s1, v5
	v_add_nc_u32_e32 v5, 1, v0
	s_cmp_eq_u32 s1, 0
	s_delay_alu instid0(VALU_DEP_1) | instskip(SKIP_1) | instid1(SALU_CYCLE_1)
	v_cmp_gt_i32_e32 vcc_lo, s1, v5
	s_cselect_b32 s10, -1, 0
	s_or_b32 s10, s10, vcc_lo
	s_delay_alu instid0(SALU_CYCLE_1)
	s_and_b32 exec_lo, exec_lo, s10
	s_cbranch_execz .LBB50_10
; %bb.8:
	v_mov_b32_e32 v9, s1
.LBB50_9:                               ; =>This Inner Loop Header: Depth=1
	ds_cmpstore_rtn_b32 v9, v1, v5, v9 offset:408
	s_wait_dscnt 0x0
	v_cmp_ne_u32_e32 vcc_lo, 0, v9
	v_cmp_le_i32_e64 s1, v9, v5
	s_and_b32 s1, vcc_lo, s1
	s_delay_alu instid0(SALU_CYCLE_1) | instskip(NEXT) | instid1(SALU_CYCLE_1)
	s_and_b32 s1, exec_lo, s1
	s_or_b32 s9, s1, s9
	s_delay_alu instid0(SALU_CYCLE_1)
	s_and_not1_b32 exec_lo, exec_lo, s9
	s_cbranch_execnz .LBB50_9
.LBB50_10:
	s_or_b32 exec_lo, exec_lo, s8
	v_mov_b32_e32 v1, 0
	s_barrier_signal -1
	s_barrier_wait -1
	ds_load_b32 v5, v1 offset:408
	s_and_saveexec_b32 s1, s0
	s_cbranch_execz .LBB50_12
; %bb.11:
	s_lshl_b64 s[8:9], s[16:17], 2
	s_delay_alu instid0(SALU_CYCLE_1)
	s_add_nc_u64 s[8:9], s[6:7], s[8:9]
	s_wait_dscnt 0x0
	global_store_b32 v1, v5, s[8:9]
.LBB50_12:
	s_wait_xcnt 0x0
	s_or_b32 exec_lo, exec_lo, s1
	s_wait_dscnt 0x0
	v_cmp_ne_u32_e32 vcc_lo, 0, v5
	s_mov_b32 s1, 0
	s_cbranch_vccnz .LBB50_216
; %bb.13:
	v_lshl_add_u32 v5, v0, 3, 0
                                        ; implicit-def: $vgpr109
                                        ; implicit-def: $vgpr110
	scratch_load_b64 v[106:107], v5, off
	s_wait_loadcnt 0x0
	v_cmp_ngt_f32_e64 s1, |v106|, |v107|
	s_wait_xcnt 0x0
	s_and_saveexec_b32 s8, s1
	s_delay_alu instid0(SALU_CYCLE_1)
	s_xor_b32 s1, exec_lo, s8
	s_cbranch_execz .LBB50_15
; %bb.14:
	v_div_scale_f32 v1, null, v107, v107, v106
	v_div_scale_f32 v13, vcc_lo, v106, v107, v106
	s_delay_alu instid0(VALU_DEP_2) | instskip(SKIP_1) | instid1(TRANS32_DEP_1)
	v_rcp_f32_e32 v9, v1
	v_nop
	v_fma_f32 v11, -v1, v9, 1.0
	s_delay_alu instid0(VALU_DEP_1) | instskip(NEXT) | instid1(VALU_DEP_1)
	v_fmac_f32_e32 v9, v11, v9
	v_mul_f32_e32 v11, v13, v9
	s_delay_alu instid0(VALU_DEP_1) | instskip(NEXT) | instid1(VALU_DEP_1)
	v_fma_f32 v15, -v1, v11, v13
	v_fmac_f32_e32 v11, v15, v9
	s_delay_alu instid0(VALU_DEP_1) | instskip(NEXT) | instid1(VALU_DEP_1)
	v_fma_f32 v1, -v1, v11, v13
	v_div_fmas_f32 v1, v1, v9, v11
	s_delay_alu instid0(VALU_DEP_1) | instskip(NEXT) | instid1(VALU_DEP_1)
	v_div_fixup_f32 v1, v1, v107, v106
	v_fmac_f32_e32 v107, v106, v1
	s_delay_alu instid0(VALU_DEP_1) | instskip(NEXT) | instid1(VALU_DEP_1)
	v_div_scale_f32 v9, null, v107, v107, -1.0
	v_rcp_f32_e32 v11, v9
	v_nop
	s_delay_alu instid0(TRANS32_DEP_1) | instskip(NEXT) | instid1(VALU_DEP_1)
	v_fma_f32 v13, -v9, v11, 1.0
	v_fmac_f32_e32 v11, v13, v11
	v_div_scale_f32 v13, vcc_lo, -1.0, v107, -1.0
	s_delay_alu instid0(VALU_DEP_1) | instskip(NEXT) | instid1(VALU_DEP_1)
	v_mul_f32_e32 v15, v13, v11
	v_fma_f32 v17, -v9, v15, v13
	s_delay_alu instid0(VALU_DEP_1) | instskip(NEXT) | instid1(VALU_DEP_1)
	v_fmac_f32_e32 v15, v17, v11
	v_fma_f32 v9, -v9, v15, v13
	s_delay_alu instid0(VALU_DEP_1) | instskip(NEXT) | instid1(VALU_DEP_1)
	v_div_fmas_f32 v9, v9, v11, v15
	v_div_fixup_f32 v109, v9, v107, -1.0
                                        ; implicit-def: $vgpr106_vgpr107
	s_delay_alu instid0(VALU_DEP_1) | instskip(NEXT) | instid1(VALU_DEP_1)
	v_mul_f32_e32 v110, v1, v109
	v_xor_b32_e32 v108, 0x80000000, v110
.LBB50_15:
	s_and_not1_saveexec_b32 s1, s1
	s_cbranch_execz .LBB50_17
; %bb.16:
	v_div_scale_f32 v1, null, v106, v106, v107
	v_div_scale_f32 v13, vcc_lo, v107, v106, v107
	s_delay_alu instid0(VALU_DEP_2) | instskip(SKIP_1) | instid1(TRANS32_DEP_1)
	v_rcp_f32_e32 v9, v1
	v_nop
	v_fma_f32 v11, -v1, v9, 1.0
	s_delay_alu instid0(VALU_DEP_1) | instskip(NEXT) | instid1(VALU_DEP_1)
	v_fmac_f32_e32 v9, v11, v9
	v_mul_f32_e32 v11, v13, v9
	s_delay_alu instid0(VALU_DEP_1) | instskip(NEXT) | instid1(VALU_DEP_1)
	v_fma_f32 v15, -v1, v11, v13
	v_fmac_f32_e32 v11, v15, v9
	s_delay_alu instid0(VALU_DEP_1) | instskip(NEXT) | instid1(VALU_DEP_1)
	v_fma_f32 v1, -v1, v11, v13
	v_div_fmas_f32 v1, v1, v9, v11
	s_delay_alu instid0(VALU_DEP_1) | instskip(NEXT) | instid1(VALU_DEP_1)
	v_div_fixup_f32 v1, v1, v106, v107
	v_fmac_f32_e32 v106, v107, v1
	s_delay_alu instid0(VALU_DEP_1) | instskip(SKIP_1) | instid1(VALU_DEP_2)
	v_div_scale_f32 v9, null, v106, v106, 1.0
	v_div_scale_f32 v15, vcc_lo, 1.0, v106, 1.0
	v_rcp_f32_e32 v11, v9
	v_nop
	s_delay_alu instid0(TRANS32_DEP_1) | instskip(NEXT) | instid1(VALU_DEP_1)
	v_fma_f32 v13, -v9, v11, 1.0
	v_fmac_f32_e32 v11, v13, v11
	s_delay_alu instid0(VALU_DEP_1) | instskip(NEXT) | instid1(VALU_DEP_1)
	v_mul_f32_e32 v13, v15, v11
	v_fma_f32 v17, -v9, v13, v15
	s_delay_alu instid0(VALU_DEP_1) | instskip(NEXT) | instid1(VALU_DEP_1)
	v_fmac_f32_e32 v13, v17, v11
	v_fma_f32 v9, -v9, v13, v15
	s_delay_alu instid0(VALU_DEP_1) | instskip(NEXT) | instid1(VALU_DEP_1)
	v_div_fmas_f32 v9, v9, v11, v13
	v_div_fixup_f32 v108, v9, v106, 1.0
	s_delay_alu instid0(VALU_DEP_1)
	v_xor_b32_e32 v110, 0x80000000, v108
	v_mul_f32_e64 v109, v1, -v108
.LBB50_17:
	s_or_b32 exec_lo, exec_lo, s1
	scratch_store_b64 v5, v[108:109], off
	scratch_load_b64 v[106:107], off, off offset:8
	v_xor_b32_e32 v111, 0x80000000, v109
	v_add_nc_u32_e32 v1, 0x1a0, v104
	s_wait_loadcnt 0x0
	ds_store_2addr_b64 v104, v[110:111], v[106:107] offset1:52
	s_wait_storecnt_dscnt 0x0
	s_barrier_signal -1
	s_barrier_wait -1
	s_wait_xcnt 0x0
	s_and_saveexec_b32 s1, s0
	s_cbranch_execz .LBB50_19
; %bb.18:
	scratch_load_b64 v[106:107], v5, off
	ds_load_b64 v[108:109], v1
	s_wait_loadcnt_dscnt 0x0
	v_pk_mul_f32 v[112:113], v[108:109], v[106:107] op_sel:[1,1] op_sel_hi:[0,1]
	s_delay_alu instid0(VALU_DEP_1) | instskip(SKIP_2) | instid1(VALU_DEP_3)
	v_pk_fma_f32 v[114:115], v[108:109], v[106:107], v[112:113] op_sel_hi:[1,0,1]
	v_mov_b32_e32 v9, 0
	v_pk_fma_f32 v[106:107], v[108:109], v[106:107], v[112:113] neg_lo:[0,0,1] neg_hi:[0,0,1]
	v_mov_b32_e32 v107, v115
	ds_load_b64 v[110:111], v9 offset:8
	v_pk_add_f32 v[106:107], v[106:107], 0 op_sel_hi:[1,0]
	s_wait_dscnt 0x0
	s_delay_alu instid0(VALU_DEP_1) | instskip(NEXT) | instid1(VALU_DEP_1)
	v_pk_mul_f32 v[108:109], v[106:107], v[110:111] op_sel:[1,1] op_sel_hi:[0,1]
	v_pk_fma_f32 v[112:113], v[106:107], v[110:111], v[108:109] op_sel_hi:[1,0,1]
	v_pk_fma_f32 v[106:107], v[106:107], v[110:111], v[108:109] neg_lo:[0,0,1] neg_hi:[0,0,1]
	s_delay_alu instid0(VALU_DEP_2)
	v_mov_b32_e32 v107, v113
	scratch_store_b64 off, v[106:107], off offset:8
.LBB50_19:
	s_wait_xcnt 0x0
	s_or_b32 exec_lo, exec_lo, s1
	s_wait_storecnt 0x0
	s_barrier_signal -1
	s_barrier_wait -1
	scratch_load_b64 v[106:107], off, off offset:16
	s_mov_b32 s1, exec_lo
	s_wait_loadcnt 0x0
	ds_store_b64 v1, v[106:107]
	s_wait_dscnt 0x0
	s_barrier_signal -1
	s_barrier_wait -1
	v_cmpx_gt_u32_e32 2, v0
	s_cbranch_execz .LBB50_23
; %bb.20:
	scratch_load_b64 v[106:107], v5, off
	ds_load_b64 v[108:109], v1
	s_wait_loadcnt_dscnt 0x0
	v_pk_mul_f32 v[110:111], v[108:109], v[106:107] op_sel:[1,1] op_sel_hi:[0,1]
	s_delay_alu instid0(VALU_DEP_1) | instskip(SKIP_1) | instid1(VALU_DEP_2)
	v_pk_fma_f32 v[112:113], v[108:109], v[106:107], v[110:111] op_sel_hi:[1,0,1]
	v_pk_fma_f32 v[106:107], v[108:109], v[106:107], v[110:111] neg_lo:[0,0,1] neg_hi:[0,0,1]
	v_mov_b32_e32 v107, v113
	s_delay_alu instid0(VALU_DEP_1)
	v_pk_add_f32 v[106:107], v[106:107], 0 op_sel_hi:[1,0]
	s_and_saveexec_b32 s8, s0
	s_cbranch_execz .LBB50_22
; %bb.21:
	scratch_load_b64 v[108:109], off, off offset:8
	v_mov_b32_e32 v5, 0
	ds_load_b64 v[110:111], v5 offset:424
	s_wait_loadcnt_dscnt 0x0
	v_pk_mul_f32 v[112:113], v[110:111], v[108:109] op_sel:[1,1] op_sel_hi:[0,1]
	s_delay_alu instid0(VALU_DEP_1) | instskip(SKIP_1) | instid1(VALU_DEP_2)
	v_pk_fma_f32 v[114:115], v[110:111], v[108:109], v[112:113] op_sel_hi:[1,0,1]
	v_pk_fma_f32 v[108:109], v[110:111], v[108:109], v[112:113] neg_lo:[0,0,1] neg_hi:[0,0,1]
	v_mov_b32_e32 v109, v115
	s_delay_alu instid0(VALU_DEP_1)
	v_pk_add_f32 v[106:107], v[106:107], v[108:109]
.LBB50_22:
	s_or_b32 exec_lo, exec_lo, s8
	v_mov_b32_e32 v5, 0
	ds_load_b64 v[108:109], v5 offset:16
	s_wait_dscnt 0x0
	v_pk_mul_f32 v[110:111], v[106:107], v[108:109] op_sel:[1,1] op_sel_hi:[0,1]
	s_delay_alu instid0(VALU_DEP_1) | instskip(SKIP_1) | instid1(VALU_DEP_2)
	v_pk_fma_f32 v[112:113], v[106:107], v[108:109], v[110:111] op_sel_hi:[1,0,1]
	v_pk_fma_f32 v[106:107], v[106:107], v[108:109], v[110:111] neg_lo:[0,0,1] neg_hi:[0,0,1]
	v_mov_b32_e32 v107, v113
	scratch_store_b64 off, v[106:107], off offset:16
.LBB50_23:
	s_wait_xcnt 0x0
	s_or_b32 exec_lo, exec_lo, s1
	s_wait_storecnt 0x0
	s_barrier_signal -1
	s_barrier_wait -1
	scratch_load_b64 v[106:107], off, off offset:24
	v_add_nc_u32_e32 v5, -1, v0
	s_mov_b32 s0, exec_lo
	s_wait_loadcnt 0x0
	ds_store_b64 v1, v[106:107]
	s_wait_dscnt 0x0
	s_barrier_signal -1
	s_barrier_wait -1
	v_cmpx_gt_u32_e32 3, v0
	s_cbranch_execz .LBB50_27
; %bb.24:
	v_dual_mov_b32 v106, 0 :: v_dual_add_nc_u32 v9, -1, v0
	v_add_nc_u32_e32 v11, 0x1a0, v104
	v_mov_b32_e32 v13, v104
	s_mov_b32 s1, 0
	s_delay_alu instid0(VALU_DEP_3)
	v_mov_b32_e32 v107, v106
.LBB50_25:                              ; =>This Inner Loop Header: Depth=1
	scratch_load_b64 v[108:109], v13, off
	ds_load_b64 v[110:111], v11
	s_wait_xcnt 0x0
	v_dual_add_nc_u32 v11, 8, v11 :: v_dual_add_nc_u32 v13, 8, v13
	s_wait_loadcnt_dscnt 0x0
	v_pk_mul_f32 v[112:113], v[110:111], v[108:109] op_sel:[1,1] op_sel_hi:[0,1]
	s_delay_alu instid0(VALU_DEP_1) | instskip(SKIP_2) | instid1(VALU_DEP_3)
	v_pk_fma_f32 v[114:115], v[110:111], v[108:109], v[112:113] op_sel_hi:[1,0,1]
	v_add_nc_u32_e32 v9, 1, v9
	v_pk_fma_f32 v[108:109], v[110:111], v[108:109], v[112:113] neg_lo:[0,0,1] neg_hi:[0,0,1]
	v_mov_b32_e32 v109, v115
	s_delay_alu instid0(VALU_DEP_3) | instskip(NEXT) | instid1(VALU_DEP_2)
	v_cmp_lt_u32_e32 vcc_lo, 1, v9
	v_pk_add_f32 v[106:107], v[106:107], v[108:109]
	s_or_b32 s1, vcc_lo, s1
	s_delay_alu instid0(SALU_CYCLE_1)
	s_and_not1_b32 exec_lo, exec_lo, s1
	s_cbranch_execnz .LBB50_25
; %bb.26:
	s_or_b32 exec_lo, exec_lo, s1
	v_mov_b32_e32 v9, 0
	ds_load_b64 v[108:109], v9 offset:24
	s_wait_dscnt 0x0
	v_pk_mul_f32 v[110:111], v[106:107], v[108:109] op_sel:[1,1] op_sel_hi:[0,1]
	s_delay_alu instid0(VALU_DEP_1) | instskip(SKIP_1) | instid1(VALU_DEP_2)
	v_pk_fma_f32 v[112:113], v[106:107], v[108:109], v[110:111] op_sel_hi:[1,0,1]
	v_pk_fma_f32 v[106:107], v[106:107], v[108:109], v[110:111] neg_lo:[0,0,1] neg_hi:[0,0,1]
	v_mov_b32_e32 v107, v113
	scratch_store_b64 off, v[106:107], off offset:24
.LBB50_27:
	s_wait_xcnt 0x0
	s_or_b32 exec_lo, exec_lo, s0
	s_wait_storecnt 0x0
	s_barrier_signal -1
	s_barrier_wait -1
	scratch_load_b64 v[106:107], off, off offset:32
	s_mov_b32 s0, exec_lo
	s_wait_loadcnt 0x0
	ds_store_b64 v1, v[106:107]
	s_wait_dscnt 0x0
	s_barrier_signal -1
	s_barrier_wait -1
	v_cmpx_gt_u32_e32 4, v0
	s_cbranch_execz .LBB50_31
; %bb.28:
	v_dual_mov_b32 v106, 0 :: v_dual_add_nc_u32 v9, -1, v0
	v_add_nc_u32_e32 v11, 0x1a0, v104
	v_mov_b32_e32 v13, v104
	s_mov_b32 s1, 0
	s_delay_alu instid0(VALU_DEP_3)
	v_mov_b32_e32 v107, v106
.LBB50_29:                              ; =>This Inner Loop Header: Depth=1
	scratch_load_b64 v[108:109], v13, off
	ds_load_b64 v[110:111], v11
	s_wait_xcnt 0x0
	v_dual_add_nc_u32 v11, 8, v11 :: v_dual_add_nc_u32 v13, 8, v13
	s_wait_loadcnt_dscnt 0x0
	v_pk_mul_f32 v[112:113], v[110:111], v[108:109] op_sel:[1,1] op_sel_hi:[0,1]
	s_delay_alu instid0(VALU_DEP_1) | instskip(SKIP_2) | instid1(VALU_DEP_3)
	v_pk_fma_f32 v[114:115], v[110:111], v[108:109], v[112:113] op_sel_hi:[1,0,1]
	v_add_nc_u32_e32 v9, 1, v9
	v_pk_fma_f32 v[108:109], v[110:111], v[108:109], v[112:113] neg_lo:[0,0,1] neg_hi:[0,0,1]
	v_mov_b32_e32 v109, v115
	s_delay_alu instid0(VALU_DEP_3) | instskip(NEXT) | instid1(VALU_DEP_2)
	v_cmp_lt_u32_e32 vcc_lo, 2, v9
	v_pk_add_f32 v[106:107], v[106:107], v[108:109]
	s_or_b32 s1, vcc_lo, s1
	s_delay_alu instid0(SALU_CYCLE_1)
	s_and_not1_b32 exec_lo, exec_lo, s1
	s_cbranch_execnz .LBB50_29
; %bb.30:
	s_or_b32 exec_lo, exec_lo, s1
	v_mov_b32_e32 v9, 0
	ds_load_b64 v[108:109], v9 offset:32
	s_wait_dscnt 0x0
	v_pk_mul_f32 v[110:111], v[106:107], v[108:109] op_sel:[1,1] op_sel_hi:[0,1]
	s_delay_alu instid0(VALU_DEP_1) | instskip(SKIP_1) | instid1(VALU_DEP_2)
	v_pk_fma_f32 v[112:113], v[106:107], v[108:109], v[110:111] op_sel_hi:[1,0,1]
	v_pk_fma_f32 v[106:107], v[106:107], v[108:109], v[110:111] neg_lo:[0,0,1] neg_hi:[0,0,1]
	v_mov_b32_e32 v107, v113
	scratch_store_b64 off, v[106:107], off offset:32
.LBB50_31:
	s_wait_xcnt 0x0
	s_or_b32 exec_lo, exec_lo, s0
	s_wait_storecnt 0x0
	s_barrier_signal -1
	s_barrier_wait -1
	scratch_load_b64 v[106:107], off, off offset:40
	s_mov_b32 s0, exec_lo
	s_wait_loadcnt 0x0
	ds_store_b64 v1, v[106:107]
	s_wait_dscnt 0x0
	s_barrier_signal -1
	s_barrier_wait -1
	v_cmpx_gt_u32_e32 5, v0
	s_cbranch_execz .LBB50_35
; %bb.32:
	v_dual_mov_b32 v106, 0 :: v_dual_add_nc_u32 v9, -1, v0
	v_add_nc_u32_e32 v11, 0x1a0, v104
	v_mov_b32_e32 v13, v104
	s_mov_b32 s1, 0
	s_delay_alu instid0(VALU_DEP_3)
	v_mov_b32_e32 v107, v106
.LBB50_33:                              ; =>This Inner Loop Header: Depth=1
	scratch_load_b64 v[108:109], v13, off
	ds_load_b64 v[110:111], v11
	s_wait_xcnt 0x0
	v_dual_add_nc_u32 v11, 8, v11 :: v_dual_add_nc_u32 v13, 8, v13
	s_wait_loadcnt_dscnt 0x0
	v_pk_mul_f32 v[112:113], v[110:111], v[108:109] op_sel:[1,1] op_sel_hi:[0,1]
	s_delay_alu instid0(VALU_DEP_1) | instskip(SKIP_2) | instid1(VALU_DEP_3)
	v_pk_fma_f32 v[114:115], v[110:111], v[108:109], v[112:113] op_sel_hi:[1,0,1]
	v_add_nc_u32_e32 v9, 1, v9
	v_pk_fma_f32 v[108:109], v[110:111], v[108:109], v[112:113] neg_lo:[0,0,1] neg_hi:[0,0,1]
	v_mov_b32_e32 v109, v115
	s_delay_alu instid0(VALU_DEP_3) | instskip(NEXT) | instid1(VALU_DEP_2)
	v_cmp_lt_u32_e32 vcc_lo, 3, v9
	v_pk_add_f32 v[106:107], v[106:107], v[108:109]
	s_or_b32 s1, vcc_lo, s1
	s_delay_alu instid0(SALU_CYCLE_1)
	s_and_not1_b32 exec_lo, exec_lo, s1
	s_cbranch_execnz .LBB50_33
; %bb.34:
	s_or_b32 exec_lo, exec_lo, s1
	v_mov_b32_e32 v9, 0
	ds_load_b64 v[108:109], v9 offset:40
	s_wait_dscnt 0x0
	v_pk_mul_f32 v[110:111], v[106:107], v[108:109] op_sel:[1,1] op_sel_hi:[0,1]
	s_delay_alu instid0(VALU_DEP_1) | instskip(SKIP_1) | instid1(VALU_DEP_2)
	v_pk_fma_f32 v[112:113], v[106:107], v[108:109], v[110:111] op_sel_hi:[1,0,1]
	v_pk_fma_f32 v[106:107], v[106:107], v[108:109], v[110:111] neg_lo:[0,0,1] neg_hi:[0,0,1]
	v_mov_b32_e32 v107, v113
	scratch_store_b64 off, v[106:107], off offset:40
.LBB50_35:
	s_wait_xcnt 0x0
	s_or_b32 exec_lo, exec_lo, s0
	s_wait_storecnt 0x0
	s_barrier_signal -1
	s_barrier_wait -1
	scratch_load_b64 v[106:107], off, off offset:48
	s_mov_b32 s0, exec_lo
	s_wait_loadcnt 0x0
	ds_store_b64 v1, v[106:107]
	s_wait_dscnt 0x0
	s_barrier_signal -1
	s_barrier_wait -1
	v_cmpx_gt_u32_e32 6, v0
	s_cbranch_execz .LBB50_39
; %bb.36:
	v_dual_mov_b32 v106, 0 :: v_dual_add_nc_u32 v9, -1, v0
	v_add_nc_u32_e32 v11, 0x1a0, v104
	v_mov_b32_e32 v13, v104
	s_mov_b32 s1, 0
	s_delay_alu instid0(VALU_DEP_3)
	v_mov_b32_e32 v107, v106
.LBB50_37:                              ; =>This Inner Loop Header: Depth=1
	scratch_load_b64 v[108:109], v13, off
	ds_load_b64 v[110:111], v11
	s_wait_xcnt 0x0
	v_dual_add_nc_u32 v11, 8, v11 :: v_dual_add_nc_u32 v13, 8, v13
	s_wait_loadcnt_dscnt 0x0
	v_pk_mul_f32 v[112:113], v[110:111], v[108:109] op_sel:[1,1] op_sel_hi:[0,1]
	s_delay_alu instid0(VALU_DEP_1) | instskip(SKIP_2) | instid1(VALU_DEP_3)
	v_pk_fma_f32 v[114:115], v[110:111], v[108:109], v[112:113] op_sel_hi:[1,0,1]
	v_add_nc_u32_e32 v9, 1, v9
	v_pk_fma_f32 v[108:109], v[110:111], v[108:109], v[112:113] neg_lo:[0,0,1] neg_hi:[0,0,1]
	v_mov_b32_e32 v109, v115
	s_delay_alu instid0(VALU_DEP_3) | instskip(NEXT) | instid1(VALU_DEP_2)
	v_cmp_lt_u32_e32 vcc_lo, 4, v9
	v_pk_add_f32 v[106:107], v[106:107], v[108:109]
	s_or_b32 s1, vcc_lo, s1
	s_delay_alu instid0(SALU_CYCLE_1)
	s_and_not1_b32 exec_lo, exec_lo, s1
	s_cbranch_execnz .LBB50_37
; %bb.38:
	s_or_b32 exec_lo, exec_lo, s1
	v_mov_b32_e32 v9, 0
	ds_load_b64 v[108:109], v9 offset:48
	s_wait_dscnt 0x0
	v_pk_mul_f32 v[110:111], v[106:107], v[108:109] op_sel:[1,1] op_sel_hi:[0,1]
	s_delay_alu instid0(VALU_DEP_1) | instskip(SKIP_1) | instid1(VALU_DEP_2)
	v_pk_fma_f32 v[112:113], v[106:107], v[108:109], v[110:111] op_sel_hi:[1,0,1]
	v_pk_fma_f32 v[106:107], v[106:107], v[108:109], v[110:111] neg_lo:[0,0,1] neg_hi:[0,0,1]
	v_mov_b32_e32 v107, v113
	scratch_store_b64 off, v[106:107], off offset:48
.LBB50_39:
	s_wait_xcnt 0x0
	s_or_b32 exec_lo, exec_lo, s0
	s_wait_storecnt 0x0
	s_barrier_signal -1
	s_barrier_wait -1
	scratch_load_b64 v[106:107], off, off offset:56
	s_mov_b32 s0, exec_lo
	s_wait_loadcnt 0x0
	ds_store_b64 v1, v[106:107]
	s_wait_dscnt 0x0
	s_barrier_signal -1
	s_barrier_wait -1
	v_cmpx_gt_u32_e32 7, v0
	s_cbranch_execz .LBB50_43
; %bb.40:
	v_dual_mov_b32 v106, 0 :: v_dual_add_nc_u32 v9, -1, v0
	v_add_nc_u32_e32 v11, 0x1a0, v104
	v_mov_b32_e32 v13, v104
	s_mov_b32 s1, 0
	s_delay_alu instid0(VALU_DEP_3)
	v_mov_b32_e32 v107, v106
.LBB50_41:                              ; =>This Inner Loop Header: Depth=1
	scratch_load_b64 v[108:109], v13, off
	ds_load_b64 v[110:111], v11
	s_wait_xcnt 0x0
	v_dual_add_nc_u32 v11, 8, v11 :: v_dual_add_nc_u32 v13, 8, v13
	s_wait_loadcnt_dscnt 0x0
	v_pk_mul_f32 v[112:113], v[110:111], v[108:109] op_sel:[1,1] op_sel_hi:[0,1]
	s_delay_alu instid0(VALU_DEP_1) | instskip(SKIP_2) | instid1(VALU_DEP_3)
	v_pk_fma_f32 v[114:115], v[110:111], v[108:109], v[112:113] op_sel_hi:[1,0,1]
	v_add_nc_u32_e32 v9, 1, v9
	v_pk_fma_f32 v[108:109], v[110:111], v[108:109], v[112:113] neg_lo:[0,0,1] neg_hi:[0,0,1]
	v_mov_b32_e32 v109, v115
	s_delay_alu instid0(VALU_DEP_3) | instskip(NEXT) | instid1(VALU_DEP_2)
	v_cmp_lt_u32_e32 vcc_lo, 5, v9
	v_pk_add_f32 v[106:107], v[106:107], v[108:109]
	s_or_b32 s1, vcc_lo, s1
	s_delay_alu instid0(SALU_CYCLE_1)
	s_and_not1_b32 exec_lo, exec_lo, s1
	s_cbranch_execnz .LBB50_41
; %bb.42:
	s_or_b32 exec_lo, exec_lo, s1
	v_mov_b32_e32 v9, 0
	ds_load_b64 v[108:109], v9 offset:56
	s_wait_dscnt 0x0
	v_pk_mul_f32 v[110:111], v[106:107], v[108:109] op_sel:[1,1] op_sel_hi:[0,1]
	s_delay_alu instid0(VALU_DEP_1) | instskip(SKIP_1) | instid1(VALU_DEP_2)
	v_pk_fma_f32 v[112:113], v[106:107], v[108:109], v[110:111] op_sel_hi:[1,0,1]
	v_pk_fma_f32 v[106:107], v[106:107], v[108:109], v[110:111] neg_lo:[0,0,1] neg_hi:[0,0,1]
	v_mov_b32_e32 v107, v113
	scratch_store_b64 off, v[106:107], off offset:56
.LBB50_43:
	s_wait_xcnt 0x0
	s_or_b32 exec_lo, exec_lo, s0
	s_wait_storecnt 0x0
	s_barrier_signal -1
	s_barrier_wait -1
	scratch_load_b64 v[106:107], off, off offset:64
	s_mov_b32 s0, exec_lo
	s_wait_loadcnt 0x0
	ds_store_b64 v1, v[106:107]
	s_wait_dscnt 0x0
	s_barrier_signal -1
	s_barrier_wait -1
	v_cmpx_gt_u32_e32 8, v0
	s_cbranch_execz .LBB50_47
; %bb.44:
	v_dual_mov_b32 v106, 0 :: v_dual_add_nc_u32 v9, -1, v0
	v_add_nc_u32_e32 v11, 0x1a0, v104
	v_mov_b32_e32 v13, v104
	s_mov_b32 s1, 0
	s_delay_alu instid0(VALU_DEP_3)
	v_mov_b32_e32 v107, v106
.LBB50_45:                              ; =>This Inner Loop Header: Depth=1
	scratch_load_b64 v[108:109], v13, off
	ds_load_b64 v[110:111], v11
	s_wait_xcnt 0x0
	v_dual_add_nc_u32 v11, 8, v11 :: v_dual_add_nc_u32 v13, 8, v13
	s_wait_loadcnt_dscnt 0x0
	v_pk_mul_f32 v[112:113], v[110:111], v[108:109] op_sel:[1,1] op_sel_hi:[0,1]
	s_delay_alu instid0(VALU_DEP_1) | instskip(SKIP_2) | instid1(VALU_DEP_3)
	v_pk_fma_f32 v[114:115], v[110:111], v[108:109], v[112:113] op_sel_hi:[1,0,1]
	v_add_nc_u32_e32 v9, 1, v9
	v_pk_fma_f32 v[108:109], v[110:111], v[108:109], v[112:113] neg_lo:[0,0,1] neg_hi:[0,0,1]
	v_mov_b32_e32 v109, v115
	s_delay_alu instid0(VALU_DEP_3) | instskip(NEXT) | instid1(VALU_DEP_2)
	v_cmp_lt_u32_e32 vcc_lo, 6, v9
	v_pk_add_f32 v[106:107], v[106:107], v[108:109]
	s_or_b32 s1, vcc_lo, s1
	s_delay_alu instid0(SALU_CYCLE_1)
	s_and_not1_b32 exec_lo, exec_lo, s1
	s_cbranch_execnz .LBB50_45
; %bb.46:
	s_or_b32 exec_lo, exec_lo, s1
	v_mov_b32_e32 v9, 0
	ds_load_b64 v[108:109], v9 offset:64
	s_wait_dscnt 0x0
	v_pk_mul_f32 v[110:111], v[106:107], v[108:109] op_sel:[1,1] op_sel_hi:[0,1]
	s_delay_alu instid0(VALU_DEP_1) | instskip(SKIP_1) | instid1(VALU_DEP_2)
	v_pk_fma_f32 v[112:113], v[106:107], v[108:109], v[110:111] op_sel_hi:[1,0,1]
	v_pk_fma_f32 v[106:107], v[106:107], v[108:109], v[110:111] neg_lo:[0,0,1] neg_hi:[0,0,1]
	v_mov_b32_e32 v107, v113
	scratch_store_b64 off, v[106:107], off offset:64
.LBB50_47:
	s_wait_xcnt 0x0
	s_or_b32 exec_lo, exec_lo, s0
	s_wait_storecnt 0x0
	s_barrier_signal -1
	s_barrier_wait -1
	scratch_load_b64 v[106:107], off, off offset:72
	s_mov_b32 s0, exec_lo
	s_wait_loadcnt 0x0
	ds_store_b64 v1, v[106:107]
	s_wait_dscnt 0x0
	s_barrier_signal -1
	s_barrier_wait -1
	v_cmpx_gt_u32_e32 9, v0
	s_cbranch_execz .LBB50_51
; %bb.48:
	v_dual_mov_b32 v106, 0 :: v_dual_add_nc_u32 v9, -1, v0
	v_add_nc_u32_e32 v11, 0x1a0, v104
	v_mov_b32_e32 v13, v104
	s_mov_b32 s1, 0
	s_delay_alu instid0(VALU_DEP_3)
	v_mov_b32_e32 v107, v106
.LBB50_49:                              ; =>This Inner Loop Header: Depth=1
	scratch_load_b64 v[108:109], v13, off
	ds_load_b64 v[110:111], v11
	s_wait_xcnt 0x0
	v_dual_add_nc_u32 v11, 8, v11 :: v_dual_add_nc_u32 v13, 8, v13
	s_wait_loadcnt_dscnt 0x0
	v_pk_mul_f32 v[112:113], v[110:111], v[108:109] op_sel:[1,1] op_sel_hi:[0,1]
	s_delay_alu instid0(VALU_DEP_1) | instskip(SKIP_2) | instid1(VALU_DEP_3)
	v_pk_fma_f32 v[114:115], v[110:111], v[108:109], v[112:113] op_sel_hi:[1,0,1]
	v_add_nc_u32_e32 v9, 1, v9
	v_pk_fma_f32 v[108:109], v[110:111], v[108:109], v[112:113] neg_lo:[0,0,1] neg_hi:[0,0,1]
	v_mov_b32_e32 v109, v115
	s_delay_alu instid0(VALU_DEP_3) | instskip(NEXT) | instid1(VALU_DEP_2)
	v_cmp_lt_u32_e32 vcc_lo, 7, v9
	v_pk_add_f32 v[106:107], v[106:107], v[108:109]
	s_or_b32 s1, vcc_lo, s1
	s_delay_alu instid0(SALU_CYCLE_1)
	s_and_not1_b32 exec_lo, exec_lo, s1
	s_cbranch_execnz .LBB50_49
; %bb.50:
	s_or_b32 exec_lo, exec_lo, s1
	v_mov_b32_e32 v9, 0
	ds_load_b64 v[108:109], v9 offset:72
	s_wait_dscnt 0x0
	v_pk_mul_f32 v[110:111], v[106:107], v[108:109] op_sel:[1,1] op_sel_hi:[0,1]
	s_delay_alu instid0(VALU_DEP_1) | instskip(SKIP_1) | instid1(VALU_DEP_2)
	v_pk_fma_f32 v[112:113], v[106:107], v[108:109], v[110:111] op_sel_hi:[1,0,1]
	v_pk_fma_f32 v[106:107], v[106:107], v[108:109], v[110:111] neg_lo:[0,0,1] neg_hi:[0,0,1]
	v_mov_b32_e32 v107, v113
	scratch_store_b64 off, v[106:107], off offset:72
.LBB50_51:
	s_wait_xcnt 0x0
	s_or_b32 exec_lo, exec_lo, s0
	s_wait_storecnt 0x0
	s_barrier_signal -1
	s_barrier_wait -1
	scratch_load_b64 v[106:107], off, off offset:80
	s_mov_b32 s0, exec_lo
	s_wait_loadcnt 0x0
	ds_store_b64 v1, v[106:107]
	s_wait_dscnt 0x0
	s_barrier_signal -1
	s_barrier_wait -1
	v_cmpx_gt_u32_e32 10, v0
	s_cbranch_execz .LBB50_55
; %bb.52:
	v_dual_mov_b32 v106, 0 :: v_dual_add_nc_u32 v9, -1, v0
	v_add_nc_u32_e32 v11, 0x1a0, v104
	v_mov_b32_e32 v13, v104
	s_mov_b32 s1, 0
	s_delay_alu instid0(VALU_DEP_3)
	v_mov_b32_e32 v107, v106
.LBB50_53:                              ; =>This Inner Loop Header: Depth=1
	scratch_load_b64 v[108:109], v13, off
	ds_load_b64 v[110:111], v11
	s_wait_xcnt 0x0
	v_dual_add_nc_u32 v11, 8, v11 :: v_dual_add_nc_u32 v13, 8, v13
	s_wait_loadcnt_dscnt 0x0
	v_pk_mul_f32 v[112:113], v[110:111], v[108:109] op_sel:[1,1] op_sel_hi:[0,1]
	s_delay_alu instid0(VALU_DEP_1) | instskip(SKIP_2) | instid1(VALU_DEP_3)
	v_pk_fma_f32 v[114:115], v[110:111], v[108:109], v[112:113] op_sel_hi:[1,0,1]
	v_add_nc_u32_e32 v9, 1, v9
	v_pk_fma_f32 v[108:109], v[110:111], v[108:109], v[112:113] neg_lo:[0,0,1] neg_hi:[0,0,1]
	v_mov_b32_e32 v109, v115
	s_delay_alu instid0(VALU_DEP_3) | instskip(NEXT) | instid1(VALU_DEP_2)
	v_cmp_lt_u32_e32 vcc_lo, 8, v9
	v_pk_add_f32 v[106:107], v[106:107], v[108:109]
	s_or_b32 s1, vcc_lo, s1
	s_delay_alu instid0(SALU_CYCLE_1)
	s_and_not1_b32 exec_lo, exec_lo, s1
	s_cbranch_execnz .LBB50_53
; %bb.54:
	s_or_b32 exec_lo, exec_lo, s1
	v_mov_b32_e32 v9, 0
	ds_load_b64 v[108:109], v9 offset:80
	s_wait_dscnt 0x0
	v_pk_mul_f32 v[110:111], v[106:107], v[108:109] op_sel:[1,1] op_sel_hi:[0,1]
	s_delay_alu instid0(VALU_DEP_1) | instskip(SKIP_1) | instid1(VALU_DEP_2)
	v_pk_fma_f32 v[112:113], v[106:107], v[108:109], v[110:111] op_sel_hi:[1,0,1]
	v_pk_fma_f32 v[106:107], v[106:107], v[108:109], v[110:111] neg_lo:[0,0,1] neg_hi:[0,0,1]
	v_mov_b32_e32 v107, v113
	scratch_store_b64 off, v[106:107], off offset:80
.LBB50_55:
	s_wait_xcnt 0x0
	s_or_b32 exec_lo, exec_lo, s0
	s_wait_storecnt 0x0
	s_barrier_signal -1
	s_barrier_wait -1
	scratch_load_b64 v[106:107], off, off offset:88
	s_mov_b32 s0, exec_lo
	s_wait_loadcnt 0x0
	ds_store_b64 v1, v[106:107]
	s_wait_dscnt 0x0
	s_barrier_signal -1
	s_barrier_wait -1
	v_cmpx_gt_u32_e32 11, v0
	s_cbranch_execz .LBB50_59
; %bb.56:
	v_dual_mov_b32 v106, 0 :: v_dual_add_nc_u32 v9, -1, v0
	v_add_nc_u32_e32 v11, 0x1a0, v104
	v_mov_b32_e32 v13, v104
	s_mov_b32 s1, 0
	s_delay_alu instid0(VALU_DEP_3)
	v_mov_b32_e32 v107, v106
.LBB50_57:                              ; =>This Inner Loop Header: Depth=1
	scratch_load_b64 v[108:109], v13, off
	ds_load_b64 v[110:111], v11
	s_wait_xcnt 0x0
	v_dual_add_nc_u32 v11, 8, v11 :: v_dual_add_nc_u32 v13, 8, v13
	s_wait_loadcnt_dscnt 0x0
	v_pk_mul_f32 v[112:113], v[110:111], v[108:109] op_sel:[1,1] op_sel_hi:[0,1]
	s_delay_alu instid0(VALU_DEP_1) | instskip(SKIP_2) | instid1(VALU_DEP_3)
	v_pk_fma_f32 v[114:115], v[110:111], v[108:109], v[112:113] op_sel_hi:[1,0,1]
	v_add_nc_u32_e32 v9, 1, v9
	v_pk_fma_f32 v[108:109], v[110:111], v[108:109], v[112:113] neg_lo:[0,0,1] neg_hi:[0,0,1]
	v_mov_b32_e32 v109, v115
	s_delay_alu instid0(VALU_DEP_3) | instskip(NEXT) | instid1(VALU_DEP_2)
	v_cmp_lt_u32_e32 vcc_lo, 9, v9
	v_pk_add_f32 v[106:107], v[106:107], v[108:109]
	s_or_b32 s1, vcc_lo, s1
	s_delay_alu instid0(SALU_CYCLE_1)
	s_and_not1_b32 exec_lo, exec_lo, s1
	s_cbranch_execnz .LBB50_57
; %bb.58:
	s_or_b32 exec_lo, exec_lo, s1
	v_mov_b32_e32 v9, 0
	ds_load_b64 v[108:109], v9 offset:88
	s_wait_dscnt 0x0
	v_pk_mul_f32 v[110:111], v[106:107], v[108:109] op_sel:[1,1] op_sel_hi:[0,1]
	s_delay_alu instid0(VALU_DEP_1) | instskip(SKIP_1) | instid1(VALU_DEP_2)
	v_pk_fma_f32 v[112:113], v[106:107], v[108:109], v[110:111] op_sel_hi:[1,0,1]
	v_pk_fma_f32 v[106:107], v[106:107], v[108:109], v[110:111] neg_lo:[0,0,1] neg_hi:[0,0,1]
	v_mov_b32_e32 v107, v113
	scratch_store_b64 off, v[106:107], off offset:88
.LBB50_59:
	s_wait_xcnt 0x0
	s_or_b32 exec_lo, exec_lo, s0
	s_wait_storecnt 0x0
	s_barrier_signal -1
	s_barrier_wait -1
	scratch_load_b64 v[106:107], off, off offset:96
	s_mov_b32 s0, exec_lo
	s_wait_loadcnt 0x0
	ds_store_b64 v1, v[106:107]
	s_wait_dscnt 0x0
	s_barrier_signal -1
	s_barrier_wait -1
	v_cmpx_gt_u32_e32 12, v0
	s_cbranch_execz .LBB50_63
; %bb.60:
	v_dual_mov_b32 v106, 0 :: v_dual_add_nc_u32 v9, -1, v0
	v_add_nc_u32_e32 v11, 0x1a0, v104
	v_mov_b32_e32 v13, v104
	s_mov_b32 s1, 0
	s_delay_alu instid0(VALU_DEP_3)
	v_mov_b32_e32 v107, v106
.LBB50_61:                              ; =>This Inner Loop Header: Depth=1
	scratch_load_b64 v[108:109], v13, off
	ds_load_b64 v[110:111], v11
	s_wait_xcnt 0x0
	v_dual_add_nc_u32 v11, 8, v11 :: v_dual_add_nc_u32 v13, 8, v13
	s_wait_loadcnt_dscnt 0x0
	v_pk_mul_f32 v[112:113], v[110:111], v[108:109] op_sel:[1,1] op_sel_hi:[0,1]
	s_delay_alu instid0(VALU_DEP_1) | instskip(SKIP_2) | instid1(VALU_DEP_3)
	v_pk_fma_f32 v[114:115], v[110:111], v[108:109], v[112:113] op_sel_hi:[1,0,1]
	v_add_nc_u32_e32 v9, 1, v9
	v_pk_fma_f32 v[108:109], v[110:111], v[108:109], v[112:113] neg_lo:[0,0,1] neg_hi:[0,0,1]
	v_mov_b32_e32 v109, v115
	s_delay_alu instid0(VALU_DEP_3) | instskip(NEXT) | instid1(VALU_DEP_2)
	v_cmp_lt_u32_e32 vcc_lo, 10, v9
	v_pk_add_f32 v[106:107], v[106:107], v[108:109]
	s_or_b32 s1, vcc_lo, s1
	s_delay_alu instid0(SALU_CYCLE_1)
	s_and_not1_b32 exec_lo, exec_lo, s1
	s_cbranch_execnz .LBB50_61
; %bb.62:
	s_or_b32 exec_lo, exec_lo, s1
	v_mov_b32_e32 v9, 0
	ds_load_b64 v[108:109], v9 offset:96
	s_wait_dscnt 0x0
	v_pk_mul_f32 v[110:111], v[106:107], v[108:109] op_sel:[1,1] op_sel_hi:[0,1]
	s_delay_alu instid0(VALU_DEP_1) | instskip(SKIP_1) | instid1(VALU_DEP_2)
	v_pk_fma_f32 v[112:113], v[106:107], v[108:109], v[110:111] op_sel_hi:[1,0,1]
	v_pk_fma_f32 v[106:107], v[106:107], v[108:109], v[110:111] neg_lo:[0,0,1] neg_hi:[0,0,1]
	v_mov_b32_e32 v107, v113
	scratch_store_b64 off, v[106:107], off offset:96
.LBB50_63:
	s_wait_xcnt 0x0
	s_or_b32 exec_lo, exec_lo, s0
	s_wait_storecnt 0x0
	s_barrier_signal -1
	s_barrier_wait -1
	scratch_load_b64 v[106:107], off, off offset:104
	s_mov_b32 s0, exec_lo
	s_wait_loadcnt 0x0
	ds_store_b64 v1, v[106:107]
	s_wait_dscnt 0x0
	s_barrier_signal -1
	s_barrier_wait -1
	v_cmpx_gt_u32_e32 13, v0
	s_cbranch_execz .LBB50_67
; %bb.64:
	v_dual_mov_b32 v106, 0 :: v_dual_add_nc_u32 v9, -1, v0
	v_add_nc_u32_e32 v11, 0x1a0, v104
	v_mov_b32_e32 v13, v104
	s_mov_b32 s1, 0
	s_delay_alu instid0(VALU_DEP_3)
	v_mov_b32_e32 v107, v106
.LBB50_65:                              ; =>This Inner Loop Header: Depth=1
	scratch_load_b64 v[108:109], v13, off
	ds_load_b64 v[110:111], v11
	s_wait_xcnt 0x0
	v_dual_add_nc_u32 v11, 8, v11 :: v_dual_add_nc_u32 v13, 8, v13
	s_wait_loadcnt_dscnt 0x0
	v_pk_mul_f32 v[112:113], v[110:111], v[108:109] op_sel:[1,1] op_sel_hi:[0,1]
	s_delay_alu instid0(VALU_DEP_1) | instskip(SKIP_2) | instid1(VALU_DEP_3)
	v_pk_fma_f32 v[114:115], v[110:111], v[108:109], v[112:113] op_sel_hi:[1,0,1]
	v_add_nc_u32_e32 v9, 1, v9
	v_pk_fma_f32 v[108:109], v[110:111], v[108:109], v[112:113] neg_lo:[0,0,1] neg_hi:[0,0,1]
	v_mov_b32_e32 v109, v115
	s_delay_alu instid0(VALU_DEP_3) | instskip(NEXT) | instid1(VALU_DEP_2)
	v_cmp_lt_u32_e32 vcc_lo, 11, v9
	v_pk_add_f32 v[106:107], v[106:107], v[108:109]
	s_or_b32 s1, vcc_lo, s1
	s_delay_alu instid0(SALU_CYCLE_1)
	s_and_not1_b32 exec_lo, exec_lo, s1
	s_cbranch_execnz .LBB50_65
; %bb.66:
	s_or_b32 exec_lo, exec_lo, s1
	v_mov_b32_e32 v9, 0
	ds_load_b64 v[108:109], v9 offset:104
	s_wait_dscnt 0x0
	v_pk_mul_f32 v[110:111], v[106:107], v[108:109] op_sel:[1,1] op_sel_hi:[0,1]
	s_delay_alu instid0(VALU_DEP_1) | instskip(SKIP_1) | instid1(VALU_DEP_2)
	v_pk_fma_f32 v[112:113], v[106:107], v[108:109], v[110:111] op_sel_hi:[1,0,1]
	v_pk_fma_f32 v[106:107], v[106:107], v[108:109], v[110:111] neg_lo:[0,0,1] neg_hi:[0,0,1]
	v_mov_b32_e32 v107, v113
	scratch_store_b64 off, v[106:107], off offset:104
.LBB50_67:
	s_wait_xcnt 0x0
	s_or_b32 exec_lo, exec_lo, s0
	s_wait_storecnt 0x0
	s_barrier_signal -1
	s_barrier_wait -1
	scratch_load_b64 v[106:107], off, off offset:112
	s_mov_b32 s0, exec_lo
	s_wait_loadcnt 0x0
	ds_store_b64 v1, v[106:107]
	s_wait_dscnt 0x0
	s_barrier_signal -1
	s_barrier_wait -1
	v_cmpx_gt_u32_e32 14, v0
	s_cbranch_execz .LBB50_71
; %bb.68:
	v_dual_mov_b32 v106, 0 :: v_dual_add_nc_u32 v9, -1, v0
	v_add_nc_u32_e32 v11, 0x1a0, v104
	v_mov_b32_e32 v13, v104
	s_mov_b32 s1, 0
	s_delay_alu instid0(VALU_DEP_3)
	v_mov_b32_e32 v107, v106
.LBB50_69:                              ; =>This Inner Loop Header: Depth=1
	scratch_load_b64 v[108:109], v13, off
	ds_load_b64 v[110:111], v11
	s_wait_xcnt 0x0
	v_dual_add_nc_u32 v11, 8, v11 :: v_dual_add_nc_u32 v13, 8, v13
	s_wait_loadcnt_dscnt 0x0
	v_pk_mul_f32 v[112:113], v[110:111], v[108:109] op_sel:[1,1] op_sel_hi:[0,1]
	s_delay_alu instid0(VALU_DEP_1) | instskip(SKIP_2) | instid1(VALU_DEP_3)
	v_pk_fma_f32 v[114:115], v[110:111], v[108:109], v[112:113] op_sel_hi:[1,0,1]
	v_add_nc_u32_e32 v9, 1, v9
	v_pk_fma_f32 v[108:109], v[110:111], v[108:109], v[112:113] neg_lo:[0,0,1] neg_hi:[0,0,1]
	v_mov_b32_e32 v109, v115
	s_delay_alu instid0(VALU_DEP_3) | instskip(NEXT) | instid1(VALU_DEP_2)
	v_cmp_lt_u32_e32 vcc_lo, 12, v9
	v_pk_add_f32 v[106:107], v[106:107], v[108:109]
	s_or_b32 s1, vcc_lo, s1
	s_delay_alu instid0(SALU_CYCLE_1)
	s_and_not1_b32 exec_lo, exec_lo, s1
	s_cbranch_execnz .LBB50_69
; %bb.70:
	s_or_b32 exec_lo, exec_lo, s1
	v_mov_b32_e32 v9, 0
	ds_load_b64 v[108:109], v9 offset:112
	s_wait_dscnt 0x0
	v_pk_mul_f32 v[110:111], v[106:107], v[108:109] op_sel:[1,1] op_sel_hi:[0,1]
	s_delay_alu instid0(VALU_DEP_1) | instskip(SKIP_1) | instid1(VALU_DEP_2)
	v_pk_fma_f32 v[112:113], v[106:107], v[108:109], v[110:111] op_sel_hi:[1,0,1]
	v_pk_fma_f32 v[106:107], v[106:107], v[108:109], v[110:111] neg_lo:[0,0,1] neg_hi:[0,0,1]
	v_mov_b32_e32 v107, v113
	scratch_store_b64 off, v[106:107], off offset:112
.LBB50_71:
	s_wait_xcnt 0x0
	s_or_b32 exec_lo, exec_lo, s0
	s_wait_storecnt 0x0
	s_barrier_signal -1
	s_barrier_wait -1
	scratch_load_b64 v[106:107], off, off offset:120
	s_mov_b32 s0, exec_lo
	s_wait_loadcnt 0x0
	ds_store_b64 v1, v[106:107]
	s_wait_dscnt 0x0
	s_barrier_signal -1
	s_barrier_wait -1
	v_cmpx_gt_u32_e32 15, v0
	s_cbranch_execz .LBB50_75
; %bb.72:
	v_dual_mov_b32 v106, 0 :: v_dual_add_nc_u32 v9, -1, v0
	v_add_nc_u32_e32 v11, 0x1a0, v104
	v_mov_b32_e32 v13, v104
	s_mov_b32 s1, 0
	s_delay_alu instid0(VALU_DEP_3)
	v_mov_b32_e32 v107, v106
.LBB50_73:                              ; =>This Inner Loop Header: Depth=1
	scratch_load_b64 v[108:109], v13, off
	ds_load_b64 v[110:111], v11
	s_wait_xcnt 0x0
	v_dual_add_nc_u32 v11, 8, v11 :: v_dual_add_nc_u32 v13, 8, v13
	s_wait_loadcnt_dscnt 0x0
	v_pk_mul_f32 v[112:113], v[110:111], v[108:109] op_sel:[1,1] op_sel_hi:[0,1]
	s_delay_alu instid0(VALU_DEP_1) | instskip(SKIP_2) | instid1(VALU_DEP_3)
	v_pk_fma_f32 v[114:115], v[110:111], v[108:109], v[112:113] op_sel_hi:[1,0,1]
	v_add_nc_u32_e32 v9, 1, v9
	v_pk_fma_f32 v[108:109], v[110:111], v[108:109], v[112:113] neg_lo:[0,0,1] neg_hi:[0,0,1]
	v_mov_b32_e32 v109, v115
	s_delay_alu instid0(VALU_DEP_3) | instskip(NEXT) | instid1(VALU_DEP_2)
	v_cmp_lt_u32_e32 vcc_lo, 13, v9
	v_pk_add_f32 v[106:107], v[106:107], v[108:109]
	s_or_b32 s1, vcc_lo, s1
	s_delay_alu instid0(SALU_CYCLE_1)
	s_and_not1_b32 exec_lo, exec_lo, s1
	s_cbranch_execnz .LBB50_73
; %bb.74:
	s_or_b32 exec_lo, exec_lo, s1
	v_mov_b32_e32 v9, 0
	ds_load_b64 v[108:109], v9 offset:120
	s_wait_dscnt 0x0
	v_pk_mul_f32 v[110:111], v[106:107], v[108:109] op_sel:[1,1] op_sel_hi:[0,1]
	s_delay_alu instid0(VALU_DEP_1) | instskip(SKIP_1) | instid1(VALU_DEP_2)
	v_pk_fma_f32 v[112:113], v[106:107], v[108:109], v[110:111] op_sel_hi:[1,0,1]
	v_pk_fma_f32 v[106:107], v[106:107], v[108:109], v[110:111] neg_lo:[0,0,1] neg_hi:[0,0,1]
	v_mov_b32_e32 v107, v113
	scratch_store_b64 off, v[106:107], off offset:120
.LBB50_75:
	s_wait_xcnt 0x0
	s_or_b32 exec_lo, exec_lo, s0
	s_wait_storecnt 0x0
	s_barrier_signal -1
	s_barrier_wait -1
	scratch_load_b64 v[106:107], off, off offset:128
	s_mov_b32 s0, exec_lo
	s_wait_loadcnt 0x0
	ds_store_b64 v1, v[106:107]
	s_wait_dscnt 0x0
	s_barrier_signal -1
	s_barrier_wait -1
	v_cmpx_gt_u32_e32 16, v0
	s_cbranch_execz .LBB50_79
; %bb.76:
	v_dual_mov_b32 v106, 0 :: v_dual_add_nc_u32 v9, -1, v0
	v_add_nc_u32_e32 v11, 0x1a0, v104
	v_mov_b32_e32 v13, v104
	s_mov_b32 s1, 0
	s_delay_alu instid0(VALU_DEP_3)
	v_mov_b32_e32 v107, v106
.LBB50_77:                              ; =>This Inner Loop Header: Depth=1
	scratch_load_b64 v[108:109], v13, off
	ds_load_b64 v[110:111], v11
	s_wait_xcnt 0x0
	v_dual_add_nc_u32 v11, 8, v11 :: v_dual_add_nc_u32 v13, 8, v13
	s_wait_loadcnt_dscnt 0x0
	v_pk_mul_f32 v[112:113], v[110:111], v[108:109] op_sel:[1,1] op_sel_hi:[0,1]
	s_delay_alu instid0(VALU_DEP_1) | instskip(SKIP_2) | instid1(VALU_DEP_3)
	v_pk_fma_f32 v[114:115], v[110:111], v[108:109], v[112:113] op_sel_hi:[1,0,1]
	v_add_nc_u32_e32 v9, 1, v9
	v_pk_fma_f32 v[108:109], v[110:111], v[108:109], v[112:113] neg_lo:[0,0,1] neg_hi:[0,0,1]
	v_mov_b32_e32 v109, v115
	s_delay_alu instid0(VALU_DEP_3) | instskip(NEXT) | instid1(VALU_DEP_2)
	v_cmp_lt_u32_e32 vcc_lo, 14, v9
	v_pk_add_f32 v[106:107], v[106:107], v[108:109]
	s_or_b32 s1, vcc_lo, s1
	s_delay_alu instid0(SALU_CYCLE_1)
	s_and_not1_b32 exec_lo, exec_lo, s1
	s_cbranch_execnz .LBB50_77
; %bb.78:
	s_or_b32 exec_lo, exec_lo, s1
	v_mov_b32_e32 v9, 0
	ds_load_b64 v[108:109], v9 offset:128
	s_wait_dscnt 0x0
	v_pk_mul_f32 v[110:111], v[106:107], v[108:109] op_sel:[1,1] op_sel_hi:[0,1]
	s_delay_alu instid0(VALU_DEP_1) | instskip(SKIP_1) | instid1(VALU_DEP_2)
	v_pk_fma_f32 v[112:113], v[106:107], v[108:109], v[110:111] op_sel_hi:[1,0,1]
	v_pk_fma_f32 v[106:107], v[106:107], v[108:109], v[110:111] neg_lo:[0,0,1] neg_hi:[0,0,1]
	v_mov_b32_e32 v107, v113
	scratch_store_b64 off, v[106:107], off offset:128
.LBB50_79:
	s_wait_xcnt 0x0
	s_or_b32 exec_lo, exec_lo, s0
	s_wait_storecnt 0x0
	s_barrier_signal -1
	s_barrier_wait -1
	scratch_load_b64 v[106:107], off, off offset:136
	s_mov_b32 s0, exec_lo
	s_wait_loadcnt 0x0
	ds_store_b64 v1, v[106:107]
	s_wait_dscnt 0x0
	s_barrier_signal -1
	s_barrier_wait -1
	v_cmpx_gt_u32_e32 17, v0
	s_cbranch_execz .LBB50_83
; %bb.80:
	v_dual_mov_b32 v106, 0 :: v_dual_add_nc_u32 v9, -1, v0
	v_add_nc_u32_e32 v11, 0x1a0, v104
	v_mov_b32_e32 v13, v104
	s_mov_b32 s1, 0
	s_delay_alu instid0(VALU_DEP_3)
	v_mov_b32_e32 v107, v106
.LBB50_81:                              ; =>This Inner Loop Header: Depth=1
	scratch_load_b64 v[108:109], v13, off
	ds_load_b64 v[110:111], v11
	s_wait_xcnt 0x0
	v_dual_add_nc_u32 v11, 8, v11 :: v_dual_add_nc_u32 v13, 8, v13
	s_wait_loadcnt_dscnt 0x0
	v_pk_mul_f32 v[112:113], v[110:111], v[108:109] op_sel:[1,1] op_sel_hi:[0,1]
	s_delay_alu instid0(VALU_DEP_1) | instskip(SKIP_2) | instid1(VALU_DEP_3)
	v_pk_fma_f32 v[114:115], v[110:111], v[108:109], v[112:113] op_sel_hi:[1,0,1]
	v_add_nc_u32_e32 v9, 1, v9
	v_pk_fma_f32 v[108:109], v[110:111], v[108:109], v[112:113] neg_lo:[0,0,1] neg_hi:[0,0,1]
	v_mov_b32_e32 v109, v115
	s_delay_alu instid0(VALU_DEP_3) | instskip(NEXT) | instid1(VALU_DEP_2)
	v_cmp_lt_u32_e32 vcc_lo, 15, v9
	v_pk_add_f32 v[106:107], v[106:107], v[108:109]
	s_or_b32 s1, vcc_lo, s1
	s_delay_alu instid0(SALU_CYCLE_1)
	s_and_not1_b32 exec_lo, exec_lo, s1
	s_cbranch_execnz .LBB50_81
; %bb.82:
	s_or_b32 exec_lo, exec_lo, s1
	v_mov_b32_e32 v9, 0
	ds_load_b64 v[108:109], v9 offset:136
	s_wait_dscnt 0x0
	v_pk_mul_f32 v[110:111], v[106:107], v[108:109] op_sel:[1,1] op_sel_hi:[0,1]
	s_delay_alu instid0(VALU_DEP_1) | instskip(SKIP_1) | instid1(VALU_DEP_2)
	v_pk_fma_f32 v[112:113], v[106:107], v[108:109], v[110:111] op_sel_hi:[1,0,1]
	v_pk_fma_f32 v[106:107], v[106:107], v[108:109], v[110:111] neg_lo:[0,0,1] neg_hi:[0,0,1]
	v_mov_b32_e32 v107, v113
	scratch_store_b64 off, v[106:107], off offset:136
.LBB50_83:
	s_wait_xcnt 0x0
	s_or_b32 exec_lo, exec_lo, s0
	s_wait_storecnt 0x0
	s_barrier_signal -1
	s_barrier_wait -1
	scratch_load_b64 v[106:107], off, off offset:144
	s_mov_b32 s0, exec_lo
	s_wait_loadcnt 0x0
	ds_store_b64 v1, v[106:107]
	s_wait_dscnt 0x0
	s_barrier_signal -1
	s_barrier_wait -1
	v_cmpx_gt_u32_e32 18, v0
	s_cbranch_execz .LBB50_87
; %bb.84:
	v_dual_mov_b32 v106, 0 :: v_dual_add_nc_u32 v9, -1, v0
	v_add_nc_u32_e32 v11, 0x1a0, v104
	v_mov_b32_e32 v13, v104
	s_mov_b32 s1, 0
	s_delay_alu instid0(VALU_DEP_3)
	v_mov_b32_e32 v107, v106
.LBB50_85:                              ; =>This Inner Loop Header: Depth=1
	scratch_load_b64 v[108:109], v13, off
	ds_load_b64 v[110:111], v11
	s_wait_xcnt 0x0
	v_dual_add_nc_u32 v11, 8, v11 :: v_dual_add_nc_u32 v13, 8, v13
	s_wait_loadcnt_dscnt 0x0
	v_pk_mul_f32 v[112:113], v[110:111], v[108:109] op_sel:[1,1] op_sel_hi:[0,1]
	s_delay_alu instid0(VALU_DEP_1) | instskip(SKIP_2) | instid1(VALU_DEP_3)
	v_pk_fma_f32 v[114:115], v[110:111], v[108:109], v[112:113] op_sel_hi:[1,0,1]
	v_add_nc_u32_e32 v9, 1, v9
	v_pk_fma_f32 v[108:109], v[110:111], v[108:109], v[112:113] neg_lo:[0,0,1] neg_hi:[0,0,1]
	v_mov_b32_e32 v109, v115
	s_delay_alu instid0(VALU_DEP_3) | instskip(NEXT) | instid1(VALU_DEP_2)
	v_cmp_lt_u32_e32 vcc_lo, 16, v9
	v_pk_add_f32 v[106:107], v[106:107], v[108:109]
	s_or_b32 s1, vcc_lo, s1
	s_delay_alu instid0(SALU_CYCLE_1)
	s_and_not1_b32 exec_lo, exec_lo, s1
	s_cbranch_execnz .LBB50_85
; %bb.86:
	s_or_b32 exec_lo, exec_lo, s1
	v_mov_b32_e32 v9, 0
	ds_load_b64 v[108:109], v9 offset:144
	s_wait_dscnt 0x0
	v_pk_mul_f32 v[110:111], v[106:107], v[108:109] op_sel:[1,1] op_sel_hi:[0,1]
	s_delay_alu instid0(VALU_DEP_1) | instskip(SKIP_1) | instid1(VALU_DEP_2)
	v_pk_fma_f32 v[112:113], v[106:107], v[108:109], v[110:111] op_sel_hi:[1,0,1]
	v_pk_fma_f32 v[106:107], v[106:107], v[108:109], v[110:111] neg_lo:[0,0,1] neg_hi:[0,0,1]
	v_mov_b32_e32 v107, v113
	scratch_store_b64 off, v[106:107], off offset:144
.LBB50_87:
	s_wait_xcnt 0x0
	s_or_b32 exec_lo, exec_lo, s0
	s_wait_storecnt 0x0
	s_barrier_signal -1
	s_barrier_wait -1
	scratch_load_b64 v[106:107], off, off offset:152
	s_mov_b32 s0, exec_lo
	s_wait_loadcnt 0x0
	ds_store_b64 v1, v[106:107]
	s_wait_dscnt 0x0
	s_barrier_signal -1
	s_barrier_wait -1
	v_cmpx_gt_u32_e32 19, v0
	s_cbranch_execz .LBB50_91
; %bb.88:
	v_dual_mov_b32 v106, 0 :: v_dual_add_nc_u32 v9, -1, v0
	v_add_nc_u32_e32 v11, 0x1a0, v104
	v_mov_b32_e32 v13, v104
	s_mov_b32 s1, 0
	s_delay_alu instid0(VALU_DEP_3)
	v_mov_b32_e32 v107, v106
.LBB50_89:                              ; =>This Inner Loop Header: Depth=1
	scratch_load_b64 v[108:109], v13, off
	ds_load_b64 v[110:111], v11
	s_wait_xcnt 0x0
	v_dual_add_nc_u32 v11, 8, v11 :: v_dual_add_nc_u32 v13, 8, v13
	s_wait_loadcnt_dscnt 0x0
	v_pk_mul_f32 v[112:113], v[110:111], v[108:109] op_sel:[1,1] op_sel_hi:[0,1]
	s_delay_alu instid0(VALU_DEP_1) | instskip(SKIP_2) | instid1(VALU_DEP_3)
	v_pk_fma_f32 v[114:115], v[110:111], v[108:109], v[112:113] op_sel_hi:[1,0,1]
	v_add_nc_u32_e32 v9, 1, v9
	v_pk_fma_f32 v[108:109], v[110:111], v[108:109], v[112:113] neg_lo:[0,0,1] neg_hi:[0,0,1]
	v_mov_b32_e32 v109, v115
	s_delay_alu instid0(VALU_DEP_3) | instskip(NEXT) | instid1(VALU_DEP_2)
	v_cmp_lt_u32_e32 vcc_lo, 17, v9
	v_pk_add_f32 v[106:107], v[106:107], v[108:109]
	s_or_b32 s1, vcc_lo, s1
	s_delay_alu instid0(SALU_CYCLE_1)
	s_and_not1_b32 exec_lo, exec_lo, s1
	s_cbranch_execnz .LBB50_89
; %bb.90:
	s_or_b32 exec_lo, exec_lo, s1
	v_mov_b32_e32 v9, 0
	ds_load_b64 v[108:109], v9 offset:152
	s_wait_dscnt 0x0
	v_pk_mul_f32 v[110:111], v[106:107], v[108:109] op_sel:[1,1] op_sel_hi:[0,1]
	s_delay_alu instid0(VALU_DEP_1) | instskip(SKIP_1) | instid1(VALU_DEP_2)
	v_pk_fma_f32 v[112:113], v[106:107], v[108:109], v[110:111] op_sel_hi:[1,0,1]
	v_pk_fma_f32 v[106:107], v[106:107], v[108:109], v[110:111] neg_lo:[0,0,1] neg_hi:[0,0,1]
	v_mov_b32_e32 v107, v113
	scratch_store_b64 off, v[106:107], off offset:152
.LBB50_91:
	s_wait_xcnt 0x0
	s_or_b32 exec_lo, exec_lo, s0
	s_wait_storecnt 0x0
	s_barrier_signal -1
	s_barrier_wait -1
	scratch_load_b64 v[106:107], off, off offset:160
	s_mov_b32 s0, exec_lo
	s_wait_loadcnt 0x0
	ds_store_b64 v1, v[106:107]
	s_wait_dscnt 0x0
	s_barrier_signal -1
	s_barrier_wait -1
	v_cmpx_gt_u32_e32 20, v0
	s_cbranch_execz .LBB50_95
; %bb.92:
	v_dual_mov_b32 v106, 0 :: v_dual_add_nc_u32 v9, -1, v0
	v_add_nc_u32_e32 v11, 0x1a0, v104
	v_mov_b32_e32 v13, v104
	s_mov_b32 s1, 0
	s_delay_alu instid0(VALU_DEP_3)
	v_mov_b32_e32 v107, v106
.LBB50_93:                              ; =>This Inner Loop Header: Depth=1
	scratch_load_b64 v[108:109], v13, off
	ds_load_b64 v[110:111], v11
	s_wait_xcnt 0x0
	v_dual_add_nc_u32 v11, 8, v11 :: v_dual_add_nc_u32 v13, 8, v13
	s_wait_loadcnt_dscnt 0x0
	v_pk_mul_f32 v[112:113], v[110:111], v[108:109] op_sel:[1,1] op_sel_hi:[0,1]
	s_delay_alu instid0(VALU_DEP_1) | instskip(SKIP_2) | instid1(VALU_DEP_3)
	v_pk_fma_f32 v[114:115], v[110:111], v[108:109], v[112:113] op_sel_hi:[1,0,1]
	v_add_nc_u32_e32 v9, 1, v9
	v_pk_fma_f32 v[108:109], v[110:111], v[108:109], v[112:113] neg_lo:[0,0,1] neg_hi:[0,0,1]
	v_mov_b32_e32 v109, v115
	s_delay_alu instid0(VALU_DEP_3) | instskip(NEXT) | instid1(VALU_DEP_2)
	v_cmp_lt_u32_e32 vcc_lo, 18, v9
	v_pk_add_f32 v[106:107], v[106:107], v[108:109]
	s_or_b32 s1, vcc_lo, s1
	s_delay_alu instid0(SALU_CYCLE_1)
	s_and_not1_b32 exec_lo, exec_lo, s1
	s_cbranch_execnz .LBB50_93
; %bb.94:
	s_or_b32 exec_lo, exec_lo, s1
	v_mov_b32_e32 v9, 0
	ds_load_b64 v[108:109], v9 offset:160
	s_wait_dscnt 0x0
	v_pk_mul_f32 v[110:111], v[106:107], v[108:109] op_sel:[1,1] op_sel_hi:[0,1]
	s_delay_alu instid0(VALU_DEP_1) | instskip(SKIP_1) | instid1(VALU_DEP_2)
	v_pk_fma_f32 v[112:113], v[106:107], v[108:109], v[110:111] op_sel_hi:[1,0,1]
	v_pk_fma_f32 v[106:107], v[106:107], v[108:109], v[110:111] neg_lo:[0,0,1] neg_hi:[0,0,1]
	v_mov_b32_e32 v107, v113
	scratch_store_b64 off, v[106:107], off offset:160
.LBB50_95:
	s_wait_xcnt 0x0
	s_or_b32 exec_lo, exec_lo, s0
	s_wait_storecnt 0x0
	s_barrier_signal -1
	s_barrier_wait -1
	scratch_load_b64 v[106:107], off, off offset:168
	s_mov_b32 s0, exec_lo
	s_wait_loadcnt 0x0
	ds_store_b64 v1, v[106:107]
	s_wait_dscnt 0x0
	s_barrier_signal -1
	s_barrier_wait -1
	v_cmpx_gt_u32_e32 21, v0
	s_cbranch_execz .LBB50_99
; %bb.96:
	v_dual_mov_b32 v106, 0 :: v_dual_add_nc_u32 v9, -1, v0
	v_add_nc_u32_e32 v11, 0x1a0, v104
	v_mov_b32_e32 v13, v104
	s_mov_b32 s1, 0
	s_delay_alu instid0(VALU_DEP_3)
	v_mov_b32_e32 v107, v106
.LBB50_97:                              ; =>This Inner Loop Header: Depth=1
	scratch_load_b64 v[108:109], v13, off
	ds_load_b64 v[110:111], v11
	s_wait_xcnt 0x0
	v_dual_add_nc_u32 v11, 8, v11 :: v_dual_add_nc_u32 v13, 8, v13
	s_wait_loadcnt_dscnt 0x0
	v_pk_mul_f32 v[112:113], v[110:111], v[108:109] op_sel:[1,1] op_sel_hi:[0,1]
	s_delay_alu instid0(VALU_DEP_1) | instskip(SKIP_2) | instid1(VALU_DEP_3)
	v_pk_fma_f32 v[114:115], v[110:111], v[108:109], v[112:113] op_sel_hi:[1,0,1]
	v_add_nc_u32_e32 v9, 1, v9
	v_pk_fma_f32 v[108:109], v[110:111], v[108:109], v[112:113] neg_lo:[0,0,1] neg_hi:[0,0,1]
	v_mov_b32_e32 v109, v115
	s_delay_alu instid0(VALU_DEP_3) | instskip(NEXT) | instid1(VALU_DEP_2)
	v_cmp_lt_u32_e32 vcc_lo, 19, v9
	v_pk_add_f32 v[106:107], v[106:107], v[108:109]
	s_or_b32 s1, vcc_lo, s1
	s_delay_alu instid0(SALU_CYCLE_1)
	s_and_not1_b32 exec_lo, exec_lo, s1
	s_cbranch_execnz .LBB50_97
; %bb.98:
	s_or_b32 exec_lo, exec_lo, s1
	v_mov_b32_e32 v9, 0
	ds_load_b64 v[108:109], v9 offset:168
	s_wait_dscnt 0x0
	v_pk_mul_f32 v[110:111], v[106:107], v[108:109] op_sel:[1,1] op_sel_hi:[0,1]
	s_delay_alu instid0(VALU_DEP_1) | instskip(SKIP_1) | instid1(VALU_DEP_2)
	v_pk_fma_f32 v[112:113], v[106:107], v[108:109], v[110:111] op_sel_hi:[1,0,1]
	v_pk_fma_f32 v[106:107], v[106:107], v[108:109], v[110:111] neg_lo:[0,0,1] neg_hi:[0,0,1]
	v_mov_b32_e32 v107, v113
	scratch_store_b64 off, v[106:107], off offset:168
.LBB50_99:
	s_wait_xcnt 0x0
	s_or_b32 exec_lo, exec_lo, s0
	s_wait_storecnt 0x0
	s_barrier_signal -1
	s_barrier_wait -1
	scratch_load_b64 v[106:107], off, off offset:176
	s_mov_b32 s0, exec_lo
	s_wait_loadcnt 0x0
	ds_store_b64 v1, v[106:107]
	s_wait_dscnt 0x0
	s_barrier_signal -1
	s_barrier_wait -1
	v_cmpx_gt_u32_e32 22, v0
	s_cbranch_execz .LBB50_103
; %bb.100:
	v_dual_mov_b32 v106, 0 :: v_dual_add_nc_u32 v9, -1, v0
	v_add_nc_u32_e32 v11, 0x1a0, v104
	v_mov_b32_e32 v13, v104
	s_mov_b32 s1, 0
	s_delay_alu instid0(VALU_DEP_3)
	v_mov_b32_e32 v107, v106
.LBB50_101:                             ; =>This Inner Loop Header: Depth=1
	scratch_load_b64 v[108:109], v13, off
	ds_load_b64 v[110:111], v11
	s_wait_xcnt 0x0
	v_dual_add_nc_u32 v11, 8, v11 :: v_dual_add_nc_u32 v13, 8, v13
	s_wait_loadcnt_dscnt 0x0
	v_pk_mul_f32 v[112:113], v[110:111], v[108:109] op_sel:[1,1] op_sel_hi:[0,1]
	s_delay_alu instid0(VALU_DEP_1) | instskip(SKIP_2) | instid1(VALU_DEP_3)
	v_pk_fma_f32 v[114:115], v[110:111], v[108:109], v[112:113] op_sel_hi:[1,0,1]
	v_add_nc_u32_e32 v9, 1, v9
	v_pk_fma_f32 v[108:109], v[110:111], v[108:109], v[112:113] neg_lo:[0,0,1] neg_hi:[0,0,1]
	v_mov_b32_e32 v109, v115
	s_delay_alu instid0(VALU_DEP_3) | instskip(NEXT) | instid1(VALU_DEP_2)
	v_cmp_lt_u32_e32 vcc_lo, 20, v9
	v_pk_add_f32 v[106:107], v[106:107], v[108:109]
	s_or_b32 s1, vcc_lo, s1
	s_delay_alu instid0(SALU_CYCLE_1)
	s_and_not1_b32 exec_lo, exec_lo, s1
	s_cbranch_execnz .LBB50_101
; %bb.102:
	s_or_b32 exec_lo, exec_lo, s1
	v_mov_b32_e32 v9, 0
	ds_load_b64 v[108:109], v9 offset:176
	s_wait_dscnt 0x0
	v_pk_mul_f32 v[110:111], v[106:107], v[108:109] op_sel:[1,1] op_sel_hi:[0,1]
	s_delay_alu instid0(VALU_DEP_1) | instskip(SKIP_1) | instid1(VALU_DEP_2)
	v_pk_fma_f32 v[112:113], v[106:107], v[108:109], v[110:111] op_sel_hi:[1,0,1]
	v_pk_fma_f32 v[106:107], v[106:107], v[108:109], v[110:111] neg_lo:[0,0,1] neg_hi:[0,0,1]
	v_mov_b32_e32 v107, v113
	scratch_store_b64 off, v[106:107], off offset:176
.LBB50_103:
	s_wait_xcnt 0x0
	s_or_b32 exec_lo, exec_lo, s0
	s_wait_storecnt 0x0
	s_barrier_signal -1
	s_barrier_wait -1
	scratch_load_b64 v[106:107], off, off offset:184
	s_mov_b32 s0, exec_lo
	s_wait_loadcnt 0x0
	ds_store_b64 v1, v[106:107]
	s_wait_dscnt 0x0
	s_barrier_signal -1
	s_barrier_wait -1
	v_cmpx_gt_u32_e32 23, v0
	s_cbranch_execz .LBB50_107
; %bb.104:
	v_dual_mov_b32 v106, 0 :: v_dual_add_nc_u32 v9, -1, v0
	v_add_nc_u32_e32 v11, 0x1a0, v104
	v_mov_b32_e32 v13, v104
	s_mov_b32 s1, 0
	s_delay_alu instid0(VALU_DEP_3)
	v_mov_b32_e32 v107, v106
.LBB50_105:                             ; =>This Inner Loop Header: Depth=1
	scratch_load_b64 v[108:109], v13, off
	ds_load_b64 v[110:111], v11
	s_wait_xcnt 0x0
	v_dual_add_nc_u32 v11, 8, v11 :: v_dual_add_nc_u32 v13, 8, v13
	s_wait_loadcnt_dscnt 0x0
	v_pk_mul_f32 v[112:113], v[110:111], v[108:109] op_sel:[1,1] op_sel_hi:[0,1]
	s_delay_alu instid0(VALU_DEP_1) | instskip(SKIP_2) | instid1(VALU_DEP_3)
	v_pk_fma_f32 v[114:115], v[110:111], v[108:109], v[112:113] op_sel_hi:[1,0,1]
	v_add_nc_u32_e32 v9, 1, v9
	v_pk_fma_f32 v[108:109], v[110:111], v[108:109], v[112:113] neg_lo:[0,0,1] neg_hi:[0,0,1]
	v_mov_b32_e32 v109, v115
	s_delay_alu instid0(VALU_DEP_3) | instskip(NEXT) | instid1(VALU_DEP_2)
	v_cmp_lt_u32_e32 vcc_lo, 21, v9
	v_pk_add_f32 v[106:107], v[106:107], v[108:109]
	s_or_b32 s1, vcc_lo, s1
	s_delay_alu instid0(SALU_CYCLE_1)
	s_and_not1_b32 exec_lo, exec_lo, s1
	s_cbranch_execnz .LBB50_105
; %bb.106:
	s_or_b32 exec_lo, exec_lo, s1
	v_mov_b32_e32 v9, 0
	ds_load_b64 v[108:109], v9 offset:184
	s_wait_dscnt 0x0
	v_pk_mul_f32 v[110:111], v[106:107], v[108:109] op_sel:[1,1] op_sel_hi:[0,1]
	s_delay_alu instid0(VALU_DEP_1) | instskip(SKIP_1) | instid1(VALU_DEP_2)
	v_pk_fma_f32 v[112:113], v[106:107], v[108:109], v[110:111] op_sel_hi:[1,0,1]
	v_pk_fma_f32 v[106:107], v[106:107], v[108:109], v[110:111] neg_lo:[0,0,1] neg_hi:[0,0,1]
	v_mov_b32_e32 v107, v113
	scratch_store_b64 off, v[106:107], off offset:184
.LBB50_107:
	s_wait_xcnt 0x0
	s_or_b32 exec_lo, exec_lo, s0
	s_wait_storecnt 0x0
	s_barrier_signal -1
	s_barrier_wait -1
	scratch_load_b64 v[106:107], off, off offset:192
	;; [unrolled: 52-line block ×28, first 2 shown]
	s_mov_b32 s0, exec_lo
	s_wait_loadcnt 0x0
	ds_store_b64 v1, v[106:107]
	s_wait_dscnt 0x0
	s_barrier_signal -1
	s_barrier_wait -1
	v_cmpx_ne_u32_e32 50, v0
	s_cbranch_execz .LBB50_215
; %bb.212:
	v_dual_mov_b32 v106, 0 :: v_dual_mov_b32 v9, v104
	s_mov_b32 s1, 0
	s_delay_alu instid0(VALU_DEP_1)
	v_mov_b32_e32 v107, v106
.LBB50_213:                             ; =>This Inner Loop Header: Depth=1
	scratch_load_b64 v[104:105], v9, off
	ds_load_b64 v[108:109], v1
	v_add_nc_u32_e32 v1, 8, v1
	s_wait_xcnt 0x0
	v_add_nc_u32_e32 v9, 8, v9
	s_wait_loadcnt_dscnt 0x0
	v_pk_mul_f32 v[110:111], v[108:109], v[104:105] op_sel:[1,1] op_sel_hi:[0,1]
	s_delay_alu instid0(VALU_DEP_1) | instskip(SKIP_2) | instid1(VALU_DEP_3)
	v_pk_fma_f32 v[112:113], v[108:109], v[104:105], v[110:111] op_sel_hi:[1,0,1]
	v_add_nc_u32_e32 v5, 1, v5
	v_pk_fma_f32 v[104:105], v[108:109], v[104:105], v[110:111] neg_lo:[0,0,1] neg_hi:[0,0,1]
	v_mov_b32_e32 v105, v113
	s_delay_alu instid0(VALU_DEP_3) | instskip(NEXT) | instid1(VALU_DEP_2)
	v_cmp_lt_u32_e32 vcc_lo, 48, v5
	v_pk_add_f32 v[106:107], v[106:107], v[104:105]
	s_or_b32 s1, vcc_lo, s1
	s_delay_alu instid0(SALU_CYCLE_1)
	s_and_not1_b32 exec_lo, exec_lo, s1
	s_cbranch_execnz .LBB50_213
; %bb.214:
	s_or_b32 exec_lo, exec_lo, s1
	v_mov_b32_e32 v1, 0
	ds_load_b64 v[104:105], v1 offset:400
	s_wait_dscnt 0x0
	v_pk_mul_f32 v[108:109], v[106:107], v[104:105] op_sel:[1,1] op_sel_hi:[0,1]
	s_delay_alu instid0(VALU_DEP_1) | instskip(SKIP_1) | instid1(VALU_DEP_2)
	v_pk_fma_f32 v[110:111], v[106:107], v[104:105], v[108:109] op_sel_hi:[1,0,1]
	v_pk_fma_f32 v[104:105], v[106:107], v[104:105], v[108:109] neg_lo:[0,0,1] neg_hi:[0,0,1]
	v_mov_b32_e32 v105, v111
	scratch_store_b64 off, v[104:105], off offset:400
.LBB50_215:
	s_wait_xcnt 0x0
	s_or_b32 exec_lo, exec_lo, s0
	s_mov_b32 s1, -1
	s_wait_storecnt 0x0
	s_barrier_signal -1
	s_barrier_wait -1
.LBB50_216:
	s_and_b32 vcc_lo, exec_lo, s1
	s_cbranch_vccz .LBB50_218
; %bb.217:
	v_mov_b32_e32 v1, 0
	s_lshl_b64 s[0:1], s[16:17], 2
	s_delay_alu instid0(SALU_CYCLE_1)
	s_add_nc_u64 s[0:1], s[6:7], s[0:1]
	global_load_b32 v1, v1, s[0:1]
	s_wait_loadcnt 0x0
	v_cmp_ne_u32_e32 vcc_lo, 0, v1
	s_cbranch_vccz .LBB50_219
.LBB50_218:
	s_sendmsg sendmsg(MSG_DEALLOC_VGPRS)
	s_endpgm
.LBB50_219:
	s_wait_xcnt 0x0
	v_lshl_add_u32 v1, v0, 3, 0x1a0
	s_mov_b32 s0, exec_lo
	v_cmpx_eq_u32_e32 50, v0
	s_cbranch_execz .LBB50_221
; %bb.220:
	scratch_load_b64 v[104:105], off, off offset:392
	v_mov_b64_e32 v[106:107], 0
	scratch_store_b64 off, v[106:107], off offset:392
	s_wait_loadcnt 0x0
	ds_store_b64 v1, v[104:105]
.LBB50_221:
	s_wait_xcnt 0x0
	s_or_b32 exec_lo, exec_lo, s0
	s_wait_storecnt_dscnt 0x0
	s_barrier_signal -1
	s_barrier_wait -1
	s_clause 0x1
	scratch_load_b64 v[104:105], off, off offset:400
	scratch_load_b64 v[106:107], off, off offset:392
	v_mov_b32_e32 v5, 0
	s_mov_b32 s0, exec_lo
	ds_load_b64 v[108:109], v5 offset:816
	s_wait_loadcnt_dscnt 0x100
	v_pk_mul_f32 v[110:111], v[108:109], v[104:105] op_sel:[1,1] op_sel_hi:[0,1]
	s_delay_alu instid0(VALU_DEP_1) | instskip(SKIP_1) | instid1(VALU_DEP_2)
	v_pk_fma_f32 v[112:113], v[108:109], v[104:105], v[110:111] op_sel_hi:[1,0,1]
	v_pk_fma_f32 v[104:105], v[108:109], v[104:105], v[110:111] neg_lo:[0,0,1] neg_hi:[0,0,1]
	v_mov_b32_e32 v105, v113
	s_delay_alu instid0(VALU_DEP_1) | instskip(SKIP_1) | instid1(VALU_DEP_1)
	v_pk_add_f32 v[104:105], v[104:105], 0 op_sel_hi:[1,0]
	s_wait_loadcnt 0x0
	v_pk_add_f32 v[104:105], v[106:107], v[104:105] neg_lo:[0,1] neg_hi:[0,1]
	scratch_store_b64 off, v[104:105], off offset:392
	s_wait_xcnt 0x0
	v_cmpx_lt_u32_e32 48, v0
	s_cbranch_execz .LBB50_223
; %bb.222:
	scratch_load_b64 v[104:105], off, off offset:384
	v_mov_b64_e32 v[106:107], 0
	scratch_store_b64 off, v[106:107], off offset:384
	s_wait_loadcnt 0x0
	ds_store_b64 v1, v[104:105]
.LBB50_223:
	s_wait_xcnt 0x0
	s_or_b32 exec_lo, exec_lo, s0
	s_wait_storecnt_dscnt 0x0
	s_barrier_signal -1
	s_barrier_wait -1
	s_clause 0x1
	scratch_load_b128 v[104:107], off, off offset:392
	scratch_load_b64 v[112:113], off, off offset:384
	ds_load_2addr_b64 v[108:111], v5 offset0:101 offset1:102
	s_mov_b32 s0, exec_lo
	s_wait_dscnt 0x0
	v_dual_mov_b32 v114, v111 :: v_dual_mov_b32 v115, v110
	s_wait_loadcnt 0x1
	v_pk_mul_f32 v[116:117], v[108:109], v[104:105] op_sel:[1,1] op_sel_hi:[0,1]
	s_delay_alu instid0(VALU_DEP_1) | instskip(SKIP_2) | instid1(VALU_DEP_3)
	v_pk_fma_f32 v[120:121], v[108:109], v[104:105], v[116:117] op_sel_hi:[1,0,1]
	v_mov_b32_e32 v118, v107
	v_pk_fma_f32 v[104:105], v[108:109], v[104:105], v[116:117] neg_lo:[0,0,1] neg_hi:[0,0,1]
	v_mov_b32_e32 v105, v121
	s_delay_alu instid0(VALU_DEP_3) | instskip(NEXT) | instid1(VALU_DEP_2)
	v_pk_mul_f32 v[114:115], v[114:115], v[118:119] op_sel_hi:[1,0]
	v_pk_add_f32 v[104:105], v[104:105], 0 op_sel_hi:[1,0]
	s_delay_alu instid0(VALU_DEP_2) | instskip(SKIP_1) | instid1(VALU_DEP_2)
	v_pk_fma_f32 v[108:109], v[110:111], v[106:107], v[114:115] op_sel_hi:[1,0,1]
	v_pk_fma_f32 v[106:107], v[110:111], v[106:107], v[114:115] neg_lo:[0,0,1] neg_hi:[0,0,1]
	v_mov_b32_e32 v107, v109
	s_delay_alu instid0(VALU_DEP_1) | instskip(SKIP_1) | instid1(VALU_DEP_1)
	v_pk_add_f32 v[104:105], v[104:105], v[106:107]
	s_wait_loadcnt 0x0
	v_pk_add_f32 v[104:105], v[112:113], v[104:105] neg_lo:[0,1] neg_hi:[0,1]
	scratch_store_b64 off, v[104:105], off offset:384
	s_wait_xcnt 0x0
	v_cmpx_lt_u32_e32 47, v0
	s_cbranch_execz .LBB50_225
; %bb.224:
	scratch_load_b64 v[104:105], off, off offset:376
	v_mov_b64_e32 v[106:107], 0
	scratch_store_b64 off, v[106:107], off offset:376
	s_wait_loadcnt 0x0
	ds_store_b64 v1, v[104:105]
.LBB50_225:
	s_wait_xcnt 0x0
	s_or_b32 exec_lo, exec_lo, s0
	s_wait_storecnt_dscnt 0x0
	s_barrier_signal -1
	s_barrier_wait -1
	s_clause 0x2
	scratch_load_b128 v[104:107], off, off offset:384
	scratch_load_b64 v[112:113], off, off offset:400
	scratch_load_b64 v[114:115], off, off offset:376
	v_mov_b32_e32 v5, 0
	ds_load_b128 v[108:111], v5 offset:800
	ds_load_b64 v[116:117], v5 offset:816
	s_mov_b32 s0, exec_lo
	s_wait_dscnt 0x1
	v_dual_mov_b32 v118, v111 :: v_dual_mov_b32 v119, v110
	s_wait_loadcnt 0x2
	v_mov_b32_e32 v122, v107
	v_pk_mul_f32 v[120:121], v[108:109], v[104:105] op_sel:[1,1] op_sel_hi:[0,1]
	s_delay_alu instid0(VALU_DEP_2) | instskip(NEXT) | instid1(VALU_DEP_2)
	v_pk_mul_f32 v[118:119], v[118:119], v[122:123] op_sel_hi:[1,0]
	v_pk_fma_f32 v[124:125], v[108:109], v[104:105], v[120:121] op_sel_hi:[1,0,1]
	v_pk_fma_f32 v[104:105], v[108:109], v[104:105], v[120:121] neg_lo:[0,0,1] neg_hi:[0,0,1]
	s_wait_loadcnt_dscnt 0x100
	v_pk_mul_f32 v[120:121], v[116:117], v[112:113] op_sel:[1,1] op_sel_hi:[0,1]
	v_pk_fma_f32 v[108:109], v[110:111], v[106:107], v[118:119] op_sel_hi:[1,0,1]
	v_mov_b32_e32 v105, v125
	v_pk_fma_f32 v[106:107], v[110:111], v[106:107], v[118:119] neg_lo:[0,0,1] neg_hi:[0,0,1]
	s_delay_alu instid0(VALU_DEP_4) | instskip(NEXT) | instid1(VALU_DEP_4)
	v_pk_fma_f32 v[110:111], v[116:117], v[112:113], v[120:121] neg_lo:[0,0,1] neg_hi:[0,0,1]
	v_mov_b32_e32 v107, v109
	s_delay_alu instid0(VALU_DEP_4) | instskip(SKIP_1) | instid1(VALU_DEP_2)
	v_pk_add_f32 v[104:105], v[104:105], 0 op_sel_hi:[1,0]
	v_pk_fma_f32 v[108:109], v[116:117], v[112:113], v[120:121] op_sel_hi:[1,0,1]
	v_pk_add_f32 v[104:105], v[104:105], v[106:107]
	s_delay_alu instid0(VALU_DEP_2) | instskip(NEXT) | instid1(VALU_DEP_1)
	v_mov_b32_e32 v111, v109
	v_pk_add_f32 v[104:105], v[104:105], v[110:111]
	s_wait_loadcnt 0x0
	s_delay_alu instid0(VALU_DEP_1)
	v_pk_add_f32 v[104:105], v[114:115], v[104:105] neg_lo:[0,1] neg_hi:[0,1]
	scratch_store_b64 off, v[104:105], off offset:376
	s_wait_xcnt 0x0
	v_cmpx_lt_u32_e32 46, v0
	s_cbranch_execz .LBB50_227
; %bb.226:
	scratch_load_b64 v[104:105], off, off offset:368
	v_mov_b64_e32 v[106:107], 0
	scratch_store_b64 off, v[106:107], off offset:368
	s_wait_loadcnt 0x0
	ds_store_b64 v1, v[104:105]
.LBB50_227:
	s_wait_xcnt 0x0
	s_or_b32 exec_lo, exec_lo, s0
	s_wait_storecnt_dscnt 0x0
	s_barrier_signal -1
	s_barrier_wait -1
	s_clause 0x2
	scratch_load_b128 v[104:107], off, off offset:376
	scratch_load_b128 v[108:111], off, off offset:392
	scratch_load_b64 v[120:121], off, off offset:368
	ds_load_2addr_b64 v[112:115], v5 offset0:99 offset1:100
	ds_load_2addr_b64 v[116:119], v5 offset0:101 offset1:102
	s_mov_b32 s0, exec_lo
	s_wait_dscnt 0x1
	v_dual_mov_b32 v122, v115 :: v_dual_mov_b32 v123, v114
	s_wait_loadcnt_dscnt 0x200
	v_dual_mov_b32 v128, v119 :: v_dual_mov_b32 v126, v107
	v_pk_mul_f32 v[124:125], v[112:113], v[104:105] op_sel:[1,1] op_sel_hi:[0,1]
	s_delay_alu instid0(VALU_DEP_2) | instskip(NEXT) | instid1(VALU_DEP_2)
	v_pk_mul_f32 v[122:123], v[122:123], v[126:127] op_sel_hi:[1,0]
	v_pk_fma_f32 v[130:131], v[112:113], v[104:105], v[124:125] op_sel_hi:[1,0,1]
	v_pk_fma_f32 v[104:105], v[112:113], v[104:105], v[124:125] neg_lo:[0,0,1] neg_hi:[0,0,1]
	v_mov_b32_e32 v129, v118
	s_wait_loadcnt 0x1
	v_pk_mul_f32 v[126:127], v[116:117], v[108:109] op_sel:[1,1] op_sel_hi:[0,1]
	v_pk_fma_f32 v[112:113], v[114:115], v[106:107], v[122:123] op_sel_hi:[1,0,1]
	v_dual_mov_b32 v105, v131 :: v_dual_mov_b32 v112, v111
	v_pk_fma_f32 v[106:107], v[114:115], v[106:107], v[122:123] neg_lo:[0,0,1] neg_hi:[0,0,1]
	s_delay_alu instid0(VALU_DEP_4) | instskip(NEXT) | instid1(VALU_DEP_4)
	v_pk_fma_f32 v[124:125], v[116:117], v[108:109], v[126:127] op_sel_hi:[1,0,1]
	v_mov_b32_e32 v107, v113
	s_delay_alu instid0(VALU_DEP_4) | instskip(SKIP_2) | instid1(VALU_DEP_3)
	v_pk_add_f32 v[104:105], v[104:105], 0 op_sel_hi:[1,0]
	v_pk_mul_f32 v[112:113], v[128:129], v[112:113] op_sel_hi:[1,0]
	v_pk_fma_f32 v[108:109], v[116:117], v[108:109], v[126:127] neg_lo:[0,0,1] neg_hi:[0,0,1]
	v_pk_add_f32 v[104:105], v[104:105], v[106:107]
	s_delay_alu instid0(VALU_DEP_3) | instskip(SKIP_2) | instid1(VALU_DEP_3)
	v_pk_fma_f32 v[106:107], v[118:119], v[110:111], v[112:113] op_sel_hi:[1,0,1]
	v_mov_b32_e32 v109, v125
	v_pk_fma_f32 v[110:111], v[118:119], v[110:111], v[112:113] neg_lo:[0,0,1] neg_hi:[0,0,1]
	v_mov_b32_e32 v111, v107
	s_delay_alu instid0(VALU_DEP_3) | instskip(NEXT) | instid1(VALU_DEP_1)
	v_pk_add_f32 v[104:105], v[104:105], v[108:109]
	v_pk_add_f32 v[104:105], v[104:105], v[110:111]
	s_wait_loadcnt 0x0
	s_delay_alu instid0(VALU_DEP_1)
	v_pk_add_f32 v[104:105], v[120:121], v[104:105] neg_lo:[0,1] neg_hi:[0,1]
	scratch_store_b64 off, v[104:105], off offset:368
	s_wait_xcnt 0x0
	v_cmpx_lt_u32_e32 45, v0
	s_cbranch_execz .LBB50_229
; %bb.228:
	scratch_load_b64 v[104:105], off, off offset:360
	v_mov_b64_e32 v[106:107], 0
	scratch_store_b64 off, v[106:107], off offset:360
	s_wait_loadcnt 0x0
	ds_store_b64 v1, v[104:105]
.LBB50_229:
	s_wait_xcnt 0x0
	s_or_b32 exec_lo, exec_lo, s0
	s_wait_storecnt_dscnt 0x0
	s_barrier_signal -1
	s_barrier_wait -1
	s_clause 0x3
	scratch_load_b128 v[104:107], off, off offset:368
	scratch_load_b128 v[108:111], off, off offset:384
	scratch_load_b64 v[120:121], off, off offset:400
	scratch_load_b64 v[122:123], off, off offset:360
	v_mov_b32_e32 v5, 0
	ds_load_b128 v[112:115], v5 offset:784
	ds_load_b128 v[116:119], v5 offset:800
	s_mov_b32 s0, exec_lo
	s_wait_dscnt 0x1
	v_dual_mov_b32 v124, v115 :: v_dual_mov_b32 v125, v114
	ds_load_b64 v[130:131], v5 offset:816
	s_wait_dscnt 0x1
	v_dual_mov_b32 v132, v119 :: v_dual_mov_b32 v133, v118
	s_wait_loadcnt 0x3
	v_pk_mul_f32 v[126:127], v[112:113], v[104:105] op_sel:[1,1] op_sel_hi:[0,1]
	v_mov_b32_e32 v128, v107
	s_delay_alu instid0(VALU_DEP_2) | instskip(NEXT) | instid1(VALU_DEP_2)
	v_pk_fma_f32 v[134:135], v[112:113], v[104:105], v[126:127] op_sel_hi:[1,0,1]
	v_pk_mul_f32 v[124:125], v[124:125], v[128:129] op_sel_hi:[1,0]
	v_pk_fma_f32 v[104:105], v[112:113], v[104:105], v[126:127] neg_lo:[0,0,1] neg_hi:[0,0,1]
	s_wait_loadcnt 0x2
	v_pk_mul_f32 v[128:129], v[116:117], v[108:109] op_sel:[1,1] op_sel_hi:[0,1]
	v_dual_mov_b32 v134, v111 :: v_dual_mov_b32 v105, v135
	v_pk_fma_f32 v[112:113], v[114:115], v[106:107], v[124:125] op_sel_hi:[1,0,1]
	v_pk_fma_f32 v[106:107], v[114:115], v[106:107], v[124:125] neg_lo:[0,0,1] neg_hi:[0,0,1]
	s_delay_alu instid0(VALU_DEP_4) | instskip(NEXT) | instid1(VALU_DEP_4)
	v_pk_fma_f32 v[126:127], v[116:117], v[108:109], v[128:129] op_sel_hi:[1,0,1]
	v_pk_mul_f32 v[132:133], v[132:133], v[134:135] op_sel_hi:[1,0]
	v_pk_add_f32 v[104:105], v[104:105], 0 op_sel_hi:[1,0]
	v_mov_b32_e32 v107, v113
	v_pk_fma_f32 v[108:109], v[116:117], v[108:109], v[128:129] neg_lo:[0,0,1] neg_hi:[0,0,1]
	v_mov_b32_e32 v109, v127
	v_pk_fma_f32 v[112:113], v[118:119], v[110:111], v[132:133] op_sel_hi:[1,0,1]
	v_pk_fma_f32 v[110:111], v[118:119], v[110:111], v[132:133] neg_lo:[0,0,1] neg_hi:[0,0,1]
	v_pk_add_f32 v[104:105], v[104:105], v[106:107]
	s_wait_loadcnt_dscnt 0x100
	v_pk_mul_f32 v[106:107], v[130:131], v[120:121] op_sel:[1,1] op_sel_hi:[0,1]
	s_delay_alu instid0(VALU_DEP_2) | instskip(NEXT) | instid1(VALU_DEP_2)
	v_pk_add_f32 v[104:105], v[104:105], v[108:109]
	v_pk_fma_f32 v[108:109], v[130:131], v[120:121], v[106:107] op_sel_hi:[1,0,1]
	v_mov_b32_e32 v111, v113
	v_pk_fma_f32 v[106:107], v[130:131], v[120:121], v[106:107] neg_lo:[0,0,1] neg_hi:[0,0,1]
	s_delay_alu instid0(VALU_DEP_3) | instskip(NEXT) | instid1(VALU_DEP_3)
	v_mov_b32_e32 v107, v109
	v_pk_add_f32 v[104:105], v[104:105], v[110:111]
	s_delay_alu instid0(VALU_DEP_1) | instskip(SKIP_1) | instid1(VALU_DEP_1)
	v_pk_add_f32 v[104:105], v[104:105], v[106:107]
	s_wait_loadcnt 0x0
	v_pk_add_f32 v[104:105], v[122:123], v[104:105] neg_lo:[0,1] neg_hi:[0,1]
	scratch_store_b64 off, v[104:105], off offset:360
	s_wait_xcnt 0x0
	v_cmpx_lt_u32_e32 44, v0
	s_cbranch_execz .LBB50_231
; %bb.230:
	scratch_load_b64 v[104:105], off, off offset:352
	v_mov_b64_e32 v[106:107], 0
	scratch_store_b64 off, v[106:107], off offset:352
	s_wait_loadcnt 0x0
	ds_store_b64 v1, v[104:105]
.LBB50_231:
	s_wait_xcnt 0x0
	s_or_b32 exec_lo, exec_lo, s0
	s_wait_storecnt_dscnt 0x0
	s_barrier_signal -1
	s_barrier_wait -1
	s_clause 0x3
	scratch_load_b128 v[104:107], off, off offset:360
	scratch_load_b128 v[108:111], off, off offset:376
	scratch_load_b128 v[112:115], off, off offset:392
	scratch_load_b64 v[128:129], off, off offset:352
	ds_load_2addr_b64 v[116:119], v5 offset0:97 offset1:98
	ds_load_2addr_b64 v[120:123], v5 offset0:99 offset1:100
	;; [unrolled: 1-line block ×3, first 2 shown]
	s_mov_b32 s0, exec_lo
	s_wait_dscnt 0x2
	v_dual_mov_b32 v130, v119 :: v_dual_mov_b32 v131, v118
	s_wait_dscnt 0x1
	v_dual_mov_b32 v132, v123 :: v_dual_mov_b32 v133, v122
	s_wait_dscnt 0x0
	v_dual_mov_b32 v138, v127 :: v_dual_mov_b32 v139, v126
	s_wait_loadcnt 0x3
	v_pk_mul_f32 v[134:135], v[116:117], v[104:105] op_sel:[1,1] op_sel_hi:[0,1]
	v_mov_b32_e32 v136, v107
	s_delay_alu instid0(VALU_DEP_2) | instskip(NEXT) | instid1(VALU_DEP_2)
	v_pk_fma_f32 v[140:141], v[116:117], v[104:105], v[134:135] op_sel_hi:[1,0,1]
	v_pk_mul_f32 v[130:131], v[130:131], v[136:137] op_sel_hi:[1,0]
	v_pk_fma_f32 v[104:105], v[116:117], v[104:105], v[134:135] neg_lo:[0,0,1] neg_hi:[0,0,1]
	s_wait_loadcnt 0x2
	v_pk_mul_f32 v[136:137], v[120:121], v[108:109] op_sel:[1,1] op_sel_hi:[0,1]
	v_mov_b32_e32 v140, v111
	v_pk_fma_f32 v[116:117], v[118:119], v[106:107], v[130:131] op_sel_hi:[1,0,1]
	v_mov_b32_e32 v105, v141
	v_pk_fma_f32 v[106:107], v[118:119], v[106:107], v[130:131] neg_lo:[0,0,1] neg_hi:[0,0,1]
	v_pk_fma_f32 v[134:135], v[120:121], v[108:109], v[136:137] op_sel_hi:[1,0,1]
	v_pk_mul_f32 v[132:133], v[132:133], v[140:141] op_sel_hi:[1,0]
	v_mov_b32_e32 v107, v117
	v_pk_add_f32 v[104:105], v[104:105], 0 op_sel_hi:[1,0]
	v_pk_fma_f32 v[108:109], v[120:121], v[108:109], v[136:137] neg_lo:[0,0,1] neg_hi:[0,0,1]
	s_wait_loadcnt 0x1
	v_pk_mul_f32 v[116:117], v[124:125], v[112:113] op_sel:[1,1] op_sel_hi:[0,1]
	v_mov_b32_e32 v109, v135
	v_pk_fma_f32 v[118:119], v[122:123], v[110:111], v[132:133] op_sel_hi:[1,0,1]
	v_pk_add_f32 v[104:105], v[104:105], v[106:107]
	v_mov_b32_e32 v106, v115
	v_pk_fma_f32 v[110:111], v[122:123], v[110:111], v[132:133] neg_lo:[0,0,1] neg_hi:[0,0,1]
	v_pk_fma_f32 v[120:121], v[124:125], v[112:113], v[116:117] op_sel_hi:[1,0,1]
	v_mov_b32_e32 v111, v119
	v_pk_add_f32 v[104:105], v[104:105], v[108:109]
	v_pk_mul_f32 v[106:107], v[138:139], v[106:107] op_sel_hi:[1,0]
	v_pk_fma_f32 v[108:109], v[124:125], v[112:113], v[116:117] neg_lo:[0,0,1] neg_hi:[0,0,1]
	v_mov_b32_e32 v109, v121
	s_delay_alu instid0(VALU_DEP_4) | instskip(NEXT) | instid1(VALU_DEP_4)
	v_pk_add_f32 v[104:105], v[104:105], v[110:111]
	v_pk_fma_f32 v[110:111], v[126:127], v[114:115], v[106:107] op_sel_hi:[1,0,1]
	v_pk_fma_f32 v[106:107], v[126:127], v[114:115], v[106:107] neg_lo:[0,0,1] neg_hi:[0,0,1]
	s_delay_alu instid0(VALU_DEP_3) | instskip(NEXT) | instid1(VALU_DEP_3)
	v_pk_add_f32 v[104:105], v[104:105], v[108:109]
	v_mov_b32_e32 v107, v111
	s_delay_alu instid0(VALU_DEP_1) | instskip(SKIP_1) | instid1(VALU_DEP_1)
	v_pk_add_f32 v[104:105], v[104:105], v[106:107]
	s_wait_loadcnt 0x0
	v_pk_add_f32 v[104:105], v[128:129], v[104:105] neg_lo:[0,1] neg_hi:[0,1]
	scratch_store_b64 off, v[104:105], off offset:352
	s_wait_xcnt 0x0
	v_cmpx_lt_u32_e32 43, v0
	s_cbranch_execz .LBB50_233
; %bb.232:
	scratch_load_b64 v[104:105], off, off offset:344
	v_mov_b64_e32 v[106:107], 0
	scratch_store_b64 off, v[106:107], off offset:344
	s_wait_loadcnt 0x0
	ds_store_b64 v1, v[104:105]
.LBB50_233:
	s_wait_xcnt 0x0
	s_or_b32 exec_lo, exec_lo, s0
	s_wait_storecnt_dscnt 0x0
	s_barrier_signal -1
	s_barrier_wait -1
	s_clause 0x4
	scratch_load_b128 v[104:107], off, off offset:352
	scratch_load_b128 v[108:111], off, off offset:368
	;; [unrolled: 1-line block ×3, first 2 shown]
	scratch_load_b64 v[128:129], off, off offset:400
	scratch_load_b64 v[130:131], off, off offset:344
	v_mov_b32_e32 v5, 0
	ds_load_b128 v[116:119], v5 offset:768
	ds_load_b128 v[120:123], v5 offset:784
	;; [unrolled: 1-line block ×3, first 2 shown]
	ds_load_b64 v[132:133], v5 offset:816
	s_mov_b32 s0, exec_lo
	s_wait_dscnt 0x3
	v_dual_mov_b32 v134, v119 :: v_dual_mov_b32 v135, v118
	s_wait_dscnt 0x2
	v_dual_mov_b32 v136, v123 :: v_dual_mov_b32 v137, v122
	s_wait_dscnt 0x1
	v_dual_mov_b32 v142, v127 :: v_dual_mov_b32 v143, v126
	s_wait_loadcnt 0x4
	v_pk_mul_f32 v[138:139], v[116:117], v[104:105] op_sel:[1,1] op_sel_hi:[0,1]
	v_mov_b32_e32 v140, v107
	s_wait_loadcnt 0x3
	v_pk_mul_f32 v[144:145], v[120:121], v[108:109] op_sel:[1,1] op_sel_hi:[0,1]
	s_wait_loadcnt 0x2
	v_pk_mul_f32 v[148:149], v[124:125], v[112:113] op_sel:[1,1] op_sel_hi:[0,1]
	v_pk_fma_f32 v[146:147], v[116:117], v[104:105], v[138:139] op_sel_hi:[1,0,1]
	v_pk_mul_f32 v[134:135], v[134:135], v[140:141] op_sel_hi:[1,0]
	v_pk_fma_f32 v[104:105], v[116:117], v[104:105], v[138:139] neg_lo:[0,0,1] neg_hi:[0,0,1]
	v_mov_b32_e32 v140, v111
	v_pk_fma_f32 v[138:139], v[120:121], v[108:109], v[144:145] op_sel_hi:[1,0,1]
	v_mov_b32_e32 v105, v147
	v_pk_fma_f32 v[116:117], v[118:119], v[106:107], v[134:135] op_sel_hi:[1,0,1]
	v_pk_fma_f32 v[106:107], v[118:119], v[106:107], v[134:135] neg_lo:[0,0,1] neg_hi:[0,0,1]
	v_pk_mul_f32 v[136:137], v[136:137], v[140:141] op_sel_hi:[1,0]
	v_pk_fma_f32 v[108:109], v[120:121], v[108:109], v[144:145] neg_lo:[0,0,1] neg_hi:[0,0,1]
	v_pk_add_f32 v[104:105], v[104:105], 0 op_sel_hi:[1,0]
	v_dual_mov_b32 v107, v117 :: v_dual_mov_b32 v116, v115
	s_delay_alu instid0(VALU_DEP_4) | instskip(SKIP_2) | instid1(VALU_DEP_4)
	v_pk_fma_f32 v[118:119], v[122:123], v[110:111], v[136:137] op_sel_hi:[1,0,1]
	v_mov_b32_e32 v109, v139
	v_pk_fma_f32 v[110:111], v[122:123], v[110:111], v[136:137] neg_lo:[0,0,1] neg_hi:[0,0,1]
	v_pk_add_f32 v[104:105], v[104:105], v[106:107]
	v_pk_fma_f32 v[106:107], v[124:125], v[112:113], v[148:149] op_sel_hi:[1,0,1]
	v_pk_mul_f32 v[116:117], v[142:143], v[116:117] op_sel_hi:[1,0]
	v_mov_b32_e32 v111, v119
	s_delay_alu instid0(VALU_DEP_4)
	v_pk_add_f32 v[104:105], v[104:105], v[108:109]
	v_pk_fma_f32 v[108:109], v[124:125], v[112:113], v[148:149] neg_lo:[0,0,1] neg_hi:[0,0,1]
	v_mov_b32_e32 v109, v107
	v_pk_fma_f32 v[106:107], v[126:127], v[114:115], v[116:117] op_sel_hi:[1,0,1]
	v_pk_fma_f32 v[112:113], v[126:127], v[114:115], v[116:117] neg_lo:[0,0,1] neg_hi:[0,0,1]
	v_pk_add_f32 v[104:105], v[104:105], v[110:111]
	s_wait_loadcnt_dscnt 0x100
	v_pk_mul_f32 v[110:111], v[132:133], v[128:129] op_sel:[1,1] op_sel_hi:[0,1]
	v_mov_b32_e32 v113, v107
	s_delay_alu instid0(VALU_DEP_3) | instskip(NEXT) | instid1(VALU_DEP_3)
	v_pk_add_f32 v[104:105], v[104:105], v[108:109]
	v_pk_fma_f32 v[106:107], v[132:133], v[128:129], v[110:111] op_sel_hi:[1,0,1]
	v_pk_fma_f32 v[108:109], v[132:133], v[128:129], v[110:111] neg_lo:[0,0,1] neg_hi:[0,0,1]
	s_delay_alu instid0(VALU_DEP_3) | instskip(NEXT) | instid1(VALU_DEP_3)
	v_pk_add_f32 v[104:105], v[104:105], v[112:113]
	v_mov_b32_e32 v109, v107
	s_delay_alu instid0(VALU_DEP_1) | instskip(SKIP_1) | instid1(VALU_DEP_1)
	v_pk_add_f32 v[104:105], v[104:105], v[108:109]
	s_wait_loadcnt 0x0
	v_pk_add_f32 v[104:105], v[130:131], v[104:105] neg_lo:[0,1] neg_hi:[0,1]
	scratch_store_b64 off, v[104:105], off offset:344
	s_wait_xcnt 0x0
	v_cmpx_lt_u32_e32 42, v0
	s_cbranch_execz .LBB50_235
; %bb.234:
	scratch_load_b64 v[104:105], off, off offset:336
	v_mov_b64_e32 v[106:107], 0
	scratch_store_b64 off, v[106:107], off offset:336
	s_wait_loadcnt 0x0
	ds_store_b64 v1, v[104:105]
.LBB50_235:
	s_wait_xcnt 0x0
	s_or_b32 exec_lo, exec_lo, s0
	s_wait_storecnt_dscnt 0x0
	s_barrier_signal -1
	s_barrier_wait -1
	s_clause 0x4
	scratch_load_b128 v[104:107], off, off offset:344
	scratch_load_b128 v[108:111], off, off offset:360
	;; [unrolled: 1-line block ×4, first 2 shown]
	scratch_load_b64 v[136:137], off, off offset:336
	ds_load_2addr_b64 v[120:123], v5 offset0:95 offset1:96
	ds_load_2addr_b64 v[124:127], v5 offset0:97 offset1:98
	;; [unrolled: 1-line block ×4, first 2 shown]
	s_mov_b32 s0, exec_lo
	s_wait_dscnt 0x3
	v_dual_mov_b32 v138, v123 :: v_dual_mov_b32 v139, v122
	s_wait_dscnt 0x2
	v_dual_mov_b32 v140, v127 :: v_dual_mov_b32 v141, v126
	;; [unrolled: 2-line block ×3, first 2 shown]
	v_dual_mov_b32 v143, v130 :: v_dual_mov_b32 v148, v135
	s_wait_loadcnt 0x4
	v_mov_b32_e32 v146, v107
	v_pk_mul_f32 v[144:145], v[120:121], v[104:105] op_sel:[1,1] op_sel_hi:[0,1]
	s_wait_loadcnt 0x3
	v_pk_mul_f32 v[150:151], v[124:125], v[108:109] op_sel:[1,1] op_sel_hi:[0,1]
	s_wait_loadcnt 0x2
	v_pk_mul_f32 v[154:155], v[128:129], v[112:113] op_sel:[1,1] op_sel_hi:[0,1]
	v_pk_mul_f32 v[138:139], v[138:139], v[146:147] op_sel_hi:[1,0]
	v_pk_fma_f32 v[152:153], v[120:121], v[104:105], v[144:145] op_sel_hi:[1,0,1]
	v_pk_fma_f32 v[104:105], v[120:121], v[104:105], v[144:145] neg_lo:[0,0,1] neg_hi:[0,0,1]
	v_mov_b32_e32 v146, v111
	v_pk_fma_f32 v[144:145], v[124:125], v[108:109], v[150:151] op_sel_hi:[1,0,1]
	v_pk_fma_f32 v[120:121], v[122:123], v[106:107], v[138:139] op_sel_hi:[1,0,1]
	v_mov_b32_e32 v105, v153
	v_pk_fma_f32 v[106:107], v[122:123], v[106:107], v[138:139] neg_lo:[0,0,1] neg_hi:[0,0,1]
	v_pk_mul_f32 v[140:141], v[140:141], v[146:147] op_sel_hi:[1,0]
	s_delay_alu instid0(VALU_DEP_4) | instskip(NEXT) | instid1(VALU_DEP_4)
	v_dual_mov_b32 v120, v115 :: v_dual_mov_b32 v107, v121
	v_pk_add_f32 v[104:105], v[104:105], 0 op_sel_hi:[1,0]
	v_pk_fma_f32 v[108:109], v[124:125], v[108:109], v[150:151] neg_lo:[0,0,1] neg_hi:[0,0,1]
	v_mov_b32_e32 v109, v145
	v_pk_fma_f32 v[122:123], v[126:127], v[110:111], v[140:141] op_sel_hi:[1,0,1]
	v_pk_mul_f32 v[120:121], v[142:143], v[120:121] op_sel_hi:[1,0]
	v_pk_add_f32 v[104:105], v[104:105], v[106:107]
	v_pk_fma_f32 v[106:107], v[128:129], v[112:113], v[154:155] op_sel_hi:[1,0,1]
	v_pk_fma_f32 v[110:111], v[126:127], v[110:111], v[140:141] neg_lo:[0,0,1] neg_hi:[0,0,1]
	v_mov_b32_e32 v111, v123
	v_pk_fma_f32 v[112:113], v[128:129], v[112:113], v[154:155] neg_lo:[0,0,1] neg_hi:[0,0,1]
	v_pk_add_f32 v[104:105], v[104:105], v[108:109]
	v_mov_b32_e32 v113, v107
	v_pk_fma_f32 v[106:107], v[130:131], v[114:115], v[120:121] op_sel_hi:[1,0,1]
	s_wait_loadcnt 0x1
	v_pk_mul_f32 v[108:109], v[132:133], v[116:117] op_sel:[1,1] op_sel_hi:[0,1]
	v_mov_b32_e32 v106, v119
	v_pk_add_f32 v[104:105], v[104:105], v[110:111]
	v_pk_fma_f32 v[114:115], v[130:131], v[114:115], v[120:121] neg_lo:[0,0,1] neg_hi:[0,0,1]
	v_mov_b32_e32 v115, v107
	v_pk_fma_f32 v[110:111], v[132:133], v[116:117], v[108:109] op_sel_hi:[1,0,1]
	v_pk_mul_f32 v[106:107], v[148:149], v[106:107] op_sel_hi:[1,0]
	v_pk_add_f32 v[104:105], v[104:105], v[112:113]
	v_pk_fma_f32 v[108:109], v[132:133], v[116:117], v[108:109] neg_lo:[0,0,1] neg_hi:[0,0,1]
	s_delay_alu instid0(VALU_DEP_4) | instskip(NEXT) | instid1(VALU_DEP_4)
	v_mov_b32_e32 v109, v111
	v_pk_fma_f32 v[110:111], v[134:135], v[118:119], v[106:107] op_sel_hi:[1,0,1]
	s_delay_alu instid0(VALU_DEP_4) | instskip(SKIP_1) | instid1(VALU_DEP_3)
	v_pk_add_f32 v[104:105], v[104:105], v[114:115]
	v_pk_fma_f32 v[106:107], v[134:135], v[118:119], v[106:107] neg_lo:[0,0,1] neg_hi:[0,0,1]
	v_mov_b32_e32 v107, v111
	s_delay_alu instid0(VALU_DEP_3) | instskip(NEXT) | instid1(VALU_DEP_1)
	v_pk_add_f32 v[104:105], v[104:105], v[108:109]
	v_pk_add_f32 v[104:105], v[104:105], v[106:107]
	s_wait_loadcnt 0x0
	s_delay_alu instid0(VALU_DEP_1)
	v_pk_add_f32 v[104:105], v[136:137], v[104:105] neg_lo:[0,1] neg_hi:[0,1]
	scratch_store_b64 off, v[104:105], off offset:336
	s_wait_xcnt 0x0
	v_cmpx_lt_u32_e32 41, v0
	s_cbranch_execz .LBB50_237
; %bb.236:
	scratch_load_b64 v[104:105], off, off offset:328
	v_mov_b64_e32 v[106:107], 0
	scratch_store_b64 off, v[106:107], off offset:328
	s_wait_loadcnt 0x0
	ds_store_b64 v1, v[104:105]
.LBB50_237:
	s_wait_xcnt 0x0
	s_or_b32 exec_lo, exec_lo, s0
	s_wait_storecnt_dscnt 0x0
	s_barrier_signal -1
	s_barrier_wait -1
	s_clause 0x5
	scratch_load_b128 v[104:107], off, off offset:336
	scratch_load_b128 v[108:111], off, off offset:352
	;; [unrolled: 1-line block ×4, first 2 shown]
	scratch_load_b64 v[136:137], off, off offset:400
	scratch_load_b64 v[138:139], off, off offset:328
	v_mov_b32_e32 v5, 0
	ds_load_b128 v[120:123], v5 offset:752
	ds_load_b128 v[124:127], v5 offset:768
	;; [unrolled: 1-line block ×4, first 2 shown]
	ds_load_b64 v[140:141], v5 offset:816
	s_mov_b32 s0, exec_lo
	s_wait_dscnt 0x4
	v_dual_mov_b32 v142, v123 :: v_dual_mov_b32 v143, v122
	s_wait_dscnt 0x1
	v_dual_mov_b32 v144, v127 :: v_dual_mov_b32 v149, v134
	v_dual_mov_b32 v145, v126 :: v_dual_mov_b32 v146, v131
	;; [unrolled: 1-line block ×3, first 2 shown]
	s_wait_loadcnt 0x5
	v_dual_mov_b32 v150, v107 :: v_dual_mul_f32 v151, v120, v105
	v_mul_f32_e32 v9, v121, v105
	s_wait_loadcnt 0x4
	v_pk_mul_f32 v[152:153], v[124:125], v[108:109] op_sel:[1,1] op_sel_hi:[0,1]
	v_mov_b32_e32 v154, v111
	s_wait_loadcnt 0x3
	v_pk_mul_f32 v[156:157], v[128:129], v[112:113] op_sel:[1,1] op_sel_hi:[0,1]
	v_pk_mul_f32 v[142:143], v[142:143], v[150:151] op_sel_hi:[1,0]
	v_dual_fmac_f32 v151, v121, v104 :: v_dual_fma_f32 v150, v120, v104, -v9
	v_mov_b32_e32 v104, v115
	v_pk_fma_f32 v[158:159], v[124:125], v[108:109], v[152:153] op_sel_hi:[1,0,1]
	s_delay_alu instid0(VALU_DEP_4)
	v_pk_fma_f32 v[120:121], v[122:123], v[106:107], v[142:143] op_sel_hi:[1,0,1]
	v_pk_fma_f32 v[106:107], v[122:123], v[106:107], v[142:143] neg_lo:[0,0,1] neg_hi:[0,0,1]
	v_pk_mul_f32 v[144:145], v[144:145], v[154:155] op_sel_hi:[1,0]
	v_pk_add_f32 v[150:151], v[150:151], 0 op_sel_hi:[1,0]
	v_pk_fma_f32 v[108:109], v[124:125], v[108:109], v[152:153] neg_lo:[0,0,1] neg_hi:[0,0,1]
	v_dual_mov_b32 v107, v121 :: v_dual_mov_b32 v109, v159
	s_delay_alu instid0(VALU_DEP_4) | instskip(SKIP_2) | instid1(VALU_DEP_4)
	v_pk_fma_f32 v[122:123], v[126:127], v[110:111], v[144:145] op_sel_hi:[1,0,1]
	v_pk_fma_f32 v[110:111], v[126:127], v[110:111], v[144:145] neg_lo:[0,0,1] neg_hi:[0,0,1]
	v_pk_fma_f32 v[124:125], v[128:129], v[112:113], v[156:157] op_sel_hi:[1,0,1]
	v_pk_add_f32 v[106:107], v[150:151], v[106:107]
	v_pk_mul_f32 v[104:105], v[146:147], v[104:105] op_sel_hi:[1,0]
	v_mov_b32_e32 v111, v123
	v_pk_fma_f32 v[112:113], v[128:129], v[112:113], v[156:157] neg_lo:[0,0,1] neg_hi:[0,0,1]
	s_wait_loadcnt 0x2
	v_pk_mul_f32 v[120:121], v[132:133], v[116:117] op_sel:[1,1] op_sel_hi:[0,1]
	v_pk_add_f32 v[106:107], v[106:107], v[108:109]
	v_mov_b32_e32 v108, v119
	v_pk_fma_f32 v[122:123], v[130:131], v[114:115], v[104:105] op_sel_hi:[1,0,1]
	v_mov_b32_e32 v113, v125
	v_pk_fma_f32 v[104:105], v[130:131], v[114:115], v[104:105] neg_lo:[0,0,1] neg_hi:[0,0,1]
	v_pk_add_f32 v[106:107], v[106:107], v[110:111]
	v_pk_fma_f32 v[110:111], v[132:133], v[116:117], v[120:121] op_sel_hi:[1,0,1]
	v_pk_mul_f32 v[108:109], v[148:149], v[108:109] op_sel_hi:[1,0]
	v_mov_b32_e32 v105, v123
	s_delay_alu instid0(VALU_DEP_4)
	v_pk_add_f32 v[106:107], v[106:107], v[112:113]
	v_pk_fma_f32 v[112:113], v[132:133], v[116:117], v[120:121] neg_lo:[0,0,1] neg_hi:[0,0,1]
	v_mov_b32_e32 v113, v111
	v_pk_fma_f32 v[110:111], v[134:135], v[118:119], v[108:109] op_sel_hi:[1,0,1]
	v_pk_fma_f32 v[108:109], v[134:135], v[118:119], v[108:109] neg_lo:[0,0,1] neg_hi:[0,0,1]
	v_pk_add_f32 v[104:105], v[106:107], v[104:105]
	s_wait_loadcnt_dscnt 0x100
	v_pk_mul_f32 v[106:107], v[140:141], v[136:137] op_sel:[1,1] op_sel_hi:[0,1]
	v_mov_b32_e32 v109, v111
	s_delay_alu instid0(VALU_DEP_3) | instskip(NEXT) | instid1(VALU_DEP_3)
	v_pk_add_f32 v[104:105], v[104:105], v[112:113]
	v_pk_fma_f32 v[110:111], v[140:141], v[136:137], v[106:107] op_sel_hi:[1,0,1]
	v_pk_fma_f32 v[106:107], v[140:141], v[136:137], v[106:107] neg_lo:[0,0,1] neg_hi:[0,0,1]
	s_delay_alu instid0(VALU_DEP_3) | instskip(NEXT) | instid1(VALU_DEP_3)
	v_pk_add_f32 v[104:105], v[104:105], v[108:109]
	v_mov_b32_e32 v107, v111
	s_delay_alu instid0(VALU_DEP_1) | instskip(SKIP_1) | instid1(VALU_DEP_1)
	v_pk_add_f32 v[104:105], v[104:105], v[106:107]
	s_wait_loadcnt 0x0
	v_pk_add_f32 v[104:105], v[138:139], v[104:105] neg_lo:[0,1] neg_hi:[0,1]
	scratch_store_b64 off, v[104:105], off offset:328
	s_wait_xcnt 0x0
	v_cmpx_lt_u32_e32 40, v0
	s_cbranch_execz .LBB50_239
; %bb.238:
	scratch_load_b64 v[104:105], off, off offset:320
	v_mov_b64_e32 v[106:107], 0
	scratch_store_b64 off, v[106:107], off offset:320
	s_wait_loadcnt 0x0
	ds_store_b64 v1, v[104:105]
.LBB50_239:
	s_wait_xcnt 0x0
	s_or_b32 exec_lo, exec_lo, s0
	s_wait_storecnt_dscnt 0x0
	s_barrier_signal -1
	s_barrier_wait -1
	s_clause 0x5
	scratch_load_b128 v[104:107], off, off offset:328
	scratch_load_b128 v[108:111], off, off offset:344
	;; [unrolled: 1-line block ×5, first 2 shown]
	scratch_load_b64 v[144:145], off, off offset:320
	ds_load_2addr_b64 v[124:127], v5 offset0:95 offset1:96
	ds_load_2addr_b64 v[128:131], v5 offset0:97 offset1:98
	;; [unrolled: 1-line block ×5, first 2 shown]
	s_mov_b32 s0, exec_lo
	s_wait_dscnt 0x4
	v_dual_mov_b32 v146, v127 :: v_dual_mov_b32 v147, v126
	s_wait_dscnt 0x3
	v_dual_mov_b32 v148, v131 :: v_dual_mov_b32 v149, v130
	s_wait_dscnt 0x2
	v_dual_mov_b32 v150, v135 :: v_dual_mov_b32 v151, v134
	s_wait_dscnt 0x1
	v_dual_mov_b32 v152, v139 :: v_dual_mov_b32 v153, v138
	s_wait_loadcnt_dscnt 0x500
	v_dual_mul_f32 v155, v140, v105 :: v_dual_mul_f32 v157, v142, v107
	v_dual_mul_f32 v5, v141, v105 :: v_dual_mul_f32 v9, v143, v107
	s_wait_loadcnt 0x4
	v_pk_mul_f32 v[158:159], v[124:125], v[108:109] op_sel:[1,1] op_sel_hi:[0,1]
	s_wait_loadcnt 0x3
	v_dual_mov_b32 v160, v111 :: v_dual_mov_b32 v164, v115
	v_dual_fmac_f32 v155, v141, v104 :: v_dual_fma_f32 v154, v140, v104, -v5
	v_fma_f32 v156, v142, v106, -v9
	v_pk_fma_f32 v[104:105], v[124:125], v[108:109], v[158:159] op_sel_hi:[1,0,1]
	v_fmac_f32_e32 v157, v143, v106
	v_pk_mul_f32 v[106:107], v[146:147], v[160:161] op_sel_hi:[1,0]
	v_pk_fma_f32 v[108:109], v[124:125], v[108:109], v[158:159] neg_lo:[0,0,1] neg_hi:[0,0,1]
	v_pk_add_f32 v[140:141], v[154:155], 0 op_sel_hi:[1,0]
	v_mov_b32_e32 v109, v105
	v_pk_mul_f32 v[162:163], v[128:129], v[112:113] op_sel:[1,1] op_sel_hi:[0,1]
	v_pk_fma_f32 v[104:105], v[126:127], v[110:111], v[106:107] op_sel_hi:[1,0,1]
	v_pk_fma_f32 v[106:107], v[126:127], v[110:111], v[106:107] neg_lo:[0,0,1] neg_hi:[0,0,1]
	v_pk_mul_f32 v[146:147], v[148:149], v[164:165] op_sel_hi:[1,0]
	s_wait_loadcnt 0x2
	v_pk_mul_f32 v[142:143], v[132:133], v[116:117] op_sel:[1,1] op_sel_hi:[0,1]
	v_pk_fma_f32 v[110:111], v[128:129], v[112:113], v[162:163] neg_lo:[0,0,1] neg_hi:[0,0,1]
	v_mov_b32_e32 v107, v105
	v_pk_add_f32 v[124:125], v[140:141], v[156:157]
	v_pk_fma_f32 v[140:141], v[128:129], v[112:113], v[162:163] op_sel_hi:[1,0,1]
	v_pk_fma_f32 v[112:113], v[130:131], v[114:115], v[146:147] op_sel_hi:[1,0,1]
	v_pk_fma_f32 v[114:115], v[130:131], v[114:115], v[146:147] neg_lo:[0,0,1] neg_hi:[0,0,1]
	s_delay_alu instid0(VALU_DEP_4) | instskip(NEXT) | instid1(VALU_DEP_4)
	v_pk_add_f32 v[104:105], v[124:125], v[108:109]
	v_dual_mov_b32 v108, v119 :: v_dual_mov_b32 v111, v141
	s_delay_alu instid0(VALU_DEP_2) | instskip(SKIP_1) | instid1(VALU_DEP_3)
	v_pk_add_f32 v[104:105], v[104:105], v[106:107]
	v_pk_fma_f32 v[106:107], v[132:133], v[116:117], v[142:143] op_sel_hi:[1,0,1]
	v_pk_mul_f32 v[108:109], v[150:151], v[108:109] op_sel_hi:[1,0]
	v_mov_b32_e32 v115, v113
	v_pk_fma_f32 v[112:113], v[132:133], v[116:117], v[142:143] neg_lo:[0,0,1] neg_hi:[0,0,1]
	v_pk_add_f32 v[104:105], v[104:105], v[110:111]
	v_mov_b32_e32 v113, v107
	v_pk_fma_f32 v[106:107], v[134:135], v[118:119], v[108:109] op_sel_hi:[1,0,1]
	s_wait_loadcnt 0x1
	v_pk_mul_f32 v[110:111], v[136:137], v[120:121] op_sel:[1,1] op_sel_hi:[0,1]
	v_mov_b32_e32 v106, v123
	v_pk_add_f32 v[104:105], v[104:105], v[114:115]
	v_pk_fma_f32 v[108:109], v[134:135], v[118:119], v[108:109] neg_lo:[0,0,1] neg_hi:[0,0,1]
	v_mov_b32_e32 v109, v107
	v_pk_fma_f32 v[114:115], v[136:137], v[120:121], v[110:111] op_sel_hi:[1,0,1]
	v_pk_mul_f32 v[106:107], v[152:153], v[106:107] op_sel_hi:[1,0]
	v_pk_add_f32 v[104:105], v[104:105], v[112:113]
	v_pk_fma_f32 v[110:111], v[136:137], v[120:121], v[110:111] neg_lo:[0,0,1] neg_hi:[0,0,1]
	s_delay_alu instid0(VALU_DEP_2) | instskip(NEXT) | instid1(VALU_DEP_4)
	v_pk_add_f32 v[104:105], v[104:105], v[108:109]
	v_pk_fma_f32 v[108:109], v[138:139], v[122:123], v[106:107] op_sel_hi:[1,0,1]
	v_mov_b32_e32 v111, v115
	v_pk_fma_f32 v[106:107], v[138:139], v[122:123], v[106:107] neg_lo:[0,0,1] neg_hi:[0,0,1]
	s_delay_alu instid0(VALU_DEP_3) | instskip(NEXT) | instid1(VALU_DEP_3)
	v_mov_b32_e32 v107, v109
	v_pk_add_f32 v[104:105], v[104:105], v[110:111]
	s_delay_alu instid0(VALU_DEP_1) | instskip(SKIP_1) | instid1(VALU_DEP_1)
	v_pk_add_f32 v[104:105], v[104:105], v[106:107]
	s_wait_loadcnt 0x0
	v_pk_add_f32 v[104:105], v[144:145], v[104:105] neg_lo:[0,1] neg_hi:[0,1]
	scratch_store_b64 off, v[104:105], off offset:320
	s_wait_xcnt 0x0
	v_cmpx_lt_u32_e32 39, v0
	s_cbranch_execz .LBB50_241
; %bb.240:
	scratch_load_b64 v[104:105], off, off offset:312
	v_mov_b64_e32 v[106:107], 0
	scratch_store_b64 off, v[106:107], off offset:312
	s_wait_loadcnt 0x0
	ds_store_b64 v1, v[104:105]
.LBB50_241:
	s_wait_xcnt 0x0
	s_or_b32 exec_lo, exec_lo, s0
	s_wait_storecnt_dscnt 0x0
	s_barrier_signal -1
	s_barrier_wait -1
	s_clause 0x6
	scratch_load_b128 v[104:107], off, off offset:320
	scratch_load_b128 v[108:111], off, off offset:336
	scratch_load_b128 v[112:115], off, off offset:352
	scratch_load_b128 v[116:119], off, off offset:368
	scratch_load_b128 v[120:123], off, off offset:384
	scratch_load_b64 v[144:145], off, off offset:400
	scratch_load_b64 v[146:147], off, off offset:312
	v_mov_b32_e32 v5, 0
	ds_load_b128 v[124:127], v5 offset:752
	ds_load_b128 v[128:131], v5 offset:768
	;; [unrolled: 1-line block ×5, first 2 shown]
	ds_load_b64 v[148:149], v5 offset:816
	s_mov_b32 s0, exec_lo
	s_wait_dscnt 0x5
	v_dual_mov_b32 v150, v127 :: v_dual_mov_b32 v151, v126
	s_wait_dscnt 0x2
	v_dual_mov_b32 v152, v131 :: v_dual_mov_b32 v157, v138
	v_dual_mov_b32 v153, v130 :: v_dual_mov_b32 v154, v135
	;; [unrolled: 1-line block ×3, first 2 shown]
	s_wait_loadcnt_dscnt 0x601
	v_dual_mul_f32 v9, v140, v105 :: v_dual_mul_f32 v11, v141, v105
	v_dual_mul_f32 v13, v143, v107 :: v_dual_mul_f32 v159, v142, v107
	s_wait_loadcnt 0x5
	v_dual_mul_f32 v161, v124, v109 :: v_dual_mul_f32 v15, v125, v109
	s_wait_loadcnt 0x4
	v_dual_mov_b32 v160, v111 :: v_dual_mov_b32 v164, v115
	v_dual_fmac_f32 v9, v141, v104 :: v_dual_fma_f32 v11, v140, v104, -v11
	v_dual_fma_f32 v158, v142, v106, -v13 :: v_dual_fmac_f32 v159, v143, v106
	s_delay_alu instid0(VALU_DEP_3) | instskip(NEXT) | instid1(VALU_DEP_3)
	v_pk_mul_f32 v[104:105], v[150:151], v[160:161] op_sel_hi:[1,0]
	v_dual_add_f32 v107, 0, v9 :: v_dual_add_f32 v106, 0, v11
	s_wait_loadcnt 0x3
	v_mov_b32_e32 v140, v119
	v_pk_mul_f32 v[162:163], v[128:129], v[112:113] op_sel:[1,1] op_sel_hi:[0,1]
	v_dual_fmac_f32 v161, v125, v108 :: v_dual_fma_f32 v160, v124, v108, -v15
	v_pk_fma_f32 v[108:109], v[126:127], v[110:111], v[104:105] op_sel_hi:[1,0,1]
	v_pk_add_f32 v[106:107], v[106:107], v[158:159]
	v_pk_fma_f32 v[104:105], v[126:127], v[110:111], v[104:105] neg_lo:[0,0,1] neg_hi:[0,0,1]
	v_pk_fma_f32 v[124:125], v[128:129], v[112:113], v[162:163] op_sel_hi:[1,0,1]
	v_pk_mul_f32 v[142:143], v[152:153], v[164:165] op_sel_hi:[1,0]
	v_mov_b32_e32 v105, v109
	v_pk_add_f32 v[106:107], v[106:107], v[160:161]
	v_pk_fma_f32 v[110:111], v[128:129], v[112:113], v[162:163] neg_lo:[0,0,1] neg_hi:[0,0,1]
	v_pk_mul_f32 v[166:167], v[132:133], v[116:117] op_sel:[1,1] op_sel_hi:[0,1]
	v_mov_b32_e32 v111, v125
	v_pk_fma_f32 v[112:113], v[130:131], v[114:115], v[142:143] op_sel_hi:[1,0,1]
	v_pk_add_f32 v[104:105], v[106:107], v[104:105]
	v_pk_fma_f32 v[114:115], v[130:131], v[114:115], v[142:143] neg_lo:[0,0,1] neg_hi:[0,0,1]
	v_pk_fma_f32 v[106:107], v[132:133], v[116:117], v[166:167] op_sel_hi:[1,0,1]
	v_pk_mul_f32 v[124:125], v[154:155], v[140:141] op_sel_hi:[1,0]
	s_wait_loadcnt 0x2
	v_dual_mov_b32 v115, v113 :: v_dual_mov_b32 v106, v123
	v_pk_add_f32 v[104:105], v[104:105], v[110:111]
	v_pk_fma_f32 v[110:111], v[132:133], v[116:117], v[166:167] neg_lo:[0,0,1] neg_hi:[0,0,1]
	v_pk_mul_f32 v[108:109], v[136:137], v[120:121] op_sel:[1,1] op_sel_hi:[0,1]
	v_pk_fma_f32 v[112:113], v[134:135], v[118:119], v[124:125] op_sel_hi:[1,0,1]
	v_mov_b32_e32 v111, v107
	v_pk_add_f32 v[104:105], v[104:105], v[114:115]
	v_pk_fma_f32 v[116:117], v[134:135], v[118:119], v[124:125] neg_lo:[0,0,1] neg_hi:[0,0,1]
	v_pk_fma_f32 v[114:115], v[136:137], v[120:121], v[108:109] op_sel_hi:[1,0,1]
	v_pk_mul_f32 v[106:107], v[156:157], v[106:107] op_sel_hi:[1,0]
	v_mov_b32_e32 v117, v113
	v_pk_add_f32 v[104:105], v[104:105], v[110:111]
	v_pk_fma_f32 v[108:109], v[136:137], v[120:121], v[108:109] neg_lo:[0,0,1] neg_hi:[0,0,1]
	s_wait_loadcnt_dscnt 0x100
	v_pk_mul_f32 v[112:113], v[148:149], v[144:145] op_sel:[1,1] op_sel_hi:[0,1]
	v_pk_fma_f32 v[110:111], v[138:139], v[122:123], v[106:107] op_sel_hi:[1,0,1]
	v_mov_b32_e32 v109, v115
	v_pk_add_f32 v[104:105], v[104:105], v[116:117]
	v_pk_fma_f32 v[106:107], v[138:139], v[122:123], v[106:107] neg_lo:[0,0,1] neg_hi:[0,0,1]
	s_delay_alu instid0(VALU_DEP_4) | instskip(SKIP_1) | instid1(VALU_DEP_4)
	v_mov_b32_e32 v107, v111
	v_pk_fma_f32 v[110:111], v[148:149], v[144:145], v[112:113] neg_lo:[0,0,1] neg_hi:[0,0,1]
	v_pk_add_f32 v[104:105], v[104:105], v[108:109]
	v_pk_fma_f32 v[108:109], v[148:149], v[144:145], v[112:113] op_sel_hi:[1,0,1]
	s_delay_alu instid0(VALU_DEP_2) | instskip(NEXT) | instid1(VALU_DEP_2)
	v_pk_add_f32 v[104:105], v[104:105], v[106:107]
	v_mov_b32_e32 v111, v109
	s_delay_alu instid0(VALU_DEP_1) | instskip(SKIP_1) | instid1(VALU_DEP_1)
	v_pk_add_f32 v[104:105], v[104:105], v[110:111]
	s_wait_loadcnt 0x0
	v_pk_add_f32 v[104:105], v[146:147], v[104:105] neg_lo:[0,1] neg_hi:[0,1]
	scratch_store_b64 off, v[104:105], off offset:312
	s_wait_xcnt 0x0
	v_cmpx_lt_u32_e32 38, v0
	s_cbranch_execz .LBB50_243
; %bb.242:
	scratch_load_b64 v[104:105], off, off offset:304
	v_mov_b64_e32 v[106:107], 0
	scratch_store_b64 off, v[106:107], off offset:304
	s_wait_loadcnt 0x0
	ds_store_b64 v1, v[104:105]
.LBB50_243:
	s_wait_xcnt 0x0
	s_or_b32 exec_lo, exec_lo, s0
	s_wait_storecnt_dscnt 0x0
	s_barrier_signal -1
	s_barrier_wait -1
	s_clause 0x6
	scratch_load_b128 v[104:107], off, off offset:312
	scratch_load_b128 v[108:111], off, off offset:328
	;; [unrolled: 1-line block ×6, first 2 shown]
	scratch_load_b64 v[152:153], off, off offset:304
	ds_load_2addr_b64 v[128:131], v5 offset0:95 offset1:96
	ds_load_2addr_b64 v[132:135], v5 offset0:97 offset1:98
	;; [unrolled: 1-line block ×6, first 2 shown]
	s_mov_b32 s0, exec_lo
	s_wait_dscnt 0x5
	v_dual_mov_b32 v154, v131 :: v_dual_mov_b32 v155, v130
	s_wait_dscnt 0x4
	v_dual_mov_b32 v156, v135 :: v_dual_mov_b32 v157, v134
	s_wait_dscnt 0x3
	v_dual_mov_b32 v158, v139 :: v_dual_mov_b32 v159, v138
	s_wait_dscnt 0x2
	v_dual_mov_b32 v160, v143 :: v_dual_mov_b32 v161, v142
	s_wait_loadcnt_dscnt 0x601
	v_dual_mul_f32 v5, v144, v105 :: v_dual_mul_f32 v9, v146, v107
	v_dual_mul_f32 v11, v145, v105 :: v_dual_mul_f32 v13, v147, v107
	s_wait_loadcnt 0x4
	s_delay_alu instid0(VALU_DEP_2)
	v_dual_mov_b32 v168, v115 :: v_dual_fmac_f32 v5, v145, v104
	s_wait_dscnt 0x0
	v_dual_mul_f32 v163, v148, v109 :: v_dual_mul_f32 v165, v150, v111
	v_dual_fma_f32 v11, v144, v104, -v11 :: v_dual_fmac_f32 v9, v147, v106
	v_dual_mul_f32 v15, v149, v109 :: v_dual_mul_f32 v17, v151, v111
	v_dual_fma_f32 v13, v146, v106, -v13 :: v_dual_add_f32 v5, 0, v5
	s_wait_loadcnt 0x3
	s_delay_alu instid0(VALU_DEP_3)
	v_dual_add_f32 v11, 0, v11 :: v_dual_mov_b32 v106, v119
	v_pk_mul_f32 v[166:167], v[128:129], v[112:113] op_sel:[1,1] op_sel_hi:[0,1]
	v_pk_mul_f32 v[104:105], v[132:133], v[116:117] op_sel:[1,1] op_sel_hi:[0,1]
	v_fmac_f32_e32 v163, v149, v108
	v_dual_fma_f32 v162, v148, v108, -v15 :: v_dual_add_f32 v109, v5, v9
	v_add_f32_e32 v108, v11, v13
	v_fmac_f32_e32 v165, v151, v110
	v_fma_f32 v164, v150, v110, -v17
	v_pk_fma_f32 v[110:111], v[128:129], v[112:113], v[166:167] op_sel_hi:[1,0,1]
	v_pk_mul_f32 v[144:145], v[154:155], v[168:169] op_sel_hi:[1,0]
	v_pk_add_f32 v[108:109], v[108:109], v[162:163]
	v_pk_fma_f32 v[112:113], v[128:129], v[112:113], v[166:167] neg_lo:[0,0,1] neg_hi:[0,0,1]
	v_pk_fma_f32 v[128:129], v[132:133], v[116:117], v[104:105] op_sel_hi:[1,0,1]
	v_pk_fma_f32 v[104:105], v[132:133], v[116:117], v[104:105] neg_lo:[0,0,1] neg_hi:[0,0,1]
	v_mov_b32_e32 v113, v111
	v_pk_fma_f32 v[110:111], v[130:131], v[114:115], v[144:145] op_sel_hi:[1,0,1]
	v_pk_fma_f32 v[114:115], v[130:131], v[114:115], v[144:145] neg_lo:[0,0,1] neg_hi:[0,0,1]
	v_mov_b32_e32 v105, v129
	v_pk_add_f32 v[108:109], v[108:109], v[164:165]
	v_pk_mul_f32 v[106:107], v[156:157], v[106:107] op_sel_hi:[1,0]
	s_wait_loadcnt 0x2
	v_dual_mov_b32 v115, v111 :: v_dual_mov_b32 v110, v123
	v_pk_mul_f32 v[146:147], v[136:137], v[120:121] op_sel:[1,1] op_sel_hi:[0,1]
	v_pk_add_f32 v[108:109], v[108:109], v[112:113]
	v_pk_fma_f32 v[112:113], v[134:135], v[118:119], v[106:107] op_sel_hi:[1,0,1]
	v_pk_fma_f32 v[106:107], v[134:135], v[118:119], v[106:107] neg_lo:[0,0,1] neg_hi:[0,0,1]
	v_pk_mul_f32 v[110:111], v[158:159], v[110:111] op_sel_hi:[1,0]
	s_delay_alu instid0(VALU_DEP_4) | instskip(SKIP_3) | instid1(VALU_DEP_4)
	v_pk_add_f32 v[108:109], v[108:109], v[114:115]
	v_pk_fma_f32 v[114:115], v[136:137], v[120:121], v[146:147] op_sel_hi:[1,0,1]
	v_mov_b32_e32 v107, v113
	v_pk_fma_f32 v[112:113], v[136:137], v[120:121], v[146:147] neg_lo:[0,0,1] neg_hi:[0,0,1]
	v_pk_add_f32 v[104:105], v[108:109], v[104:105]
	s_wait_loadcnt 0x1
	v_pk_mul_f32 v[108:109], v[140:141], v[124:125] op_sel:[1,1] op_sel_hi:[0,1]
	v_mov_b32_e32 v113, v115
	v_pk_fma_f32 v[114:115], v[138:139], v[122:123], v[110:111] op_sel_hi:[1,0,1]
	v_pk_fma_f32 v[110:111], v[138:139], v[122:123], v[110:111] neg_lo:[0,0,1] neg_hi:[0,0,1]
	v_pk_add_f32 v[104:105], v[104:105], v[106:107]
	v_mov_b32_e32 v106, v127
	v_pk_fma_f32 v[116:117], v[140:141], v[124:125], v[108:109] op_sel_hi:[1,0,1]
	v_mov_b32_e32 v111, v115
	v_pk_fma_f32 v[108:109], v[140:141], v[124:125], v[108:109] neg_lo:[0,0,1] neg_hi:[0,0,1]
	v_pk_add_f32 v[104:105], v[104:105], v[112:113]
	v_pk_mul_f32 v[106:107], v[160:161], v[106:107] op_sel_hi:[1,0]
	s_delay_alu instid0(VALU_DEP_2) | instskip(NEXT) | instid1(VALU_DEP_2)
	v_pk_add_f32 v[104:105], v[104:105], v[110:111]
	v_pk_fma_f32 v[110:111], v[142:143], v[126:127], v[106:107] op_sel_hi:[1,0,1]
	v_mov_b32_e32 v109, v117
	v_pk_fma_f32 v[106:107], v[142:143], v[126:127], v[106:107] neg_lo:[0,0,1] neg_hi:[0,0,1]
	s_delay_alu instid0(VALU_DEP_3) | instskip(NEXT) | instid1(VALU_DEP_3)
	v_mov_b32_e32 v107, v111
	v_pk_add_f32 v[104:105], v[104:105], v[108:109]
	s_delay_alu instid0(VALU_DEP_1) | instskip(SKIP_1) | instid1(VALU_DEP_1)
	v_pk_add_f32 v[104:105], v[104:105], v[106:107]
	s_wait_loadcnt 0x0
	v_pk_add_f32 v[104:105], v[152:153], v[104:105] neg_lo:[0,1] neg_hi:[0,1]
	scratch_store_b64 off, v[104:105], off offset:304
	s_wait_xcnt 0x0
	v_cmpx_lt_u32_e32 37, v0
	s_cbranch_execz .LBB50_245
; %bb.244:
	scratch_load_b64 v[104:105], off, off offset:296
	v_mov_b64_e32 v[106:107], 0
	scratch_store_b64 off, v[106:107], off offset:296
	s_wait_loadcnt 0x0
	ds_store_b64 v1, v[104:105]
.LBB50_245:
	s_wait_xcnt 0x0
	s_or_b32 exec_lo, exec_lo, s0
	s_wait_storecnt_dscnt 0x0
	s_barrier_signal -1
	s_barrier_wait -1
	s_clause 0x7
	scratch_load_b128 v[104:107], off, off offset:304
	scratch_load_b128 v[108:111], off, off offset:320
	;; [unrolled: 1-line block ×6, first 2 shown]
	scratch_load_b64 v[152:153], off, off offset:400
	scratch_load_b64 v[154:155], off, off offset:296
	v_mov_b32_e32 v5, 0
	ds_load_b128 v[128:131], v5 offset:752
	ds_load_b128 v[132:135], v5 offset:768
	;; [unrolled: 1-line block ×6, first 2 shown]
	ds_load_b64 v[156:157], v5 offset:816
	s_mov_b32 s0, exec_lo
	s_wait_dscnt 0x6
	v_dual_mov_b32 v158, v131 :: v_dual_mov_b32 v159, v130
	s_wait_dscnt 0x3
	v_dual_mov_b32 v160, v135 :: v_dual_mov_b32 v165, v142
	v_dual_mov_b32 v161, v134 :: v_dual_mov_b32 v162, v139
	;; [unrolled: 1-line block ×3, first 2 shown]
	s_wait_loadcnt_dscnt 0x702
	v_dual_mul_f32 v9, v144, v105 :: v_dual_mul_f32 v15, v145, v105
	v_dual_mul_f32 v17, v147, v107 :: v_dual_mul_f32 v11, v146, v107
	s_wait_loadcnt_dscnt 0x601
	s_delay_alu instid0(VALU_DEP_2) | instskip(NEXT) | instid1(VALU_DEP_3)
	v_dual_mul_f32 v13, v148, v109 :: v_dual_fmac_f32 v9, v145, v104
	v_dual_fma_f32 v15, v144, v104, -v15 :: v_dual_mul_f32 v19, v149, v109
	v_mul_f32_e32 v21, v151, v111
	s_wait_loadcnt 0x4
	v_dual_mov_b32 v104, v119 :: v_dual_fma_f32 v17, v146, v106, -v17
	v_dual_fmac_f32 v11, v147, v106 :: v_dual_add_f32 v9, 0, v9
	v_dual_add_f32 v15, 0, v15 :: v_dual_fmac_f32 v13, v149, v108
	v_dual_mul_f32 v167, v150, v111 :: v_dual_mul_f32 v169, v128, v113
	v_dual_mul_f32 v23, v129, v113 :: v_dual_mov_b32 v168, v115
	s_delay_alu instid0(VALU_DEP_4) | instskip(NEXT) | instid1(VALU_DEP_4)
	v_dual_fma_f32 v19, v148, v108, -v19 :: v_dual_add_f32 v9, v9, v11
	v_dual_add_f32 v11, v15, v17 :: v_dual_fma_f32 v166, v150, v110, -v21
	s_delay_alu instid0(VALU_DEP_4) | instskip(NEXT) | instid1(VALU_DEP_4)
	v_fmac_f32_e32 v167, v151, v110
	v_pk_mul_f32 v[108:109], v[158:159], v[168:169] op_sel_hi:[1,0]
	s_delay_alu instid0(VALU_DEP_3)
	v_dual_add_f32 v111, v9, v13 :: v_dual_add_f32 v110, v11, v19
	v_fmac_f32_e32 v169, v129, v112
	v_pk_mul_f32 v[170:171], v[132:133], v[116:117] op_sel:[1,1] op_sel_hi:[0,1]
	s_wait_loadcnt 0x3
	v_dual_mov_b32 v144, v123 :: v_dual_fma_f32 v168, v128, v112, -v23
	v_pk_fma_f32 v[112:113], v[130:131], v[114:115], v[108:109] op_sel_hi:[1,0,1]
	v_pk_add_f32 v[110:111], v[110:111], v[166:167]
	v_pk_fma_f32 v[108:109], v[130:131], v[114:115], v[108:109] neg_lo:[0,0,1] neg_hi:[0,0,1]
	v_pk_fma_f32 v[128:129], v[132:133], v[116:117], v[170:171] op_sel_hi:[1,0,1]
	v_pk_mul_f32 v[104:105], v[160:161], v[104:105] op_sel_hi:[1,0]
	v_mov_b32_e32 v109, v113
	v_pk_add_f32 v[110:111], v[110:111], v[168:169]
	v_pk_fma_f32 v[114:115], v[132:133], v[116:117], v[170:171] neg_lo:[0,0,1] neg_hi:[0,0,1]
	v_pk_mul_f32 v[106:107], v[136:137], v[120:121] op_sel:[1,1] op_sel_hi:[0,1]
	v_mov_b32_e32 v115, v129
	v_pk_fma_f32 v[116:117], v[134:135], v[118:119], v[104:105] op_sel_hi:[1,0,1]
	v_pk_add_f32 v[108:109], v[110:111], v[108:109]
	v_pk_fma_f32 v[104:105], v[134:135], v[118:119], v[104:105] neg_lo:[0,0,1] neg_hi:[0,0,1]
	v_pk_fma_f32 v[110:111], v[136:137], v[120:121], v[106:107] op_sel_hi:[1,0,1]
	v_pk_mul_f32 v[128:129], v[162:163], v[144:145] op_sel_hi:[1,0]
	s_wait_loadcnt 0x2
	v_dual_mov_b32 v105, v117 :: v_dual_mov_b32 v110, v127
	v_pk_add_f32 v[108:109], v[108:109], v[114:115]
	v_pk_fma_f32 v[106:107], v[136:137], v[120:121], v[106:107] neg_lo:[0,0,1] neg_hi:[0,0,1]
	v_pk_mul_f32 v[112:113], v[140:141], v[124:125] op_sel:[1,1] op_sel_hi:[0,1]
	v_pk_fma_f32 v[114:115], v[138:139], v[122:123], v[128:129] op_sel_hi:[1,0,1]
	v_mov_b32_e32 v107, v111
	v_pk_add_f32 v[104:105], v[108:109], v[104:105]
	v_pk_fma_f32 v[116:117], v[138:139], v[122:123], v[128:129] neg_lo:[0,0,1] neg_hi:[0,0,1]
	v_pk_fma_f32 v[108:109], v[140:141], v[124:125], v[112:113] op_sel_hi:[1,0,1]
	v_pk_mul_f32 v[110:111], v[164:165], v[110:111] op_sel_hi:[1,0]
	v_mov_b32_e32 v117, v115
	v_pk_add_f32 v[104:105], v[104:105], v[106:107]
	v_pk_fma_f32 v[106:107], v[140:141], v[124:125], v[112:113] neg_lo:[0,0,1] neg_hi:[0,0,1]
	v_mov_b32_e32 v107, v109
	v_pk_fma_f32 v[108:109], v[142:143], v[126:127], v[110:111] op_sel_hi:[1,0,1]
	s_wait_loadcnt_dscnt 0x100
	v_pk_mul_f32 v[112:113], v[156:157], v[152:153] op_sel:[1,1] op_sel_hi:[0,1]
	v_pk_add_f32 v[104:105], v[104:105], v[116:117]
	v_pk_fma_f32 v[110:111], v[142:143], v[126:127], v[110:111] neg_lo:[0,0,1] neg_hi:[0,0,1]
	v_mov_b32_e32 v111, v109
	s_delay_alu instid0(VALU_DEP_4) | instskip(NEXT) | instid1(VALU_DEP_4)
	v_pk_fma_f32 v[108:109], v[156:157], v[152:153], v[112:113] neg_lo:[0,0,1] neg_hi:[0,0,1]
	v_pk_add_f32 v[104:105], v[104:105], v[106:107]
	v_pk_fma_f32 v[106:107], v[156:157], v[152:153], v[112:113] op_sel_hi:[1,0,1]
	s_delay_alu instid0(VALU_DEP_2) | instskip(NEXT) | instid1(VALU_DEP_2)
	v_pk_add_f32 v[104:105], v[104:105], v[110:111]
	v_mov_b32_e32 v109, v107
	s_delay_alu instid0(VALU_DEP_1) | instskip(SKIP_1) | instid1(VALU_DEP_1)
	v_pk_add_f32 v[104:105], v[104:105], v[108:109]
	s_wait_loadcnt 0x0
	v_pk_add_f32 v[104:105], v[154:155], v[104:105] neg_lo:[0,1] neg_hi:[0,1]
	scratch_store_b64 off, v[104:105], off offset:296
	s_wait_xcnt 0x0
	v_cmpx_lt_u32_e32 36, v0
	s_cbranch_execz .LBB50_247
; %bb.246:
	scratch_load_b64 v[104:105], off, off offset:288
	v_mov_b64_e32 v[106:107], 0
	scratch_store_b64 off, v[106:107], off offset:288
	s_wait_loadcnt 0x0
	ds_store_b64 v1, v[104:105]
.LBB50_247:
	s_wait_xcnt 0x0
	s_or_b32 exec_lo, exec_lo, s0
	s_wait_storecnt_dscnt 0x0
	s_barrier_signal -1
	s_barrier_wait -1
	s_clause 0x7
	scratch_load_b128 v[104:107], off, off offset:296
	scratch_load_b128 v[108:111], off, off offset:312
	scratch_load_b128 v[112:115], off, off offset:328
	scratch_load_b128 v[116:119], off, off offset:344
	scratch_load_b128 v[120:123], off, off offset:360
	scratch_load_b128 v[124:127], off, off offset:376
	scratch_load_b128 v[128:131], off, off offset:392
	scratch_load_b64 v[160:161], off, off offset:288
	ds_load_2addr_b64 v[132:135], v5 offset0:95 offset1:96
	ds_load_2addr_b64 v[136:139], v5 offset0:97 offset1:98
	;; [unrolled: 1-line block ×7, first 2 shown]
	s_mov_b32 s0, exec_lo
	s_wait_dscnt 0x6
	v_dual_mov_b32 v162, v135 :: v_dual_mov_b32 v163, v134
	s_wait_dscnt 0x5
	v_dual_mov_b32 v164, v139 :: v_dual_mov_b32 v165, v138
	;; [unrolled: 2-line block ×4, first 2 shown]
	s_wait_loadcnt_dscnt 0x702
	v_dual_mul_f32 v5, v148, v105 :: v_dual_mul_f32 v9, v150, v107
	v_dual_mul_f32 v15, v149, v105 :: v_dual_mul_f32 v17, v151, v107
	s_wait_loadcnt_dscnt 0x601
	v_dual_mul_f32 v11, v152, v109 :: v_dual_mul_f32 v13, v154, v111
	s_delay_alu instid0(VALU_DEP_2) | instskip(SKIP_1) | instid1(VALU_DEP_2)
	v_dual_fmac_f32 v5, v149, v104 :: v_dual_fma_f32 v15, v148, v104, -v15
	v_dual_mul_f32 v19, v153, v109 :: v_dual_mul_f32 v21, v155, v111
	v_dual_fmac_f32 v9, v151, v106 :: v_dual_add_f32 v5, 0, v5
	s_delay_alu instid0(VALU_DEP_3) | instskip(SKIP_2) | instid1(VALU_DEP_3)
	v_dual_fma_f32 v17, v150, v106, -v17 :: v_dual_add_f32 v15, 0, v15
	s_wait_loadcnt 0x4
	v_dual_mov_b32 v106, v119 :: v_dual_fmac_f32 v11, v153, v108
	v_dual_fma_f32 v19, v152, v108, -v19 :: v_dual_add_f32 v5, v5, v9
	s_delay_alu instid0(VALU_DEP_3)
	v_dual_add_f32 v9, v15, v17 :: v_dual_fma_f32 v15, v154, v110, -v21
	s_wait_dscnt 0x0
	v_dual_mul_f32 v171, v156, v113 :: v_dual_mul_f32 v173, v158, v115
	v_dual_mul_f32 v23, v157, v113 :: v_dual_mul_f32 v25, v159, v115
	v_dual_fmac_f32 v13, v155, v110 :: v_dual_add_f32 v5, v5, v11
	s_wait_loadcnt 0x3
	v_dual_add_f32 v9, v9, v19 :: v_dual_mov_b32 v110, v123
	v_pk_mul_f32 v[104:105], v[132:133], v[116:117] op_sel:[1,1] op_sel_hi:[0,1]
	v_dual_fmac_f32 v171, v157, v112 :: v_dual_fmac_f32 v173, v159, v114
	v_dual_fma_f32 v170, v156, v112, -v23 :: v_dual_add_f32 v113, v5, v13
	s_delay_alu instid0(VALU_DEP_4) | instskip(NEXT) | instid1(VALU_DEP_4)
	v_dual_add_f32 v112, v9, v15 :: v_dual_fma_f32 v172, v158, v114, -v25
	v_pk_fma_f32 v[114:115], v[132:133], v[116:117], v[104:105] op_sel_hi:[1,0,1]
	v_pk_mul_f32 v[106:107], v[162:163], v[106:107] op_sel_hi:[1,0]
	v_pk_fma_f32 v[104:105], v[132:133], v[116:117], v[104:105] neg_lo:[0,0,1] neg_hi:[0,0,1]
	s_delay_alu instid0(VALU_DEP_4)
	v_pk_add_f32 v[112:113], v[112:113], v[170:171]
	v_pk_mul_f32 v[108:109], v[136:137], v[120:121] op_sel:[1,1] op_sel_hi:[0,1]
	v_mov_b32_e32 v105, v115
	v_pk_fma_f32 v[114:115], v[134:135], v[118:119], v[106:107] op_sel_hi:[1,0,1]
	v_pk_fma_f32 v[106:107], v[134:135], v[118:119], v[106:107] neg_lo:[0,0,1] neg_hi:[0,0,1]
	v_pk_add_f32 v[112:113], v[112:113], v[172:173]
	v_pk_fma_f32 v[116:117], v[136:137], v[120:121], v[108:109] op_sel_hi:[1,0,1]
	v_pk_mul_f32 v[110:111], v[164:165], v[110:111] op_sel_hi:[1,0]
	v_mov_b32_e32 v107, v115
	s_wait_loadcnt 0x2
	v_pk_mul_f32 v[148:149], v[140:141], v[124:125] op_sel:[1,1] op_sel_hi:[0,1]
	v_pk_add_f32 v[104:105], v[112:113], v[104:105]
	v_mov_b32_e32 v112, v127
	v_pk_fma_f32 v[108:109], v[136:137], v[120:121], v[108:109] neg_lo:[0,0,1] neg_hi:[0,0,1]
	v_mov_b32_e32 v109, v117
	v_pk_fma_f32 v[114:115], v[138:139], v[122:123], v[110:111] op_sel_hi:[1,0,1]
	v_pk_add_f32 v[104:105], v[104:105], v[106:107]
	v_pk_fma_f32 v[106:107], v[140:141], v[124:125], v[148:149] op_sel_hi:[1,0,1]
	v_pk_mul_f32 v[112:113], v[166:167], v[112:113] op_sel_hi:[1,0]
	v_pk_fma_f32 v[110:111], v[138:139], v[122:123], v[110:111] neg_lo:[0,0,1] neg_hi:[0,0,1]
	v_mov_b32_e32 v111, v115
	v_pk_add_f32 v[104:105], v[104:105], v[108:109]
	v_pk_fma_f32 v[114:115], v[140:141], v[124:125], v[148:149] neg_lo:[0,0,1] neg_hi:[0,0,1]
	v_mov_b32_e32 v115, v107
	v_pk_fma_f32 v[106:107], v[142:143], v[126:127], v[112:113] op_sel_hi:[1,0,1]
	s_wait_loadcnt 0x1
	v_pk_mul_f32 v[108:109], v[144:145], v[128:129] op_sel:[1,1] op_sel_hi:[0,1]
	v_pk_add_f32 v[104:105], v[104:105], v[110:111]
	v_mov_b32_e32 v106, v131
	v_pk_fma_f32 v[112:113], v[142:143], v[126:127], v[112:113] neg_lo:[0,0,1] neg_hi:[0,0,1]
	v_mov_b32_e32 v113, v107
	v_pk_fma_f32 v[110:111], v[144:145], v[128:129], v[108:109] op_sel_hi:[1,0,1]
	v_pk_add_f32 v[104:105], v[104:105], v[114:115]
	v_pk_mul_f32 v[106:107], v[168:169], v[106:107] op_sel_hi:[1,0]
	v_pk_fma_f32 v[108:109], v[144:145], v[128:129], v[108:109] neg_lo:[0,0,1] neg_hi:[0,0,1]
	s_delay_alu instid0(VALU_DEP_4) | instskip(NEXT) | instid1(VALU_DEP_4)
	v_mov_b32_e32 v109, v111
	v_pk_add_f32 v[104:105], v[104:105], v[112:113]
	s_delay_alu instid0(VALU_DEP_4) | instskip(SKIP_1) | instid1(VALU_DEP_2)
	v_pk_fma_f32 v[110:111], v[146:147], v[130:131], v[106:107] op_sel_hi:[1,0,1]
	v_pk_fma_f32 v[106:107], v[146:147], v[130:131], v[106:107] neg_lo:[0,0,1] neg_hi:[0,0,1]
	v_mov_b32_e32 v107, v111
	s_delay_alu instid0(VALU_DEP_4) | instskip(NEXT) | instid1(VALU_DEP_1)
	v_pk_add_f32 v[104:105], v[104:105], v[108:109]
	v_pk_add_f32 v[104:105], v[104:105], v[106:107]
	s_wait_loadcnt 0x0
	s_delay_alu instid0(VALU_DEP_1)
	v_pk_add_f32 v[104:105], v[160:161], v[104:105] neg_lo:[0,1] neg_hi:[0,1]
	scratch_store_b64 off, v[104:105], off offset:288
	s_wait_xcnt 0x0
	v_cmpx_lt_u32_e32 35, v0
	s_cbranch_execz .LBB50_249
; %bb.248:
	scratch_load_b64 v[104:105], off, off offset:280
	v_mov_b64_e32 v[106:107], 0
	scratch_store_b64 off, v[106:107], off offset:280
	s_wait_loadcnt 0x0
	ds_store_b64 v1, v[104:105]
.LBB50_249:
	s_wait_xcnt 0x0
	s_or_b32 exec_lo, exec_lo, s0
	s_wait_storecnt_dscnt 0x0
	s_barrier_signal -1
	s_barrier_wait -1
	s_clause 0x8
	scratch_load_b128 v[104:107], off, off offset:288
	scratch_load_b128 v[108:111], off, off offset:304
	;; [unrolled: 1-line block ×7, first 2 shown]
	scratch_load_b64 v[160:161], off, off offset:400
	scratch_load_b64 v[162:163], off, off offset:280
	v_mov_b32_e32 v5, 0
	ds_load_b128 v[132:135], v5 offset:752
	ds_load_b128 v[136:139], v5 offset:768
	;; [unrolled: 1-line block ×7, first 2 shown]
	ds_load_b64 v[164:165], v5 offset:816
	s_mov_b32 s0, exec_lo
	s_wait_dscnt 0x7
	v_dual_mov_b32 v166, v135 :: v_dual_mov_b32 v167, v134
	s_wait_dscnt 0x4
	v_dual_mov_b32 v168, v139 :: v_dual_mov_b32 v173, v146
	v_dual_mov_b32 v169, v138 :: v_dual_mov_b32 v170, v143
	;; [unrolled: 1-line block ×3, first 2 shown]
	s_wait_loadcnt_dscnt 0x803
	v_dual_mul_f32 v9, v148, v105 :: v_dual_mul_f32 v19, v149, v105
	v_dual_mul_f32 v21, v151, v107 :: v_dual_mul_f32 v11, v150, v107
	s_wait_loadcnt_dscnt 0x702
	v_mul_f32_e32 v13, v152, v109
	s_wait_loadcnt 0x5
	v_dual_mul_f32 v31, v133, v117 :: v_dual_fma_f32 v19, v148, v104, -v19
	v_dual_fmac_f32 v9, v149, v104 :: v_dual_mov_b32 v104, v119
	v_dual_mul_f32 v23, v153, v109 :: v_dual_mul_f32 v25, v155, v111
	v_dual_fmac_f32 v11, v151, v106 :: v_dual_fma_f32 v21, v150, v106, -v21
	s_delay_alu instid0(VALU_DEP_3) | instskip(SKIP_3) | instid1(VALU_DEP_3)
	v_dual_add_f32 v9, 0, v9 :: v_dual_add_f32 v19, 0, v19
	s_wait_dscnt 0x1
	v_dual_mul_f32 v15, v154, v111 :: v_dual_mul_f32 v17, v156, v113
	v_dual_fmac_f32 v13, v153, v108 :: v_dual_fma_f32 v23, v152, v108, -v23
	v_dual_add_f32 v9, v9, v11 :: v_dual_add_f32 v11, v19, v21
	v_dual_mul_f32 v27, v157, v113 :: v_dual_mul_f32 v29, v159, v115
	s_wait_loadcnt 0x4
	v_dual_mov_b32 v108, v123 :: v_dual_fma_f32 v19, v154, v110, -v25
	s_delay_alu instid0(VALU_DEP_3) | instskip(SKIP_2) | instid1(VALU_DEP_3)
	v_dual_fmac_f32 v15, v155, v110 :: v_dual_add_f32 v9, v9, v13
	v_dual_add_f32 v11, v11, v23 :: v_dual_fmac_f32 v17, v157, v112
	v_dual_mul_f32 v175, v158, v115 :: v_dual_mul_f32 v177, v132, v117
	v_dual_fma_f32 v13, v156, v112, -v27 :: v_dual_add_f32 v9, v9, v15
	s_delay_alu instid0(VALU_DEP_3) | instskip(NEXT) | instid1(VALU_DEP_3)
	v_dual_add_f32 v11, v11, v19 :: v_dual_fma_f32 v174, v158, v114, -v29
	v_fmac_f32_e32 v175, v159, v114
	v_pk_mul_f32 v[104:105], v[166:167], v[104:105] op_sel_hi:[1,0]
	s_delay_alu instid0(VALU_DEP_4) | instskip(NEXT) | instid1(VALU_DEP_4)
	v_add_f32_e32 v113, v9, v17
	v_dual_add_f32 v112, v11, v13 :: v_dual_fmac_f32 v177, v133, v116
	v_pk_mul_f32 v[106:107], v[136:137], v[120:121] op_sel:[1,1] op_sel_hi:[0,1]
	s_wait_loadcnt 0x3
	v_dual_mov_b32 v114, v127 :: v_dual_fma_f32 v176, v132, v116, -v31
	v_pk_fma_f32 v[116:117], v[134:135], v[118:119], v[104:105] op_sel_hi:[1,0,1]
	v_pk_add_f32 v[112:113], v[112:113], v[174:175]
	v_pk_fma_f32 v[104:105], v[134:135], v[118:119], v[104:105] neg_lo:[0,0,1] neg_hi:[0,0,1]
	v_pk_fma_f32 v[132:133], v[136:137], v[120:121], v[106:107] op_sel_hi:[1,0,1]
	v_pk_mul_f32 v[108:109], v[168:169], v[108:109] op_sel_hi:[1,0]
	v_mov_b32_e32 v105, v117
	v_pk_add_f32 v[112:113], v[112:113], v[176:177]
	v_pk_fma_f32 v[106:107], v[136:137], v[120:121], v[106:107] neg_lo:[0,0,1] neg_hi:[0,0,1]
	v_pk_mul_f32 v[110:111], v[140:141], v[124:125] op_sel:[1,1] op_sel_hi:[0,1]
	v_mov_b32_e32 v107, v133
	v_pk_fma_f32 v[118:119], v[138:139], v[122:123], v[108:109] op_sel_hi:[1,0,1]
	v_pk_add_f32 v[104:105], v[112:113], v[104:105]
	v_pk_fma_f32 v[108:109], v[138:139], v[122:123], v[108:109] neg_lo:[0,0,1] neg_hi:[0,0,1]
	v_pk_fma_f32 v[112:113], v[140:141], v[124:125], v[110:111] op_sel_hi:[1,0,1]
	v_pk_mul_f32 v[114:115], v[170:171], v[114:115] op_sel_hi:[1,0]
	v_mov_b32_e32 v109, v119
	v_pk_add_f32 v[104:105], v[104:105], v[106:107]
	v_pk_fma_f32 v[110:111], v[140:141], v[124:125], v[110:111] neg_lo:[0,0,1] neg_hi:[0,0,1]
	s_wait_loadcnt 0x2
	v_pk_mul_f32 v[116:117], v[144:145], v[128:129] op_sel:[1,1] op_sel_hi:[0,1]
	v_dual_mov_b32 v106, v131 :: v_dual_mov_b32 v111, v113
	v_pk_fma_f32 v[112:113], v[142:143], v[126:127], v[114:115] op_sel_hi:[1,0,1]
	v_pk_add_f32 v[104:105], v[104:105], v[108:109]
	v_pk_fma_f32 v[114:115], v[142:143], v[126:127], v[114:115] neg_lo:[0,0,1] neg_hi:[0,0,1]
	v_pk_fma_f32 v[108:109], v[144:145], v[128:129], v[116:117] op_sel_hi:[1,0,1]
	v_pk_mul_f32 v[106:107], v[172:173], v[106:107] op_sel_hi:[1,0]
	v_mov_b32_e32 v115, v113
	v_pk_add_f32 v[104:105], v[104:105], v[110:111]
	v_pk_fma_f32 v[110:111], v[144:145], v[128:129], v[116:117] neg_lo:[0,0,1] neg_hi:[0,0,1]
	v_mov_b32_e32 v111, v109
	v_pk_fma_f32 v[108:109], v[146:147], v[130:131], v[106:107] op_sel_hi:[1,0,1]
	s_wait_loadcnt_dscnt 0x100
	v_pk_mul_f32 v[112:113], v[164:165], v[160:161] op_sel:[1,1] op_sel_hi:[0,1]
	v_pk_add_f32 v[104:105], v[104:105], v[114:115]
	v_pk_fma_f32 v[106:107], v[146:147], v[130:131], v[106:107] neg_lo:[0,0,1] neg_hi:[0,0,1]
	v_mov_b32_e32 v107, v109
	s_delay_alu instid0(VALU_DEP_4) | instskip(NEXT) | instid1(VALU_DEP_4)
	v_pk_fma_f32 v[108:109], v[164:165], v[160:161], v[112:113] op_sel_hi:[1,0,1]
	v_pk_add_f32 v[104:105], v[104:105], v[110:111]
	v_pk_fma_f32 v[110:111], v[164:165], v[160:161], v[112:113] neg_lo:[0,0,1] neg_hi:[0,0,1]
	s_delay_alu instid0(VALU_DEP_3) | instskip(NEXT) | instid1(VALU_DEP_3)
	v_mov_b32_e32 v111, v109
	v_pk_add_f32 v[104:105], v[104:105], v[106:107]
	s_delay_alu instid0(VALU_DEP_1) | instskip(SKIP_1) | instid1(VALU_DEP_1)
	v_pk_add_f32 v[104:105], v[104:105], v[110:111]
	s_wait_loadcnt 0x0
	v_pk_add_f32 v[104:105], v[162:163], v[104:105] neg_lo:[0,1] neg_hi:[0,1]
	scratch_store_b64 off, v[104:105], off offset:280
	s_wait_xcnt 0x0
	v_cmpx_lt_u32_e32 34, v0
	s_cbranch_execz .LBB50_251
; %bb.250:
	scratch_load_b64 v[104:105], off, off offset:272
	v_mov_b64_e32 v[106:107], 0
	scratch_store_b64 off, v[106:107], off offset:272
	s_wait_loadcnt 0x0
	ds_store_b64 v1, v[104:105]
.LBB50_251:
	s_wait_xcnt 0x0
	s_or_b32 exec_lo, exec_lo, s0
	s_wait_storecnt_dscnt 0x0
	s_barrier_signal -1
	s_barrier_wait -1
	s_clause 0x8
	scratch_load_b128 v[104:107], off, off offset:280
	scratch_load_b128 v[108:111], off, off offset:296
	;; [unrolled: 1-line block ×8, first 2 shown]
	scratch_load_b64 v[168:169], off, off offset:272
	ds_load_2addr_b64 v[136:139], v5 offset0:95 offset1:96
	ds_load_2addr_b64 v[140:143], v5 offset0:97 offset1:98
	;; [unrolled: 1-line block ×8, first 2 shown]
	s_mov_b32 s0, exec_lo
	s_wait_dscnt 0x7
	v_dual_mov_b32 v170, v139 :: v_dual_mov_b32 v171, v138
	s_wait_dscnt 0x6
	v_dual_mov_b32 v172, v143 :: v_dual_mov_b32 v173, v142
	;; [unrolled: 2-line block ×4, first 2 shown]
	s_wait_loadcnt_dscnt 0x803
	v_dual_mul_f32 v5, v152, v105 :: v_dual_mul_f32 v9, v154, v107
	v_dual_mul_f32 v19, v153, v105 :: v_dual_mul_f32 v21, v155, v107
	s_wait_loadcnt_dscnt 0x702
	v_dual_mul_f32 v11, v156, v109 :: v_dual_mul_f32 v13, v158, v111
	s_delay_alu instid0(VALU_DEP_2) | instskip(SKIP_3) | instid1(VALU_DEP_3)
	v_dual_fmac_f32 v5, v153, v104 :: v_dual_fma_f32 v19, v152, v104, -v19
	v_dual_mul_f32 v23, v157, v109 :: v_dual_mul_f32 v25, v159, v111
	s_wait_loadcnt_dscnt 0x500
	v_dual_mul_f32 v31, v165, v117 :: v_dual_fmac_f32 v9, v155, v106
	v_dual_fma_f32 v21, v154, v106, -v21 :: v_dual_add_f32 v5, 0, v5
	v_dual_add_f32 v19, 0, v19 :: v_dual_fmac_f32 v11, v157, v108
	v_dual_mul_f32 v33, v167, v119 :: v_dual_fma_f32 v23, v156, v108, -v23
	s_delay_alu instid0(VALU_DEP_3) | instskip(NEXT) | instid1(VALU_DEP_3)
	v_dual_add_f32 v5, v5, v9 :: v_dual_fmac_f32 v13, v159, v110
	v_dual_add_f32 v9, v19, v21 :: v_dual_fma_f32 v19, v158, v110, -v25
	v_dual_mul_f32 v15, v160, v113 :: v_dual_mul_f32 v17, v162, v115
	v_dual_mul_f32 v27, v161, v113 :: v_dual_mul_f32 v29, v163, v115
	s_wait_loadcnt 0x4
	v_dual_add_f32 v5, v5, v11 :: v_dual_mov_b32 v106, v123
	s_delay_alu instid0(VALU_DEP_2) | instskip(SKIP_2) | instid1(VALU_DEP_4)
	v_dual_add_f32 v9, v9, v23 :: v_dual_fma_f32 v11, v160, v112, -v27
	v_pk_mul_f32 v[104:105], v[136:137], v[120:121] op_sel:[1,1] op_sel_hi:[0,1]
	v_dual_fmac_f32 v15, v161, v112 :: v_dual_fmac_f32 v17, v163, v114
	v_dual_add_f32 v5, v5, v13 :: v_dual_fma_f32 v13, v162, v114, -v29
	s_wait_loadcnt 0x3
	v_dual_add_f32 v9, v9, v19 :: v_dual_mov_b32 v110, v127
	v_dual_mul_f32 v179, v164, v117 :: v_dual_mul_f32 v181, v166, v119
	s_delay_alu instid0(VALU_DEP_3) | instskip(NEXT) | instid1(VALU_DEP_3)
	v_dual_add_f32 v5, v5, v15 :: v_dual_fma_f32 v178, v164, v116, -v31
	v_add_f32_e32 v9, v9, v11
	v_pk_fma_f32 v[114:115], v[136:137], v[120:121], v[104:105] op_sel_hi:[1,0,1]
	v_pk_mul_f32 v[106:107], v[170:171], v[106:107] op_sel_hi:[1,0]
	v_pk_fma_f32 v[104:105], v[136:137], v[120:121], v[104:105] neg_lo:[0,0,1] neg_hi:[0,0,1]
	v_dual_fmac_f32 v179, v165, v116 :: v_dual_fma_f32 v180, v166, v118, -v33
	s_delay_alu instid0(VALU_DEP_4)
	v_dual_add_f32 v113, v5, v17 :: v_dual_mov_b32 v105, v115
	v_fmac_f32_e32 v181, v167, v118
	v_pk_fma_f32 v[114:115], v[138:139], v[122:123], v[106:107] op_sel_hi:[1,0,1]
	v_add_f32_e32 v112, v9, v13
	v_pk_fma_f32 v[106:107], v[138:139], v[122:123], v[106:107] neg_lo:[0,0,1] neg_hi:[0,0,1]
	v_pk_mul_f32 v[108:109], v[140:141], v[124:125] op_sel:[1,1] op_sel_hi:[0,1]
	v_pk_mul_f32 v[110:111], v[172:173], v[110:111] op_sel_hi:[1,0]
	v_mov_b32_e32 v107, v115
	v_pk_add_f32 v[112:113], v[112:113], v[178:179]
	s_wait_loadcnt 0x2
	v_pk_mul_f32 v[116:117], v[144:145], v[128:129] op_sel:[1,1] op_sel_hi:[0,1]
	v_pk_fma_f32 v[118:119], v[140:141], v[124:125], v[108:109] op_sel_hi:[1,0,1]
	v_pk_fma_f32 v[108:109], v[140:141], v[124:125], v[108:109] neg_lo:[0,0,1] neg_hi:[0,0,1]
	v_pk_fma_f32 v[114:115], v[142:143], v[126:127], v[110:111] op_sel_hi:[1,0,1]
	v_pk_add_f32 v[112:113], v[112:113], v[180:181]
	v_pk_fma_f32 v[110:111], v[142:143], v[126:127], v[110:111] neg_lo:[0,0,1] neg_hi:[0,0,1]
	v_mov_b32_e32 v109, v119
	s_delay_alu instid0(VALU_DEP_3) | instskip(SKIP_1) | instid1(VALU_DEP_2)
	v_pk_add_f32 v[104:105], v[112:113], v[104:105]
	v_mov_b32_e32 v112, v131
	v_pk_add_f32 v[104:105], v[104:105], v[106:107]
	v_pk_fma_f32 v[106:107], v[144:145], v[128:129], v[116:117] op_sel_hi:[1,0,1]
	s_delay_alu instid0(VALU_DEP_3)
	v_pk_mul_f32 v[112:113], v[174:175], v[112:113] op_sel_hi:[1,0]
	v_mov_b32_e32 v111, v115
	v_pk_fma_f32 v[114:115], v[144:145], v[128:129], v[116:117] neg_lo:[0,0,1] neg_hi:[0,0,1]
	v_pk_add_f32 v[104:105], v[104:105], v[108:109]
	v_mov_b32_e32 v115, v107
	v_pk_fma_f32 v[106:107], v[146:147], v[130:131], v[112:113] op_sel_hi:[1,0,1]
	s_wait_loadcnt 0x1
	v_pk_mul_f32 v[108:109], v[148:149], v[132:133] op_sel:[1,1] op_sel_hi:[0,1]
	v_mov_b32_e32 v106, v135
	v_pk_add_f32 v[104:105], v[104:105], v[110:111]
	v_pk_fma_f32 v[112:113], v[146:147], v[130:131], v[112:113] neg_lo:[0,0,1] neg_hi:[0,0,1]
	v_mov_b32_e32 v113, v107
	v_pk_fma_f32 v[110:111], v[148:149], v[132:133], v[108:109] op_sel_hi:[1,0,1]
	v_pk_mul_f32 v[106:107], v[176:177], v[106:107] op_sel_hi:[1,0]
	v_pk_add_f32 v[104:105], v[104:105], v[114:115]
	v_pk_fma_f32 v[108:109], v[148:149], v[132:133], v[108:109] neg_lo:[0,0,1] neg_hi:[0,0,1]
	s_delay_alu instid0(VALU_DEP_4) | instskip(NEXT) | instid1(VALU_DEP_4)
	v_mov_b32_e32 v109, v111
	v_pk_fma_f32 v[110:111], v[150:151], v[134:135], v[106:107] op_sel_hi:[1,0,1]
	s_delay_alu instid0(VALU_DEP_4) | instskip(SKIP_1) | instid1(VALU_DEP_3)
	v_pk_add_f32 v[104:105], v[104:105], v[112:113]
	v_pk_fma_f32 v[106:107], v[150:151], v[134:135], v[106:107] neg_lo:[0,0,1] neg_hi:[0,0,1]
	v_mov_b32_e32 v107, v111
	s_delay_alu instid0(VALU_DEP_3) | instskip(NEXT) | instid1(VALU_DEP_1)
	v_pk_add_f32 v[104:105], v[104:105], v[108:109]
	v_pk_add_f32 v[104:105], v[104:105], v[106:107]
	s_wait_loadcnt 0x0
	s_delay_alu instid0(VALU_DEP_1)
	v_pk_add_f32 v[104:105], v[168:169], v[104:105] neg_lo:[0,1] neg_hi:[0,1]
	scratch_store_b64 off, v[104:105], off offset:272
	s_wait_xcnt 0x0
	v_cmpx_lt_u32_e32 33, v0
	s_cbranch_execz .LBB50_253
; %bb.252:
	scratch_load_b64 v[104:105], off, off offset:264
	v_mov_b64_e32 v[106:107], 0
	scratch_store_b64 off, v[106:107], off offset:264
	s_wait_loadcnt 0x0
	ds_store_b64 v1, v[104:105]
.LBB50_253:
	s_wait_xcnt 0x0
	s_or_b32 exec_lo, exec_lo, s0
	s_wait_storecnt_dscnt 0x0
	s_barrier_signal -1
	s_barrier_wait -1
	s_clause 0x9
	scratch_load_b128 v[104:107], off, off offset:272
	scratch_load_b128 v[108:111], off, off offset:288
	;; [unrolled: 1-line block ×8, first 2 shown]
	scratch_load_b64 v[168:169], off, off offset:400
	scratch_load_b64 v[170:171], off, off offset:264
	v_mov_b32_e32 v5, 0
	ds_load_b128 v[136:139], v5 offset:752
	ds_load_b128 v[140:143], v5 offset:768
	ds_load_b128 v[144:147], v5 offset:784
	ds_load_b128 v[148:151], v5 offset:800
	ds_load_b128 v[152:155], v5 offset:688
	ds_load_b128 v[156:159], v5 offset:704
	ds_load_b128 v[160:163], v5 offset:720
	ds_load_b128 v[164:167], v5 offset:736
	ds_load_b64 v[172:173], v5 offset:816
	s_mov_b32 s0, exec_lo
	s_wait_dscnt 0x8
	v_dual_mov_b32 v174, v139 :: v_dual_mov_b32 v175, v138
	s_wait_dscnt 0x5
	v_dual_mov_b32 v176, v143 :: v_dual_mov_b32 v181, v150
	v_dual_mov_b32 v177, v142 :: v_dual_mov_b32 v178, v147
	;; [unrolled: 1-line block ×3, first 2 shown]
	s_wait_loadcnt_dscnt 0x904
	v_dual_mul_f32 v9, v152, v105 :: v_dual_mul_f32 v23, v153, v105
	v_dual_mul_f32 v25, v155, v107 :: v_dual_mul_f32 v11, v154, v107
	s_wait_loadcnt_dscnt 0x803
	v_mul_f32_e32 v13, v156, v109
	s_wait_loadcnt_dscnt 0x601
	v_dual_mul_f32 v35, v165, v117 :: v_dual_fma_f32 v23, v152, v104, -v23
	v_dual_fmac_f32 v9, v153, v104 :: v_dual_mul_f32 v37, v167, v119
	v_dual_mul_f32 v27, v157, v109 :: v_dual_mul_f32 v29, v159, v111
	v_dual_fmac_f32 v11, v155, v106 :: v_dual_fma_f32 v25, v154, v106, -v25
	s_delay_alu instid0(VALU_DEP_3)
	v_dual_add_f32 v9, 0, v9 :: v_dual_add_f32 v23, 0, v23
	v_dual_mul_f32 v15, v158, v111 :: v_dual_mul_f32 v17, v160, v113
	s_wait_loadcnt 0x5
	v_dual_mul_f32 v39, v137, v121 :: v_dual_fma_f32 v27, v156, v108, -v27
	v_fmac_f32_e32 v13, v157, v108
	v_dual_add_f32 v9, v9, v11 :: v_dual_mov_b32 v104, v123
	v_add_f32_e32 v11, v23, v25
	v_dual_mul_f32 v31, v161, v113 :: v_dual_mul_f32 v33, v163, v115
	v_dual_fmac_f32 v15, v159, v110 :: v_dual_fma_f32 v23, v158, v110, -v29
	s_delay_alu instid0(VALU_DEP_3) | instskip(SKIP_1) | instid1(VALU_DEP_4)
	v_dual_add_f32 v9, v9, v13 :: v_dual_add_f32 v11, v11, v27
	v_dual_mul_f32 v19, v162, v115 :: v_dual_mul_f32 v21, v164, v117
	v_dual_fmac_f32 v17, v161, v112 :: v_dual_fma_f32 v13, v160, v112, -v31
	s_wait_loadcnt 0x4
	s_delay_alu instid0(VALU_DEP_3) | instskip(SKIP_1) | instid1(VALU_DEP_2)
	v_dual_add_f32 v9, v9, v15 :: v_dual_mov_b32 v108, v127
	v_dual_add_f32 v11, v11, v23 :: v_dual_fma_f32 v15, v162, v114, -v33
	v_dual_fmac_f32 v19, v163, v114 :: v_dual_add_f32 v9, v9, v17
	v_dual_mul_f32 v183, v166, v119 :: v_dual_mul_f32 v185, v136, v121
	s_delay_alu instid0(VALU_DEP_3) | instskip(NEXT) | instid1(VALU_DEP_3)
	v_dual_add_f32 v11, v11, v13 :: v_dual_fmac_f32 v21, v165, v116
	v_dual_fma_f32 v13, v164, v116, -v35 :: v_dual_add_f32 v9, v9, v19
	s_delay_alu instid0(VALU_DEP_3) | instskip(NEXT) | instid1(VALU_DEP_3)
	v_fmac_f32_e32 v183, v167, v118
	v_dual_add_f32 v11, v11, v15 :: v_dual_fma_f32 v182, v166, v118, -v37
	v_pk_mul_f32 v[104:105], v[174:175], v[104:105] op_sel_hi:[1,0]
	s_delay_alu instid0(VALU_DEP_4) | instskip(SKIP_1) | instid1(VALU_DEP_4)
	v_add_f32_e32 v113, v9, v21
	v_pk_mul_f32 v[106:107], v[140:141], v[124:125] op_sel:[1,1] op_sel_hi:[0,1]
	v_dual_add_f32 v112, v11, v13 :: v_dual_fmac_f32 v185, v137, v120
	s_wait_loadcnt 0x3
	v_dual_mov_b32 v114, v131 :: v_dual_fma_f32 v184, v136, v120, -v39
	v_pk_fma_f32 v[116:117], v[138:139], v[122:123], v[104:105] op_sel_hi:[1,0,1]
	s_delay_alu instid0(VALU_DEP_3)
	v_pk_add_f32 v[112:113], v[112:113], v[182:183]
	v_pk_fma_f32 v[104:105], v[138:139], v[122:123], v[104:105] neg_lo:[0,0,1] neg_hi:[0,0,1]
	v_pk_fma_f32 v[118:119], v[140:141], v[124:125], v[106:107] op_sel_hi:[1,0,1]
	v_pk_mul_f32 v[108:109], v[176:177], v[108:109] op_sel_hi:[1,0]
	v_mov_b32_e32 v105, v117
	v_pk_add_f32 v[112:113], v[112:113], v[184:185]
	v_pk_fma_f32 v[106:107], v[140:141], v[124:125], v[106:107] neg_lo:[0,0,1] neg_hi:[0,0,1]
	v_pk_mul_f32 v[110:111], v[144:145], v[128:129] op_sel:[1,1] op_sel_hi:[0,1]
	v_mov_b32_e32 v107, v119
	v_pk_fma_f32 v[118:119], v[142:143], v[126:127], v[108:109] op_sel_hi:[1,0,1]
	v_pk_add_f32 v[104:105], v[112:113], v[104:105]
	v_pk_fma_f32 v[108:109], v[142:143], v[126:127], v[108:109] neg_lo:[0,0,1] neg_hi:[0,0,1]
	v_pk_fma_f32 v[112:113], v[144:145], v[128:129], v[110:111] op_sel_hi:[1,0,1]
	v_pk_mul_f32 v[114:115], v[178:179], v[114:115] op_sel_hi:[1,0]
	v_mov_b32_e32 v109, v119
	v_pk_add_f32 v[104:105], v[104:105], v[106:107]
	v_pk_fma_f32 v[110:111], v[144:145], v[128:129], v[110:111] neg_lo:[0,0,1] neg_hi:[0,0,1]
	s_wait_loadcnt 0x2
	v_pk_mul_f32 v[116:117], v[148:149], v[132:133] op_sel:[1,1] op_sel_hi:[0,1]
	v_dual_mov_b32 v106, v135 :: v_dual_mov_b32 v111, v113
	v_pk_fma_f32 v[112:113], v[146:147], v[130:131], v[114:115] op_sel_hi:[1,0,1]
	v_pk_add_f32 v[104:105], v[104:105], v[108:109]
	v_pk_fma_f32 v[114:115], v[146:147], v[130:131], v[114:115] neg_lo:[0,0,1] neg_hi:[0,0,1]
	v_pk_fma_f32 v[108:109], v[148:149], v[132:133], v[116:117] op_sel_hi:[1,0,1]
	v_pk_mul_f32 v[106:107], v[180:181], v[106:107] op_sel_hi:[1,0]
	v_mov_b32_e32 v115, v113
	v_pk_add_f32 v[104:105], v[104:105], v[110:111]
	v_pk_fma_f32 v[110:111], v[148:149], v[132:133], v[116:117] neg_lo:[0,0,1] neg_hi:[0,0,1]
	v_mov_b32_e32 v111, v109
	v_pk_fma_f32 v[108:109], v[150:151], v[134:135], v[106:107] op_sel_hi:[1,0,1]
	s_wait_loadcnt_dscnt 0x100
	v_pk_mul_f32 v[112:113], v[172:173], v[168:169] op_sel:[1,1] op_sel_hi:[0,1]
	v_pk_add_f32 v[104:105], v[104:105], v[114:115]
	v_pk_fma_f32 v[106:107], v[150:151], v[134:135], v[106:107] neg_lo:[0,0,1] neg_hi:[0,0,1]
	v_mov_b32_e32 v107, v109
	s_delay_alu instid0(VALU_DEP_4) | instskip(NEXT) | instid1(VALU_DEP_4)
	v_pk_fma_f32 v[108:109], v[172:173], v[168:169], v[112:113] op_sel_hi:[1,0,1]
	v_pk_add_f32 v[104:105], v[104:105], v[110:111]
	v_pk_fma_f32 v[110:111], v[172:173], v[168:169], v[112:113] neg_lo:[0,0,1] neg_hi:[0,0,1]
	s_delay_alu instid0(VALU_DEP_3) | instskip(NEXT) | instid1(VALU_DEP_3)
	v_mov_b32_e32 v111, v109
	v_pk_add_f32 v[104:105], v[104:105], v[106:107]
	s_delay_alu instid0(VALU_DEP_1) | instskip(SKIP_1) | instid1(VALU_DEP_1)
	v_pk_add_f32 v[104:105], v[104:105], v[110:111]
	s_wait_loadcnt 0x0
	v_pk_add_f32 v[104:105], v[170:171], v[104:105] neg_lo:[0,1] neg_hi:[0,1]
	scratch_store_b64 off, v[104:105], off offset:264
	s_wait_xcnt 0x0
	v_cmpx_lt_u32_e32 32, v0
	s_cbranch_execz .LBB50_255
; %bb.254:
	scratch_load_b64 v[104:105], off, off offset:256
	v_mov_b64_e32 v[106:107], 0
	scratch_store_b64 off, v[106:107], off offset:256
	s_wait_loadcnt 0x0
	ds_store_b64 v1, v[104:105]
.LBB50_255:
	s_wait_xcnt 0x0
	s_or_b32 exec_lo, exec_lo, s0
	s_wait_storecnt_dscnt 0x0
	s_barrier_signal -1
	s_barrier_wait -1
	s_clause 0x9
	scratch_load_b128 v[104:107], off, off offset:264
	scratch_load_b128 v[108:111], off, off offset:280
	scratch_load_b128 v[112:115], off, off offset:296
	scratch_load_b128 v[116:119], off, off offset:312
	scratch_load_b128 v[120:123], off, off offset:328
	scratch_load_b128 v[124:127], off, off offset:344
	scratch_load_b128 v[128:131], off, off offset:360
	scratch_load_b128 v[132:135], off, off offset:376
	scratch_load_b128 v[136:139], off, off offset:392
	scratch_load_b64 v[176:177], off, off offset:256
	ds_load_2addr_b64 v[140:143], v5 offset0:95 offset1:96
	ds_load_2addr_b64 v[144:147], v5 offset0:97 offset1:98
	ds_load_2addr_b64 v[148:151], v5 offset0:99 offset1:100
	ds_load_2addr_b64 v[152:155], v5 offset0:101 offset1:102
	ds_load_2addr_b64 v[156:159], v5 offset0:85 offset1:86
	ds_load_2addr_b64 v[160:163], v5 offset0:87 offset1:88
	ds_load_2addr_b64 v[164:167], v5 offset0:89 offset1:90
	ds_load_2addr_b64 v[168:171], v5 offset0:91 offset1:92
	ds_load_2addr_b64 v[172:175], v5 offset0:93 offset1:94
	s_mov_b32 s0, exec_lo
	s_wait_dscnt 0x8
	v_dual_mov_b32 v178, v143 :: v_dual_mov_b32 v179, v142
	s_wait_dscnt 0x7
	v_dual_mov_b32 v180, v147 :: v_dual_mov_b32 v181, v146
	;; [unrolled: 2-line block ×4, first 2 shown]
	s_wait_loadcnt_dscnt 0x904
	v_dual_mul_f32 v5, v156, v105 :: v_dual_mul_f32 v9, v158, v107
	v_dual_mul_f32 v23, v157, v105 :: v_dual_mul_f32 v25, v159, v107
	s_wait_loadcnt_dscnt 0x803
	v_dual_mul_f32 v11, v160, v109 :: v_dual_mul_f32 v13, v162, v111
	s_delay_alu instid0(VALU_DEP_2) | instskip(SKIP_3) | instid1(VALU_DEP_3)
	v_dual_fmac_f32 v5, v157, v104 :: v_dual_fma_f32 v23, v156, v104, -v23
	v_dual_mul_f32 v27, v161, v109 :: v_dual_mul_f32 v29, v163, v111
	s_wait_loadcnt_dscnt 0x601
	v_dual_mul_f32 v35, v169, v117 :: v_dual_fmac_f32 v9, v159, v106
	v_dual_fma_f32 v25, v158, v106, -v25 :: v_dual_add_f32 v5, 0, v5
	v_dual_add_f32 v23, 0, v23 :: v_dual_fmac_f32 v11, v161, v108
	v_dual_mul_f32 v37, v171, v119 :: v_dual_fma_f32 v27, v160, v108, -v27
	s_delay_alu instid0(VALU_DEP_3) | instskip(NEXT) | instid1(VALU_DEP_3)
	v_dual_add_f32 v5, v5, v9 :: v_dual_fmac_f32 v13, v163, v110
	v_dual_add_f32 v9, v23, v25 :: v_dual_fma_f32 v25, v162, v110, -v29
	v_dual_mul_f32 v15, v164, v113 :: v_dual_mul_f32 v17, v166, v115
	v_dual_mul_f32 v31, v165, v113 :: v_dual_mul_f32 v33, v167, v115
	s_delay_alu instid0(VALU_DEP_4) | instskip(NEXT) | instid1(VALU_DEP_3)
	v_add_f32_e32 v5, v5, v11
	v_dual_add_f32 v9, v9, v27 :: v_dual_fmac_f32 v17, v167, v114
	s_delay_alu instid0(VALU_DEP_4) | instskip(NEXT) | instid1(VALU_DEP_3)
	v_fmac_f32_e32 v15, v165, v112
	v_dual_fma_f32 v27, v164, v112, -v31 :: v_dual_add_f32 v5, v5, v13
	s_wait_loadcnt 0x4
	s_delay_alu instid0(VALU_DEP_3) | instskip(SKIP_1) | instid1(VALU_DEP_3)
	v_dual_mov_b32 v106, v127 :: v_dual_add_f32 v9, v9, v25
	v_dual_mul_f32 v19, v168, v117 :: v_dual_mul_f32 v21, v170, v119
	v_dual_fma_f32 v13, v166, v114, -v33 :: v_dual_add_f32 v5, v5, v15
	s_delay_alu instid0(VALU_DEP_3)
	v_dual_fma_f32 v15, v168, v116, -v35 :: v_dual_add_f32 v9, v9, v27
	s_wait_dscnt 0x0
	v_dual_mul_f32 v187, v172, v121 :: v_dual_mul_f32 v189, v174, v123
	v_dual_mul_f32 v23, v173, v121 :: v_dual_mul_f32 v11, v175, v123
	v_pk_mul_f32 v[104:105], v[140:141], v[124:125] op_sel:[1,1] op_sel_hi:[0,1]
	s_wait_loadcnt 0x3
	v_dual_fmac_f32 v19, v169, v116 :: v_dual_mov_b32 v110, v131
	v_dual_add_f32 v9, v9, v13 :: v_dual_fmac_f32 v189, v175, v122
	v_dual_fmac_f32 v21, v171, v118 :: v_dual_add_f32 v5, v5, v17
	v_fma_f32 v186, v172, v120, -v23
	v_pk_mul_f32 v[108:109], v[144:145], v[128:129] op_sel:[1,1] op_sel_hi:[0,1]
	v_fma_f32 v13, v170, v118, -v37
	v_pk_fma_f32 v[114:115], v[140:141], v[124:125], v[104:105] op_sel_hi:[1,0,1]
	v_dual_add_f32 v5, v5, v19 :: v_dual_fma_f32 v188, v174, v122, -v11
	v_add_f32_e32 v9, v9, v15
	v_pk_mul_f32 v[106:107], v[178:179], v[106:107] op_sel_hi:[1,0]
	v_pk_fma_f32 v[104:105], v[140:141], v[124:125], v[104:105] neg_lo:[0,0,1] neg_hi:[0,0,1]
	s_delay_alu instid0(VALU_DEP_4)
	v_dual_add_f32 v113, v5, v21 :: v_dual_mov_b32 v105, v115
	v_pk_fma_f32 v[118:119], v[144:145], v[128:129], v[108:109] op_sel_hi:[1,0,1]
	v_add_f32_e32 v112, v9, v13
	v_pk_fma_f32 v[114:115], v[142:143], v[126:127], v[106:107] op_sel_hi:[1,0,1]
	v_fmac_f32_e32 v187, v173, v120
	v_pk_fma_f32 v[106:107], v[142:143], v[126:127], v[106:107] neg_lo:[0,0,1] neg_hi:[0,0,1]
	v_pk_fma_f32 v[108:109], v[144:145], v[128:129], v[108:109] neg_lo:[0,0,1] neg_hi:[0,0,1]
	s_delay_alu instid0(VALU_DEP_4) | instskip(NEXT) | instid1(VALU_DEP_4)
	v_dual_mov_b32 v109, v119 :: v_dual_mov_b32 v107, v115
	v_pk_add_f32 v[112:113], v[112:113], v[186:187]
	v_pk_mul_f32 v[110:111], v[180:181], v[110:111] op_sel_hi:[1,0]
	s_wait_loadcnt 0x2
	v_pk_mul_f32 v[116:117], v[148:149], v[132:133] op_sel:[1,1] op_sel_hi:[0,1]
	s_delay_alu instid0(VALU_DEP_3) | instskip(NEXT) | instid1(VALU_DEP_3)
	v_pk_add_f32 v[112:113], v[112:113], v[188:189]
	v_pk_fma_f32 v[114:115], v[146:147], v[130:131], v[110:111] op_sel_hi:[1,0,1]
	v_pk_fma_f32 v[110:111], v[146:147], v[130:131], v[110:111] neg_lo:[0,0,1] neg_hi:[0,0,1]
	s_delay_alu instid0(VALU_DEP_3) | instskip(SKIP_1) | instid1(VALU_DEP_2)
	v_pk_add_f32 v[104:105], v[112:113], v[104:105]
	v_mov_b32_e32 v112, v135
	v_pk_add_f32 v[104:105], v[104:105], v[106:107]
	v_pk_fma_f32 v[106:107], v[148:149], v[132:133], v[116:117] op_sel_hi:[1,0,1]
	s_delay_alu instid0(VALU_DEP_3)
	v_pk_mul_f32 v[112:113], v[182:183], v[112:113] op_sel_hi:[1,0]
	v_mov_b32_e32 v111, v115
	v_pk_fma_f32 v[114:115], v[148:149], v[132:133], v[116:117] neg_lo:[0,0,1] neg_hi:[0,0,1]
	v_pk_add_f32 v[104:105], v[104:105], v[108:109]
	v_mov_b32_e32 v115, v107
	v_pk_fma_f32 v[106:107], v[150:151], v[134:135], v[112:113] op_sel_hi:[1,0,1]
	s_wait_loadcnt 0x1
	v_pk_mul_f32 v[108:109], v[152:153], v[136:137] op_sel:[1,1] op_sel_hi:[0,1]
	v_mov_b32_e32 v106, v139
	v_pk_add_f32 v[104:105], v[104:105], v[110:111]
	v_pk_fma_f32 v[112:113], v[150:151], v[134:135], v[112:113] neg_lo:[0,0,1] neg_hi:[0,0,1]
	v_mov_b32_e32 v113, v107
	v_pk_fma_f32 v[110:111], v[152:153], v[136:137], v[108:109] op_sel_hi:[1,0,1]
	v_pk_mul_f32 v[106:107], v[184:185], v[106:107] op_sel_hi:[1,0]
	v_pk_add_f32 v[104:105], v[104:105], v[114:115]
	v_pk_fma_f32 v[108:109], v[152:153], v[136:137], v[108:109] neg_lo:[0,0,1] neg_hi:[0,0,1]
	s_delay_alu instid0(VALU_DEP_4) | instskip(NEXT) | instid1(VALU_DEP_4)
	v_mov_b32_e32 v109, v111
	v_pk_fma_f32 v[110:111], v[154:155], v[138:139], v[106:107] op_sel_hi:[1,0,1]
	s_delay_alu instid0(VALU_DEP_4) | instskip(SKIP_1) | instid1(VALU_DEP_3)
	v_pk_add_f32 v[104:105], v[104:105], v[112:113]
	v_pk_fma_f32 v[106:107], v[154:155], v[138:139], v[106:107] neg_lo:[0,0,1] neg_hi:[0,0,1]
	v_mov_b32_e32 v107, v111
	s_delay_alu instid0(VALU_DEP_3) | instskip(NEXT) | instid1(VALU_DEP_1)
	v_pk_add_f32 v[104:105], v[104:105], v[108:109]
	v_pk_add_f32 v[104:105], v[104:105], v[106:107]
	s_wait_loadcnt 0x0
	s_delay_alu instid0(VALU_DEP_1)
	v_pk_add_f32 v[104:105], v[176:177], v[104:105] neg_lo:[0,1] neg_hi:[0,1]
	scratch_store_b64 off, v[104:105], off offset:256
	s_wait_xcnt 0x0
	v_cmpx_lt_u32_e32 31, v0
	s_cbranch_execz .LBB50_257
; %bb.256:
	scratch_load_b64 v[104:105], off, off offset:248
	v_mov_b64_e32 v[106:107], 0
	scratch_store_b64 off, v[106:107], off offset:248
	s_wait_loadcnt 0x0
	ds_store_b64 v1, v[104:105]
.LBB50_257:
	s_wait_xcnt 0x0
	s_or_b32 exec_lo, exec_lo, s0
	s_wait_storecnt_dscnt 0x0
	s_barrier_signal -1
	s_barrier_wait -1
	s_clause 0xa
	scratch_load_b128 v[104:107], off, off offset:256
	scratch_load_b128 v[108:111], off, off offset:272
	;; [unrolled: 1-line block ×9, first 2 shown]
	scratch_load_b64 v[176:177], off, off offset:400
	scratch_load_b64 v[178:179], off, off offset:248
	v_mov_b32_e32 v5, 0
	ds_load_b128 v[140:143], v5 offset:752
	ds_load_b128 v[144:147], v5 offset:768
	;; [unrolled: 1-line block ×9, first 2 shown]
	ds_load_b64 v[180:181], v5 offset:816
	s_mov_b32 s0, exec_lo
	s_wait_dscnt 0x9
	v_dual_mov_b32 v182, v143 :: v_dual_mov_b32 v183, v142
	s_wait_dscnt 0x6
	v_dual_mov_b32 v184, v147 :: v_dual_mov_b32 v189, v154
	v_dual_mov_b32 v185, v146 :: v_dual_mov_b32 v186, v151
	;; [unrolled: 1-line block ×3, first 2 shown]
	s_wait_loadcnt_dscnt 0xa05
	v_dual_mul_f32 v9, v156, v105 :: v_dual_mul_f32 v27, v157, v105
	v_dual_mul_f32 v29, v159, v107 :: v_dual_mul_f32 v11, v158, v107
	s_wait_loadcnt_dscnt 0x904
	v_mul_f32_e32 v13, v160, v109
	s_wait_loadcnt_dscnt 0x702
	v_dual_mul_f32 v39, v169, v117 :: v_dual_fma_f32 v27, v156, v104, -v27
	v_dual_fmac_f32 v9, v157, v104 :: v_dual_mul_f32 v41, v171, v119
	v_dual_mul_f32 v31, v161, v109 :: v_dual_mul_f32 v33, v163, v111
	v_dual_fmac_f32 v11, v159, v106 :: v_dual_fma_f32 v29, v158, v106, -v29
	s_delay_alu instid0(VALU_DEP_3) | instskip(SKIP_4) | instid1(VALU_DEP_3)
	v_dual_add_f32 v9, 0, v9 :: v_dual_add_f32 v27, 0, v27
	v_dual_mul_f32 v15, v162, v111 :: v_dual_mul_f32 v17, v164, v113
	s_wait_loadcnt_dscnt 0x601
	v_dual_mul_f32 v43, v173, v121 :: v_dual_fma_f32 v31, v160, v108, -v31
	v_fmac_f32_e32 v13, v161, v108
	v_dual_add_f32 v9, v9, v11 :: v_dual_fmac_f32 v15, v163, v110
	v_add_f32_e32 v11, v27, v29
	v_dual_mul_f32 v35, v165, v113 :: v_dual_mul_f32 v37, v167, v115
	v_dual_mul_f32 v27, v175, v123 :: v_dual_fma_f32 v29, v162, v110, -v33
	s_delay_alu instid0(VALU_DEP_3) | instskip(SKIP_3) | instid1(VALU_DEP_3)
	v_dual_add_f32 v9, v9, v13 :: v_dual_add_f32 v11, v11, v31
	v_dual_mul_f32 v19, v166, v115 :: v_dual_mul_f32 v21, v168, v117
	s_wait_loadcnt 0x5
	v_dual_mul_f32 v13, v141, v125 :: v_dual_fma_f32 v31, v164, v112, -v35
	v_dual_fmac_f32 v17, v165, v112 :: v_dual_add_f32 v11, v11, v29
	v_dual_add_f32 v9, v9, v15 :: v_dual_mov_b32 v104, v127
	v_dual_fmac_f32 v19, v167, v114 :: v_dual_fma_f32 v15, v166, v114, -v37
	s_delay_alu instid0(VALU_DEP_2) | instskip(SKIP_3) | instid1(VALU_DEP_3)
	v_dual_add_f32 v11, v11, v31 :: v_dual_add_f32 v9, v9, v17
	v_dual_mul_f32 v23, v170, v119 :: v_dual_mul_f32 v25, v172, v121
	v_dual_fmac_f32 v21, v169, v116 :: v_dual_fma_f32 v17, v168, v116, -v39
	s_wait_loadcnt 0x4
	v_dual_add_f32 v9, v9, v19 :: v_dual_mov_b32 v108, v131
	v_dual_add_f32 v11, v11, v15 :: v_dual_fma_f32 v15, v170, v118, -v41
	s_delay_alu instid0(VALU_DEP_2) | instskip(SKIP_1) | instid1(VALU_DEP_3)
	v_dual_fmac_f32 v23, v171, v118 :: v_dual_add_f32 v9, v9, v21
	v_dual_mul_f32 v191, v174, v123 :: v_dual_mul_f32 v193, v140, v125
	v_dual_add_f32 v11, v11, v17 :: v_dual_fmac_f32 v25, v173, v120
	s_delay_alu instid0(VALU_DEP_3) | instskip(NEXT) | instid1(VALU_DEP_3)
	v_dual_fma_f32 v17, v172, v120, -v43 :: v_dual_add_f32 v9, v9, v23
	v_fmac_f32_e32 v191, v175, v122
	s_delay_alu instid0(VALU_DEP_3) | instskip(SKIP_1) | instid1(VALU_DEP_4)
	v_dual_add_f32 v11, v11, v15 :: v_dual_fma_f32 v190, v174, v122, -v27
	v_pk_mul_f32 v[104:105], v[182:183], v[104:105] op_sel_hi:[1,0]
	v_add_f32_e32 v113, v9, v25
	v_pk_mul_f32 v[106:107], v[144:145], v[128:129] op_sel:[1,1] op_sel_hi:[0,1]
	s_delay_alu instid0(VALU_DEP_4) | instskip(SKIP_3) | instid1(VALU_DEP_3)
	v_dual_add_f32 v112, v11, v17 :: v_dual_fmac_f32 v193, v141, v124
	s_wait_loadcnt 0x3
	v_dual_mov_b32 v114, v135 :: v_dual_fma_f32 v192, v140, v124, -v13
	v_pk_fma_f32 v[116:117], v[142:143], v[126:127], v[104:105] op_sel_hi:[1,0,1]
	v_pk_add_f32 v[112:113], v[112:113], v[190:191]
	v_pk_fma_f32 v[104:105], v[142:143], v[126:127], v[104:105] neg_lo:[0,0,1] neg_hi:[0,0,1]
	v_pk_fma_f32 v[118:119], v[144:145], v[128:129], v[106:107] op_sel_hi:[1,0,1]
	v_pk_mul_f32 v[108:109], v[184:185], v[108:109] op_sel_hi:[1,0]
	v_mov_b32_e32 v105, v117
	v_pk_add_f32 v[112:113], v[112:113], v[192:193]
	v_pk_fma_f32 v[106:107], v[144:145], v[128:129], v[106:107] neg_lo:[0,0,1] neg_hi:[0,0,1]
	v_pk_mul_f32 v[110:111], v[148:149], v[132:133] op_sel:[1,1] op_sel_hi:[0,1]
	v_mov_b32_e32 v107, v119
	v_pk_fma_f32 v[118:119], v[146:147], v[130:131], v[108:109] op_sel_hi:[1,0,1]
	v_pk_add_f32 v[104:105], v[112:113], v[104:105]
	v_pk_fma_f32 v[108:109], v[146:147], v[130:131], v[108:109] neg_lo:[0,0,1] neg_hi:[0,0,1]
	v_pk_fma_f32 v[112:113], v[148:149], v[132:133], v[110:111] op_sel_hi:[1,0,1]
	v_pk_mul_f32 v[114:115], v[186:187], v[114:115] op_sel_hi:[1,0]
	v_mov_b32_e32 v109, v119
	v_pk_add_f32 v[104:105], v[104:105], v[106:107]
	v_pk_fma_f32 v[110:111], v[148:149], v[132:133], v[110:111] neg_lo:[0,0,1] neg_hi:[0,0,1]
	s_wait_loadcnt 0x2
	v_pk_mul_f32 v[116:117], v[152:153], v[136:137] op_sel:[1,1] op_sel_hi:[0,1]
	v_dual_mov_b32 v106, v139 :: v_dual_mov_b32 v111, v113
	v_pk_fma_f32 v[112:113], v[150:151], v[134:135], v[114:115] op_sel_hi:[1,0,1]
	v_pk_add_f32 v[104:105], v[104:105], v[108:109]
	v_pk_fma_f32 v[114:115], v[150:151], v[134:135], v[114:115] neg_lo:[0,0,1] neg_hi:[0,0,1]
	v_pk_fma_f32 v[108:109], v[152:153], v[136:137], v[116:117] op_sel_hi:[1,0,1]
	v_pk_mul_f32 v[106:107], v[188:189], v[106:107] op_sel_hi:[1,0]
	v_mov_b32_e32 v115, v113
	v_pk_add_f32 v[104:105], v[104:105], v[110:111]
	v_pk_fma_f32 v[110:111], v[152:153], v[136:137], v[116:117] neg_lo:[0,0,1] neg_hi:[0,0,1]
	v_mov_b32_e32 v111, v109
	v_pk_fma_f32 v[108:109], v[154:155], v[138:139], v[106:107] op_sel_hi:[1,0,1]
	s_wait_loadcnt_dscnt 0x100
	v_pk_mul_f32 v[112:113], v[180:181], v[176:177] op_sel:[1,1] op_sel_hi:[0,1]
	v_pk_add_f32 v[104:105], v[104:105], v[114:115]
	v_pk_fma_f32 v[106:107], v[154:155], v[138:139], v[106:107] neg_lo:[0,0,1] neg_hi:[0,0,1]
	v_mov_b32_e32 v107, v109
	s_delay_alu instid0(VALU_DEP_4) | instskip(NEXT) | instid1(VALU_DEP_4)
	v_pk_fma_f32 v[108:109], v[180:181], v[176:177], v[112:113] op_sel_hi:[1,0,1]
	v_pk_add_f32 v[104:105], v[104:105], v[110:111]
	v_pk_fma_f32 v[110:111], v[180:181], v[176:177], v[112:113] neg_lo:[0,0,1] neg_hi:[0,0,1]
	s_delay_alu instid0(VALU_DEP_3) | instskip(NEXT) | instid1(VALU_DEP_3)
	v_mov_b32_e32 v111, v109
	v_pk_add_f32 v[104:105], v[104:105], v[106:107]
	s_delay_alu instid0(VALU_DEP_1) | instskip(SKIP_1) | instid1(VALU_DEP_1)
	v_pk_add_f32 v[104:105], v[104:105], v[110:111]
	s_wait_loadcnt 0x0
	v_pk_add_f32 v[104:105], v[178:179], v[104:105] neg_lo:[0,1] neg_hi:[0,1]
	scratch_store_b64 off, v[104:105], off offset:248
	s_wait_xcnt 0x0
	v_cmpx_lt_u32_e32 30, v0
	s_cbranch_execz .LBB50_259
; %bb.258:
	scratch_load_b64 v[104:105], off, off offset:240
	v_mov_b64_e32 v[106:107], 0
	scratch_store_b64 off, v[106:107], off offset:240
	s_wait_loadcnt 0x0
	ds_store_b64 v1, v[104:105]
.LBB50_259:
	s_wait_xcnt 0x0
	s_or_b32 exec_lo, exec_lo, s0
	s_wait_storecnt_dscnt 0x0
	s_barrier_signal -1
	s_barrier_wait -1
	s_clause 0xa
	scratch_load_b128 v[104:107], off, off offset:248
	scratch_load_b128 v[108:111], off, off offset:264
	;; [unrolled: 1-line block ×10, first 2 shown]
	scratch_load_b64 v[184:185], off, off offset:240
	ds_load_2addr_b64 v[144:147], v5 offset0:95 offset1:96
	ds_load_2addr_b64 v[148:151], v5 offset0:97 offset1:98
	ds_load_2addr_b64 v[152:155], v5 offset0:99 offset1:100
	ds_load_2addr_b64 v[156:159], v5 offset0:101 offset1:102
	ds_load_2addr_b64 v[160:163], v5 offset0:83 offset1:84
	ds_load_2addr_b64 v[164:167], v5 offset0:85 offset1:86
	ds_load_2addr_b64 v[168:171], v5 offset0:87 offset1:88
	ds_load_2addr_b64 v[172:175], v5 offset0:89 offset1:90
	ds_load_2addr_b64 v[176:179], v5 offset0:91 offset1:92
	ds_load_2addr_b64 v[180:183], v5 offset0:93 offset1:94
	s_mov_b32 s0, exec_lo
	s_wait_dscnt 0x9
	v_dual_mov_b32 v186, v147 :: v_dual_mov_b32 v187, v146
	s_wait_dscnt 0x8
	v_dual_mov_b32 v188, v151 :: v_dual_mov_b32 v189, v150
	s_wait_dscnt 0x7
	v_dual_mov_b32 v190, v155 :: v_dual_mov_b32 v191, v154
	s_wait_dscnt 0x6
	v_dual_mov_b32 v192, v159 :: v_dual_mov_b32 v193, v158
	s_wait_loadcnt_dscnt 0xa05
	v_dual_mul_f32 v5, v160, v105 :: v_dual_mul_f32 v9, v162, v107
	v_dual_mul_f32 v27, v161, v105 :: v_dual_mul_f32 v29, v163, v107
	s_wait_loadcnt_dscnt 0x904
	v_dual_mul_f32 v11, v164, v109 :: v_dual_mul_f32 v13, v166, v111
	s_delay_alu instid0(VALU_DEP_2) | instskip(SKIP_3) | instid1(VALU_DEP_3)
	v_dual_fmac_f32 v5, v161, v104 :: v_dual_fma_f32 v27, v160, v104, -v27
	v_dual_mul_f32 v31, v165, v109 :: v_dual_mul_f32 v33, v167, v111
	s_wait_loadcnt_dscnt 0x702
	v_dual_mul_f32 v39, v173, v117 :: v_dual_fmac_f32 v9, v163, v106
	v_dual_fma_f32 v29, v162, v106, -v29 :: v_dual_add_f32 v5, 0, v5
	v_dual_add_f32 v27, 0, v27 :: v_dual_fmac_f32 v11, v165, v108
	v_dual_mul_f32 v41, v175, v119 :: v_dual_fma_f32 v31, v164, v108, -v31
	s_delay_alu instid0(VALU_DEP_3) | instskip(NEXT) | instid1(VALU_DEP_3)
	v_dual_add_f32 v5, v5, v9 :: v_dual_fmac_f32 v13, v167, v110
	v_dual_add_f32 v9, v27, v29 :: v_dual_fma_f32 v29, v166, v110, -v33
	v_dual_mul_f32 v15, v168, v113 :: v_dual_mul_f32 v17, v170, v115
	v_dual_mul_f32 v35, v169, v113 :: v_dual_mul_f32 v37, v171, v115
	s_delay_alu instid0(VALU_DEP_4) | instskip(NEXT) | instid1(VALU_DEP_3)
	v_add_f32_e32 v5, v5, v11
	v_dual_add_f32 v9, v9, v31 :: v_dual_fmac_f32 v17, v171, v114
	s_delay_alu instid0(VALU_DEP_4) | instskip(NEXT) | instid1(VALU_DEP_3)
	v_fmac_f32_e32 v15, v169, v112
	v_dual_fma_f32 v31, v168, v112, -v35 :: v_dual_add_f32 v5, v5, v13
	s_delay_alu instid0(VALU_DEP_3) | instskip(SKIP_1) | instid1(VALU_DEP_3)
	v_add_f32_e32 v9, v9, v29
	v_dual_mul_f32 v19, v172, v117 :: v_dual_mul_f32 v21, v174, v119
	v_dual_fma_f32 v29, v170, v114, -v37 :: v_dual_add_f32 v5, v5, v15
	s_wait_loadcnt 0x4
	s_delay_alu instid0(VALU_DEP_3)
	v_dual_add_f32 v9, v9, v31 :: v_dual_mov_b32 v106, v131
	s_wait_dscnt 0x1
	v_dual_mul_f32 v23, v176, v121 :: v_dual_mul_f32 v25, v178, v123
	v_dual_mul_f32 v27, v177, v121 :: v_dual_mul_f32 v11, v179, v123
	v_fmac_f32_e32 v19, v173, v116
	v_dual_fma_f32 v31, v172, v116, -v39 :: v_dual_add_f32 v5, v5, v17
	s_delay_alu instid0(VALU_DEP_3) | instskip(SKIP_3) | instid1(VALU_DEP_3)
	v_dual_add_f32 v9, v9, v29 :: v_dual_fma_f32 v11, v178, v122, -v11
	s_wait_dscnt 0x0
	v_dual_mul_f32 v13, v181, v125 :: v_dual_fmac_f32 v21, v175, v118
	v_pk_mul_f32 v[104:105], v[144:145], v[128:129] op_sel:[1,1] op_sel_hi:[0,1]
	v_dual_fma_f32 v17, v174, v118, -v41 :: v_dual_add_f32 v9, v9, v31
	s_delay_alu instid0(VALU_DEP_3)
	v_fma_f32 v194, v180, v124, -v13
	v_dual_fmac_f32 v25, v179, v122 :: v_dual_add_f32 v5, v5, v19
	s_wait_loadcnt 0x3
	v_dual_mov_b32 v110, v135 :: v_dual_mul_f32 v195, v180, v125
	v_dual_mul_f32 v197, v182, v127 :: v_dual_mul_f32 v15, v183, v127
	v_fmac_f32_e32 v23, v177, v120
	v_dual_fma_f32 v19, v176, v120, -v27 :: v_dual_add_f32 v5, v5, v21
	v_pk_fma_f32 v[114:115], v[144:145], v[128:129], v[104:105] op_sel_hi:[1,0,1]
	v_add_f32_e32 v9, v9, v17
	v_pk_mul_f32 v[106:107], v[186:187], v[106:107] op_sel_hi:[1,0]
	v_pk_fma_f32 v[104:105], v[144:145], v[128:129], v[104:105] neg_lo:[0,0,1] neg_hi:[0,0,1]
	v_pk_mul_f32 v[108:109], v[148:149], v[132:133] op_sel:[1,1] op_sel_hi:[0,1]
	v_dual_fmac_f32 v197, v183, v126 :: v_dual_fma_f32 v196, v182, v126, -v15
	v_dual_mov_b32 v105, v115 :: v_dual_add_f32 v9, v9, v19
	v_pk_fma_f32 v[114:115], v[146:147], v[130:131], v[106:107] op_sel_hi:[1,0,1]
	v_add_f32_e32 v5, v5, v23
	v_pk_mul_f32 v[110:111], v[188:189], v[110:111] op_sel_hi:[1,0]
	v_pk_fma_f32 v[106:107], v[146:147], v[130:131], v[106:107] neg_lo:[0,0,1] neg_hi:[0,0,1]
	v_add_f32_e32 v112, v9, v11
	v_pk_fma_f32 v[118:119], v[148:149], v[132:133], v[108:109] op_sel_hi:[1,0,1]
	v_dual_fmac_f32 v195, v181, v124 :: v_dual_mov_b32 v107, v115
	v_pk_fma_f32 v[114:115], v[150:151], v[134:135], v[110:111] op_sel_hi:[1,0,1]
	v_add_f32_e32 v113, v5, v25
	v_pk_fma_f32 v[108:109], v[148:149], v[132:133], v[108:109] neg_lo:[0,0,1] neg_hi:[0,0,1]
	v_pk_fma_f32 v[110:111], v[150:151], v[134:135], v[110:111] neg_lo:[0,0,1] neg_hi:[0,0,1]
	s_delay_alu instid0(VALU_DEP_4) | instskip(NEXT) | instid1(VALU_DEP_4)
	v_dual_mov_b32 v109, v119 :: v_dual_mov_b32 v111, v115
	v_pk_add_f32 v[112:113], v[112:113], v[194:195]
	s_wait_loadcnt 0x2
	v_pk_mul_f32 v[116:117], v[152:153], v[136:137] op_sel:[1,1] op_sel_hi:[0,1]
	s_delay_alu instid0(VALU_DEP_2) | instskip(NEXT) | instid1(VALU_DEP_2)
	v_pk_add_f32 v[112:113], v[112:113], v[196:197]
	v_pk_fma_f32 v[114:115], v[152:153], v[136:137], v[116:117] neg_lo:[0,0,1] neg_hi:[0,0,1]
	s_delay_alu instid0(VALU_DEP_2) | instskip(SKIP_1) | instid1(VALU_DEP_2)
	v_pk_add_f32 v[104:105], v[112:113], v[104:105]
	v_mov_b32_e32 v112, v139
	v_pk_add_f32 v[104:105], v[104:105], v[106:107]
	v_pk_fma_f32 v[106:107], v[152:153], v[136:137], v[116:117] op_sel_hi:[1,0,1]
	s_delay_alu instid0(VALU_DEP_3) | instskip(NEXT) | instid1(VALU_DEP_3)
	v_pk_mul_f32 v[112:113], v[190:191], v[112:113] op_sel_hi:[1,0]
	v_pk_add_f32 v[104:105], v[104:105], v[108:109]
	s_delay_alu instid0(VALU_DEP_3) | instskip(NEXT) | instid1(VALU_DEP_3)
	v_mov_b32_e32 v115, v107
	v_pk_fma_f32 v[106:107], v[154:155], v[138:139], v[112:113] op_sel_hi:[1,0,1]
	s_wait_loadcnt 0x1
	v_pk_mul_f32 v[108:109], v[156:157], v[140:141] op_sel:[1,1] op_sel_hi:[0,1]
	v_mov_b32_e32 v106, v143
	v_pk_add_f32 v[104:105], v[104:105], v[110:111]
	v_pk_fma_f32 v[112:113], v[154:155], v[138:139], v[112:113] neg_lo:[0,0,1] neg_hi:[0,0,1]
	v_mov_b32_e32 v113, v107
	v_pk_fma_f32 v[110:111], v[156:157], v[140:141], v[108:109] op_sel_hi:[1,0,1]
	v_pk_mul_f32 v[106:107], v[192:193], v[106:107] op_sel_hi:[1,0]
	v_pk_add_f32 v[104:105], v[104:105], v[114:115]
	v_pk_fma_f32 v[108:109], v[156:157], v[140:141], v[108:109] neg_lo:[0,0,1] neg_hi:[0,0,1]
	s_delay_alu instid0(VALU_DEP_4) | instskip(NEXT) | instid1(VALU_DEP_4)
	v_mov_b32_e32 v109, v111
	v_pk_fma_f32 v[110:111], v[158:159], v[142:143], v[106:107] op_sel_hi:[1,0,1]
	s_delay_alu instid0(VALU_DEP_4) | instskip(SKIP_1) | instid1(VALU_DEP_3)
	v_pk_add_f32 v[104:105], v[104:105], v[112:113]
	v_pk_fma_f32 v[106:107], v[158:159], v[142:143], v[106:107] neg_lo:[0,0,1] neg_hi:[0,0,1]
	v_mov_b32_e32 v107, v111
	s_delay_alu instid0(VALU_DEP_3) | instskip(NEXT) | instid1(VALU_DEP_1)
	v_pk_add_f32 v[104:105], v[104:105], v[108:109]
	v_pk_add_f32 v[104:105], v[104:105], v[106:107]
	s_wait_loadcnt 0x0
	s_delay_alu instid0(VALU_DEP_1)
	v_pk_add_f32 v[104:105], v[184:185], v[104:105] neg_lo:[0,1] neg_hi:[0,1]
	scratch_store_b64 off, v[104:105], off offset:240
	s_wait_xcnt 0x0
	v_cmpx_lt_u32_e32 29, v0
	s_cbranch_execz .LBB50_261
; %bb.260:
	scratch_load_b64 v[104:105], off, off offset:232
	v_mov_b64_e32 v[106:107], 0
	scratch_store_b64 off, v[106:107], off offset:232
	s_wait_loadcnt 0x0
	ds_store_b64 v1, v[104:105]
.LBB50_261:
	s_wait_xcnt 0x0
	s_or_b32 exec_lo, exec_lo, s0
	s_wait_storecnt_dscnt 0x0
	s_barrier_signal -1
	s_barrier_wait -1
	s_clause 0xb
	scratch_load_b128 v[104:107], off, off offset:240
	scratch_load_b128 v[108:111], off, off offset:256
	scratch_load_b128 v[112:115], off, off offset:272
	scratch_load_b128 v[116:119], off, off offset:288
	scratch_load_b128 v[120:123], off, off offset:304
	scratch_load_b128 v[124:127], off, off offset:320
	scratch_load_b128 v[128:131], off, off offset:336
	scratch_load_b128 v[132:135], off, off offset:352
	scratch_load_b128 v[136:139], off, off offset:368
	scratch_load_b128 v[140:143], off, off offset:384
	scratch_load_b64 v[184:185], off, off offset:400
	scratch_load_b64 v[186:187], off, off offset:232
	v_mov_b32_e32 v5, 0
	ds_load_b128 v[144:147], v5 offset:752
	ds_load_b128 v[148:151], v5 offset:768
	;; [unrolled: 1-line block ×10, first 2 shown]
	ds_load_b64 v[188:189], v5 offset:816
	s_mov_b32 s0, exec_lo
	s_wait_dscnt 0xa
	v_dual_mov_b32 v190, v147 :: v_dual_mov_b32 v191, v146
	s_wait_dscnt 0x7
	v_dual_mov_b32 v192, v151 :: v_dual_mov_b32 v197, v158
	v_dual_mov_b32 v193, v150 :: v_dual_mov_b32 v194, v155
	;; [unrolled: 1-line block ×3, first 2 shown]
	s_wait_loadcnt_dscnt 0xb06
	v_dual_mul_f32 v9, v160, v105 :: v_dual_mul_f32 v31, v161, v105
	v_dual_mul_f32 v33, v163, v107 :: v_dual_mul_f32 v11, v162, v107
	s_wait_loadcnt_dscnt 0xa05
	v_mul_f32_e32 v13, v164, v109
	s_wait_loadcnt_dscnt 0x803
	v_dual_mul_f32 v43, v173, v117 :: v_dual_fma_f32 v31, v160, v104, -v31
	v_dual_fmac_f32 v9, v161, v104 :: v_dual_mul_f32 v45, v175, v119
	v_dual_mul_f32 v35, v165, v109 :: v_dual_mul_f32 v37, v167, v111
	v_dual_fmac_f32 v11, v163, v106 :: v_dual_fma_f32 v33, v162, v106, -v33
	s_delay_alu instid0(VALU_DEP_3) | instskip(SKIP_4) | instid1(VALU_DEP_3)
	v_dual_add_f32 v9, 0, v9 :: v_dual_add_f32 v31, 0, v31
	v_dual_mul_f32 v15, v166, v111 :: v_dual_mul_f32 v17, v168, v113
	s_wait_loadcnt_dscnt 0x702
	v_dual_mul_f32 v47, v177, v121 :: v_dual_fma_f32 v35, v164, v108, -v35
	v_fmac_f32_e32 v13, v165, v108
	v_dual_add_f32 v9, v9, v11 :: v_dual_fmac_f32 v15, v167, v110
	v_add_f32_e32 v11, v31, v33
	v_dual_mul_f32 v39, v169, v113 :: v_dual_mul_f32 v41, v171, v115
	v_dual_mul_f32 v31, v179, v123 :: v_dual_fma_f32 v33, v166, v110, -v37
	s_delay_alu instid0(VALU_DEP_3) | instskip(SKIP_3) | instid1(VALU_DEP_3)
	v_dual_add_f32 v9, v9, v13 :: v_dual_add_f32 v11, v11, v35
	v_dual_mul_f32 v19, v170, v115 :: v_dual_mul_f32 v21, v172, v117
	s_wait_loadcnt_dscnt 0x601
	v_dual_mul_f32 v13, v181, v125 :: v_dual_fma_f32 v35, v168, v112, -v39
	v_dual_fmac_f32 v17, v169, v112 :: v_dual_add_f32 v11, v11, v33
	s_delay_alu instid0(VALU_DEP_3) | instskip(SKIP_1) | instid1(VALU_DEP_2)
	v_dual_add_f32 v9, v9, v15 :: v_dual_fmac_f32 v19, v171, v114
	v_dual_mul_f32 v15, v183, v127 :: v_dual_fma_f32 v33, v170, v114, -v41
	v_dual_add_f32 v11, v11, v35 :: v_dual_add_f32 v9, v9, v17
	v_dual_mul_f32 v23, v174, v119 :: v_dual_mul_f32 v25, v176, v121
	s_wait_loadcnt 0x5
	v_dual_mul_f32 v17, v145, v129 :: v_dual_fma_f32 v35, v172, v116, -v43
	s_delay_alu instid0(VALU_DEP_3) | instskip(SKIP_2) | instid1(VALU_DEP_2)
	v_dual_fmac_f32 v21, v173, v116 :: v_dual_add_f32 v11, v11, v33
	v_dual_add_f32 v9, v9, v19 :: v_dual_mov_b32 v104, v131
	v_dual_fmac_f32 v23, v175, v118 :: v_dual_fma_f32 v19, v174, v118, -v45
	v_dual_add_f32 v11, v11, v35 :: v_dual_add_f32 v9, v9, v21
	v_dual_mul_f32 v27, v178, v123 :: v_dual_mul_f32 v29, v180, v125
	v_dual_fmac_f32 v25, v177, v120 :: v_dual_fma_f32 v21, v176, v120, -v47
	s_wait_loadcnt 0x4
	s_delay_alu instid0(VALU_DEP_3) | instskip(SKIP_1) | instid1(VALU_DEP_2)
	v_dual_add_f32 v9, v9, v23 :: v_dual_mov_b32 v108, v135
	v_dual_add_f32 v11, v11, v19 :: v_dual_fma_f32 v19, v178, v122, -v31
	v_dual_fmac_f32 v27, v179, v122 :: v_dual_add_f32 v9, v9, v25
	v_dual_mul_f32 v199, v182, v127 :: v_dual_mul_f32 v201, v144, v129
	s_delay_alu instid0(VALU_DEP_3) | instskip(NEXT) | instid1(VALU_DEP_3)
	v_dual_add_f32 v11, v11, v21 :: v_dual_fmac_f32 v29, v181, v124
	v_dual_fma_f32 v13, v180, v124, -v13 :: v_dual_add_f32 v9, v9, v27
	s_delay_alu instid0(VALU_DEP_3) | instskip(NEXT) | instid1(VALU_DEP_3)
	v_fmac_f32_e32 v199, v183, v126
	v_dual_add_f32 v11, v11, v19 :: v_dual_fma_f32 v198, v182, v126, -v15
	v_pk_mul_f32 v[104:105], v[190:191], v[104:105] op_sel_hi:[1,0]
	s_delay_alu instid0(VALU_DEP_4) | instskip(SKIP_1) | instid1(VALU_DEP_4)
	v_add_f32_e32 v113, v9, v29
	v_pk_mul_f32 v[106:107], v[148:149], v[132:133] op_sel:[1,1] op_sel_hi:[0,1]
	v_dual_add_f32 v112, v11, v13 :: v_dual_fmac_f32 v201, v145, v128
	s_wait_loadcnt 0x3
	v_dual_mov_b32 v114, v139 :: v_dual_fma_f32 v200, v144, v128, -v17
	v_pk_fma_f32 v[116:117], v[146:147], v[130:131], v[104:105] op_sel_hi:[1,0,1]
	s_delay_alu instid0(VALU_DEP_3)
	v_pk_add_f32 v[112:113], v[112:113], v[198:199]
	v_pk_fma_f32 v[104:105], v[146:147], v[130:131], v[104:105] neg_lo:[0,0,1] neg_hi:[0,0,1]
	v_pk_fma_f32 v[118:119], v[148:149], v[132:133], v[106:107] op_sel_hi:[1,0,1]
	v_pk_mul_f32 v[108:109], v[192:193], v[108:109] op_sel_hi:[1,0]
	v_mov_b32_e32 v105, v117
	v_pk_add_f32 v[112:113], v[112:113], v[200:201]
	v_pk_fma_f32 v[106:107], v[148:149], v[132:133], v[106:107] neg_lo:[0,0,1] neg_hi:[0,0,1]
	v_pk_mul_f32 v[110:111], v[152:153], v[136:137] op_sel:[1,1] op_sel_hi:[0,1]
	v_mov_b32_e32 v107, v119
	v_pk_fma_f32 v[118:119], v[150:151], v[134:135], v[108:109] op_sel_hi:[1,0,1]
	v_pk_add_f32 v[104:105], v[112:113], v[104:105]
	v_pk_fma_f32 v[108:109], v[150:151], v[134:135], v[108:109] neg_lo:[0,0,1] neg_hi:[0,0,1]
	v_pk_fma_f32 v[112:113], v[152:153], v[136:137], v[110:111] op_sel_hi:[1,0,1]
	v_pk_mul_f32 v[114:115], v[194:195], v[114:115] op_sel_hi:[1,0]
	v_mov_b32_e32 v109, v119
	v_pk_add_f32 v[104:105], v[104:105], v[106:107]
	v_pk_fma_f32 v[110:111], v[152:153], v[136:137], v[110:111] neg_lo:[0,0,1] neg_hi:[0,0,1]
	s_wait_loadcnt 0x2
	v_pk_mul_f32 v[116:117], v[156:157], v[140:141] op_sel:[1,1] op_sel_hi:[0,1]
	v_dual_mov_b32 v106, v143 :: v_dual_mov_b32 v111, v113
	v_pk_fma_f32 v[112:113], v[154:155], v[138:139], v[114:115] op_sel_hi:[1,0,1]
	v_pk_add_f32 v[104:105], v[104:105], v[108:109]
	v_pk_fma_f32 v[114:115], v[154:155], v[138:139], v[114:115] neg_lo:[0,0,1] neg_hi:[0,0,1]
	v_pk_fma_f32 v[108:109], v[156:157], v[140:141], v[116:117] op_sel_hi:[1,0,1]
	v_pk_mul_f32 v[106:107], v[196:197], v[106:107] op_sel_hi:[1,0]
	v_mov_b32_e32 v115, v113
	v_pk_add_f32 v[104:105], v[104:105], v[110:111]
	v_pk_fma_f32 v[110:111], v[156:157], v[140:141], v[116:117] neg_lo:[0,0,1] neg_hi:[0,0,1]
	v_mov_b32_e32 v111, v109
	v_pk_fma_f32 v[108:109], v[158:159], v[142:143], v[106:107] op_sel_hi:[1,0,1]
	s_wait_loadcnt_dscnt 0x100
	v_pk_mul_f32 v[112:113], v[188:189], v[184:185] op_sel:[1,1] op_sel_hi:[0,1]
	v_pk_add_f32 v[104:105], v[104:105], v[114:115]
	v_pk_fma_f32 v[106:107], v[158:159], v[142:143], v[106:107] neg_lo:[0,0,1] neg_hi:[0,0,1]
	v_mov_b32_e32 v107, v109
	s_delay_alu instid0(VALU_DEP_4) | instskip(NEXT) | instid1(VALU_DEP_4)
	v_pk_fma_f32 v[108:109], v[188:189], v[184:185], v[112:113] op_sel_hi:[1,0,1]
	v_pk_add_f32 v[104:105], v[104:105], v[110:111]
	v_pk_fma_f32 v[110:111], v[188:189], v[184:185], v[112:113] neg_lo:[0,0,1] neg_hi:[0,0,1]
	s_delay_alu instid0(VALU_DEP_3) | instskip(NEXT) | instid1(VALU_DEP_3)
	v_mov_b32_e32 v111, v109
	v_pk_add_f32 v[104:105], v[104:105], v[106:107]
	s_delay_alu instid0(VALU_DEP_1) | instskip(SKIP_1) | instid1(VALU_DEP_1)
	v_pk_add_f32 v[104:105], v[104:105], v[110:111]
	s_wait_loadcnt 0x0
	v_pk_add_f32 v[104:105], v[186:187], v[104:105] neg_lo:[0,1] neg_hi:[0,1]
	scratch_store_b64 off, v[104:105], off offset:232
	s_wait_xcnt 0x0
	v_cmpx_lt_u32_e32 28, v0
	s_cbranch_execz .LBB50_263
; %bb.262:
	scratch_load_b64 v[104:105], off, off offset:224
	v_mov_b64_e32 v[106:107], 0
	scratch_store_b64 off, v[106:107], off offset:224
	s_wait_loadcnt 0x0
	ds_store_b64 v1, v[104:105]
.LBB50_263:
	s_wait_xcnt 0x0
	s_or_b32 exec_lo, exec_lo, s0
	s_wait_storecnt_dscnt 0x0
	s_barrier_signal -1
	s_barrier_wait -1
	s_clause 0xb
	scratch_load_b128 v[104:107], off, off offset:232
	scratch_load_b128 v[108:111], off, off offset:248
	;; [unrolled: 1-line block ×11, first 2 shown]
	scratch_load_b64 v[192:193], off, off offset:224
	ds_load_2addr_b64 v[148:151], v5 offset0:95 offset1:96
	ds_load_2addr_b64 v[152:155], v5 offset0:97 offset1:98
	;; [unrolled: 1-line block ×11, first 2 shown]
	s_mov_b32 s0, exec_lo
	s_wait_dscnt 0xa
	v_dual_mov_b32 v194, v151 :: v_dual_mov_b32 v195, v150
	s_wait_dscnt 0x9
	v_dual_mov_b32 v196, v155 :: v_dual_mov_b32 v197, v154
	;; [unrolled: 2-line block ×4, first 2 shown]
	s_wait_loadcnt_dscnt 0xb06
	v_dual_mul_f32 v5, v164, v105 :: v_dual_mul_f32 v9, v166, v107
	v_dual_mul_f32 v31, v165, v105 :: v_dual_mul_f32 v33, v167, v107
	s_wait_loadcnt_dscnt 0xa05
	v_dual_mul_f32 v11, v168, v109 :: v_dual_mul_f32 v13, v170, v111
	s_delay_alu instid0(VALU_DEP_2) | instskip(SKIP_3) | instid1(VALU_DEP_3)
	v_dual_fmac_f32 v5, v165, v104 :: v_dual_fma_f32 v31, v164, v104, -v31
	v_dual_mul_f32 v35, v169, v109 :: v_dual_mul_f32 v37, v171, v111
	s_wait_loadcnt_dscnt 0x803
	v_dual_mul_f32 v43, v177, v117 :: v_dual_fmac_f32 v9, v167, v106
	v_dual_fma_f32 v33, v166, v106, -v33 :: v_dual_add_f32 v5, 0, v5
	v_dual_add_f32 v31, 0, v31 :: v_dual_fmac_f32 v11, v169, v108
	v_dual_mul_f32 v45, v179, v119 :: v_dual_fma_f32 v35, v168, v108, -v35
	s_delay_alu instid0(VALU_DEP_3) | instskip(NEXT) | instid1(VALU_DEP_3)
	v_dual_add_f32 v5, v5, v9 :: v_dual_fmac_f32 v13, v171, v110
	v_dual_add_f32 v9, v31, v33 :: v_dual_fma_f32 v33, v170, v110, -v37
	v_dual_mul_f32 v15, v172, v113 :: v_dual_mul_f32 v17, v174, v115
	v_dual_mul_f32 v39, v173, v113 :: v_dual_mul_f32 v41, v175, v115
	s_delay_alu instid0(VALU_DEP_3) | instskip(NEXT) | instid1(VALU_DEP_3)
	v_add_f32_e32 v9, v9, v35
	v_dual_add_f32 v5, v5, v11 :: v_dual_fmac_f32 v17, v175, v114
	s_wait_loadcnt_dscnt 0x702
	s_delay_alu instid0(VALU_DEP_3) | instskip(NEXT) | instid1(VALU_DEP_3)
	v_dual_fma_f32 v35, v172, v112, -v39 :: v_dual_mul_f32 v31, v181, v121
	v_dual_mul_f32 v11, v183, v123 :: v_dual_add_f32 v9, v9, v33
	v_dual_fmac_f32 v15, v173, v112 :: v_dual_fma_f32 v33, v174, v114, -v41
	v_add_f32_e32 v5, v5, v13
	v_dual_mul_f32 v19, v176, v117 :: v_dual_mul_f32 v21, v178, v119
	s_delay_alu instid0(VALU_DEP_4) | instskip(NEXT) | instid1(VALU_DEP_3)
	v_dual_add_f32 v9, v9, v35 :: v_dual_fma_f32 v31, v180, v120, -v31
	v_dual_add_f32 v5, v5, v15 :: v_dual_fma_f32 v35, v176, v116, -v43
	v_dual_mul_f32 v23, v180, v121 :: v_dual_mul_f32 v25, v182, v123
	s_delay_alu instid0(VALU_DEP_3) | instskip(SKIP_2) | instid1(VALU_DEP_3)
	v_dual_add_f32 v9, v9, v33 :: v_dual_fma_f32 v11, v182, v122, -v11
	s_wait_loadcnt_dscnt 0x601
	v_dual_mul_f32 v27, v184, v125 :: v_dual_mul_f32 v29, v186, v127
	v_dual_fmac_f32 v19, v177, v116 :: v_dual_fmac_f32 v25, v183, v122
	v_dual_fma_f32 v33, v178, v118, -v45 :: v_dual_add_f32 v5, v5, v17
	s_delay_alu instid0(VALU_DEP_3) | instskip(SKIP_3) | instid1(VALU_DEP_2)
	v_dual_add_f32 v9, v9, v35 :: v_dual_fmac_f32 v29, v187, v126
	v_dual_mul_f32 v13, v185, v125 :: v_dual_fmac_f32 v21, v179, v118
	s_wait_loadcnt_dscnt 0x400
	v_dual_mul_f32 v17, v189, v129 :: v_dual_mov_b32 v106, v135
	v_dual_add_f32 v5, v5, v19 :: v_dual_fma_f32 v13, v184, v124, -v13
	s_delay_alu instid0(VALU_DEP_2)
	v_dual_add_f32 v9, v9, v33 :: v_dual_fma_f32 v202, v188, v128, -v17
	v_mul_f32_e32 v15, v187, v127
	v_dual_mul_f32 v19, v191, v131 :: v_dual_fmac_f32 v23, v181, v120
	s_wait_loadcnt 0x3
	v_dual_mov_b32 v110, v139 :: v_dual_add_f32 v5, v5, v21
	v_pk_mul_f32 v[104:105], v[148:149], v[132:133] op_sel:[1,1] op_sel_hi:[0,1]
	s_delay_alu instid0(VALU_DEP_3) | instskip(SKIP_1) | instid1(VALU_DEP_3)
	v_dual_add_f32 v9, v9, v31 :: v_dual_fma_f32 v204, v190, v130, -v19
	v_dual_mul_f32 v203, v188, v129 :: v_dual_mul_f32 v205, v190, v131
	v_pk_fma_f32 v[114:115], v[148:149], v[132:133], v[104:105] op_sel_hi:[1,0,1]
	s_delay_alu instid0(VALU_DEP_3) | instskip(NEXT) | instid1(VALU_DEP_3)
	v_dual_add_f32 v9, v9, v11 :: v_dual_fma_f32 v11, v186, v126, -v15
	v_dual_add_f32 v5, v5, v23 :: v_dual_fmac_f32 v205, v191, v130
	v_pk_mul_f32 v[106:107], v[194:195], v[106:107] op_sel_hi:[1,0]
	v_pk_fma_f32 v[104:105], v[148:149], v[132:133], v[104:105] neg_lo:[0,0,1] neg_hi:[0,0,1]
	v_dual_fmac_f32 v27, v185, v124 :: v_dual_mov_b32 v105, v115
	v_pk_mul_f32 v[108:109], v[152:153], v[136:137] op_sel:[1,1] op_sel_hi:[0,1]
	s_delay_alu instid0(VALU_DEP_4) | instskip(SKIP_4) | instid1(VALU_DEP_4)
	v_pk_fma_f32 v[114:115], v[150:151], v[134:135], v[106:107] op_sel_hi:[1,0,1]
	v_add_f32_e32 v5, v5, v25
	v_pk_mul_f32 v[110:111], v[196:197], v[110:111] op_sel_hi:[1,0]
	v_pk_fma_f32 v[106:107], v[150:151], v[134:135], v[106:107] neg_lo:[0,0,1] neg_hi:[0,0,1]
	v_pk_fma_f32 v[118:119], v[152:153], v[136:137], v[108:109] op_sel_hi:[1,0,1]
	v_dual_mov_b32 v107, v115 :: v_dual_add_f32 v5, v5, v27
	s_delay_alu instid0(VALU_DEP_4)
	v_pk_fma_f32 v[114:115], v[154:155], v[138:139], v[110:111] op_sel_hi:[1,0,1]
	v_add_f32_e32 v9, v9, v13
	v_pk_fma_f32 v[108:109], v[152:153], v[136:137], v[108:109] neg_lo:[0,0,1] neg_hi:[0,0,1]
	v_pk_fma_f32 v[110:111], v[154:155], v[138:139], v[110:111] neg_lo:[0,0,1] neg_hi:[0,0,1]
	v_dual_fmac_f32 v203, v189, v128 :: v_dual_mov_b32 v109, v119
	v_dual_add_f32 v113, v5, v29 :: v_dual_mov_b32 v111, v115
	v_add_f32_e32 v112, v9, v11
	s_wait_loadcnt 0x2
	v_pk_mul_f32 v[116:117], v[156:157], v[140:141] op_sel:[1,1] op_sel_hi:[0,1]
	s_delay_alu instid0(VALU_DEP_2) | instskip(NEXT) | instid1(VALU_DEP_2)
	v_pk_add_f32 v[112:113], v[112:113], v[202:203]
	v_pk_fma_f32 v[114:115], v[156:157], v[140:141], v[116:117] neg_lo:[0,0,1] neg_hi:[0,0,1]
	s_delay_alu instid0(VALU_DEP_2) | instskip(NEXT) | instid1(VALU_DEP_1)
	v_pk_add_f32 v[112:113], v[112:113], v[204:205]
	v_pk_add_f32 v[104:105], v[112:113], v[104:105]
	v_mov_b32_e32 v112, v143
	s_delay_alu instid0(VALU_DEP_2) | instskip(SKIP_1) | instid1(VALU_DEP_3)
	v_pk_add_f32 v[104:105], v[104:105], v[106:107]
	v_pk_fma_f32 v[106:107], v[156:157], v[140:141], v[116:117] op_sel_hi:[1,0,1]
	v_pk_mul_f32 v[112:113], v[198:199], v[112:113] op_sel_hi:[1,0]
	s_delay_alu instid0(VALU_DEP_3) | instskip(NEXT) | instid1(VALU_DEP_3)
	v_pk_add_f32 v[104:105], v[104:105], v[108:109]
	v_mov_b32_e32 v115, v107
	s_delay_alu instid0(VALU_DEP_3)
	v_pk_fma_f32 v[106:107], v[158:159], v[142:143], v[112:113] op_sel_hi:[1,0,1]
	s_wait_loadcnt 0x1
	v_pk_mul_f32 v[108:109], v[160:161], v[144:145] op_sel:[1,1] op_sel_hi:[0,1]
	v_mov_b32_e32 v106, v147
	v_pk_add_f32 v[104:105], v[104:105], v[110:111]
	v_pk_fma_f32 v[112:113], v[158:159], v[142:143], v[112:113] neg_lo:[0,0,1] neg_hi:[0,0,1]
	v_mov_b32_e32 v113, v107
	v_pk_fma_f32 v[110:111], v[160:161], v[144:145], v[108:109] op_sel_hi:[1,0,1]
	v_pk_mul_f32 v[106:107], v[200:201], v[106:107] op_sel_hi:[1,0]
	v_pk_add_f32 v[104:105], v[104:105], v[114:115]
	v_pk_fma_f32 v[108:109], v[160:161], v[144:145], v[108:109] neg_lo:[0,0,1] neg_hi:[0,0,1]
	s_delay_alu instid0(VALU_DEP_4) | instskip(NEXT) | instid1(VALU_DEP_4)
	v_mov_b32_e32 v109, v111
	v_pk_fma_f32 v[110:111], v[162:163], v[146:147], v[106:107] op_sel_hi:[1,0,1]
	s_delay_alu instid0(VALU_DEP_4) | instskip(SKIP_1) | instid1(VALU_DEP_3)
	v_pk_add_f32 v[104:105], v[104:105], v[112:113]
	v_pk_fma_f32 v[106:107], v[162:163], v[146:147], v[106:107] neg_lo:[0,0,1] neg_hi:[0,0,1]
	v_mov_b32_e32 v107, v111
	s_delay_alu instid0(VALU_DEP_3) | instskip(NEXT) | instid1(VALU_DEP_1)
	v_pk_add_f32 v[104:105], v[104:105], v[108:109]
	v_pk_add_f32 v[104:105], v[104:105], v[106:107]
	s_wait_loadcnt 0x0
	s_delay_alu instid0(VALU_DEP_1)
	v_pk_add_f32 v[104:105], v[192:193], v[104:105] neg_lo:[0,1] neg_hi:[0,1]
	scratch_store_b64 off, v[104:105], off offset:224
	s_wait_xcnt 0x0
	v_cmpx_lt_u32_e32 27, v0
	s_cbranch_execz .LBB50_265
; %bb.264:
	scratch_load_b64 v[104:105], off, off offset:216
	v_mov_b64_e32 v[106:107], 0
	scratch_store_b64 off, v[106:107], off offset:216
	s_wait_loadcnt 0x0
	ds_store_b64 v1, v[104:105]
.LBB50_265:
	s_wait_xcnt 0x0
	s_or_b32 exec_lo, exec_lo, s0
	s_wait_storecnt_dscnt 0x0
	s_barrier_signal -1
	s_barrier_wait -1
	s_clause 0xc
	scratch_load_b128 v[104:107], off, off offset:224
	scratch_load_b128 v[108:111], off, off offset:240
	;; [unrolled: 1-line block ×11, first 2 shown]
	scratch_load_b64 v[192:193], off, off offset:400
	scratch_load_b64 v[194:195], off, off offset:216
	v_mov_b32_e32 v5, 0
	ds_load_b128 v[148:151], v5 offset:752
	ds_load_b128 v[152:155], v5 offset:768
	;; [unrolled: 1-line block ×11, first 2 shown]
	ds_load_b64 v[196:197], v5 offset:816
	s_mov_b32 s0, exec_lo
	s_wait_dscnt 0xb
	v_dual_mov_b32 v198, v151 :: v_dual_mov_b32 v199, v150
	s_wait_dscnt 0x8
	v_dual_mov_b32 v200, v155 :: v_dual_mov_b32 v205, v162
	v_dual_mov_b32 v201, v154 :: v_dual_mov_b32 v202, v159
	;; [unrolled: 1-line block ×3, first 2 shown]
	s_wait_loadcnt_dscnt 0xc07
	v_dual_mul_f32 v9, v164, v105 :: v_dual_mul_f32 v35, v165, v105
	v_dual_mul_f32 v37, v167, v107 :: v_dual_mul_f32 v11, v166, v107
	s_wait_loadcnt_dscnt 0xb06
	v_mul_f32_e32 v13, v168, v109
	s_wait_loadcnt_dscnt 0x904
	v_dual_mul_f32 v47, v177, v117 :: v_dual_fma_f32 v35, v164, v104, -v35
	v_dual_fmac_f32 v9, v165, v104 :: v_dual_mul_f32 v49, v179, v119
	v_dual_mul_f32 v39, v169, v109 :: v_dual_mul_f32 v41, v171, v111
	v_dual_fmac_f32 v11, v167, v106 :: v_dual_fma_f32 v37, v166, v106, -v37
	s_delay_alu instid0(VALU_DEP_3) | instskip(SKIP_4) | instid1(VALU_DEP_3)
	v_dual_add_f32 v9, 0, v9 :: v_dual_add_f32 v35, 0, v35
	v_dual_mul_f32 v15, v170, v111 :: v_dual_mul_f32 v17, v172, v113
	s_wait_loadcnt_dscnt 0x803
	v_dual_mul_f32 v51, v181, v121 :: v_dual_fma_f32 v39, v168, v108, -v39
	v_fmac_f32_e32 v13, v169, v108
	v_dual_add_f32 v9, v9, v11 :: v_dual_fmac_f32 v15, v171, v110
	v_add_f32_e32 v11, v35, v37
	v_dual_mul_f32 v43, v173, v113 :: v_dual_mul_f32 v45, v175, v115
	v_dual_mul_f32 v35, v183, v123 :: v_dual_fma_f32 v37, v170, v110, -v41
	s_delay_alu instid0(VALU_DEP_3) | instskip(SKIP_3) | instid1(VALU_DEP_3)
	v_dual_add_f32 v9, v9, v13 :: v_dual_add_f32 v11, v11, v39
	v_dual_mul_f32 v19, v174, v115 :: v_dual_mul_f32 v21, v176, v117
	s_wait_loadcnt_dscnt 0x701
	v_dual_mul_f32 v13, v189, v125 :: v_dual_fma_f32 v39, v172, v112, -v43
	v_dual_fmac_f32 v17, v173, v112 :: v_dual_add_f32 v11, v11, v37
	s_delay_alu instid0(VALU_DEP_3) | instskip(SKIP_1) | instid1(VALU_DEP_2)
	v_dual_add_f32 v9, v9, v15 :: v_dual_fmac_f32 v19, v175, v114
	v_dual_mul_f32 v15, v191, v127 :: v_dual_fma_f32 v37, v174, v114, -v45
	v_dual_add_f32 v11, v11, v39 :: v_dual_add_f32 v9, v9, v17
	v_dual_mul_f32 v23, v178, v119 :: v_dual_mul_f32 v25, v180, v121
	s_wait_loadcnt 0x6
	v_dual_mul_f32 v17, v185, v129 :: v_dual_fma_f32 v39, v176, v116, -v47
	s_delay_alu instid0(VALU_DEP_3) | instskip(NEXT) | instid1(VALU_DEP_3)
	v_dual_fmac_f32 v21, v177, v116 :: v_dual_add_f32 v11, v11, v37
	v_dual_add_f32 v9, v9, v19 :: v_dual_fmac_f32 v23, v179, v118
	v_dual_mul_f32 v19, v187, v131 :: v_dual_fma_f32 v37, v178, v118, -v49
	s_delay_alu instid0(VALU_DEP_2) | instskip(SKIP_3) | instid1(VALU_DEP_3)
	v_dual_add_f32 v11, v11, v39 :: v_dual_add_f32 v9, v9, v21
	v_dual_mul_f32 v27, v182, v123 :: v_dual_mul_f32 v29, v188, v125
	s_wait_loadcnt 0x5
	v_dual_mul_f32 v21, v149, v133 :: v_dual_fma_f32 v39, v180, v120, -v51
	v_dual_fmac_f32 v25, v181, v120 :: v_dual_add_f32 v11, v11, v37
	v_dual_add_f32 v9, v9, v23 :: v_dual_mov_b32 v104, v135
	v_fmac_f32_e32 v27, v183, v122
	s_delay_alu instid0(VALU_DEP_3) | instskip(NEXT) | instid1(VALU_DEP_3)
	v_dual_fma_f32 v23, v182, v122, -v35 :: v_dual_add_f32 v11, v11, v39
	v_dual_add_f32 v9, v9, v25 :: v_dual_mul_f32 v31, v190, v127
	v_dual_mul_f32 v33, v184, v129 :: v_dual_fmac_f32 v29, v189, v124
	s_delay_alu instid0(VALU_DEP_3) | instskip(SKIP_1) | instid1(VALU_DEP_3)
	v_dual_add_f32 v11, v11, v23 :: v_dual_fma_f32 v13, v188, v124, -v13
	s_wait_loadcnt 0x4
	v_dual_add_f32 v9, v9, v27 :: v_dual_mov_b32 v108, v139
	v_fma_f32 v15, v190, v126, -v15
	v_fmac_f32_e32 v31, v191, v126
	v_dual_add_f32 v11, v11, v13 :: v_dual_fmac_f32 v33, v185, v128
	s_delay_alu instid0(VALU_DEP_4) | instskip(SKIP_1) | instid1(VALU_DEP_3)
	v_dual_add_f32 v9, v9, v29 :: v_dual_mul_f32 v207, v186, v131
	v_mul_f32_e32 v209, v148, v133
	v_dual_fma_f32 v13, v184, v128, -v17 :: v_dual_add_f32 v11, v11, v15
	s_delay_alu instid0(VALU_DEP_3) | instskip(NEXT) | instid1(VALU_DEP_4)
	v_dual_fma_f32 v206, v186, v130, -v19 :: v_dual_add_f32 v9, v9, v31
	v_fmac_f32_e32 v207, v187, v130
	v_pk_mul_f32 v[104:105], v[198:199], v[104:105] op_sel_hi:[1,0]
	s_delay_alu instid0(VALU_DEP_4) | instskip(NEXT) | instid1(VALU_DEP_4)
	v_dual_add_f32 v112, v11, v13 :: v_dual_fmac_f32 v209, v149, v132
	v_add_f32_e32 v113, v9, v33
	v_pk_mul_f32 v[106:107], v[152:153], v[136:137] op_sel:[1,1] op_sel_hi:[0,1]
	s_wait_loadcnt 0x3
	v_dual_mov_b32 v114, v143 :: v_dual_fma_f32 v208, v148, v132, -v21
	v_pk_fma_f32 v[116:117], v[150:151], v[134:135], v[104:105] op_sel_hi:[1,0,1]
	v_pk_add_f32 v[112:113], v[112:113], v[206:207]
	v_pk_fma_f32 v[104:105], v[150:151], v[134:135], v[104:105] neg_lo:[0,0,1] neg_hi:[0,0,1]
	v_pk_fma_f32 v[118:119], v[152:153], v[136:137], v[106:107] op_sel_hi:[1,0,1]
	v_pk_mul_f32 v[108:109], v[200:201], v[108:109] op_sel_hi:[1,0]
	v_mov_b32_e32 v105, v117
	v_pk_add_f32 v[112:113], v[112:113], v[208:209]
	v_pk_fma_f32 v[106:107], v[152:153], v[136:137], v[106:107] neg_lo:[0,0,1] neg_hi:[0,0,1]
	v_pk_mul_f32 v[110:111], v[156:157], v[140:141] op_sel:[1,1] op_sel_hi:[0,1]
	v_mov_b32_e32 v107, v119
	v_pk_fma_f32 v[118:119], v[154:155], v[138:139], v[108:109] op_sel_hi:[1,0,1]
	v_pk_add_f32 v[104:105], v[112:113], v[104:105]
	v_pk_fma_f32 v[108:109], v[154:155], v[138:139], v[108:109] neg_lo:[0,0,1] neg_hi:[0,0,1]
	v_pk_fma_f32 v[112:113], v[156:157], v[140:141], v[110:111] op_sel_hi:[1,0,1]
	v_pk_mul_f32 v[114:115], v[202:203], v[114:115] op_sel_hi:[1,0]
	v_mov_b32_e32 v109, v119
	v_pk_add_f32 v[104:105], v[104:105], v[106:107]
	v_pk_fma_f32 v[110:111], v[156:157], v[140:141], v[110:111] neg_lo:[0,0,1] neg_hi:[0,0,1]
	s_wait_loadcnt 0x2
	v_pk_mul_f32 v[116:117], v[160:161], v[144:145] op_sel:[1,1] op_sel_hi:[0,1]
	v_dual_mov_b32 v106, v147 :: v_dual_mov_b32 v111, v113
	v_pk_fma_f32 v[112:113], v[158:159], v[142:143], v[114:115] op_sel_hi:[1,0,1]
	v_pk_add_f32 v[104:105], v[104:105], v[108:109]
	v_pk_fma_f32 v[114:115], v[158:159], v[142:143], v[114:115] neg_lo:[0,0,1] neg_hi:[0,0,1]
	v_pk_fma_f32 v[108:109], v[160:161], v[144:145], v[116:117] op_sel_hi:[1,0,1]
	v_pk_mul_f32 v[106:107], v[204:205], v[106:107] op_sel_hi:[1,0]
	v_mov_b32_e32 v115, v113
	v_pk_add_f32 v[104:105], v[104:105], v[110:111]
	v_pk_fma_f32 v[110:111], v[160:161], v[144:145], v[116:117] neg_lo:[0,0,1] neg_hi:[0,0,1]
	v_mov_b32_e32 v111, v109
	v_pk_fma_f32 v[108:109], v[162:163], v[146:147], v[106:107] op_sel_hi:[1,0,1]
	s_wait_loadcnt_dscnt 0x100
	v_pk_mul_f32 v[112:113], v[196:197], v[192:193] op_sel:[1,1] op_sel_hi:[0,1]
	v_pk_add_f32 v[104:105], v[104:105], v[114:115]
	v_pk_fma_f32 v[106:107], v[162:163], v[146:147], v[106:107] neg_lo:[0,0,1] neg_hi:[0,0,1]
	v_mov_b32_e32 v107, v109
	s_delay_alu instid0(VALU_DEP_4) | instskip(NEXT) | instid1(VALU_DEP_4)
	v_pk_fma_f32 v[108:109], v[196:197], v[192:193], v[112:113] op_sel_hi:[1,0,1]
	v_pk_add_f32 v[104:105], v[104:105], v[110:111]
	v_pk_fma_f32 v[110:111], v[196:197], v[192:193], v[112:113] neg_lo:[0,0,1] neg_hi:[0,0,1]
	s_delay_alu instid0(VALU_DEP_3) | instskip(NEXT) | instid1(VALU_DEP_3)
	v_mov_b32_e32 v111, v109
	v_pk_add_f32 v[104:105], v[104:105], v[106:107]
	s_delay_alu instid0(VALU_DEP_1) | instskip(SKIP_1) | instid1(VALU_DEP_1)
	v_pk_add_f32 v[104:105], v[104:105], v[110:111]
	s_wait_loadcnt 0x0
	v_pk_add_f32 v[104:105], v[194:195], v[104:105] neg_lo:[0,1] neg_hi:[0,1]
	scratch_store_b64 off, v[104:105], off offset:216
	s_wait_xcnt 0x0
	v_cmpx_lt_u32_e32 26, v0
	s_cbranch_execz .LBB50_267
; %bb.266:
	scratch_load_b64 v[104:105], off, off offset:208
	v_mov_b64_e32 v[106:107], 0
	scratch_store_b64 off, v[106:107], off offset:208
	s_wait_loadcnt 0x0
	ds_store_b64 v1, v[104:105]
.LBB50_267:
	s_wait_xcnt 0x0
	s_or_b32 exec_lo, exec_lo, s0
	s_wait_storecnt_dscnt 0x0
	s_barrier_signal -1
	s_barrier_wait -1
	s_clause 0xc
	scratch_load_b128 v[104:107], off, off offset:216
	scratch_load_b128 v[108:111], off, off offset:232
	;; [unrolled: 1-line block ×12, first 2 shown]
	scratch_load_b64 v[200:201], off, off offset:208
	ds_load_2addr_b64 v[152:155], v5 offset0:95 offset1:96
	ds_load_2addr_b64 v[156:159], v5 offset0:97 offset1:98
	;; [unrolled: 1-line block ×12, first 2 shown]
	s_mov_b32 s0, exec_lo
	s_wait_dscnt 0xb
	v_dual_mov_b32 v202, v155 :: v_dual_mov_b32 v203, v154
	s_wait_dscnt 0xa
	v_dual_mov_b32 v204, v159 :: v_dual_mov_b32 v205, v158
	s_wait_dscnt 0x9
	v_dual_mov_b32 v206, v163 :: v_dual_mov_b32 v207, v162
	s_wait_dscnt 0x8
	v_dual_mov_b32 v208, v167 :: v_dual_mov_b32 v209, v166
	s_wait_loadcnt_dscnt 0xc07
	v_dual_mul_f32 v5, v168, v105 :: v_dual_mul_f32 v9, v170, v107
	v_dual_mul_f32 v35, v169, v105 :: v_dual_mul_f32 v37, v171, v107
	s_wait_loadcnt_dscnt 0xb06
	v_dual_mul_f32 v11, v172, v109 :: v_dual_mul_f32 v13, v174, v111
	s_delay_alu instid0(VALU_DEP_2) | instskip(SKIP_3) | instid1(VALU_DEP_3)
	v_dual_fmac_f32 v5, v169, v104 :: v_dual_fma_f32 v35, v168, v104, -v35
	v_dual_mul_f32 v39, v173, v109 :: v_dual_mul_f32 v41, v175, v111
	s_wait_loadcnt_dscnt 0x904
	v_dual_mul_f32 v47, v181, v117 :: v_dual_fmac_f32 v9, v171, v106
	v_dual_fma_f32 v37, v170, v106, -v37 :: v_dual_add_f32 v5, 0, v5
	v_dual_add_f32 v35, 0, v35 :: v_dual_fmac_f32 v11, v173, v108
	v_dual_mul_f32 v49, v183, v119 :: v_dual_fma_f32 v39, v172, v108, -v39
	s_delay_alu instid0(VALU_DEP_3) | instskip(NEXT) | instid1(VALU_DEP_3)
	v_dual_add_f32 v5, v5, v9 :: v_dual_fmac_f32 v13, v175, v110
	v_dual_add_f32 v9, v35, v37 :: v_dual_fma_f32 v37, v174, v110, -v41
	v_dual_mul_f32 v15, v176, v113 :: v_dual_mul_f32 v17, v178, v115
	v_dual_mul_f32 v43, v177, v113 :: v_dual_mul_f32 v45, v179, v115
	s_delay_alu instid0(VALU_DEP_3) | instskip(NEXT) | instid1(VALU_DEP_3)
	v_add_f32_e32 v9, v9, v39
	v_dual_add_f32 v5, v5, v11 :: v_dual_fmac_f32 v17, v179, v114
	s_wait_loadcnt_dscnt 0x803
	s_delay_alu instid0(VALU_DEP_3) | instskip(NEXT) | instid1(VALU_DEP_3)
	v_dual_fma_f32 v39, v176, v112, -v43 :: v_dual_mul_f32 v35, v185, v121
	v_dual_mul_f32 v11, v187, v123 :: v_dual_add_f32 v9, v9, v37
	v_dual_fmac_f32 v15, v177, v112 :: v_dual_fma_f32 v37, v178, v114, -v45
	v_add_f32_e32 v5, v5, v13
	v_dual_mul_f32 v19, v180, v117 :: v_dual_mul_f32 v21, v182, v119
	s_delay_alu instid0(VALU_DEP_4) | instskip(NEXT) | instid1(VALU_DEP_3)
	v_dual_add_f32 v9, v9, v39 :: v_dual_fma_f32 v35, v184, v120, -v35
	v_dual_add_f32 v5, v5, v15 :: v_dual_fma_f32 v39, v180, v116, -v47
	v_dual_mul_f32 v23, v184, v121 :: v_dual_mul_f32 v25, v186, v123
	s_delay_alu instid0(VALU_DEP_3) | instskip(SKIP_2) | instid1(VALU_DEP_3)
	v_dual_add_f32 v9, v9, v37 :: v_dual_fma_f32 v11, v186, v122, -v11
	s_wait_loadcnt_dscnt 0x702
	v_dual_mul_f32 v27, v188, v125 :: v_dual_mul_f32 v29, v190, v127
	v_dual_fmac_f32 v19, v181, v116 :: v_dual_fmac_f32 v25, v187, v122
	v_dual_fma_f32 v37, v182, v118, -v49 :: v_dual_add_f32 v5, v5, v17
	s_delay_alu instid0(VALU_DEP_3)
	v_dual_add_f32 v9, v9, v39 :: v_dual_fmac_f32 v29, v191, v126
	v_dual_mul_f32 v13, v189, v125 :: v_dual_fmac_f32 v21, v183, v118
	s_wait_loadcnt_dscnt 0x601
	v_mul_f32_e32 v17, v193, v129
	v_add_f32_e32 v5, v5, v19
	v_dual_add_f32 v9, v9, v37 :: v_dual_mul_f32 v15, v191, v127
	s_wait_loadcnt 0x4
	v_dual_fmac_f32 v23, v185, v120 :: v_dual_mov_b32 v106, v139
	s_delay_alu instid0(VALU_DEP_3) | instskip(SKIP_4) | instid1(VALU_DEP_3)
	v_dual_fma_f32 v13, v188, v124, -v13 :: v_dual_add_f32 v5, v5, v21
	s_wait_loadcnt 0x3
	v_dual_add_f32 v9, v9, v35 :: v_dual_mov_b32 v110, v143
	v_dual_mul_f32 v19, v195, v131 :: v_dual_mul_f32 v31, v192, v129
	v_mul_f32_e32 v33, v194, v131
	v_dual_add_f32 v9, v9, v11 :: v_dual_fma_f32 v11, v190, v126, -v15
	v_add_f32_e32 v5, v5, v23
	s_wait_dscnt 0x0
	v_mul_f32_e32 v23, v199, v135
	v_pk_mul_f32 v[104:105], v[152:153], v[136:137] op_sel:[1,1] op_sel_hi:[0,1]
	v_dual_mul_f32 v211, v196, v133 :: v_dual_mul_f32 v213, v198, v135
	v_dual_mul_f32 v21, v197, v133 :: v_dual_fmac_f32 v33, v195, v130
	s_delay_alu instid0(VALU_DEP_4) | instskip(NEXT) | instid1(VALU_DEP_3)
	v_dual_fma_f32 v212, v198, v134, -v23 :: v_dual_add_f32 v9, v9, v13
	v_dual_fmac_f32 v27, v189, v124 :: v_dual_fmac_f32 v213, v199, v134
	v_pk_fma_f32 v[114:115], v[152:153], v[136:137], v[104:105] op_sel_hi:[1,0,1]
	v_pk_mul_f32 v[106:107], v[202:203], v[106:107] op_sel_hi:[1,0]
	s_delay_alu instid0(VALU_DEP_4) | instskip(SKIP_3) | instid1(VALU_DEP_3)
	v_dual_add_f32 v9, v9, v11 :: v_dual_fma_f32 v11, v194, v130, -v19
	v_dual_add_f32 v5, v5, v25 :: v_dual_fma_f32 v210, v196, v132, -v21
	v_pk_fma_f32 v[104:105], v[152:153], v[136:137], v[104:105] neg_lo:[0,0,1] neg_hi:[0,0,1]
	v_pk_mul_f32 v[108:109], v[156:157], v[140:141] op_sel:[1,1] op_sel_hi:[0,1]
	v_dual_mov_b32 v105, v115 :: v_dual_add_f32 v5, v5, v27
	v_pk_fma_f32 v[114:115], v[154:155], v[138:139], v[106:107] op_sel_hi:[1,0,1]
	v_pk_mul_f32 v[110:111], v[204:205], v[110:111] op_sel_hi:[1,0]
	v_pk_fma_f32 v[106:107], v[154:155], v[138:139], v[106:107] neg_lo:[0,0,1] neg_hi:[0,0,1]
	v_dual_fmac_f32 v31, v193, v128 :: v_dual_fma_f32 v13, v192, v128, -v17
	v_pk_fma_f32 v[118:119], v[156:157], v[140:141], v[108:109] op_sel_hi:[1,0,1]
	v_dual_add_f32 v5, v5, v29 :: v_dual_mov_b32 v107, v115
	v_pk_fma_f32 v[114:115], v[158:159], v[142:143], v[110:111] op_sel_hi:[1,0,1]
	v_pk_fma_f32 v[108:109], v[156:157], v[140:141], v[108:109] neg_lo:[0,0,1] neg_hi:[0,0,1]
	v_pk_fma_f32 v[110:111], v[158:159], v[142:143], v[110:111] neg_lo:[0,0,1] neg_hi:[0,0,1]
	s_delay_alu instid0(VALU_DEP_4) | instskip(NEXT) | instid1(VALU_DEP_4)
	v_dual_mov_b32 v109, v119 :: v_dual_add_f32 v5, v5, v31
	v_dual_mov_b32 v111, v115 :: v_dual_add_f32 v9, v9, v13
	v_fmac_f32_e32 v211, v197, v132
	s_wait_loadcnt 0x2
	v_pk_mul_f32 v[116:117], v[160:161], v[144:145] op_sel:[1,1] op_sel_hi:[0,1]
	v_add_f32_e32 v113, v5, v33
	v_add_f32_e32 v112, v9, v11
	s_delay_alu instid0(VALU_DEP_3) | instskip(NEXT) | instid1(VALU_DEP_2)
	v_pk_fma_f32 v[114:115], v[160:161], v[144:145], v[116:117] neg_lo:[0,0,1] neg_hi:[0,0,1]
	v_pk_add_f32 v[112:113], v[112:113], v[210:211]
	s_delay_alu instid0(VALU_DEP_1) | instskip(NEXT) | instid1(VALU_DEP_1)
	v_pk_add_f32 v[112:113], v[112:113], v[212:213]
	v_pk_add_f32 v[104:105], v[112:113], v[104:105]
	v_mov_b32_e32 v112, v147
	s_delay_alu instid0(VALU_DEP_2) | instskip(SKIP_1) | instid1(VALU_DEP_3)
	v_pk_add_f32 v[104:105], v[104:105], v[106:107]
	v_pk_fma_f32 v[106:107], v[160:161], v[144:145], v[116:117] op_sel_hi:[1,0,1]
	v_pk_mul_f32 v[112:113], v[206:207], v[112:113] op_sel_hi:[1,0]
	s_delay_alu instid0(VALU_DEP_3) | instskip(NEXT) | instid1(VALU_DEP_3)
	v_pk_add_f32 v[104:105], v[104:105], v[108:109]
	v_mov_b32_e32 v115, v107
	s_delay_alu instid0(VALU_DEP_3)
	v_pk_fma_f32 v[106:107], v[162:163], v[146:147], v[112:113] op_sel_hi:[1,0,1]
	s_wait_loadcnt 0x1
	v_pk_mul_f32 v[108:109], v[164:165], v[148:149] op_sel:[1,1] op_sel_hi:[0,1]
	v_mov_b32_e32 v106, v151
	v_pk_add_f32 v[104:105], v[104:105], v[110:111]
	v_pk_fma_f32 v[112:113], v[162:163], v[146:147], v[112:113] neg_lo:[0,0,1] neg_hi:[0,0,1]
	v_mov_b32_e32 v113, v107
	v_pk_fma_f32 v[110:111], v[164:165], v[148:149], v[108:109] op_sel_hi:[1,0,1]
	v_pk_mul_f32 v[106:107], v[208:209], v[106:107] op_sel_hi:[1,0]
	v_pk_add_f32 v[104:105], v[104:105], v[114:115]
	v_pk_fma_f32 v[108:109], v[164:165], v[148:149], v[108:109] neg_lo:[0,0,1] neg_hi:[0,0,1]
	s_delay_alu instid0(VALU_DEP_4) | instskip(NEXT) | instid1(VALU_DEP_4)
	v_mov_b32_e32 v109, v111
	v_pk_fma_f32 v[110:111], v[166:167], v[150:151], v[106:107] op_sel_hi:[1,0,1]
	s_delay_alu instid0(VALU_DEP_4) | instskip(SKIP_1) | instid1(VALU_DEP_3)
	v_pk_add_f32 v[104:105], v[104:105], v[112:113]
	v_pk_fma_f32 v[106:107], v[166:167], v[150:151], v[106:107] neg_lo:[0,0,1] neg_hi:[0,0,1]
	v_mov_b32_e32 v107, v111
	s_delay_alu instid0(VALU_DEP_3) | instskip(NEXT) | instid1(VALU_DEP_1)
	v_pk_add_f32 v[104:105], v[104:105], v[108:109]
	v_pk_add_f32 v[104:105], v[104:105], v[106:107]
	s_wait_loadcnt 0x0
	s_delay_alu instid0(VALU_DEP_1)
	v_pk_add_f32 v[104:105], v[200:201], v[104:105] neg_lo:[0,1] neg_hi:[0,1]
	scratch_store_b64 off, v[104:105], off offset:208
	s_wait_xcnt 0x0
	v_cmpx_lt_u32_e32 25, v0
	s_cbranch_execz .LBB50_269
; %bb.268:
	scratch_load_b64 v[104:105], off, off offset:200
	v_mov_b64_e32 v[106:107], 0
	scratch_store_b64 off, v[106:107], off offset:200
	s_wait_loadcnt 0x0
	ds_store_b64 v1, v[104:105]
.LBB50_269:
	s_wait_xcnt 0x0
	s_or_b32 exec_lo, exec_lo, s0
	s_wait_storecnt_dscnt 0x0
	s_barrier_signal -1
	s_barrier_wait -1
	s_clause 0xd
	scratch_load_b128 v[104:107], off, off offset:208
	scratch_load_b128 v[108:111], off, off offset:224
	scratch_load_b128 v[112:115], off, off offset:240
	scratch_load_b128 v[116:119], off, off offset:256
	scratch_load_b128 v[120:123], off, off offset:272
	scratch_load_b128 v[124:127], off, off offset:288
	scratch_load_b128 v[128:131], off, off offset:304
	scratch_load_b128 v[132:135], off, off offset:320
	scratch_load_b128 v[136:139], off, off offset:336
	scratch_load_b128 v[140:143], off, off offset:352
	scratch_load_b128 v[144:147], off, off offset:368
	scratch_load_b128 v[148:151], off, off offset:384
	scratch_load_b64 v[200:201], off, off offset:400
	scratch_load_b64 v[202:203], off, off offset:200
	v_mov_b32_e32 v5, 0
	ds_load_b128 v[152:155], v5 offset:752
	ds_load_b128 v[156:159], v5 offset:768
	;; [unrolled: 1-line block ×12, first 2 shown]
	ds_load_b64 v[204:205], v5 offset:816
	s_mov_b32 s0, exec_lo
	s_wait_dscnt 0xc
	v_dual_mov_b32 v206, v155 :: v_dual_mov_b32 v207, v154
	s_wait_dscnt 0x9
	v_dual_mov_b32 v208, v159 :: v_dual_mov_b32 v213, v166
	v_dual_mov_b32 v209, v158 :: v_dual_mov_b32 v210, v163
	;; [unrolled: 1-line block ×3, first 2 shown]
	s_wait_loadcnt_dscnt 0xd08
	v_dual_mul_f32 v9, v168, v105 :: v_dual_mul_f32 v39, v169, v105
	v_dual_mul_f32 v41, v171, v107 :: v_dual_mul_f32 v11, v170, v107
	s_wait_loadcnt_dscnt 0xc07
	v_mul_f32_e32 v13, v172, v109
	s_wait_loadcnt_dscnt 0xa05
	v_dual_mul_f32 v51, v181, v117 :: v_dual_fma_f32 v39, v168, v104, -v39
	v_dual_fmac_f32 v9, v169, v104 :: v_dual_mul_f32 v53, v183, v119
	v_dual_mul_f32 v43, v173, v109 :: v_dual_mul_f32 v45, v175, v111
	v_dual_fmac_f32 v11, v171, v106 :: v_dual_fma_f32 v41, v170, v106, -v41
	s_delay_alu instid0(VALU_DEP_3) | instskip(SKIP_4) | instid1(VALU_DEP_3)
	v_dual_add_f32 v9, 0, v9 :: v_dual_add_f32 v39, 0, v39
	v_dual_mul_f32 v15, v174, v111 :: v_dual_mul_f32 v17, v176, v113
	s_wait_loadcnt_dscnt 0x904
	v_dual_mul_f32 v55, v185, v121 :: v_dual_fma_f32 v43, v172, v108, -v43
	v_fmac_f32_e32 v13, v173, v108
	v_dual_add_f32 v9, v9, v11 :: v_dual_fmac_f32 v15, v175, v110
	v_add_f32_e32 v11, v39, v41
	v_dual_mul_f32 v47, v177, v113 :: v_dual_mul_f32 v49, v179, v115
	v_dual_mul_f32 v39, v187, v123 :: v_dual_fma_f32 v41, v174, v110, -v45
	s_delay_alu instid0(VALU_DEP_3) | instskip(SKIP_3) | instid1(VALU_DEP_3)
	v_dual_add_f32 v9, v9, v13 :: v_dual_add_f32 v11, v11, v43
	v_dual_mul_f32 v19, v178, v115 :: v_dual_mul_f32 v21, v180, v117
	s_wait_loadcnt_dscnt 0x803
	v_dual_mul_f32 v13, v189, v125 :: v_dual_fma_f32 v43, v176, v112, -v47
	v_dual_fmac_f32 v17, v177, v112 :: v_dual_add_f32 v11, v11, v41
	s_delay_alu instid0(VALU_DEP_3) | instskip(SKIP_1) | instid1(VALU_DEP_2)
	v_dual_add_f32 v9, v9, v15 :: v_dual_fmac_f32 v19, v179, v114
	v_dual_mul_f32 v15, v191, v127 :: v_dual_fma_f32 v41, v178, v114, -v49
	v_dual_add_f32 v11, v11, v43 :: v_dual_add_f32 v9, v9, v17
	v_dual_mul_f32 v23, v182, v119 :: v_dual_mul_f32 v25, v184, v121
	s_wait_loadcnt_dscnt 0x702
	v_dual_mul_f32 v17, v193, v129 :: v_dual_fma_f32 v43, v180, v116, -v51
	s_delay_alu instid0(VALU_DEP_3) | instskip(NEXT) | instid1(VALU_DEP_3)
	v_dual_fmac_f32 v21, v181, v116 :: v_dual_add_f32 v11, v11, v41
	v_dual_add_f32 v9, v9, v19 :: v_dual_fmac_f32 v23, v183, v118
	v_dual_mul_f32 v19, v195, v131 :: v_dual_fma_f32 v41, v182, v118, -v53
	s_delay_alu instid0(VALU_DEP_2) | instskip(SKIP_3) | instid1(VALU_DEP_3)
	v_dual_add_f32 v11, v11, v43 :: v_dual_add_f32 v9, v9, v21
	v_dual_mul_f32 v27, v186, v123 :: v_dual_mul_f32 v29, v188, v125
	s_wait_loadcnt_dscnt 0x601
	v_dual_mul_f32 v21, v197, v133 :: v_dual_fma_f32 v43, v184, v120, -v55
	v_dual_fmac_f32 v25, v185, v120 :: v_dual_add_f32 v11, v11, v41
	s_delay_alu instid0(VALU_DEP_3) | instskip(SKIP_1) | instid1(VALU_DEP_2)
	v_dual_add_f32 v9, v9, v23 :: v_dual_fmac_f32 v27, v187, v122
	v_dual_mul_f32 v23, v199, v135 :: v_dual_fma_f32 v39, v186, v122, -v39
	v_dual_add_f32 v11, v11, v43 :: v_dual_add_f32 v9, v9, v25
	v_dual_mul_f32 v31, v190, v127 :: v_dual_mul_f32 v33, v192, v129
	s_wait_loadcnt 0x5
	v_dual_mul_f32 v25, v153, v137 :: v_dual_fma_f32 v13, v188, v124, -v13
	s_delay_alu instid0(VALU_DEP_3) | instskip(SKIP_2) | instid1(VALU_DEP_3)
	v_dual_fmac_f32 v29, v189, v124 :: v_dual_add_f32 v11, v11, v39
	v_dual_add_f32 v9, v9, v27 :: v_dual_mov_b32 v104, v139
	v_fmac_f32_e32 v31, v191, v126
	v_dual_fma_f32 v15, v190, v126, -v15 :: v_dual_add_f32 v11, v11, v13
	s_delay_alu instid0(VALU_DEP_3) | instskip(SKIP_1) | instid1(VALU_DEP_3)
	v_dual_add_f32 v9, v9, v29 :: v_dual_mul_f32 v35, v194, v131
	v_dual_mul_f32 v37, v196, v133 :: v_dual_fmac_f32 v33, v193, v128
	v_dual_add_f32 v11, v11, v15 :: v_dual_fma_f32 v13, v192, v128, -v17
	s_wait_loadcnt 0x4
	s_delay_alu instid0(VALU_DEP_3) | instskip(SKIP_3) | instid1(VALU_DEP_4)
	v_dual_add_f32 v9, v9, v31 :: v_dual_mov_b32 v108, v143
	v_fma_f32 v15, v194, v130, -v19
	v_fmac_f32_e32 v35, v195, v130
	v_dual_add_f32 v11, v11, v13 :: v_dual_fmac_f32 v37, v197, v132
	v_dual_add_f32 v9, v9, v33 :: v_dual_mul_f32 v215, v198, v135
	v_mul_f32_e32 v217, v152, v137
	s_delay_alu instid0(VALU_DEP_3) | instskip(NEXT) | instid1(VALU_DEP_3)
	v_dual_fma_f32 v13, v196, v132, -v21 :: v_dual_add_f32 v11, v11, v15
	v_dual_fma_f32 v214, v198, v134, -v23 :: v_dual_add_f32 v9, v9, v35
	s_delay_alu instid0(VALU_DEP_4) | instskip(SKIP_1) | instid1(VALU_DEP_4)
	v_fmac_f32_e32 v215, v199, v134
	v_pk_mul_f32 v[104:105], v[206:207], v[104:105] op_sel_hi:[1,0]
	v_dual_add_f32 v112, v11, v13 :: v_dual_fmac_f32 v217, v153, v136
	s_delay_alu instid0(VALU_DEP_4)
	v_add_f32_e32 v113, v9, v37
	v_pk_mul_f32 v[106:107], v[156:157], v[140:141] op_sel:[1,1] op_sel_hi:[0,1]
	s_wait_loadcnt 0x3
	v_dual_mov_b32 v114, v147 :: v_dual_fma_f32 v216, v152, v136, -v25
	v_pk_fma_f32 v[116:117], v[154:155], v[138:139], v[104:105] op_sel_hi:[1,0,1]
	v_pk_add_f32 v[112:113], v[112:113], v[214:215]
	v_pk_fma_f32 v[104:105], v[154:155], v[138:139], v[104:105] neg_lo:[0,0,1] neg_hi:[0,0,1]
	v_pk_fma_f32 v[118:119], v[156:157], v[140:141], v[106:107] op_sel_hi:[1,0,1]
	v_pk_mul_f32 v[108:109], v[208:209], v[108:109] op_sel_hi:[1,0]
	v_mov_b32_e32 v105, v117
	v_pk_add_f32 v[112:113], v[112:113], v[216:217]
	v_pk_fma_f32 v[106:107], v[156:157], v[140:141], v[106:107] neg_lo:[0,0,1] neg_hi:[0,0,1]
	v_pk_mul_f32 v[110:111], v[160:161], v[144:145] op_sel:[1,1] op_sel_hi:[0,1]
	v_mov_b32_e32 v107, v119
	v_pk_fma_f32 v[118:119], v[158:159], v[142:143], v[108:109] op_sel_hi:[1,0,1]
	v_pk_add_f32 v[104:105], v[112:113], v[104:105]
	v_pk_fma_f32 v[108:109], v[158:159], v[142:143], v[108:109] neg_lo:[0,0,1] neg_hi:[0,0,1]
	v_pk_fma_f32 v[112:113], v[160:161], v[144:145], v[110:111] op_sel_hi:[1,0,1]
	v_pk_mul_f32 v[114:115], v[210:211], v[114:115] op_sel_hi:[1,0]
	v_mov_b32_e32 v109, v119
	v_pk_add_f32 v[104:105], v[104:105], v[106:107]
	v_pk_fma_f32 v[110:111], v[160:161], v[144:145], v[110:111] neg_lo:[0,0,1] neg_hi:[0,0,1]
	s_wait_loadcnt 0x2
	v_pk_mul_f32 v[116:117], v[164:165], v[148:149] op_sel:[1,1] op_sel_hi:[0,1]
	v_dual_mov_b32 v106, v151 :: v_dual_mov_b32 v111, v113
	v_pk_fma_f32 v[112:113], v[162:163], v[146:147], v[114:115] op_sel_hi:[1,0,1]
	v_pk_add_f32 v[104:105], v[104:105], v[108:109]
	v_pk_fma_f32 v[114:115], v[162:163], v[146:147], v[114:115] neg_lo:[0,0,1] neg_hi:[0,0,1]
	v_pk_fma_f32 v[108:109], v[164:165], v[148:149], v[116:117] op_sel_hi:[1,0,1]
	v_pk_mul_f32 v[106:107], v[212:213], v[106:107] op_sel_hi:[1,0]
	v_mov_b32_e32 v115, v113
	v_pk_add_f32 v[104:105], v[104:105], v[110:111]
	v_pk_fma_f32 v[110:111], v[164:165], v[148:149], v[116:117] neg_lo:[0,0,1] neg_hi:[0,0,1]
	v_mov_b32_e32 v111, v109
	v_pk_fma_f32 v[108:109], v[166:167], v[150:151], v[106:107] op_sel_hi:[1,0,1]
	s_wait_loadcnt_dscnt 0x100
	v_pk_mul_f32 v[112:113], v[204:205], v[200:201] op_sel:[1,1] op_sel_hi:[0,1]
	v_pk_add_f32 v[104:105], v[104:105], v[114:115]
	v_pk_fma_f32 v[106:107], v[166:167], v[150:151], v[106:107] neg_lo:[0,0,1] neg_hi:[0,0,1]
	v_mov_b32_e32 v107, v109
	s_delay_alu instid0(VALU_DEP_4) | instskip(NEXT) | instid1(VALU_DEP_4)
	v_pk_fma_f32 v[108:109], v[204:205], v[200:201], v[112:113] op_sel_hi:[1,0,1]
	v_pk_add_f32 v[104:105], v[104:105], v[110:111]
	v_pk_fma_f32 v[110:111], v[204:205], v[200:201], v[112:113] neg_lo:[0,0,1] neg_hi:[0,0,1]
	s_delay_alu instid0(VALU_DEP_3) | instskip(NEXT) | instid1(VALU_DEP_3)
	v_mov_b32_e32 v111, v109
	v_pk_add_f32 v[104:105], v[104:105], v[106:107]
	s_delay_alu instid0(VALU_DEP_1) | instskip(SKIP_1) | instid1(VALU_DEP_1)
	v_pk_add_f32 v[104:105], v[104:105], v[110:111]
	s_wait_loadcnt 0x0
	v_pk_add_f32 v[104:105], v[202:203], v[104:105] neg_lo:[0,1] neg_hi:[0,1]
	scratch_store_b64 off, v[104:105], off offset:200
	s_wait_xcnt 0x0
	v_cmpx_lt_u32_e32 24, v0
	s_cbranch_execz .LBB50_271
; %bb.270:
	scratch_load_b64 v[104:105], off, off offset:192
	v_mov_b64_e32 v[106:107], 0
	scratch_store_b64 off, v[106:107], off offset:192
	s_wait_loadcnt 0x0
	ds_store_b64 v1, v[104:105]
.LBB50_271:
	s_wait_xcnt 0x0
	s_or_b32 exec_lo, exec_lo, s0
	s_wait_storecnt_dscnt 0x0
	s_barrier_signal -1
	s_barrier_wait -1
	s_clause 0xd
	scratch_load_b128 v[104:107], off, off offset:200
	scratch_load_b128 v[108:111], off, off offset:216
	;; [unrolled: 1-line block ×13, first 2 shown]
	scratch_load_b64 v[208:209], off, off offset:192
	ds_load_2addr_b64 v[156:159], v5 offset0:95 offset1:96
	ds_load_2addr_b64 v[160:163], v5 offset0:97 offset1:98
	ds_load_2addr_b64 v[164:167], v5 offset0:99 offset1:100
	ds_load_2addr_b64 v[168:171], v5 offset0:101 offset1:102
	ds_load_2addr_b64 v[172:175], v5 offset0:77 offset1:78
	ds_load_2addr_b64 v[176:179], v5 offset0:79 offset1:80
	ds_load_2addr_b64 v[180:183], v5 offset0:81 offset1:82
	ds_load_2addr_b64 v[184:187], v5 offset0:83 offset1:84
	ds_load_2addr_b64 v[188:191], v5 offset0:93 offset1:94
	ds_load_2addr_b64 v[192:195], v5 offset0:85 offset1:86
	ds_load_2addr_b64 v[196:199], v5 offset0:87 offset1:88
	ds_load_2addr_b64 v[200:203], v5 offset0:89 offset1:90
	ds_load_2addr_b64 v[204:207], v5 offset0:91 offset1:92
	s_mov_b32 s0, exec_lo
	s_wait_dscnt 0xc
	v_dual_mov_b32 v210, v159 :: v_dual_mov_b32 v211, v158
	s_wait_dscnt 0xb
	v_dual_mov_b32 v212, v163 :: v_dual_mov_b32 v213, v162
	;; [unrolled: 2-line block ×4, first 2 shown]
	s_wait_loadcnt_dscnt 0xd08
	v_dual_mul_f32 v5, v172, v105 :: v_dual_mul_f32 v9, v174, v107
	v_dual_mul_f32 v39, v173, v105 :: v_dual_mul_f32 v41, v175, v107
	s_wait_loadcnt_dscnt 0xc07
	v_dual_mul_f32 v11, v176, v109 :: v_dual_mul_f32 v13, v178, v111
	s_delay_alu instid0(VALU_DEP_2) | instskip(SKIP_3) | instid1(VALU_DEP_3)
	v_dual_fmac_f32 v5, v173, v104 :: v_dual_fma_f32 v39, v172, v104, -v39
	v_dual_mul_f32 v43, v177, v109 :: v_dual_mul_f32 v45, v179, v111
	s_wait_loadcnt_dscnt 0xa05
	v_dual_mul_f32 v51, v185, v117 :: v_dual_fmac_f32 v9, v175, v106
	v_dual_fma_f32 v41, v174, v106, -v41 :: v_dual_add_f32 v5, 0, v5
	v_dual_add_f32 v39, 0, v39 :: v_dual_fmac_f32 v11, v177, v108
	v_dual_mul_f32 v53, v187, v119 :: v_dual_fma_f32 v43, v176, v108, -v43
	s_delay_alu instid0(VALU_DEP_3) | instskip(NEXT) | instid1(VALU_DEP_3)
	v_dual_add_f32 v5, v5, v9 :: v_dual_fmac_f32 v13, v179, v110
	v_dual_add_f32 v9, v39, v41 :: v_dual_fma_f32 v41, v178, v110, -v45
	v_dual_mul_f32 v15, v180, v113 :: v_dual_mul_f32 v17, v182, v115
	v_dual_mul_f32 v47, v181, v113 :: v_dual_mul_f32 v49, v183, v115
	s_delay_alu instid0(VALU_DEP_3) | instskip(NEXT) | instid1(VALU_DEP_3)
	v_add_f32_e32 v9, v9, v43
	v_dual_add_f32 v5, v5, v11 :: v_dual_fmac_f32 v17, v183, v114
	s_wait_loadcnt_dscnt 0x903
	s_delay_alu instid0(VALU_DEP_3) | instskip(NEXT) | instid1(VALU_DEP_3)
	v_dual_fma_f32 v43, v180, v112, -v47 :: v_dual_mul_f32 v39, v193, v121
	v_dual_mul_f32 v11, v195, v123 :: v_dual_add_f32 v9, v9, v41
	v_dual_fmac_f32 v15, v181, v112 :: v_dual_fma_f32 v41, v182, v114, -v49
	s_delay_alu instid0(VALU_DEP_3) | instskip(NEXT) | instid1(VALU_DEP_3)
	v_dual_add_f32 v5, v5, v13 :: v_dual_fma_f32 v39, v192, v120, -v39
	v_dual_add_f32 v9, v9, v43 :: v_dual_fma_f32 v43, v184, v116, -v51
	v_dual_mul_f32 v19, v184, v117 :: v_dual_mul_f32 v21, v186, v119
	s_wait_loadcnt_dscnt 0x802
	v_dual_mul_f32 v27, v196, v125 :: v_dual_mul_f32 v29, v198, v127
	s_delay_alu instid0(VALU_DEP_3) | instskip(SKIP_2) | instid1(VALU_DEP_3)
	v_dual_add_f32 v9, v9, v41 :: v_dual_fma_f32 v11, v194, v122, -v11
	v_dual_add_f32 v5, v5, v15 :: v_dual_fma_f32 v41, v186, v118, -v53
	v_dual_mul_f32 v23, v192, v121 :: v_dual_mul_f32 v25, v194, v123
	v_dual_add_f32 v9, v9, v43 :: v_dual_fmac_f32 v29, v199, v126
	v_fmac_f32_e32 v19, v185, v116
	s_delay_alu instid0(VALU_DEP_4)
	v_add_f32_e32 v5, v5, v17
	s_wait_loadcnt_dscnt 0x701
	v_mul_f32_e32 v17, v201, v129
	v_add_f32_e32 v9, v9, v41
	v_dual_mul_f32 v13, v197, v125 :: v_dual_fmac_f32 v21, v187, v118
	v_dual_fmac_f32 v25, v195, v122 :: v_dual_add_f32 v5, v5, v19
	s_wait_loadcnt 0x4
	s_delay_alu instid0(VALU_DEP_3) | instskip(SKIP_1) | instid1(VALU_DEP_3)
	v_dual_add_f32 v9, v9, v39 :: v_dual_mov_b32 v106, v143
	v_dual_mul_f32 v15, v199, v127 :: v_dual_fmac_f32 v23, v193, v120
	v_dual_fma_f32 v13, v196, v124, -v13 :: v_dual_add_f32 v5, v5, v21
	s_delay_alu instid0(VALU_DEP_3) | instskip(SKIP_3) | instid1(VALU_DEP_4)
	v_dual_add_f32 v9, v9, v11 :: v_dual_mul_f32 v31, v200, v129
	v_dual_mul_f32 v33, v202, v131 :: v_dual_mul_f32 v219, v188, v137
	v_mul_f32_e32 v221, v190, v139
	v_dual_mul_f32 v19, v203, v131 :: v_dual_fma_f32 v15, v198, v126, -v15
	v_dual_add_f32 v9, v9, v13 :: v_dual_mul_f32 v13, v191, v139
	s_wait_dscnt 0x0
	v_dual_add_f32 v5, v5, v23 :: v_dual_mul_f32 v35, v204, v133
	v_dual_mul_f32 v37, v206, v135 :: v_dual_mul_f32 v21, v205, v133
	v_fmac_f32_e32 v33, v203, v130
	v_dual_mul_f32 v23, v207, v135 :: v_dual_fmac_f32 v27, v197, v124
	s_delay_alu instid0(VALU_DEP_3)
	v_fmac_f32_e32 v37, v207, v134
	v_fma_f32 v17, v200, v128, -v17
	s_wait_loadcnt 0x3
	v_pk_mul_f32 v[108:109], v[160:161], v[144:145] op_sel:[1,1] op_sel_hi:[0,1]
	v_dual_fmac_f32 v221, v191, v138 :: v_dual_add_f32 v9, v9, v15
	v_dual_fma_f32 v15, v202, v130, -v19 :: v_dual_add_f32 v5, v5, v25
	v_dual_mul_f32 v11, v189, v137 :: v_dual_mov_b32 v110, v147
	v_pk_mul_f32 v[104:105], v[156:157], v[140:141] op_sel:[1,1] op_sel_hi:[0,1]
	v_pk_fma_f32 v[118:119], v[160:161], v[144:145], v[108:109] op_sel_hi:[1,0,1]
	v_dual_add_f32 v9, v9, v17 :: v_dual_fma_f32 v17, v204, v132, -v21
	s_delay_alu instid0(VALU_DEP_4) | instskip(SKIP_2) | instid1(VALU_DEP_3)
	v_dual_add_f32 v5, v5, v27 :: v_dual_fma_f32 v218, v188, v136, -v11
	v_dual_fmac_f32 v31, v201, v128 :: v_dual_fma_f32 v220, v190, v138, -v13
	v_pk_fma_f32 v[114:115], v[156:157], v[140:141], v[104:105] op_sel_hi:[1,0,1]
	v_add_f32_e32 v5, v5, v29
	v_pk_mul_f32 v[106:107], v[210:211], v[106:107] op_sel_hi:[1,0]
	v_pk_fma_f32 v[104:105], v[156:157], v[140:141], v[104:105] neg_lo:[0,0,1] neg_hi:[0,0,1]
	v_pk_mul_f32 v[110:111], v[212:213], v[110:111] op_sel_hi:[1,0]
	s_delay_alu instid0(VALU_DEP_4) | instskip(NEXT) | instid1(VALU_DEP_4)
	v_dual_mov_b32 v105, v115 :: v_dual_add_f32 v5, v5, v31
	v_pk_fma_f32 v[114:115], v[158:159], v[142:143], v[106:107] op_sel_hi:[1,0,1]
	v_pk_fma_f32 v[106:107], v[158:159], v[142:143], v[106:107] neg_lo:[0,0,1] neg_hi:[0,0,1]
	v_pk_fma_f32 v[108:109], v[160:161], v[144:145], v[108:109] neg_lo:[0,0,1] neg_hi:[0,0,1]
	s_delay_alu instid0(VALU_DEP_4) | instskip(NEXT) | instid1(VALU_DEP_4)
	v_dual_mov_b32 v109, v119 :: v_dual_add_f32 v5, v5, v33
	v_dual_add_f32 v9, v9, v15 :: v_dual_mov_b32 v107, v115
	v_pk_fma_f32 v[114:115], v[162:163], v[146:147], v[110:111] op_sel_hi:[1,0,1]
	v_fmac_f32_e32 v35, v205, v132
	v_pk_fma_f32 v[110:111], v[162:163], v[146:147], v[110:111] neg_lo:[0,0,1] neg_hi:[0,0,1]
	s_delay_alu instid0(VALU_DEP_4) | instskip(NEXT) | instid1(VALU_DEP_3)
	v_dual_fma_f32 v15, v206, v134, -v23 :: v_dual_add_f32 v9, v9, v17
	v_dual_mov_b32 v111, v115 :: v_dual_add_f32 v5, v5, v35
	v_fmac_f32_e32 v219, v189, v136
	s_wait_loadcnt 0x2
	v_pk_mul_f32 v[116:117], v[164:165], v[148:149] op_sel:[1,1] op_sel_hi:[0,1]
	v_add_f32_e32 v112, v9, v15
	v_add_f32_e32 v113, v5, v37
	s_delay_alu instid0(VALU_DEP_3) | instskip(NEXT) | instid1(VALU_DEP_2)
	v_pk_fma_f32 v[114:115], v[164:165], v[148:149], v[116:117] neg_lo:[0,0,1] neg_hi:[0,0,1]
	v_pk_add_f32 v[112:113], v[112:113], v[218:219]
	s_delay_alu instid0(VALU_DEP_1) | instskip(NEXT) | instid1(VALU_DEP_1)
	v_pk_add_f32 v[112:113], v[112:113], v[220:221]
	v_pk_add_f32 v[104:105], v[112:113], v[104:105]
	v_mov_b32_e32 v112, v151
	s_delay_alu instid0(VALU_DEP_2) | instskip(SKIP_1) | instid1(VALU_DEP_3)
	v_pk_add_f32 v[104:105], v[104:105], v[106:107]
	v_pk_fma_f32 v[106:107], v[164:165], v[148:149], v[116:117] op_sel_hi:[1,0,1]
	v_pk_mul_f32 v[112:113], v[214:215], v[112:113] op_sel_hi:[1,0]
	s_delay_alu instid0(VALU_DEP_3) | instskip(NEXT) | instid1(VALU_DEP_3)
	v_pk_add_f32 v[104:105], v[104:105], v[108:109]
	v_mov_b32_e32 v115, v107
	s_delay_alu instid0(VALU_DEP_3)
	v_pk_fma_f32 v[106:107], v[166:167], v[150:151], v[112:113] op_sel_hi:[1,0,1]
	s_wait_loadcnt 0x1
	v_pk_mul_f32 v[108:109], v[168:169], v[152:153] op_sel:[1,1] op_sel_hi:[0,1]
	v_mov_b32_e32 v106, v155
	v_pk_add_f32 v[104:105], v[104:105], v[110:111]
	v_pk_fma_f32 v[112:113], v[166:167], v[150:151], v[112:113] neg_lo:[0,0,1] neg_hi:[0,0,1]
	v_mov_b32_e32 v113, v107
	v_pk_fma_f32 v[110:111], v[168:169], v[152:153], v[108:109] op_sel_hi:[1,0,1]
	v_pk_mul_f32 v[106:107], v[216:217], v[106:107] op_sel_hi:[1,0]
	v_pk_add_f32 v[104:105], v[104:105], v[114:115]
	v_pk_fma_f32 v[108:109], v[168:169], v[152:153], v[108:109] neg_lo:[0,0,1] neg_hi:[0,0,1]
	s_delay_alu instid0(VALU_DEP_4) | instskip(NEXT) | instid1(VALU_DEP_4)
	v_mov_b32_e32 v109, v111
	v_pk_fma_f32 v[110:111], v[170:171], v[154:155], v[106:107] op_sel_hi:[1,0,1]
	s_delay_alu instid0(VALU_DEP_4) | instskip(SKIP_1) | instid1(VALU_DEP_3)
	v_pk_add_f32 v[104:105], v[104:105], v[112:113]
	v_pk_fma_f32 v[106:107], v[170:171], v[154:155], v[106:107] neg_lo:[0,0,1] neg_hi:[0,0,1]
	v_mov_b32_e32 v107, v111
	s_delay_alu instid0(VALU_DEP_3) | instskip(NEXT) | instid1(VALU_DEP_1)
	v_pk_add_f32 v[104:105], v[104:105], v[108:109]
	v_pk_add_f32 v[104:105], v[104:105], v[106:107]
	s_wait_loadcnt 0x0
	s_delay_alu instid0(VALU_DEP_1)
	v_pk_add_f32 v[104:105], v[208:209], v[104:105] neg_lo:[0,1] neg_hi:[0,1]
	scratch_store_b64 off, v[104:105], off offset:192
	s_wait_xcnt 0x0
	v_cmpx_lt_u32_e32 23, v0
	s_cbranch_execz .LBB50_273
; %bb.272:
	scratch_load_b64 v[104:105], off, off offset:184
	v_mov_b64_e32 v[106:107], 0
	scratch_store_b64 off, v[106:107], off offset:184
	s_wait_loadcnt 0x0
	ds_store_b64 v1, v[104:105]
.LBB50_273:
	s_wait_xcnt 0x0
	s_or_b32 exec_lo, exec_lo, s0
	s_wait_storecnt_dscnt 0x0
	s_barrier_signal -1
	s_barrier_wait -1
	s_clause 0xe
	scratch_load_b128 v[104:107], off, off offset:192
	scratch_load_b128 v[108:111], off, off offset:208
	;; [unrolled: 1-line block ×13, first 2 shown]
	scratch_load_b64 v[208:209], off, off offset:400
	scratch_load_b64 v[210:211], off, off offset:184
	v_mov_b32_e32 v5, 0
	ds_load_b128 v[156:159], v5 offset:752
	ds_load_b128 v[160:163], v5 offset:768
	;; [unrolled: 1-line block ×13, first 2 shown]
	ds_load_b64 v[212:213], v5 offset:816
	s_mov_b32 s0, exec_lo
	s_wait_dscnt 0xd
	v_dual_mov_b32 v214, v159 :: v_dual_mov_b32 v215, v158
	s_wait_dscnt 0xa
	v_dual_mov_b32 v216, v163 :: v_dual_mov_b32 v221, v170
	v_dual_mov_b32 v217, v162 :: v_dual_mov_b32 v218, v167
	v_dual_mov_b32 v219, v166 :: v_dual_mov_b32 v220, v171
	s_wait_loadcnt_dscnt 0xe09
	v_dual_mul_f32 v9, v172, v105 :: v_dual_mul_f32 v43, v173, v105
	v_dual_mul_f32 v45, v175, v107 :: v_dual_mul_f32 v11, v174, v107
	s_wait_loadcnt_dscnt 0xd08
	v_mul_f32_e32 v13, v176, v109
	s_wait_loadcnt_dscnt 0xb05
	v_dual_mul_f32 v55, v189, v117 :: v_dual_fma_f32 v43, v172, v104, -v43
	v_dual_fmac_f32 v9, v173, v104 :: v_dual_mul_f32 v57, v191, v119
	v_dual_mul_f32 v47, v177, v109 :: v_dual_mul_f32 v49, v179, v111
	v_dual_fmac_f32 v11, v175, v106 :: v_dual_fma_f32 v45, v174, v106, -v45
	s_delay_alu instid0(VALU_DEP_3) | instskip(SKIP_4) | instid1(VALU_DEP_3)
	v_dual_add_f32 v9, 0, v9 :: v_dual_add_f32 v43, 0, v43
	v_dual_mul_f32 v15, v178, v111 :: v_dual_mul_f32 v17, v180, v113
	s_wait_loadcnt_dscnt 0xa04
	v_dual_mul_f32 v59, v193, v121 :: v_dual_fma_f32 v47, v176, v108, -v47
	v_fmac_f32_e32 v13, v177, v108
	v_dual_add_f32 v9, v9, v11 :: v_dual_fmac_f32 v15, v179, v110
	v_add_f32_e32 v11, v43, v45
	v_dual_mul_f32 v51, v181, v113 :: v_dual_mul_f32 v53, v183, v115
	v_dual_mul_f32 v43, v195, v123 :: v_dual_fma_f32 v45, v178, v110, -v49
	s_delay_alu instid0(VALU_DEP_3) | instskip(SKIP_3) | instid1(VALU_DEP_3)
	v_dual_add_f32 v9, v9, v13 :: v_dual_add_f32 v11, v11, v47
	v_dual_mul_f32 v19, v182, v115 :: v_dual_mul_f32 v21, v188, v117
	s_wait_loadcnt_dscnt 0x903
	v_dual_mul_f32 v13, v197, v125 :: v_dual_fma_f32 v47, v180, v112, -v51
	v_dual_fmac_f32 v17, v181, v112 :: v_dual_add_f32 v11, v11, v45
	s_delay_alu instid0(VALU_DEP_3) | instskip(SKIP_1) | instid1(VALU_DEP_2)
	v_dual_add_f32 v9, v9, v15 :: v_dual_fmac_f32 v19, v183, v114
	v_dual_mul_f32 v15, v199, v127 :: v_dual_fma_f32 v45, v182, v114, -v53
	v_dual_add_f32 v11, v11, v47 :: v_dual_add_f32 v9, v9, v17
	v_dual_mul_f32 v23, v190, v119 :: v_dual_mul_f32 v25, v192, v121
	s_wait_loadcnt_dscnt 0x802
	v_dual_mul_f32 v17, v201, v129 :: v_dual_fma_f32 v47, v188, v116, -v55
	s_delay_alu instid0(VALU_DEP_3) | instskip(NEXT) | instid1(VALU_DEP_3)
	v_dual_fmac_f32 v21, v189, v116 :: v_dual_add_f32 v11, v11, v45
	v_dual_add_f32 v9, v9, v19 :: v_dual_fmac_f32 v23, v191, v118
	v_dual_mul_f32 v19, v203, v131 :: v_dual_fma_f32 v45, v190, v118, -v57
	s_delay_alu instid0(VALU_DEP_2) | instskip(SKIP_3) | instid1(VALU_DEP_3)
	v_dual_add_f32 v11, v11, v47 :: v_dual_add_f32 v9, v9, v21
	v_dual_mul_f32 v27, v194, v123 :: v_dual_mul_f32 v29, v196, v125
	s_wait_loadcnt_dscnt 0x701
	v_dual_mul_f32 v21, v205, v133 :: v_dual_fma_f32 v47, v192, v120, -v59
	v_dual_fmac_f32 v25, v193, v120 :: v_dual_add_f32 v11, v11, v45
	s_delay_alu instid0(VALU_DEP_3) | instskip(SKIP_1) | instid1(VALU_DEP_2)
	v_dual_add_f32 v9, v9, v23 :: v_dual_fmac_f32 v27, v195, v122
	v_dual_mul_f32 v23, v207, v135 :: v_dual_fma_f32 v43, v194, v122, -v43
	v_dual_add_f32 v11, v11, v47 :: v_dual_add_f32 v9, v9, v25
	v_dual_mul_f32 v31, v198, v127 :: v_dual_mul_f32 v33, v200, v129
	s_wait_loadcnt 0x6
	v_dual_mul_f32 v25, v185, v137 :: v_dual_fma_f32 v13, v196, v124, -v13
	s_delay_alu instid0(VALU_DEP_3) | instskip(NEXT) | instid1(VALU_DEP_3)
	v_dual_fmac_f32 v29, v197, v124 :: v_dual_add_f32 v11, v11, v43
	v_dual_add_f32 v9, v9, v27 :: v_dual_fmac_f32 v31, v199, v126
	v_dual_mul_f32 v27, v187, v139 :: v_dual_fma_f32 v15, v198, v126, -v15
	s_delay_alu instid0(VALU_DEP_3) | instskip(NEXT) | instid1(VALU_DEP_3)
	v_dual_add_f32 v11, v11, v13 :: v_dual_fmac_f32 v33, v201, v128
	v_dual_add_f32 v9, v9, v29 :: v_dual_fma_f32 v17, v200, v128, -v17
	v_dual_mul_f32 v35, v202, v131 :: v_dual_mul_f32 v37, v204, v133
	s_wait_loadcnt 0x5
	s_delay_alu instid0(VALU_DEP_3) | instskip(NEXT) | instid1(VALU_DEP_3)
	v_dual_mul_f32 v13, v157, v141 :: v_dual_add_f32 v11, v11, v15
	v_dual_add_f32 v9, v9, v31 :: v_dual_mov_b32 v104, v143
	s_delay_alu instid0(VALU_DEP_3) | instskip(NEXT) | instid1(VALU_DEP_3)
	v_fmac_f32_e32 v35, v203, v130
	v_dual_fma_f32 v15, v202, v130, -v19 :: v_dual_add_f32 v11, v11, v17
	s_delay_alu instid0(VALU_DEP_3) | instskip(SKIP_1) | instid1(VALU_DEP_3)
	v_dual_add_f32 v9, v9, v33 :: v_dual_mul_f32 v39, v206, v135
	v_dual_mul_f32 v41, v184, v137 :: v_dual_fmac_f32 v37, v205, v132
	v_dual_add_f32 v11, v11, v15 :: v_dual_fma_f32 v17, v204, v132, -v21
	s_wait_loadcnt 0x4
	s_delay_alu instid0(VALU_DEP_3) | instskip(SKIP_3) | instid1(VALU_DEP_4)
	v_dual_add_f32 v9, v9, v35 :: v_dual_mov_b32 v108, v147
	v_fma_f32 v15, v206, v134, -v23
	v_fmac_f32_e32 v39, v207, v134
	v_dual_add_f32 v11, v11, v17 :: v_dual_fmac_f32 v41, v185, v136
	v_dual_add_f32 v9, v9, v37 :: v_dual_mul_f32 v223, v186, v139
	v_mul_f32_e32 v225, v156, v141
	s_delay_alu instid0(VALU_DEP_3) | instskip(NEXT) | instid1(VALU_DEP_3)
	v_dual_fma_f32 v17, v184, v136, -v25 :: v_dual_add_f32 v11, v11, v15
	v_dual_fma_f32 v222, v186, v138, -v27 :: v_dual_add_f32 v9, v9, v39
	s_delay_alu instid0(VALU_DEP_4) | instskip(SKIP_1) | instid1(VALU_DEP_4)
	v_fmac_f32_e32 v223, v187, v138
	v_pk_mul_f32 v[104:105], v[214:215], v[104:105] op_sel_hi:[1,0]
	v_dual_add_f32 v112, v11, v17 :: v_dual_fmac_f32 v225, v157, v140
	s_delay_alu instid0(VALU_DEP_4)
	v_add_f32_e32 v113, v9, v41
	v_pk_mul_f32 v[106:107], v[160:161], v[144:145] op_sel:[1,1] op_sel_hi:[0,1]
	s_wait_loadcnt 0x3
	v_dual_mov_b32 v114, v151 :: v_dual_fma_f32 v224, v156, v140, -v13
	v_pk_fma_f32 v[116:117], v[158:159], v[142:143], v[104:105] op_sel_hi:[1,0,1]
	v_pk_add_f32 v[112:113], v[112:113], v[222:223]
	v_pk_fma_f32 v[104:105], v[158:159], v[142:143], v[104:105] neg_lo:[0,0,1] neg_hi:[0,0,1]
	v_pk_fma_f32 v[118:119], v[160:161], v[144:145], v[106:107] op_sel_hi:[1,0,1]
	v_pk_mul_f32 v[108:109], v[216:217], v[108:109] op_sel_hi:[1,0]
	v_mov_b32_e32 v105, v117
	v_pk_add_f32 v[112:113], v[112:113], v[224:225]
	v_pk_fma_f32 v[106:107], v[160:161], v[144:145], v[106:107] neg_lo:[0,0,1] neg_hi:[0,0,1]
	v_pk_mul_f32 v[110:111], v[164:165], v[148:149] op_sel:[1,1] op_sel_hi:[0,1]
	v_mov_b32_e32 v107, v119
	v_pk_fma_f32 v[118:119], v[162:163], v[146:147], v[108:109] op_sel_hi:[1,0,1]
	v_pk_add_f32 v[104:105], v[112:113], v[104:105]
	v_pk_fma_f32 v[108:109], v[162:163], v[146:147], v[108:109] neg_lo:[0,0,1] neg_hi:[0,0,1]
	v_pk_fma_f32 v[112:113], v[164:165], v[148:149], v[110:111] op_sel_hi:[1,0,1]
	v_pk_mul_f32 v[114:115], v[218:219], v[114:115] op_sel_hi:[1,0]
	v_mov_b32_e32 v109, v119
	v_pk_add_f32 v[104:105], v[104:105], v[106:107]
	v_pk_fma_f32 v[110:111], v[164:165], v[148:149], v[110:111] neg_lo:[0,0,1] neg_hi:[0,0,1]
	s_wait_loadcnt 0x2
	v_pk_mul_f32 v[116:117], v[168:169], v[152:153] op_sel:[1,1] op_sel_hi:[0,1]
	v_dual_mov_b32 v106, v155 :: v_dual_mov_b32 v111, v113
	v_pk_fma_f32 v[112:113], v[166:167], v[150:151], v[114:115] op_sel_hi:[1,0,1]
	v_pk_add_f32 v[104:105], v[104:105], v[108:109]
	v_pk_fma_f32 v[114:115], v[166:167], v[150:151], v[114:115] neg_lo:[0,0,1] neg_hi:[0,0,1]
	v_pk_fma_f32 v[108:109], v[168:169], v[152:153], v[116:117] op_sel_hi:[1,0,1]
	v_pk_mul_f32 v[106:107], v[220:221], v[106:107] op_sel_hi:[1,0]
	v_mov_b32_e32 v115, v113
	v_pk_add_f32 v[104:105], v[104:105], v[110:111]
	v_pk_fma_f32 v[110:111], v[168:169], v[152:153], v[116:117] neg_lo:[0,0,1] neg_hi:[0,0,1]
	v_mov_b32_e32 v111, v109
	v_pk_fma_f32 v[108:109], v[170:171], v[154:155], v[106:107] op_sel_hi:[1,0,1]
	s_wait_loadcnt_dscnt 0x100
	v_pk_mul_f32 v[112:113], v[212:213], v[208:209] op_sel:[1,1] op_sel_hi:[0,1]
	v_pk_add_f32 v[104:105], v[104:105], v[114:115]
	v_pk_fma_f32 v[106:107], v[170:171], v[154:155], v[106:107] neg_lo:[0,0,1] neg_hi:[0,0,1]
	v_mov_b32_e32 v107, v109
	s_delay_alu instid0(VALU_DEP_4) | instskip(NEXT) | instid1(VALU_DEP_4)
	v_pk_fma_f32 v[108:109], v[212:213], v[208:209], v[112:113] op_sel_hi:[1,0,1]
	v_pk_add_f32 v[104:105], v[104:105], v[110:111]
	v_pk_fma_f32 v[110:111], v[212:213], v[208:209], v[112:113] neg_lo:[0,0,1] neg_hi:[0,0,1]
	s_delay_alu instid0(VALU_DEP_3) | instskip(NEXT) | instid1(VALU_DEP_3)
	v_mov_b32_e32 v111, v109
	v_pk_add_f32 v[104:105], v[104:105], v[106:107]
	s_delay_alu instid0(VALU_DEP_1) | instskip(SKIP_1) | instid1(VALU_DEP_1)
	v_pk_add_f32 v[104:105], v[104:105], v[110:111]
	s_wait_loadcnt 0x0
	v_pk_add_f32 v[104:105], v[210:211], v[104:105] neg_lo:[0,1] neg_hi:[0,1]
	scratch_store_b64 off, v[104:105], off offset:184
	s_wait_xcnt 0x0
	v_cmpx_lt_u32_e32 22, v0
	s_cbranch_execz .LBB50_275
; %bb.274:
	scratch_load_b64 v[104:105], off, off offset:176
	v_mov_b64_e32 v[106:107], 0
	scratch_store_b64 off, v[106:107], off offset:176
	s_wait_loadcnt 0x0
	ds_store_b64 v1, v[104:105]
.LBB50_275:
	s_wait_xcnt 0x0
	s_or_b32 exec_lo, exec_lo, s0
	s_wait_storecnt_dscnt 0x0
	s_barrier_signal -1
	s_barrier_wait -1
	s_clause 0xe
	scratch_load_b128 v[104:107], off, off offset:184
	scratch_load_b128 v[108:111], off, off offset:200
	;; [unrolled: 1-line block ×14, first 2 shown]
	scratch_load_b64 v[216:217], off, off offset:176
	ds_load_2addr_b64 v[160:163], v5 offset0:95 offset1:96
	ds_load_2addr_b64 v[164:167], v5 offset0:97 offset1:98
	ds_load_2addr_b64 v[168:171], v5 offset0:99 offset1:100
	ds_load_2addr_b64 v[172:175], v5 offset0:101 offset1:102
	ds_load_2addr_b64 v[176:179], v5 offset0:75 offset1:76
	ds_load_2addr_b64 v[180:183], v5 offset0:77 offset1:78
	ds_load_2addr_b64 v[184:187], v5 offset0:79 offset1:80
	ds_load_2addr_b64 v[188:191], v5 offset0:81 offset1:82
	ds_load_2addr_b64 v[192:195], v5 offset0:83 offset1:84
	ds_load_2addr_b64 v[196:199], v5 offset0:85 offset1:86
	ds_load_2addr_b64 v[200:203], v5 offset0:87 offset1:88
	ds_load_2addr_b64 v[204:207], v5 offset0:89 offset1:90
	ds_load_2addr_b64 v[208:211], v5 offset0:91 offset1:92
	ds_load_2addr_b64 v[212:215], v5 offset0:93 offset1:94
	s_mov_b32 s0, exec_lo
	s_wait_dscnt 0xd
	v_dual_mov_b32 v218, v163 :: v_dual_mov_b32 v219, v162
	s_wait_dscnt 0xc
	v_dual_mov_b32 v220, v167 :: v_dual_mov_b32 v221, v166
	;; [unrolled: 2-line block ×4, first 2 shown]
	s_wait_loadcnt_dscnt 0xe09
	v_dual_mul_f32 v5, v176, v105 :: v_dual_mul_f32 v9, v178, v107
	v_dual_mul_f32 v43, v177, v105 :: v_dual_mul_f32 v45, v179, v107
	s_wait_loadcnt_dscnt 0xd08
	v_dual_mul_f32 v11, v180, v109 :: v_dual_mul_f32 v13, v182, v111
	s_delay_alu instid0(VALU_DEP_2) | instskip(SKIP_3) | instid1(VALU_DEP_3)
	v_dual_fmac_f32 v5, v177, v104 :: v_dual_fma_f32 v43, v176, v104, -v43
	v_dual_mul_f32 v47, v181, v109 :: v_dual_mul_f32 v49, v183, v111
	s_wait_loadcnt_dscnt 0xb06
	v_dual_mul_f32 v55, v189, v117 :: v_dual_fmac_f32 v9, v179, v106
	v_dual_fma_f32 v45, v178, v106, -v45 :: v_dual_add_f32 v5, 0, v5
	v_dual_add_f32 v43, 0, v43 :: v_dual_fmac_f32 v11, v181, v108
	v_dual_mul_f32 v57, v191, v119 :: v_dual_fma_f32 v47, v180, v108, -v47
	s_delay_alu instid0(VALU_DEP_3) | instskip(NEXT) | instid1(VALU_DEP_3)
	v_dual_add_f32 v5, v5, v9 :: v_dual_fmac_f32 v13, v183, v110
	v_dual_add_f32 v9, v43, v45 :: v_dual_fma_f32 v45, v182, v110, -v49
	v_dual_mul_f32 v15, v184, v113 :: v_dual_mul_f32 v17, v186, v115
	v_dual_mul_f32 v51, v185, v113 :: v_dual_mul_f32 v53, v187, v115
	s_delay_alu instid0(VALU_DEP_3) | instskip(NEXT) | instid1(VALU_DEP_3)
	v_add_f32_e32 v9, v9, v47
	v_dual_add_f32 v5, v5, v11 :: v_dual_fmac_f32 v17, v187, v114
	s_wait_loadcnt_dscnt 0xa05
	s_delay_alu instid0(VALU_DEP_3) | instskip(NEXT) | instid1(VALU_DEP_3)
	v_dual_fma_f32 v47, v184, v112, -v51 :: v_dual_mul_f32 v43, v193, v121
	v_dual_mul_f32 v11, v195, v123 :: v_dual_add_f32 v9, v9, v45
	v_dual_fmac_f32 v15, v185, v112 :: v_dual_fma_f32 v45, v186, v114, -v53
	v_add_f32_e32 v5, v5, v13
	v_dual_mul_f32 v19, v188, v117 :: v_dual_mul_f32 v21, v190, v119
	s_delay_alu instid0(VALU_DEP_4) | instskip(NEXT) | instid1(VALU_DEP_3)
	v_dual_add_f32 v9, v9, v47 :: v_dual_fma_f32 v43, v192, v120, -v43
	v_dual_add_f32 v5, v5, v15 :: v_dual_fma_f32 v47, v188, v116, -v55
	v_dual_mul_f32 v23, v192, v121 :: v_dual_mul_f32 v25, v194, v123
	s_delay_alu instid0(VALU_DEP_3) | instskip(SKIP_2) | instid1(VALU_DEP_3)
	v_dual_add_f32 v9, v9, v45 :: v_dual_fma_f32 v11, v194, v122, -v11
	s_wait_loadcnt_dscnt 0x904
	v_dual_mul_f32 v27, v196, v125 :: v_dual_mul_f32 v29, v198, v127
	v_dual_fmac_f32 v19, v189, v116 :: v_dual_fmac_f32 v25, v195, v122
	v_dual_fma_f32 v45, v190, v118, -v57 :: v_dual_add_f32 v5, v5, v17
	s_delay_alu instid0(VALU_DEP_3)
	v_dual_add_f32 v9, v9, v47 :: v_dual_fmac_f32 v29, v199, v126
	s_wait_loadcnt_dscnt 0x803
	v_dual_mul_f32 v31, v200, v129 :: v_dual_mul_f32 v33, v202, v131
	v_dual_mul_f32 v13, v197, v125 :: v_dual_fmac_f32 v21, v191, v118
	v_mul_f32_e32 v17, v201, v129
	v_add_f32_e32 v5, v5, v19
	v_dual_add_f32 v9, v9, v45 :: v_dual_mul_f32 v15, v199, v127
	s_delay_alu instid0(VALU_DEP_4) | instskip(NEXT) | instid1(VALU_DEP_3)
	v_fma_f32 v13, v196, v124, -v13
	v_dual_fmac_f32 v33, v203, v130 :: v_dual_add_f32 v5, v5, v21
	s_wait_loadcnt_dscnt 0x702
	v_mul_f32_e32 v21, v205, v133
	v_add_f32_e32 v9, v9, v43
	s_wait_loadcnt_dscnt 0x601
	v_dual_fmac_f32 v23, v193, v120 :: v_dual_mul_f32 v39, v208, v137
	s_delay_alu instid0(VALU_DEP_3) | instskip(NEXT) | instid1(VALU_DEP_3)
	v_dual_mul_f32 v41, v210, v139 :: v_dual_fma_f32 v21, v204, v132, -v21
	v_add_f32_e32 v9, v9, v11
	v_dual_mul_f32 v19, v203, v131 :: v_dual_fma_f32 v15, v198, v126, -v15
	v_dual_mul_f32 v35, v204, v133 :: v_dual_mul_f32 v37, v206, v135
	s_delay_alu instid0(VALU_DEP_3) | instskip(SKIP_1) | instid1(VALU_DEP_4)
	v_dual_add_f32 v9, v9, v13 :: v_dual_fmac_f32 v41, v211, v138
	v_mul_f32_e32 v13, v211, v139
	v_dual_add_f32 v5, v5, v23 :: v_dual_fma_f32 v19, v202, v130, -v19
	s_wait_loadcnt_dscnt 0x500
	v_dual_mul_f32 v227, v212, v141 :: v_dual_mul_f32 v229, v214, v143
	v_dual_mul_f32 v23, v207, v135 :: v_dual_fmac_f32 v27, v197, v124
	s_delay_alu instid0(VALU_DEP_3) | instskip(SKIP_1) | instid1(VALU_DEP_4)
	v_dual_add_f32 v5, v5, v25 :: v_dual_fmac_f32 v37, v207, v134
	v_dual_fma_f32 v17, v200, v128, -v17 :: v_dual_add_f32 v9, v9, v15
	v_dual_mul_f32 v15, v213, v141 :: v_dual_fmac_f32 v227, v213, v140
	s_wait_loadcnt 0x4
	v_dual_mul_f32 v11, v209, v137 :: v_dual_mov_b32 v106, v147
	v_dual_fmac_f32 v31, v201, v128 :: v_dual_fma_f32 v13, v210, v138, -v13
	s_delay_alu instid0(VALU_DEP_3) | instskip(SKIP_1) | instid1(VALU_DEP_4)
	v_dual_fma_f32 v226, v212, v140, -v15 :: v_dual_add_f32 v9, v9, v17
	v_mul_f32_e32 v17, v215, v143
	v_dual_add_f32 v5, v5, v27 :: v_dual_fma_f32 v11, v208, v136, -v11
	v_pk_mul_f32 v[104:105], v[160:161], v[144:145] op_sel:[1,1] op_sel_hi:[0,1]
	s_wait_loadcnt 0x3
	v_mov_b32_e32 v110, v151
	v_pk_mul_f32 v[106:107], v[218:219], v[106:107] op_sel_hi:[1,0]
	v_add_f32_e32 v5, v5, v29
	v_pk_mul_f32 v[108:109], v[164:165], v[148:149] op_sel:[1,1] op_sel_hi:[0,1]
	v_pk_fma_f32 v[114:115], v[160:161], v[144:145], v[104:105] op_sel_hi:[1,0,1]
	v_pk_fma_f32 v[104:105], v[160:161], v[144:145], v[104:105] neg_lo:[0,0,1] neg_hi:[0,0,1]
	v_fmac_f32_e32 v35, v205, v132
	v_dual_add_f32 v5, v5, v31 :: v_dual_fmac_f32 v229, v215, v142
	v_dual_fma_f32 v228, v214, v142, -v17 :: v_dual_add_f32 v9, v9, v19
	v_mov_b32_e32 v105, v115
	v_pk_fma_f32 v[114:115], v[162:163], v[146:147], v[106:107] op_sel_hi:[1,0,1]
	s_delay_alu instid0(VALU_DEP_4)
	v_add_f32_e32 v5, v5, v33
	v_pk_mul_f32 v[110:111], v[220:221], v[110:111] op_sel_hi:[1,0]
	v_pk_fma_f32 v[106:107], v[162:163], v[146:147], v[106:107] neg_lo:[0,0,1] neg_hi:[0,0,1]
	v_fma_f32 v19, v206, v134, -v23
	v_pk_fma_f32 v[118:119], v[164:165], v[148:149], v[108:109] op_sel_hi:[1,0,1]
	v_dual_mov_b32 v107, v115 :: v_dual_add_f32 v5, v5, v35
	v_pk_fma_f32 v[114:115], v[166:167], v[150:151], v[110:111] op_sel_hi:[1,0,1]
	v_add_f32_e32 v9, v9, v21
	v_pk_fma_f32 v[108:109], v[164:165], v[148:149], v[108:109] neg_lo:[0,0,1] neg_hi:[0,0,1]
	v_pk_fma_f32 v[110:111], v[166:167], v[150:151], v[110:111] neg_lo:[0,0,1] neg_hi:[0,0,1]
	v_dual_fmac_f32 v39, v209, v136 :: v_dual_mov_b32 v109, v119
	v_dual_add_f32 v5, v5, v37 :: v_dual_mov_b32 v111, v115
	v_add_f32_e32 v9, v9, v19
	s_wait_loadcnt 0x2
	v_pk_mul_f32 v[116:117], v[168:169], v[152:153] op_sel:[1,1] op_sel_hi:[0,1]
	s_delay_alu instid0(VALU_DEP_3) | instskip(NEXT) | instid1(VALU_DEP_3)
	v_add_f32_e32 v5, v5, v39
	v_add_f32_e32 v9, v9, v11
	s_delay_alu instid0(VALU_DEP_3) | instskip(NEXT) | instid1(VALU_DEP_3)
	v_pk_fma_f32 v[114:115], v[168:169], v[152:153], v[116:117] neg_lo:[0,0,1] neg_hi:[0,0,1]
	v_add_f32_e32 v113, v5, v41
	s_delay_alu instid0(VALU_DEP_3) | instskip(NEXT) | instid1(VALU_DEP_1)
	v_add_f32_e32 v112, v9, v13
	v_pk_add_f32 v[112:113], v[112:113], v[226:227]
	s_delay_alu instid0(VALU_DEP_1) | instskip(NEXT) | instid1(VALU_DEP_1)
	v_pk_add_f32 v[112:113], v[112:113], v[228:229]
	v_pk_add_f32 v[104:105], v[112:113], v[104:105]
	v_mov_b32_e32 v112, v155
	s_delay_alu instid0(VALU_DEP_2) | instskip(SKIP_1) | instid1(VALU_DEP_3)
	v_pk_add_f32 v[104:105], v[104:105], v[106:107]
	v_pk_fma_f32 v[106:107], v[168:169], v[152:153], v[116:117] op_sel_hi:[1,0,1]
	v_pk_mul_f32 v[112:113], v[222:223], v[112:113] op_sel_hi:[1,0]
	s_delay_alu instid0(VALU_DEP_3) | instskip(NEXT) | instid1(VALU_DEP_3)
	v_pk_add_f32 v[104:105], v[104:105], v[108:109]
	v_mov_b32_e32 v115, v107
	s_delay_alu instid0(VALU_DEP_3)
	v_pk_fma_f32 v[106:107], v[170:171], v[154:155], v[112:113] op_sel_hi:[1,0,1]
	s_wait_loadcnt 0x1
	v_pk_mul_f32 v[108:109], v[172:173], v[156:157] op_sel:[1,1] op_sel_hi:[0,1]
	v_mov_b32_e32 v106, v159
	v_pk_add_f32 v[104:105], v[104:105], v[110:111]
	v_pk_fma_f32 v[112:113], v[170:171], v[154:155], v[112:113] neg_lo:[0,0,1] neg_hi:[0,0,1]
	v_mov_b32_e32 v113, v107
	v_pk_fma_f32 v[110:111], v[172:173], v[156:157], v[108:109] op_sel_hi:[1,0,1]
	v_pk_mul_f32 v[106:107], v[224:225], v[106:107] op_sel_hi:[1,0]
	v_pk_add_f32 v[104:105], v[104:105], v[114:115]
	v_pk_fma_f32 v[108:109], v[172:173], v[156:157], v[108:109] neg_lo:[0,0,1] neg_hi:[0,0,1]
	s_delay_alu instid0(VALU_DEP_4) | instskip(NEXT) | instid1(VALU_DEP_4)
	v_mov_b32_e32 v109, v111
	v_pk_fma_f32 v[110:111], v[174:175], v[158:159], v[106:107] op_sel_hi:[1,0,1]
	s_delay_alu instid0(VALU_DEP_4) | instskip(SKIP_1) | instid1(VALU_DEP_3)
	v_pk_add_f32 v[104:105], v[104:105], v[112:113]
	v_pk_fma_f32 v[106:107], v[174:175], v[158:159], v[106:107] neg_lo:[0,0,1] neg_hi:[0,0,1]
	v_mov_b32_e32 v107, v111
	s_delay_alu instid0(VALU_DEP_3) | instskip(NEXT) | instid1(VALU_DEP_1)
	v_pk_add_f32 v[104:105], v[104:105], v[108:109]
	v_pk_add_f32 v[104:105], v[104:105], v[106:107]
	s_wait_loadcnt 0x0
	s_delay_alu instid0(VALU_DEP_1)
	v_pk_add_f32 v[104:105], v[216:217], v[104:105] neg_lo:[0,1] neg_hi:[0,1]
	scratch_store_b64 off, v[104:105], off offset:176
	s_wait_xcnt 0x0
	v_cmpx_lt_u32_e32 21, v0
	s_cbranch_execz .LBB50_277
; %bb.276:
	scratch_load_b64 v[104:105], off, off offset:168
	v_mov_b64_e32 v[106:107], 0
	scratch_store_b64 off, v[106:107], off offset:168
	s_wait_loadcnt 0x0
	ds_store_b64 v1, v[104:105]
.LBB50_277:
	s_wait_xcnt 0x0
	s_or_b32 exec_lo, exec_lo, s0
	s_wait_storecnt_dscnt 0x0
	s_barrier_signal -1
	s_barrier_wait -1
	s_clause 0xf
	scratch_load_b128 v[104:107], off, off offset:176
	scratch_load_b128 v[108:111], off, off offset:192
	;; [unrolled: 1-line block ×14, first 2 shown]
	scratch_load_b64 v[216:217], off, off offset:400
	scratch_load_b64 v[218:219], off, off offset:168
	v_mov_b32_e32 v5, 0
	ds_load_b128 v[160:163], v5 offset:752
	ds_load_b128 v[164:167], v5 offset:768
	;; [unrolled: 1-line block ×14, first 2 shown]
	ds_load_b64 v[220:221], v5 offset:816
	s_mov_b32 s0, exec_lo
	s_wait_dscnt 0xe
	v_dual_mov_b32 v222, v163 :: v_dual_mov_b32 v223, v162
	s_wait_dscnt 0xb
	v_dual_mov_b32 v224, v167 :: v_dual_mov_b32 v229, v174
	v_dual_mov_b32 v225, v166 :: v_dual_mov_b32 v226, v171
	;; [unrolled: 1-line block ×3, first 2 shown]
	s_wait_loadcnt_dscnt 0xf0a
	v_dual_mul_f32 v9, v176, v105 :: v_dual_mul_f32 v47, v177, v105
	v_dual_mul_f32 v49, v179, v107 :: v_dual_mul_f32 v11, v178, v107
	s_wait_loadcnt_dscnt 0xe09
	v_mul_f32_e32 v13, v180, v109
	s_wait_loadcnt_dscnt 0xc07
	v_dual_mul_f32 v59, v189, v117 :: v_dual_fma_f32 v47, v176, v104, -v47
	v_dual_fmac_f32 v9, v177, v104 :: v_dual_mul_f32 v61, v191, v119
	v_dual_mul_f32 v51, v181, v109 :: v_dual_mul_f32 v53, v183, v111
	v_dual_fmac_f32 v11, v179, v106 :: v_dual_fma_f32 v49, v178, v106, -v49
	s_delay_alu instid0(VALU_DEP_3) | instskip(SKIP_4) | instid1(VALU_DEP_3)
	v_dual_add_f32 v9, 0, v9 :: v_dual_add_f32 v47, 0, v47
	v_dual_mul_f32 v15, v182, v111 :: v_dual_mul_f32 v17, v184, v113
	s_wait_loadcnt_dscnt 0xb06
	v_dual_mul_f32 v63, v193, v121 :: v_dual_fma_f32 v51, v180, v108, -v51
	v_fmac_f32_e32 v13, v181, v108
	v_dual_add_f32 v9, v9, v11 :: v_dual_fmac_f32 v15, v183, v110
	v_add_f32_e32 v11, v47, v49
	v_dual_mul_f32 v55, v185, v113 :: v_dual_mul_f32 v57, v187, v115
	v_dual_mul_f32 v47, v195, v123 :: v_dual_fma_f32 v49, v182, v110, -v53
	s_delay_alu instid0(VALU_DEP_3) | instskip(SKIP_3) | instid1(VALU_DEP_3)
	v_dual_add_f32 v9, v9, v13 :: v_dual_add_f32 v11, v11, v51
	v_dual_mul_f32 v19, v186, v115 :: v_dual_mul_f32 v21, v188, v117
	s_wait_loadcnt_dscnt 0xa05
	v_dual_mul_f32 v13, v197, v125 :: v_dual_fma_f32 v51, v184, v112, -v55
	v_dual_fmac_f32 v17, v185, v112 :: v_dual_add_f32 v11, v11, v49
	s_delay_alu instid0(VALU_DEP_3) | instskip(SKIP_1) | instid1(VALU_DEP_2)
	v_dual_add_f32 v9, v9, v15 :: v_dual_fmac_f32 v19, v187, v114
	v_dual_mul_f32 v15, v199, v127 :: v_dual_fma_f32 v49, v186, v114, -v57
	v_dual_add_f32 v11, v11, v51 :: v_dual_add_f32 v9, v9, v17
	v_dual_mul_f32 v23, v190, v119 :: v_dual_mul_f32 v25, v192, v121
	s_wait_loadcnt_dscnt 0x904
	v_dual_mul_f32 v17, v201, v129 :: v_dual_fma_f32 v51, v188, v116, -v59
	s_delay_alu instid0(VALU_DEP_3) | instskip(NEXT) | instid1(VALU_DEP_3)
	v_dual_fmac_f32 v21, v189, v116 :: v_dual_add_f32 v11, v11, v49
	v_dual_add_f32 v9, v9, v19 :: v_dual_fmac_f32 v23, v191, v118
	v_dual_mul_f32 v19, v203, v131 :: v_dual_fma_f32 v49, v190, v118, -v61
	s_delay_alu instid0(VALU_DEP_2) | instskip(SKIP_3) | instid1(VALU_DEP_3)
	v_dual_add_f32 v11, v11, v51 :: v_dual_add_f32 v9, v9, v21
	v_dual_mul_f32 v27, v194, v123 :: v_dual_mul_f32 v29, v196, v125
	s_wait_loadcnt_dscnt 0x803
	v_dual_mul_f32 v21, v205, v133 :: v_dual_fma_f32 v51, v192, v120, -v63
	v_dual_fmac_f32 v25, v193, v120 :: v_dual_add_f32 v11, v11, v49
	s_delay_alu instid0(VALU_DEP_3) | instskip(SKIP_1) | instid1(VALU_DEP_2)
	v_dual_add_f32 v9, v9, v23 :: v_dual_fmac_f32 v27, v195, v122
	v_dual_mul_f32 v23, v207, v135 :: v_dual_fma_f32 v47, v194, v122, -v47
	v_dual_add_f32 v11, v11, v51 :: v_dual_add_f32 v9, v9, v25
	v_dual_mul_f32 v31, v198, v127 :: v_dual_mul_f32 v33, v200, v129
	s_wait_loadcnt_dscnt 0x702
	v_dual_mul_f32 v25, v209, v137 :: v_dual_fma_f32 v13, v196, v124, -v13
	s_delay_alu instid0(VALU_DEP_3) | instskip(NEXT) | instid1(VALU_DEP_3)
	v_dual_fmac_f32 v29, v197, v124 :: v_dual_add_f32 v11, v11, v47
	v_dual_add_f32 v9, v9, v27 :: v_dual_fmac_f32 v31, v199, v126
	v_dual_mul_f32 v27, v211, v139 :: v_dual_fma_f32 v15, v198, v126, -v15
	s_delay_alu instid0(VALU_DEP_3) | instskip(NEXT) | instid1(VALU_DEP_3)
	v_dual_add_f32 v11, v11, v13 :: v_dual_fmac_f32 v33, v201, v128
	v_dual_add_f32 v9, v9, v29 :: v_dual_fma_f32 v17, v200, v128, -v17
	v_dual_mul_f32 v35, v202, v131 :: v_dual_mul_f32 v37, v204, v133
	s_wait_loadcnt_dscnt 0x601
	s_delay_alu instid0(VALU_DEP_3) | instskip(NEXT) | instid1(VALU_DEP_2)
	v_dual_mul_f32 v13, v213, v141 :: v_dual_add_f32 v11, v11, v15
	v_dual_add_f32 v9, v9, v31 :: v_dual_fmac_f32 v35, v203, v130
	v_dual_mul_f32 v15, v215, v143 :: v_dual_fma_f32 v19, v202, v130, -v19
	s_delay_alu instid0(VALU_DEP_3) | instskip(NEXT) | instid1(VALU_DEP_3)
	v_dual_add_f32 v11, v11, v17 :: v_dual_fmac_f32 v37, v205, v132
	v_dual_add_f32 v9, v9, v33 :: v_dual_fma_f32 v21, v204, v132, -v21
	v_dual_mul_f32 v39, v206, v135 :: v_dual_mul_f32 v41, v208, v137
	s_wait_loadcnt 0x5
	s_delay_alu instid0(VALU_DEP_3) | instskip(NEXT) | instid1(VALU_DEP_3)
	v_dual_mul_f32 v17, v161, v145 :: v_dual_add_f32 v11, v11, v19
	v_dual_add_f32 v9, v9, v35 :: v_dual_mov_b32 v104, v147
	s_delay_alu instid0(VALU_DEP_3) | instskip(NEXT) | instid1(VALU_DEP_3)
	v_fmac_f32_e32 v39, v207, v134
	v_dual_fma_f32 v19, v206, v134, -v23 :: v_dual_add_f32 v11, v11, v21
	s_delay_alu instid0(VALU_DEP_3) | instskip(SKIP_1) | instid1(VALU_DEP_3)
	v_dual_add_f32 v9, v9, v37 :: v_dual_mul_f32 v43, v210, v139
	v_dual_mul_f32 v45, v212, v141 :: v_dual_fmac_f32 v41, v209, v136
	v_dual_add_f32 v11, v11, v19 :: v_dual_fma_f32 v21, v208, v136, -v25
	s_wait_loadcnt 0x4
	s_delay_alu instid0(VALU_DEP_3) | instskip(SKIP_3) | instid1(VALU_DEP_4)
	v_dual_add_f32 v9, v9, v39 :: v_dual_mov_b32 v108, v151
	v_fma_f32 v19, v210, v138, -v27
	v_fmac_f32_e32 v43, v211, v138
	v_dual_add_f32 v11, v11, v21 :: v_dual_fmac_f32 v45, v213, v140
	v_dual_add_f32 v9, v9, v41 :: v_dual_mul_f32 v231, v214, v143
	v_mul_f32_e32 v233, v160, v145
	s_delay_alu instid0(VALU_DEP_3) | instskip(NEXT) | instid1(VALU_DEP_3)
	v_dual_fma_f32 v13, v212, v140, -v13 :: v_dual_add_f32 v11, v11, v19
	v_dual_fma_f32 v230, v214, v142, -v15 :: v_dual_add_f32 v9, v9, v43
	s_delay_alu instid0(VALU_DEP_4) | instskip(SKIP_1) | instid1(VALU_DEP_4)
	v_fmac_f32_e32 v231, v215, v142
	v_pk_mul_f32 v[104:105], v[222:223], v[104:105] op_sel_hi:[1,0]
	v_dual_add_f32 v112, v11, v13 :: v_dual_fmac_f32 v233, v161, v144
	s_delay_alu instid0(VALU_DEP_4)
	v_add_f32_e32 v113, v9, v45
	v_pk_mul_f32 v[106:107], v[164:165], v[148:149] op_sel:[1,1] op_sel_hi:[0,1]
	s_wait_loadcnt 0x3
	v_dual_mov_b32 v114, v155 :: v_dual_fma_f32 v232, v160, v144, -v17
	v_pk_fma_f32 v[116:117], v[162:163], v[146:147], v[104:105] op_sel_hi:[1,0,1]
	v_pk_add_f32 v[112:113], v[112:113], v[230:231]
	v_pk_fma_f32 v[104:105], v[162:163], v[146:147], v[104:105] neg_lo:[0,0,1] neg_hi:[0,0,1]
	v_pk_fma_f32 v[118:119], v[164:165], v[148:149], v[106:107] op_sel_hi:[1,0,1]
	v_pk_mul_f32 v[108:109], v[224:225], v[108:109] op_sel_hi:[1,0]
	v_mov_b32_e32 v105, v117
	v_pk_add_f32 v[112:113], v[112:113], v[232:233]
	v_pk_fma_f32 v[106:107], v[164:165], v[148:149], v[106:107] neg_lo:[0,0,1] neg_hi:[0,0,1]
	v_pk_mul_f32 v[110:111], v[168:169], v[152:153] op_sel:[1,1] op_sel_hi:[0,1]
	v_mov_b32_e32 v107, v119
	v_pk_fma_f32 v[118:119], v[166:167], v[150:151], v[108:109] op_sel_hi:[1,0,1]
	v_pk_add_f32 v[104:105], v[112:113], v[104:105]
	v_pk_fma_f32 v[108:109], v[166:167], v[150:151], v[108:109] neg_lo:[0,0,1] neg_hi:[0,0,1]
	v_pk_fma_f32 v[112:113], v[168:169], v[152:153], v[110:111] op_sel_hi:[1,0,1]
	v_pk_mul_f32 v[114:115], v[226:227], v[114:115] op_sel_hi:[1,0]
	v_mov_b32_e32 v109, v119
	v_pk_add_f32 v[104:105], v[104:105], v[106:107]
	v_pk_fma_f32 v[110:111], v[168:169], v[152:153], v[110:111] neg_lo:[0,0,1] neg_hi:[0,0,1]
	s_wait_loadcnt 0x2
	v_pk_mul_f32 v[116:117], v[172:173], v[156:157] op_sel:[1,1] op_sel_hi:[0,1]
	v_dual_mov_b32 v106, v159 :: v_dual_mov_b32 v111, v113
	v_pk_fma_f32 v[112:113], v[170:171], v[154:155], v[114:115] op_sel_hi:[1,0,1]
	v_pk_add_f32 v[104:105], v[104:105], v[108:109]
	v_pk_fma_f32 v[114:115], v[170:171], v[154:155], v[114:115] neg_lo:[0,0,1] neg_hi:[0,0,1]
	v_pk_fma_f32 v[108:109], v[172:173], v[156:157], v[116:117] op_sel_hi:[1,0,1]
	v_pk_mul_f32 v[106:107], v[228:229], v[106:107] op_sel_hi:[1,0]
	v_mov_b32_e32 v115, v113
	v_pk_add_f32 v[104:105], v[104:105], v[110:111]
	v_pk_fma_f32 v[110:111], v[172:173], v[156:157], v[116:117] neg_lo:[0,0,1] neg_hi:[0,0,1]
	v_mov_b32_e32 v111, v109
	v_pk_fma_f32 v[108:109], v[174:175], v[158:159], v[106:107] op_sel_hi:[1,0,1]
	s_wait_loadcnt_dscnt 0x100
	v_pk_mul_f32 v[112:113], v[220:221], v[216:217] op_sel:[1,1] op_sel_hi:[0,1]
	v_pk_add_f32 v[104:105], v[104:105], v[114:115]
	v_pk_fma_f32 v[106:107], v[174:175], v[158:159], v[106:107] neg_lo:[0,0,1] neg_hi:[0,0,1]
	v_mov_b32_e32 v107, v109
	s_delay_alu instid0(VALU_DEP_4) | instskip(NEXT) | instid1(VALU_DEP_4)
	v_pk_fma_f32 v[108:109], v[220:221], v[216:217], v[112:113] op_sel_hi:[1,0,1]
	v_pk_add_f32 v[104:105], v[104:105], v[110:111]
	v_pk_fma_f32 v[110:111], v[220:221], v[216:217], v[112:113] neg_lo:[0,0,1] neg_hi:[0,0,1]
	s_delay_alu instid0(VALU_DEP_3) | instskip(NEXT) | instid1(VALU_DEP_3)
	v_mov_b32_e32 v111, v109
	v_pk_add_f32 v[104:105], v[104:105], v[106:107]
	s_delay_alu instid0(VALU_DEP_1) | instskip(SKIP_1) | instid1(VALU_DEP_1)
	v_pk_add_f32 v[104:105], v[104:105], v[110:111]
	s_wait_loadcnt 0x0
	v_pk_add_f32 v[104:105], v[218:219], v[104:105] neg_lo:[0,1] neg_hi:[0,1]
	scratch_store_b64 off, v[104:105], off offset:168
	s_wait_xcnt 0x0
	v_cmpx_lt_u32_e32 20, v0
	s_cbranch_execz .LBB50_279
; %bb.278:
	scratch_load_b64 v[104:105], off, off offset:160
	v_mov_b64_e32 v[106:107], 0
	scratch_store_b64 off, v[106:107], off offset:160
	s_wait_loadcnt 0x0
	ds_store_b64 v1, v[104:105]
.LBB50_279:
	s_wait_xcnt 0x0
	s_or_b32 exec_lo, exec_lo, s0
	s_wait_storecnt_dscnt 0x0
	s_barrier_signal -1
	s_barrier_wait -1
	s_clause 0xf
	scratch_load_b128 v[104:107], off, off offset:168
	scratch_load_b128 v[108:111], off, off offset:184
	;; [unrolled: 1-line block ×15, first 2 shown]
	scratch_load_b64 v[224:225], off, off offset:160
	ds_load_2addr_b64 v[164:167], v5 offset0:95 offset1:96
	ds_load_2addr_b64 v[168:171], v5 offset0:97 offset1:98
	;; [unrolled: 1-line block ×15, first 2 shown]
	s_mov_b32 s0, exec_lo
	s_wait_dscnt 0xe
	v_dual_mov_b32 v226, v167 :: v_dual_mov_b32 v227, v166
	s_wait_dscnt 0xd
	v_dual_mov_b32 v228, v171 :: v_dual_mov_b32 v229, v170
	;; [unrolled: 2-line block ×4, first 2 shown]
	s_wait_loadcnt_dscnt 0xf0a
	v_dual_mul_f32 v5, v180, v105 :: v_dual_mul_f32 v9, v182, v107
	v_dual_mul_f32 v47, v181, v105 :: v_dual_mul_f32 v49, v183, v107
	s_wait_loadcnt_dscnt 0xe09
	v_dual_mul_f32 v11, v184, v109 :: v_dual_mul_f32 v13, v186, v111
	s_delay_alu instid0(VALU_DEP_2) | instskip(SKIP_3) | instid1(VALU_DEP_3)
	v_dual_fmac_f32 v5, v181, v104 :: v_dual_fma_f32 v47, v180, v104, -v47
	v_dual_mul_f32 v51, v185, v109 :: v_dual_mul_f32 v53, v187, v111
	s_wait_loadcnt_dscnt 0xc06
	v_dual_mul_f32 v59, v197, v117 :: v_dual_fmac_f32 v9, v183, v106
	v_dual_fma_f32 v49, v182, v106, -v49 :: v_dual_add_f32 v5, 0, v5
	v_dual_add_f32 v47, 0, v47 :: v_dual_fmac_f32 v11, v185, v108
	v_dual_mul_f32 v61, v199, v119 :: v_dual_fma_f32 v51, v184, v108, -v51
	s_delay_alu instid0(VALU_DEP_3) | instskip(NEXT) | instid1(VALU_DEP_3)
	v_dual_add_f32 v5, v5, v9 :: v_dual_fmac_f32 v13, v187, v110
	v_dual_add_f32 v9, v47, v49 :: v_dual_fma_f32 v49, v186, v110, -v53
	v_dual_mul_f32 v15, v192, v113 :: v_dual_mul_f32 v17, v194, v115
	v_dual_mul_f32 v55, v193, v113 :: v_dual_mul_f32 v57, v195, v115
	s_delay_alu instid0(VALU_DEP_3) | instskip(NEXT) | instid1(VALU_DEP_3)
	v_add_f32_e32 v9, v9, v51
	v_dual_add_f32 v5, v5, v11 :: v_dual_fmac_f32 v17, v195, v114
	s_wait_loadcnt_dscnt 0xb05
	s_delay_alu instid0(VALU_DEP_3) | instskip(NEXT) | instid1(VALU_DEP_3)
	v_dual_fma_f32 v51, v192, v112, -v55 :: v_dual_mul_f32 v47, v201, v121
	v_dual_mul_f32 v11, v203, v123 :: v_dual_add_f32 v9, v9, v49
	v_dual_fmac_f32 v15, v193, v112 :: v_dual_fma_f32 v49, v194, v114, -v57
	v_add_f32_e32 v5, v5, v13
	v_dual_mul_f32 v19, v196, v117 :: v_dual_mul_f32 v21, v198, v119
	s_delay_alu instid0(VALU_DEP_4) | instskip(NEXT) | instid1(VALU_DEP_3)
	v_dual_add_f32 v9, v9, v51 :: v_dual_fma_f32 v47, v200, v120, -v47
	v_dual_add_f32 v5, v5, v15 :: v_dual_fma_f32 v51, v196, v116, -v59
	v_dual_mul_f32 v23, v200, v121 :: v_dual_mul_f32 v25, v202, v123
	s_delay_alu instid0(VALU_DEP_3) | instskip(SKIP_2) | instid1(VALU_DEP_3)
	v_dual_add_f32 v9, v9, v49 :: v_dual_fma_f32 v11, v202, v122, -v11
	s_wait_loadcnt_dscnt 0xa04
	v_dual_mul_f32 v27, v204, v125 :: v_dual_mul_f32 v29, v206, v127
	v_dual_fmac_f32 v19, v197, v116 :: v_dual_fmac_f32 v25, v203, v122
	v_dual_fma_f32 v49, v198, v118, -v61 :: v_dual_add_f32 v5, v5, v17
	s_delay_alu instid0(VALU_DEP_3)
	v_dual_add_f32 v9, v9, v51 :: v_dual_fmac_f32 v29, v207, v126
	s_wait_loadcnt_dscnt 0x903
	v_dual_mul_f32 v31, v208, v129 :: v_dual_mul_f32 v33, v210, v131
	v_dual_mul_f32 v13, v205, v125 :: v_dual_fmac_f32 v21, v199, v118
	v_mul_f32_e32 v17, v209, v129
	v_add_f32_e32 v5, v5, v19
	v_dual_add_f32 v9, v9, v49 :: v_dual_mul_f32 v15, v207, v127
	s_delay_alu instid0(VALU_DEP_4) | instskip(NEXT) | instid1(VALU_DEP_3)
	v_fma_f32 v13, v204, v124, -v13
	v_dual_fmac_f32 v33, v211, v130 :: v_dual_add_f32 v5, v5, v21
	s_wait_loadcnt_dscnt 0x802
	v_mul_f32_e32 v21, v213, v133
	s_wait_loadcnt_dscnt 0x701
	v_dual_add_f32 v9, v9, v47 :: v_dual_mul_f32 v39, v216, v137
	v_dual_mul_f32 v41, v218, v139 :: v_dual_fmac_f32 v23, v201, v120
	s_delay_alu instid0(VALU_DEP_2) | instskip(SKIP_1) | instid1(VALU_DEP_3)
	v_dual_fma_f32 v21, v212, v132, -v21 :: v_dual_add_f32 v9, v9, v11
	v_dual_fma_f32 v15, v206, v126, -v15 :: v_dual_mul_f32 v19, v211, v131
	v_dual_fmac_f32 v41, v219, v138 :: v_dual_mul_f32 v35, v212, v133
	s_delay_alu instid0(VALU_DEP_3) | instskip(SKIP_1) | instid1(VALU_DEP_4)
	v_dual_mul_f32 v37, v214, v135 :: v_dual_add_f32 v9, v9, v13
	v_mul_f32_e32 v13, v219, v139
	v_dual_add_f32 v5, v5, v23 :: v_dual_fma_f32 v19, v210, v130, -v19
	v_dual_mul_f32 v23, v215, v135 :: v_dual_fma_f32 v17, v208, v128, -v17
	s_wait_loadcnt 0x5
	v_dual_add_f32 v9, v9, v15 :: v_dual_mul_f32 v235, v188, v145
	v_dual_mul_f32 v237, v190, v147 :: v_dual_fmac_f32 v27, v205, v124
	v_dual_add_f32 v5, v5, v25 :: v_dual_fmac_f32 v37, v215, v134
	s_delay_alu instid0(VALU_DEP_3)
	v_add_f32_e32 v9, v9, v17
	s_wait_loadcnt 0x4
	v_pk_mul_f32 v[104:105], v[164:165], v[148:149] op_sel:[1,1] op_sel_hi:[0,1]
	s_wait_dscnt 0x0
	v_dual_mul_f32 v11, v217, v137 :: v_dual_mul_f32 v17, v223, v143
	v_dual_fmac_f32 v237, v191, v146 :: v_dual_add_f32 v9, v9, v19
	s_delay_alu instid0(VALU_DEP_3) | instskip(SKIP_2) | instid1(VALU_DEP_4)
	v_pk_fma_f32 v[114:115], v[164:165], v[148:149], v[104:105] op_sel_hi:[1,0,1]
	v_dual_fmac_f32 v31, v209, v128 :: v_dual_fma_f32 v13, v218, v138, -v13
	v_dual_mul_f32 v43, v220, v141 :: v_dual_mul_f32 v45, v222, v143
	v_dual_add_f32 v9, v9, v21 :: v_dual_mul_f32 v21, v191, v147
	v_dual_add_f32 v5, v5, v27 :: v_dual_fma_f32 v11, v216, v136, -v11
	v_dual_mov_b32 v106, v151 :: v_dual_fmac_f32 v35, v213, v132
	s_wait_loadcnt 0x3
	s_delay_alu instid0(VALU_DEP_2) | instskip(SKIP_2) | instid1(VALU_DEP_3)
	v_dual_mov_b32 v110, v155 :: v_dual_add_f32 v5, v5, v29
	v_dual_mul_f32 v19, v189, v145 :: v_dual_fmac_f32 v235, v189, v144
	v_fmac_f32_e32 v45, v223, v142
	v_dual_fma_f32 v23, v214, v134, -v23 :: v_dual_add_f32 v5, v5, v31
	v_pk_mul_f32 v[108:109], v[168:169], v[152:153] op_sel:[1,1] op_sel_hi:[0,1]
	s_delay_alu instid0(VALU_DEP_4) | instskip(SKIP_4) | instid1(VALU_DEP_4)
	v_fma_f32 v234, v188, v144, -v19
	v_pk_mul_f32 v[106:107], v[226:227], v[106:107] op_sel_hi:[1,0]
	v_pk_fma_f32 v[104:105], v[164:165], v[148:149], v[104:105] neg_lo:[0,0,1] neg_hi:[0,0,1]
	v_dual_add_f32 v5, v5, v33 :: v_dual_fma_f32 v236, v190, v146, -v21
	v_mov_b32_e32 v105, v115
	v_pk_fma_f32 v[114:115], v[166:167], v[150:151], v[106:107] op_sel_hi:[1,0,1]
	v_fmac_f32_e32 v39, v217, v136
	s_delay_alu instid0(VALU_DEP_4)
	v_add_f32_e32 v5, v5, v35
	v_pk_fma_f32 v[118:119], v[168:169], v[152:153], v[108:109] op_sel_hi:[1,0,1]
	v_add_f32_e32 v9, v9, v23
	v_pk_mul_f32 v[110:111], v[228:229], v[110:111] op_sel_hi:[1,0]
	v_pk_fma_f32 v[106:107], v[166:167], v[150:151], v[106:107] neg_lo:[0,0,1] neg_hi:[0,0,1]
	v_add_f32_e32 v5, v5, v37
	v_pk_fma_f32 v[108:109], v[168:169], v[152:153], v[108:109] neg_lo:[0,0,1] neg_hi:[0,0,1]
	v_dual_mul_f32 v15, v221, v141 :: v_dual_fmac_f32 v43, v221, v140
	v_dual_mov_b32 v107, v115 :: v_dual_mov_b32 v109, v119
	v_add_f32_e32 v9, v9, v11
	v_pk_fma_f32 v[114:115], v[170:171], v[154:155], v[110:111] op_sel_hi:[1,0,1]
	v_add_f32_e32 v5, v5, v39
	v_pk_fma_f32 v[110:111], v[170:171], v[154:155], v[110:111] neg_lo:[0,0,1] neg_hi:[0,0,1]
	s_delay_alu instid0(VALU_DEP_4) | instskip(NEXT) | instid1(VALU_DEP_3)
	v_dual_fma_f32 v11, v220, v140, -v15 :: v_dual_add_f32 v9, v9, v13
	v_dual_mov_b32 v111, v115 :: v_dual_add_f32 v5, v5, v41
	v_fma_f32 v13, v222, v142, -v17
	s_wait_loadcnt 0x2
	v_pk_mul_f32 v[116:117], v[172:173], v[156:157] op_sel:[1,1] op_sel_hi:[0,1]
	v_add_f32_e32 v9, v9, v11
	v_add_f32_e32 v5, v5, v43
	s_delay_alu instid0(VALU_DEP_3) | instskip(NEXT) | instid1(VALU_DEP_3)
	v_pk_fma_f32 v[114:115], v[172:173], v[156:157], v[116:117] neg_lo:[0,0,1] neg_hi:[0,0,1]
	v_add_f32_e32 v112, v9, v13
	s_delay_alu instid0(VALU_DEP_3) | instskip(NEXT) | instid1(VALU_DEP_1)
	v_add_f32_e32 v113, v5, v45
	v_pk_add_f32 v[112:113], v[112:113], v[234:235]
	s_delay_alu instid0(VALU_DEP_1) | instskip(NEXT) | instid1(VALU_DEP_1)
	v_pk_add_f32 v[112:113], v[112:113], v[236:237]
	v_pk_add_f32 v[104:105], v[112:113], v[104:105]
	v_mov_b32_e32 v112, v159
	s_delay_alu instid0(VALU_DEP_2) | instskip(SKIP_1) | instid1(VALU_DEP_3)
	v_pk_add_f32 v[104:105], v[104:105], v[106:107]
	v_pk_fma_f32 v[106:107], v[172:173], v[156:157], v[116:117] op_sel_hi:[1,0,1]
	v_pk_mul_f32 v[112:113], v[230:231], v[112:113] op_sel_hi:[1,0]
	s_delay_alu instid0(VALU_DEP_3) | instskip(NEXT) | instid1(VALU_DEP_3)
	v_pk_add_f32 v[104:105], v[104:105], v[108:109]
	v_mov_b32_e32 v115, v107
	s_delay_alu instid0(VALU_DEP_3)
	v_pk_fma_f32 v[106:107], v[174:175], v[158:159], v[112:113] op_sel_hi:[1,0,1]
	s_wait_loadcnt 0x1
	v_pk_mul_f32 v[108:109], v[176:177], v[160:161] op_sel:[1,1] op_sel_hi:[0,1]
	v_mov_b32_e32 v106, v163
	v_pk_add_f32 v[104:105], v[104:105], v[110:111]
	v_pk_fma_f32 v[112:113], v[174:175], v[158:159], v[112:113] neg_lo:[0,0,1] neg_hi:[0,0,1]
	v_mov_b32_e32 v113, v107
	v_pk_fma_f32 v[110:111], v[176:177], v[160:161], v[108:109] op_sel_hi:[1,0,1]
	v_pk_mul_f32 v[106:107], v[232:233], v[106:107] op_sel_hi:[1,0]
	v_pk_add_f32 v[104:105], v[104:105], v[114:115]
	v_pk_fma_f32 v[108:109], v[176:177], v[160:161], v[108:109] neg_lo:[0,0,1] neg_hi:[0,0,1]
	s_delay_alu instid0(VALU_DEP_4) | instskip(NEXT) | instid1(VALU_DEP_4)
	v_mov_b32_e32 v109, v111
	v_pk_fma_f32 v[110:111], v[178:179], v[162:163], v[106:107] op_sel_hi:[1,0,1]
	s_delay_alu instid0(VALU_DEP_4) | instskip(SKIP_1) | instid1(VALU_DEP_3)
	v_pk_add_f32 v[104:105], v[104:105], v[112:113]
	v_pk_fma_f32 v[106:107], v[178:179], v[162:163], v[106:107] neg_lo:[0,0,1] neg_hi:[0,0,1]
	v_mov_b32_e32 v107, v111
	s_delay_alu instid0(VALU_DEP_3) | instskip(NEXT) | instid1(VALU_DEP_1)
	v_pk_add_f32 v[104:105], v[104:105], v[108:109]
	v_pk_add_f32 v[104:105], v[104:105], v[106:107]
	s_wait_loadcnt 0x0
	s_delay_alu instid0(VALU_DEP_1)
	v_pk_add_f32 v[104:105], v[224:225], v[104:105] neg_lo:[0,1] neg_hi:[0,1]
	scratch_store_b64 off, v[104:105], off offset:160
	s_wait_xcnt 0x0
	v_cmpx_lt_u32_e32 19, v0
	s_cbranch_execz .LBB50_281
; %bb.280:
	scratch_load_b64 v[104:105], off, off offset:152
	v_mov_b64_e32 v[106:107], 0
	scratch_store_b64 off, v[106:107], off offset:152
	s_wait_loadcnt 0x0
	ds_store_b64 v1, v[104:105]
.LBB50_281:
	s_wait_xcnt 0x0
	s_or_b32 exec_lo, exec_lo, s0
	s_wait_storecnt_dscnt 0x0
	s_barrier_signal -1
	s_barrier_wait -1
	s_clause 0x10
	scratch_load_b128 v[104:107], off, off offset:160
	scratch_load_b128 v[108:111], off, off offset:176
	;; [unrolled: 1-line block ×15, first 2 shown]
	scratch_load_b64 v[224:225], off, off offset:400
	scratch_load_b64 v[226:227], off, off offset:152
	v_mov_b32_e32 v5, 0
	ds_load_b128 v[164:167], v5 offset:752
	ds_load_b128 v[168:171], v5 offset:768
	;; [unrolled: 1-line block ×15, first 2 shown]
	ds_load_b64 v[228:229], v5 offset:816
	s_mov_b32 s0, exec_lo
	s_wait_dscnt 0xf
	v_dual_mov_b32 v230, v167 :: v_dual_mov_b32 v231, v166
	s_wait_dscnt 0xc
	v_dual_mov_b32 v232, v171 :: v_dual_mov_b32 v237, v178
	v_dual_mov_b32 v233, v170 :: v_dual_mov_b32 v234, v175
	v_dual_mov_b32 v235, v174 :: v_dual_mov_b32 v236, v179
	s_wait_loadcnt_dscnt 0x100b
	v_dual_mul_f32 v9, v180, v105 :: v_dual_mul_f32 v51, v181, v105
	v_dual_mul_f32 v53, v183, v107 :: v_dual_mul_f32 v11, v182, v107
	s_wait_loadcnt_dscnt 0xf09
	v_mul_f32_e32 v13, v188, v109
	s_wait_loadcnt_dscnt 0xd07
	v_dual_mul_f32 v63, v197, v117 :: v_dual_fma_f32 v51, v180, v104, -v51
	v_dual_fmac_f32 v9, v181, v104 :: v_dual_mul_f32 v65, v199, v119
	v_dual_mul_f32 v55, v189, v109 :: v_dual_mul_f32 v57, v191, v111
	v_dual_fmac_f32 v11, v183, v106 :: v_dual_fma_f32 v53, v182, v106, -v53
	s_delay_alu instid0(VALU_DEP_3) | instskip(SKIP_4) | instid1(VALU_DEP_3)
	v_dual_add_f32 v9, 0, v9 :: v_dual_add_f32 v51, 0, v51
	v_dual_mul_f32 v15, v190, v111 :: v_dual_mul_f32 v17, v192, v113
	s_wait_loadcnt_dscnt 0xc06
	v_dual_mul_f32 v67, v201, v121 :: v_dual_fma_f32 v55, v188, v108, -v55
	v_fmac_f32_e32 v13, v189, v108
	v_dual_add_f32 v9, v9, v11 :: v_dual_fmac_f32 v15, v191, v110
	v_add_f32_e32 v11, v51, v53
	v_dual_mul_f32 v59, v193, v113 :: v_dual_mul_f32 v61, v195, v115
	v_dual_mul_f32 v51, v203, v123 :: v_dual_fma_f32 v53, v190, v110, -v57
	s_delay_alu instid0(VALU_DEP_3) | instskip(SKIP_3) | instid1(VALU_DEP_3)
	v_dual_add_f32 v9, v9, v13 :: v_dual_add_f32 v11, v11, v55
	v_dual_mul_f32 v19, v194, v115 :: v_dual_mul_f32 v21, v196, v117
	s_wait_loadcnt_dscnt 0xb05
	v_dual_mul_f32 v13, v205, v125 :: v_dual_fma_f32 v55, v192, v112, -v59
	v_dual_fmac_f32 v17, v193, v112 :: v_dual_add_f32 v11, v11, v53
	s_delay_alu instid0(VALU_DEP_3) | instskip(SKIP_1) | instid1(VALU_DEP_2)
	v_dual_add_f32 v9, v9, v15 :: v_dual_fmac_f32 v19, v195, v114
	v_dual_mul_f32 v15, v207, v127 :: v_dual_fma_f32 v53, v194, v114, -v61
	v_dual_add_f32 v11, v11, v55 :: v_dual_add_f32 v9, v9, v17
	v_dual_mul_f32 v23, v198, v119 :: v_dual_mul_f32 v25, v200, v121
	s_wait_loadcnt_dscnt 0xa04
	v_dual_mul_f32 v17, v209, v129 :: v_dual_fma_f32 v55, v196, v116, -v63
	s_delay_alu instid0(VALU_DEP_3) | instskip(NEXT) | instid1(VALU_DEP_3)
	v_dual_fmac_f32 v21, v197, v116 :: v_dual_add_f32 v11, v11, v53
	v_dual_add_f32 v9, v9, v19 :: v_dual_fmac_f32 v23, v199, v118
	v_dual_mul_f32 v19, v211, v131 :: v_dual_fma_f32 v53, v198, v118, -v65
	s_delay_alu instid0(VALU_DEP_2) | instskip(SKIP_3) | instid1(VALU_DEP_3)
	v_dual_add_f32 v11, v11, v55 :: v_dual_add_f32 v9, v9, v21
	v_dual_mul_f32 v27, v202, v123 :: v_dual_mul_f32 v29, v204, v125
	s_wait_loadcnt_dscnt 0x903
	v_dual_mul_f32 v21, v213, v133 :: v_dual_fma_f32 v55, v200, v120, -v67
	v_dual_fmac_f32 v25, v201, v120 :: v_dual_add_f32 v11, v11, v53
	s_delay_alu instid0(VALU_DEP_3) | instskip(SKIP_1) | instid1(VALU_DEP_2)
	v_dual_add_f32 v9, v9, v23 :: v_dual_fmac_f32 v27, v203, v122
	v_dual_mul_f32 v23, v215, v135 :: v_dual_fma_f32 v51, v202, v122, -v51
	v_dual_add_f32 v11, v11, v55 :: v_dual_add_f32 v9, v9, v25
	v_dual_mul_f32 v31, v206, v127 :: v_dual_mul_f32 v33, v208, v129
	s_wait_loadcnt_dscnt 0x802
	v_dual_mul_f32 v25, v217, v137 :: v_dual_fma_f32 v13, v204, v124, -v13
	s_delay_alu instid0(VALU_DEP_3) | instskip(NEXT) | instid1(VALU_DEP_3)
	v_dual_fmac_f32 v29, v205, v124 :: v_dual_add_f32 v11, v11, v51
	v_dual_add_f32 v9, v9, v27 :: v_dual_fmac_f32 v31, v207, v126
	v_dual_mul_f32 v27, v219, v139 :: v_dual_fma_f32 v15, v206, v126, -v15
	s_delay_alu instid0(VALU_DEP_3) | instskip(NEXT) | instid1(VALU_DEP_3)
	v_dual_add_f32 v11, v11, v13 :: v_dual_fmac_f32 v33, v209, v128
	v_dual_add_f32 v9, v9, v29 :: v_dual_fma_f32 v17, v208, v128, -v17
	v_dual_mul_f32 v35, v210, v131 :: v_dual_mul_f32 v37, v212, v133
	s_wait_loadcnt_dscnt 0x701
	s_delay_alu instid0(VALU_DEP_3) | instskip(NEXT) | instid1(VALU_DEP_2)
	v_dual_mul_f32 v13, v221, v141 :: v_dual_add_f32 v11, v11, v15
	v_dual_add_f32 v9, v9, v31 :: v_dual_fmac_f32 v35, v211, v130
	v_dual_mul_f32 v15, v223, v143 :: v_dual_fma_f32 v19, v210, v130, -v19
	s_delay_alu instid0(VALU_DEP_3) | instskip(NEXT) | instid1(VALU_DEP_3)
	v_dual_add_f32 v11, v11, v17 :: v_dual_fmac_f32 v37, v213, v132
	v_dual_add_f32 v9, v9, v33 :: v_dual_fma_f32 v21, v212, v132, -v21
	v_dual_mul_f32 v39, v214, v135 :: v_dual_mul_f32 v41, v216, v137
	s_wait_loadcnt 0x6
	s_delay_alu instid0(VALU_DEP_3) | instskip(NEXT) | instid1(VALU_DEP_2)
	v_dual_mul_f32 v17, v185, v145 :: v_dual_add_f32 v11, v11, v19
	v_dual_add_f32 v9, v9, v35 :: v_dual_fmac_f32 v39, v215, v134
	v_dual_mul_f32 v19, v187, v147 :: v_dual_fma_f32 v23, v214, v134, -v23
	s_delay_alu instid0(VALU_DEP_3) | instskip(NEXT) | instid1(VALU_DEP_3)
	v_dual_add_f32 v11, v11, v21 :: v_dual_fmac_f32 v41, v217, v136
	v_dual_add_f32 v9, v9, v37 :: v_dual_fma_f32 v25, v216, v136, -v25
	v_dual_mul_f32 v43, v218, v139 :: v_dual_mul_f32 v45, v220, v141
	s_wait_loadcnt 0x5
	s_delay_alu instid0(VALU_DEP_3) | instskip(NEXT) | instid1(VALU_DEP_3)
	v_dual_mul_f32 v21, v165, v149 :: v_dual_add_f32 v11, v11, v23
	v_dual_add_f32 v9, v9, v39 :: v_dual_mov_b32 v104, v151
	s_delay_alu instid0(VALU_DEP_3) | instskip(NEXT) | instid1(VALU_DEP_3)
	v_fmac_f32_e32 v43, v219, v138
	v_dual_fma_f32 v23, v218, v138, -v27 :: v_dual_add_f32 v11, v11, v25
	s_delay_alu instid0(VALU_DEP_3) | instskip(SKIP_1) | instid1(VALU_DEP_3)
	v_dual_add_f32 v9, v9, v41 :: v_dual_mul_f32 v47, v222, v143
	v_dual_mul_f32 v49, v184, v145 :: v_dual_fmac_f32 v45, v221, v140
	v_dual_add_f32 v11, v11, v23 :: v_dual_fma_f32 v13, v220, v140, -v13
	s_wait_loadcnt 0x4
	s_delay_alu instid0(VALU_DEP_3) | instskip(SKIP_3) | instid1(VALU_DEP_4)
	v_dual_add_f32 v9, v9, v43 :: v_dual_mov_b32 v108, v155
	v_fma_f32 v15, v222, v142, -v15
	v_fmac_f32_e32 v47, v223, v142
	v_dual_add_f32 v11, v11, v13 :: v_dual_fmac_f32 v49, v185, v144
	v_dual_add_f32 v9, v9, v45 :: v_dual_mul_f32 v239, v186, v147
	v_mul_f32_e32 v241, v164, v149
	s_delay_alu instid0(VALU_DEP_3) | instskip(NEXT) | instid1(VALU_DEP_3)
	v_dual_fma_f32 v13, v184, v144, -v17 :: v_dual_add_f32 v11, v11, v15
	v_dual_fma_f32 v238, v186, v146, -v19 :: v_dual_add_f32 v9, v9, v47
	s_delay_alu instid0(VALU_DEP_4) | instskip(SKIP_1) | instid1(VALU_DEP_4)
	v_fmac_f32_e32 v239, v187, v146
	v_pk_mul_f32 v[104:105], v[230:231], v[104:105] op_sel_hi:[1,0]
	v_dual_add_f32 v112, v11, v13 :: v_dual_fmac_f32 v241, v165, v148
	s_delay_alu instid0(VALU_DEP_4)
	v_add_f32_e32 v113, v9, v49
	v_pk_mul_f32 v[106:107], v[168:169], v[152:153] op_sel:[1,1] op_sel_hi:[0,1]
	s_wait_loadcnt 0x3
	v_dual_mov_b32 v114, v159 :: v_dual_fma_f32 v240, v164, v148, -v21
	v_pk_fma_f32 v[116:117], v[166:167], v[150:151], v[104:105] op_sel_hi:[1,0,1]
	v_pk_add_f32 v[112:113], v[112:113], v[238:239]
	v_pk_fma_f32 v[104:105], v[166:167], v[150:151], v[104:105] neg_lo:[0,0,1] neg_hi:[0,0,1]
	v_pk_fma_f32 v[118:119], v[168:169], v[152:153], v[106:107] op_sel_hi:[1,0,1]
	v_pk_mul_f32 v[108:109], v[232:233], v[108:109] op_sel_hi:[1,0]
	v_mov_b32_e32 v105, v117
	v_pk_add_f32 v[112:113], v[112:113], v[240:241]
	v_pk_fma_f32 v[106:107], v[168:169], v[152:153], v[106:107] neg_lo:[0,0,1] neg_hi:[0,0,1]
	v_pk_mul_f32 v[110:111], v[172:173], v[156:157] op_sel:[1,1] op_sel_hi:[0,1]
	v_mov_b32_e32 v107, v119
	v_pk_fma_f32 v[118:119], v[170:171], v[154:155], v[108:109] op_sel_hi:[1,0,1]
	v_pk_add_f32 v[104:105], v[112:113], v[104:105]
	v_pk_fma_f32 v[108:109], v[170:171], v[154:155], v[108:109] neg_lo:[0,0,1] neg_hi:[0,0,1]
	v_pk_fma_f32 v[112:113], v[172:173], v[156:157], v[110:111] op_sel_hi:[1,0,1]
	v_pk_mul_f32 v[114:115], v[234:235], v[114:115] op_sel_hi:[1,0]
	v_mov_b32_e32 v109, v119
	v_pk_add_f32 v[104:105], v[104:105], v[106:107]
	v_pk_fma_f32 v[110:111], v[172:173], v[156:157], v[110:111] neg_lo:[0,0,1] neg_hi:[0,0,1]
	s_wait_loadcnt 0x2
	v_pk_mul_f32 v[116:117], v[176:177], v[160:161] op_sel:[1,1] op_sel_hi:[0,1]
	v_dual_mov_b32 v106, v163 :: v_dual_mov_b32 v111, v113
	v_pk_fma_f32 v[112:113], v[174:175], v[158:159], v[114:115] op_sel_hi:[1,0,1]
	v_pk_add_f32 v[104:105], v[104:105], v[108:109]
	v_pk_fma_f32 v[114:115], v[174:175], v[158:159], v[114:115] neg_lo:[0,0,1] neg_hi:[0,0,1]
	v_pk_fma_f32 v[108:109], v[176:177], v[160:161], v[116:117] op_sel_hi:[1,0,1]
	v_pk_mul_f32 v[106:107], v[236:237], v[106:107] op_sel_hi:[1,0]
	v_mov_b32_e32 v115, v113
	v_pk_add_f32 v[104:105], v[104:105], v[110:111]
	v_pk_fma_f32 v[110:111], v[176:177], v[160:161], v[116:117] neg_lo:[0,0,1] neg_hi:[0,0,1]
	v_mov_b32_e32 v111, v109
	v_pk_fma_f32 v[108:109], v[178:179], v[162:163], v[106:107] op_sel_hi:[1,0,1]
	s_wait_loadcnt_dscnt 0x100
	v_pk_mul_f32 v[112:113], v[228:229], v[224:225] op_sel:[1,1] op_sel_hi:[0,1]
	v_pk_add_f32 v[104:105], v[104:105], v[114:115]
	v_pk_fma_f32 v[106:107], v[178:179], v[162:163], v[106:107] neg_lo:[0,0,1] neg_hi:[0,0,1]
	v_mov_b32_e32 v107, v109
	s_delay_alu instid0(VALU_DEP_4) | instskip(NEXT) | instid1(VALU_DEP_4)
	v_pk_fma_f32 v[108:109], v[228:229], v[224:225], v[112:113] op_sel_hi:[1,0,1]
	v_pk_add_f32 v[104:105], v[104:105], v[110:111]
	v_pk_fma_f32 v[110:111], v[228:229], v[224:225], v[112:113] neg_lo:[0,0,1] neg_hi:[0,0,1]
	s_delay_alu instid0(VALU_DEP_3) | instskip(NEXT) | instid1(VALU_DEP_3)
	v_mov_b32_e32 v111, v109
	v_pk_add_f32 v[104:105], v[104:105], v[106:107]
	s_delay_alu instid0(VALU_DEP_1) | instskip(SKIP_1) | instid1(VALU_DEP_1)
	v_pk_add_f32 v[104:105], v[104:105], v[110:111]
	s_wait_loadcnt 0x0
	v_pk_add_f32 v[104:105], v[226:227], v[104:105] neg_lo:[0,1] neg_hi:[0,1]
	scratch_store_b64 off, v[104:105], off offset:152
	s_wait_xcnt 0x0
	v_cmpx_lt_u32_e32 18, v0
	s_cbranch_execz .LBB50_283
; %bb.282:
	scratch_load_b64 v[104:105], off, off offset:144
	v_mov_b64_e32 v[106:107], 0
	scratch_store_b64 off, v[106:107], off offset:144
	s_wait_loadcnt 0x0
	ds_store_b64 v1, v[104:105]
.LBB50_283:
	s_wait_xcnt 0x0
	s_or_b32 exec_lo, exec_lo, s0
	s_wait_storecnt_dscnt 0x0
	s_barrier_signal -1
	s_barrier_wait -1
	s_clause 0x10
	scratch_load_b128 v[104:107], off, off offset:152
	scratch_load_b128 v[108:111], off, off offset:168
	;; [unrolled: 1-line block ×16, first 2 shown]
	scratch_load_b64 v[232:233], off, off offset:144
	ds_load_2addr_b64 v[168:171], v5 offset0:95 offset1:96
	ds_load_2addr_b64 v[172:175], v5 offset0:97 offset1:98
	;; [unrolled: 1-line block ×16, first 2 shown]
	s_mov_b32 s0, exec_lo
	s_wait_dscnt 0xf
	v_dual_mov_b32 v234, v171 :: v_dual_mov_b32 v235, v170
	s_wait_dscnt 0xe
	v_dual_mov_b32 v236, v175 :: v_dual_mov_b32 v237, v174
	;; [unrolled: 2-line block ×4, first 2 shown]
	s_wait_loadcnt_dscnt 0x100b
	v_dual_mul_f32 v5, v184, v105 :: v_dual_mul_f32 v9, v186, v107
	v_dual_mul_f32 v51, v185, v105 :: v_dual_mul_f32 v53, v187, v107
	s_wait_loadcnt_dscnt 0xf0a
	v_dual_mul_f32 v11, v188, v109 :: v_dual_mul_f32 v13, v190, v111
	s_delay_alu instid0(VALU_DEP_2) | instskip(SKIP_3) | instid1(VALU_DEP_3)
	v_dual_fmac_f32 v5, v185, v104 :: v_dual_fma_f32 v51, v184, v104, -v51
	v_dual_mul_f32 v55, v189, v109 :: v_dual_mul_f32 v57, v191, v111
	s_wait_loadcnt_dscnt 0xd08
	v_dual_mul_f32 v63, v197, v117 :: v_dual_fmac_f32 v9, v187, v106
	v_dual_fma_f32 v53, v186, v106, -v53 :: v_dual_add_f32 v5, 0, v5
	v_dual_add_f32 v51, 0, v51 :: v_dual_fmac_f32 v11, v189, v108
	v_dual_mul_f32 v65, v199, v119 :: v_dual_fma_f32 v55, v188, v108, -v55
	s_delay_alu instid0(VALU_DEP_3) | instskip(NEXT) | instid1(VALU_DEP_3)
	v_dual_add_f32 v5, v5, v9 :: v_dual_fmac_f32 v13, v191, v110
	v_dual_add_f32 v9, v51, v53 :: v_dual_fma_f32 v53, v190, v110, -v57
	v_dual_mul_f32 v15, v192, v113 :: v_dual_mul_f32 v17, v194, v115
	v_dual_mul_f32 v59, v193, v113 :: v_dual_mul_f32 v61, v195, v115
	s_delay_alu instid0(VALU_DEP_3) | instskip(NEXT) | instid1(VALU_DEP_3)
	v_add_f32_e32 v9, v9, v55
	v_dual_add_f32 v5, v5, v11 :: v_dual_fmac_f32 v17, v195, v114
	s_wait_loadcnt_dscnt 0xc07
	s_delay_alu instid0(VALU_DEP_3) | instskip(NEXT) | instid1(VALU_DEP_3)
	v_dual_fma_f32 v55, v192, v112, -v59 :: v_dual_mul_f32 v51, v201, v121
	v_dual_mul_f32 v11, v203, v123 :: v_dual_add_f32 v9, v9, v53
	v_dual_fmac_f32 v15, v193, v112 :: v_dual_fma_f32 v53, v194, v114, -v61
	v_add_f32_e32 v5, v5, v13
	v_dual_mul_f32 v19, v196, v117 :: v_dual_mul_f32 v21, v198, v119
	s_delay_alu instid0(VALU_DEP_4) | instskip(NEXT) | instid1(VALU_DEP_3)
	v_dual_add_f32 v9, v9, v55 :: v_dual_fma_f32 v51, v200, v120, -v51
	v_dual_add_f32 v5, v5, v15 :: v_dual_fma_f32 v55, v196, v116, -v63
	v_dual_mul_f32 v23, v200, v121 :: v_dual_mul_f32 v25, v202, v123
	s_delay_alu instid0(VALU_DEP_3) | instskip(SKIP_2) | instid1(VALU_DEP_3)
	v_dual_add_f32 v9, v9, v53 :: v_dual_fma_f32 v11, v202, v122, -v11
	s_wait_loadcnt_dscnt 0xb06
	v_dual_mul_f32 v27, v204, v125 :: v_dual_mul_f32 v29, v206, v127
	v_dual_fmac_f32 v19, v197, v116 :: v_dual_fmac_f32 v25, v203, v122
	v_dual_fma_f32 v53, v198, v118, -v65 :: v_dual_add_f32 v5, v5, v17
	s_delay_alu instid0(VALU_DEP_3)
	v_dual_add_f32 v9, v9, v55 :: v_dual_fmac_f32 v29, v207, v126
	s_wait_loadcnt_dscnt 0xa05
	v_dual_mul_f32 v31, v208, v129 :: v_dual_mul_f32 v33, v210, v131
	v_dual_mul_f32 v13, v205, v125 :: v_dual_fmac_f32 v21, v199, v118
	v_mul_f32_e32 v17, v209, v129
	v_add_f32_e32 v5, v5, v19
	v_dual_add_f32 v9, v9, v53 :: v_dual_mul_f32 v15, v207, v127
	s_delay_alu instid0(VALU_DEP_4) | instskip(NEXT) | instid1(VALU_DEP_3)
	v_fma_f32 v13, v204, v124, -v13
	v_dual_fmac_f32 v33, v211, v130 :: v_dual_add_f32 v5, v5, v21
	s_wait_loadcnt_dscnt 0x904
	v_mul_f32_e32 v21, v213, v133
	s_wait_loadcnt_dscnt 0x803
	v_dual_add_f32 v9, v9, v51 :: v_dual_mul_f32 v39, v216, v137
	v_dual_mul_f32 v41, v218, v139 :: v_dual_fmac_f32 v23, v201, v120
	s_delay_alu instid0(VALU_DEP_2) | instskip(SKIP_3) | instid1(VALU_DEP_3)
	v_dual_fma_f32 v21, v212, v132, -v21 :: v_dual_add_f32 v9, v9, v11
	s_wait_loadcnt_dscnt 0x702
	v_dual_fma_f32 v15, v206, v126, -v15 :: v_dual_mul_f32 v43, v220, v141
	v_mul_f32_e32 v45, v222, v143
	v_dual_mul_f32 v19, v211, v131 :: v_dual_add_f32 v9, v9, v13
	v_dual_fmac_f32 v41, v219, v138 :: v_dual_mul_f32 v13, v219, v139
	s_delay_alu instid0(VALU_DEP_2) | instskip(SKIP_1) | instid1(VALU_DEP_4)
	v_dual_add_f32 v5, v5, v23 :: v_dual_fma_f32 v19, v210, v130, -v19
	v_dual_mul_f32 v23, v215, v135 :: v_dual_fma_f32 v17, v208, v128, -v17
	v_add_f32_e32 v9, v9, v15
	v_dual_mul_f32 v15, v221, v141 :: v_dual_fmac_f32 v43, v221, v140
	v_dual_mul_f32 v35, v212, v133 :: v_dual_mul_f32 v37, v214, v135
	s_wait_loadcnt_dscnt 0x601
	v_dual_mul_f32 v47, v224, v145 :: v_dual_mul_f32 v49, v226, v147
	s_delay_alu instid0(VALU_DEP_3) | instskip(SKIP_2) | instid1(VALU_DEP_3)
	v_dual_fma_f32 v15, v220, v140, -v15 :: v_dual_add_f32 v9, v9, v17
	v_dual_fmac_f32 v27, v205, v124 :: v_dual_mul_f32 v17, v223, v143
	v_dual_add_f32 v5, v5, v25 :: v_dual_fmac_f32 v37, v215, v134
	v_dual_add_f32 v9, v9, v19 :: v_dual_fmac_f32 v49, v227, v146
	v_dual_mul_f32 v11, v217, v137 :: v_dual_fma_f32 v23, v214, v134, -v23
	v_dual_fmac_f32 v31, v209, v128 :: v_dual_fma_f32 v13, v218, v138, -v13
	s_wait_loadcnt 0x3
	s_delay_alu instid0(VALU_DEP_3) | instskip(SKIP_2) | instid1(VALU_DEP_3)
	v_dual_add_f32 v9, v9, v21 :: v_dual_mov_b32 v110, v159
	v_mul_f32_e32 v21, v227, v147
	v_dual_add_f32 v5, v5, v27 :: v_dual_fma_f32 v11, v216, v136, -v11
	v_add_f32_e32 v9, v9, v23
	v_pk_mul_f32 v[108:109], v[172:173], v[156:157] op_sel:[1,1] op_sel_hi:[0,1]
	v_dual_fmac_f32 v35, v213, v132 :: v_dual_mov_b32 v106, v155
	s_delay_alu instid0(VALU_DEP_4) | instskip(NEXT) | instid1(VALU_DEP_4)
	v_add_f32_e32 v5, v5, v29
	v_add_f32_e32 v9, v9, v11
	s_wait_dscnt 0x0
	v_dual_mul_f32 v11, v231, v151 :: v_dual_mul_f32 v19, v225, v145
	v_fmac_f32_e32 v47, v225, v144
	v_dual_add_f32 v5, v5, v31 :: v_dual_fmac_f32 v45, v223, v142
	v_pk_fma_f32 v[118:119], v[172:173], v[156:157], v[108:109] op_sel_hi:[1,0,1]
	v_add_f32_e32 v9, v9, v13
	v_pk_fma_f32 v[108:109], v[172:173], v[156:157], v[108:109] neg_lo:[0,0,1] neg_hi:[0,0,1]
	s_delay_alu instid0(VALU_DEP_4) | instskip(SKIP_3) | instid1(VALU_DEP_4)
	v_add_f32_e32 v5, v5, v33
	v_dual_mul_f32 v243, v228, v149 :: v_dual_mul_f32 v245, v230, v151
	v_dual_fma_f32 v13, v222, v142, -v17 :: v_dual_mov_b32 v109, v119
	v_dual_add_f32 v9, v9, v15 :: v_dual_fma_f32 v15, v224, v144, -v19
	v_add_f32_e32 v5, v5, v35
	s_delay_alu instid0(VALU_DEP_4) | instskip(SKIP_3) | instid1(VALU_DEP_3)
	v_dual_fmac_f32 v39, v217, v136 :: v_dual_fmac_f32 v245, v231, v150
	v_dual_mul_f32 v23, v229, v149 :: v_dual_fmac_f32 v243, v229, v148
	v_pk_mul_f32 v[104:105], v[168:169], v[152:153] op_sel:[1,1] op_sel_hi:[0,1]
	v_dual_add_f32 v9, v9, v13 :: v_dual_fma_f32 v13, v226, v146, -v21
	v_dual_add_f32 v5, v5, v37 :: v_dual_fma_f32 v242, v228, v148, -v23
	s_delay_alu instid0(VALU_DEP_3) | instskip(SKIP_2) | instid1(VALU_DEP_4)
	v_pk_fma_f32 v[114:115], v[168:169], v[152:153], v[104:105] op_sel_hi:[1,0,1]
	v_pk_mul_f32 v[106:107], v[234:235], v[106:107] op_sel_hi:[1,0]
	v_pk_fma_f32 v[104:105], v[168:169], v[152:153], v[104:105] neg_lo:[0,0,1] neg_hi:[0,0,1]
	v_add_f32_e32 v5, v5, v39
	v_pk_mul_f32 v[110:111], v[236:237], v[110:111] op_sel_hi:[1,0]
	v_mov_b32_e32 v105, v115
	v_pk_fma_f32 v[114:115], v[170:171], v[154:155], v[106:107] op_sel_hi:[1,0,1]
	v_pk_fma_f32 v[106:107], v[170:171], v[154:155], v[106:107] neg_lo:[0,0,1] neg_hi:[0,0,1]
	v_add_f32_e32 v5, v5, v41
	v_dual_add_f32 v9, v9, v15 :: v_dual_fma_f32 v244, v230, v150, -v11
	s_delay_alu instid0(VALU_DEP_4) | instskip(SKIP_1) | instid1(VALU_DEP_4)
	v_mov_b32_e32 v107, v115
	v_pk_fma_f32 v[114:115], v[174:175], v[158:159], v[110:111] op_sel_hi:[1,0,1]
	v_add_f32_e32 v5, v5, v43
	v_pk_fma_f32 v[110:111], v[174:175], v[158:159], v[110:111] neg_lo:[0,0,1] neg_hi:[0,0,1]
	v_add_f32_e32 v112, v9, v13
	s_wait_loadcnt 0x2
	v_pk_mul_f32 v[116:117], v[176:177], v[160:161] op_sel:[1,1] op_sel_hi:[0,1]
	v_dual_mov_b32 v111, v115 :: v_dual_add_f32 v5, v5, v45
	s_delay_alu instid0(VALU_DEP_2) | instskip(NEXT) | instid1(VALU_DEP_2)
	v_pk_fma_f32 v[114:115], v[176:177], v[160:161], v[116:117] neg_lo:[0,0,1] neg_hi:[0,0,1]
	v_add_f32_e32 v5, v5, v47
	s_delay_alu instid0(VALU_DEP_1) | instskip(NEXT) | instid1(VALU_DEP_1)
	v_add_f32_e32 v113, v5, v49
	v_pk_add_f32 v[112:113], v[112:113], v[242:243]
	s_delay_alu instid0(VALU_DEP_1) | instskip(NEXT) | instid1(VALU_DEP_1)
	v_pk_add_f32 v[112:113], v[112:113], v[244:245]
	v_pk_add_f32 v[104:105], v[112:113], v[104:105]
	v_mov_b32_e32 v112, v163
	s_delay_alu instid0(VALU_DEP_2) | instskip(SKIP_1) | instid1(VALU_DEP_3)
	v_pk_add_f32 v[104:105], v[104:105], v[106:107]
	v_pk_fma_f32 v[106:107], v[176:177], v[160:161], v[116:117] op_sel_hi:[1,0,1]
	v_pk_mul_f32 v[112:113], v[238:239], v[112:113] op_sel_hi:[1,0]
	s_delay_alu instid0(VALU_DEP_3) | instskip(NEXT) | instid1(VALU_DEP_3)
	v_pk_add_f32 v[104:105], v[104:105], v[108:109]
	v_mov_b32_e32 v115, v107
	s_delay_alu instid0(VALU_DEP_3)
	v_pk_fma_f32 v[106:107], v[178:179], v[162:163], v[112:113] op_sel_hi:[1,0,1]
	s_wait_loadcnt 0x1
	v_pk_mul_f32 v[108:109], v[180:181], v[164:165] op_sel:[1,1] op_sel_hi:[0,1]
	v_mov_b32_e32 v106, v167
	v_pk_add_f32 v[104:105], v[104:105], v[110:111]
	v_pk_fma_f32 v[112:113], v[178:179], v[162:163], v[112:113] neg_lo:[0,0,1] neg_hi:[0,0,1]
	v_mov_b32_e32 v113, v107
	v_pk_fma_f32 v[110:111], v[180:181], v[164:165], v[108:109] op_sel_hi:[1,0,1]
	v_pk_mul_f32 v[106:107], v[240:241], v[106:107] op_sel_hi:[1,0]
	v_pk_add_f32 v[104:105], v[104:105], v[114:115]
	v_pk_fma_f32 v[108:109], v[180:181], v[164:165], v[108:109] neg_lo:[0,0,1] neg_hi:[0,0,1]
	s_delay_alu instid0(VALU_DEP_4) | instskip(NEXT) | instid1(VALU_DEP_4)
	v_mov_b32_e32 v109, v111
	v_pk_fma_f32 v[110:111], v[182:183], v[166:167], v[106:107] op_sel_hi:[1,0,1]
	s_delay_alu instid0(VALU_DEP_4) | instskip(SKIP_1) | instid1(VALU_DEP_3)
	v_pk_add_f32 v[104:105], v[104:105], v[112:113]
	v_pk_fma_f32 v[106:107], v[182:183], v[166:167], v[106:107] neg_lo:[0,0,1] neg_hi:[0,0,1]
	v_mov_b32_e32 v107, v111
	s_delay_alu instid0(VALU_DEP_3) | instskip(NEXT) | instid1(VALU_DEP_1)
	v_pk_add_f32 v[104:105], v[104:105], v[108:109]
	v_pk_add_f32 v[104:105], v[104:105], v[106:107]
	s_wait_loadcnt 0x0
	s_delay_alu instid0(VALU_DEP_1)
	v_pk_add_f32 v[104:105], v[232:233], v[104:105] neg_lo:[0,1] neg_hi:[0,1]
	scratch_store_b64 off, v[104:105], off offset:144
	s_wait_xcnt 0x0
	v_cmpx_lt_u32_e32 17, v0
	s_cbranch_execz .LBB50_285
; %bb.284:
	scratch_load_b64 v[104:105], off, off offset:136
	v_mov_b64_e32 v[106:107], 0
	scratch_store_b64 off, v[106:107], off offset:136
	s_wait_loadcnt 0x0
	ds_store_b64 v1, v[104:105]
.LBB50_285:
	s_wait_xcnt 0x0
	s_or_b32 exec_lo, exec_lo, s0
	s_wait_storecnt_dscnt 0x0
	s_barrier_signal -1
	s_barrier_wait -1
	s_clause 0x11
	scratch_load_b128 v[104:107], off, off offset:144
	scratch_load_b128 v[108:111], off, off offset:160
	;; [unrolled: 1-line block ×16, first 2 shown]
	scratch_load_b64 v[232:233], off, off offset:400
	scratch_load_b64 v[234:235], off, off offset:136
	v_mov_b32_e32 v5, 0
	ds_load_b128 v[168:171], v5 offset:752
	ds_load_b128 v[172:175], v5 offset:768
	ds_load_b128 v[176:179], v5 offset:784
	ds_load_b128 v[180:183], v5 offset:800
	ds_load_b128 v[184:187], v5 offset:560
	ds_load_b128 v[188:191], v5 offset:576
	ds_load_b128 v[192:195], v5 offset:592
	ds_load_b128 v[196:199], v5 offset:608
	ds_load_b128 v[200:203], v5 offset:624
	ds_load_b128 v[204:207], v5 offset:640
	ds_load_b128 v[208:211], v5 offset:656
	ds_load_b128 v[212:215], v5 offset:672
	ds_load_b128 v[216:219], v5 offset:688
	ds_load_b128 v[220:223], v5 offset:704
	ds_load_b128 v[224:227], v5 offset:720
	ds_load_b128 v[228:231], v5 offset:736
	ds_load_b64 v[236:237], v5 offset:816
	s_mov_b32 s0, exec_lo
	s_wait_dscnt 0x10
	v_dual_mov_b32 v238, v171 :: v_dual_mov_b32 v239, v170
	s_wait_dscnt 0xd
	v_dual_mov_b32 v240, v175 :: v_dual_mov_b32 v245, v182
	v_dual_mov_b32 v241, v174 :: v_dual_mov_b32 v242, v179
	;; [unrolled: 1-line block ×3, first 2 shown]
	s_wait_loadcnt_dscnt 0x110c
	v_dual_mul_f32 v9, v184, v105 :: v_dual_mul_f32 v55, v185, v105
	v_dual_mul_f32 v57, v187, v107 :: v_dual_mul_f32 v11, v186, v107
	s_wait_loadcnt_dscnt 0x100b
	v_mul_f32_e32 v13, v188, v109
	s_wait_loadcnt_dscnt 0xe09
	v_dual_mul_f32 v67, v197, v117 :: v_dual_fma_f32 v55, v184, v104, -v55
	v_dual_fmac_f32 v9, v185, v104 :: v_dual_mul_f32 v69, v199, v119
	v_dual_mul_f32 v59, v189, v109 :: v_dual_mul_f32 v61, v191, v111
	v_dual_fmac_f32 v11, v187, v106 :: v_dual_fma_f32 v57, v186, v106, -v57
	s_delay_alu instid0(VALU_DEP_3) | instskip(SKIP_4) | instid1(VALU_DEP_3)
	v_dual_add_f32 v9, 0, v9 :: v_dual_add_f32 v55, 0, v55
	v_dual_mul_f32 v15, v190, v111 :: v_dual_mul_f32 v17, v192, v113
	s_wait_loadcnt_dscnt 0xd08
	v_dual_mul_f32 v71, v201, v121 :: v_dual_fma_f32 v59, v188, v108, -v59
	v_fmac_f32_e32 v13, v189, v108
	v_dual_add_f32 v9, v9, v11 :: v_dual_fmac_f32 v15, v191, v110
	v_add_f32_e32 v11, v55, v57
	v_dual_mul_f32 v63, v193, v113 :: v_dual_mul_f32 v65, v195, v115
	v_dual_mul_f32 v55, v203, v123 :: v_dual_fma_f32 v57, v190, v110, -v61
	s_delay_alu instid0(VALU_DEP_3) | instskip(SKIP_3) | instid1(VALU_DEP_3)
	v_dual_add_f32 v9, v9, v13 :: v_dual_add_f32 v11, v11, v59
	v_dual_mul_f32 v19, v194, v115 :: v_dual_mul_f32 v21, v196, v117
	s_wait_loadcnt_dscnt 0xc07
	v_dual_mul_f32 v13, v205, v125 :: v_dual_fma_f32 v59, v192, v112, -v63
	v_dual_fmac_f32 v17, v193, v112 :: v_dual_add_f32 v11, v11, v57
	s_delay_alu instid0(VALU_DEP_3) | instskip(SKIP_1) | instid1(VALU_DEP_2)
	v_dual_add_f32 v9, v9, v15 :: v_dual_fmac_f32 v19, v195, v114
	v_dual_mul_f32 v15, v207, v127 :: v_dual_fma_f32 v57, v194, v114, -v65
	v_dual_add_f32 v11, v11, v59 :: v_dual_add_f32 v9, v9, v17
	v_dual_mul_f32 v23, v198, v119 :: v_dual_mul_f32 v25, v200, v121
	s_wait_loadcnt_dscnt 0xb06
	v_dual_mul_f32 v17, v209, v129 :: v_dual_fma_f32 v59, v196, v116, -v67
	s_delay_alu instid0(VALU_DEP_3) | instskip(NEXT) | instid1(VALU_DEP_3)
	v_dual_fmac_f32 v21, v197, v116 :: v_dual_add_f32 v11, v11, v57
	v_dual_add_f32 v9, v9, v19 :: v_dual_fmac_f32 v23, v199, v118
	v_dual_mul_f32 v19, v211, v131 :: v_dual_fma_f32 v57, v198, v118, -v69
	s_delay_alu instid0(VALU_DEP_2) | instskip(SKIP_3) | instid1(VALU_DEP_3)
	v_dual_add_f32 v11, v11, v59 :: v_dual_add_f32 v9, v9, v21
	v_dual_mul_f32 v27, v202, v123 :: v_dual_mul_f32 v29, v204, v125
	s_wait_loadcnt_dscnt 0xa05
	v_dual_mul_f32 v21, v213, v133 :: v_dual_fma_f32 v59, v200, v120, -v71
	v_dual_fmac_f32 v25, v201, v120 :: v_dual_add_f32 v11, v11, v57
	s_delay_alu instid0(VALU_DEP_3) | instskip(SKIP_1) | instid1(VALU_DEP_2)
	v_dual_add_f32 v9, v9, v23 :: v_dual_fmac_f32 v27, v203, v122
	v_dual_mul_f32 v23, v215, v135 :: v_dual_fma_f32 v55, v202, v122, -v55
	v_dual_add_f32 v11, v11, v59 :: v_dual_add_f32 v9, v9, v25
	v_dual_mul_f32 v31, v206, v127 :: v_dual_mul_f32 v33, v208, v129
	s_wait_loadcnt_dscnt 0x904
	v_dual_mul_f32 v25, v217, v137 :: v_dual_fma_f32 v13, v204, v124, -v13
	s_delay_alu instid0(VALU_DEP_3) | instskip(NEXT) | instid1(VALU_DEP_3)
	v_dual_fmac_f32 v29, v205, v124 :: v_dual_add_f32 v11, v11, v55
	v_dual_add_f32 v9, v9, v27 :: v_dual_fmac_f32 v31, v207, v126
	v_dual_mul_f32 v27, v219, v139 :: v_dual_fma_f32 v15, v206, v126, -v15
	s_delay_alu instid0(VALU_DEP_3) | instskip(NEXT) | instid1(VALU_DEP_3)
	v_dual_add_f32 v11, v11, v13 :: v_dual_fmac_f32 v33, v209, v128
	v_dual_add_f32 v9, v9, v29 :: v_dual_fma_f32 v17, v208, v128, -v17
	v_dual_mul_f32 v35, v210, v131 :: v_dual_mul_f32 v37, v212, v133
	s_wait_loadcnt_dscnt 0x803
	s_delay_alu instid0(VALU_DEP_3) | instskip(NEXT) | instid1(VALU_DEP_2)
	v_dual_mul_f32 v13, v221, v141 :: v_dual_add_f32 v11, v11, v15
	v_dual_add_f32 v9, v9, v31 :: v_dual_fmac_f32 v35, v211, v130
	v_dual_mul_f32 v15, v223, v143 :: v_dual_fma_f32 v19, v210, v130, -v19
	s_delay_alu instid0(VALU_DEP_3) | instskip(NEXT) | instid1(VALU_DEP_3)
	v_dual_add_f32 v11, v11, v17 :: v_dual_fmac_f32 v37, v213, v132
	v_dual_add_f32 v9, v9, v33 :: v_dual_fma_f32 v21, v212, v132, -v21
	v_dual_mul_f32 v39, v214, v135 :: v_dual_mul_f32 v41, v216, v137
	s_wait_loadcnt_dscnt 0x702
	s_delay_alu instid0(VALU_DEP_3) | instskip(NEXT) | instid1(VALU_DEP_2)
	v_dual_mul_f32 v17, v225, v145 :: v_dual_add_f32 v11, v11, v19
	;; [unrolled: 9-line block ×3, first 2 shown]
	v_dual_add_f32 v9, v9, v39 :: v_dual_fmac_f32 v43, v219, v138
	v_dual_mul_f32 v23, v231, v151 :: v_dual_fma_f32 v27, v218, v138, -v27
	s_delay_alu instid0(VALU_DEP_3) | instskip(NEXT) | instid1(VALU_DEP_3)
	v_dual_add_f32 v11, v11, v25 :: v_dual_fmac_f32 v45, v221, v140
	v_dual_add_f32 v9, v9, v41 :: v_dual_fma_f32 v13, v220, v140, -v13
	v_dual_mul_f32 v47, v222, v143 :: v_dual_mul_f32 v49, v224, v145
	s_wait_loadcnt 0x5
	s_delay_alu instid0(VALU_DEP_3) | instskip(NEXT) | instid1(VALU_DEP_3)
	v_dual_mul_f32 v25, v169, v153 :: v_dual_add_f32 v11, v11, v27
	v_dual_add_f32 v9, v9, v43 :: v_dual_mov_b32 v104, v155
	s_delay_alu instid0(VALU_DEP_3) | instskip(NEXT) | instid1(VALU_DEP_3)
	v_fmac_f32_e32 v47, v223, v142
	v_dual_fma_f32 v15, v222, v142, -v15 :: v_dual_add_f32 v11, v11, v13
	s_delay_alu instid0(VALU_DEP_3) | instskip(SKIP_1) | instid1(VALU_DEP_3)
	v_dual_add_f32 v9, v9, v45 :: v_dual_mul_f32 v51, v226, v147
	v_dual_mul_f32 v53, v228, v149 :: v_dual_fmac_f32 v49, v225, v144
	v_dual_add_f32 v11, v11, v15 :: v_dual_fma_f32 v13, v224, v144, -v17
	s_wait_loadcnt 0x4
	s_delay_alu instid0(VALU_DEP_3) | instskip(SKIP_3) | instid1(VALU_DEP_4)
	v_dual_add_f32 v9, v9, v47 :: v_dual_mov_b32 v108, v159
	v_fma_f32 v15, v226, v146, -v19
	v_fmac_f32_e32 v51, v227, v146
	v_dual_add_f32 v11, v11, v13 :: v_dual_fmac_f32 v53, v229, v148
	v_dual_add_f32 v9, v9, v49 :: v_dual_mul_f32 v247, v230, v151
	v_mul_f32_e32 v249, v168, v153
	s_delay_alu instid0(VALU_DEP_3) | instskip(NEXT) | instid1(VALU_DEP_3)
	v_dual_fma_f32 v13, v228, v148, -v21 :: v_dual_add_f32 v11, v11, v15
	v_dual_fma_f32 v246, v230, v150, -v23 :: v_dual_add_f32 v9, v9, v51
	s_delay_alu instid0(VALU_DEP_4) | instskip(SKIP_1) | instid1(VALU_DEP_4)
	v_fmac_f32_e32 v247, v231, v150
	v_pk_mul_f32 v[104:105], v[238:239], v[104:105] op_sel_hi:[1,0]
	v_dual_add_f32 v112, v11, v13 :: v_dual_fmac_f32 v249, v169, v152
	s_delay_alu instid0(VALU_DEP_4)
	v_add_f32_e32 v113, v9, v53
	v_pk_mul_f32 v[106:107], v[172:173], v[156:157] op_sel:[1,1] op_sel_hi:[0,1]
	s_wait_loadcnt 0x3
	v_dual_mov_b32 v114, v163 :: v_dual_fma_f32 v248, v168, v152, -v25
	v_pk_fma_f32 v[116:117], v[170:171], v[154:155], v[104:105] op_sel_hi:[1,0,1]
	v_pk_add_f32 v[112:113], v[112:113], v[246:247]
	v_pk_fma_f32 v[104:105], v[170:171], v[154:155], v[104:105] neg_lo:[0,0,1] neg_hi:[0,0,1]
	v_pk_fma_f32 v[118:119], v[172:173], v[156:157], v[106:107] op_sel_hi:[1,0,1]
	v_pk_mul_f32 v[108:109], v[240:241], v[108:109] op_sel_hi:[1,0]
	v_mov_b32_e32 v105, v117
	v_pk_add_f32 v[112:113], v[112:113], v[248:249]
	v_pk_fma_f32 v[106:107], v[172:173], v[156:157], v[106:107] neg_lo:[0,0,1] neg_hi:[0,0,1]
	v_pk_mul_f32 v[110:111], v[176:177], v[160:161] op_sel:[1,1] op_sel_hi:[0,1]
	v_mov_b32_e32 v107, v119
	v_pk_fma_f32 v[118:119], v[174:175], v[158:159], v[108:109] op_sel_hi:[1,0,1]
	v_pk_add_f32 v[104:105], v[112:113], v[104:105]
	v_pk_fma_f32 v[108:109], v[174:175], v[158:159], v[108:109] neg_lo:[0,0,1] neg_hi:[0,0,1]
	v_pk_fma_f32 v[112:113], v[176:177], v[160:161], v[110:111] op_sel_hi:[1,0,1]
	v_pk_mul_f32 v[114:115], v[242:243], v[114:115] op_sel_hi:[1,0]
	v_mov_b32_e32 v109, v119
	v_pk_add_f32 v[104:105], v[104:105], v[106:107]
	v_pk_fma_f32 v[110:111], v[176:177], v[160:161], v[110:111] neg_lo:[0,0,1] neg_hi:[0,0,1]
	s_wait_loadcnt 0x2
	v_pk_mul_f32 v[116:117], v[180:181], v[164:165] op_sel:[1,1] op_sel_hi:[0,1]
	v_dual_mov_b32 v106, v167 :: v_dual_mov_b32 v111, v113
	v_pk_fma_f32 v[112:113], v[178:179], v[162:163], v[114:115] op_sel_hi:[1,0,1]
	v_pk_add_f32 v[104:105], v[104:105], v[108:109]
	v_pk_fma_f32 v[114:115], v[178:179], v[162:163], v[114:115] neg_lo:[0,0,1] neg_hi:[0,0,1]
	v_pk_fma_f32 v[108:109], v[180:181], v[164:165], v[116:117] op_sel_hi:[1,0,1]
	v_pk_mul_f32 v[106:107], v[244:245], v[106:107] op_sel_hi:[1,0]
	v_mov_b32_e32 v115, v113
	v_pk_add_f32 v[104:105], v[104:105], v[110:111]
	v_pk_fma_f32 v[110:111], v[180:181], v[164:165], v[116:117] neg_lo:[0,0,1] neg_hi:[0,0,1]
	v_mov_b32_e32 v111, v109
	v_pk_fma_f32 v[108:109], v[182:183], v[166:167], v[106:107] op_sel_hi:[1,0,1]
	s_wait_loadcnt_dscnt 0x100
	v_pk_mul_f32 v[112:113], v[236:237], v[232:233] op_sel:[1,1] op_sel_hi:[0,1]
	v_pk_add_f32 v[104:105], v[104:105], v[114:115]
	v_pk_fma_f32 v[106:107], v[182:183], v[166:167], v[106:107] neg_lo:[0,0,1] neg_hi:[0,0,1]
	v_mov_b32_e32 v107, v109
	s_delay_alu instid0(VALU_DEP_4) | instskip(NEXT) | instid1(VALU_DEP_4)
	v_pk_fma_f32 v[108:109], v[236:237], v[232:233], v[112:113] op_sel_hi:[1,0,1]
	v_pk_add_f32 v[104:105], v[104:105], v[110:111]
	v_pk_fma_f32 v[110:111], v[236:237], v[232:233], v[112:113] neg_lo:[0,0,1] neg_hi:[0,0,1]
	s_delay_alu instid0(VALU_DEP_3) | instskip(NEXT) | instid1(VALU_DEP_3)
	v_mov_b32_e32 v111, v109
	v_pk_add_f32 v[104:105], v[104:105], v[106:107]
	s_delay_alu instid0(VALU_DEP_1) | instskip(SKIP_1) | instid1(VALU_DEP_1)
	v_pk_add_f32 v[104:105], v[104:105], v[110:111]
	s_wait_loadcnt 0x0
	v_pk_add_f32 v[104:105], v[234:235], v[104:105] neg_lo:[0,1] neg_hi:[0,1]
	scratch_store_b64 off, v[104:105], off offset:136
	s_wait_xcnt 0x0
	v_cmpx_lt_u32_e32 16, v0
	s_cbranch_execz .LBB50_287
; %bb.286:
	scratch_load_b64 v[104:105], off, off offset:128
	v_mov_b64_e32 v[106:107], 0
	scratch_store_b64 off, v[106:107], off offset:128
	s_wait_loadcnt 0x0
	ds_store_b64 v1, v[104:105]
.LBB50_287:
	s_wait_xcnt 0x0
	s_or_b32 exec_lo, exec_lo, s0
	s_wait_storecnt_dscnt 0x0
	s_barrier_signal -1
	s_barrier_wait -1
	s_clause 0x11
	scratch_load_b128 v[104:107], off, off offset:136
	scratch_load_b128 v[108:111], off, off offset:152
	;; [unrolled: 1-line block ×17, first 2 shown]
	scratch_load_b64 v[240:241], off, off offset:128
	ds_load_2addr_b64 v[172:175], v5 offset0:95 offset1:96
	ds_load_2addr_b64 v[176:179], v5 offset0:97 offset1:98
	;; [unrolled: 1-line block ×17, first 2 shown]
	s_mov_b32 s0, exec_lo
	s_wait_dscnt 0x10
	v_dual_mov_b32 v242, v175 :: v_dual_mov_b32 v243, v174
	s_wait_dscnt 0xf
	v_dual_mov_b32 v244, v179 :: v_dual_mov_b32 v245, v178
	;; [unrolled: 2-line block ×4, first 2 shown]
	s_wait_loadcnt_dscnt 0x110b
	v_dual_mul_f32 v5, v192, v105 :: v_dual_mul_f32 v9, v194, v107
	v_dual_mul_f32 v55, v193, v105 :: v_dual_mul_f32 v57, v195, v107
	s_wait_loadcnt_dscnt 0x100a
	v_dual_mul_f32 v11, v196, v109 :: v_dual_mul_f32 v13, v198, v111
	s_delay_alu instid0(VALU_DEP_2) | instskip(SKIP_3) | instid1(VALU_DEP_3)
	v_dual_fmac_f32 v5, v193, v104 :: v_dual_fma_f32 v55, v192, v104, -v55
	v_dual_mul_f32 v59, v197, v109 :: v_dual_mul_f32 v61, v199, v111
	s_wait_loadcnt_dscnt 0xe08
	v_dual_mul_f32 v67, v205, v117 :: v_dual_fmac_f32 v9, v195, v106
	v_dual_fma_f32 v57, v194, v106, -v57 :: v_dual_add_f32 v5, 0, v5
	v_dual_add_f32 v55, 0, v55 :: v_dual_fmac_f32 v11, v197, v108
	v_dual_mul_f32 v69, v207, v119 :: v_dual_fma_f32 v59, v196, v108, -v59
	s_delay_alu instid0(VALU_DEP_3) | instskip(NEXT) | instid1(VALU_DEP_3)
	v_dual_add_f32 v5, v5, v9 :: v_dual_fmac_f32 v13, v199, v110
	v_dual_add_f32 v9, v55, v57 :: v_dual_fma_f32 v57, v198, v110, -v61
	v_dual_mul_f32 v15, v200, v113 :: v_dual_mul_f32 v17, v202, v115
	v_dual_mul_f32 v63, v201, v113 :: v_dual_mul_f32 v65, v203, v115
	s_delay_alu instid0(VALU_DEP_3) | instskip(NEXT) | instid1(VALU_DEP_3)
	v_add_f32_e32 v9, v9, v59
	v_dual_add_f32 v5, v5, v11 :: v_dual_fmac_f32 v17, v203, v114
	s_wait_loadcnt_dscnt 0xd07
	s_delay_alu instid0(VALU_DEP_3) | instskip(NEXT) | instid1(VALU_DEP_3)
	v_dual_fma_f32 v59, v200, v112, -v63 :: v_dual_mul_f32 v55, v209, v121
	v_dual_mul_f32 v11, v211, v123 :: v_dual_add_f32 v9, v9, v57
	v_dual_fmac_f32 v15, v201, v112 :: v_dual_fma_f32 v57, v202, v114, -v65
	v_add_f32_e32 v5, v5, v13
	v_dual_mul_f32 v19, v204, v117 :: v_dual_mul_f32 v21, v206, v119
	s_delay_alu instid0(VALU_DEP_4) | instskip(NEXT) | instid1(VALU_DEP_3)
	v_dual_add_f32 v9, v9, v59 :: v_dual_fma_f32 v55, v208, v120, -v55
	v_dual_add_f32 v5, v5, v15 :: v_dual_fma_f32 v59, v204, v116, -v67
	v_dual_mul_f32 v23, v208, v121 :: v_dual_mul_f32 v25, v210, v123
	s_delay_alu instid0(VALU_DEP_3) | instskip(SKIP_2) | instid1(VALU_DEP_3)
	v_dual_add_f32 v9, v9, v57 :: v_dual_fma_f32 v11, v210, v122, -v11
	s_wait_loadcnt_dscnt 0xc06
	v_dual_mul_f32 v27, v212, v125 :: v_dual_mul_f32 v29, v214, v127
	v_dual_fmac_f32 v19, v205, v116 :: v_dual_fmac_f32 v25, v211, v122
	v_dual_fma_f32 v57, v206, v118, -v69 :: v_dual_add_f32 v5, v5, v17
	s_delay_alu instid0(VALU_DEP_3)
	v_dual_add_f32 v9, v9, v59 :: v_dual_fmac_f32 v29, v215, v126
	s_wait_loadcnt_dscnt 0xb05
	v_dual_mul_f32 v31, v216, v129 :: v_dual_mul_f32 v33, v218, v131
	v_dual_mul_f32 v13, v213, v125 :: v_dual_fmac_f32 v21, v207, v118
	v_mul_f32_e32 v17, v217, v129
	v_add_f32_e32 v5, v5, v19
	v_dual_add_f32 v9, v9, v57 :: v_dual_mul_f32 v15, v215, v127
	s_delay_alu instid0(VALU_DEP_4) | instskip(NEXT) | instid1(VALU_DEP_3)
	v_fma_f32 v13, v212, v124, -v13
	v_dual_fmac_f32 v33, v219, v130 :: v_dual_add_f32 v5, v5, v21
	s_wait_loadcnt_dscnt 0xa04
	v_mul_f32_e32 v21, v221, v133
	s_wait_loadcnt_dscnt 0x903
	v_dual_add_f32 v9, v9, v55 :: v_dual_mul_f32 v39, v224, v137
	v_dual_mul_f32 v41, v226, v139 :: v_dual_fmac_f32 v23, v209, v120
	s_delay_alu instid0(VALU_DEP_2) | instskip(SKIP_3) | instid1(VALU_DEP_3)
	v_dual_fma_f32 v21, v220, v132, -v21 :: v_dual_add_f32 v9, v9, v11
	s_wait_loadcnt_dscnt 0x802
	v_dual_fma_f32 v15, v214, v126, -v15 :: v_dual_mul_f32 v43, v228, v141
	v_mul_f32_e32 v45, v230, v143
	v_dual_mul_f32 v19, v219, v131 :: v_dual_add_f32 v9, v9, v13
	v_dual_fmac_f32 v41, v227, v138 :: v_dual_mul_f32 v13, v227, v139
	s_delay_alu instid0(VALU_DEP_2) | instskip(SKIP_1) | instid1(VALU_DEP_4)
	v_dual_add_f32 v5, v5, v23 :: v_dual_fma_f32 v19, v218, v130, -v19
	v_dual_mul_f32 v23, v223, v135 :: v_dual_fma_f32 v17, v216, v128, -v17
	v_add_f32_e32 v9, v9, v15
	v_dual_mul_f32 v15, v229, v141 :: v_dual_fmac_f32 v43, v229, v140
	v_dual_fmac_f32 v27, v213, v124 :: v_dual_mul_f32 v35, v220, v133
	s_delay_alu instid0(VALU_DEP_2) | instskip(NEXT) | instid1(VALU_DEP_4)
	v_dual_mul_f32 v37, v222, v135 :: v_dual_fma_f32 v15, v228, v140, -v15
	v_dual_add_f32 v9, v9, v17 :: v_dual_mul_f32 v17, v231, v143
	s_wait_loadcnt_dscnt 0x701
	v_dual_mul_f32 v47, v232, v145 :: v_dual_mul_f32 v49, v234, v147
	s_delay_alu instid0(VALU_DEP_3) | instskip(NEXT) | instid1(VALU_DEP_3)
	v_dual_add_f32 v5, v5, v25 :: v_dual_fmac_f32 v37, v223, v134
	v_dual_fma_f32 v17, v230, v142, -v17 :: v_dual_add_f32 v9, v9, v19
	s_delay_alu instid0(VALU_DEP_3)
	v_dual_fmac_f32 v49, v235, v146 :: v_dual_mul_f32 v11, v225, v137
	v_fma_f32 v23, v222, v134, -v23
	v_dual_fmac_f32 v31, v217, v128 :: v_dual_fma_f32 v13, v226, v138, -v13
	s_wait_loadcnt 0x4
	v_dual_add_f32 v9, v9, v21 :: v_dual_mov_b32 v106, v159
	v_mul_f32_e32 v21, v235, v147
	v_dual_add_f32 v5, v5, v27 :: v_dual_fma_f32 v11, v224, v136, -v11
	s_delay_alu instid0(VALU_DEP_3) | instskip(SKIP_2) | instid1(VALU_DEP_4)
	v_add_f32_e32 v9, v9, v23
	v_fmac_f32_e32 v35, v221, v132
	v_dual_mul_f32 v19, v233, v145 :: v_dual_fmac_f32 v47, v233, v144
	v_add_f32_e32 v5, v5, v29
	s_delay_alu instid0(VALU_DEP_4)
	v_add_f32_e32 v9, v9, v11
	s_wait_dscnt 0x0
	v_mul_f32_e32 v11, v239, v151
	v_dual_fmac_f32 v45, v231, v142 :: v_dual_mul_f32 v51, v236, v149
	v_mul_f32_e32 v53, v238, v151
	v_add_f32_e32 v5, v5, v31
	v_dual_add_f32 v9, v9, v13 :: v_dual_fma_f32 v19, v232, v144, -v19
	s_wait_loadcnt 0x3
	v_pk_mul_f32 v[108:109], v[176:177], v[160:161] op_sel:[1,1] op_sel_hi:[0,1]
	v_dual_fmac_f32 v39, v225, v136 :: v_dual_fmac_f32 v53, v239, v150
	v_add_f32_e32 v5, v5, v33
	v_add_f32_e32 v9, v9, v15
	v_dual_mul_f32 v15, v191, v155 :: v_dual_mul_f32 v23, v237, v149
	v_fmac_f32_e32 v51, v237, v148
	s_delay_alu instid0(VALU_DEP_4) | instskip(SKIP_3) | instid1(VALU_DEP_3)
	v_add_f32_e32 v5, v5, v35
	v_pk_fma_f32 v[118:119], v[176:177], v[160:161], v[108:109] op_sel_hi:[1,0,1]
	v_dual_add_f32 v9, v9, v17 :: v_dual_fma_f32 v17, v234, v146, -v21
	v_pk_fma_f32 v[108:109], v[176:177], v[160:161], v[108:109] neg_lo:[0,0,1] neg_hi:[0,0,1]
	v_dual_add_f32 v5, v5, v37 :: v_dual_mov_b32 v109, v119
	s_delay_alu instid0(VALU_DEP_3) | instskip(SKIP_1) | instid1(VALU_DEP_3)
	v_dual_add_f32 v9, v9, v19 :: v_dual_fma_f32 v19, v236, v148, -v23
	v_dual_mul_f32 v251, v188, v153 :: v_dual_mul_f32 v253, v190, v155
	v_dual_add_f32 v5, v5, v39 :: v_dual_mov_b32 v110, v163
	v_pk_mul_f32 v[104:105], v[172:173], v[156:157] op_sel:[1,1] op_sel_hi:[0,1]
	v_pk_mul_f32 v[106:107], v[242:243], v[106:107] op_sel_hi:[1,0]
	s_delay_alu instid0(VALU_DEP_3) | instskip(NEXT) | instid1(VALU_DEP_4)
	v_dual_fmac_f32 v253, v191, v154 :: v_dual_add_f32 v5, v5, v41
	v_pk_mul_f32 v[110:111], v[244:245], v[110:111] op_sel_hi:[1,0]
	s_delay_alu instid0(VALU_DEP_4)
	v_pk_fma_f32 v[114:115], v[172:173], v[156:157], v[104:105] op_sel_hi:[1,0,1]
	v_pk_fma_f32 v[104:105], v[172:173], v[156:157], v[104:105] neg_lo:[0,0,1] neg_hi:[0,0,1]
	v_add_f32_e32 v9, v9, v17
	v_add_f32_e32 v5, v5, v43
	v_dual_mul_f32 v13, v189, v153 :: v_dual_fmac_f32 v251, v189, v152
	v_mov_b32_e32 v105, v115
	v_pk_fma_f32 v[114:115], v[174:175], v[158:159], v[106:107] op_sel_hi:[1,0,1]
	s_delay_alu instid0(VALU_DEP_4) | instskip(SKIP_2) | instid1(VALU_DEP_4)
	v_add_f32_e32 v5, v5, v45
	v_pk_fma_f32 v[106:107], v[174:175], v[158:159], v[106:107] neg_lo:[0,0,1] neg_hi:[0,0,1]
	v_dual_fma_f32 v11, v238, v150, -v11 :: v_dual_add_f32 v9, v9, v19
	v_mov_b32_e32 v107, v115
	v_pk_fma_f32 v[114:115], v[178:179], v[162:163], v[110:111] op_sel_hi:[1,0,1]
	v_add_f32_e32 v5, v5, v47
	v_pk_fma_f32 v[110:111], v[178:179], v[162:163], v[110:111] neg_lo:[0,0,1] neg_hi:[0,0,1]
	v_dual_fma_f32 v250, v188, v152, -v13 :: v_dual_add_f32 v112, v9, v11
	s_delay_alu instid0(VALU_DEP_3) | instskip(SKIP_3) | instid1(VALU_DEP_3)
	v_dual_mov_b32 v111, v115 :: v_dual_add_f32 v5, v5, v49
	v_fma_f32 v252, v190, v154, -v15
	s_wait_loadcnt 0x2
	v_pk_mul_f32 v[116:117], v[180:181], v[164:165] op_sel:[1,1] op_sel_hi:[0,1]
	v_add_f32_e32 v5, v5, v51
	s_delay_alu instid0(VALU_DEP_2) | instskip(NEXT) | instid1(VALU_DEP_2)
	v_pk_fma_f32 v[114:115], v[180:181], v[164:165], v[116:117] neg_lo:[0,0,1] neg_hi:[0,0,1]
	v_add_f32_e32 v113, v5, v53
	s_delay_alu instid0(VALU_DEP_1) | instskip(NEXT) | instid1(VALU_DEP_1)
	v_pk_add_f32 v[112:113], v[112:113], v[250:251]
	v_pk_add_f32 v[112:113], v[112:113], v[252:253]
	s_delay_alu instid0(VALU_DEP_1) | instskip(SKIP_1) | instid1(VALU_DEP_2)
	v_pk_add_f32 v[104:105], v[112:113], v[104:105]
	v_mov_b32_e32 v112, v167
	v_pk_add_f32 v[104:105], v[104:105], v[106:107]
	v_pk_fma_f32 v[106:107], v[180:181], v[164:165], v[116:117] op_sel_hi:[1,0,1]
	s_delay_alu instid0(VALU_DEP_3) | instskip(NEXT) | instid1(VALU_DEP_3)
	v_pk_mul_f32 v[112:113], v[246:247], v[112:113] op_sel_hi:[1,0]
	v_pk_add_f32 v[104:105], v[104:105], v[108:109]
	s_delay_alu instid0(VALU_DEP_3) | instskip(NEXT) | instid1(VALU_DEP_3)
	v_mov_b32_e32 v115, v107
	v_pk_fma_f32 v[106:107], v[182:183], v[166:167], v[112:113] op_sel_hi:[1,0,1]
	s_wait_loadcnt 0x1
	v_pk_mul_f32 v[108:109], v[184:185], v[168:169] op_sel:[1,1] op_sel_hi:[0,1]
	v_mov_b32_e32 v106, v171
	v_pk_add_f32 v[104:105], v[104:105], v[110:111]
	v_pk_fma_f32 v[112:113], v[182:183], v[166:167], v[112:113] neg_lo:[0,0,1] neg_hi:[0,0,1]
	v_mov_b32_e32 v113, v107
	v_pk_fma_f32 v[110:111], v[184:185], v[168:169], v[108:109] op_sel_hi:[1,0,1]
	v_pk_mul_f32 v[106:107], v[248:249], v[106:107] op_sel_hi:[1,0]
	v_pk_add_f32 v[104:105], v[104:105], v[114:115]
	v_pk_fma_f32 v[108:109], v[184:185], v[168:169], v[108:109] neg_lo:[0,0,1] neg_hi:[0,0,1]
	s_delay_alu instid0(VALU_DEP_4) | instskip(NEXT) | instid1(VALU_DEP_4)
	v_mov_b32_e32 v109, v111
	v_pk_fma_f32 v[110:111], v[186:187], v[170:171], v[106:107] op_sel_hi:[1,0,1]
	s_delay_alu instid0(VALU_DEP_4) | instskip(SKIP_1) | instid1(VALU_DEP_3)
	v_pk_add_f32 v[104:105], v[104:105], v[112:113]
	v_pk_fma_f32 v[106:107], v[186:187], v[170:171], v[106:107] neg_lo:[0,0,1] neg_hi:[0,0,1]
	v_mov_b32_e32 v107, v111
	s_delay_alu instid0(VALU_DEP_3) | instskip(NEXT) | instid1(VALU_DEP_1)
	v_pk_add_f32 v[104:105], v[104:105], v[108:109]
	v_pk_add_f32 v[104:105], v[104:105], v[106:107]
	s_wait_loadcnt 0x0
	s_delay_alu instid0(VALU_DEP_1)
	v_pk_add_f32 v[104:105], v[240:241], v[104:105] neg_lo:[0,1] neg_hi:[0,1]
	scratch_store_b64 off, v[104:105], off offset:128
	s_wait_xcnt 0x0
	v_cmpx_lt_u32_e32 15, v0
	s_cbranch_execz .LBB50_289
; %bb.288:
	scratch_load_b64 v[104:105], off, off offset:120
	v_mov_b64_e32 v[106:107], 0
	scratch_store_b64 off, v[106:107], off offset:120
	s_wait_loadcnt 0x0
	ds_store_b64 v1, v[104:105]
.LBB50_289:
	s_wait_xcnt 0x0
	s_or_b32 exec_lo, exec_lo, s0
	s_wait_storecnt_dscnt 0x0
	s_barrier_signal -1
	s_barrier_wait -1
	s_clause 0x12
	scratch_load_b128 v[104:107], off, off offset:128
	scratch_load_b128 v[108:111], off, off offset:144
	;; [unrolled: 1-line block ×17, first 2 shown]
	scratch_load_b64 v[240:241], off, off offset:400
	scratch_load_b64 v[242:243], off, off offset:120
	v_mov_b32_e32 v5, 0
	ds_load_b128 v[172:175], v5 offset:752
	ds_load_b128 v[176:179], v5 offset:768
	;; [unrolled: 1-line block ×17, first 2 shown]
	ds_load_b64 v[244:245], v5 offset:816
	s_mov_b32 s0, exec_lo
	s_wait_dscnt 0x11
	v_dual_mov_b32 v246, v175 :: v_dual_mov_b32 v247, v174
	s_wait_dscnt 0x10
	v_dual_mov_b32 v248, v179 :: v_dual_mov_b32 v249, v178
	;; [unrolled: 2-line block ×3, first 2 shown]
	v_dual_mov_b32 v251, v182 :: v_dual_mov_b32 v252, v191
	s_wait_loadcnt_dscnt 0x120c
	v_dual_mul_f32 v9, v192, v105 :: v_dual_mul_f32 v11, v194, v107
	s_wait_loadcnt_dscnt 0x110b
	v_dual_mul_f32 v13, v196, v109 :: v_dual_mul_f32 v61, v195, v107
	;; [unrolled: 2-line block ×3, first 2 shown]
	v_dual_mul_f32 v15, v198, v111 :: v_dual_mul_f32 v17, v200, v113
	v_dual_mul_f32 v59, v193, v105 :: v_dual_fmac_f32 v9, v193, v104
	v_dual_fma_f32 v61, v194, v106, -v61 :: v_dual_mul_f32 v65, v199, v111
	s_wait_loadcnt 0x6
	v_dual_mul_f32 v67, v201, v113 :: v_dual_mul_f32 v255, v186, v155
	s_delay_alu instid0(VALU_DEP_3) | instskip(SKIP_3) | instid1(VALU_DEP_3)
	v_fma_f32 v59, v192, v104, -v59
	v_dual_fmac_f32 v11, v195, v106 :: v_dual_add_f32 v9, 0, v9
	v_dual_fmac_f32 v13, v197, v108 :: v_dual_fma_f32 v63, v196, v108, -v63
	s_wait_dscnt 0x8
	v_dual_add_f32 v59, 0, v59 :: v_dual_mul_f32 v75, v209, v121
	s_delay_alu instid0(VALU_DEP_3) | instskip(SKIP_1) | instid1(VALU_DEP_3)
	v_add_f32_e32 v9, v9, v11
	v_dual_mul_f32 v19, v202, v115 :: v_dual_mul_f32 v21, v204, v117
	v_add_f32_e32 v11, v59, v61
	v_dual_mul_f32 v59, v211, v123 :: v_dual_fma_f32 v61, v198, v110, -v65
	s_delay_alu instid0(VALU_DEP_4) | instskip(SKIP_1) | instid1(VALU_DEP_3)
	v_dual_fmac_f32 v15, v199, v110 :: v_dual_add_f32 v9, v9, v13
	s_wait_dscnt 0x7
	v_dual_add_f32 v11, v11, v63 :: v_dual_mul_f32 v13, v213, v125
	v_dual_mul_f32 v69, v203, v115 :: v_dual_mul_f32 v71, v205, v117
	v_dual_fmac_f32 v17, v201, v112 :: v_dual_fma_f32 v63, v200, v112, -v67
	s_delay_alu instid0(VALU_DEP_3) | instskip(NEXT) | instid1(VALU_DEP_3)
	v_dual_add_f32 v9, v9, v15 :: v_dual_add_f32 v11, v11, v61
	v_dual_mul_f32 v15, v215, v127 :: v_dual_fma_f32 v61, v202, v114, -v69
	s_delay_alu instid0(VALU_DEP_2) | instskip(SKIP_1) | instid1(VALU_DEP_3)
	v_dual_fmac_f32 v19, v203, v114 :: v_dual_add_f32 v9, v9, v17
	s_wait_dscnt 0x6
	v_dual_add_f32 v11, v11, v63 :: v_dual_mul_f32 v17, v217, v129
	v_dual_mul_f32 v23, v206, v119 :: v_dual_mul_f32 v25, v208, v121
	v_dual_fmac_f32 v21, v205, v116 :: v_dual_fma_f32 v63, v204, v116, -v71
	s_delay_alu instid0(VALU_DEP_3) | instskip(SKIP_1) | instid1(VALU_DEP_2)
	v_dual_add_f32 v9, v9, v19 :: v_dual_add_f32 v11, v11, v61
	v_dual_mul_f32 v19, v219, v131 :: v_dual_fma_f32 v61, v206, v118, -v73
	v_dual_fmac_f32 v23, v207, v118 :: v_dual_add_f32 v9, v9, v21
	s_wait_dscnt 0x5
	s_delay_alu instid0(VALU_DEP_3) | instskip(SKIP_2) | instid1(VALU_DEP_3)
	v_dual_add_f32 v11, v11, v63 :: v_dual_mul_f32 v21, v221, v133
	v_dual_mul_f32 v27, v210, v123 :: v_dual_mul_f32 v29, v212, v125
	v_dual_fmac_f32 v25, v209, v120 :: v_dual_fma_f32 v63, v208, v120, -v75
	v_dual_add_f32 v9, v9, v23 :: v_dual_add_f32 v11, v11, v61
	v_dual_mul_f32 v23, v223, v135 :: v_dual_fma_f32 v59, v210, v122, -v59
	s_delay_alu instid0(VALU_DEP_2) | instskip(SKIP_1) | instid1(VALU_DEP_3)
	v_dual_fmac_f32 v27, v211, v122 :: v_dual_add_f32 v9, v9, v25
	s_wait_dscnt 0x4
	v_dual_add_f32 v11, v11, v63 :: v_dual_mul_f32 v25, v225, v137
	v_dual_mul_f32 v31, v214, v127 :: v_dual_mul_f32 v33, v216, v129
	s_delay_alu instid0(VALU_DEP_2) | instskip(SKIP_2) | instid1(VALU_DEP_4)
	v_dual_fmac_f32 v29, v213, v124 :: v_dual_add_f32 v11, v11, v59
	v_dual_fma_f32 v13, v212, v124, -v13 :: v_dual_add_f32 v9, v9, v27
	v_dual_mul_f32 v27, v227, v139 :: v_dual_fma_f32 v15, v214, v126, -v15
	v_fmac_f32_e32 v31, v215, v126
	s_delay_alu instid0(VALU_DEP_3) | instskip(NEXT) | instid1(VALU_DEP_4)
	v_dual_add_f32 v11, v11, v13 :: v_dual_fmac_f32 v33, v217, v128
	v_dual_add_f32 v9, v9, v29 :: v_dual_mul_f32 v35, v218, v131
	v_mul_f32_e32 v37, v220, v133
	s_wait_dscnt 0x3
	v_dual_mul_f32 v13, v229, v141 :: v_dual_fma_f32 v17, v216, v128, -v17
	s_delay_alu instid0(VALU_DEP_3) | instskip(SKIP_1) | instid1(VALU_DEP_2)
	v_dual_add_f32 v9, v9, v31 :: v_dual_fmac_f32 v35, v219, v130
	v_dual_add_f32 v11, v11, v15 :: v_dual_fma_f32 v19, v218, v130, -v19
	v_dual_mul_f32 v15, v231, v143 :: v_dual_add_f32 v9, v9, v33
	v_dual_mul_f32 v39, v222, v135 :: v_dual_mul_f32 v41, v224, v137
	s_delay_alu instid0(VALU_DEP_3) | instskip(SKIP_2) | instid1(VALU_DEP_3)
	v_dual_add_f32 v11, v11, v17 :: v_dual_fmac_f32 v37, v221, v132
	s_wait_dscnt 0x2
	v_dual_mul_f32 v17, v233, v145 :: v_dual_fma_f32 v21, v220, v132, -v21
	v_dual_add_f32 v9, v9, v35 :: v_dual_fmac_f32 v39, v223, v134
	s_delay_alu instid0(VALU_DEP_3) | instskip(NEXT) | instid1(VALU_DEP_2)
	v_dual_add_f32 v11, v11, v19 :: v_dual_fma_f32 v23, v222, v134, -v23
	v_dual_mul_f32 v19, v235, v147 :: v_dual_add_f32 v9, v9, v37
	v_dual_mul_f32 v43, v226, v139 :: v_dual_mul_f32 v45, v228, v141
	s_delay_alu instid0(VALU_DEP_3) | instskip(SKIP_2) | instid1(VALU_DEP_3)
	v_dual_add_f32 v11, v11, v21 :: v_dual_fmac_f32 v41, v225, v136
	s_wait_dscnt 0x1
	v_dual_mul_f32 v21, v237, v149 :: v_dual_fma_f32 v25, v224, v136, -v25
	v_dual_add_f32 v9, v9, v39 :: v_dual_fmac_f32 v43, v227, v138
	s_delay_alu instid0(VALU_DEP_3) | instskip(NEXT) | instid1(VALU_DEP_2)
	v_dual_add_f32 v11, v11, v23 :: v_dual_fma_f32 v27, v226, v138, -v27
	v_dual_mul_f32 v23, v239, v151 :: v_dual_add_f32 v9, v9, v41
	v_dual_mul_f32 v47, v230, v143 :: v_dual_mul_f32 v49, v232, v145
	s_delay_alu instid0(VALU_DEP_3) | instskip(SKIP_1) | instid1(VALU_DEP_3)
	v_dual_add_f32 v11, v11, v25 :: v_dual_fmac_f32 v45, v229, v140
	v_dual_mul_f32 v25, v185, v153 :: v_dual_fma_f32 v13, v228, v140, -v13
	v_dual_add_f32 v9, v9, v43 :: v_dual_fmac_f32 v47, v231, v142
	s_delay_alu instid0(VALU_DEP_3) | instskip(NEXT) | instid1(VALU_DEP_2)
	v_dual_add_f32 v11, v11, v27 :: v_dual_fma_f32 v15, v230, v142, -v15
	v_dual_mul_f32 v27, v187, v155 :: v_dual_add_f32 v9, v9, v45
	v_dual_mul_f32 v51, v234, v147 :: v_dual_mul_f32 v53, v236, v149
	s_delay_alu instid0(VALU_DEP_3) | instskip(SKIP_3) | instid1(VALU_DEP_3)
	v_dual_add_f32 v11, v11, v13 :: v_dual_fmac_f32 v49, v233, v144
	s_wait_loadcnt 0x5
	v_dual_mul_f32 v13, v173, v157 :: v_dual_fma_f32 v17, v232, v144, -v17
	v_dual_add_f32 v9, v9, v47 :: v_dual_mov_b32 v104, v159
	v_dual_add_f32 v11, v11, v15 :: v_dual_fma_f32 v15, v234, v146, -v19
	s_delay_alu instid0(VALU_DEP_2) | instskip(SKIP_1) | instid1(VALU_DEP_3)
	v_dual_fmac_f32 v51, v235, v146 :: v_dual_add_f32 v9, v9, v49
	v_dual_mul_f32 v55, v238, v151 :: v_dual_mul_f32 v57, v184, v153
	v_dual_add_f32 v11, v11, v17 :: v_dual_fmac_f32 v53, v237, v148
	s_delay_alu instid0(VALU_DEP_3) | instskip(SKIP_2) | instid1(VALU_DEP_3)
	v_dual_fma_f32 v17, v236, v148, -v21 :: v_dual_add_f32 v9, v9, v51
	s_wait_loadcnt 0x4
	v_mov_b32_e32 v108, v163
	v_dual_add_f32 v11, v11, v15 :: v_dual_fma_f32 v15, v238, v150, -v23
	v_dual_fmac_f32 v55, v239, v150 :: v_dual_fmac_f32 v57, v185, v152
	v_add_f32_e32 v9, v9, v53
	s_delay_alu instid0(VALU_DEP_3)
	v_dual_add_f32 v11, v11, v17 :: v_dual_fma_f32 v17, v184, v152, -v25
	v_pk_mul_f32 v[104:105], v[246:247], v[104:105] op_sel_hi:[1,0]
	s_set_vgpr_msb 64                       ;  msbs: dst=1 src0=0 src1=0 src2=0
	v_dual_mul_f32 v1 /*v257*/, v172, v157 :: v_dual_fma_f32 v0 /*v256*/, v172, v156, -v13
	s_set_vgpr_msb 0                        ;  msbs: dst=0 src0=0 src1=0 src2=0
	v_dual_add_f32 v9, v9, v55 :: v_dual_fmac_f32 v255, v187, v154
	v_dual_add_f32 v11, v11, v15 :: v_dual_fma_f32 v254, v186, v154, -v27
	v_pk_fma_f32 v[116:117], v[174:175], v[158:159], v[104:105] op_sel_hi:[1,0,1]
	s_wait_loadcnt 0x3
	s_delay_alu instid0(VALU_DEP_3) | instskip(NEXT) | instid1(VALU_DEP_3)
	v_dual_add_f32 v113, v9, v57 :: v_dual_mov_b32 v114, v167
	v_add_f32_e32 v112, v11, v17
	v_pk_fma_f32 v[104:105], v[174:175], v[158:159], v[104:105] neg_lo:[0,0,1] neg_hi:[0,0,1]
	v_pk_mul_f32 v[106:107], v[176:177], v[160:161] op_sel:[1,1] op_sel_hi:[0,1]
	s_set_vgpr_msb 64                       ;  msbs: dst=1 src0=0 src1=0 src2=0
	v_fmac_f32_e32 v1 /*v257*/, v173, v156
	s_set_vgpr_msb 0                        ;  msbs: dst=0 src0=0 src1=0 src2=0
	v_mov_b32_e32 v105, v117
	v_pk_add_f32 v[112:113], v[112:113], v[254:255]
	v_pk_mul_f32 v[108:109], v[248:249], v[108:109] op_sel_hi:[1,0]
	v_pk_fma_f32 v[118:119], v[176:177], v[160:161], v[106:107] op_sel_hi:[1,0,1]
	v_pk_fma_f32 v[106:107], v[176:177], v[160:161], v[106:107] neg_lo:[0,0,1] neg_hi:[0,0,1]
	v_pk_mul_f32 v[110:111], v[180:181], v[164:165] op_sel:[1,1] op_sel_hi:[0,1]
	s_set_vgpr_msb 4                        ;  msbs: dst=0 src0=0 src1=1 src2=0
	v_pk_add_f32 v[112:113], v[112:113], v[0:1] /*v[256:257]*/
	s_set_vgpr_msb 0                        ;  msbs: dst=0 src0=0 src1=0 src2=0
	v_pk_mul_f32 v[114:115], v[250:251], v[114:115] op_sel_hi:[1,0]
	v_mov_b32_e32 v107, v119
	v_pk_fma_f32 v[118:119], v[178:179], v[162:163], v[108:109] op_sel_hi:[1,0,1]
	v_pk_fma_f32 v[108:109], v[178:179], v[162:163], v[108:109] neg_lo:[0,0,1] neg_hi:[0,0,1]
	v_pk_add_f32 v[104:105], v[112:113], v[104:105]
	v_pk_fma_f32 v[112:113], v[180:181], v[164:165], v[110:111] op_sel_hi:[1,0,1]
	v_pk_fma_f32 v[110:111], v[180:181], v[164:165], v[110:111] neg_lo:[0,0,1] neg_hi:[0,0,1]
	v_mov_b32_e32 v109, v119
	s_wait_loadcnt 0x2
	v_pk_mul_f32 v[116:117], v[188:189], v[168:169] op_sel:[1,1] op_sel_hi:[0,1]
	v_pk_add_f32 v[104:105], v[104:105], v[106:107]
	v_dual_mov_b32 v106, v171 :: v_dual_mov_b32 v111, v113
	v_pk_fma_f32 v[112:113], v[182:183], v[166:167], v[114:115] op_sel_hi:[1,0,1]
	v_pk_fma_f32 v[114:115], v[182:183], v[166:167], v[114:115] neg_lo:[0,0,1] neg_hi:[0,0,1]
	s_delay_alu instid0(VALU_DEP_4)
	v_pk_add_f32 v[104:105], v[104:105], v[108:109]
	v_pk_fma_f32 v[108:109], v[188:189], v[168:169], v[116:117] op_sel_hi:[1,0,1]
	v_pk_mul_f32 v[106:107], v[252:253], v[106:107] op_sel_hi:[1,0]
	v_mov_b32_e32 v115, v113
	s_wait_loadcnt_dscnt 0x100
	v_pk_mul_f32 v[112:113], v[244:245], v[240:241] op_sel:[1,1] op_sel_hi:[0,1]
	v_pk_add_f32 v[104:105], v[104:105], v[110:111]
	v_pk_fma_f32 v[110:111], v[188:189], v[168:169], v[116:117] neg_lo:[0,0,1] neg_hi:[0,0,1]
	v_mov_b32_e32 v111, v109
	v_pk_fma_f32 v[108:109], v[190:191], v[170:171], v[106:107] op_sel_hi:[1,0,1]
	v_pk_fma_f32 v[106:107], v[190:191], v[170:171], v[106:107] neg_lo:[0,0,1] neg_hi:[0,0,1]
	v_pk_add_f32 v[104:105], v[104:105], v[114:115]
	s_delay_alu instid0(VALU_DEP_3) | instskip(SKIP_1) | instid1(VALU_DEP_3)
	v_mov_b32_e32 v107, v109
	v_pk_fma_f32 v[108:109], v[244:245], v[240:241], v[112:113] op_sel_hi:[1,0,1]
	v_pk_add_f32 v[104:105], v[104:105], v[110:111]
	v_pk_fma_f32 v[110:111], v[244:245], v[240:241], v[112:113] neg_lo:[0,0,1] neg_hi:[0,0,1]
	s_delay_alu instid0(VALU_DEP_3) | instskip(NEXT) | instid1(VALU_DEP_3)
	v_mov_b32_e32 v111, v109
	v_pk_add_f32 v[104:105], v[104:105], v[106:107]
	s_delay_alu instid0(VALU_DEP_1) | instskip(SKIP_1) | instid1(VALU_DEP_1)
	v_pk_add_f32 v[104:105], v[104:105], v[110:111]
	s_wait_loadcnt 0x0
	v_pk_add_f32 v[104:105], v[242:243], v[104:105] neg_lo:[0,1] neg_hi:[0,1]
	scratch_store_b64 off, v[104:105], off offset:120
	s_wait_xcnt 0x0
	v_cmpx_lt_u32_e32 14, v0
	s_cbranch_execz .LBB50_291
; %bb.290:
	scratch_load_b64 v[104:105], off, off offset:112
	v_mov_b64_e32 v[106:107], 0
	scratch_store_b64 off, v[106:107], off offset:112
	s_wait_loadcnt 0x0
	ds_store_b64 v1, v[104:105]
.LBB50_291:
	s_wait_xcnt 0x0
	s_or_b32 exec_lo, exec_lo, s0
	s_wait_storecnt_dscnt 0x0
	s_barrier_signal -1
	s_barrier_wait -1
	s_clause 0x12
	scratch_load_b128 v[104:107], off, off offset:120
	scratch_load_b128 v[108:111], off, off offset:136
	;; [unrolled: 1-line block ×18, first 2 shown]
	scratch_load_b64 v[248:249], off, off offset:112
	ds_load_2addr_b64 v[176:179], v5 offset0:95 offset1:96
	ds_load_2addr_b64 v[180:183], v5 offset0:97 offset1:98
	;; [unrolled: 1-line block ×18, first 2 shown]
	s_mov_b32 s0, exec_lo
	s_wait_dscnt 0x11
	v_dual_mov_b32 v250, v179 :: v_dual_mov_b32 v251, v178
	s_wait_dscnt 0x10
	v_dual_mov_b32 v252, v183 :: v_dual_mov_b32 v253, v182
	s_wait_dscnt 0xf
	v_dual_mov_b32 v254, v187 :: v_dual_mov_b32 v255, v186
	s_wait_dscnt 0xe
	s_set_vgpr_msb 64                       ;  msbs: dst=1 src0=0 src1=0 src2=0
	v_dual_mov_b32 v0 /*v256*/, v191 :: v_dual_mov_b32 v1 /*v257*/, v190
	s_wait_loadcnt_dscnt 0x120d
	s_set_vgpr_msb 0                        ;  msbs: dst=0 src0=0 src1=0 src2=0
	v_dual_mul_f32 v5, v192, v105 :: v_dual_mul_f32 v9, v194, v107
	v_dual_mul_f32 v59, v193, v105 :: v_dual_mul_f32 v61, v195, v107
	s_wait_loadcnt_dscnt 0x110c
	v_dual_mul_f32 v11, v196, v109 :: v_dual_mul_f32 v13, v198, v111
	s_delay_alu instid0(VALU_DEP_2) | instskip(SKIP_3) | instid1(VALU_DEP_3)
	v_dual_fmac_f32 v5, v193, v104 :: v_dual_fma_f32 v59, v192, v104, -v59
	v_dual_mul_f32 v63, v197, v109 :: v_dual_mul_f32 v65, v199, v111
	s_wait_loadcnt_dscnt 0xf0a
	v_dual_mul_f32 v71, v205, v117 :: v_dual_fmac_f32 v9, v195, v106
	v_dual_fma_f32 v61, v194, v106, -v61 :: v_dual_add_f32 v5, 0, v5
	v_dual_add_f32 v59, 0, v59 :: v_dual_fmac_f32 v11, v197, v108
	v_dual_mul_f32 v73, v207, v119 :: v_dual_fma_f32 v63, v196, v108, -v63
	s_delay_alu instid0(VALU_DEP_3) | instskip(NEXT) | instid1(VALU_DEP_3)
	v_dual_add_f32 v5, v5, v9 :: v_dual_fmac_f32 v13, v199, v110
	v_dual_add_f32 v9, v59, v61 :: v_dual_fma_f32 v61, v198, v110, -v65
	v_dual_mul_f32 v15, v200, v113 :: v_dual_mul_f32 v17, v202, v115
	v_dual_mul_f32 v67, v201, v113 :: v_dual_mul_f32 v69, v203, v115
	s_delay_alu instid0(VALU_DEP_3) | instskip(NEXT) | instid1(VALU_DEP_3)
	v_add_f32_e32 v9, v9, v63
	v_dual_add_f32 v5, v5, v11 :: v_dual_fmac_f32 v17, v203, v114
	s_wait_loadcnt_dscnt 0xe09
	s_delay_alu instid0(VALU_DEP_3) | instskip(NEXT) | instid1(VALU_DEP_3)
	v_dual_fma_f32 v63, v200, v112, -v67 :: v_dual_mul_f32 v59, v209, v121
	v_dual_mul_f32 v11, v211, v123 :: v_dual_add_f32 v9, v9, v61
	v_dual_fmac_f32 v15, v201, v112 :: v_dual_fma_f32 v61, v202, v114, -v69
	v_add_f32_e32 v5, v5, v13
	v_dual_mul_f32 v19, v204, v117 :: v_dual_mul_f32 v21, v206, v119
	s_delay_alu instid0(VALU_DEP_4) | instskip(NEXT) | instid1(VALU_DEP_3)
	v_dual_add_f32 v9, v9, v63 :: v_dual_fma_f32 v59, v208, v120, -v59
	v_dual_add_f32 v5, v5, v15 :: v_dual_fma_f32 v63, v204, v116, -v71
	v_dual_mul_f32 v23, v208, v121 :: v_dual_mul_f32 v25, v210, v123
	s_delay_alu instid0(VALU_DEP_3) | instskip(SKIP_2) | instid1(VALU_DEP_3)
	v_dual_add_f32 v9, v9, v61 :: v_dual_fma_f32 v11, v210, v122, -v11
	s_wait_loadcnt_dscnt 0xd08
	v_dual_mul_f32 v27, v212, v125 :: v_dual_mul_f32 v29, v214, v127
	v_dual_fmac_f32 v19, v205, v116 :: v_dual_fmac_f32 v25, v211, v122
	v_dual_fma_f32 v61, v206, v118, -v73 :: v_dual_add_f32 v5, v5, v17
	s_delay_alu instid0(VALU_DEP_3)
	v_dual_add_f32 v9, v9, v63 :: v_dual_fmac_f32 v29, v215, v126
	s_wait_loadcnt_dscnt 0xc07
	v_dual_mul_f32 v31, v216, v129 :: v_dual_mul_f32 v33, v218, v131
	v_dual_mul_f32 v13, v213, v125 :: v_dual_fmac_f32 v21, v207, v118
	v_mul_f32_e32 v17, v217, v129
	v_add_f32_e32 v5, v5, v19
	v_dual_add_f32 v9, v9, v61 :: v_dual_mul_f32 v15, v215, v127
	s_delay_alu instid0(VALU_DEP_4) | instskip(NEXT) | instid1(VALU_DEP_3)
	v_fma_f32 v13, v212, v124, -v13
	v_dual_fmac_f32 v33, v219, v130 :: v_dual_add_f32 v5, v5, v21
	s_wait_loadcnt_dscnt 0xb06
	v_mul_f32_e32 v21, v221, v133
	s_wait_loadcnt_dscnt 0xa05
	v_dual_add_f32 v9, v9, v59 :: v_dual_mul_f32 v39, v224, v137
	v_dual_mul_f32 v41, v226, v139 :: v_dual_fmac_f32 v23, v209, v120
	s_delay_alu instid0(VALU_DEP_2) | instskip(SKIP_3) | instid1(VALU_DEP_3)
	v_dual_fma_f32 v21, v220, v132, -v21 :: v_dual_add_f32 v9, v9, v11
	s_wait_loadcnt_dscnt 0x904
	v_dual_fma_f32 v15, v214, v126, -v15 :: v_dual_mul_f32 v43, v228, v141
	v_mul_f32_e32 v45, v230, v143
	v_dual_mul_f32 v19, v219, v131 :: v_dual_add_f32 v9, v9, v13
	v_dual_fmac_f32 v41, v227, v138 :: v_dual_mul_f32 v13, v227, v139
	s_delay_alu instid0(VALU_DEP_2) | instskip(SKIP_1) | instid1(VALU_DEP_4)
	v_dual_add_f32 v5, v5, v23 :: v_dual_fma_f32 v19, v218, v130, -v19
	v_dual_mul_f32 v23, v223, v135 :: v_dual_fma_f32 v17, v216, v128, -v17
	v_add_f32_e32 v9, v9, v15
	v_dual_mul_f32 v15, v229, v141 :: v_dual_fmac_f32 v43, v229, v140
	v_dual_fmac_f32 v27, v213, v124 :: v_dual_mul_f32 v35, v220, v133
	s_delay_alu instid0(VALU_DEP_2) | instskip(NEXT) | instid1(VALU_DEP_4)
	v_dual_mul_f32 v37, v222, v135 :: v_dual_fma_f32 v15, v228, v140, -v15
	v_dual_add_f32 v9, v9, v17 :: v_dual_mul_f32 v17, v231, v143
	s_wait_loadcnt_dscnt 0x803
	v_dual_mul_f32 v47, v232, v145 :: v_dual_mul_f32 v49, v234, v147
	s_delay_alu instid0(VALU_DEP_3) | instskip(NEXT) | instid1(VALU_DEP_3)
	v_dual_add_f32 v5, v5, v25 :: v_dual_fmac_f32 v37, v223, v134
	v_dual_fma_f32 v17, v230, v142, -v17 :: v_dual_add_f32 v9, v9, v19
	s_delay_alu instid0(VALU_DEP_3) | instskip(SKIP_2) | instid1(VALU_DEP_4)
	v_dual_fmac_f32 v49, v235, v146 :: v_dual_mul_f32 v11, v225, v137
	v_fma_f32 v23, v222, v134, -v23
	v_dual_fmac_f32 v31, v217, v128 :: v_dual_fma_f32 v13, v226, v138, -v13
	v_dual_add_f32 v9, v9, v21 :: v_dual_mul_f32 v21, v235, v147
	s_delay_alu instid0(VALU_DEP_4) | instskip(SKIP_1) | instid1(VALU_DEP_3)
	v_dual_add_f32 v5, v5, v27 :: v_dual_fma_f32 v11, v224, v136, -v11
	v_fmac_f32_e32 v35, v221, v132
	v_add_f32_e32 v9, v9, v23
	v_dual_mul_f32 v19, v233, v145 :: v_dual_fmac_f32 v47, v233, v144
	s_delay_alu instid0(VALU_DEP_4) | instskip(NEXT) | instid1(VALU_DEP_3)
	v_dual_add_f32 v5, v5, v29 :: v_dual_fmac_f32 v45, v231, v142
	v_add_f32_e32 v9, v9, v11
	s_wait_loadcnt_dscnt 0x702
	v_mul_f32_e32 v11, v239, v151
	s_wait_loadcnt 0x4
	v_pk_mul_f32 v[104:105], v[176:177], v[160:161] op_sel:[1,1] op_sel_hi:[0,1]
	v_dual_add_f32 v5, v5, v31 :: v_dual_mul_f32 v51, v236, v149
	v_dual_mul_f32 v53, v238, v151 :: v_dual_add_f32 v9, v9, v13
	s_delay_alu instid0(VALU_DEP_2) | instskip(NEXT) | instid1(VALU_DEP_4)
	v_dual_fma_f32 v19, v232, v144, -v19 :: v_dual_add_f32 v5, v5, v33
	v_pk_fma_f32 v[114:115], v[176:177], v[160:161], v[104:105] op_sel_hi:[1,0,1]
	s_delay_alu instid0(VALU_DEP_3) | instskip(NEXT) | instid1(VALU_DEP_4)
	v_dual_fmac_f32 v39, v225, v136 :: v_dual_fmac_f32 v53, v239, v150
	v_add_f32_e32 v9, v9, v15
	s_wait_dscnt 0x1
	v_mul_f32_e32 v15, v243, v155
	v_dual_add_f32 v5, v5, v35 :: v_dual_fma_f32 v21, v234, v146, -v21
	v_dual_mul_f32 v23, v237, v149 :: v_dual_fmac_f32 v51, v237, v148
	v_dual_mul_f32 v55, v240, v153 :: v_dual_mul_f32 v57, v242, v155
	s_delay_alu instid0(VALU_DEP_2) | instskip(SKIP_2) | instid1(VALU_DEP_2)
	v_dual_add_f32 v5, v5, v37 :: v_dual_fma_f32 v23, v236, v148, -v23
	s_wait_loadcnt 0x3
	v_dual_mov_b32 v106, v163 :: v_dual_mov_b32 v110, v167
	v_dual_fmac_f32 v57, v243, v154 :: v_dual_add_f32 v5, v5, v39
	v_pk_fma_f32 v[104:105], v[176:177], v[160:161], v[104:105] neg_lo:[0,0,1] neg_hi:[0,0,1]
	s_delay_alu instid0(VALU_DEP_3) | instskip(SKIP_1) | instid1(VALU_DEP_4)
	v_pk_mul_f32 v[106:107], v[250:251], v[106:107] op_sel_hi:[1,0]
	v_dual_mov_b32 v105, v115 :: v_dual_add_f32 v9, v9, v17
	v_add_f32_e32 v5, v5, v41
	v_pk_mul_f32 v[110:111], v[252:253], v[110:111] op_sel_hi:[1,0]
	s_delay_alu instid0(VALU_DEP_4)
	v_pk_fma_f32 v[114:115], v[178:179], v[162:163], v[106:107] op_sel_hi:[1,0,1]
	v_pk_fma_f32 v[106:107], v[178:179], v[162:163], v[106:107] neg_lo:[0,0,1] neg_hi:[0,0,1]
	v_add_f32_e32 v9, v9, v19
	v_add_f32_e32 v5, v5, v43
	v_dual_mul_f32 v13, v241, v153 :: v_dual_fmac_f32 v55, v241, v152
	v_mov_b32_e32 v107, v115
	v_pk_fma_f32 v[114:115], v[182:183], v[166:167], v[110:111] op_sel_hi:[1,0,1]
	s_delay_alu instid0(VALU_DEP_4) | instskip(SKIP_2) | instid1(VALU_DEP_3)
	v_add_f32_e32 v5, v5, v45
	v_pk_fma_f32 v[110:111], v[182:183], v[166:167], v[110:111] neg_lo:[0,0,1] neg_hi:[0,0,1]
	v_dual_add_f32 v9, v9, v21 :: v_dual_fma_f32 v11, v238, v150, -v11
	v_dual_mov_b32 v111, v115 :: v_dual_add_f32 v5, v5, v47
	s_delay_alu instid0(VALU_DEP_2)
	v_dual_fma_f32 v13, v240, v152, -v13 :: v_dual_add_f32 v9, v9, v23
	v_pk_mul_f32 v[108:109], v[180:181], v[164:165] op_sel:[1,1] op_sel_hi:[0,1]
	s_wait_dscnt 0x0
	s_set_vgpr_msb 64                       ;  msbs: dst=1 src0=0 src1=0 src2=0
	v_dual_mul_f32 v3 /*v259*/, v244, v157 :: v_dual_mul_f32 v5 /*v261*/, v246, v159
	s_set_vgpr_msb 0                        ;  msbs: dst=0 src0=0 src1=0 src2=0
	v_add_f32_e32 v5, v5, v49
	v_dual_add_f32 v9, v9, v11 :: v_dual_fma_f32 v11, v242, v154, -v15
	v_pk_fma_f32 v[118:119], v[180:181], v[164:165], v[108:109] op_sel_hi:[1,0,1]
	v_mul_f32_e32 v17, v245, v157
	s_delay_alu instid0(VALU_DEP_4) | instskip(NEXT) | instid1(VALU_DEP_4)
	v_add_f32_e32 v5, v5, v51
	v_add_f32_e32 v9, v9, v13
	v_pk_fma_f32 v[108:109], v[180:181], v[164:165], v[108:109] neg_lo:[0,0,1] neg_hi:[0,0,1]
	v_mul_f32_e32 v19, v247, v159
	s_set_vgpr_msb 64                       ;  msbs: dst=1 src0=0 src1=0 src2=0
	v_dual_fmac_f32 v3 /*v259*/, v245, v156 :: v_dual_fmac_f32 v5 /*v261*/, v247, v158
	s_set_vgpr_msb 0                        ;  msbs: dst=0 src0=0 src1=0 src2=0
	v_add_f32_e32 v5, v5, v53
	v_dual_add_f32 v112, v9, v11 :: v_dual_mov_b32 v109, v119
	s_set_vgpr_msb 64                       ;  msbs: dst=1 src0=0 src1=0 src2=0
	v_dual_fma_f32 v2 /*v258*/, v244, v156, -v17 :: v_dual_fma_f32 v4 /*v260*/, v246, v158, -v19
	s_set_vgpr_msb 0                        ;  msbs: dst=0 src0=0 src1=0 src2=0
	v_add_f32_e32 v5, v5, v55
	s_wait_loadcnt 0x2
	v_pk_mul_f32 v[116:117], v[184:185], v[168:169] op_sel:[1,1] op_sel_hi:[0,1]
	s_delay_alu instid0(VALU_DEP_2) | instskip(NEXT) | instid1(VALU_DEP_2)
	v_add_f32_e32 v113, v5, v57
	v_pk_fma_f32 v[114:115], v[184:185], v[168:169], v[116:117] neg_lo:[0,0,1] neg_hi:[0,0,1]
	s_set_vgpr_msb 4                        ;  msbs: dst=0 src0=0 src1=1 src2=0
	s_delay_alu instid0(VALU_DEP_2) | instskip(NEXT) | instid1(VALU_DEP_1)
	v_pk_add_f32 v[112:113], v[112:113], v[2:3] /*v[258:259]*/
	v_pk_add_f32 v[112:113], v[112:113], v[4:5] /*v[260:261]*/
	s_set_vgpr_msb 0                        ;  msbs: dst=0 src0=0 src1=0 src2=0
	s_delay_alu instid0(VALU_DEP_1) | instskip(SKIP_1) | instid1(VALU_DEP_2)
	v_pk_add_f32 v[104:105], v[112:113], v[104:105]
	v_mov_b32_e32 v112, v171
	v_pk_add_f32 v[104:105], v[104:105], v[106:107]
	v_pk_fma_f32 v[106:107], v[184:185], v[168:169], v[116:117] op_sel_hi:[1,0,1]
	s_delay_alu instid0(VALU_DEP_3) | instskip(NEXT) | instid1(VALU_DEP_3)
	v_pk_mul_f32 v[112:113], v[254:255], v[112:113] op_sel_hi:[1,0]
	v_pk_add_f32 v[104:105], v[104:105], v[108:109]
	s_delay_alu instid0(VALU_DEP_3) | instskip(NEXT) | instid1(VALU_DEP_3)
	v_mov_b32_e32 v115, v107
	v_pk_fma_f32 v[106:107], v[186:187], v[170:171], v[112:113] op_sel_hi:[1,0,1]
	s_wait_loadcnt 0x1
	v_pk_mul_f32 v[108:109], v[188:189], v[172:173] op_sel:[1,1] op_sel_hi:[0,1]
	v_mov_b32_e32 v106, v175
	v_pk_add_f32 v[104:105], v[104:105], v[110:111]
	v_pk_fma_f32 v[112:113], v[186:187], v[170:171], v[112:113] neg_lo:[0,0,1] neg_hi:[0,0,1]
	v_mov_b32_e32 v113, v107
	v_pk_fma_f32 v[110:111], v[188:189], v[172:173], v[108:109] op_sel_hi:[1,0,1]
	s_set_vgpr_msb 1                        ;  msbs: dst=0 src0=1 src1=0 src2=0
	v_pk_mul_f32 v[106:107], v[0:1] /*v[256:257]*/, v[106:107] op_sel_hi:[1,0]
	s_set_vgpr_msb 0                        ;  msbs: dst=0 src0=0 src1=0 src2=0
	v_pk_add_f32 v[104:105], v[104:105], v[114:115]
	v_pk_fma_f32 v[108:109], v[188:189], v[172:173], v[108:109] neg_lo:[0,0,1] neg_hi:[0,0,1]
	v_mov_b32_e32 v109, v111
	v_pk_fma_f32 v[110:111], v[190:191], v[174:175], v[106:107] op_sel_hi:[1,0,1]
	s_delay_alu instid0(VALU_DEP_4) | instskip(SKIP_1) | instid1(VALU_DEP_3)
	v_pk_add_f32 v[104:105], v[104:105], v[112:113]
	v_pk_fma_f32 v[106:107], v[190:191], v[174:175], v[106:107] neg_lo:[0,0,1] neg_hi:[0,0,1]
	v_mov_b32_e32 v107, v111
	s_delay_alu instid0(VALU_DEP_3) | instskip(NEXT) | instid1(VALU_DEP_1)
	v_pk_add_f32 v[104:105], v[104:105], v[108:109]
	v_pk_add_f32 v[104:105], v[104:105], v[106:107]
	s_wait_loadcnt 0x0
	s_delay_alu instid0(VALU_DEP_1)
	v_pk_add_f32 v[104:105], v[248:249], v[104:105] neg_lo:[0,1] neg_hi:[0,1]
	scratch_store_b64 off, v[104:105], off offset:112
	s_wait_xcnt 0x0
	v_cmpx_lt_u32_e32 13, v0
	s_cbranch_execz .LBB50_293
; %bb.292:
	scratch_load_b64 v[104:105], off, off offset:104
	v_mov_b64_e32 v[106:107], 0
	scratch_store_b64 off, v[106:107], off offset:104
	s_wait_loadcnt 0x0
	ds_store_b64 v1, v[104:105]
.LBB50_293:
	s_wait_xcnt 0x0
	s_or_b32 exec_lo, exec_lo, s0
	s_wait_storecnt_dscnt 0x0
	s_barrier_signal -1
	s_barrier_wait -1
	s_clause 0x13
	scratch_load_b128 v[104:107], off, off offset:112
	scratch_load_b128 v[108:111], off, off offset:128
	;; [unrolled: 1-line block ×18, first 2 shown]
	scratch_load_b64 v[248:249], off, off offset:400
	scratch_load_b64 v[250:251], off, off offset:104
	v_mov_b32_e32 v5, 0
	ds_load_b128 v[176:179], v5 offset:752
	ds_load_b128 v[180:183], v5 offset:768
	ds_load_b128 v[184:187], v5 offset:784
	ds_load_b128 v[188:191], v5 offset:528
	ds_load_b128 v[192:195], v5 offset:544
	ds_load_b128 v[196:199], v5 offset:800
	ds_load_b128 v[200:203], v5 offset:560
	ds_load_b128 v[204:207], v5 offset:576
	ds_load_b128 v[208:211], v5 offset:592
	ds_load_b128 v[212:215], v5 offset:608
	ds_load_b128 v[216:219], v5 offset:624
	ds_load_b128 v[220:223], v5 offset:640
	ds_load_b128 v[224:227], v5 offset:656
	ds_load_b128 v[228:231], v5 offset:672
	ds_load_b128 v[232:235], v5 offset:688
	ds_load_b128 v[236:239], v5 offset:704
	ds_load_b128 v[240:243], v5 offset:720
	ds_load_b128 v[244:247], v5 offset:736
	ds_load_b64 v[252:253], v5 offset:816
	s_mov_b32 s0, exec_lo
	s_wait_dscnt 0x12
	v_dual_mov_b32 v255, v178 :: v_dual_mov_b32 v254, v179
	s_wait_dscnt 0x11
	s_set_vgpr_msb 64                       ;  msbs: dst=1 src0=0 src1=0 src2=0
	v_dual_mov_b32 v0 /*v256*/, v183 :: v_dual_mov_b32 v1 /*v257*/, v182
	s_wait_dscnt 0x10
	v_dual_mov_b32 v2 /*v258*/, v187 :: v_dual_mov_b32 v3 /*v259*/, v186
	s_wait_dscnt 0xd
	v_dual_mov_b32 v4 /*v260*/, v199 :: v_dual_mov_b32 v5 /*v261*/, v198
	s_wait_loadcnt 0x13
	s_set_vgpr_msb 0                        ;  msbs: dst=0 src0=0 src1=0 src2=0
	v_dual_mul_f32 v9, v188, v105 :: v_dual_mul_f32 v63, v189, v105
	v_dual_mul_f32 v65, v191, v107 :: v_dual_mul_f32 v11, v190, v107
	s_wait_loadcnt 0x12
	v_mul_f32_e32 v13, v192, v109
	s_wait_loadcnt_dscnt 0x100b
	v_dual_mul_f32 v75, v205, v117 :: v_dual_fma_f32 v63, v188, v104, -v63
	v_dual_fmac_f32 v9, v189, v104 :: v_dual_mul_f32 v77, v207, v119
	v_dual_mul_f32 v67, v193, v109 :: v_dual_mul_f32 v69, v195, v111
	v_dual_fmac_f32 v11, v191, v106 :: v_dual_fma_f32 v65, v190, v106, -v65
	s_delay_alu instid0(VALU_DEP_3) | instskip(SKIP_4) | instid1(VALU_DEP_3)
	v_dual_add_f32 v9, 0, v9 :: v_dual_add_f32 v63, 0, v63
	v_dual_mul_f32 v15, v194, v111 :: v_dual_mul_f32 v17, v200, v113
	s_wait_loadcnt_dscnt 0xf0a
	v_dual_mul_f32 v79, v209, v121 :: v_dual_fma_f32 v67, v192, v108, -v67
	v_fmac_f32_e32 v13, v193, v108
	v_dual_add_f32 v9, v9, v11 :: v_dual_fmac_f32 v15, v195, v110
	v_add_f32_e32 v11, v63, v65
	v_dual_mul_f32 v71, v201, v113 :: v_dual_mul_f32 v73, v203, v115
	v_dual_mul_f32 v63, v211, v123 :: v_dual_fma_f32 v65, v194, v110, -v69
	s_delay_alu instid0(VALU_DEP_3) | instskip(SKIP_3) | instid1(VALU_DEP_3)
	v_dual_add_f32 v9, v9, v13 :: v_dual_add_f32 v11, v11, v67
	v_dual_mul_f32 v19, v202, v115 :: v_dual_mul_f32 v21, v204, v117
	s_wait_loadcnt_dscnt 0xe09
	v_dual_mul_f32 v13, v213, v125 :: v_dual_fma_f32 v67, v200, v112, -v71
	v_dual_fmac_f32 v17, v201, v112 :: v_dual_add_f32 v11, v11, v65
	s_delay_alu instid0(VALU_DEP_3) | instskip(SKIP_1) | instid1(VALU_DEP_2)
	v_dual_add_f32 v9, v9, v15 :: v_dual_fmac_f32 v19, v203, v114
	v_dual_mul_f32 v15, v215, v127 :: v_dual_fma_f32 v65, v202, v114, -v73
	v_dual_add_f32 v11, v11, v67 :: v_dual_add_f32 v9, v9, v17
	v_dual_mul_f32 v23, v206, v119 :: v_dual_mul_f32 v25, v208, v121
	s_wait_loadcnt_dscnt 0xd08
	v_dual_mul_f32 v17, v217, v129 :: v_dual_fma_f32 v67, v204, v116, -v75
	s_delay_alu instid0(VALU_DEP_3) | instskip(NEXT) | instid1(VALU_DEP_3)
	v_dual_fmac_f32 v21, v205, v116 :: v_dual_add_f32 v11, v11, v65
	v_dual_add_f32 v9, v9, v19 :: v_dual_fmac_f32 v23, v207, v118
	v_dual_mul_f32 v19, v219, v131 :: v_dual_fma_f32 v65, v206, v118, -v77
	s_delay_alu instid0(VALU_DEP_2) | instskip(SKIP_3) | instid1(VALU_DEP_3)
	v_dual_add_f32 v11, v11, v67 :: v_dual_add_f32 v9, v9, v21
	v_dual_mul_f32 v27, v210, v123 :: v_dual_mul_f32 v29, v212, v125
	s_wait_loadcnt_dscnt 0xc07
	v_dual_mul_f32 v21, v221, v133 :: v_dual_fma_f32 v67, v208, v120, -v79
	v_dual_fmac_f32 v25, v209, v120 :: v_dual_add_f32 v11, v11, v65
	s_delay_alu instid0(VALU_DEP_3) | instskip(SKIP_1) | instid1(VALU_DEP_2)
	v_dual_add_f32 v9, v9, v23 :: v_dual_fmac_f32 v27, v211, v122
	v_dual_mul_f32 v23, v223, v135 :: v_dual_fma_f32 v63, v210, v122, -v63
	v_dual_add_f32 v11, v11, v67 :: v_dual_add_f32 v9, v9, v25
	v_dual_mul_f32 v31, v214, v127 :: v_dual_mul_f32 v33, v216, v129
	s_wait_loadcnt_dscnt 0xb06
	v_dual_mul_f32 v25, v225, v137 :: v_dual_fma_f32 v13, v212, v124, -v13
	s_delay_alu instid0(VALU_DEP_3) | instskip(NEXT) | instid1(VALU_DEP_3)
	v_dual_fmac_f32 v29, v213, v124 :: v_dual_add_f32 v11, v11, v63
	v_dual_add_f32 v9, v9, v27 :: v_dual_fmac_f32 v31, v215, v126
	v_dual_mul_f32 v27, v227, v139 :: v_dual_fma_f32 v15, v214, v126, -v15
	s_delay_alu instid0(VALU_DEP_3) | instskip(NEXT) | instid1(VALU_DEP_3)
	v_dual_add_f32 v11, v11, v13 :: v_dual_fmac_f32 v33, v217, v128
	v_dual_add_f32 v9, v9, v29 :: v_dual_fma_f32 v17, v216, v128, -v17
	v_dual_mul_f32 v35, v218, v131 :: v_dual_mul_f32 v37, v220, v133
	s_wait_loadcnt_dscnt 0xa05
	s_delay_alu instid0(VALU_DEP_3) | instskip(NEXT) | instid1(VALU_DEP_2)
	v_dual_mul_f32 v13, v229, v141 :: v_dual_add_f32 v11, v11, v15
	v_dual_add_f32 v9, v9, v31 :: v_dual_fmac_f32 v35, v219, v130
	v_dual_mul_f32 v15, v231, v143 :: v_dual_fma_f32 v19, v218, v130, -v19
	s_delay_alu instid0(VALU_DEP_3) | instskip(NEXT) | instid1(VALU_DEP_3)
	v_dual_add_f32 v11, v11, v17 :: v_dual_fmac_f32 v37, v221, v132
	v_dual_add_f32 v9, v9, v33 :: v_dual_fma_f32 v21, v220, v132, -v21
	v_dual_mul_f32 v39, v222, v135 :: v_dual_mul_f32 v41, v224, v137
	s_wait_loadcnt_dscnt 0x904
	s_delay_alu instid0(VALU_DEP_3) | instskip(NEXT) | instid1(VALU_DEP_2)
	v_dual_mul_f32 v17, v233, v145 :: v_dual_add_f32 v11, v11, v19
	;; [unrolled: 9-line block ×5, first 2 shown]
	v_dual_add_f32 v9, v9, v47 :: v_dual_fmac_f32 v51, v235, v146
	v_dual_mul_f32 v15, v247, v159 :: v_dual_fma_f32 v19, v234, v146, -v19
	s_delay_alu instid0(VALU_DEP_3) | instskip(NEXT) | instid1(VALU_DEP_3)
	v_dual_add_f32 v11, v11, v17 :: v_dual_fmac_f32 v53, v237, v148
	v_dual_add_f32 v9, v9, v49 :: v_dual_fma_f32 v21, v236, v148, -v21
	v_dual_mul_f32 v55, v238, v151 :: v_dual_mul_f32 v57, v240, v153
	s_wait_loadcnt 0x5
	s_delay_alu instid0(VALU_DEP_3) | instskip(NEXT) | instid1(VALU_DEP_3)
	v_dual_mul_f32 v17, v177, v161 :: v_dual_add_f32 v11, v11, v19
	v_dual_add_f32 v9, v9, v51 :: v_dual_mov_b32 v104, v163
	s_delay_alu instid0(VALU_DEP_3) | instskip(NEXT) | instid1(VALU_DEP_3)
	v_fmac_f32_e32 v55, v239, v150
	v_dual_fma_f32 v19, v238, v150, -v23 :: v_dual_add_f32 v11, v11, v21
	s_delay_alu instid0(VALU_DEP_3) | instskip(SKIP_1) | instid1(VALU_DEP_3)
	v_dual_add_f32 v9, v9, v53 :: v_dual_mul_f32 v59, v242, v155
	v_dual_mul_f32 v61, v244, v157 :: v_dual_fmac_f32 v57, v241, v152
	v_dual_add_f32 v11, v11, v19 :: v_dual_fma_f32 v21, v240, v152, -v25
	s_wait_loadcnt 0x4
	s_delay_alu instid0(VALU_DEP_3) | instskip(SKIP_3) | instid1(VALU_DEP_4)
	v_dual_add_f32 v9, v9, v55 :: v_dual_mov_b32 v108, v167
	v_fma_f32 v19, v242, v154, -v27
	v_fmac_f32_e32 v59, v243, v154
	v_dual_add_f32 v11, v11, v21 :: v_dual_fmac_f32 v61, v245, v156
	v_add_f32_e32 v9, v9, v57
	s_set_vgpr_msb 64                       ;  msbs: dst=1 src0=0 src1=0 src2=0
	v_dual_mul_f32 v7 /*v263*/, v246, v159 :: v_dual_mul_f32 v9 /*v265*/, v176, v161
	s_set_vgpr_msb 0                        ;  msbs: dst=0 src0=0 src1=0 src2=0
	v_fma_f32 v13, v244, v156, -v13
	v_pk_mul_f32 v[104:105], v[254:255], v[104:105] op_sel_hi:[1,0]
	v_add_f32_e32 v9, v9, v59
	v_add_f32_e32 v11, v11, v19
	s_set_vgpr_msb 64                       ;  msbs: dst=1 src0=0 src1=0 src2=0
	v_dual_fmac_f32 v7 /*v263*/, v247, v158 :: v_dual_fmac_f32 v9 /*v265*/, v177, v160
	v_dual_fma_f32 v6 /*v262*/, v246, v158, -v15 :: v_dual_fma_f32 v8 /*v264*/, v176, v160, -v17
	s_set_vgpr_msb 0                        ;  msbs: dst=0 src0=0 src1=0 src2=0
	v_add_f32_e32 v113, v9, v61
	v_pk_fma_f32 v[116:117], v[178:179], v[162:163], v[104:105] op_sel_hi:[1,0,1]
	v_add_f32_e32 v112, v11, v13
	v_pk_fma_f32 v[104:105], v[178:179], v[162:163], v[104:105] neg_lo:[0,0,1] neg_hi:[0,0,1]
	v_pk_mul_f32 v[106:107], v[180:181], v[164:165] op_sel:[1,1] op_sel_hi:[0,1]
	s_set_vgpr_msb 1                        ;  msbs: dst=0 src0=1 src1=0 src2=0
	v_pk_mul_f32 v[108:109], v[0:1] /*v[256:257]*/, v[108:109] op_sel_hi:[1,0]
	s_set_vgpr_msb 4                        ;  msbs: dst=0 src0=0 src1=1 src2=0
	v_mov_b32_e32 v105, v117
	v_pk_add_f32 v[112:113], v[112:113], v[6:7] /*v[262:263]*/
	s_wait_loadcnt 0x3
	s_set_vgpr_msb 0                        ;  msbs: dst=0 src0=0 src1=0 src2=0
	v_pk_mul_f32 v[110:111], v[184:185], v[168:169] op_sel:[1,1] op_sel_hi:[0,1]
	v_pk_fma_f32 v[118:119], v[180:181], v[164:165], v[106:107] op_sel_hi:[1,0,1]
	v_pk_fma_f32 v[106:107], v[180:181], v[164:165], v[106:107] neg_lo:[0,0,1] neg_hi:[0,0,1]
	v_mov_b32_e32 v114, v171
	s_set_vgpr_msb 4                        ;  msbs: dst=0 src0=0 src1=1 src2=0
	v_pk_add_f32 v[112:113], v[112:113], v[8:9] /*v[264:265]*/
	s_wait_loadcnt 0x2
	s_set_vgpr_msb 0                        ;  msbs: dst=0 src0=0 src1=0 src2=0
	v_pk_mul_f32 v[116:117], v[196:197], v[172:173] op_sel:[1,1] op_sel_hi:[0,1]
	v_mov_b32_e32 v107, v119
	v_pk_fma_f32 v[118:119], v[182:183], v[166:167], v[108:109] op_sel_hi:[1,0,1]
	v_pk_fma_f32 v[108:109], v[182:183], v[166:167], v[108:109] neg_lo:[0,0,1] neg_hi:[0,0,1]
	v_pk_add_f32 v[104:105], v[112:113], v[104:105]
	v_pk_fma_f32 v[112:113], v[184:185], v[168:169], v[110:111] op_sel_hi:[1,0,1]
	s_set_vgpr_msb 1                        ;  msbs: dst=0 src0=1 src1=0 src2=0
	v_pk_mul_f32 v[114:115], v[2:3] /*v[258:259]*/, v[114:115] op_sel_hi:[1,0]
	s_set_vgpr_msb 0                        ;  msbs: dst=0 src0=0 src1=0 src2=0
	v_mov_b32_e32 v109, v119
	v_pk_fma_f32 v[110:111], v[184:185], v[168:169], v[110:111] neg_lo:[0,0,1] neg_hi:[0,0,1]
	v_pk_add_f32 v[104:105], v[104:105], v[106:107]
	v_dual_mov_b32 v106, v175 :: v_dual_mov_b32 v111, v113
	v_pk_fma_f32 v[112:113], v[186:187], v[170:171], v[114:115] op_sel_hi:[1,0,1]
	v_pk_fma_f32 v[114:115], v[186:187], v[170:171], v[114:115] neg_lo:[0,0,1] neg_hi:[0,0,1]
	s_delay_alu instid0(VALU_DEP_4)
	v_pk_add_f32 v[104:105], v[104:105], v[108:109]
	v_pk_fma_f32 v[108:109], v[196:197], v[172:173], v[116:117] op_sel_hi:[1,0,1]
	s_set_vgpr_msb 1                        ;  msbs: dst=0 src0=1 src1=0 src2=0
	v_pk_mul_f32 v[106:107], v[4:5] /*v[260:261]*/, v[106:107] op_sel_hi:[1,0]
	s_set_vgpr_msb 0                        ;  msbs: dst=0 src0=0 src1=0 src2=0
	v_mov_b32_e32 v115, v113
	s_wait_loadcnt_dscnt 0x100
	v_pk_mul_f32 v[112:113], v[252:253], v[248:249] op_sel:[1,1] op_sel_hi:[0,1]
	v_pk_add_f32 v[104:105], v[104:105], v[110:111]
	v_pk_fma_f32 v[110:111], v[196:197], v[172:173], v[116:117] neg_lo:[0,0,1] neg_hi:[0,0,1]
	v_mov_b32_e32 v111, v109
	v_pk_fma_f32 v[108:109], v[198:199], v[174:175], v[106:107] op_sel_hi:[1,0,1]
	v_pk_fma_f32 v[106:107], v[198:199], v[174:175], v[106:107] neg_lo:[0,0,1] neg_hi:[0,0,1]
	v_pk_add_f32 v[104:105], v[104:105], v[114:115]
	s_delay_alu instid0(VALU_DEP_3) | instskip(SKIP_1) | instid1(VALU_DEP_3)
	v_mov_b32_e32 v107, v109
	v_pk_fma_f32 v[108:109], v[252:253], v[248:249], v[112:113] op_sel_hi:[1,0,1]
	v_pk_add_f32 v[104:105], v[104:105], v[110:111]
	v_pk_fma_f32 v[110:111], v[252:253], v[248:249], v[112:113] neg_lo:[0,0,1] neg_hi:[0,0,1]
	s_delay_alu instid0(VALU_DEP_3) | instskip(NEXT) | instid1(VALU_DEP_3)
	v_mov_b32_e32 v111, v109
	v_pk_add_f32 v[104:105], v[104:105], v[106:107]
	s_delay_alu instid0(VALU_DEP_1) | instskip(SKIP_1) | instid1(VALU_DEP_1)
	v_pk_add_f32 v[104:105], v[104:105], v[110:111]
	s_wait_loadcnt 0x0
	v_pk_add_f32 v[104:105], v[250:251], v[104:105] neg_lo:[0,1] neg_hi:[0,1]
	scratch_store_b64 off, v[104:105], off offset:104
	s_wait_xcnt 0x0
	v_cmpx_lt_u32_e32 12, v0
	s_cbranch_execz .LBB50_295
; %bb.294:
	scratch_load_b64 v[104:105], off, off offset:96
	v_mov_b64_e32 v[106:107], 0
	scratch_store_b64 off, v[106:107], off offset:96
	s_wait_loadcnt 0x0
	ds_store_b64 v1, v[104:105]
.LBB50_295:
	s_wait_xcnt 0x0
	s_or_b32 exec_lo, exec_lo, s0
	s_wait_storecnt_dscnt 0x0
	s_barrier_signal -1
	s_barrier_wait -1
	s_clause 0x14
	scratch_load_b128 v[104:107], off, off offset:104
	scratch_load_b128 v[108:111], off, off offset:120
	;; [unrolled: 1-line block ×19, first 2 shown]
	s_set_vgpr_msb 64                       ;  msbs: dst=1 src0=0 src1=0 src2=0
	scratch_load_b64 v[0:1] /*v[256:257]*/, off, off offset:96
	s_set_vgpr_msb 0                        ;  msbs: dst=0 src0=0 src1=0 src2=0
	ds_load_2addr_b64 v[180:183], v5 offset0:95 offset1:96
	ds_load_2addr_b64 v[184:187], v5 offset0:97 offset1:98
	;; [unrolled: 1-line block ×19, first 2 shown]
	s_mov_b32 s0, exec_lo
	s_wait_dscnt 0x12
	s_set_vgpr_msb 64                       ;  msbs: dst=1 src0=0 src1=0 src2=0
	v_dual_mov_b32 v2 /*v258*/, v183 :: v_dual_mov_b32 v3 /*v259*/, v182
	s_wait_dscnt 0x11
	v_dual_mov_b32 v4 /*v260*/, v187 :: v_dual_mov_b32 v5 /*v261*/, v186
	s_wait_dscnt 0xf
	;; [unrolled: 2-line block ×3, first 2 shown]
	v_dual_mov_b32 v8 /*v264*/, v199 :: v_dual_mov_b32 v9 /*v265*/, v198
	s_wait_loadcnt_dscnt 0x130d
	s_set_vgpr_msb 0                        ;  msbs: dst=0 src0=0 src1=0 src2=0
	v_dual_mul_f32 v5, v200, v105 :: v_dual_mul_f32 v9, v202, v107
	v_dual_mul_f32 v63, v201, v105 :: v_dual_mul_f32 v65, v203, v107
	s_wait_loadcnt_dscnt 0x120c
	v_dual_mul_f32 v11, v204, v109 :: v_dual_mul_f32 v13, v206, v111
	s_delay_alu instid0(VALU_DEP_2) | instskip(SKIP_3) | instid1(VALU_DEP_3)
	v_dual_fmac_f32 v5, v201, v104 :: v_dual_fma_f32 v63, v200, v104, -v63
	v_dual_mul_f32 v67, v205, v109 :: v_dual_mul_f32 v69, v207, v111
	s_wait_loadcnt_dscnt 0x100a
	v_dual_mul_f32 v75, v213, v117 :: v_dual_fmac_f32 v9, v203, v106
	v_dual_fma_f32 v65, v202, v106, -v65 :: v_dual_add_f32 v5, 0, v5
	v_dual_add_f32 v63, 0, v63 :: v_dual_fmac_f32 v11, v205, v108
	v_dual_mul_f32 v77, v215, v119 :: v_dual_fma_f32 v67, v204, v108, -v67
	s_delay_alu instid0(VALU_DEP_3) | instskip(NEXT) | instid1(VALU_DEP_3)
	v_dual_add_f32 v5, v5, v9 :: v_dual_fmac_f32 v13, v207, v110
	v_dual_add_f32 v9, v63, v65 :: v_dual_fma_f32 v65, v206, v110, -v69
	v_dual_mul_f32 v15, v208, v113 :: v_dual_mul_f32 v17, v210, v115
	v_dual_mul_f32 v71, v209, v113 :: v_dual_mul_f32 v73, v211, v115
	s_delay_alu instid0(VALU_DEP_3) | instskip(NEXT) | instid1(VALU_DEP_3)
	v_add_f32_e32 v9, v9, v67
	v_dual_add_f32 v5, v5, v11 :: v_dual_fmac_f32 v17, v211, v114
	s_wait_loadcnt_dscnt 0xf09
	s_delay_alu instid0(VALU_DEP_3) | instskip(NEXT) | instid1(VALU_DEP_3)
	v_dual_fma_f32 v67, v208, v112, -v71 :: v_dual_mul_f32 v63, v217, v121
	v_dual_mul_f32 v11, v219, v123 :: v_dual_add_f32 v9, v9, v65
	v_dual_fmac_f32 v15, v209, v112 :: v_dual_fma_f32 v65, v210, v114, -v73
	v_add_f32_e32 v5, v5, v13
	v_dual_mul_f32 v19, v212, v117 :: v_dual_mul_f32 v21, v214, v119
	s_delay_alu instid0(VALU_DEP_4) | instskip(NEXT) | instid1(VALU_DEP_3)
	v_dual_add_f32 v9, v9, v67 :: v_dual_fma_f32 v63, v216, v120, -v63
	v_dual_add_f32 v5, v5, v15 :: v_dual_fma_f32 v67, v212, v116, -v75
	v_dual_mul_f32 v23, v216, v121 :: v_dual_mul_f32 v25, v218, v123
	s_delay_alu instid0(VALU_DEP_3) | instskip(SKIP_2) | instid1(VALU_DEP_3)
	v_dual_add_f32 v9, v9, v65 :: v_dual_fma_f32 v11, v218, v122, -v11
	s_wait_loadcnt_dscnt 0xe08
	v_dual_mul_f32 v27, v220, v125 :: v_dual_mul_f32 v29, v222, v127
	v_dual_fmac_f32 v19, v213, v116 :: v_dual_fmac_f32 v25, v219, v122
	v_dual_fma_f32 v65, v214, v118, -v77 :: v_dual_add_f32 v5, v5, v17
	s_delay_alu instid0(VALU_DEP_3)
	v_dual_add_f32 v9, v9, v67 :: v_dual_fmac_f32 v29, v223, v126
	s_wait_loadcnt_dscnt 0xd07
	v_dual_mul_f32 v31, v224, v129 :: v_dual_mul_f32 v33, v226, v131
	v_dual_mul_f32 v13, v221, v125 :: v_dual_fmac_f32 v21, v215, v118
	v_mul_f32_e32 v17, v225, v129
	v_add_f32_e32 v5, v5, v19
	v_dual_add_f32 v9, v9, v65 :: v_dual_mul_f32 v15, v223, v127
	s_delay_alu instid0(VALU_DEP_4) | instskip(NEXT) | instid1(VALU_DEP_3)
	v_fma_f32 v13, v220, v124, -v13
	v_dual_fmac_f32 v33, v227, v130 :: v_dual_add_f32 v5, v5, v21
	s_wait_loadcnt_dscnt 0xc06
	v_mul_f32_e32 v21, v229, v133
	s_wait_loadcnt_dscnt 0xb05
	v_dual_add_f32 v9, v9, v63 :: v_dual_mul_f32 v39, v232, v137
	v_dual_mul_f32 v41, v234, v139 :: v_dual_fmac_f32 v23, v217, v120
	s_delay_alu instid0(VALU_DEP_2) | instskip(SKIP_3) | instid1(VALU_DEP_3)
	v_dual_fma_f32 v21, v228, v132, -v21 :: v_dual_add_f32 v9, v9, v11
	s_wait_loadcnt_dscnt 0xa04
	v_dual_fma_f32 v15, v222, v126, -v15 :: v_dual_mul_f32 v43, v236, v141
	v_mul_f32_e32 v45, v238, v143
	v_dual_mul_f32 v19, v227, v131 :: v_dual_add_f32 v9, v9, v13
	v_dual_fmac_f32 v41, v235, v138 :: v_dual_mul_f32 v13, v235, v139
	s_delay_alu instid0(VALU_DEP_2) | instskip(SKIP_1) | instid1(VALU_DEP_4)
	v_dual_add_f32 v5, v5, v23 :: v_dual_fma_f32 v19, v226, v130, -v19
	v_dual_mul_f32 v23, v231, v135 :: v_dual_fma_f32 v17, v224, v128, -v17
	v_add_f32_e32 v9, v9, v15
	v_dual_mul_f32 v15, v237, v141 :: v_dual_fmac_f32 v43, v237, v140
	v_dual_fmac_f32 v27, v221, v124 :: v_dual_mul_f32 v35, v228, v133
	s_delay_alu instid0(VALU_DEP_2) | instskip(NEXT) | instid1(VALU_DEP_4)
	v_dual_mul_f32 v37, v230, v135 :: v_dual_fma_f32 v15, v236, v140, -v15
	v_dual_add_f32 v9, v9, v17 :: v_dual_mul_f32 v17, v239, v143
	s_wait_loadcnt_dscnt 0x903
	v_dual_mul_f32 v47, v240, v145 :: v_dual_mul_f32 v49, v242, v147
	s_delay_alu instid0(VALU_DEP_3) | instskip(NEXT) | instid1(VALU_DEP_3)
	v_dual_add_f32 v5, v5, v25 :: v_dual_fmac_f32 v37, v231, v134
	v_dual_fma_f32 v17, v238, v142, -v17 :: v_dual_add_f32 v9, v9, v19
	s_delay_alu instid0(VALU_DEP_3) | instskip(SKIP_2) | instid1(VALU_DEP_4)
	v_dual_fmac_f32 v49, v243, v146 :: v_dual_mul_f32 v11, v233, v137
	v_fma_f32 v23, v230, v134, -v23
	v_dual_fmac_f32 v31, v225, v128 :: v_dual_fma_f32 v13, v234, v138, -v13
	v_dual_add_f32 v9, v9, v21 :: v_dual_mul_f32 v21, v243, v147
	s_delay_alu instid0(VALU_DEP_4) | instskip(SKIP_2) | instid1(VALU_DEP_3)
	v_dual_add_f32 v5, v5, v27 :: v_dual_fma_f32 v11, v232, v136, -v11
	s_wait_loadcnt_dscnt 0x701
	v_dual_mul_f32 v55, v248, v153 :: v_dual_mul_f32 v57, v250, v155
	v_add_f32_e32 v9, v9, v23
	s_delay_alu instid0(VALU_DEP_3) | instskip(SKIP_2) | instid1(VALU_DEP_4)
	v_add_f32_e32 v5, v5, v29
	v_fmac_f32_e32 v35, v229, v132
	v_dual_mul_f32 v19, v241, v145 :: v_dual_fmac_f32 v47, v241, v144
	v_dual_add_f32 v9, v9, v11 :: v_dual_fmac_f32 v57, v251, v154
	v_mul_f32_e32 v11, v247, v151
	v_dual_add_f32 v5, v5, v31 :: v_dual_fmac_f32 v45, v239, v142
	s_delay_alu instid0(VALU_DEP_3) | instskip(SKIP_1) | instid1(VALU_DEP_3)
	v_add_f32_e32 v9, v9, v13
	v_dual_mul_f32 v51, v244, v149 :: v_dual_mul_f32 v53, v246, v151
	v_dual_add_f32 v5, v5, v33 :: v_dual_fma_f32 v19, v240, v144, -v19
	s_delay_alu instid0(VALU_DEP_3) | instskip(SKIP_1) | instid1(VALU_DEP_3)
	v_add_f32_e32 v9, v9, v15
	v_dual_mul_f32 v15, v251, v155 :: v_dual_fmac_f32 v39, v233, v136
	v_dual_fmac_f32 v53, v247, v150 :: v_dual_add_f32 v5, v5, v35
	v_dual_fma_f32 v21, v242, v146, -v21 :: v_dual_mul_f32 v23, v245, v149
	v_fmac_f32_e32 v51, v245, v148
	v_add_f32_e32 v9, v9, v17
	s_delay_alu instid0(VALU_DEP_4) | instskip(SKIP_3) | instid1(VALU_DEP_3)
	v_add_f32_e32 v5, v5, v37
	s_wait_loadcnt 0x4
	v_pk_mul_f32 v[104:105], v[180:181], v[164:165] op_sel:[1,1] op_sel_hi:[0,1]
	v_dual_mul_f32 v13, v249, v153 :: v_dual_fmac_f32 v55, v249, v152
	v_dual_fma_f32 v23, v244, v148, -v23 :: v_dual_add_f32 v5, v5, v39
	s_delay_alu instid0(VALU_DEP_3) | instskip(SKIP_2) | instid1(VALU_DEP_4)
	v_pk_fma_f32 v[114:115], v[180:181], v[164:165], v[104:105] op_sel_hi:[1,0,1]
	v_add_f32_e32 v9, v9, v19
	v_pk_fma_f32 v[104:105], v[180:181], v[164:165], v[104:105] neg_lo:[0,0,1] neg_hi:[0,0,1]
	v_dual_fma_f32 v13, v248, v152, -v13 :: v_dual_add_f32 v5, v5, v41
	s_delay_alu instid0(VALU_DEP_3)
	v_dual_mov_b32 v105, v115 :: v_dual_add_f32 v9, v9, v21
	s_wait_dscnt 0x0
	v_dual_mul_f32 v59, v252, v157 :: v_dual_mul_f32 v61, v254, v159
	s_wait_loadcnt 0x3
	v_dual_mov_b32 v106, v167 :: v_dual_mov_b32 v110, v171
	v_add_f32_e32 v9, v9, v23
	v_mul_f32_e32 v23, v191, v163
	v_dual_add_f32 v5, v5, v43 :: v_dual_fmac_f32 v61, v255, v158
	s_set_vgpr_msb 1                        ;  msbs: dst=0 src0=1 src1=0 src2=0
	v_pk_mul_f32 v[106:107], v[2:3] /*v[258:259]*/, v[106:107] op_sel_hi:[1,0]
	v_pk_mul_f32 v[110:111], v[4:5] /*v[260:261]*/, v[110:111] op_sel_hi:[1,0]
	s_set_vgpr_msb 0                        ;  msbs: dst=0 src0=0 src1=0 src2=0
	v_dual_fma_f32 v11, v246, v150, -v11 :: v_dual_add_f32 v5, v5, v45
	v_dual_mul_f32 v17, v253, v157 :: v_dual_fmac_f32 v59, v253, v156
	v_pk_fma_f32 v[114:115], v[182:183], v[166:167], v[106:107] op_sel_hi:[1,0,1]
	v_pk_fma_f32 v[106:107], v[182:183], v[166:167], v[106:107] neg_lo:[0,0,1] neg_hi:[0,0,1]
	s_delay_alu instid0(VALU_DEP_4) | instskip(SKIP_1) | instid1(VALU_DEP_4)
	v_add_f32_e32 v5, v5, v47
	v_dual_add_f32 v9, v9, v11 :: v_dual_fma_f32 v11, v250, v154, -v15
	v_mov_b32_e32 v107, v115
	v_pk_fma_f32 v[114:115], v[186:187], v[170:171], v[110:111] op_sel_hi:[1,0,1]
	s_delay_alu instid0(VALU_DEP_4) | instskip(SKIP_2) | instid1(VALU_DEP_3)
	v_add_f32_e32 v5, v5, v49
	v_pk_fma_f32 v[110:111], v[186:187], v[170:171], v[110:111] neg_lo:[0,0,1] neg_hi:[0,0,1]
	v_dual_add_f32 v9, v9, v13 :: v_dual_mul_f32 v19, v255, v159
	v_dual_mov_b32 v111, v115 :: v_dual_add_f32 v5, v5, v51
	s_delay_alu instid0(VALU_DEP_2)
	v_dual_fma_f32 v13, v252, v156, -v17 :: v_dual_add_f32 v9, v9, v11
	v_pk_mul_f32 v[108:109], v[184:185], v[168:169] op_sel:[1,1] op_sel_hi:[0,1]
	s_set_vgpr_msb 64                       ;  msbs: dst=1 src0=0 src1=0 src2=0
	v_dual_mul_f32 v11 /*v267*/, v188, v161 :: v_dual_mul_f32 v13 /*v269*/, v190, v163
	s_set_vgpr_msb 0                        ;  msbs: dst=0 src0=0 src1=0 src2=0
	v_dual_add_f32 v5, v5, v53 :: v_dual_fma_f32 v11, v254, v158, -v19
	v_add_f32_e32 v9, v9, v13
	v_pk_fma_f32 v[118:119], v[184:185], v[168:169], v[108:109] op_sel_hi:[1,0,1]
	v_mul_f32_e32 v21, v189, v161
	s_delay_alu instid0(VALU_DEP_4)
	v_add_f32_e32 v5, v5, v55
	v_pk_fma_f32 v[108:109], v[184:185], v[168:169], v[108:109] neg_lo:[0,0,1] neg_hi:[0,0,1]
	s_set_vgpr_msb 64                       ;  msbs: dst=1 src0=0 src1=0 src2=0
	v_dual_fmac_f32 v11 /*v267*/, v189, v160 :: v_dual_fmac_f32 v13 /*v269*/, v191, v162
	s_set_vgpr_msb 0                        ;  msbs: dst=0 src0=0 src1=0 src2=0
	v_add_f32_e32 v112, v9, v11
	v_dual_add_f32 v5, v5, v57 :: v_dual_mov_b32 v109, v119
	s_set_vgpr_msb 64                       ;  msbs: dst=1 src0=0 src1=0 src2=0
	v_dual_fma_f32 v10 /*v266*/, v188, v160, -v21 :: v_dual_fma_f32 v12 /*v268*/, v190, v162, -v23
	s_wait_loadcnt 0x2
	s_set_vgpr_msb 0                        ;  msbs: dst=0 src0=0 src1=0 src2=0
	v_pk_mul_f32 v[116:117], v[192:193], v[172:173] op_sel:[1,1] op_sel_hi:[0,1]
	v_add_f32_e32 v5, v5, v59
	s_delay_alu instid0(VALU_DEP_2) | instskip(NEXT) | instid1(VALU_DEP_2)
	v_pk_fma_f32 v[114:115], v[192:193], v[172:173], v[116:117] neg_lo:[0,0,1] neg_hi:[0,0,1]
	v_add_f32_e32 v113, v5, v61
	s_set_vgpr_msb 4                        ;  msbs: dst=0 src0=0 src1=1 src2=0
	s_delay_alu instid0(VALU_DEP_1) | instskip(NEXT) | instid1(VALU_DEP_1)
	v_pk_add_f32 v[112:113], v[112:113], v[10:11] /*v[266:267]*/
	v_pk_add_f32 v[112:113], v[112:113], v[12:13] /*v[268:269]*/
	s_set_vgpr_msb 0                        ;  msbs: dst=0 src0=0 src1=0 src2=0
	s_delay_alu instid0(VALU_DEP_1) | instskip(SKIP_1) | instid1(VALU_DEP_2)
	v_pk_add_f32 v[104:105], v[112:113], v[104:105]
	v_mov_b32_e32 v112, v175
	v_pk_add_f32 v[104:105], v[104:105], v[106:107]
	v_pk_fma_f32 v[106:107], v[192:193], v[172:173], v[116:117] op_sel_hi:[1,0,1]
	s_set_vgpr_msb 1                        ;  msbs: dst=0 src0=1 src1=0 src2=0
	s_delay_alu instid0(VALU_DEP_3) | instskip(SKIP_3) | instid1(VALU_DEP_3)
	v_pk_mul_f32 v[112:113], v[6:7] /*v[262:263]*/, v[112:113] op_sel_hi:[1,0]
	s_set_vgpr_msb 0                        ;  msbs: dst=0 src0=0 src1=0 src2=0
	v_pk_add_f32 v[104:105], v[104:105], v[108:109]
	v_mov_b32_e32 v115, v107
	v_pk_fma_f32 v[106:107], v[194:195], v[174:175], v[112:113] op_sel_hi:[1,0,1]
	s_wait_loadcnt 0x1
	v_pk_mul_f32 v[108:109], v[196:197], v[176:177] op_sel:[1,1] op_sel_hi:[0,1]
	v_mov_b32_e32 v106, v179
	v_pk_add_f32 v[104:105], v[104:105], v[110:111]
	v_pk_fma_f32 v[112:113], v[194:195], v[174:175], v[112:113] neg_lo:[0,0,1] neg_hi:[0,0,1]
	v_mov_b32_e32 v113, v107
	v_pk_fma_f32 v[110:111], v[196:197], v[176:177], v[108:109] op_sel_hi:[1,0,1]
	s_set_vgpr_msb 1                        ;  msbs: dst=0 src0=1 src1=0 src2=0
	v_pk_mul_f32 v[106:107], v[8:9] /*v[264:265]*/, v[106:107] op_sel_hi:[1,0]
	s_set_vgpr_msb 0                        ;  msbs: dst=0 src0=0 src1=0 src2=0
	v_pk_add_f32 v[104:105], v[104:105], v[114:115]
	v_pk_fma_f32 v[108:109], v[196:197], v[176:177], v[108:109] neg_lo:[0,0,1] neg_hi:[0,0,1]
	v_mov_b32_e32 v109, v111
	v_pk_fma_f32 v[110:111], v[198:199], v[178:179], v[106:107] op_sel_hi:[1,0,1]
	s_delay_alu instid0(VALU_DEP_4) | instskip(SKIP_1) | instid1(VALU_DEP_3)
	v_pk_add_f32 v[104:105], v[104:105], v[112:113]
	v_pk_fma_f32 v[106:107], v[198:199], v[178:179], v[106:107] neg_lo:[0,0,1] neg_hi:[0,0,1]
	v_mov_b32_e32 v107, v111
	s_delay_alu instid0(VALU_DEP_3) | instskip(NEXT) | instid1(VALU_DEP_1)
	v_pk_add_f32 v[104:105], v[104:105], v[108:109]
	v_pk_add_f32 v[104:105], v[104:105], v[106:107]
	s_wait_loadcnt 0x0
	s_set_vgpr_msb 1                        ;  msbs: dst=0 src0=1 src1=0 src2=0
	s_delay_alu instid0(VALU_DEP_1)
	v_pk_add_f32 v[104:105], v[0:1] /*v[256:257]*/, v[104:105] neg_lo:[0,1] neg_hi:[0,1]
	scratch_store_b64 off, v[104:105], off offset:96
	s_wait_xcnt 0x0
	v_cmpx_lt_u32_e32 11, v0
	s_set_vgpr_msb 0                        ;  msbs: dst=0 src0=0 src1=0 src2=0
	s_cbranch_execz .LBB50_297
; %bb.296:
	scratch_load_b64 v[104:105], off, off offset:88
	v_mov_b64_e32 v[106:107], 0
	scratch_store_b64 off, v[106:107], off offset:88
	s_wait_loadcnt 0x0
	ds_store_b64 v1, v[104:105]
.LBB50_297:
	s_wait_xcnt 0x0
	s_or_b32 exec_lo, exec_lo, s0
	s_wait_storecnt_dscnt 0x0
	s_barrier_signal -1
	s_barrier_wait -1
	s_clause 0x15
	scratch_load_b128 v[104:107], off, off offset:96
	scratch_load_b128 v[108:111], off, off offset:112
	;; [unrolled: 1-line block ×19, first 2 shown]
	s_set_vgpr_msb 64                       ;  msbs: dst=1 src0=0 src1=0 src2=0
	scratch_load_b64 v[0:1] /*v[256:257]*/, off, off offset:400
	scratch_load_b64 v[2:3] /*v[258:259]*/, off, off offset:88
	s_set_vgpr_msb 0                        ;  msbs: dst=0 src0=0 src1=0 src2=0
	v_mov_b32_e32 v5, 0
	ds_load_b128 v[180:183], v5 offset:752
	ds_load_b128 v[184:187], v5 offset:736
	;; [unrolled: 1-line block ×19, first 2 shown]
	s_set_vgpr_msb 64                       ;  msbs: dst=1 src0=0 src1=0 src2=0
	ds_load_b64 v[4:5] /*v[260:261]*/, v5 offset:816
	s_wait_dscnt 0x13
	v_dual_mov_b32 v6 /*v262*/, v183 :: v_dual_mov_b32 v7 /*v263*/, v182
	s_wait_dscnt 0x11
	v_dual_mov_b32 v8 /*v264*/, v191 :: v_dual_mov_b32 v9 /*v265*/, v190
	;; [unrolled: 2-line block ×4, first 2 shown]
	s_mov_b32 s0, exec_lo
	s_wait_loadcnt 0x14
	s_set_vgpr_msb 0                        ;  msbs: dst=0 src0=0 src1=0 src2=0
	v_dual_mul_f32 v9, v196, v105 :: v_dual_mul_f32 v67, v197, v105
	v_dual_mul_f32 v69, v199, v107 :: v_dual_mul_f32 v11, v198, v107
	s_wait_loadcnt 0x13
	v_mul_f32_e32 v13, v200, v109
	s_wait_loadcnt_dscnt 0x110b
	v_dual_mul_f32 v79, v213, v117 :: v_dual_fma_f32 v67, v196, v104, -v67
	v_dual_fmac_f32 v9, v197, v104 :: v_dual_mul_f32 v81, v215, v119
	v_dual_mul_f32 v71, v201, v109 :: v_dual_mul_f32 v73, v203, v111
	v_dual_fmac_f32 v11, v199, v106 :: v_dual_fma_f32 v69, v198, v106, -v69
	s_delay_alu instid0(VALU_DEP_3) | instskip(SKIP_4) | instid1(VALU_DEP_3)
	v_dual_add_f32 v9, 0, v9 :: v_dual_add_f32 v67, 0, v67
	v_dual_mul_f32 v15, v202, v111 :: v_dual_mul_f32 v17, v208, v113
	s_wait_loadcnt_dscnt 0x100a
	v_dual_mul_f32 v83, v217, v121 :: v_dual_fma_f32 v71, v200, v108, -v71
	v_fmac_f32_e32 v13, v201, v108
	v_dual_add_f32 v9, v9, v11 :: v_dual_fmac_f32 v15, v203, v110
	v_add_f32_e32 v11, v67, v69
	v_dual_mul_f32 v75, v209, v113 :: v_dual_mul_f32 v77, v211, v115
	v_dual_mul_f32 v67, v219, v123 :: v_dual_fma_f32 v69, v202, v110, -v73
	s_delay_alu instid0(VALU_DEP_3) | instskip(SKIP_3) | instid1(VALU_DEP_3)
	v_dual_add_f32 v9, v9, v13 :: v_dual_add_f32 v11, v11, v71
	v_dual_mul_f32 v19, v210, v115 :: v_dual_mul_f32 v21, v212, v117
	s_wait_loadcnt_dscnt 0xf09
	v_dual_mul_f32 v13, v221, v125 :: v_dual_fma_f32 v71, v208, v112, -v75
	v_dual_fmac_f32 v17, v209, v112 :: v_dual_add_f32 v11, v11, v69
	s_delay_alu instid0(VALU_DEP_3) | instskip(SKIP_1) | instid1(VALU_DEP_2)
	v_dual_add_f32 v9, v9, v15 :: v_dual_fmac_f32 v19, v211, v114
	v_dual_mul_f32 v15, v223, v127 :: v_dual_fma_f32 v69, v210, v114, -v77
	v_dual_add_f32 v11, v11, v71 :: v_dual_add_f32 v9, v9, v17
	v_dual_mul_f32 v23, v214, v119 :: v_dual_mul_f32 v25, v216, v121
	s_wait_loadcnt_dscnt 0xe08
	v_dual_mul_f32 v17, v225, v129 :: v_dual_fma_f32 v71, v212, v116, -v79
	s_delay_alu instid0(VALU_DEP_3) | instskip(NEXT) | instid1(VALU_DEP_3)
	v_dual_fmac_f32 v21, v213, v116 :: v_dual_add_f32 v11, v11, v69
	v_dual_add_f32 v9, v9, v19 :: v_dual_fmac_f32 v23, v215, v118
	v_dual_mul_f32 v19, v227, v131 :: v_dual_fma_f32 v69, v214, v118, -v81
	s_delay_alu instid0(VALU_DEP_2) | instskip(SKIP_3) | instid1(VALU_DEP_3)
	v_dual_add_f32 v11, v11, v71 :: v_dual_add_f32 v9, v9, v21
	v_dual_mul_f32 v27, v218, v123 :: v_dual_mul_f32 v29, v220, v125
	s_wait_loadcnt_dscnt 0xd07
	v_dual_mul_f32 v21, v229, v133 :: v_dual_fma_f32 v71, v216, v120, -v83
	v_dual_fmac_f32 v25, v217, v120 :: v_dual_add_f32 v11, v11, v69
	s_delay_alu instid0(VALU_DEP_3) | instskip(SKIP_1) | instid1(VALU_DEP_2)
	v_dual_add_f32 v9, v9, v23 :: v_dual_fmac_f32 v27, v219, v122
	v_dual_mul_f32 v23, v231, v135 :: v_dual_fma_f32 v67, v218, v122, -v67
	v_dual_add_f32 v11, v11, v71 :: v_dual_add_f32 v9, v9, v25
	v_dual_mul_f32 v31, v222, v127 :: v_dual_mul_f32 v33, v224, v129
	s_wait_loadcnt_dscnt 0xc06
	v_dual_mul_f32 v25, v233, v137 :: v_dual_fma_f32 v13, v220, v124, -v13
	s_delay_alu instid0(VALU_DEP_3) | instskip(NEXT) | instid1(VALU_DEP_3)
	v_dual_fmac_f32 v29, v221, v124 :: v_dual_add_f32 v11, v11, v67
	v_dual_add_f32 v9, v9, v27 :: v_dual_fmac_f32 v31, v223, v126
	v_dual_mul_f32 v27, v235, v139 :: v_dual_fma_f32 v15, v222, v126, -v15
	s_delay_alu instid0(VALU_DEP_3) | instskip(NEXT) | instid1(VALU_DEP_3)
	v_dual_add_f32 v11, v11, v13 :: v_dual_fmac_f32 v33, v225, v128
	v_dual_add_f32 v9, v9, v29 :: v_dual_fma_f32 v17, v224, v128, -v17
	v_dual_mul_f32 v35, v226, v131 :: v_dual_mul_f32 v37, v228, v133
	s_wait_loadcnt_dscnt 0xb05
	s_delay_alu instid0(VALU_DEP_3) | instskip(NEXT) | instid1(VALU_DEP_2)
	v_dual_mul_f32 v13, v237, v141 :: v_dual_add_f32 v11, v11, v15
	v_dual_add_f32 v9, v9, v31 :: v_dual_fmac_f32 v35, v227, v130
	v_dual_mul_f32 v15, v239, v143 :: v_dual_fma_f32 v19, v226, v130, -v19
	s_delay_alu instid0(VALU_DEP_3) | instskip(NEXT) | instid1(VALU_DEP_3)
	v_dual_add_f32 v11, v11, v17 :: v_dual_fmac_f32 v37, v229, v132
	v_dual_add_f32 v9, v9, v33 :: v_dual_fma_f32 v21, v228, v132, -v21
	v_dual_mul_f32 v39, v230, v135 :: v_dual_mul_f32 v41, v232, v137
	s_wait_loadcnt_dscnt 0xa04
	s_delay_alu instid0(VALU_DEP_3) | instskip(NEXT) | instid1(VALU_DEP_2)
	v_dual_mul_f32 v17, v241, v145 :: v_dual_add_f32 v11, v11, v19
	;; [unrolled: 9-line block ×5, first 2 shown]
	v_dual_add_f32 v9, v9, v47 :: v_dual_fmac_f32 v51, v243, v146
	v_dual_mul_f32 v15, v255, v159 :: v_dual_fma_f32 v19, v242, v146, -v19
	s_delay_alu instid0(VALU_DEP_3) | instskip(NEXT) | instid1(VALU_DEP_3)
	v_dual_add_f32 v11, v11, v17 :: v_dual_fmac_f32 v53, v245, v148
	v_dual_add_f32 v9, v9, v49 :: v_dual_fma_f32 v21, v244, v148, -v21
	v_dual_mul_f32 v55, v246, v151 :: v_dual_mul_f32 v57, v248, v153
	s_wait_loadcnt 0x6
	s_delay_alu instid0(VALU_DEP_3) | instskip(NEXT) | instid1(VALU_DEP_2)
	v_dual_mul_f32 v17, v185, v161 :: v_dual_add_f32 v11, v11, v19
	v_dual_add_f32 v9, v9, v51 :: v_dual_fmac_f32 v55, v247, v150
	v_dual_mul_f32 v19, v187, v163 :: v_dual_fma_f32 v23, v246, v150, -v23
	s_delay_alu instid0(VALU_DEP_3) | instskip(NEXT) | instid1(VALU_DEP_3)
	v_dual_add_f32 v11, v11, v21 :: v_dual_fmac_f32 v57, v249, v152
	v_dual_add_f32 v9, v9, v53 :: v_dual_fma_f32 v25, v248, v152, -v25
	v_dual_mul_f32 v59, v250, v155 :: v_dual_mul_f32 v61, v252, v157
	s_wait_loadcnt 0x5
	s_delay_alu instid0(VALU_DEP_3) | instskip(NEXT) | instid1(VALU_DEP_3)
	v_dual_mul_f32 v21, v181, v165 :: v_dual_add_f32 v11, v11, v23
	v_dual_add_f32 v9, v9, v55 :: v_dual_mov_b32 v104, v167
	s_delay_alu instid0(VALU_DEP_3) | instskip(NEXT) | instid1(VALU_DEP_3)
	v_fmac_f32_e32 v59, v251, v154
	v_dual_fma_f32 v23, v250, v154, -v27 :: v_dual_add_f32 v11, v11, v25
	s_delay_alu instid0(VALU_DEP_3) | instskip(SKIP_1) | instid1(VALU_DEP_3)
	v_dual_add_f32 v9, v9, v57 :: v_dual_mul_f32 v63, v254, v159
	v_dual_mul_f32 v65, v184, v161 :: v_dual_fmac_f32 v61, v253, v156
	v_dual_add_f32 v11, v11, v23 :: v_dual_fma_f32 v13, v252, v156, -v13
	s_wait_loadcnt 0x4
	s_delay_alu instid0(VALU_DEP_3) | instskip(SKIP_3) | instid1(VALU_DEP_4)
	v_dual_add_f32 v9, v9, v59 :: v_dual_mov_b32 v108, v171
	v_fma_f32 v15, v254, v158, -v15
	v_fmac_f32_e32 v63, v255, v158
	v_dual_add_f32 v11, v11, v13 :: v_dual_fmac_f32 v65, v185, v160
	v_add_f32_e32 v9, v9, v61
	s_set_vgpr_msb 64                       ;  msbs: dst=1 src0=0 src1=0 src2=0
	v_dual_mul_f32 v15 /*v271*/, v186, v163 :: v_dual_mul_f32 v17 /*v273*/, v180, v165
	s_set_vgpr_msb 0                        ;  msbs: dst=0 src0=0 src1=0 src2=0
	v_fma_f32 v13, v184, v160, -v17
	s_set_vgpr_msb 1                        ;  msbs: dst=0 src0=1 src1=0 src2=0
	v_pk_mul_f32 v[104:105], v[6:7] /*v[262:263]*/, v[104:105] op_sel_hi:[1,0]
	s_set_vgpr_msb 0                        ;  msbs: dst=0 src0=0 src1=0 src2=0
	v_add_f32_e32 v9, v9, v63
	v_add_f32_e32 v11, v11, v15
	s_set_vgpr_msb 64                       ;  msbs: dst=1 src0=0 src1=0 src2=0
	v_dual_fmac_f32 v15 /*v271*/, v187, v162 :: v_dual_fmac_f32 v17 /*v273*/, v181, v164
	v_dual_fma_f32 v14 /*v270*/, v186, v162, -v19 :: v_dual_fma_f32 v16 /*v272*/, v180, v164, -v21
	s_set_vgpr_msb 0                        ;  msbs: dst=0 src0=0 src1=0 src2=0
	v_add_f32_e32 v113, v9, v65
	v_pk_fma_f32 v[116:117], v[182:183], v[166:167], v[104:105] op_sel_hi:[1,0,1]
	v_add_f32_e32 v112, v11, v13
	v_pk_fma_f32 v[104:105], v[182:183], v[166:167], v[104:105] neg_lo:[0,0,1] neg_hi:[0,0,1]
	v_pk_mul_f32 v[106:107], v[188:189], v[168:169] op_sel:[1,1] op_sel_hi:[0,1]
	s_set_vgpr_msb 1                        ;  msbs: dst=0 src0=1 src1=0 src2=0
	v_pk_mul_f32 v[108:109], v[8:9] /*v[264:265]*/, v[108:109] op_sel_hi:[1,0]
	s_set_vgpr_msb 4                        ;  msbs: dst=0 src0=0 src1=1 src2=0
	v_mov_b32_e32 v105, v117
	v_pk_add_f32 v[112:113], v[112:113], v[14:15] /*v[270:271]*/
	s_wait_loadcnt 0x3
	s_set_vgpr_msb 0                        ;  msbs: dst=0 src0=0 src1=0 src2=0
	v_pk_mul_f32 v[110:111], v[192:193], v[172:173] op_sel:[1,1] op_sel_hi:[0,1]
	v_pk_fma_f32 v[118:119], v[188:189], v[168:169], v[106:107] op_sel_hi:[1,0,1]
	v_pk_fma_f32 v[106:107], v[188:189], v[168:169], v[106:107] neg_lo:[0,0,1] neg_hi:[0,0,1]
	v_mov_b32_e32 v114, v175
	s_set_vgpr_msb 4                        ;  msbs: dst=0 src0=0 src1=1 src2=0
	v_pk_add_f32 v[112:113], v[112:113], v[16:17] /*v[272:273]*/
	s_wait_loadcnt 0x2
	s_set_vgpr_msb 0                        ;  msbs: dst=0 src0=0 src1=0 src2=0
	v_pk_mul_f32 v[116:117], v[204:205], v[176:177] op_sel:[1,1] op_sel_hi:[0,1]
	v_mov_b32_e32 v107, v119
	v_pk_fma_f32 v[118:119], v[190:191], v[170:171], v[108:109] op_sel_hi:[1,0,1]
	v_pk_fma_f32 v[108:109], v[190:191], v[170:171], v[108:109] neg_lo:[0,0,1] neg_hi:[0,0,1]
	v_pk_add_f32 v[104:105], v[112:113], v[104:105]
	v_pk_fma_f32 v[112:113], v[192:193], v[172:173], v[110:111] op_sel_hi:[1,0,1]
	s_set_vgpr_msb 1                        ;  msbs: dst=0 src0=1 src1=0 src2=0
	v_pk_mul_f32 v[114:115], v[10:11] /*v[266:267]*/, v[114:115] op_sel_hi:[1,0]
	s_set_vgpr_msb 0                        ;  msbs: dst=0 src0=0 src1=0 src2=0
	v_mov_b32_e32 v109, v119
	v_pk_fma_f32 v[110:111], v[192:193], v[172:173], v[110:111] neg_lo:[0,0,1] neg_hi:[0,0,1]
	v_pk_add_f32 v[104:105], v[104:105], v[106:107]
	v_dual_mov_b32 v106, v179 :: v_dual_mov_b32 v111, v113
	v_pk_fma_f32 v[112:113], v[194:195], v[174:175], v[114:115] op_sel_hi:[1,0,1]
	v_pk_fma_f32 v[114:115], v[194:195], v[174:175], v[114:115] neg_lo:[0,0,1] neg_hi:[0,0,1]
	s_delay_alu instid0(VALU_DEP_4)
	v_pk_add_f32 v[104:105], v[104:105], v[108:109]
	v_pk_fma_f32 v[108:109], v[204:205], v[176:177], v[116:117] op_sel_hi:[1,0,1]
	s_set_vgpr_msb 1                        ;  msbs: dst=0 src0=1 src1=0 src2=0
	v_pk_mul_f32 v[106:107], v[12:13] /*v[268:269]*/, v[106:107] op_sel_hi:[1,0]
	s_set_vgpr_msb 0                        ;  msbs: dst=0 src0=0 src1=0 src2=0
	v_mov_b32_e32 v115, v113
	s_wait_loadcnt_dscnt 0x100
	s_set_vgpr_msb 5                        ;  msbs: dst=0 src0=1 src1=1 src2=0
	v_pk_mul_f32 v[112:113], v[4:5] /*v[260:261]*/, v[0:1] /*v[256:257]*/ op_sel:[1,1] op_sel_hi:[0,1]
	s_set_vgpr_msb 0                        ;  msbs: dst=0 src0=0 src1=0 src2=0
	v_pk_add_f32 v[104:105], v[104:105], v[110:111]
	v_pk_fma_f32 v[110:111], v[204:205], v[176:177], v[116:117] neg_lo:[0,0,1] neg_hi:[0,0,1]
	v_mov_b32_e32 v111, v109
	v_pk_fma_f32 v[108:109], v[206:207], v[178:179], v[106:107] op_sel_hi:[1,0,1]
	v_pk_fma_f32 v[106:107], v[206:207], v[178:179], v[106:107] neg_lo:[0,0,1] neg_hi:[0,0,1]
	v_pk_add_f32 v[104:105], v[104:105], v[114:115]
	s_delay_alu instid0(VALU_DEP_3)
	v_mov_b32_e32 v107, v109
	s_set_vgpr_msb 5                        ;  msbs: dst=0 src0=1 src1=1 src2=0
	v_pk_fma_f32 v[108:109], v[4:5] /*v[260:261]*/, v[0:1] /*v[256:257]*/, v[112:113] op_sel_hi:[1,0,1]
	s_set_vgpr_msb 0                        ;  msbs: dst=0 src0=0 src1=0 src2=0
	v_pk_add_f32 v[104:105], v[104:105], v[110:111]
	s_set_vgpr_msb 5                        ;  msbs: dst=0 src0=1 src1=1 src2=0
	v_pk_fma_f32 v[110:111], v[4:5] /*v[260:261]*/, v[0:1] /*v[256:257]*/, v[112:113] neg_lo:[0,0,1] neg_hi:[0,0,1]
	s_set_vgpr_msb 0                        ;  msbs: dst=0 src0=0 src1=0 src2=0
	v_mov_b32_e32 v111, v109
	v_pk_add_f32 v[104:105], v[104:105], v[106:107]
	s_delay_alu instid0(VALU_DEP_1) | instskip(SKIP_2) | instid1(VALU_DEP_1)
	v_pk_add_f32 v[104:105], v[104:105], v[110:111]
	s_wait_loadcnt 0x0
	s_set_vgpr_msb 1                        ;  msbs: dst=0 src0=1 src1=0 src2=0
	v_pk_add_f32 v[104:105], v[2:3] /*v[258:259]*/, v[104:105] neg_lo:[0,1] neg_hi:[0,1]
	scratch_store_b64 off, v[104:105], off offset:88
	s_wait_xcnt 0x0
	v_cmpx_lt_u32_e32 10, v0
	s_set_vgpr_msb 0                        ;  msbs: dst=0 src0=0 src1=0 src2=0
	s_cbranch_execz .LBB50_299
; %bb.298:
	scratch_load_b64 v[104:105], off, off offset:80
	v_mov_b64_e32 v[106:107], 0
	scratch_store_b64 off, v[106:107], off offset:80
	s_wait_loadcnt 0x0
	ds_store_b64 v1, v[104:105]
.LBB50_299:
	s_wait_xcnt 0x0
	s_or_b32 exec_lo, exec_lo, s0
	s_wait_storecnt_dscnt 0x0
	s_barrier_signal -1
	s_barrier_wait -1
	s_clause 0xf
	scratch_load_b128 v[108:111], off, off offset:88
	scratch_load_b128 v[116:119], off, off offset:104
	;; [unrolled: 1-line block ×16, first 2 shown]
	ds_load_2addr_b64 v[104:107], v5 offset0:63 offset1:64
	ds_load_2addr_b64 v[112:115], v5 offset0:65 offset1:66
	;; [unrolled: 1-line block ×16, first 2 shown]
	s_clause 0x3
	scratch_load_b128 v[232:235], off, off offset:344
	scratch_load_b128 v[236:239], off, off offset:360
	scratch_load_b128 v[240:243], off, off offset:376
	scratch_load_b128 v[244:247], off, off offset:392
	s_mov_b32 s0, exec_lo
	s_wait_loadcnt_dscnt 0x130f
	v_dual_mul_f32 v9, v104, v109 :: v_dual_mul_f32 v11, v106, v111
	s_wait_loadcnt_dscnt 0x100c
	v_dual_mul_f32 v251, v224, v229 :: v_dual_mul_f32 v253, v226, v231
	s_delay_alu instid0(VALU_DEP_2) | instskip(NEXT) | instid1(VALU_DEP_2)
	v_dual_fmac_f32 v9, v105, v108 :: v_dual_fmac_f32 v11, v107, v110
	v_dual_fmac_f32 v251, v225, v228 :: v_dual_fmac_f32 v253, v227, v230
	s_delay_alu instid0(VALU_DEP_2) | instskip(NEXT) | instid1(VALU_DEP_1)
	v_add_f32_e32 v9, 0, v9
	v_dual_add_f32 v9, v9, v11 :: v_dual_mul_f32 v11, v112, v117
	s_delay_alu instid0(VALU_DEP_1) | instskip(NEXT) | instid1(VALU_DEP_1)
	v_fmac_f32_e32 v11, v113, v116
	v_add_f32_e32 v9, v9, v11
	v_mul_f32_e32 v11, v114, v119
	s_delay_alu instid0(VALU_DEP_1) | instskip(SKIP_1) | instid1(VALU_DEP_1)
	v_fmac_f32_e32 v11, v115, v118
	s_wait_loadcnt_dscnt 0xf0b
	v_dual_add_f32 v9, v9, v11 :: v_dual_mul_f32 v11, v120, v125
	s_delay_alu instid0(VALU_DEP_1) | instskip(NEXT) | instid1(VALU_DEP_1)
	v_fmac_f32_e32 v11, v121, v124
	v_add_f32_e32 v9, v9, v11
	v_mul_f32_e32 v11, v122, v127
	s_delay_alu instid0(VALU_DEP_1) | instskip(SKIP_1) | instid1(VALU_DEP_1)
	v_fmac_f32_e32 v11, v123, v126
	s_wait_loadcnt_dscnt 0xe0a
	v_dual_add_f32 v9, v9, v11 :: v_dual_mul_f32 v11, v128, v133
	s_delay_alu instid0(VALU_DEP_1) | instskip(NEXT) | instid1(VALU_DEP_1)
	v_fmac_f32_e32 v11, v129, v132
	v_add_f32_e32 v9, v9, v11
	v_mul_f32_e32 v11, v130, v135
	s_delay_alu instid0(VALU_DEP_1) | instskip(SKIP_1) | instid1(VALU_DEP_1)
	v_fmac_f32_e32 v11, v131, v134
	s_wait_loadcnt_dscnt 0xd09
	v_dual_add_f32 v9, v9, v11 :: v_dual_mul_f32 v11, v136, v141
	s_delay_alu instid0(VALU_DEP_1) | instskip(NEXT) | instid1(VALU_DEP_1)
	v_fmac_f32_e32 v11, v137, v140
	v_add_f32_e32 v9, v9, v11
	v_mul_f32_e32 v11, v138, v143
	s_delay_alu instid0(VALU_DEP_1) | instskip(SKIP_1) | instid1(VALU_DEP_1)
	v_fmac_f32_e32 v11, v139, v142
	s_wait_loadcnt_dscnt 0xc08
	v_dual_add_f32 v9, v9, v11 :: v_dual_mul_f32 v11, v144, v149
	s_delay_alu instid0(VALU_DEP_1) | instskip(NEXT) | instid1(VALU_DEP_1)
	v_fmac_f32_e32 v11, v145, v148
	v_add_f32_e32 v9, v9, v11
	v_mul_f32_e32 v11, v146, v151
	s_delay_alu instid0(VALU_DEP_1) | instskip(SKIP_1) | instid1(VALU_DEP_1)
	v_fmac_f32_e32 v11, v147, v150
	s_wait_loadcnt_dscnt 0xb07
	v_dual_add_f32 v9, v9, v11 :: v_dual_mul_f32 v11, v152, v157
	s_delay_alu instid0(VALU_DEP_1) | instskip(NEXT) | instid1(VALU_DEP_1)
	v_fmac_f32_e32 v11, v153, v156
	v_add_f32_e32 v9, v9, v11
	v_mul_f32_e32 v11, v154, v159
	s_delay_alu instid0(VALU_DEP_1) | instskip(SKIP_1) | instid1(VALU_DEP_1)
	v_fmac_f32_e32 v11, v155, v158
	s_wait_loadcnt_dscnt 0xa06
	v_dual_add_f32 v9, v9, v11 :: v_dual_mul_f32 v11, v160, v165
	s_delay_alu instid0(VALU_DEP_1) | instskip(NEXT) | instid1(VALU_DEP_1)
	v_fmac_f32_e32 v11, v161, v164
	v_add_f32_e32 v9, v9, v11
	v_mul_f32_e32 v11, v162, v167
	s_delay_alu instid0(VALU_DEP_1) | instskip(SKIP_1) | instid1(VALU_DEP_1)
	v_fmac_f32_e32 v11, v163, v166
	s_wait_loadcnt_dscnt 0x905
	v_dual_add_f32 v9, v9, v11 :: v_dual_mul_f32 v11, v168, v173
	s_delay_alu instid0(VALU_DEP_1) | instskip(NEXT) | instid1(VALU_DEP_1)
	v_fmac_f32_e32 v11, v169, v172
	v_add_f32_e32 v9, v9, v11
	v_mul_f32_e32 v11, v170, v175
	s_delay_alu instid0(VALU_DEP_1) | instskip(SKIP_1) | instid1(VALU_DEP_1)
	v_fmac_f32_e32 v11, v171, v174
	s_wait_loadcnt_dscnt 0x804
	v_dual_add_f32 v9, v9, v11 :: v_dual_mul_f32 v11, v176, v181
	s_delay_alu instid0(VALU_DEP_1) | instskip(NEXT) | instid1(VALU_DEP_1)
	v_fmac_f32_e32 v11, v177, v180
	v_add_f32_e32 v9, v9, v11
	v_mul_f32_e32 v11, v178, v183
	s_delay_alu instid0(VALU_DEP_1) | instskip(SKIP_1) | instid1(VALU_DEP_1)
	v_fmac_f32_e32 v11, v179, v182
	s_wait_loadcnt_dscnt 0x703
	v_dual_add_f32 v9, v9, v11 :: v_dual_mul_f32 v11, v184, v189
	s_delay_alu instid0(VALU_DEP_1) | instskip(NEXT) | instid1(VALU_DEP_1)
	v_fmac_f32_e32 v11, v185, v188
	v_add_f32_e32 v9, v9, v11
	v_mul_f32_e32 v11, v186, v191
	s_delay_alu instid0(VALU_DEP_1) | instskip(SKIP_1) | instid1(VALU_DEP_1)
	v_fmac_f32_e32 v11, v187, v190
	s_wait_loadcnt_dscnt 0x602
	v_dual_add_f32 v9, v9, v11 :: v_dual_mul_f32 v11, v192, v197
	s_delay_alu instid0(VALU_DEP_1) | instskip(NEXT) | instid1(VALU_DEP_1)
	v_fmac_f32_e32 v11, v193, v196
	v_add_f32_e32 v9, v9, v11
	v_mul_f32_e32 v11, v194, v199
	s_delay_alu instid0(VALU_DEP_1) | instskip(SKIP_1) | instid1(VALU_DEP_1)
	v_fmac_f32_e32 v11, v195, v198
	s_wait_loadcnt_dscnt 0x501
	v_dual_add_f32 v9, v9, v11 :: v_dual_mul_f32 v11, v200, v205
	s_delay_alu instid0(VALU_DEP_1) | instskip(NEXT) | instid1(VALU_DEP_1)
	v_fmac_f32_e32 v11, v201, v204
	v_add_f32_e32 v9, v9, v11
	v_mul_f32_e32 v11, v202, v207
	s_delay_alu instid0(VALU_DEP_1) | instskip(SKIP_1) | instid1(VALU_DEP_1)
	v_fmac_f32_e32 v11, v203, v206
	s_wait_loadcnt_dscnt 0x400
	v_dual_add_f32 v9, v9, v11 :: v_dual_mul_f32 v11, v208, v213
	s_delay_alu instid0(VALU_DEP_1) | instskip(NEXT) | instid1(VALU_DEP_1)
	v_fmac_f32_e32 v11, v209, v212
	v_add_f32_e32 v9, v9, v11
	v_mul_f32_e32 v11, v210, v215
	s_delay_alu instid0(VALU_DEP_1) | instskip(NEXT) | instid1(VALU_DEP_1)
	v_fmac_f32_e32 v11, v211, v214
	v_dual_add_f32 v9, v9, v11 :: v_dual_mul_f32 v11, v216, v221
	s_delay_alu instid0(VALU_DEP_1) | instskip(NEXT) | instid1(VALU_DEP_1)
	v_fmac_f32_e32 v11, v217, v220
	v_add_f32_e32 v9, v9, v11
	v_mul_f32_e32 v11, v218, v223
	s_delay_alu instid0(VALU_DEP_1) | instskip(NEXT) | instid1(VALU_DEP_1)
	v_fmac_f32_e32 v11, v219, v222
	v_add_f32_e32 v249, v9, v11
	v_dual_mul_f32 v9, v105, v109 :: v_dual_mul_f32 v11, v107, v111
	s_delay_alu instid0(VALU_DEP_1) | instskip(NEXT) | instid1(VALU_DEP_1)
	v_dual_fma_f32 v9, v104, v108, -v9 :: v_dual_fma_f32 v11, v106, v110, -v11
	v_add_f32_e32 v9, 0, v9
	s_delay_alu instid0(VALU_DEP_1) | instskip(SKIP_1) | instid1(VALU_DEP_1)
	v_add_f32_e32 v9, v9, v11
	v_mul_f32_e32 v11, v113, v117
	v_fma_f32 v11, v112, v116, -v11
	s_delay_alu instid0(VALU_DEP_1) | instskip(SKIP_1) | instid1(VALU_DEP_1)
	v_add_f32_e32 v9, v9, v11
	v_mul_f32_e32 v11, v115, v119
	v_fma_f32 v11, v114, v118, -v11
	ds_load_2addr_b64 v[104:107], v5 offset0:95 offset1:96
	ds_load_2addr_b64 v[108:111], v5 offset0:97 offset1:98
	;; [unrolled: 1-line block ×4, first 2 shown]
	v_add_f32_e32 v9, v9, v11
	v_mul_f32_e32 v11, v121, v125
	s_delay_alu instid0(VALU_DEP_1) | instskip(NEXT) | instid1(VALU_DEP_1)
	v_fma_f32 v11, v120, v124, -v11
	v_add_f32_e32 v9, v9, v11
	v_mul_f32_e32 v11, v123, v127
	s_delay_alu instid0(VALU_DEP_1) | instskip(SKIP_2) | instid1(VALU_DEP_2)
	v_fma_f32 v11, v122, v126, -v11
	s_wait_loadcnt_dscnt 0x303
	v_pk_mul_f32 v[122:123], v[104:105], v[232:233] op_sel:[1,1] op_sel_hi:[0,1]
	v_add_f32_e32 v9, v9, v11
	v_mul_f32_e32 v11, v129, v133
	s_delay_alu instid0(VALU_DEP_3) | instskip(SKIP_1) | instid1(VALU_DEP_3)
	v_pk_fma_f32 v[124:125], v[104:105], v[232:233], v[122:123] neg_lo:[0,0,1] neg_hi:[0,0,1]
	v_pk_fma_f32 v[104:105], v[104:105], v[232:233], v[122:123] op_sel_hi:[1,0,1]
	v_dual_mov_b32 v122, v235 :: v_dual_fma_f32 v11, v128, v132, -v11
	s_delay_alu instid0(VALU_DEP_2) | instskip(NEXT) | instid1(VALU_DEP_2)
	v_mov_b32_e32 v125, v105
	v_add_f32_e32 v9, v9, v11
	v_mul_f32_e32 v11, v131, v135
	s_delay_alu instid0(VALU_DEP_1) | instskip(NEXT) | instid1(VALU_DEP_1)
	v_fma_f32 v11, v130, v134, -v11
	v_add_f32_e32 v9, v9, v11
	v_mul_f32_e32 v11, v137, v141
	s_delay_alu instid0(VALU_DEP_1) | instskip(NEXT) | instid1(VALU_DEP_1)
	v_fma_f32 v11, v136, v140, -v11
	;; [unrolled: 4-line block ×23, first 2 shown]
	v_add_f32_e32 v248, v9, v11
	v_mul_f32_e32 v9, v225, v229
	s_delay_alu instid0(VALU_DEP_1) | instskip(NEXT) | instid1(VALU_DEP_1)
	v_dual_fma_f32 v250, v224, v228, -v9 :: v_dual_mul_f32 v9, v227, v231
	v_pk_add_f32 v[120:121], v[248:249], v[250:251]
	s_delay_alu instid0(VALU_DEP_2) | instskip(NEXT) | instid1(VALU_DEP_1)
	v_fma_f32 v252, v226, v230, -v9
	v_pk_add_f32 v[120:121], v[120:121], v[252:253]
	s_delay_alu instid0(VALU_DEP_1) | instskip(SKIP_1) | instid1(VALU_DEP_1)
	v_pk_add_f32 v[104:105], v[120:121], v[124:125]
	v_dual_mov_b32 v120, v107 :: v_dual_mov_b32 v121, v106
	v_pk_mul_f32 v[120:121], v[120:121], v[122:123] op_sel_hi:[1,0]
	s_delay_alu instid0(VALU_DEP_1) | instskip(SKIP_1) | instid1(VALU_DEP_1)
	v_pk_fma_f32 v[122:123], v[106:107], v[234:235], v[120:121] neg_lo:[0,0,1] neg_hi:[0,0,1]
	v_pk_fma_f32 v[106:107], v[106:107], v[234:235], v[120:121] op_sel_hi:[1,0,1]
	v_mov_b32_e32 v123, v107
	s_wait_loadcnt_dscnt 0x202
	v_pk_mul_f32 v[106:107], v[108:109], v[236:237] op_sel:[1,1] op_sel_hi:[0,1]
	s_delay_alu instid0(VALU_DEP_2) | instskip(NEXT) | instid1(VALU_DEP_2)
	v_pk_add_f32 v[104:105], v[104:105], v[122:123]
	v_pk_fma_f32 v[120:121], v[108:109], v[236:237], v[106:107] neg_lo:[0,0,1] neg_hi:[0,0,1]
	v_pk_fma_f32 v[106:107], v[108:109], v[236:237], v[106:107] op_sel_hi:[1,0,1]
	v_dual_mov_b32 v106, v111 :: v_dual_mov_b32 v108, v239
	s_delay_alu instid0(VALU_DEP_2) | instskip(NEXT) | instid1(VALU_DEP_1)
	v_dual_mov_b32 v121, v107 :: v_dual_mov_b32 v107, v110
	v_pk_add_f32 v[104:105], v[104:105], v[120:121]
	s_delay_alu instid0(VALU_DEP_2) | instskip(NEXT) | instid1(VALU_DEP_1)
	v_pk_mul_f32 v[106:107], v[106:107], v[108:109] op_sel_hi:[1,0]
	v_pk_fma_f32 v[108:109], v[110:111], v[238:239], v[106:107] neg_lo:[0,0,1] neg_hi:[0,0,1]
	v_pk_fma_f32 v[106:107], v[110:111], v[238:239], v[106:107] op_sel_hi:[1,0,1]
	s_delay_alu instid0(VALU_DEP_1) | instskip(SKIP_2) | instid1(VALU_DEP_2)
	v_mov_b32_e32 v109, v107
	s_wait_loadcnt_dscnt 0x101
	v_pk_mul_f32 v[106:107], v[112:113], v[240:241] op_sel:[1,1] op_sel_hi:[0,1]
	v_pk_add_f32 v[104:105], v[104:105], v[108:109]
	s_delay_alu instid0(VALU_DEP_2) | instskip(SKIP_1) | instid1(VALU_DEP_1)
	v_pk_fma_f32 v[108:109], v[112:113], v[240:241], v[106:107] neg_lo:[0,0,1] neg_hi:[0,0,1]
	v_pk_fma_f32 v[106:107], v[112:113], v[240:241], v[106:107] op_sel_hi:[1,0,1]
	v_dual_mov_b32 v106, v115 :: v_dual_mov_b32 v109, v107
	v_mov_b32_e32 v107, v114
	s_delay_alu instid0(VALU_DEP_2) | instskip(SKIP_1) | instid1(VALU_DEP_1)
	v_pk_add_f32 v[104:105], v[104:105], v[108:109]
	v_mov_b32_e32 v108, v243
	v_pk_mul_f32 v[106:107], v[106:107], v[108:109] op_sel_hi:[1,0]
	s_delay_alu instid0(VALU_DEP_1) | instskip(SKIP_1) | instid1(VALU_DEP_1)
	v_pk_fma_f32 v[108:109], v[114:115], v[242:243], v[106:107] neg_lo:[0,0,1] neg_hi:[0,0,1]
	v_pk_fma_f32 v[106:107], v[114:115], v[242:243], v[106:107] op_sel_hi:[1,0,1]
	v_mov_b32_e32 v109, v107
	s_wait_loadcnt_dscnt 0x0
	v_pk_mul_f32 v[106:107], v[116:117], v[244:245] op_sel:[1,1] op_sel_hi:[0,1]
	s_delay_alu instid0(VALU_DEP_2) | instskip(NEXT) | instid1(VALU_DEP_2)
	v_pk_add_f32 v[104:105], v[104:105], v[108:109]
	v_pk_fma_f32 v[108:109], v[116:117], v[244:245], v[106:107] neg_lo:[0,0,1] neg_hi:[0,0,1]
	v_pk_fma_f32 v[106:107], v[116:117], v[244:245], v[106:107] op_sel_hi:[1,0,1]
	s_delay_alu instid0(VALU_DEP_1) | instskip(SKIP_1) | instid1(VALU_DEP_2)
	v_dual_mov_b32 v106, v119 :: v_dual_mov_b32 v109, v107
	v_mov_b32_e32 v107, v118
	v_pk_add_f32 v[104:105], v[104:105], v[108:109]
	v_mov_b32_e32 v108, v247
	s_delay_alu instid0(VALU_DEP_1) | instskip(NEXT) | instid1(VALU_DEP_1)
	v_pk_mul_f32 v[106:107], v[106:107], v[108:109] op_sel_hi:[1,0]
	v_pk_fma_f32 v[108:109], v[118:119], v[246:247], v[106:107] neg_lo:[0,0,1] neg_hi:[0,0,1]
	v_pk_fma_f32 v[106:107], v[118:119], v[246:247], v[106:107] op_sel_hi:[1,0,1]
	s_delay_alu instid0(VALU_DEP_1) | instskip(SKIP_3) | instid1(VALU_DEP_1)
	v_mov_b32_e32 v109, v107
	scratch_load_b64 v[106:107], off, off offset:80
	v_pk_add_f32 v[104:105], v[104:105], v[108:109]
	s_wait_loadcnt 0x0
	v_pk_add_f32 v[104:105], v[106:107], v[104:105] neg_lo:[0,1] neg_hi:[0,1]
	scratch_store_b64 off, v[104:105], off offset:80
	s_wait_xcnt 0x0
	v_cmpx_lt_u32_e32 9, v0
	s_cbranch_execz .LBB50_301
; %bb.300:
	scratch_load_b64 v[104:105], off, off offset:72
	v_mov_b64_e32 v[106:107], 0
	scratch_store_b64 off, v[106:107], off offset:72
	s_wait_loadcnt 0x0
	ds_store_b64 v1, v[104:105]
.LBB50_301:
	s_wait_xcnt 0x0
	s_or_b32 exec_lo, exec_lo, s0
	v_mov_b32_e32 v5, 0
	s_wait_storecnt_dscnt 0x0
	s_barrier_signal -1
	s_barrier_wait -1
	ds_load_b128 v[104:107], v5 offset:496
	ds_load_b128 v[108:111], v5 offset:512
	;; [unrolled: 1-line block ×4, first 2 shown]
	s_clause 0x10
	scratch_load_b128 v[120:123], off, off offset:80
	scratch_load_b128 v[124:127], off, off offset:96
	;; [unrolled: 1-line block ×17, first 2 shown]
	s_mov_b32 s0, exec_lo
	s_wait_loadcnt_dscnt 0x1003
	v_mul_f32_e32 v9, v104, v121
	ds_load_b128 v[216:219], v5 offset:720
	ds_load_b128 v[224:227], v5 offset:736
	;; [unrolled: 1-line block ×4, first 2 shown]
	v_dual_fmac_f32 v9, v105, v120 :: v_dual_mul_f32 v11, v106, v123
	ds_load_b128 v[232:235], v5 offset:752
	ds_load_b128 v[152:155], v5 offset:592
	;; [unrolled: 1-line block ×3, first 2 shown]
	v_dual_add_f32 v9, 0, v9 :: v_dual_fmac_f32 v11, v107, v122
	ds_load_b128 v[168:171], v5 offset:624
	ds_load_b128 v[176:179], v5 offset:640
	;; [unrolled: 1-line block ×4, first 2 shown]
	s_wait_loadcnt_dscnt 0xf0d
	v_dual_add_f32 v9, v9, v11 :: v_dual_mul_f32 v11, v108, v125
	ds_load_b128 v[200:203], v5 offset:688
	ds_load_b128 v[208:211], v5 offset:704
	s_clause 0x4
	scratch_load_b128 v[240:243], off, off offset:352
	scratch_load_b128 v[244:247], off, off offset:368
	;; [unrolled: 1-line block ×3, first 2 shown]
	s_set_vgpr_msb 64                       ;  msbs: dst=1 src0=0 src1=0 src2=0
	scratch_load_b64 v[2:3] /*v[258:259]*/, off, off offset:400
	s_wait_loadcnt_dscnt 0x110b
	s_set_vgpr_msb 0                        ;  msbs: dst=0 src0=0 src1=0 src2=0
	v_dual_fmac_f32 v11, v109, v124 :: v_dual_mul_f32 v255, v226, v231
	s_delay_alu instid0(VALU_DEP_1) | instskip(NEXT) | instid1(VALU_DEP_2)
	v_add_f32_e32 v9, v9, v11
	v_dual_mul_f32 v11, v110, v127 :: v_dual_fmac_f32 v255, v227, v230
	s_delay_alu instid0(VALU_DEP_1) | instskip(SKIP_1) | instid1(VALU_DEP_1)
	v_fmac_f32_e32 v11, v111, v126
	s_wait_loadcnt 0x10
	v_dual_add_f32 v9, v9, v11 :: v_dual_mul_f32 v11, v112, v129
	s_delay_alu instid0(VALU_DEP_1) | instskip(NEXT) | instid1(VALU_DEP_1)
	v_fmac_f32_e32 v11, v113, v128
	v_add_f32_e32 v9, v9, v11
	v_mul_f32_e32 v11, v114, v131
	s_delay_alu instid0(VALU_DEP_1) | instskip(SKIP_1) | instid1(VALU_DEP_1)
	v_fmac_f32_e32 v11, v115, v130
	s_wait_loadcnt 0xf
	v_dual_add_f32 v9, v9, v11 :: v_dual_mul_f32 v11, v116, v133
	s_delay_alu instid0(VALU_DEP_1) | instskip(NEXT) | instid1(VALU_DEP_1)
	v_fmac_f32_e32 v11, v117, v132
	v_add_f32_e32 v9, v9, v11
	v_mul_f32_e32 v11, v118, v135
	s_delay_alu instid0(VALU_DEP_1) | instskip(SKIP_1) | instid1(VALU_DEP_1)
	v_fmac_f32_e32 v11, v119, v134
	s_wait_loadcnt_dscnt 0xe0a
	v_dual_add_f32 v9, v9, v11 :: v_dual_mul_f32 v11, v136, v141
	s_delay_alu instid0(VALU_DEP_1) | instskip(NEXT) | instid1(VALU_DEP_1)
	v_fmac_f32_e32 v11, v137, v140
	v_add_f32_e32 v9, v9, v11
	v_mul_f32_e32 v11, v138, v143
	s_delay_alu instid0(VALU_DEP_1) | instskip(SKIP_1) | instid1(VALU_DEP_1)
	v_fmac_f32_e32 v11, v139, v142
	s_wait_loadcnt_dscnt 0xd09
	v_dual_add_f32 v9, v9, v11 :: v_dual_mul_f32 v11, v144, v149
	s_delay_alu instid0(VALU_DEP_1) | instskip(NEXT) | instid1(VALU_DEP_1)
	v_fmac_f32_e32 v11, v145, v148
	v_add_f32_e32 v9, v9, v11
	v_mul_f32_e32 v11, v146, v151
	s_delay_alu instid0(VALU_DEP_1) | instskip(SKIP_1) | instid1(VALU_DEP_1)
	v_fmac_f32_e32 v11, v147, v150
	s_wait_loadcnt_dscnt 0xc07
	v_dual_add_f32 v9, v9, v11 :: v_dual_mul_f32 v11, v152, v157
	s_delay_alu instid0(VALU_DEP_1) | instskip(NEXT) | instid1(VALU_DEP_1)
	v_fmac_f32_e32 v11, v153, v156
	v_add_f32_e32 v9, v9, v11
	v_mul_f32_e32 v11, v154, v159
	s_delay_alu instid0(VALU_DEP_1) | instskip(SKIP_1) | instid1(VALU_DEP_1)
	v_fmac_f32_e32 v11, v155, v158
	s_wait_loadcnt_dscnt 0xb06
	v_dual_add_f32 v9, v9, v11 :: v_dual_mul_f32 v11, v160, v165
	s_delay_alu instid0(VALU_DEP_1) | instskip(NEXT) | instid1(VALU_DEP_1)
	v_fmac_f32_e32 v11, v161, v164
	v_add_f32_e32 v9, v9, v11
	v_mul_f32_e32 v11, v162, v167
	s_delay_alu instid0(VALU_DEP_1) | instskip(SKIP_1) | instid1(VALU_DEP_1)
	v_fmac_f32_e32 v11, v163, v166
	s_wait_loadcnt_dscnt 0xa05
	v_dual_add_f32 v9, v9, v11 :: v_dual_mul_f32 v11, v168, v173
	s_delay_alu instid0(VALU_DEP_1) | instskip(NEXT) | instid1(VALU_DEP_1)
	v_fmac_f32_e32 v11, v169, v172
	v_add_f32_e32 v9, v9, v11
	v_mul_f32_e32 v11, v170, v175
	s_delay_alu instid0(VALU_DEP_1) | instskip(SKIP_1) | instid1(VALU_DEP_1)
	v_fmac_f32_e32 v11, v171, v174
	s_wait_loadcnt_dscnt 0x904
	v_dual_add_f32 v9, v9, v11 :: v_dual_mul_f32 v11, v176, v181
	s_delay_alu instid0(VALU_DEP_1) | instskip(NEXT) | instid1(VALU_DEP_1)
	v_fmac_f32_e32 v11, v177, v180
	v_add_f32_e32 v9, v9, v11
	v_mul_f32_e32 v11, v178, v183
	s_delay_alu instid0(VALU_DEP_1) | instskip(SKIP_1) | instid1(VALU_DEP_1)
	v_fmac_f32_e32 v11, v179, v182
	s_wait_loadcnt_dscnt 0x803
	v_dual_add_f32 v9, v9, v11 :: v_dual_mul_f32 v11, v184, v189
	s_delay_alu instid0(VALU_DEP_1) | instskip(NEXT) | instid1(VALU_DEP_1)
	v_fmac_f32_e32 v11, v185, v188
	v_add_f32_e32 v9, v9, v11
	v_mul_f32_e32 v11, v186, v191
	s_delay_alu instid0(VALU_DEP_1) | instskip(SKIP_1) | instid1(VALU_DEP_1)
	v_fmac_f32_e32 v11, v187, v190
	s_wait_loadcnt_dscnt 0x702
	v_dual_add_f32 v9, v9, v11 :: v_dual_mul_f32 v11, v192, v197
	s_delay_alu instid0(VALU_DEP_1) | instskip(NEXT) | instid1(VALU_DEP_1)
	v_fmac_f32_e32 v11, v193, v196
	v_add_f32_e32 v9, v9, v11
	v_mul_f32_e32 v11, v194, v199
	s_delay_alu instid0(VALU_DEP_1) | instskip(SKIP_1) | instid1(VALU_DEP_1)
	v_fmac_f32_e32 v11, v195, v198
	s_wait_loadcnt_dscnt 0x601
	v_dual_add_f32 v9, v9, v11 :: v_dual_mul_f32 v11, v200, v205
	s_delay_alu instid0(VALU_DEP_1) | instskip(NEXT) | instid1(VALU_DEP_1)
	v_fmac_f32_e32 v11, v201, v204
	v_add_f32_e32 v9, v9, v11
	v_mul_f32_e32 v11, v202, v207
	s_delay_alu instid0(VALU_DEP_1) | instskip(SKIP_1) | instid1(VALU_DEP_1)
	v_fmac_f32_e32 v11, v203, v206
	s_wait_loadcnt_dscnt 0x500
	v_dual_add_f32 v9, v9, v11 :: v_dual_mul_f32 v11, v208, v213
	s_delay_alu instid0(VALU_DEP_1) | instskip(NEXT) | instid1(VALU_DEP_1)
	v_fmac_f32_e32 v11, v209, v212
	v_add_f32_e32 v9, v9, v11
	v_mul_f32_e32 v11, v210, v215
	s_delay_alu instid0(VALU_DEP_1) | instskip(NEXT) | instid1(VALU_DEP_1)
	v_fmac_f32_e32 v11, v211, v214
	v_dual_add_f32 v9, v9, v11 :: v_dual_mul_f32 v11, v216, v221
	s_delay_alu instid0(VALU_DEP_1) | instskip(NEXT) | instid1(VALU_DEP_1)
	v_fmac_f32_e32 v11, v217, v220
	v_add_f32_e32 v9, v9, v11
	v_mul_f32_e32 v11, v218, v223
	s_delay_alu instid0(VALU_DEP_1) | instskip(NEXT) | instid1(VALU_DEP_1)
	v_fmac_f32_e32 v11, v219, v222
	v_dual_add_f32 v9, v9, v11 :: v_dual_mul_f32 v11, v224, v229
	s_delay_alu instid0(VALU_DEP_1) | instskip(NEXT) | instid1(VALU_DEP_1)
	v_fmac_f32_e32 v11, v225, v228
	v_add_f32_e32 v253, v9, v11
	v_dual_mul_f32 v9, v105, v121 :: v_dual_mul_f32 v11, v107, v123
	s_delay_alu instid0(VALU_DEP_1) | instskip(NEXT) | instid1(VALU_DEP_2)
	v_dual_mov_b32 v121, v234 :: v_dual_fma_f32 v9, v104, v120, -v9
	v_dual_fma_f32 v11, v106, v122, -v11 :: v_dual_mov_b32 v120, v235
	s_wait_loadcnt 0x4
	s_delay_alu instid0(VALU_DEP_2) | instskip(NEXT) | instid1(VALU_DEP_1)
	v_dual_mov_b32 v122, v239 :: v_dual_add_f32 v9, 0, v9
	v_pk_mul_f32 v[120:121], v[120:121], v[122:123] op_sel_hi:[1,0]
	s_delay_alu instid0(VALU_DEP_2) | instskip(SKIP_1) | instid1(VALU_DEP_3)
	v_add_f32_e32 v9, v9, v11
	v_mul_f32_e32 v11, v109, v125
	v_pk_fma_f32 v[122:123], v[234:235], v[238:239], v[120:121] neg_lo:[0,0,1] neg_hi:[0,0,1]
	v_pk_fma_f32 v[120:121], v[234:235], v[238:239], v[120:121] op_sel_hi:[1,0,1]
	s_delay_alu instid0(VALU_DEP_1) | instskip(NEXT) | instid1(VALU_DEP_1)
	v_dual_fma_f32 v11, v108, v124, -v11 :: v_dual_mov_b32 v123, v121
	v_add_f32_e32 v9, v9, v11
	v_mul_f32_e32 v11, v111, v127
	s_delay_alu instid0(VALU_DEP_1) | instskip(NEXT) | instid1(VALU_DEP_1)
	v_fma_f32 v11, v110, v126, -v11
	v_add_f32_e32 v9, v9, v11
	v_mul_f32_e32 v11, v113, v129
	s_delay_alu instid0(VALU_DEP_1) | instskip(NEXT) | instid1(VALU_DEP_1)
	v_fma_f32 v11, v112, v128, -v11
	;; [unrolled: 4-line block ×3, first 2 shown]
	v_add_f32_e32 v9, v9, v11
	v_mul_f32_e32 v11, v117, v133
	s_delay_alu instid0(VALU_DEP_1)
	v_fma_f32 v11, v116, v132, -v11
	ds_load_b128 v[104:107], v5 offset:768
	ds_load_b128 v[108:111], v5 offset:784
	;; [unrolled: 1-line block ×3, first 2 shown]
	ds_load_b64 v[116:117], v5 offset:816
	v_add_f32_e32 v9, v9, v11
	v_mul_f32_e32 v11, v119, v135
	s_delay_alu instid0(VALU_DEP_1) | instskip(NEXT) | instid1(VALU_DEP_1)
	v_fma_f32 v11, v118, v134, -v11
	v_add_f32_e32 v9, v9, v11
	v_mul_f32_e32 v11, v137, v141
	s_wait_loadcnt_dscnt 0x303
	v_pk_mul_f32 v[120:121], v[104:105], v[240:241] op_sel:[1,1] op_sel_hi:[0,1]
	s_delay_alu instid0(VALU_DEP_2) | instskip(NEXT) | instid1(VALU_DEP_1)
	v_fma_f32 v11, v136, v140, -v11
	v_add_f32_e32 v9, v9, v11
	v_mul_f32_e32 v11, v139, v143
	s_delay_alu instid0(VALU_DEP_1) | instskip(NEXT) | instid1(VALU_DEP_1)
	v_fma_f32 v11, v138, v142, -v11
	v_add_f32_e32 v9, v9, v11
	v_mul_f32_e32 v11, v145, v149
	s_delay_alu instid0(VALU_DEP_1) | instskip(NEXT) | instid1(VALU_DEP_1)
	;; [unrolled: 4-line block ×22, first 2 shown]
	v_fma_f32 v11, v224, v228, -v11
	v_add_f32_e32 v252, v9, v11
	v_mul_f32_e32 v9, v227, v231
	s_delay_alu instid0(VALU_DEP_1) | instskip(SKIP_3) | instid1(VALU_DEP_2)
	v_dual_fma_f32 v254, v226, v230, -v9 :: v_dual_mul_f32 v9, v233, v237
	s_set_vgpr_msb 64                       ;  msbs: dst=1 src0=0 src1=0 src2=0
	v_mul_f32_e32 v1 /*v257*/, v232, v237
	s_set_vgpr_msb 0                        ;  msbs: dst=0 src0=0 src1=0 src2=0
	v_pk_add_f32 v[118:119], v[252:253], v[254:255]
	s_set_vgpr_msb 64                       ;  msbs: dst=1 src0=0 src1=0 src2=0
	v_fma_f32 v0 /*v256*/, v232, v236, -v9
	v_fmac_f32_e32 v1 /*v257*/, v233, v236
	s_set_vgpr_msb 4                        ;  msbs: dst=0 src0=0 src1=1 src2=0
	s_delay_alu instid0(VALU_DEP_1) | instskip(SKIP_1) | instid1(VALU_DEP_1)
	v_pk_add_f32 v[118:119], v[118:119], v[0:1] /*v[256:257]*/
	s_set_vgpr_msb 0                        ;  msbs: dst=0 src0=0 src1=0 src2=0
	v_pk_add_f32 v[118:119], v[118:119], v[122:123]
	v_pk_fma_f32 v[122:123], v[104:105], v[240:241], v[120:121] neg_lo:[0,0,1] neg_hi:[0,0,1]
	v_pk_fma_f32 v[104:105], v[104:105], v[240:241], v[120:121] op_sel_hi:[1,0,1]
	s_delay_alu instid0(VALU_DEP_1) | instskip(NEXT) | instid1(VALU_DEP_1)
	v_dual_mov_b32 v120, v243 :: v_dual_mov_b32 v123, v105
	v_pk_add_f32 v[104:105], v[118:119], v[122:123]
	v_dual_mov_b32 v118, v107 :: v_dual_mov_b32 v119, v106
	s_delay_alu instid0(VALU_DEP_1) | instskip(NEXT) | instid1(VALU_DEP_1)
	v_pk_mul_f32 v[118:119], v[118:119], v[120:121] op_sel_hi:[1,0]
	v_pk_fma_f32 v[120:121], v[106:107], v[242:243], v[118:119] neg_lo:[0,0,1] neg_hi:[0,0,1]
	v_pk_fma_f32 v[106:107], v[106:107], v[242:243], v[118:119] op_sel_hi:[1,0,1]
	s_delay_alu instid0(VALU_DEP_1) | instskip(SKIP_2) | instid1(VALU_DEP_2)
	v_mov_b32_e32 v121, v107
	s_wait_loadcnt_dscnt 0x202
	v_pk_mul_f32 v[106:107], v[108:109], v[244:245] op_sel:[1,1] op_sel_hi:[0,1]
	v_pk_add_f32 v[104:105], v[104:105], v[120:121]
	s_delay_alu instid0(VALU_DEP_2) | instskip(SKIP_2) | instid1(VALU_DEP_2)
	v_pk_fma_f32 v[118:119], v[108:109], v[244:245], v[106:107] neg_lo:[0,0,1] neg_hi:[0,0,1]
	v_pk_fma_f32 v[106:107], v[108:109], v[244:245], v[106:107] op_sel_hi:[1,0,1]
	v_dual_mov_b32 v106, v111 :: v_dual_mov_b32 v108, v247
	v_dual_mov_b32 v119, v107 :: v_dual_mov_b32 v107, v110
	s_delay_alu instid0(VALU_DEP_1) | instskip(NEXT) | instid1(VALU_DEP_2)
	v_pk_add_f32 v[104:105], v[104:105], v[118:119]
	v_pk_mul_f32 v[106:107], v[106:107], v[108:109] op_sel_hi:[1,0]
	s_delay_alu instid0(VALU_DEP_1) | instskip(SKIP_1) | instid1(VALU_DEP_1)
	v_pk_fma_f32 v[108:109], v[110:111], v[246:247], v[106:107] neg_lo:[0,0,1] neg_hi:[0,0,1]
	v_pk_fma_f32 v[106:107], v[110:111], v[246:247], v[106:107] op_sel_hi:[1,0,1]
	v_mov_b32_e32 v109, v107
	s_wait_loadcnt_dscnt 0x101
	v_pk_mul_f32 v[106:107], v[112:113], v[248:249] op_sel:[1,1] op_sel_hi:[0,1]
	s_delay_alu instid0(VALU_DEP_2) | instskip(NEXT) | instid1(VALU_DEP_2)
	v_pk_add_f32 v[104:105], v[104:105], v[108:109]
	v_pk_fma_f32 v[108:109], v[112:113], v[248:249], v[106:107] neg_lo:[0,0,1] neg_hi:[0,0,1]
	v_pk_fma_f32 v[106:107], v[112:113], v[248:249], v[106:107] op_sel_hi:[1,0,1]
	s_delay_alu instid0(VALU_DEP_1) | instskip(SKIP_1) | instid1(VALU_DEP_2)
	v_dual_mov_b32 v106, v115 :: v_dual_mov_b32 v109, v107
	v_mov_b32_e32 v107, v114
	v_pk_add_f32 v[104:105], v[104:105], v[108:109]
	v_mov_b32_e32 v108, v251
	s_delay_alu instid0(VALU_DEP_1) | instskip(NEXT) | instid1(VALU_DEP_1)
	v_pk_mul_f32 v[106:107], v[106:107], v[108:109] op_sel_hi:[1,0]
	v_pk_fma_f32 v[108:109], v[114:115], v[250:251], v[106:107] neg_lo:[0,0,1] neg_hi:[0,0,1]
	v_pk_fma_f32 v[106:107], v[114:115], v[250:251], v[106:107] op_sel_hi:[1,0,1]
	s_delay_alu instid0(VALU_DEP_1)
	v_mov_b32_e32 v109, v107
	s_wait_loadcnt_dscnt 0x0
	s_set_vgpr_msb 4                        ;  msbs: dst=0 src0=0 src1=1 src2=0
	v_pk_mul_f32 v[106:107], v[116:117], v[2:3] /*v[258:259]*/ op_sel:[1,1] op_sel_hi:[0,1]
	s_set_vgpr_msb 0                        ;  msbs: dst=0 src0=0 src1=0 src2=0
	v_pk_add_f32 v[104:105], v[104:105], v[108:109]
	s_set_vgpr_msb 4                        ;  msbs: dst=0 src0=0 src1=1 src2=0
	s_delay_alu instid0(VALU_DEP_2) | instskip(SKIP_1) | instid1(VALU_DEP_1)
	v_pk_fma_f32 v[108:109], v[116:117], v[2:3] /*v[258:259]*/, v[106:107] neg_lo:[0,0,1] neg_hi:[0,0,1]
	v_pk_fma_f32 v[106:107], v[116:117], v[2:3] /*v[258:259]*/, v[106:107] op_sel_hi:[1,0,1]
	v_mov_b32_e32 v109, v107
	scratch_load_b64 v[106:107], off, off offset:72
	s_set_vgpr_msb 0                        ;  msbs: dst=0 src0=0 src1=0 src2=0
	v_pk_add_f32 v[104:105], v[104:105], v[108:109]
	s_wait_loadcnt 0x0
	s_delay_alu instid0(VALU_DEP_1)
	v_pk_add_f32 v[104:105], v[106:107], v[104:105] neg_lo:[0,1] neg_hi:[0,1]
	scratch_store_b64 off, v[104:105], off offset:72
	s_wait_xcnt 0x0
	v_cmpx_lt_u32_e32 8, v0
	s_cbranch_execz .LBB50_303
; %bb.302:
	scratch_load_b64 v[104:105], off, off offset:64
	v_mov_b64_e32 v[106:107], 0
	scratch_store_b64 off, v[106:107], off offset:64
	s_wait_loadcnt 0x0
	ds_store_b64 v1, v[104:105]
.LBB50_303:
	s_wait_xcnt 0x0
	s_or_b32 exec_lo, exec_lo, s0
	s_wait_storecnt_dscnt 0x0
	s_barrier_signal -1
	s_barrier_wait -1
	s_clause 0xf
	scratch_load_b128 v[108:111], off, off offset:72
	scratch_load_b128 v[116:119], off, off offset:88
	;; [unrolled: 1-line block ×16, first 2 shown]
	ds_load_2addr_b64 v[104:107], v5 offset0:61 offset1:62
	ds_load_2addr_b64 v[112:115], v5 offset0:63 offset1:64
	;; [unrolled: 1-line block ×7, first 2 shown]
	scratch_load_b128 v[236:239], off, off offset:328
	ds_load_2addr_b64 v[152:155], v5 offset0:73 offset1:74
	ds_load_2addr_b64 v[160:163], v5 offset0:75 offset1:76
	;; [unrolled: 1-line block ×10, first 2 shown]
	s_clause 0x3
	scratch_load_b128 v[240:243], off, off offset:344
	scratch_load_b128 v[244:247], off, off offset:360
	;; [unrolled: 1-line block ×4, first 2 shown]
	s_mov_b32 s0, exec_lo
	s_wait_loadcnt_dscnt 0x1410
	v_dual_mul_f32 v9, v104, v109 :: v_dual_mul_f32 v11, v106, v111
	s_delay_alu instid0(VALU_DEP_1) | instskip(NEXT) | instid1(VALU_DEP_1)
	v_dual_fmac_f32 v9, v105, v108 :: v_dual_fmac_f32 v11, v107, v110
	v_add_f32_e32 v9, 0, v9
	s_wait_loadcnt_dscnt 0x130f
	s_delay_alu instid0(VALU_DEP_1) | instskip(NEXT) | instid1(VALU_DEP_1)
	v_dual_add_f32 v9, v9, v11 :: v_dual_mul_f32 v11, v112, v117
	v_fmac_f32_e32 v11, v113, v116
	s_wait_loadcnt_dscnt 0x40a
	s_set_vgpr_msb 64                       ;  msbs: dst=1 src0=0 src1=0 src2=0
	v_dual_mul_f32 v3 /*v259*/, v232, v237 :: v_dual_mul_f32 v5 /*v261*/, v234, v239
	s_set_vgpr_msb 0                        ;  msbs: dst=0 src0=0 src1=0 src2=0
	v_add_f32_e32 v9, v9, v11
	v_mul_f32_e32 v11, v114, v119
	s_set_vgpr_msb 64                       ;  msbs: dst=1 src0=0 src1=0 src2=0
	v_fmac_f32_e32 v3 /*v259*/, v233, v236
	s_set_vgpr_msb 0                        ;  msbs: dst=0 src0=0 src1=0 src2=0
	s_delay_alu instid0(VALU_DEP_2) | instskip(NEXT) | instid1(VALU_DEP_1)
	v_fmac_f32_e32 v11, v115, v118
	v_dual_add_f32 v9, v9, v11 :: v_dual_mul_f32 v11, v120, v125
	s_delay_alu instid0(VALU_DEP_1) | instskip(NEXT) | instid1(VALU_DEP_1)
	v_fmac_f32_e32 v11, v121, v124
	v_add_f32_e32 v9, v9, v11
	v_mul_f32_e32 v11, v122, v127
	s_delay_alu instid0(VALU_DEP_1) | instskip(NEXT) | instid1(VALU_DEP_1)
	v_fmac_f32_e32 v11, v123, v126
	v_dual_add_f32 v9, v9, v11 :: v_dual_mul_f32 v11, v128, v133
	s_delay_alu instid0(VALU_DEP_1) | instskip(NEXT) | instid1(VALU_DEP_1)
	v_fmac_f32_e32 v11, v129, v132
	v_add_f32_e32 v9, v9, v11
	v_mul_f32_e32 v11, v130, v135
	s_delay_alu instid0(VALU_DEP_1) | instskip(NEXT) | instid1(VALU_DEP_1)
	;; [unrolled: 7-line block ×3, first 2 shown]
	v_fmac_f32_e32 v11, v139, v142
	v_dual_add_f32 v9, v9, v11 :: v_dual_mul_f32 v11, v144, v149
	s_delay_alu instid0(VALU_DEP_1) | instskip(NEXT) | instid1(VALU_DEP_1)
	v_fmac_f32_e32 v11, v145, v148
	v_add_f32_e32 v9, v9, v11
	v_mul_f32_e32 v11, v146, v151
	s_delay_alu instid0(VALU_DEP_1) | instskip(SKIP_1) | instid1(VALU_DEP_1)
	v_fmac_f32_e32 v11, v147, v150
	s_wait_dscnt 0x9
	v_dual_add_f32 v9, v9, v11 :: v_dual_mul_f32 v11, v152, v157
	s_delay_alu instid0(VALU_DEP_1) | instskip(NEXT) | instid1(VALU_DEP_1)
	v_fmac_f32_e32 v11, v153, v156
	v_add_f32_e32 v9, v9, v11
	v_mul_f32_e32 v11, v154, v159
	s_delay_alu instid0(VALU_DEP_1) | instskip(SKIP_1) | instid1(VALU_DEP_1)
	v_fmac_f32_e32 v11, v155, v158
	s_wait_dscnt 0x8
	;; [unrolled: 8-line block ×10, first 2 shown]
	v_dual_add_f32 v9, v9, v11 :: v_dual_mul_f32 v11, v224, v229
	s_delay_alu instid0(VALU_DEP_1) | instskip(NEXT) | instid1(VALU_DEP_1)
	v_fmac_f32_e32 v11, v225, v228
	v_add_f32_e32 v9, v9, v11
	v_mul_f32_e32 v11, v226, v231
	s_delay_alu instid0(VALU_DEP_1) | instskip(SKIP_1) | instid1(VALU_DEP_1)
	v_fmac_f32_e32 v11, v227, v230
	s_set_vgpr_msb 64                       ;  msbs: dst=1 src0=0 src1=0 src2=0
	v_add_f32_e32 v1 /*v257*/, v9, v11
	s_set_vgpr_msb 0                        ;  msbs: dst=0 src0=0 src1=0 src2=0
	v_dual_mul_f32 v9, v105, v109 :: v_dual_mul_f32 v11, v107, v111
	s_delay_alu instid0(VALU_DEP_1) | instskip(NEXT) | instid1(VALU_DEP_1)
	v_dual_fma_f32 v9, v104, v108, -v9 :: v_dual_fma_f32 v11, v106, v110, -v11
	v_add_f32_e32 v9, 0, v9
	s_delay_alu instid0(VALU_DEP_1) | instskip(SKIP_1) | instid1(VALU_DEP_1)
	v_add_f32_e32 v9, v9, v11
	v_mul_f32_e32 v11, v113, v117
	v_fma_f32 v11, v112, v116, -v11
	s_delay_alu instid0(VALU_DEP_1) | instskip(SKIP_1) | instid1(VALU_DEP_1)
	v_add_f32_e32 v9, v9, v11
	v_mul_f32_e32 v11, v115, v119
	v_fma_f32 v11, v114, v118, -v11
	ds_load_2addr_b64 v[104:107], v5 offset0:95 offset1:96
	ds_load_2addr_b64 v[108:111], v5 offset0:97 offset1:98
	;; [unrolled: 1-line block ×4, first 2 shown]
	v_add_f32_e32 v9, v9, v11
	v_mul_f32_e32 v11, v121, v125
	s_delay_alu instid0(VALU_DEP_1) | instskip(NEXT) | instid1(VALU_DEP_1)
	v_fma_f32 v11, v120, v124, -v11
	v_add_f32_e32 v9, v9, v11
	v_mul_f32_e32 v11, v123, v127
	s_delay_alu instid0(VALU_DEP_1) | instskip(SKIP_2) | instid1(VALU_DEP_2)
	v_fma_f32 v11, v122, v126, -v11
	s_wait_loadcnt_dscnt 0x303
	v_pk_mul_f32 v[122:123], v[104:105], v[240:241] op_sel:[1,1] op_sel_hi:[0,1]
	v_add_f32_e32 v9, v9, v11
	v_mul_f32_e32 v11, v129, v133
	s_delay_alu instid0(VALU_DEP_3) | instskip(SKIP_1) | instid1(VALU_DEP_3)
	v_pk_fma_f32 v[124:125], v[104:105], v[240:241], v[122:123] neg_lo:[0,0,1] neg_hi:[0,0,1]
	v_pk_fma_f32 v[104:105], v[104:105], v[240:241], v[122:123] op_sel_hi:[1,0,1]
	v_dual_mov_b32 v122, v243 :: v_dual_fma_f32 v11, v128, v132, -v11
	s_delay_alu instid0(VALU_DEP_2) | instskip(NEXT) | instid1(VALU_DEP_2)
	v_mov_b32_e32 v125, v105
	v_add_f32_e32 v9, v9, v11
	v_mul_f32_e32 v11, v131, v135
	s_delay_alu instid0(VALU_DEP_1) | instskip(NEXT) | instid1(VALU_DEP_1)
	v_fma_f32 v11, v130, v134, -v11
	v_add_f32_e32 v9, v9, v11
	v_mul_f32_e32 v11, v137, v141
	s_delay_alu instid0(VALU_DEP_1) | instskip(NEXT) | instid1(VALU_DEP_1)
	v_fma_f32 v11, v136, v140, -v11
	;; [unrolled: 4-line block ×24, first 2 shown]
	v_add_f32_e32 v9, v9, v11
	v_mul_f32_e32 v11, v227, v231
	s_delay_alu instid0(VALU_DEP_1) | instskip(SKIP_1) | instid1(VALU_DEP_1)
	v_fma_f32 v11, v226, v230, -v11
	s_set_vgpr_msb 64                       ;  msbs: dst=1 src0=0 src1=0 src2=0
	v_dual_fmac_f32 v5 /*v261*/, v235, v238 :: v_dual_add_f32 v0 /*v256*/, v9, v11
	s_set_vgpr_msb 0                        ;  msbs: dst=0 src0=0 src1=0 src2=0
	v_mul_f32_e32 v9, v233, v237
	s_set_vgpr_msb 64                       ;  msbs: dst=1 src0=0 src1=0 src2=0
	s_delay_alu instid0(VALU_DEP_1) | instskip(SKIP_3) | instid1(VALU_DEP_1)
	v_fma_f32 v2 /*v258*/, v232, v236, -v9
	s_set_vgpr_msb 0                        ;  msbs: dst=0 src0=0 src1=0 src2=0
	v_mul_f32_e32 v9, v235, v239
	s_set_vgpr_msb 64                       ;  msbs: dst=1 src0=0 src1=0 src2=0
	v_fma_f32 v4 /*v260*/, v234, v238, -v9
	s_set_vgpr_msb 5                        ;  msbs: dst=0 src0=1 src1=1 src2=0
	v_pk_add_f32 v[120:121], v[0:1] /*v[256:257]*/, v[2:3] /*v[258:259]*/
	s_set_vgpr_msb 4                        ;  msbs: dst=0 src0=0 src1=1 src2=0
	s_delay_alu instid0(VALU_DEP_1) | instskip(SKIP_1) | instid1(VALU_DEP_1)
	v_pk_add_f32 v[120:121], v[120:121], v[4:5] /*v[260:261]*/
	s_set_vgpr_msb 0                        ;  msbs: dst=0 src0=0 src1=0 src2=0
	v_pk_add_f32 v[104:105], v[120:121], v[124:125]
	v_dual_mov_b32 v120, v107 :: v_dual_mov_b32 v121, v106
	s_delay_alu instid0(VALU_DEP_1) | instskip(NEXT) | instid1(VALU_DEP_1)
	v_pk_mul_f32 v[120:121], v[120:121], v[122:123] op_sel_hi:[1,0]
	v_pk_fma_f32 v[122:123], v[106:107], v[242:243], v[120:121] neg_lo:[0,0,1] neg_hi:[0,0,1]
	v_pk_fma_f32 v[106:107], v[106:107], v[242:243], v[120:121] op_sel_hi:[1,0,1]
	s_delay_alu instid0(VALU_DEP_1) | instskip(SKIP_2) | instid1(VALU_DEP_2)
	v_mov_b32_e32 v123, v107
	s_wait_loadcnt_dscnt 0x202
	v_pk_mul_f32 v[106:107], v[108:109], v[244:245] op_sel:[1,1] op_sel_hi:[0,1]
	v_pk_add_f32 v[104:105], v[104:105], v[122:123]
	s_delay_alu instid0(VALU_DEP_2) | instskip(SKIP_2) | instid1(VALU_DEP_2)
	v_pk_fma_f32 v[120:121], v[108:109], v[244:245], v[106:107] neg_lo:[0,0,1] neg_hi:[0,0,1]
	v_pk_fma_f32 v[106:107], v[108:109], v[244:245], v[106:107] op_sel_hi:[1,0,1]
	v_dual_mov_b32 v106, v111 :: v_dual_mov_b32 v108, v247
	v_dual_mov_b32 v121, v107 :: v_dual_mov_b32 v107, v110
	s_delay_alu instid0(VALU_DEP_1) | instskip(NEXT) | instid1(VALU_DEP_2)
	v_pk_add_f32 v[104:105], v[104:105], v[120:121]
	v_pk_mul_f32 v[106:107], v[106:107], v[108:109] op_sel_hi:[1,0]
	s_delay_alu instid0(VALU_DEP_1) | instskip(SKIP_1) | instid1(VALU_DEP_1)
	v_pk_fma_f32 v[108:109], v[110:111], v[246:247], v[106:107] neg_lo:[0,0,1] neg_hi:[0,0,1]
	v_pk_fma_f32 v[106:107], v[110:111], v[246:247], v[106:107] op_sel_hi:[1,0,1]
	v_mov_b32_e32 v109, v107
	s_wait_loadcnt_dscnt 0x101
	v_pk_mul_f32 v[106:107], v[112:113], v[248:249] op_sel:[1,1] op_sel_hi:[0,1]
	s_delay_alu instid0(VALU_DEP_2) | instskip(NEXT) | instid1(VALU_DEP_2)
	v_pk_add_f32 v[104:105], v[104:105], v[108:109]
	v_pk_fma_f32 v[108:109], v[112:113], v[248:249], v[106:107] neg_lo:[0,0,1] neg_hi:[0,0,1]
	v_pk_fma_f32 v[106:107], v[112:113], v[248:249], v[106:107] op_sel_hi:[1,0,1]
	s_delay_alu instid0(VALU_DEP_1) | instskip(SKIP_1) | instid1(VALU_DEP_2)
	v_dual_mov_b32 v106, v115 :: v_dual_mov_b32 v109, v107
	v_mov_b32_e32 v107, v114
	v_pk_add_f32 v[104:105], v[104:105], v[108:109]
	v_mov_b32_e32 v108, v251
	s_delay_alu instid0(VALU_DEP_1) | instskip(NEXT) | instid1(VALU_DEP_1)
	v_pk_mul_f32 v[106:107], v[106:107], v[108:109] op_sel_hi:[1,0]
	v_pk_fma_f32 v[108:109], v[114:115], v[250:251], v[106:107] neg_lo:[0,0,1] neg_hi:[0,0,1]
	v_pk_fma_f32 v[106:107], v[114:115], v[250:251], v[106:107] op_sel_hi:[1,0,1]
	s_delay_alu instid0(VALU_DEP_1) | instskip(SKIP_2) | instid1(VALU_DEP_2)
	v_mov_b32_e32 v109, v107
	s_wait_loadcnt_dscnt 0x0
	v_pk_mul_f32 v[106:107], v[116:117], v[252:253] op_sel:[1,1] op_sel_hi:[0,1]
	v_pk_add_f32 v[104:105], v[104:105], v[108:109]
	s_delay_alu instid0(VALU_DEP_2) | instskip(SKIP_1) | instid1(VALU_DEP_1)
	v_pk_fma_f32 v[108:109], v[116:117], v[252:253], v[106:107] neg_lo:[0,0,1] neg_hi:[0,0,1]
	v_pk_fma_f32 v[106:107], v[116:117], v[252:253], v[106:107] op_sel_hi:[1,0,1]
	v_dual_mov_b32 v106, v119 :: v_dual_mov_b32 v109, v107
	v_mov_b32_e32 v107, v118
	s_delay_alu instid0(VALU_DEP_2) | instskip(SKIP_1) | instid1(VALU_DEP_1)
	v_pk_add_f32 v[104:105], v[104:105], v[108:109]
	v_mov_b32_e32 v108, v255
	v_pk_mul_f32 v[106:107], v[106:107], v[108:109] op_sel_hi:[1,0]
	s_delay_alu instid0(VALU_DEP_1) | instskip(SKIP_1) | instid1(VALU_DEP_1)
	v_pk_fma_f32 v[108:109], v[118:119], v[254:255], v[106:107] neg_lo:[0,0,1] neg_hi:[0,0,1]
	v_pk_fma_f32 v[106:107], v[118:119], v[254:255], v[106:107] op_sel_hi:[1,0,1]
	v_mov_b32_e32 v109, v107
	scratch_load_b64 v[106:107], off, off offset:64
	v_pk_add_f32 v[104:105], v[104:105], v[108:109]
	s_wait_loadcnt 0x0
	s_delay_alu instid0(VALU_DEP_1)
	v_pk_add_f32 v[104:105], v[106:107], v[104:105] neg_lo:[0,1] neg_hi:[0,1]
	scratch_store_b64 off, v[104:105], off offset:64
	s_wait_xcnt 0x0
	v_cmpx_lt_u32_e32 7, v0
	s_cbranch_execz .LBB50_305
; %bb.304:
	scratch_load_b64 v[104:105], off, off offset:56
	v_mov_b64_e32 v[106:107], 0
	scratch_store_b64 off, v[106:107], off offset:56
	s_wait_loadcnt 0x0
	ds_store_b64 v1, v[104:105]
.LBB50_305:
	s_wait_xcnt 0x0
	s_or_b32 exec_lo, exec_lo, s0
	v_mov_b32_e32 v5, 0
	s_wait_storecnt_dscnt 0x0
	s_barrier_signal -1
	s_barrier_wait -1
	ds_load_b128 v[104:107], v5 offset:480
	ds_load_b128 v[108:111], v5 offset:496
	;; [unrolled: 1-line block ×4, first 2 shown]
	s_clause 0x11
	scratch_load_b128 v[120:123], off, off offset:64
	scratch_load_b128 v[124:127], off, off offset:80
	;; [unrolled: 1-line block ×18, first 2 shown]
	s_mov_b32 s0, exec_lo
	s_wait_loadcnt_dscnt 0x1103
	v_mul_f32_e32 v9, v104, v121
	ds_load_b128 v[232:235], v5 offset:736
	ds_load_b128 v[240:243], v5 offset:752
	;; [unrolled: 1-line block ×4, first 2 shown]
	v_dual_fmac_f32 v9, v105, v120 :: v_dual_mul_f32 v11, v106, v123
	ds_load_b128 v[152:155], v5 offset:576
	ds_load_b128 v[160:163], v5 offset:592
	;; [unrolled: 1-line block ×4, first 2 shown]
	v_dual_add_f32 v9, 0, v9 :: v_dual_fmac_f32 v11, v107, v122
	ds_load_b128 v[184:187], v5 offset:640
	ds_load_b128 v[192:195], v5 offset:656
	;; [unrolled: 1-line block ×4, first 2 shown]
	s_wait_loadcnt_dscnt 0x100e
	v_dual_add_f32 v9, v9, v11 :: v_dual_mul_f32 v11, v108, v125
	ds_load_b128 v[216:219], v5 offset:704
	ds_load_b128 v[224:227], v5 offset:720
	s_clause 0x4
	scratch_load_b128 v[248:251], off, off offset:352
	scratch_load_b128 v[252:255], off, off offset:368
	s_set_vgpr_msb 64                       ;  msbs: dst=1 src0=0 src1=0 src2=0
	scratch_load_b128 v[0:3] /*v[256:259]*/, off, off offset:384
	scratch_load_b64 v[10:11] /*v[266:267]*/, off, off offset:400
	s_wait_loadcnt_dscnt 0x40c
	v_dual_mul_f32 v7 /*v263*/, v234, v239 :: v_dual_mul_f32 v9 /*v265*/, v240, v245
	s_set_vgpr_msb 0                        ;  msbs: dst=0 src0=0 src1=0 src2=0
	v_fmac_f32_e32 v11, v109, v124
	s_set_vgpr_msb 64                       ;  msbs: dst=1 src0=0 src1=0 src2=0
	s_delay_alu instid0(VALU_DEP_2) | instskip(SKIP_1) | instid1(VALU_DEP_2)
	v_dual_fmac_f32 v7 /*v263*/, v235, v238 :: v_dual_fmac_f32 v9 /*v265*/, v241, v244
	s_set_vgpr_msb 0                        ;  msbs: dst=0 src0=0 src1=0 src2=0
	v_add_f32_e32 v9, v9, v11
	v_mul_f32_e32 v11, v110, v127
	s_delay_alu instid0(VALU_DEP_1) | instskip(NEXT) | instid1(VALU_DEP_1)
	v_fmac_f32_e32 v11, v111, v126
	v_dual_add_f32 v9, v9, v11 :: v_dual_mul_f32 v11, v112, v129
	s_delay_alu instid0(VALU_DEP_1) | instskip(NEXT) | instid1(VALU_DEP_1)
	v_fmac_f32_e32 v11, v113, v128
	v_add_f32_e32 v9, v9, v11
	v_mul_f32_e32 v11, v114, v131
	s_delay_alu instid0(VALU_DEP_1) | instskip(NEXT) | instid1(VALU_DEP_1)
	v_fmac_f32_e32 v11, v115, v130
	v_dual_add_f32 v9, v9, v11 :: v_dual_mul_f32 v11, v116, v133
	s_delay_alu instid0(VALU_DEP_1) | instskip(NEXT) | instid1(VALU_DEP_1)
	v_fmac_f32_e32 v11, v117, v132
	v_add_f32_e32 v9, v9, v11
	v_mul_f32_e32 v11, v118, v135
	s_delay_alu instid0(VALU_DEP_1) | instskip(SKIP_1) | instid1(VALU_DEP_1)
	v_fmac_f32_e32 v11, v119, v134
	s_wait_dscnt 0xb
	v_dual_add_f32 v9, v9, v11 :: v_dual_mul_f32 v11, v136, v141
	s_delay_alu instid0(VALU_DEP_1) | instskip(NEXT) | instid1(VALU_DEP_1)
	v_fmac_f32_e32 v11, v137, v140
	v_add_f32_e32 v9, v9, v11
	v_mul_f32_e32 v11, v138, v143
	s_delay_alu instid0(VALU_DEP_1) | instskip(SKIP_1) | instid1(VALU_DEP_1)
	v_fmac_f32_e32 v11, v139, v142
	s_wait_dscnt 0xa
	v_dual_add_f32 v9, v9, v11 :: v_dual_mul_f32 v11, v144, v149
	s_delay_alu instid0(VALU_DEP_1) | instskip(NEXT) | instid1(VALU_DEP_1)
	v_fmac_f32_e32 v11, v145, v148
	v_add_f32_e32 v9, v9, v11
	v_mul_f32_e32 v11, v146, v151
	s_delay_alu instid0(VALU_DEP_1) | instskip(SKIP_1) | instid1(VALU_DEP_1)
	v_fmac_f32_e32 v11, v147, v150
	s_wait_dscnt 0x9
	v_dual_add_f32 v9, v9, v11 :: v_dual_mul_f32 v11, v152, v157
	s_delay_alu instid0(VALU_DEP_1) | instskip(NEXT) | instid1(VALU_DEP_1)
	v_fmac_f32_e32 v11, v153, v156
	v_add_f32_e32 v9, v9, v11
	v_mul_f32_e32 v11, v154, v159
	s_delay_alu instid0(VALU_DEP_1) | instskip(SKIP_1) | instid1(VALU_DEP_1)
	v_fmac_f32_e32 v11, v155, v158
	s_wait_dscnt 0x8
	v_dual_add_f32 v9, v9, v11 :: v_dual_mul_f32 v11, v160, v165
	s_delay_alu instid0(VALU_DEP_1) | instskip(NEXT) | instid1(VALU_DEP_1)
	v_fmac_f32_e32 v11, v161, v164
	v_add_f32_e32 v9, v9, v11
	v_mul_f32_e32 v11, v162, v167
	s_delay_alu instid0(VALU_DEP_1) | instskip(SKIP_1) | instid1(VALU_DEP_1)
	v_fmac_f32_e32 v11, v163, v166
	s_wait_dscnt 0x7
	v_dual_add_f32 v9, v9, v11 :: v_dual_mul_f32 v11, v168, v173
	s_delay_alu instid0(VALU_DEP_1) | instskip(NEXT) | instid1(VALU_DEP_1)
	v_fmac_f32_e32 v11, v169, v172
	v_add_f32_e32 v9, v9, v11
	v_mul_f32_e32 v11, v170, v175
	s_delay_alu instid0(VALU_DEP_1) | instskip(SKIP_1) | instid1(VALU_DEP_1)
	v_fmac_f32_e32 v11, v171, v174
	s_wait_dscnt 0x6
	v_dual_add_f32 v9, v9, v11 :: v_dual_mul_f32 v11, v176, v181
	s_delay_alu instid0(VALU_DEP_1) | instskip(NEXT) | instid1(VALU_DEP_1)
	v_fmac_f32_e32 v11, v177, v180
	v_add_f32_e32 v9, v9, v11
	v_mul_f32_e32 v11, v178, v183
	s_delay_alu instid0(VALU_DEP_1) | instskip(SKIP_1) | instid1(VALU_DEP_1)
	v_fmac_f32_e32 v11, v179, v182
	s_wait_dscnt 0x5
	v_dual_add_f32 v9, v9, v11 :: v_dual_mul_f32 v11, v184, v189
	s_delay_alu instid0(VALU_DEP_1) | instskip(NEXT) | instid1(VALU_DEP_1)
	v_fmac_f32_e32 v11, v185, v188
	v_add_f32_e32 v9, v9, v11
	v_mul_f32_e32 v11, v186, v191
	s_delay_alu instid0(VALU_DEP_1) | instskip(SKIP_1) | instid1(VALU_DEP_1)
	v_fmac_f32_e32 v11, v187, v190
	s_wait_dscnt 0x4
	v_dual_add_f32 v9, v9, v11 :: v_dual_mul_f32 v11, v192, v197
	s_delay_alu instid0(VALU_DEP_1) | instskip(NEXT) | instid1(VALU_DEP_1)
	v_fmac_f32_e32 v11, v193, v196
	v_add_f32_e32 v9, v9, v11
	v_mul_f32_e32 v11, v194, v199
	s_delay_alu instid0(VALU_DEP_1) | instskip(SKIP_1) | instid1(VALU_DEP_1)
	v_fmac_f32_e32 v11, v195, v198
	s_wait_dscnt 0x3
	v_dual_add_f32 v9, v9, v11 :: v_dual_mul_f32 v11, v200, v205
	s_delay_alu instid0(VALU_DEP_1) | instskip(NEXT) | instid1(VALU_DEP_1)
	v_fmac_f32_e32 v11, v201, v204
	v_add_f32_e32 v9, v9, v11
	v_mul_f32_e32 v11, v202, v207
	s_delay_alu instid0(VALU_DEP_1) | instskip(SKIP_1) | instid1(VALU_DEP_1)
	v_fmac_f32_e32 v11, v203, v206
	s_wait_dscnt 0x2
	v_dual_add_f32 v9, v9, v11 :: v_dual_mul_f32 v11, v208, v213
	s_delay_alu instid0(VALU_DEP_1) | instskip(NEXT) | instid1(VALU_DEP_1)
	v_fmac_f32_e32 v11, v209, v212
	v_add_f32_e32 v9, v9, v11
	v_mul_f32_e32 v11, v210, v215
	s_delay_alu instid0(VALU_DEP_1) | instskip(SKIP_1) | instid1(VALU_DEP_1)
	v_fmac_f32_e32 v11, v211, v214
	s_wait_dscnt 0x1
	v_dual_add_f32 v9, v9, v11 :: v_dual_mul_f32 v11, v216, v221
	s_delay_alu instid0(VALU_DEP_1) | instskip(NEXT) | instid1(VALU_DEP_1)
	v_fmac_f32_e32 v11, v217, v220
	v_add_f32_e32 v9, v9, v11
	v_mul_f32_e32 v11, v218, v223
	s_delay_alu instid0(VALU_DEP_1) | instskip(SKIP_1) | instid1(VALU_DEP_1)
	v_fmac_f32_e32 v11, v219, v222
	s_wait_dscnt 0x0
	v_dual_add_f32 v9, v9, v11 :: v_dual_mul_f32 v11, v224, v229
	s_delay_alu instid0(VALU_DEP_1) | instskip(NEXT) | instid1(VALU_DEP_1)
	v_fmac_f32_e32 v11, v225, v228
	v_add_f32_e32 v9, v9, v11
	v_mul_f32_e32 v11, v226, v231
	s_delay_alu instid0(VALU_DEP_1) | instskip(NEXT) | instid1(VALU_DEP_1)
	v_fmac_f32_e32 v11, v227, v230
	v_dual_add_f32 v9, v9, v11 :: v_dual_mul_f32 v11, v232, v237
	s_delay_alu instid0(VALU_DEP_1) | instskip(SKIP_1) | instid1(VALU_DEP_1)
	v_fmac_f32_e32 v11, v233, v236
	s_set_vgpr_msb 64                       ;  msbs: dst=1 src0=0 src1=0 src2=0
	v_add_f32_e32 v5 /*v261*/, v9, v11
	s_set_vgpr_msb 0                        ;  msbs: dst=0 src0=0 src1=0 src2=0
	v_dual_mul_f32 v9, v105, v121 :: v_dual_mul_f32 v11, v107, v123
	s_delay_alu instid0(VALU_DEP_1) | instskip(NEXT) | instid1(VALU_DEP_2)
	v_dual_mov_b32 v121, v242 :: v_dual_fma_f32 v9, v104, v120, -v9
	v_dual_fma_f32 v11, v106, v122, -v11 :: v_dual_mov_b32 v120, v243
	s_delay_alu instid0(VALU_DEP_2) | instskip(NEXT) | instid1(VALU_DEP_1)
	v_dual_mov_b32 v122, v247 :: v_dual_add_f32 v9, 0, v9
	v_pk_mul_f32 v[120:121], v[120:121], v[122:123] op_sel_hi:[1,0]
	s_delay_alu instid0(VALU_DEP_2) | instskip(SKIP_1) | instid1(VALU_DEP_3)
	v_add_f32_e32 v9, v9, v11
	v_mul_f32_e32 v11, v109, v125
	v_pk_fma_f32 v[122:123], v[242:243], v[246:247], v[120:121] neg_lo:[0,0,1] neg_hi:[0,0,1]
	v_pk_fma_f32 v[120:121], v[242:243], v[246:247], v[120:121] op_sel_hi:[1,0,1]
	s_delay_alu instid0(VALU_DEP_1) | instskip(NEXT) | instid1(VALU_DEP_1)
	v_dual_fma_f32 v11, v108, v124, -v11 :: v_dual_mov_b32 v123, v121
	v_add_f32_e32 v9, v9, v11
	v_mul_f32_e32 v11, v111, v127
	s_delay_alu instid0(VALU_DEP_1) | instskip(NEXT) | instid1(VALU_DEP_1)
	v_fma_f32 v11, v110, v126, -v11
	v_add_f32_e32 v9, v9, v11
	v_mul_f32_e32 v11, v113, v129
	s_delay_alu instid0(VALU_DEP_1) | instskip(NEXT) | instid1(VALU_DEP_1)
	v_fma_f32 v11, v112, v128, -v11
	;; [unrolled: 4-line block ×3, first 2 shown]
	v_add_f32_e32 v9, v9, v11
	v_mul_f32_e32 v11, v117, v133
	s_delay_alu instid0(VALU_DEP_1)
	v_fma_f32 v11, v116, v132, -v11
	ds_load_b128 v[104:107], v5 offset:768
	ds_load_b128 v[108:111], v5 offset:784
	;; [unrolled: 1-line block ×3, first 2 shown]
	ds_load_b64 v[116:117], v5 offset:816
	v_add_f32_e32 v9, v9, v11
	v_mul_f32_e32 v11, v119, v135
	s_delay_alu instid0(VALU_DEP_1) | instskip(NEXT) | instid1(VALU_DEP_1)
	v_fma_f32 v11, v118, v134, -v11
	v_add_f32_e32 v9, v9, v11
	v_mul_f32_e32 v11, v137, v141
	s_wait_loadcnt_dscnt 0x303
	v_pk_mul_f32 v[120:121], v[104:105], v[248:249] op_sel:[1,1] op_sel_hi:[0,1]
	s_delay_alu instid0(VALU_DEP_2) | instskip(NEXT) | instid1(VALU_DEP_1)
	v_fma_f32 v11, v136, v140, -v11
	v_add_f32_e32 v9, v9, v11
	v_mul_f32_e32 v11, v139, v143
	s_delay_alu instid0(VALU_DEP_1) | instskip(NEXT) | instid1(VALU_DEP_1)
	v_fma_f32 v11, v138, v142, -v11
	v_add_f32_e32 v9, v9, v11
	v_mul_f32_e32 v11, v145, v149
	s_delay_alu instid0(VALU_DEP_1) | instskip(NEXT) | instid1(VALU_DEP_1)
	;; [unrolled: 4-line block ×23, first 2 shown]
	v_fma_f32 v11, v226, v230, -v11
	v_add_f32_e32 v9, v9, v11
	v_mul_f32_e32 v11, v233, v237
	s_delay_alu instid0(VALU_DEP_1) | instskip(SKIP_1) | instid1(VALU_DEP_1)
	v_fma_f32 v11, v232, v236, -v11
	s_set_vgpr_msb 64                       ;  msbs: dst=1 src0=0 src1=0 src2=0
	v_add_f32_e32 v4 /*v260*/, v9, v11
	s_set_vgpr_msb 0                        ;  msbs: dst=0 src0=0 src1=0 src2=0
	v_mul_f32_e32 v9, v235, v239
	s_set_vgpr_msb 64                       ;  msbs: dst=1 src0=0 src1=0 src2=0
	s_delay_alu instid0(VALU_DEP_1) | instskip(SKIP_3) | instid1(VALU_DEP_2)
	v_fma_f32 v6 /*v262*/, v234, v238, -v9
	s_set_vgpr_msb 0                        ;  msbs: dst=0 src0=0 src1=0 src2=0
	v_mul_f32_e32 v9, v241, v245
	s_set_vgpr_msb 5                        ;  msbs: dst=0 src0=1 src1=1 src2=0
	v_pk_add_f32 v[118:119], v[4:5] /*v[260:261]*/, v[6:7] /*v[262:263]*/
	s_set_vgpr_msb 64                       ;  msbs: dst=1 src0=0 src1=0 src2=0
	s_delay_alu instid0(VALU_DEP_2) | instskip(SKIP_1) | instid1(VALU_DEP_1)
	v_fma_f32 v8 /*v264*/, v240, v244, -v9
	s_set_vgpr_msb 4                        ;  msbs: dst=0 src0=0 src1=1 src2=0
	v_pk_add_f32 v[118:119], v[118:119], v[8:9] /*v[264:265]*/
	s_set_vgpr_msb 0                        ;  msbs: dst=0 src0=0 src1=0 src2=0
	s_delay_alu instid0(VALU_DEP_1) | instskip(SKIP_2) | instid1(VALU_DEP_1)
	v_pk_add_f32 v[118:119], v[118:119], v[122:123]
	v_pk_fma_f32 v[122:123], v[104:105], v[248:249], v[120:121] neg_lo:[0,0,1] neg_hi:[0,0,1]
	v_pk_fma_f32 v[104:105], v[104:105], v[248:249], v[120:121] op_sel_hi:[1,0,1]
	v_dual_mov_b32 v120, v251 :: v_dual_mov_b32 v123, v105
	s_delay_alu instid0(VALU_DEP_1) | instskip(SKIP_1) | instid1(VALU_DEP_1)
	v_pk_add_f32 v[104:105], v[118:119], v[122:123]
	v_dual_mov_b32 v118, v107 :: v_dual_mov_b32 v119, v106
	v_pk_mul_f32 v[118:119], v[118:119], v[120:121] op_sel_hi:[1,0]
	s_delay_alu instid0(VALU_DEP_1) | instskip(SKIP_1) | instid1(VALU_DEP_1)
	v_pk_fma_f32 v[120:121], v[106:107], v[250:251], v[118:119] neg_lo:[0,0,1] neg_hi:[0,0,1]
	v_pk_fma_f32 v[106:107], v[106:107], v[250:251], v[118:119] op_sel_hi:[1,0,1]
	v_mov_b32_e32 v121, v107
	s_wait_loadcnt_dscnt 0x202
	v_pk_mul_f32 v[106:107], v[108:109], v[252:253] op_sel:[1,1] op_sel_hi:[0,1]
	s_delay_alu instid0(VALU_DEP_2) | instskip(NEXT) | instid1(VALU_DEP_2)
	v_pk_add_f32 v[104:105], v[104:105], v[120:121]
	v_pk_fma_f32 v[118:119], v[108:109], v[252:253], v[106:107] neg_lo:[0,0,1] neg_hi:[0,0,1]
	v_pk_fma_f32 v[106:107], v[108:109], v[252:253], v[106:107] op_sel_hi:[1,0,1]
	v_dual_mov_b32 v106, v111 :: v_dual_mov_b32 v108, v255
	s_delay_alu instid0(VALU_DEP_2) | instskip(NEXT) | instid1(VALU_DEP_1)
	v_dual_mov_b32 v119, v107 :: v_dual_mov_b32 v107, v110
	v_pk_add_f32 v[104:105], v[104:105], v[118:119]
	s_delay_alu instid0(VALU_DEP_2) | instskip(NEXT) | instid1(VALU_DEP_1)
	v_pk_mul_f32 v[106:107], v[106:107], v[108:109] op_sel_hi:[1,0]
	v_pk_fma_f32 v[108:109], v[110:111], v[254:255], v[106:107] neg_lo:[0,0,1] neg_hi:[0,0,1]
	v_pk_fma_f32 v[106:107], v[110:111], v[254:255], v[106:107] op_sel_hi:[1,0,1]
	s_delay_alu instid0(VALU_DEP_1)
	v_mov_b32_e32 v109, v107
	s_wait_loadcnt_dscnt 0x101
	s_set_vgpr_msb 4                        ;  msbs: dst=0 src0=0 src1=1 src2=0
	v_pk_mul_f32 v[106:107], v[112:113], v[0:1] /*v[256:257]*/ op_sel:[1,1] op_sel_hi:[0,1]
	s_set_vgpr_msb 0                        ;  msbs: dst=0 src0=0 src1=0 src2=0
	v_pk_add_f32 v[104:105], v[104:105], v[108:109]
	s_set_vgpr_msb 4                        ;  msbs: dst=0 src0=0 src1=1 src2=0
	s_delay_alu instid0(VALU_DEP_2) | instskip(SKIP_1) | instid1(VALU_DEP_1)
	v_pk_fma_f32 v[108:109], v[112:113], v[0:1] /*v[256:257]*/, v[106:107] neg_lo:[0,0,1] neg_hi:[0,0,1]
	v_pk_fma_f32 v[106:107], v[112:113], v[0:1] /*v[256:257]*/, v[106:107] op_sel_hi:[1,0,1]
	v_dual_mov_b32 v106, v115 :: v_dual_mov_b32 v109, v107
	v_mov_b32_e32 v107, v114
	s_set_vgpr_msb 0                        ;  msbs: dst=0 src0=0 src1=0 src2=0
	s_delay_alu instid0(VALU_DEP_2) | instskip(SKIP_3) | instid1(VALU_DEP_1)
	v_pk_add_f32 v[104:105], v[104:105], v[108:109]
	s_set_vgpr_msb 1                        ;  msbs: dst=0 src0=1 src1=0 src2=0
	v_mov_b32_e32 v108, v3 /*v259*/
	s_set_vgpr_msb 0                        ;  msbs: dst=0 src0=0 src1=0 src2=0
	v_pk_mul_f32 v[106:107], v[106:107], v[108:109] op_sel_hi:[1,0]
	s_set_vgpr_msb 4                        ;  msbs: dst=0 src0=0 src1=1 src2=0
	s_delay_alu instid0(VALU_DEP_1) | instskip(SKIP_1) | instid1(VALU_DEP_1)
	v_pk_fma_f32 v[108:109], v[114:115], v[2:3] /*v[258:259]*/, v[106:107] neg_lo:[0,0,1] neg_hi:[0,0,1]
	v_pk_fma_f32 v[106:107], v[114:115], v[2:3] /*v[258:259]*/, v[106:107] op_sel_hi:[1,0,1]
	v_mov_b32_e32 v109, v107
	s_wait_loadcnt_dscnt 0x0
	v_pk_mul_f32 v[106:107], v[116:117], v[10:11] /*v[266:267]*/ op_sel:[1,1] op_sel_hi:[0,1]
	s_set_vgpr_msb 0                        ;  msbs: dst=0 src0=0 src1=0 src2=0
	s_delay_alu instid0(VALU_DEP_2) | instskip(SKIP_1) | instid1(VALU_DEP_2)
	v_pk_add_f32 v[104:105], v[104:105], v[108:109]
	s_set_vgpr_msb 4                        ;  msbs: dst=0 src0=0 src1=1 src2=0
	v_pk_fma_f32 v[108:109], v[116:117], v[10:11] /*v[266:267]*/, v[106:107] neg_lo:[0,0,1] neg_hi:[0,0,1]
	v_pk_fma_f32 v[106:107], v[116:117], v[10:11] /*v[266:267]*/, v[106:107] op_sel_hi:[1,0,1]
	s_delay_alu instid0(VALU_DEP_1) | instskip(SKIP_4) | instid1(VALU_DEP_1)
	v_mov_b32_e32 v109, v107
	scratch_load_b64 v[106:107], off, off offset:56
	s_set_vgpr_msb 0                        ;  msbs: dst=0 src0=0 src1=0 src2=0
	v_pk_add_f32 v[104:105], v[104:105], v[108:109]
	s_wait_loadcnt 0x0
	v_pk_add_f32 v[104:105], v[106:107], v[104:105] neg_lo:[0,1] neg_hi:[0,1]
	scratch_store_b64 off, v[104:105], off offset:56
	s_wait_xcnt 0x0
	v_cmpx_lt_u32_e32 6, v0
	s_cbranch_execz .LBB50_307
; %bb.306:
	scratch_load_b64 v[104:105], off, off offset:48
	v_mov_b64_e32 v[106:107], 0
	scratch_store_b64 off, v[106:107], off offset:48
	s_wait_loadcnt 0x0
	ds_store_b64 v1, v[104:105]
.LBB50_307:
	s_wait_xcnt 0x0
	s_or_b32 exec_lo, exec_lo, s0
	s_wait_storecnt_dscnt 0x0
	s_barrier_signal -1
	s_barrier_wait -1
	s_clause 0xf
	scratch_load_b128 v[108:111], off, off offset:56
	scratch_load_b128 v[116:119], off, off offset:72
	;; [unrolled: 1-line block ×16, first 2 shown]
	ds_load_2addr_b64 v[104:107], v5 offset0:59 offset1:60
	ds_load_2addr_b64 v[112:115], v5 offset0:61 offset1:62
	s_clause 0x1
	scratch_load_b128 v[236:239], off, off offset:312
	scratch_load_b128 v[244:247], off, off offset:328
	ds_load_2addr_b64 v[120:123], v5 offset0:63 offset1:64
	ds_load_2addr_b64 v[128:131], v5 offset0:65 offset1:66
	;; [unrolled: 1-line block ×16, first 2 shown]
	s_clause 0x4
	scratch_load_b128 v[248:251], off, off offset:344
	scratch_load_b128 v[252:255], off, off offset:360
	s_set_vgpr_msb 64                       ;  msbs: dst=1 src0=0 src1=0 src2=0
	scratch_load_b128 v[0:3] /*v[256:259]*/, off, off offset:376
	scratch_load_b128 v[4:7] /*v[260:263]*/, off, off offset:392
	s_mov_b32 s0, exec_lo
	s_wait_loadcnt_dscnt 0x1511
	s_set_vgpr_msb 0                        ;  msbs: dst=0 src0=0 src1=0 src2=0
	v_dual_mul_f32 v9, v104, v109 :: v_dual_mul_f32 v11, v106, v111
	s_delay_alu instid0(VALU_DEP_1) | instskip(NEXT) | instid1(VALU_DEP_1)
	v_dual_fmac_f32 v9, v105, v108 :: v_dual_fmac_f32 v11, v107, v110
	v_add_f32_e32 v9, 0, v9
	s_wait_loadcnt_dscnt 0x1410
	s_delay_alu instid0(VALU_DEP_1)
	v_dual_add_f32 v9, v9, v11 :: v_dual_mul_f32 v11, v112, v117
	s_wait_loadcnt_dscnt 0x40a
	s_set_vgpr_msb 64                       ;  msbs: dst=1 src0=0 src1=0 src2=0
	v_dual_mul_f32 v11 /*v267*/, v240, v245 :: v_dual_mul_f32 v13 /*v269*/, v242, v247
	s_set_vgpr_msb 0                        ;  msbs: dst=0 src0=0 src1=0 src2=0
	v_fmac_f32_e32 v11, v113, v116
	s_set_vgpr_msb 64                       ;  msbs: dst=1 src0=0 src1=0 src2=0
	s_delay_alu instid0(VALU_DEP_2) | instskip(SKIP_1) | instid1(VALU_DEP_2)
	v_fmac_f32_e32 v11 /*v267*/, v241, v244
	s_set_vgpr_msb 0                        ;  msbs: dst=0 src0=0 src1=0 src2=0
	v_add_f32_e32 v9, v9, v11
	v_mul_f32_e32 v11, v114, v119
	s_delay_alu instid0(VALU_DEP_1) | instskip(NEXT) | instid1(VALU_DEP_1)
	v_fmac_f32_e32 v11, v115, v118
	v_dual_add_f32 v9, v9, v11 :: v_dual_mul_f32 v11, v120, v125
	s_delay_alu instid0(VALU_DEP_1) | instskip(NEXT) | instid1(VALU_DEP_1)
	v_fmac_f32_e32 v11, v121, v124
	v_add_f32_e32 v9, v9, v11
	v_mul_f32_e32 v11, v122, v127
	s_delay_alu instid0(VALU_DEP_1) | instskip(NEXT) | instid1(VALU_DEP_1)
	v_fmac_f32_e32 v11, v123, v126
	v_dual_add_f32 v9, v9, v11 :: v_dual_mul_f32 v11, v128, v133
	s_delay_alu instid0(VALU_DEP_1) | instskip(NEXT) | instid1(VALU_DEP_1)
	v_fmac_f32_e32 v11, v129, v132
	;; [unrolled: 7-line block ×4, first 2 shown]
	v_add_f32_e32 v9, v9, v11
	v_mul_f32_e32 v11, v146, v151
	s_delay_alu instid0(VALU_DEP_1) | instskip(SKIP_1) | instid1(VALU_DEP_1)
	v_fmac_f32_e32 v11, v147, v150
	s_wait_dscnt 0x9
	v_dual_add_f32 v9, v9, v11 :: v_dual_mul_f32 v11, v152, v157
	s_delay_alu instid0(VALU_DEP_1) | instskip(NEXT) | instid1(VALU_DEP_1)
	v_fmac_f32_e32 v11, v153, v156
	v_add_f32_e32 v9, v9, v11
	v_mul_f32_e32 v11, v154, v159
	s_delay_alu instid0(VALU_DEP_1) | instskip(SKIP_1) | instid1(VALU_DEP_1)
	v_fmac_f32_e32 v11, v155, v158
	s_wait_dscnt 0x8
	v_dual_add_f32 v9, v9, v11 :: v_dual_mul_f32 v11, v160, v165
	s_delay_alu instid0(VALU_DEP_1) | instskip(NEXT) | instid1(VALU_DEP_1)
	v_fmac_f32_e32 v11, v161, v164
	;; [unrolled: 8-line block ×10, first 2 shown]
	v_add_f32_e32 v9, v9, v11
	v_mul_f32_e32 v11, v226, v231
	s_delay_alu instid0(VALU_DEP_1) | instskip(NEXT) | instid1(VALU_DEP_1)
	v_fmac_f32_e32 v11, v227, v230
	v_dual_add_f32 v9, v9, v11 :: v_dual_mul_f32 v11, v232, v237
	s_delay_alu instid0(VALU_DEP_1) | instskip(NEXT) | instid1(VALU_DEP_1)
	v_fmac_f32_e32 v11, v233, v236
	v_add_f32_e32 v9, v9, v11
	v_mul_f32_e32 v11, v234, v239
	s_delay_alu instid0(VALU_DEP_1) | instskip(SKIP_1) | instid1(VALU_DEP_1)
	v_fmac_f32_e32 v11, v235, v238
	s_set_vgpr_msb 64                       ;  msbs: dst=1 src0=0 src1=0 src2=0
	v_add_f32_e32 v9 /*v265*/, v9, v11
	s_set_vgpr_msb 0                        ;  msbs: dst=0 src0=0 src1=0 src2=0
	v_dual_mul_f32 v9, v105, v109 :: v_dual_mul_f32 v11, v107, v111
	s_delay_alu instid0(VALU_DEP_1) | instskip(NEXT) | instid1(VALU_DEP_1)
	v_dual_fma_f32 v9, v104, v108, -v9 :: v_dual_fma_f32 v11, v106, v110, -v11
	v_add_f32_e32 v9, 0, v9
	s_delay_alu instid0(VALU_DEP_1) | instskip(SKIP_1) | instid1(VALU_DEP_1)
	v_add_f32_e32 v9, v9, v11
	v_mul_f32_e32 v11, v113, v117
	v_fma_f32 v11, v112, v116, -v11
	s_delay_alu instid0(VALU_DEP_1) | instskip(SKIP_1) | instid1(VALU_DEP_1)
	v_add_f32_e32 v9, v9, v11
	v_mul_f32_e32 v11, v115, v119
	v_fma_f32 v11, v114, v118, -v11
	ds_load_2addr_b64 v[104:107], v5 offset0:95 offset1:96
	ds_load_2addr_b64 v[108:111], v5 offset0:97 offset1:98
	;; [unrolled: 1-line block ×4, first 2 shown]
	v_add_f32_e32 v9, v9, v11
	v_mul_f32_e32 v11, v121, v125
	s_delay_alu instid0(VALU_DEP_1) | instskip(NEXT) | instid1(VALU_DEP_1)
	v_fma_f32 v11, v120, v124, -v11
	v_add_f32_e32 v9, v9, v11
	v_mul_f32_e32 v11, v123, v127
	s_delay_alu instid0(VALU_DEP_1) | instskip(SKIP_2) | instid1(VALU_DEP_2)
	v_fma_f32 v11, v122, v126, -v11
	s_wait_loadcnt_dscnt 0x303
	v_pk_mul_f32 v[122:123], v[104:105], v[248:249] op_sel:[1,1] op_sel_hi:[0,1]
	v_add_f32_e32 v9, v9, v11
	v_mul_f32_e32 v11, v129, v133
	s_delay_alu instid0(VALU_DEP_3) | instskip(SKIP_1) | instid1(VALU_DEP_3)
	v_pk_fma_f32 v[124:125], v[104:105], v[248:249], v[122:123] neg_lo:[0,0,1] neg_hi:[0,0,1]
	v_pk_fma_f32 v[104:105], v[104:105], v[248:249], v[122:123] op_sel_hi:[1,0,1]
	v_dual_mov_b32 v122, v251 :: v_dual_fma_f32 v11, v128, v132, -v11
	s_delay_alu instid0(VALU_DEP_2) | instskip(NEXT) | instid1(VALU_DEP_2)
	v_mov_b32_e32 v125, v105
	v_add_f32_e32 v9, v9, v11
	v_mul_f32_e32 v11, v131, v135
	s_delay_alu instid0(VALU_DEP_1) | instskip(NEXT) | instid1(VALU_DEP_1)
	v_fma_f32 v11, v130, v134, -v11
	v_add_f32_e32 v9, v9, v11
	v_mul_f32_e32 v11, v137, v141
	s_delay_alu instid0(VALU_DEP_1) | instskip(NEXT) | instid1(VALU_DEP_1)
	v_fma_f32 v11, v136, v140, -v11
	;; [unrolled: 4-line block ×26, first 2 shown]
	v_add_f32_e32 v9, v9, v11
	v_mul_f32_e32 v11, v235, v239
	s_delay_alu instid0(VALU_DEP_1) | instskip(SKIP_1) | instid1(VALU_DEP_1)
	v_fma_f32 v11, v234, v238, -v11
	s_set_vgpr_msb 64                       ;  msbs: dst=1 src0=0 src1=0 src2=0
	v_dual_fmac_f32 v13 /*v269*/, v243, v246 :: v_dual_add_f32 v8 /*v264*/, v9, v11
	s_set_vgpr_msb 0                        ;  msbs: dst=0 src0=0 src1=0 src2=0
	v_mul_f32_e32 v9, v241, v245
	s_set_vgpr_msb 64                       ;  msbs: dst=1 src0=0 src1=0 src2=0
	s_delay_alu instid0(VALU_DEP_1) | instskip(SKIP_3) | instid1(VALU_DEP_1)
	v_fma_f32 v10 /*v266*/, v240, v244, -v9
	s_set_vgpr_msb 0                        ;  msbs: dst=0 src0=0 src1=0 src2=0
	v_mul_f32_e32 v9, v243, v247
	s_set_vgpr_msb 64                       ;  msbs: dst=1 src0=0 src1=0 src2=0
	v_fma_f32 v12 /*v268*/, v242, v246, -v9
	s_set_vgpr_msb 5                        ;  msbs: dst=0 src0=1 src1=1 src2=0
	v_pk_add_f32 v[120:121], v[8:9] /*v[264:265]*/, v[10:11] /*v[266:267]*/
	s_set_vgpr_msb 4                        ;  msbs: dst=0 src0=0 src1=1 src2=0
	s_delay_alu instid0(VALU_DEP_1) | instskip(SKIP_1) | instid1(VALU_DEP_1)
	v_pk_add_f32 v[120:121], v[120:121], v[12:13] /*v[268:269]*/
	s_set_vgpr_msb 0                        ;  msbs: dst=0 src0=0 src1=0 src2=0
	v_pk_add_f32 v[104:105], v[120:121], v[124:125]
	v_dual_mov_b32 v120, v107 :: v_dual_mov_b32 v121, v106
	s_delay_alu instid0(VALU_DEP_1) | instskip(NEXT) | instid1(VALU_DEP_1)
	v_pk_mul_f32 v[120:121], v[120:121], v[122:123] op_sel_hi:[1,0]
	v_pk_fma_f32 v[122:123], v[106:107], v[250:251], v[120:121] neg_lo:[0,0,1] neg_hi:[0,0,1]
	v_pk_fma_f32 v[106:107], v[106:107], v[250:251], v[120:121] op_sel_hi:[1,0,1]
	s_delay_alu instid0(VALU_DEP_1) | instskip(SKIP_2) | instid1(VALU_DEP_2)
	v_mov_b32_e32 v123, v107
	s_wait_loadcnt_dscnt 0x202
	v_pk_mul_f32 v[106:107], v[108:109], v[252:253] op_sel:[1,1] op_sel_hi:[0,1]
	v_pk_add_f32 v[104:105], v[104:105], v[122:123]
	s_delay_alu instid0(VALU_DEP_2) | instskip(SKIP_2) | instid1(VALU_DEP_2)
	v_pk_fma_f32 v[120:121], v[108:109], v[252:253], v[106:107] neg_lo:[0,0,1] neg_hi:[0,0,1]
	v_pk_fma_f32 v[106:107], v[108:109], v[252:253], v[106:107] op_sel_hi:[1,0,1]
	v_dual_mov_b32 v106, v111 :: v_dual_mov_b32 v108, v255
	v_dual_mov_b32 v121, v107 :: v_dual_mov_b32 v107, v110
	s_delay_alu instid0(VALU_DEP_1) | instskip(NEXT) | instid1(VALU_DEP_2)
	v_pk_add_f32 v[104:105], v[104:105], v[120:121]
	v_pk_mul_f32 v[106:107], v[106:107], v[108:109] op_sel_hi:[1,0]
	s_delay_alu instid0(VALU_DEP_1) | instskip(SKIP_1) | instid1(VALU_DEP_1)
	v_pk_fma_f32 v[108:109], v[110:111], v[254:255], v[106:107] neg_lo:[0,0,1] neg_hi:[0,0,1]
	v_pk_fma_f32 v[106:107], v[110:111], v[254:255], v[106:107] op_sel_hi:[1,0,1]
	v_mov_b32_e32 v109, v107
	s_wait_loadcnt_dscnt 0x101
	s_set_vgpr_msb 4                        ;  msbs: dst=0 src0=0 src1=1 src2=0
	v_pk_mul_f32 v[106:107], v[112:113], v[0:1] /*v[256:257]*/ op_sel:[1,1] op_sel_hi:[0,1]
	s_set_vgpr_msb 0                        ;  msbs: dst=0 src0=0 src1=0 src2=0
	v_pk_add_f32 v[104:105], v[104:105], v[108:109]
	s_set_vgpr_msb 4                        ;  msbs: dst=0 src0=0 src1=1 src2=0
	s_delay_alu instid0(VALU_DEP_2) | instskip(SKIP_1) | instid1(VALU_DEP_1)
	v_pk_fma_f32 v[108:109], v[112:113], v[0:1] /*v[256:257]*/, v[106:107] neg_lo:[0,0,1] neg_hi:[0,0,1]
	v_pk_fma_f32 v[106:107], v[112:113], v[0:1] /*v[256:257]*/, v[106:107] op_sel_hi:[1,0,1]
	v_dual_mov_b32 v106, v115 :: v_dual_mov_b32 v109, v107
	v_mov_b32_e32 v107, v114
	s_set_vgpr_msb 0                        ;  msbs: dst=0 src0=0 src1=0 src2=0
	s_delay_alu instid0(VALU_DEP_2) | instskip(SKIP_3) | instid1(VALU_DEP_1)
	v_pk_add_f32 v[104:105], v[104:105], v[108:109]
	s_set_vgpr_msb 1                        ;  msbs: dst=0 src0=1 src1=0 src2=0
	v_mov_b32_e32 v108, v3 /*v259*/
	s_set_vgpr_msb 0                        ;  msbs: dst=0 src0=0 src1=0 src2=0
	v_pk_mul_f32 v[106:107], v[106:107], v[108:109] op_sel_hi:[1,0]
	s_set_vgpr_msb 4                        ;  msbs: dst=0 src0=0 src1=1 src2=0
	s_delay_alu instid0(VALU_DEP_1) | instskip(SKIP_1) | instid1(VALU_DEP_1)
	v_pk_fma_f32 v[108:109], v[114:115], v[2:3] /*v[258:259]*/, v[106:107] neg_lo:[0,0,1] neg_hi:[0,0,1]
	v_pk_fma_f32 v[106:107], v[114:115], v[2:3] /*v[258:259]*/, v[106:107] op_sel_hi:[1,0,1]
	v_mov_b32_e32 v109, v107
	s_wait_loadcnt_dscnt 0x0
	v_pk_mul_f32 v[106:107], v[116:117], v[4:5] /*v[260:261]*/ op_sel:[1,1] op_sel_hi:[0,1]
	s_set_vgpr_msb 0                        ;  msbs: dst=0 src0=0 src1=0 src2=0
	s_delay_alu instid0(VALU_DEP_2) | instskip(SKIP_1) | instid1(VALU_DEP_2)
	v_pk_add_f32 v[104:105], v[104:105], v[108:109]
	s_set_vgpr_msb 4                        ;  msbs: dst=0 src0=0 src1=1 src2=0
	v_pk_fma_f32 v[108:109], v[116:117], v[4:5] /*v[260:261]*/, v[106:107] neg_lo:[0,0,1] neg_hi:[0,0,1]
	v_pk_fma_f32 v[106:107], v[116:117], v[4:5] /*v[260:261]*/, v[106:107] op_sel_hi:[1,0,1]
	s_delay_alu instid0(VALU_DEP_1) | instskip(SKIP_2) | instid1(VALU_DEP_2)
	v_dual_mov_b32 v106, v119 :: v_dual_mov_b32 v109, v107
	v_mov_b32_e32 v107, v118
	s_set_vgpr_msb 0                        ;  msbs: dst=0 src0=0 src1=0 src2=0
	v_pk_add_f32 v[104:105], v[104:105], v[108:109]
	s_set_vgpr_msb 1                        ;  msbs: dst=0 src0=1 src1=0 src2=0
	v_mov_b32_e32 v108, v7 /*v263*/
	s_set_vgpr_msb 0                        ;  msbs: dst=0 src0=0 src1=0 src2=0
	s_delay_alu instid0(VALU_DEP_1) | instskip(SKIP_1) | instid1(VALU_DEP_1)
	v_pk_mul_f32 v[106:107], v[106:107], v[108:109] op_sel_hi:[1,0]
	s_set_vgpr_msb 4                        ;  msbs: dst=0 src0=0 src1=1 src2=0
	v_pk_fma_f32 v[108:109], v[118:119], v[6:7] /*v[262:263]*/, v[106:107] neg_lo:[0,0,1] neg_hi:[0,0,1]
	v_pk_fma_f32 v[106:107], v[118:119], v[6:7] /*v[262:263]*/, v[106:107] op_sel_hi:[1,0,1]
	s_delay_alu instid0(VALU_DEP_1) | instskip(SKIP_4) | instid1(VALU_DEP_1)
	v_mov_b32_e32 v109, v107
	scratch_load_b64 v[106:107], off, off offset:48
	s_set_vgpr_msb 0                        ;  msbs: dst=0 src0=0 src1=0 src2=0
	v_pk_add_f32 v[104:105], v[104:105], v[108:109]
	s_wait_loadcnt 0x0
	v_pk_add_f32 v[104:105], v[106:107], v[104:105] neg_lo:[0,1] neg_hi:[0,1]
	scratch_store_b64 off, v[104:105], off offset:48
	s_wait_xcnt 0x0
	v_cmpx_lt_u32_e32 5, v0
	s_cbranch_execz .LBB50_309
; %bb.308:
	scratch_load_b64 v[104:105], off, off offset:40
	v_mov_b64_e32 v[106:107], 0
	scratch_store_b64 off, v[106:107], off offset:40
	s_wait_loadcnt 0x0
	ds_store_b64 v1, v[104:105]
.LBB50_309:
	s_wait_xcnt 0x0
	s_or_b32 exec_lo, exec_lo, s0
	v_mov_b32_e32 v5, 0
	s_wait_storecnt_dscnt 0x0
	s_barrier_signal -1
	s_barrier_wait -1
	ds_load_b128 v[104:107], v5 offset:464
	ds_load_b128 v[108:111], v5 offset:480
	ds_load_b128 v[112:115], v5 offset:496
	ds_load_b128 v[116:119], v5 offset:512
	s_clause 0x12
	scratch_load_b128 v[120:123], off, off offset:48
	scratch_load_b128 v[124:127], off, off offset:64
	;; [unrolled: 1-line block ×19, first 2 shown]
	s_mov_b32 s0, exec_lo
	s_wait_loadcnt_dscnt 0x1203
	v_mul_f32_e32 v9, v104, v121
	ds_load_b128 v[232:235], v5 offset:720
	ds_load_b128 v[240:243], v5 offset:736
	;; [unrolled: 1-line block ×4, first 2 shown]
	v_dual_fmac_f32 v9, v105, v120 :: v_dual_mul_f32 v11, v106, v123
	ds_load_b128 v[248:251], v5 offset:752
	ds_load_b128 v[152:155], v5 offset:560
	;; [unrolled: 1-line block ×3, first 2 shown]
	v_dual_add_f32 v9, 0, v9 :: v_dual_fmac_f32 v11, v107, v122
	ds_load_b128 v[168:171], v5 offset:592
	ds_load_b128 v[176:179], v5 offset:608
	;; [unrolled: 1-line block ×4, first 2 shown]
	s_wait_loadcnt_dscnt 0x110d
	v_dual_add_f32 v9, v9, v11 :: v_dual_mul_f32 v11, v108, v125
	ds_load_b128 v[200:203], v5 offset:656
	ds_load_b128 v[208:211], v5 offset:672
	;; [unrolled: 1-line block ×4, first 2 shown]
	v_fmac_f32_e32 v11, v109, v124
	s_wait_loadcnt_dscnt 0x10d
	s_set_vgpr_msb 64                       ;  msbs: dst=1 src0=0 src1=0 src2=0
	v_mul_f32_e32 v15 /*v271*/, v242, v247
	s_clause 0x3
	scratch_load_b128 v[0:3] /*v[256:259]*/, off, off offset:352
	scratch_load_b128 v[4:7] /*v[260:263]*/, off, off offset:368
	;; [unrolled: 1-line block ×3, first 2 shown]
	scratch_load_b64 v[18:19] /*v[274:275]*/, off, off offset:400
	s_set_vgpr_msb 0                        ;  msbs: dst=0 src0=0 src1=0 src2=0
	v_add_f32_e32 v9, v9, v11
	v_mul_f32_e32 v11, v110, v127
	s_wait_loadcnt_dscnt 0x40a
	s_set_vgpr_msb 64                       ;  msbs: dst=1 src0=0 src1=0 src2=0
	v_dual_mul_f32 v17 /*v273*/, v248, v253 :: v_dual_fmac_f32 v15 /*v271*/, v243, v246
	s_set_vgpr_msb 0                        ;  msbs: dst=0 src0=0 src1=0 src2=0
	v_fmac_f32_e32 v11, v111, v126
	s_set_vgpr_msb 64                       ;  msbs: dst=1 src0=0 src1=0 src2=0
	s_delay_alu instid0(VALU_DEP_2) | instskip(SKIP_1) | instid1(VALU_DEP_2)
	v_fmac_f32_e32 v17 /*v273*/, v249, v252
	s_set_vgpr_msb 0                        ;  msbs: dst=0 src0=0 src1=0 src2=0
	v_dual_add_f32 v9, v9, v11 :: v_dual_mul_f32 v11, v112, v129
	s_delay_alu instid0(VALU_DEP_1) | instskip(NEXT) | instid1(VALU_DEP_1)
	v_fmac_f32_e32 v11, v113, v128
	v_add_f32_e32 v9, v9, v11
	v_mul_f32_e32 v11, v114, v131
	s_delay_alu instid0(VALU_DEP_1) | instskip(NEXT) | instid1(VALU_DEP_1)
	v_fmac_f32_e32 v11, v115, v130
	v_dual_add_f32 v9, v9, v11 :: v_dual_mul_f32 v11, v116, v133
	s_delay_alu instid0(VALU_DEP_1) | instskip(NEXT) | instid1(VALU_DEP_1)
	v_fmac_f32_e32 v11, v117, v132
	v_add_f32_e32 v9, v9, v11
	v_mul_f32_e32 v11, v118, v135
	s_delay_alu instid0(VALU_DEP_1) | instskip(NEXT) | instid1(VALU_DEP_1)
	v_fmac_f32_e32 v11, v119, v134
	;; [unrolled: 7-line block ×3, first 2 shown]
	v_dual_add_f32 v9, v9, v11 :: v_dual_mul_f32 v11, v144, v149
	s_delay_alu instid0(VALU_DEP_1) | instskip(NEXT) | instid1(VALU_DEP_1)
	v_fmac_f32_e32 v11, v145, v148
	v_add_f32_e32 v9, v9, v11
	v_mul_f32_e32 v11, v146, v151
	s_delay_alu instid0(VALU_DEP_1) | instskip(SKIP_1) | instid1(VALU_DEP_1)
	v_fmac_f32_e32 v11, v147, v150
	s_wait_dscnt 0x9
	v_dual_add_f32 v9, v9, v11 :: v_dual_mul_f32 v11, v152, v157
	s_delay_alu instid0(VALU_DEP_1) | instskip(NEXT) | instid1(VALU_DEP_1)
	v_fmac_f32_e32 v11, v153, v156
	v_add_f32_e32 v9, v9, v11
	v_mul_f32_e32 v11, v154, v159
	s_delay_alu instid0(VALU_DEP_1) | instskip(SKIP_1) | instid1(VALU_DEP_1)
	v_fmac_f32_e32 v11, v155, v158
	s_wait_dscnt 0x8
	v_dual_add_f32 v9, v9, v11 :: v_dual_mul_f32 v11, v160, v165
	s_delay_alu instid0(VALU_DEP_1) | instskip(NEXT) | instid1(VALU_DEP_1)
	v_fmac_f32_e32 v11, v161, v164
	v_add_f32_e32 v9, v9, v11
	v_mul_f32_e32 v11, v162, v167
	s_delay_alu instid0(VALU_DEP_1) | instskip(SKIP_1) | instid1(VALU_DEP_1)
	v_fmac_f32_e32 v11, v163, v166
	s_wait_dscnt 0x7
	v_dual_add_f32 v9, v9, v11 :: v_dual_mul_f32 v11, v168, v173
	s_delay_alu instid0(VALU_DEP_1) | instskip(NEXT) | instid1(VALU_DEP_1)
	v_fmac_f32_e32 v11, v169, v172
	v_add_f32_e32 v9, v9, v11
	v_mul_f32_e32 v11, v170, v175
	s_delay_alu instid0(VALU_DEP_1) | instskip(SKIP_1) | instid1(VALU_DEP_1)
	v_fmac_f32_e32 v11, v171, v174
	s_wait_dscnt 0x6
	v_dual_add_f32 v9, v9, v11 :: v_dual_mul_f32 v11, v176, v181
	s_delay_alu instid0(VALU_DEP_1) | instskip(NEXT) | instid1(VALU_DEP_1)
	v_fmac_f32_e32 v11, v177, v180
	v_add_f32_e32 v9, v9, v11
	v_mul_f32_e32 v11, v178, v183
	s_delay_alu instid0(VALU_DEP_1) | instskip(SKIP_1) | instid1(VALU_DEP_1)
	v_fmac_f32_e32 v11, v179, v182
	s_wait_dscnt 0x5
	v_dual_add_f32 v9, v9, v11 :: v_dual_mul_f32 v11, v184, v189
	s_delay_alu instid0(VALU_DEP_1) | instskip(NEXT) | instid1(VALU_DEP_1)
	v_fmac_f32_e32 v11, v185, v188
	v_add_f32_e32 v9, v9, v11
	v_mul_f32_e32 v11, v186, v191
	s_delay_alu instid0(VALU_DEP_1) | instskip(SKIP_1) | instid1(VALU_DEP_1)
	v_fmac_f32_e32 v11, v187, v190
	s_wait_dscnt 0x4
	v_dual_add_f32 v9, v9, v11 :: v_dual_mul_f32 v11, v192, v197
	s_delay_alu instid0(VALU_DEP_1) | instskip(NEXT) | instid1(VALU_DEP_1)
	v_fmac_f32_e32 v11, v193, v196
	v_add_f32_e32 v9, v9, v11
	v_mul_f32_e32 v11, v194, v199
	s_delay_alu instid0(VALU_DEP_1) | instskip(SKIP_1) | instid1(VALU_DEP_1)
	v_fmac_f32_e32 v11, v195, v198
	s_wait_dscnt 0x3
	v_dual_add_f32 v9, v9, v11 :: v_dual_mul_f32 v11, v200, v205
	s_delay_alu instid0(VALU_DEP_1) | instskip(NEXT) | instid1(VALU_DEP_1)
	v_fmac_f32_e32 v11, v201, v204
	v_add_f32_e32 v9, v9, v11
	v_mul_f32_e32 v11, v202, v207
	s_delay_alu instid0(VALU_DEP_1) | instskip(SKIP_1) | instid1(VALU_DEP_1)
	v_fmac_f32_e32 v11, v203, v206
	s_wait_dscnt 0x2
	v_dual_add_f32 v9, v9, v11 :: v_dual_mul_f32 v11, v208, v213
	s_delay_alu instid0(VALU_DEP_1) | instskip(NEXT) | instid1(VALU_DEP_1)
	v_fmac_f32_e32 v11, v209, v212
	v_add_f32_e32 v9, v9, v11
	v_mul_f32_e32 v11, v210, v215
	s_delay_alu instid0(VALU_DEP_1) | instskip(SKIP_1) | instid1(VALU_DEP_1)
	v_fmac_f32_e32 v11, v211, v214
	s_wait_dscnt 0x1
	v_dual_add_f32 v9, v9, v11 :: v_dual_mul_f32 v11, v216, v221
	s_delay_alu instid0(VALU_DEP_1) | instskip(NEXT) | instid1(VALU_DEP_1)
	v_fmac_f32_e32 v11, v217, v220
	v_add_f32_e32 v9, v9, v11
	v_mul_f32_e32 v11, v218, v223
	s_delay_alu instid0(VALU_DEP_1) | instskip(SKIP_1) | instid1(VALU_DEP_1)
	v_fmac_f32_e32 v11, v219, v222
	s_wait_dscnt 0x0
	v_dual_add_f32 v9, v9, v11 :: v_dual_mul_f32 v11, v224, v229
	s_delay_alu instid0(VALU_DEP_1) | instskip(NEXT) | instid1(VALU_DEP_1)
	v_fmac_f32_e32 v11, v225, v228
	v_add_f32_e32 v9, v9, v11
	v_mul_f32_e32 v11, v226, v231
	s_delay_alu instid0(VALU_DEP_1) | instskip(NEXT) | instid1(VALU_DEP_1)
	v_fmac_f32_e32 v11, v227, v230
	v_dual_add_f32 v9, v9, v11 :: v_dual_mul_f32 v11, v232, v237
	s_delay_alu instid0(VALU_DEP_1) | instskip(NEXT) | instid1(VALU_DEP_1)
	v_fmac_f32_e32 v11, v233, v236
	v_add_f32_e32 v9, v9, v11
	v_mul_f32_e32 v11, v234, v239
	s_delay_alu instid0(VALU_DEP_1) | instskip(NEXT) | instid1(VALU_DEP_1)
	v_fmac_f32_e32 v11, v235, v238
	v_dual_add_f32 v9, v9, v11 :: v_dual_mul_f32 v11, v240, v245
	s_delay_alu instid0(VALU_DEP_1) | instskip(SKIP_1) | instid1(VALU_DEP_1)
	v_fmac_f32_e32 v11, v241, v244
	s_set_vgpr_msb 64                       ;  msbs: dst=1 src0=0 src1=0 src2=0
	v_add_f32_e32 v13 /*v269*/, v9, v11
	s_set_vgpr_msb 0                        ;  msbs: dst=0 src0=0 src1=0 src2=0
	v_dual_mul_f32 v9, v105, v121 :: v_dual_mul_f32 v11, v107, v123
	s_delay_alu instid0(VALU_DEP_1) | instskip(NEXT) | instid1(VALU_DEP_2)
	v_dual_mov_b32 v121, v250 :: v_dual_fma_f32 v9, v104, v120, -v9
	v_dual_fma_f32 v11, v106, v122, -v11 :: v_dual_mov_b32 v120, v251
	s_delay_alu instid0(VALU_DEP_2) | instskip(NEXT) | instid1(VALU_DEP_1)
	v_dual_mov_b32 v122, v255 :: v_dual_add_f32 v9, 0, v9
	v_pk_mul_f32 v[120:121], v[120:121], v[122:123] op_sel_hi:[1,0]
	s_delay_alu instid0(VALU_DEP_2) | instskip(SKIP_1) | instid1(VALU_DEP_3)
	v_add_f32_e32 v9, v9, v11
	v_mul_f32_e32 v11, v109, v125
	v_pk_fma_f32 v[122:123], v[250:251], v[254:255], v[120:121] neg_lo:[0,0,1] neg_hi:[0,0,1]
	v_pk_fma_f32 v[120:121], v[250:251], v[254:255], v[120:121] op_sel_hi:[1,0,1]
	s_delay_alu instid0(VALU_DEP_1) | instskip(NEXT) | instid1(VALU_DEP_1)
	v_dual_fma_f32 v11, v108, v124, -v11 :: v_dual_mov_b32 v123, v121
	v_add_f32_e32 v9, v9, v11
	v_mul_f32_e32 v11, v111, v127
	s_delay_alu instid0(VALU_DEP_1) | instskip(NEXT) | instid1(VALU_DEP_1)
	v_fma_f32 v11, v110, v126, -v11
	v_add_f32_e32 v9, v9, v11
	v_mul_f32_e32 v11, v113, v129
	s_delay_alu instid0(VALU_DEP_1) | instskip(NEXT) | instid1(VALU_DEP_1)
	v_fma_f32 v11, v112, v128, -v11
	;; [unrolled: 4-line block ×3, first 2 shown]
	v_add_f32_e32 v9, v9, v11
	v_mul_f32_e32 v11, v117, v133
	s_delay_alu instid0(VALU_DEP_1)
	v_fma_f32 v11, v116, v132, -v11
	ds_load_b128 v[104:107], v5 offset:768
	ds_load_b128 v[108:111], v5 offset:784
	;; [unrolled: 1-line block ×3, first 2 shown]
	ds_load_b64 v[116:117], v5 offset:816
	v_add_f32_e32 v9, v9, v11
	v_mul_f32_e32 v11, v119, v135
	s_delay_alu instid0(VALU_DEP_1) | instskip(NEXT) | instid1(VALU_DEP_1)
	v_fma_f32 v11, v118, v134, -v11
	v_add_f32_e32 v9, v9, v11
	v_mul_f32_e32 v11, v137, v141
	s_wait_loadcnt_dscnt 0x303
	s_set_vgpr_msb 4                        ;  msbs: dst=0 src0=0 src1=1 src2=0
	v_pk_mul_f32 v[120:121], v[104:105], v[0:1] /*v[256:257]*/ op_sel:[1,1] op_sel_hi:[0,1]
	s_set_vgpr_msb 0                        ;  msbs: dst=0 src0=0 src1=0 src2=0
	v_fma_f32 v11, v136, v140, -v11
	s_delay_alu instid0(VALU_DEP_1) | instskip(SKIP_1) | instid1(VALU_DEP_1)
	v_add_f32_e32 v9, v9, v11
	v_mul_f32_e32 v11, v139, v143
	v_fma_f32 v11, v138, v142, -v11
	s_delay_alu instid0(VALU_DEP_1) | instskip(SKIP_1) | instid1(VALU_DEP_1)
	v_add_f32_e32 v9, v9, v11
	v_mul_f32_e32 v11, v145, v149
	;; [unrolled: 4-line block ×26, first 2 shown]
	v_fma_f32 v11, v240, v244, -v11
	s_set_vgpr_msb 64                       ;  msbs: dst=1 src0=0 src1=0 src2=0
	s_delay_alu instid0(VALU_DEP_1) | instskip(SKIP_3) | instid1(VALU_DEP_1)
	v_add_f32_e32 v12 /*v268*/, v9, v11
	s_set_vgpr_msb 0                        ;  msbs: dst=0 src0=0 src1=0 src2=0
	v_mul_f32_e32 v9, v243, v247
	s_set_vgpr_msb 64                       ;  msbs: dst=1 src0=0 src1=0 src2=0
	v_fma_f32 v14 /*v270*/, v242, v246, -v9
	s_set_vgpr_msb 0                        ;  msbs: dst=0 src0=0 src1=0 src2=0
	v_mul_f32_e32 v9, v249, v253
	s_set_vgpr_msb 5                        ;  msbs: dst=0 src0=1 src1=1 src2=0
	s_delay_alu instid0(VALU_DEP_2) | instskip(SKIP_1) | instid1(VALU_DEP_2)
	v_pk_add_f32 v[118:119], v[12:13] /*v[268:269]*/, v[14:15] /*v[270:271]*/
	s_set_vgpr_msb 64                       ;  msbs: dst=1 src0=0 src1=0 src2=0
	v_fma_f32 v16 /*v272*/, v248, v252, -v9
	s_set_vgpr_msb 4                        ;  msbs: dst=0 src0=0 src1=1 src2=0
	s_delay_alu instid0(VALU_DEP_1) | instskip(SKIP_1) | instid1(VALU_DEP_1)
	v_pk_add_f32 v[118:119], v[118:119], v[16:17] /*v[272:273]*/
	s_set_vgpr_msb 0                        ;  msbs: dst=0 src0=0 src1=0 src2=0
	v_pk_add_f32 v[118:119], v[118:119], v[122:123]
	s_set_vgpr_msb 4                        ;  msbs: dst=0 src0=0 src1=1 src2=0
	v_pk_fma_f32 v[122:123], v[104:105], v[0:1] /*v[256:257]*/, v[120:121] neg_lo:[0,0,1] neg_hi:[0,0,1]
	v_pk_fma_f32 v[104:105], v[104:105], v[0:1] /*v[256:257]*/, v[120:121] op_sel_hi:[1,0,1]
	s_set_vgpr_msb 1                        ;  msbs: dst=0 src0=1 src1=0 src2=0
	v_mov_b32_e32 v120, v3 /*v259*/
	s_set_vgpr_msb 0                        ;  msbs: dst=0 src0=0 src1=0 src2=0
	s_delay_alu instid0(VALU_DEP_2) | instskip(NEXT) | instid1(VALU_DEP_1)
	v_mov_b32_e32 v123, v105
	v_pk_add_f32 v[104:105], v[118:119], v[122:123]
	v_dual_mov_b32 v118, v107 :: v_dual_mov_b32 v119, v106
	s_delay_alu instid0(VALU_DEP_1) | instskip(SKIP_1) | instid1(VALU_DEP_1)
	v_pk_mul_f32 v[118:119], v[118:119], v[120:121] op_sel_hi:[1,0]
	s_set_vgpr_msb 4                        ;  msbs: dst=0 src0=0 src1=1 src2=0
	v_pk_fma_f32 v[120:121], v[106:107], v[2:3] /*v[258:259]*/, v[118:119] neg_lo:[0,0,1] neg_hi:[0,0,1]
	v_pk_fma_f32 v[106:107], v[106:107], v[2:3] /*v[258:259]*/, v[118:119] op_sel_hi:[1,0,1]
	s_delay_alu instid0(VALU_DEP_1) | instskip(SKIP_3) | instid1(VALU_DEP_2)
	v_mov_b32_e32 v121, v107
	s_wait_loadcnt_dscnt 0x202
	v_pk_mul_f32 v[106:107], v[108:109], v[4:5] /*v[260:261]*/ op_sel:[1,1] op_sel_hi:[0,1]
	s_set_vgpr_msb 0                        ;  msbs: dst=0 src0=0 src1=0 src2=0
	v_pk_add_f32 v[104:105], v[104:105], v[120:121]
	s_set_vgpr_msb 4                        ;  msbs: dst=0 src0=0 src1=1 src2=0
	s_delay_alu instid0(VALU_DEP_2)
	v_pk_fma_f32 v[118:119], v[108:109], v[4:5] /*v[260:261]*/, v[106:107] neg_lo:[0,0,1] neg_hi:[0,0,1]
	v_pk_fma_f32 v[106:107], v[108:109], v[4:5] /*v[260:261]*/, v[106:107] op_sel_hi:[1,0,1]
	v_mov_b32_e32 v106, v111
	s_set_vgpr_msb 1                        ;  msbs: dst=0 src0=1 src1=0 src2=0
	v_mov_b32_e32 v108, v7 /*v263*/
	s_set_vgpr_msb 0                        ;  msbs: dst=0 src0=0 src1=0 src2=0
	v_dual_mov_b32 v119, v107 :: v_dual_mov_b32 v107, v110
	s_delay_alu instid0(VALU_DEP_1) | instskip(NEXT) | instid1(VALU_DEP_2)
	v_pk_add_f32 v[104:105], v[104:105], v[118:119]
	v_pk_mul_f32 v[106:107], v[106:107], v[108:109] op_sel_hi:[1,0]
	s_set_vgpr_msb 4                        ;  msbs: dst=0 src0=0 src1=1 src2=0
	s_delay_alu instid0(VALU_DEP_1) | instskip(SKIP_1) | instid1(VALU_DEP_1)
	v_pk_fma_f32 v[108:109], v[110:111], v[6:7] /*v[262:263]*/, v[106:107] neg_lo:[0,0,1] neg_hi:[0,0,1]
	v_pk_fma_f32 v[106:107], v[110:111], v[6:7] /*v[262:263]*/, v[106:107] op_sel_hi:[1,0,1]
	v_mov_b32_e32 v109, v107
	s_wait_loadcnt_dscnt 0x101
	v_pk_mul_f32 v[106:107], v[112:113], v[8:9] /*v[264:265]*/ op_sel:[1,1] op_sel_hi:[0,1]
	s_set_vgpr_msb 0                        ;  msbs: dst=0 src0=0 src1=0 src2=0
	s_delay_alu instid0(VALU_DEP_2) | instskip(SKIP_1) | instid1(VALU_DEP_2)
	v_pk_add_f32 v[104:105], v[104:105], v[108:109]
	s_set_vgpr_msb 4                        ;  msbs: dst=0 src0=0 src1=1 src2=0
	v_pk_fma_f32 v[108:109], v[112:113], v[8:9] /*v[264:265]*/, v[106:107] neg_lo:[0,0,1] neg_hi:[0,0,1]
	v_pk_fma_f32 v[106:107], v[112:113], v[8:9] /*v[264:265]*/, v[106:107] op_sel_hi:[1,0,1]
	s_delay_alu instid0(VALU_DEP_1) | instskip(SKIP_2) | instid1(VALU_DEP_2)
	v_dual_mov_b32 v106, v115 :: v_dual_mov_b32 v109, v107
	v_mov_b32_e32 v107, v114
	s_set_vgpr_msb 0                        ;  msbs: dst=0 src0=0 src1=0 src2=0
	v_pk_add_f32 v[104:105], v[104:105], v[108:109]
	s_set_vgpr_msb 1                        ;  msbs: dst=0 src0=1 src1=0 src2=0
	v_mov_b32_e32 v108, v11 /*v267*/
	s_set_vgpr_msb 0                        ;  msbs: dst=0 src0=0 src1=0 src2=0
	s_delay_alu instid0(VALU_DEP_1) | instskip(SKIP_1) | instid1(VALU_DEP_1)
	v_pk_mul_f32 v[106:107], v[106:107], v[108:109] op_sel_hi:[1,0]
	s_set_vgpr_msb 4                        ;  msbs: dst=0 src0=0 src1=1 src2=0
	v_pk_fma_f32 v[108:109], v[114:115], v[10:11] /*v[266:267]*/, v[106:107] neg_lo:[0,0,1] neg_hi:[0,0,1]
	v_pk_fma_f32 v[106:107], v[114:115], v[10:11] /*v[266:267]*/, v[106:107] op_sel_hi:[1,0,1]
	s_delay_alu instid0(VALU_DEP_1) | instskip(SKIP_3) | instid1(VALU_DEP_2)
	v_mov_b32_e32 v109, v107
	s_wait_loadcnt_dscnt 0x0
	v_pk_mul_f32 v[106:107], v[116:117], v[18:19] /*v[274:275]*/ op_sel:[1,1] op_sel_hi:[0,1]
	s_set_vgpr_msb 0                        ;  msbs: dst=0 src0=0 src1=0 src2=0
	v_pk_add_f32 v[104:105], v[104:105], v[108:109]
	s_set_vgpr_msb 4                        ;  msbs: dst=0 src0=0 src1=1 src2=0
	s_delay_alu instid0(VALU_DEP_2) | instskip(SKIP_1) | instid1(VALU_DEP_1)
	v_pk_fma_f32 v[108:109], v[116:117], v[18:19] /*v[274:275]*/, v[106:107] neg_lo:[0,0,1] neg_hi:[0,0,1]
	v_pk_fma_f32 v[106:107], v[116:117], v[18:19] /*v[274:275]*/, v[106:107] op_sel_hi:[1,0,1]
	v_mov_b32_e32 v109, v107
	scratch_load_b64 v[106:107], off, off offset:40
	s_set_vgpr_msb 0                        ;  msbs: dst=0 src0=0 src1=0 src2=0
	v_pk_add_f32 v[104:105], v[104:105], v[108:109]
	s_wait_loadcnt 0x0
	s_delay_alu instid0(VALU_DEP_1)
	v_pk_add_f32 v[104:105], v[106:107], v[104:105] neg_lo:[0,1] neg_hi:[0,1]
	scratch_store_b64 off, v[104:105], off offset:40
	s_wait_xcnt 0x0
	v_cmpx_lt_u32_e32 4, v0
	s_cbranch_execz .LBB50_311
; %bb.310:
	scratch_load_b64 v[104:105], off, off offset:32
	v_mov_b64_e32 v[106:107], 0
	scratch_store_b64 off, v[106:107], off offset:32
	s_wait_loadcnt 0x0
	ds_store_b64 v1, v[104:105]
.LBB50_311:
	s_wait_xcnt 0x0
	s_or_b32 exec_lo, exec_lo, s0
	s_wait_storecnt_dscnt 0x0
	s_barrier_signal -1
	s_barrier_wait -1
	s_clause 0xf
	scratch_load_b128 v[108:111], off, off offset:40
	scratch_load_b128 v[116:119], off, off offset:56
	;; [unrolled: 1-line block ×16, first 2 shown]
	ds_load_2addr_b64 v[104:107], v5 offset0:57 offset1:58
	ds_load_2addr_b64 v[112:115], v5 offset0:59 offset1:60
	s_clause 0x1
	scratch_load_b128 v[236:239], off, off offset:296
	scratch_load_b128 v[244:247], off, off offset:312
	ds_load_2addr_b64 v[120:123], v5 offset0:61 offset1:62
	ds_load_2addr_b64 v[128:131], v5 offset0:63 offset1:64
	;; [unrolled: 1-line block ×5, first 2 shown]
	scratch_load_b128 v[252:255], off, off offset:328
	ds_load_2addr_b64 v[152:155], v5 offset0:69 offset1:70
	ds_load_2addr_b64 v[160:163], v5 offset0:71 offset1:72
	;; [unrolled: 1-line block ×12, first 2 shown]
	s_set_vgpr_msb 64                       ;  msbs: dst=1 src0=0 src1=0 src2=0
	s_clause 0x3
	scratch_load_b128 v[0:3] /*v[256:259]*/, off, off offset:344
	scratch_load_b128 v[4:7] /*v[260:263]*/, off, off offset:360
	;; [unrolled: 1-line block ×4, first 2 shown]
	s_mov_b32 s0, exec_lo
	s_wait_loadcnt_dscnt 0x1612
	s_set_vgpr_msb 0                        ;  msbs: dst=0 src0=0 src1=0 src2=0
	v_dual_mul_f32 v9, v104, v109 :: v_dual_mul_f32 v11, v106, v111
	s_delay_alu instid0(VALU_DEP_1) | instskip(NEXT) | instid1(VALU_DEP_1)
	v_dual_fmac_f32 v9, v105, v108 :: v_dual_fmac_f32 v11, v107, v110
	v_add_f32_e32 v9, 0, v9
	s_wait_loadcnt_dscnt 0x1511
	s_delay_alu instid0(VALU_DEP_1) | instskip(NEXT) | instid1(VALU_DEP_1)
	v_dual_add_f32 v9, v9, v11 :: v_dual_mul_f32 v11, v112, v117
	v_fmac_f32_e32 v11, v113, v116
	s_wait_loadcnt_dscnt 0x40c
	s_set_vgpr_msb 64                       ;  msbs: dst=1 src0=0 src1=0 src2=0
	v_mul_f32_e32 v19 /*v275*/, v248, v253
	s_set_vgpr_msb 0                        ;  msbs: dst=0 src0=0 src1=0 src2=0
	v_add_f32_e32 v9, v9, v11
	v_mul_f32_e32 v11, v114, v119
	s_set_vgpr_msb 64                       ;  msbs: dst=1 src0=0 src1=0 src2=0
	v_dual_mul_f32 v21 /*v277*/, v250, v255 :: v_dual_fmac_f32 v19 /*v275*/, v249, v252
	s_set_vgpr_msb 0                        ;  msbs: dst=0 src0=0 src1=0 src2=0
	s_delay_alu instid0(VALU_DEP_2) | instskip(NEXT) | instid1(VALU_DEP_1)
	v_fmac_f32_e32 v11, v115, v118
	v_dual_add_f32 v9, v9, v11 :: v_dual_mul_f32 v11, v120, v125
	s_delay_alu instid0(VALU_DEP_1) | instskip(NEXT) | instid1(VALU_DEP_1)
	v_fmac_f32_e32 v11, v121, v124
	v_add_f32_e32 v9, v9, v11
	v_mul_f32_e32 v11, v122, v127
	s_delay_alu instid0(VALU_DEP_1) | instskip(NEXT) | instid1(VALU_DEP_1)
	v_fmac_f32_e32 v11, v123, v126
	v_dual_add_f32 v9, v9, v11 :: v_dual_mul_f32 v11, v128, v133
	s_delay_alu instid0(VALU_DEP_1) | instskip(NEXT) | instid1(VALU_DEP_1)
	v_fmac_f32_e32 v11, v129, v132
	v_add_f32_e32 v9, v9, v11
	v_mul_f32_e32 v11, v130, v135
	s_delay_alu instid0(VALU_DEP_1) | instskip(NEXT) | instid1(VALU_DEP_1)
	v_fmac_f32_e32 v11, v131, v134
	v_dual_add_f32 v9, v9, v11 :: v_dual_mul_f32 v11, v136, v141
	s_delay_alu instid0(VALU_DEP_1) | instskip(NEXT) | instid1(VALU_DEP_1)
	v_fmac_f32_e32 v11, v137, v140
	v_add_f32_e32 v9, v9, v11
	v_mul_f32_e32 v11, v138, v143
	s_delay_alu instid0(VALU_DEP_1) | instskip(NEXT) | instid1(VALU_DEP_1)
	v_fmac_f32_e32 v11, v139, v142
	v_dual_add_f32 v9, v9, v11 :: v_dual_mul_f32 v11, v144, v149
	s_delay_alu instid0(VALU_DEP_1) | instskip(NEXT) | instid1(VALU_DEP_1)
	v_fmac_f32_e32 v11, v145, v148
	v_add_f32_e32 v9, v9, v11
	v_mul_f32_e32 v11, v146, v151
	s_delay_alu instid0(VALU_DEP_1) | instskip(SKIP_1) | instid1(VALU_DEP_1)
	v_fmac_f32_e32 v11, v147, v150
	s_wait_dscnt 0xb
	v_dual_add_f32 v9, v9, v11 :: v_dual_mul_f32 v11, v152, v157
	s_delay_alu instid0(VALU_DEP_1) | instskip(NEXT) | instid1(VALU_DEP_1)
	v_fmac_f32_e32 v11, v153, v156
	v_add_f32_e32 v9, v9, v11
	v_mul_f32_e32 v11, v154, v159
	s_delay_alu instid0(VALU_DEP_1) | instskip(SKIP_1) | instid1(VALU_DEP_1)
	v_fmac_f32_e32 v11, v155, v158
	s_wait_dscnt 0xa
	;; [unrolled: 8-line block ×12, first 2 shown]
	v_dual_add_f32 v9, v9, v11 :: v_dual_mul_f32 v11, v240, v245
	s_delay_alu instid0(VALU_DEP_1) | instskip(NEXT) | instid1(VALU_DEP_1)
	v_fmac_f32_e32 v11, v241, v244
	v_add_f32_e32 v9, v9, v11
	v_mul_f32_e32 v11, v242, v247
	s_delay_alu instid0(VALU_DEP_1) | instskip(SKIP_1) | instid1(VALU_DEP_1)
	v_fmac_f32_e32 v11, v243, v246
	s_set_vgpr_msb 64                       ;  msbs: dst=1 src0=0 src1=0 src2=0
	v_add_f32_e32 v17 /*v273*/, v9, v11
	s_set_vgpr_msb 0                        ;  msbs: dst=0 src0=0 src1=0 src2=0
	v_dual_mul_f32 v9, v105, v109 :: v_dual_mul_f32 v11, v107, v111
	s_delay_alu instid0(VALU_DEP_1) | instskip(NEXT) | instid1(VALU_DEP_1)
	v_dual_fma_f32 v9, v104, v108, -v9 :: v_dual_fma_f32 v11, v106, v110, -v11
	v_add_f32_e32 v9, 0, v9
	s_delay_alu instid0(VALU_DEP_1) | instskip(SKIP_1) | instid1(VALU_DEP_1)
	v_add_f32_e32 v9, v9, v11
	v_mul_f32_e32 v11, v113, v117
	v_fma_f32 v11, v112, v116, -v11
	s_delay_alu instid0(VALU_DEP_1) | instskip(SKIP_1) | instid1(VALU_DEP_1)
	v_add_f32_e32 v9, v9, v11
	v_mul_f32_e32 v11, v115, v119
	v_fma_f32 v11, v114, v118, -v11
	ds_load_2addr_b64 v[104:107], v5 offset0:95 offset1:96
	ds_load_2addr_b64 v[108:111], v5 offset0:97 offset1:98
	;; [unrolled: 1-line block ×4, first 2 shown]
	v_add_f32_e32 v9, v9, v11
	v_mul_f32_e32 v11, v121, v125
	s_delay_alu instid0(VALU_DEP_1) | instskip(NEXT) | instid1(VALU_DEP_1)
	v_fma_f32 v11, v120, v124, -v11
	v_add_f32_e32 v9, v9, v11
	v_mul_f32_e32 v11, v123, v127
	s_delay_alu instid0(VALU_DEP_1)
	v_fma_f32 v11, v122, v126, -v11
	s_wait_loadcnt_dscnt 0x303
	s_set_vgpr_msb 4                        ;  msbs: dst=0 src0=0 src1=1 src2=0
	v_pk_mul_f32 v[122:123], v[104:105], v[0:1] /*v[256:257]*/ op_sel:[1,1] op_sel_hi:[0,1]
	s_set_vgpr_msb 0                        ;  msbs: dst=0 src0=0 src1=0 src2=0
	v_add_f32_e32 v9, v9, v11
	v_mul_f32_e32 v11, v129, v133
	s_set_vgpr_msb 4                        ;  msbs: dst=0 src0=0 src1=1 src2=0
	v_pk_fma_f32 v[124:125], v[104:105], v[0:1] /*v[256:257]*/, v[122:123] neg_lo:[0,0,1] neg_hi:[0,0,1]
	v_pk_fma_f32 v[104:105], v[104:105], v[0:1] /*v[256:257]*/, v[122:123] op_sel_hi:[1,0,1]
	s_set_vgpr_msb 1                        ;  msbs: dst=0 src0=1 src1=0 src2=0
	v_mov_b32_e32 v122, v3 /*v259*/
	s_set_vgpr_msb 0                        ;  msbs: dst=0 src0=0 src1=0 src2=0
	s_delay_alu instid0(VALU_DEP_2) | instskip(NEXT) | instid1(VALU_DEP_1)
	v_dual_fma_f32 v11, v128, v132, -v11 :: v_dual_mov_b32 v125, v105
	v_add_f32_e32 v9, v9, v11
	v_mul_f32_e32 v11, v131, v135
	s_delay_alu instid0(VALU_DEP_1) | instskip(NEXT) | instid1(VALU_DEP_1)
	v_fma_f32 v11, v130, v134, -v11
	v_add_f32_e32 v9, v9, v11
	v_mul_f32_e32 v11, v137, v141
	s_delay_alu instid0(VALU_DEP_1) | instskip(NEXT) | instid1(VALU_DEP_1)
	v_fma_f32 v11, v136, v140, -v11
	;; [unrolled: 4-line block ×28, first 2 shown]
	v_add_f32_e32 v9, v9, v11
	v_mul_f32_e32 v11, v243, v247
	s_delay_alu instid0(VALU_DEP_1) | instskip(SKIP_1) | instid1(VALU_DEP_1)
	v_fma_f32 v11, v242, v246, -v11
	s_set_vgpr_msb 64                       ;  msbs: dst=1 src0=0 src1=0 src2=0
	v_dual_fmac_f32 v21 /*v277*/, v251, v254 :: v_dual_add_f32 v16 /*v272*/, v9, v11
	s_set_vgpr_msb 0                        ;  msbs: dst=0 src0=0 src1=0 src2=0
	v_mul_f32_e32 v9, v249, v253
	s_set_vgpr_msb 64                       ;  msbs: dst=1 src0=0 src1=0 src2=0
	s_delay_alu instid0(VALU_DEP_1) | instskip(SKIP_3) | instid1(VALU_DEP_1)
	v_fma_f32 v18 /*v274*/, v248, v252, -v9
	s_set_vgpr_msb 0                        ;  msbs: dst=0 src0=0 src1=0 src2=0
	v_mul_f32_e32 v9, v251, v255
	s_set_vgpr_msb 64                       ;  msbs: dst=1 src0=0 src1=0 src2=0
	v_fma_f32 v20 /*v276*/, v250, v254, -v9
	s_set_vgpr_msb 5                        ;  msbs: dst=0 src0=1 src1=1 src2=0
	v_pk_add_f32 v[120:121], v[16:17] /*v[272:273]*/, v[18:19] /*v[274:275]*/
	s_set_vgpr_msb 4                        ;  msbs: dst=0 src0=0 src1=1 src2=0
	s_delay_alu instid0(VALU_DEP_1) | instskip(SKIP_1) | instid1(VALU_DEP_1)
	v_pk_add_f32 v[120:121], v[120:121], v[20:21] /*v[276:277]*/
	s_set_vgpr_msb 0                        ;  msbs: dst=0 src0=0 src1=0 src2=0
	v_pk_add_f32 v[104:105], v[120:121], v[124:125]
	v_dual_mov_b32 v120, v107 :: v_dual_mov_b32 v121, v106
	s_delay_alu instid0(VALU_DEP_1) | instskip(SKIP_1) | instid1(VALU_DEP_1)
	v_pk_mul_f32 v[120:121], v[120:121], v[122:123] op_sel_hi:[1,0]
	s_set_vgpr_msb 4                        ;  msbs: dst=0 src0=0 src1=1 src2=0
	v_pk_fma_f32 v[122:123], v[106:107], v[2:3] /*v[258:259]*/, v[120:121] neg_lo:[0,0,1] neg_hi:[0,0,1]
	v_pk_fma_f32 v[106:107], v[106:107], v[2:3] /*v[258:259]*/, v[120:121] op_sel_hi:[1,0,1]
	s_delay_alu instid0(VALU_DEP_1) | instskip(SKIP_3) | instid1(VALU_DEP_2)
	v_mov_b32_e32 v123, v107
	s_wait_loadcnt_dscnt 0x202
	v_pk_mul_f32 v[106:107], v[108:109], v[4:5] /*v[260:261]*/ op_sel:[1,1] op_sel_hi:[0,1]
	s_set_vgpr_msb 0                        ;  msbs: dst=0 src0=0 src1=0 src2=0
	v_pk_add_f32 v[104:105], v[104:105], v[122:123]
	s_set_vgpr_msb 4                        ;  msbs: dst=0 src0=0 src1=1 src2=0
	s_delay_alu instid0(VALU_DEP_2)
	v_pk_fma_f32 v[120:121], v[108:109], v[4:5] /*v[260:261]*/, v[106:107] neg_lo:[0,0,1] neg_hi:[0,0,1]
	v_pk_fma_f32 v[106:107], v[108:109], v[4:5] /*v[260:261]*/, v[106:107] op_sel_hi:[1,0,1]
	v_mov_b32_e32 v106, v111
	s_set_vgpr_msb 1                        ;  msbs: dst=0 src0=1 src1=0 src2=0
	v_mov_b32_e32 v108, v7 /*v263*/
	s_set_vgpr_msb 0                        ;  msbs: dst=0 src0=0 src1=0 src2=0
	v_dual_mov_b32 v121, v107 :: v_dual_mov_b32 v107, v110
	s_delay_alu instid0(VALU_DEP_1) | instskip(NEXT) | instid1(VALU_DEP_2)
	v_pk_add_f32 v[104:105], v[104:105], v[120:121]
	v_pk_mul_f32 v[106:107], v[106:107], v[108:109] op_sel_hi:[1,0]
	s_set_vgpr_msb 4                        ;  msbs: dst=0 src0=0 src1=1 src2=0
	s_delay_alu instid0(VALU_DEP_1) | instskip(SKIP_1) | instid1(VALU_DEP_1)
	v_pk_fma_f32 v[108:109], v[110:111], v[6:7] /*v[262:263]*/, v[106:107] neg_lo:[0,0,1] neg_hi:[0,0,1]
	v_pk_fma_f32 v[106:107], v[110:111], v[6:7] /*v[262:263]*/, v[106:107] op_sel_hi:[1,0,1]
	v_mov_b32_e32 v109, v107
	s_wait_loadcnt_dscnt 0x101
	v_pk_mul_f32 v[106:107], v[112:113], v[8:9] /*v[264:265]*/ op_sel:[1,1] op_sel_hi:[0,1]
	s_set_vgpr_msb 0                        ;  msbs: dst=0 src0=0 src1=0 src2=0
	s_delay_alu instid0(VALU_DEP_2) | instskip(SKIP_1) | instid1(VALU_DEP_2)
	v_pk_add_f32 v[104:105], v[104:105], v[108:109]
	s_set_vgpr_msb 4                        ;  msbs: dst=0 src0=0 src1=1 src2=0
	v_pk_fma_f32 v[108:109], v[112:113], v[8:9] /*v[264:265]*/, v[106:107] neg_lo:[0,0,1] neg_hi:[0,0,1]
	v_pk_fma_f32 v[106:107], v[112:113], v[8:9] /*v[264:265]*/, v[106:107] op_sel_hi:[1,0,1]
	s_delay_alu instid0(VALU_DEP_1) | instskip(SKIP_2) | instid1(VALU_DEP_2)
	v_dual_mov_b32 v106, v115 :: v_dual_mov_b32 v109, v107
	v_mov_b32_e32 v107, v114
	s_set_vgpr_msb 0                        ;  msbs: dst=0 src0=0 src1=0 src2=0
	v_pk_add_f32 v[104:105], v[104:105], v[108:109]
	s_set_vgpr_msb 1                        ;  msbs: dst=0 src0=1 src1=0 src2=0
	v_mov_b32_e32 v108, v11 /*v267*/
	s_set_vgpr_msb 0                        ;  msbs: dst=0 src0=0 src1=0 src2=0
	s_delay_alu instid0(VALU_DEP_1) | instskip(SKIP_1) | instid1(VALU_DEP_1)
	v_pk_mul_f32 v[106:107], v[106:107], v[108:109] op_sel_hi:[1,0]
	s_set_vgpr_msb 4                        ;  msbs: dst=0 src0=0 src1=1 src2=0
	v_pk_fma_f32 v[108:109], v[114:115], v[10:11] /*v[266:267]*/, v[106:107] neg_lo:[0,0,1] neg_hi:[0,0,1]
	v_pk_fma_f32 v[106:107], v[114:115], v[10:11] /*v[266:267]*/, v[106:107] op_sel_hi:[1,0,1]
	s_delay_alu instid0(VALU_DEP_1) | instskip(SKIP_3) | instid1(VALU_DEP_2)
	v_mov_b32_e32 v109, v107
	s_wait_loadcnt_dscnt 0x0
	v_pk_mul_f32 v[106:107], v[116:117], v[12:13] /*v[268:269]*/ op_sel:[1,1] op_sel_hi:[0,1]
	s_set_vgpr_msb 0                        ;  msbs: dst=0 src0=0 src1=0 src2=0
	v_pk_add_f32 v[104:105], v[104:105], v[108:109]
	s_set_vgpr_msb 4                        ;  msbs: dst=0 src0=0 src1=1 src2=0
	s_delay_alu instid0(VALU_DEP_2) | instskip(SKIP_1) | instid1(VALU_DEP_1)
	v_pk_fma_f32 v[108:109], v[116:117], v[12:13] /*v[268:269]*/, v[106:107] neg_lo:[0,0,1] neg_hi:[0,0,1]
	v_pk_fma_f32 v[106:107], v[116:117], v[12:13] /*v[268:269]*/, v[106:107] op_sel_hi:[1,0,1]
	v_dual_mov_b32 v106, v119 :: v_dual_mov_b32 v109, v107
	v_mov_b32_e32 v107, v118
	s_set_vgpr_msb 0                        ;  msbs: dst=0 src0=0 src1=0 src2=0
	s_delay_alu instid0(VALU_DEP_2) | instskip(SKIP_3) | instid1(VALU_DEP_1)
	v_pk_add_f32 v[104:105], v[104:105], v[108:109]
	s_set_vgpr_msb 1                        ;  msbs: dst=0 src0=1 src1=0 src2=0
	v_mov_b32_e32 v108, v15 /*v271*/
	s_set_vgpr_msb 0                        ;  msbs: dst=0 src0=0 src1=0 src2=0
	v_pk_mul_f32 v[106:107], v[106:107], v[108:109] op_sel_hi:[1,0]
	s_set_vgpr_msb 4                        ;  msbs: dst=0 src0=0 src1=1 src2=0
	s_delay_alu instid0(VALU_DEP_1) | instskip(SKIP_1) | instid1(VALU_DEP_1)
	v_pk_fma_f32 v[108:109], v[118:119], v[14:15] /*v[270:271]*/, v[106:107] neg_lo:[0,0,1] neg_hi:[0,0,1]
	v_pk_fma_f32 v[106:107], v[118:119], v[14:15] /*v[270:271]*/, v[106:107] op_sel_hi:[1,0,1]
	v_mov_b32_e32 v109, v107
	scratch_load_b64 v[106:107], off, off offset:32
	s_set_vgpr_msb 0                        ;  msbs: dst=0 src0=0 src1=0 src2=0
	v_pk_add_f32 v[104:105], v[104:105], v[108:109]
	s_wait_loadcnt 0x0
	s_delay_alu instid0(VALU_DEP_1)
	v_pk_add_f32 v[104:105], v[106:107], v[104:105] neg_lo:[0,1] neg_hi:[0,1]
	scratch_store_b64 off, v[104:105], off offset:32
	s_wait_xcnt 0x0
	v_cmpx_lt_u32_e32 3, v0
	s_cbranch_execz .LBB50_313
; %bb.312:
	scratch_load_b64 v[104:105], off, off offset:24
	v_mov_b64_e32 v[106:107], 0
	scratch_store_b64 off, v[106:107], off offset:24
	s_wait_loadcnt 0x0
	ds_store_b64 v1, v[104:105]
.LBB50_313:
	s_wait_xcnt 0x0
	s_or_b32 exec_lo, exec_lo, s0
	v_mov_b32_e32 v5, 0
	s_wait_storecnt_dscnt 0x0
	s_barrier_signal -1
	s_barrier_wait -1
	ds_load_b128 v[104:107], v5 offset:448
	ds_load_b128 v[108:111], v5 offset:464
	;; [unrolled: 1-line block ×4, first 2 shown]
	s_clause 0x14
	scratch_load_b128 v[120:123], off, off offset:32
	scratch_load_b128 v[124:127], off, off offset:48
	;; [unrolled: 1-line block ×19, first 2 shown]
	s_set_vgpr_msb 64                       ;  msbs: dst=1 src0=0 src1=0 src2=0
	scratch_load_b128 v[4:7] /*v[260:263]*/, off, off offset:336
	s_mov_b32 s0, exec_lo
	s_wait_loadcnt_dscnt 0x1303
	s_set_vgpr_msb 0                        ;  msbs: dst=0 src0=0 src1=0 src2=0
	v_mul_f32_e32 v9, v104, v121
	ds_load_b128 v[248:251], v5 offset:736
	s_set_vgpr_msb 64                       ;  msbs: dst=1 src0=0 src1=0 src2=0
	ds_load_b128 v[0:3] /*v[256:259]*/, v5 offset:752
	s_set_vgpr_msb 0                        ;  msbs: dst=0 src0=0 src1=0 src2=0
	ds_load_b128 v[136:139], v5 offset:512
	ds_load_b128 v[144:147], v5 offset:528
	v_dual_fmac_f32 v9, v105, v120 :: v_dual_mul_f32 v11, v106, v123
	ds_load_b128 v[152:155], v5 offset:544
	ds_load_b128 v[160:163], v5 offset:560
	;; [unrolled: 1-line block ×4, first 2 shown]
	v_dual_add_f32 v9, 0, v9 :: v_dual_fmac_f32 v11, v107, v122
	ds_load_b128 v[184:187], v5 offset:608
	ds_load_b128 v[192:195], v5 offset:624
	;; [unrolled: 1-line block ×4, first 2 shown]
	s_wait_loadcnt_dscnt 0x120e
	v_dual_add_f32 v9, v9, v11 :: v_dual_mul_f32 v11, v108, v125
	ds_load_b128 v[216:219], v5 offset:672
	ds_load_b128 v[224:227], v5 offset:688
	;; [unrolled: 1-line block ×4, first 2 shown]
	v_fmac_f32_e32 v11, v109, v124
	s_wait_loadcnt_dscnt 0x10f
	s_set_vgpr_msb 64                       ;  msbs: dst=1 src0=0 src1=0 src2=0
	v_mul_f32_e32 v23 /*v279*/, v250, v255
	s_clause 0x3
	scratch_load_b128 v[8:11] /*v[264:267]*/, off, off offset:352
	scratch_load_b128 v[12:15] /*v[268:271]*/, off, off offset:368
	scratch_load_b128 v[16:19] /*v[272:275]*/, off, off offset:384
	scratch_load_b64 v[26:27] /*v[282:283]*/, off, off offset:400
	s_set_vgpr_msb 0                        ;  msbs: dst=0 src0=0 src1=0 src2=0
	v_add_f32_e32 v9, v9, v11
	v_mul_f32_e32 v11, v110, v127
	s_delay_alu instid0(VALU_DEP_1) | instskip(NEXT) | instid1(VALU_DEP_1)
	v_fmac_f32_e32 v11, v111, v126
	v_dual_add_f32 v9, v9, v11 :: v_dual_mul_f32 v11, v112, v129
	s_delay_alu instid0(VALU_DEP_1) | instskip(NEXT) | instid1(VALU_DEP_1)
	v_fmac_f32_e32 v11, v113, v128
	v_add_f32_e32 v9, v9, v11
	v_mul_f32_e32 v11, v114, v131
	s_delay_alu instid0(VALU_DEP_1) | instskip(NEXT) | instid1(VALU_DEP_1)
	v_fmac_f32_e32 v11, v115, v130
	v_dual_add_f32 v9, v9, v11 :: v_dual_mul_f32 v11, v116, v133
	s_delay_alu instid0(VALU_DEP_1) | instskip(NEXT) | instid1(VALU_DEP_1)
	v_fmac_f32_e32 v11, v117, v132
	v_add_f32_e32 v9, v9, v11
	v_mul_f32_e32 v11, v118, v135
	s_delay_alu instid0(VALU_DEP_1) | instskip(SKIP_1) | instid1(VALU_DEP_1)
	v_fmac_f32_e32 v11, v119, v134
	s_wait_dscnt 0xd
	v_dual_add_f32 v9, v9, v11 :: v_dual_mul_f32 v11, v136, v141
	s_delay_alu instid0(VALU_DEP_1) | instskip(NEXT) | instid1(VALU_DEP_1)
	v_fmac_f32_e32 v11, v137, v140
	v_add_f32_e32 v9, v9, v11
	v_mul_f32_e32 v11, v138, v143
	s_delay_alu instid0(VALU_DEP_1) | instskip(SKIP_1) | instid1(VALU_DEP_1)
	v_fmac_f32_e32 v11, v139, v142
	s_wait_dscnt 0xc
	;; [unrolled: 8-line block ×14, first 2 shown]
	v_dual_add_f32 v9, v9, v11 :: v_dual_mul_f32 v11, v240, v245
	s_delay_alu instid0(VALU_DEP_1) | instskip(NEXT) | instid1(VALU_DEP_1)
	v_fmac_f32_e32 v11, v241, v244
	v_add_f32_e32 v9, v9, v11
	v_mul_f32_e32 v11, v242, v247
	s_delay_alu instid0(VALU_DEP_1) | instskip(NEXT) | instid1(VALU_DEP_1)
	v_fmac_f32_e32 v11, v243, v246
	v_dual_add_f32 v9, v9, v11 :: v_dual_mul_f32 v11, v248, v253
	s_delay_alu instid0(VALU_DEP_1) | instskip(SKIP_1) | instid1(VALU_DEP_1)
	v_fmac_f32_e32 v11, v249, v252
	s_set_vgpr_msb 64                       ;  msbs: dst=1 src0=0 src1=0 src2=0
	v_add_f32_e32 v21 /*v277*/, v9, v11
	s_set_vgpr_msb 0                        ;  msbs: dst=0 src0=0 src1=0 src2=0
	v_dual_mul_f32 v9, v105, v121 :: v_dual_mul_f32 v11, v107, v123
	s_set_vgpr_msb 1                        ;  msbs: dst=0 src0=1 src1=0 src2=0
	v_mov_b32_e32 v121, v2 /*v258*/
	s_set_vgpr_msb 0                        ;  msbs: dst=0 src0=0 src1=0 src2=0
	s_delay_alu instid0(VALU_DEP_2) | instskip(SKIP_3) | instid1(VALU_DEP_2)
	v_dual_fma_f32 v9, v104, v120, -v9 :: v_dual_fma_f32 v11, v106, v122, -v11
	s_wait_loadcnt 0x4
	s_set_vgpr_msb 1                        ;  msbs: dst=0 src0=1 src1=0 src2=0
	v_dual_mov_b32 v122, v7 /*v263*/ :: v_dual_mov_b32 v120, v3 /*v259*/
	v_add_f32_e32 v9, 0, v9
	s_set_vgpr_msb 0                        ;  msbs: dst=0 src0=0 src1=0 src2=0
	s_delay_alu instid0(VALU_DEP_2) | instskip(NEXT) | instid1(VALU_DEP_2)
	v_pk_mul_f32 v[120:121], v[120:121], v[122:123] op_sel_hi:[1,0]
	v_add_f32_e32 v9, v9, v11
	v_mul_f32_e32 v11, v109, v125
	s_set_vgpr_msb 5                        ;  msbs: dst=0 src0=1 src1=1 src2=0
	s_delay_alu instid0(VALU_DEP_3) | instskip(SKIP_2) | instid1(VALU_DEP_1)
	v_pk_fma_f32 v[122:123], v[2:3] /*v[258:259]*/, v[6:7] /*v[262:263]*/, v[120:121] neg_lo:[0,0,1] neg_hi:[0,0,1]
	v_pk_fma_f32 v[120:121], v[2:3] /*v[258:259]*/, v[6:7] /*v[262:263]*/, v[120:121] op_sel_hi:[1,0,1]
	s_set_vgpr_msb 0                        ;  msbs: dst=0 src0=0 src1=0 src2=0
	v_dual_fma_f32 v11, v108, v124, -v11 :: v_dual_mov_b32 v123, v121
	s_delay_alu instid0(VALU_DEP_1) | instskip(SKIP_1) | instid1(VALU_DEP_1)
	v_add_f32_e32 v9, v9, v11
	v_mul_f32_e32 v11, v111, v127
	v_fma_f32 v11, v110, v126, -v11
	s_delay_alu instid0(VALU_DEP_1) | instskip(SKIP_1) | instid1(VALU_DEP_1)
	v_add_f32_e32 v9, v9, v11
	v_mul_f32_e32 v11, v113, v129
	v_fma_f32 v11, v112, v128, -v11
	;; [unrolled: 4-line block ×4, first 2 shown]
	ds_load_b128 v[104:107], v5 offset:768
	ds_load_b128 v[108:111], v5 offset:784
	;; [unrolled: 1-line block ×3, first 2 shown]
	ds_load_b64 v[116:117], v5 offset:816
	v_add_f32_e32 v9, v9, v11
	v_mul_f32_e32 v11, v119, v135
	s_delay_alu instid0(VALU_DEP_1) | instskip(NEXT) | instid1(VALU_DEP_1)
	v_fma_f32 v11, v118, v134, -v11
	v_add_f32_e32 v9, v9, v11
	v_mul_f32_e32 v11, v137, v141
	s_wait_loadcnt_dscnt 0x303
	s_set_vgpr_msb 4                        ;  msbs: dst=0 src0=0 src1=1 src2=0
	v_pk_mul_f32 v[120:121], v[104:105], v[8:9] /*v[264:265]*/ op_sel:[1,1] op_sel_hi:[0,1]
	s_set_vgpr_msb 0                        ;  msbs: dst=0 src0=0 src1=0 src2=0
	v_fma_f32 v11, v136, v140, -v11
	s_delay_alu instid0(VALU_DEP_1) | instskip(SKIP_1) | instid1(VALU_DEP_1)
	v_add_f32_e32 v9, v9, v11
	v_mul_f32_e32 v11, v139, v143
	v_fma_f32 v11, v138, v142, -v11
	s_delay_alu instid0(VALU_DEP_1) | instskip(SKIP_1) | instid1(VALU_DEP_1)
	v_add_f32_e32 v9, v9, v11
	v_mul_f32_e32 v11, v145, v149
	;; [unrolled: 4-line block ×28, first 2 shown]
	v_fma_f32 v11, v248, v252, -v11
	s_set_vgpr_msb 64                       ;  msbs: dst=1 src0=0 src1=0 src2=0
	s_delay_alu instid0(VALU_DEP_1) | instskip(SKIP_3) | instid1(VALU_DEP_1)
	v_add_f32_e32 v20 /*v276*/, v9, v11
	s_set_vgpr_msb 0                        ;  msbs: dst=0 src0=0 src1=0 src2=0
	v_mul_f32_e32 v9, v251, v255
	s_set_vgpr_msb 64                       ;  msbs: dst=1 src0=0 src1=0 src2=0
	v_fma_f32 v22 /*v278*/, v250, v254, -v9
	s_set_vgpr_msb 5                        ;  msbs: dst=0 src0=1 src1=1 src2=0
	v_mul_f32_e32 v9, v1 /*v257*/, v5 /*v261*/
	s_set_vgpr_msb 64                       ;  msbs: dst=1 src0=0 src1=0 src2=0
	v_fmac_f32_e32 v23 /*v279*/, v251, v254
	s_set_vgpr_msb 0x45                     ;  msbs: dst=1 src0=1 src1=1 src2=0
	s_delay_alu instid0(VALU_DEP_2) | instskip(SKIP_1) | instid1(VALU_DEP_2)
	v_dual_mul_f32 v25 /*v281*/, v0 /*v256*/, v5 /*v261*/ :: v_dual_fma_f32 v24 /*v280*/, v0 /*v256*/, v4 /*v260*/, -v9
	s_set_vgpr_msb 5                        ;  msbs: dst=0 src0=1 src1=1 src2=0
	v_pk_add_f32 v[118:119], v[20:21] /*v[276:277]*/, v[22:23] /*v[278:279]*/
	s_set_vgpr_msb 0x45                     ;  msbs: dst=1 src0=1 src1=1 src2=0
	s_delay_alu instid0(VALU_DEP_2) | instskip(SKIP_1) | instid1(VALU_DEP_1)
	v_fmac_f32_e32 v25 /*v281*/, v1 /*v257*/, v4 /*v260*/
	s_set_vgpr_msb 4                        ;  msbs: dst=0 src0=0 src1=1 src2=0
	v_pk_add_f32 v[118:119], v[118:119], v[24:25] /*v[280:281]*/
	s_set_vgpr_msb 0                        ;  msbs: dst=0 src0=0 src1=0 src2=0
	s_delay_alu instid0(VALU_DEP_1)
	v_pk_add_f32 v[118:119], v[118:119], v[122:123]
	s_set_vgpr_msb 4                        ;  msbs: dst=0 src0=0 src1=1 src2=0
	v_pk_fma_f32 v[122:123], v[104:105], v[8:9] /*v[264:265]*/, v[120:121] neg_lo:[0,0,1] neg_hi:[0,0,1]
	v_pk_fma_f32 v[104:105], v[104:105], v[8:9] /*v[264:265]*/, v[120:121] op_sel_hi:[1,0,1]
	s_set_vgpr_msb 1                        ;  msbs: dst=0 src0=1 src1=0 src2=0
	v_mov_b32_e32 v120, v11 /*v267*/
	s_set_vgpr_msb 0                        ;  msbs: dst=0 src0=0 src1=0 src2=0
	s_delay_alu instid0(VALU_DEP_2) | instskip(NEXT) | instid1(VALU_DEP_1)
	v_mov_b32_e32 v123, v105
	v_pk_add_f32 v[104:105], v[118:119], v[122:123]
	v_dual_mov_b32 v118, v107 :: v_dual_mov_b32 v119, v106
	s_delay_alu instid0(VALU_DEP_1) | instskip(SKIP_1) | instid1(VALU_DEP_1)
	v_pk_mul_f32 v[118:119], v[118:119], v[120:121] op_sel_hi:[1,0]
	s_set_vgpr_msb 4                        ;  msbs: dst=0 src0=0 src1=1 src2=0
	v_pk_fma_f32 v[120:121], v[106:107], v[10:11] /*v[266:267]*/, v[118:119] neg_lo:[0,0,1] neg_hi:[0,0,1]
	v_pk_fma_f32 v[106:107], v[106:107], v[10:11] /*v[266:267]*/, v[118:119] op_sel_hi:[1,0,1]
	s_delay_alu instid0(VALU_DEP_1) | instskip(SKIP_3) | instid1(VALU_DEP_2)
	v_mov_b32_e32 v121, v107
	s_wait_loadcnt_dscnt 0x202
	v_pk_mul_f32 v[106:107], v[108:109], v[12:13] /*v[268:269]*/ op_sel:[1,1] op_sel_hi:[0,1]
	s_set_vgpr_msb 0                        ;  msbs: dst=0 src0=0 src1=0 src2=0
	v_pk_add_f32 v[104:105], v[104:105], v[120:121]
	s_set_vgpr_msb 4                        ;  msbs: dst=0 src0=0 src1=1 src2=0
	s_delay_alu instid0(VALU_DEP_2)
	v_pk_fma_f32 v[118:119], v[108:109], v[12:13] /*v[268:269]*/, v[106:107] neg_lo:[0,0,1] neg_hi:[0,0,1]
	v_pk_fma_f32 v[106:107], v[108:109], v[12:13] /*v[268:269]*/, v[106:107] op_sel_hi:[1,0,1]
	v_mov_b32_e32 v106, v111
	s_set_vgpr_msb 1                        ;  msbs: dst=0 src0=1 src1=0 src2=0
	v_mov_b32_e32 v108, v15 /*v271*/
	s_set_vgpr_msb 0                        ;  msbs: dst=0 src0=0 src1=0 src2=0
	v_dual_mov_b32 v119, v107 :: v_dual_mov_b32 v107, v110
	s_delay_alu instid0(VALU_DEP_1) | instskip(NEXT) | instid1(VALU_DEP_2)
	v_pk_add_f32 v[104:105], v[104:105], v[118:119]
	v_pk_mul_f32 v[106:107], v[106:107], v[108:109] op_sel_hi:[1,0]
	s_set_vgpr_msb 4                        ;  msbs: dst=0 src0=0 src1=1 src2=0
	s_delay_alu instid0(VALU_DEP_1) | instskip(SKIP_1) | instid1(VALU_DEP_1)
	v_pk_fma_f32 v[108:109], v[110:111], v[14:15] /*v[270:271]*/, v[106:107] neg_lo:[0,0,1] neg_hi:[0,0,1]
	v_pk_fma_f32 v[106:107], v[110:111], v[14:15] /*v[270:271]*/, v[106:107] op_sel_hi:[1,0,1]
	v_mov_b32_e32 v109, v107
	s_wait_loadcnt_dscnt 0x101
	v_pk_mul_f32 v[106:107], v[112:113], v[16:17] /*v[272:273]*/ op_sel:[1,1] op_sel_hi:[0,1]
	s_set_vgpr_msb 0                        ;  msbs: dst=0 src0=0 src1=0 src2=0
	s_delay_alu instid0(VALU_DEP_2) | instskip(SKIP_1) | instid1(VALU_DEP_2)
	v_pk_add_f32 v[104:105], v[104:105], v[108:109]
	s_set_vgpr_msb 4                        ;  msbs: dst=0 src0=0 src1=1 src2=0
	v_pk_fma_f32 v[108:109], v[112:113], v[16:17] /*v[272:273]*/, v[106:107] neg_lo:[0,0,1] neg_hi:[0,0,1]
	v_pk_fma_f32 v[106:107], v[112:113], v[16:17] /*v[272:273]*/, v[106:107] op_sel_hi:[1,0,1]
	s_delay_alu instid0(VALU_DEP_1) | instskip(SKIP_2) | instid1(VALU_DEP_2)
	v_dual_mov_b32 v106, v115 :: v_dual_mov_b32 v109, v107
	v_mov_b32_e32 v107, v114
	s_set_vgpr_msb 0                        ;  msbs: dst=0 src0=0 src1=0 src2=0
	v_pk_add_f32 v[104:105], v[104:105], v[108:109]
	s_set_vgpr_msb 1                        ;  msbs: dst=0 src0=1 src1=0 src2=0
	v_mov_b32_e32 v108, v19 /*v275*/
	s_set_vgpr_msb 0                        ;  msbs: dst=0 src0=0 src1=0 src2=0
	s_delay_alu instid0(VALU_DEP_1) | instskip(SKIP_1) | instid1(VALU_DEP_1)
	v_pk_mul_f32 v[106:107], v[106:107], v[108:109] op_sel_hi:[1,0]
	s_set_vgpr_msb 4                        ;  msbs: dst=0 src0=0 src1=1 src2=0
	v_pk_fma_f32 v[108:109], v[114:115], v[18:19] /*v[274:275]*/, v[106:107] neg_lo:[0,0,1] neg_hi:[0,0,1]
	v_pk_fma_f32 v[106:107], v[114:115], v[18:19] /*v[274:275]*/, v[106:107] op_sel_hi:[1,0,1]
	s_delay_alu instid0(VALU_DEP_1) | instskip(SKIP_3) | instid1(VALU_DEP_2)
	v_mov_b32_e32 v109, v107
	s_wait_loadcnt_dscnt 0x0
	v_pk_mul_f32 v[106:107], v[116:117], v[26:27] /*v[282:283]*/ op_sel:[1,1] op_sel_hi:[0,1]
	s_set_vgpr_msb 0                        ;  msbs: dst=0 src0=0 src1=0 src2=0
	v_pk_add_f32 v[104:105], v[104:105], v[108:109]
	s_set_vgpr_msb 4                        ;  msbs: dst=0 src0=0 src1=1 src2=0
	s_delay_alu instid0(VALU_DEP_2) | instskip(SKIP_1) | instid1(VALU_DEP_1)
	v_pk_fma_f32 v[108:109], v[116:117], v[26:27] /*v[282:283]*/, v[106:107] neg_lo:[0,0,1] neg_hi:[0,0,1]
	v_pk_fma_f32 v[106:107], v[116:117], v[26:27] /*v[282:283]*/, v[106:107] op_sel_hi:[1,0,1]
	v_mov_b32_e32 v109, v107
	scratch_load_b64 v[106:107], off, off offset:24
	s_set_vgpr_msb 0                        ;  msbs: dst=0 src0=0 src1=0 src2=0
	v_pk_add_f32 v[104:105], v[104:105], v[108:109]
	s_wait_loadcnt 0x0
	s_delay_alu instid0(VALU_DEP_1)
	v_pk_add_f32 v[104:105], v[106:107], v[104:105] neg_lo:[0,1] neg_hi:[0,1]
	scratch_store_b64 off, v[104:105], off offset:24
	s_wait_xcnt 0x0
	v_cmpx_lt_u32_e32 2, v0
	s_cbranch_execz .LBB50_315
; %bb.314:
	scratch_load_b64 v[104:105], off, off offset:16
	v_mov_b64_e32 v[106:107], 0
	scratch_store_b64 off, v[106:107], off offset:16
	s_wait_loadcnt 0x0
	ds_store_b64 v1, v[104:105]
.LBB50_315:
	s_wait_xcnt 0x0
	s_or_b32 exec_lo, exec_lo, s0
	s_wait_storecnt_dscnt 0x0
	s_barrier_signal -1
	s_barrier_wait -1
	s_clause 0x17
	scratch_load_b128 v[104:107], off, off offset:24
	scratch_load_b128 v[108:111], off, off offset:40
	;; [unrolled: 1-line block ×24, first 2 shown]
	ds_load_2addr_b64 v[200:203], v5 offset0:55 offset1:56
	ds_load_2addr_b64 v[204:207], v5 offset0:57 offset1:58
	;; [unrolled: 1-line block ×6, first 2 shown]
	s_set_vgpr_msb 64                       ;  msbs: dst=1 src0=0 src1=0 src2=0
	scratch_load_b64 v[40:41] /*v[296:297]*/, off, off offset:16
	s_set_vgpr_msb 0                        ;  msbs: dst=0 src0=0 src1=0 src2=0
	ds_load_2addr_b64 v[224:227], v5 offset0:63 offset1:64
	ds_load_2addr_b64 v[228:231], v5 offset0:65 offset1:66
	;; [unrolled: 1-line block ×8, first 2 shown]
	s_set_vgpr_msb 64                       ;  msbs: dst=1 src0=0 src1=0 src2=0
	ds_load_2addr_b64 v[0:3] /*v[256:259]*/, v5 offset0:75 offset1:76
	ds_load_2addr_b64 v[4:7] /*v[260:263]*/, v5 offset0:77 offset1:78
	;; [unrolled: 1-line block ×10, first 2 shown]
	s_mov_b32 s0, exec_lo
	s_wait_dscnt 0xf
	v_dual_mov_b32 v46 /*v302*/, v235 :: v_dual_mov_b32 v47 /*v303*/, v234
	s_wait_dscnt 0xe
	v_dual_mov_b32 v48 /*v304*/, v239 :: v_dual_mov_b32 v49 /*v305*/, v238
	v_dual_mov_b32 v42 /*v298*/, v219 :: v_dual_mov_b32 v43 /*v299*/, v218
	;; [unrolled: 1-line block ×3, first 2 shown]
	s_wait_loadcnt 0x18
	s_set_vgpr_msb 0                        ;  msbs: dst=0 src0=0 src1=0 src2=0
	v_dual_mul_f32 v5, v200, v105 :: v_dual_mul_f32 v9, v202, v107
	v_dual_mul_f32 v83, v201, v105 :: v_dual_mul_f32 v85, v203, v107
	s_wait_loadcnt 0x17
	v_dual_mul_f32 v11, v204, v109 :: v_dual_mul_f32 v13, v206, v111
	s_delay_alu instid0(VALU_DEP_2) | instskip(SKIP_3) | instid1(VALU_DEP_3)
	v_dual_fmac_f32 v5, v201, v104 :: v_dual_fma_f32 v83, v200, v104, -v83
	v_dual_mul_f32 v87, v205, v109 :: v_dual_mul_f32 v89, v207, v111
	s_wait_loadcnt 0x15
	v_dual_mul_f32 v95, v213, v117 :: v_dual_fmac_f32 v9, v203, v106
	v_dual_fma_f32 v85, v202, v106, -v85 :: v_dual_add_f32 v5, 0, v5
	v_dual_add_f32 v83, 0, v83 :: v_dual_fmac_f32 v11, v205, v108
	v_dual_mul_f32 v97, v215, v119 :: v_dual_fma_f32 v87, v204, v108, -v87
	s_delay_alu instid0(VALU_DEP_3) | instskip(NEXT) | instid1(VALU_DEP_3)
	v_dual_add_f32 v5, v5, v9 :: v_dual_fmac_f32 v13, v207, v110
	v_dual_add_f32 v9, v83, v85 :: v_dual_fma_f32 v85, v206, v110, -v89
	v_dual_mul_f32 v15, v208, v113 :: v_dual_mul_f32 v17, v210, v115
	v_dual_mul_f32 v91, v209, v113 :: v_dual_mul_f32 v93, v211, v115
	s_delay_alu instid0(VALU_DEP_3) | instskip(NEXT) | instid1(VALU_DEP_3)
	v_add_f32_e32 v9, v9, v87
	v_dual_add_f32 v5, v5, v11 :: v_dual_fmac_f32 v17, v211, v114
	s_wait_loadcnt 0x14
	s_delay_alu instid0(VALU_DEP_3) | instskip(NEXT) | instid1(VALU_DEP_3)
	v_dual_fma_f32 v87, v208, v112, -v91 :: v_dual_mul_f32 v83, v225, v121
	v_dual_mul_f32 v11, v227, v123 :: v_dual_add_f32 v9, v9, v85
	v_dual_fmac_f32 v15, v209, v112 :: v_dual_fma_f32 v85, v210, v114, -v93
	v_add_f32_e32 v5, v5, v13
	v_dual_mul_f32 v19, v212, v117 :: v_dual_mul_f32 v21, v214, v119
	s_delay_alu instid0(VALU_DEP_4) | instskip(NEXT) | instid1(VALU_DEP_3)
	v_dual_add_f32 v9, v9, v87 :: v_dual_fma_f32 v83, v224, v120, -v83
	v_dual_add_f32 v5, v5, v15 :: v_dual_fma_f32 v87, v212, v116, -v95
	v_dual_mul_f32 v23, v224, v121 :: v_dual_mul_f32 v25, v226, v123
	s_delay_alu instid0(VALU_DEP_3) | instskip(SKIP_2) | instid1(VALU_DEP_3)
	v_dual_add_f32 v9, v9, v85 :: v_dual_fma_f32 v11, v226, v122, -v11
	s_wait_loadcnt 0x13
	v_dual_mul_f32 v27, v228, v125 :: v_dual_mul_f32 v29, v230, v127
	v_dual_fmac_f32 v19, v213, v116 :: v_dual_fmac_f32 v25, v227, v122
	v_dual_fma_f32 v85, v214, v118, -v97 :: v_dual_add_f32 v5, v5, v17
	s_delay_alu instid0(VALU_DEP_3)
	v_dual_add_f32 v9, v9, v87 :: v_dual_fmac_f32 v29, v231, v126
	s_wait_loadcnt_dscnt 0x120d
	v_dual_mul_f32 v31, v240, v129 :: v_dual_mul_f32 v33, v242, v131
	v_dual_mul_f32 v13, v229, v125 :: v_dual_fmac_f32 v21, v215, v118
	v_mul_f32_e32 v17, v241, v129
	v_add_f32_e32 v5, v5, v19
	v_dual_add_f32 v9, v9, v85 :: v_dual_mul_f32 v15, v231, v127
	s_delay_alu instid0(VALU_DEP_4) | instskip(NEXT) | instid1(VALU_DEP_3)
	v_fma_f32 v13, v228, v124, -v13
	v_dual_fmac_f32 v33, v243, v130 :: v_dual_add_f32 v5, v5, v21
	s_wait_loadcnt_dscnt 0x110c
	v_mul_f32_e32 v21, v245, v133
	v_add_f32_e32 v9, v9, v83
	s_wait_loadcnt_dscnt 0x100b
	v_dual_fmac_f32 v23, v225, v120 :: v_dual_mul_f32 v39, v248, v137
	s_delay_alu instid0(VALU_DEP_3) | instskip(NEXT) | instid1(VALU_DEP_3)
	v_dual_mul_f32 v41, v250, v139 :: v_dual_fma_f32 v21, v244, v132, -v21
	v_add_f32_e32 v9, v9, v11
	v_dual_mul_f32 v19, v243, v131 :: v_dual_fma_f32 v15, v230, v126, -v15
	v_dual_mul_f32 v35, v244, v133 :: v_dual_mul_f32 v37, v246, v135
	s_delay_alu instid0(VALU_DEP_3) | instskip(SKIP_1) | instid1(VALU_DEP_4)
	v_dual_add_f32 v9, v9, v13 :: v_dual_fmac_f32 v41, v251, v138
	v_mul_f32_e32 v13, v251, v139
	v_dual_add_f32 v5, v5, v23 :: v_dual_fma_f32 v19, v242, v130, -v19
	s_wait_loadcnt_dscnt 0xf0a
	v_dual_mul_f32 v43, v252, v141 :: v_dual_mul_f32 v45, v254, v143
	v_dual_mul_f32 v23, v247, v135 :: v_dual_fmac_f32 v27, v229, v124
	s_delay_alu instid0(VALU_DEP_3) | instskip(SKIP_1) | instid1(VALU_DEP_4)
	v_dual_add_f32 v5, v5, v25 :: v_dual_fmac_f32 v37, v247, v134
	v_dual_fma_f32 v17, v240, v128, -v17 :: v_dual_add_f32 v9, v9, v15
	v_dual_fmac_f32 v45, v255, v142 :: v_dual_mul_f32 v11, v249, v137
	v_fmac_f32_e32 v39, v249, v136
	v_dual_fmac_f32 v31, v241, v128 :: v_dual_fma_f32 v13, v250, v138, -v13
	s_wait_loadcnt 0x4
	v_dual_add_f32 v9, v9, v17 :: v_dual_mov_b32 v106, v187
	v_mul_f32_e32 v17, v255, v143
	v_dual_add_f32 v5, v5, v27 :: v_dual_fma_f32 v11, v248, v136, -v11
	v_dual_mul_f32 v15, v253, v141 :: v_dual_fmac_f32 v43, v253, v140
	v_pk_mul_f32 v[104:105], v[216:217], v[184:185] op_sel:[1,1] op_sel_hi:[0,1]
	s_delay_alu instid0(VALU_DEP_3)
	v_add_f32_e32 v5, v5, v29
	s_set_vgpr_msb 1                        ;  msbs: dst=0 src0=1 src1=0 src2=0
	v_pk_mul_f32 v[106:107], v[42:43] /*v[298:299]*/, v[106:107] op_sel_hi:[1,0]
	s_set_vgpr_msb 0                        ;  msbs: dst=0 src0=0 src1=0 src2=0
	v_fma_f32 v15, v252, v140, -v15
	s_wait_loadcnt 0x3
	v_dual_fmac_f32 v35, v245, v132 :: v_dual_mov_b32 v110, v191
	v_dual_add_f32 v5, v5, v31 :: v_dual_fma_f32 v17, v254, v142, -v17
	v_pk_fma_f32 v[114:115], v[216:217], v[184:185], v[104:105] op_sel_hi:[1,0,1]
	v_pk_fma_f32 v[104:105], v[216:217], v[184:185], v[104:105] neg_lo:[0,0,1] neg_hi:[0,0,1]
	v_pk_mul_f32 v[108:109], v[220:221], v[188:189] op_sel:[1,1] op_sel_hi:[0,1]
	s_delay_alu instid0(VALU_DEP_4) | instskip(NEXT) | instid1(VALU_DEP_4)
	v_dual_add_f32 v5, v5, v33 :: v_dual_fma_f32 v23, v246, v134, -v23
	v_mov_b32_e32 v105, v115
	v_pk_fma_f32 v[114:115], v[218:219], v[186:187], v[106:107] op_sel_hi:[1,0,1]
	v_add_f32_e32 v9, v9, v19
	v_pk_fma_f32 v[106:107], v[218:219], v[186:187], v[106:107] neg_lo:[0,0,1] neg_hi:[0,0,1]
	v_add_f32_e32 v5, v5, v35
	v_pk_fma_f32 v[118:119], v[220:221], v[188:189], v[108:109] op_sel_hi:[1,0,1]
	s_set_vgpr_msb 1                        ;  msbs: dst=0 src0=1 src1=0 src2=0
	v_pk_mul_f32 v[110:111], v[44:45] /*v[300:301]*/, v[110:111] op_sel_hi:[1,0]
	s_set_vgpr_msb 0                        ;  msbs: dst=0 src0=0 src1=0 src2=0
	v_dual_mov_b32 v107, v115 :: v_dual_add_f32 v9, v9, v21
	v_pk_fma_f32 v[108:109], v[220:221], v[188:189], v[108:109] neg_lo:[0,0,1] neg_hi:[0,0,1]
	v_mov_b32_e32 v109, v119
	v_pk_fma_f32 v[114:115], v[222:223], v[190:191], v[110:111] op_sel_hi:[1,0,1]
	v_add_f32_e32 v5, v5, v37
	v_add_f32_e32 v9, v9, v23
	v_pk_fma_f32 v[110:111], v[222:223], v[190:191], v[110:111] neg_lo:[0,0,1] neg_hi:[0,0,1]
	s_wait_dscnt 0x9
	s_set_vgpr_msb 1                        ;  msbs: dst=0 src0=1 src1=0 src2=0
	v_dual_mul_f32 v47, v0 /*v256*/, v145 :: v_dual_mul_f32 v49, v2 /*v258*/, v147
	s_set_vgpr_msb 0                        ;  msbs: dst=0 src0=0 src1=0 src2=0
	v_dual_mov_b32 v111, v115 :: v_dual_add_f32 v5, v5, v39
	v_add_f32_e32 v9, v9, v11
	s_set_vgpr_msb 1                        ;  msbs: dst=0 src0=1 src1=0 src2=0
	v_dual_mul_f32 v19, v1 /*v257*/, v145 :: v_dual_mul_f32 v21, v3 /*v259*/, v147
	v_dual_fmac_f32 v47, v1 /*v257*/, v144 :: v_dual_fmac_f32 v49, v3 /*v259*/, v146
	s_set_vgpr_msb 0                        ;  msbs: dst=0 src0=0 src1=0 src2=0
	v_add_f32_e32 v5, v5, v41
	v_add_f32_e32 v9, v9, v13
	s_set_vgpr_msb 1                        ;  msbs: dst=0 src0=1 src1=0 src2=0
	v_fma_f32 v19, v0 /*v256*/, v144, -v19
	s_wait_dscnt 0x8
	v_dual_mul_f32 v51, v4 /*v260*/, v149 :: v_dual_mul_f32 v53, v6 /*v262*/, v151
	s_set_vgpr_msb 0                        ;  msbs: dst=0 src0=0 src1=0 src2=0
	v_add_f32_e32 v5, v5, v43
	v_add_f32_e32 v9, v9, v15
	s_set_vgpr_msb 1                        ;  msbs: dst=0 src0=1 src1=0 src2=0
	v_dual_mul_f32 v23, v5 /*v261*/, v149 :: v_dual_mul_f32 v11, v7 /*v263*/, v151
	v_fma_f32 v21, v2 /*v258*/, v146, -v21
	s_set_vgpr_msb 0                        ;  msbs: dst=0 src0=0 src1=0 src2=0
	v_add_f32_e32 v5, v5, v45
	v_add_f32_e32 v9, v9, v17
	s_wait_dscnt 0x6
	s_set_vgpr_msb 1                        ;  msbs: dst=0 src0=1 src1=0 src2=0
	v_mul_f32_e32 v17, v13 /*v269*/, v157
	v_dual_fmac_f32 v51, v5 /*v261*/, v148 :: v_dual_fmac_f32 v53, v7 /*v263*/, v150
	s_set_vgpr_msb 0                        ;  msbs: dst=0 src0=0 src1=0 src2=0
	v_add_f32_e32 v5, v5, v47
	v_add_f32_e32 v9, v9, v19
	s_set_vgpr_msb 1                        ;  msbs: dst=0 src0=1 src1=0 src2=0
	v_dual_mul_f32 v19, v15 /*v271*/, v159 :: v_dual_fma_f32 v23, v4 /*v260*/, v148, -v23
	v_dual_mul_f32 v55, v8 /*v264*/, v153 :: v_dual_mul_f32 v57, v10 /*v266*/, v155
	s_set_vgpr_msb 0                        ;  msbs: dst=0 src0=0 src1=0 src2=0
	v_add_f32_e32 v5, v5, v49
	v_add_f32_e32 v9, v9, v21
	s_set_vgpr_msb 1                        ;  msbs: dst=0 src0=1 src1=0 src2=0
	v_dual_mul_f32 v13, v9 /*v265*/, v153 :: v_dual_mul_f32 v15, v11 /*v267*/, v155
	s_wait_dscnt 0x5
	v_dual_mul_f32 v21, v17 /*v273*/, v161 :: v_dual_fma_f32 v11, v6 /*v262*/, v150, -v11
	s_set_vgpr_msb 0                        ;  msbs: dst=0 src0=0 src1=0 src2=0
	v_add_f32_e32 v5, v5, v51
	v_add_f32_e32 v9, v9, v23
	s_set_vgpr_msb 1                        ;  msbs: dst=0 src0=1 src1=0 src2=0
	v_dual_mul_f32 v23, v19 /*v275*/, v163 :: v_dual_fmac_f32 v55, v9 /*v265*/, v152
	v_fma_f32 v13, v8 /*v264*/, v152, -v13
	s_set_vgpr_msb 0                        ;  msbs: dst=0 src0=0 src1=0 src2=0
	v_add_f32_e32 v5, v5, v53
	v_add_f32_e32 v9, v9, v11
	s_set_vgpr_msb 1                        ;  msbs: dst=0 src0=1 src1=0 src2=0
	v_dual_mul_f32 v59, v12 /*v268*/, v157 :: v_dual_mul_f32 v61, v14 /*v270*/, v159
	s_wait_dscnt 0x4
	v_dual_mul_f32 v11, v21 /*v277*/, v165 :: v_dual_fmac_f32 v57, v11 /*v267*/, v154
	v_fma_f32 v15, v10 /*v266*/, v154, -v15
	s_set_vgpr_msb 0                        ;  msbs: dst=0 src0=0 src1=0 src2=0
	v_add_f32_e32 v5, v5, v55
	v_add_f32_e32 v9, v9, v13
	s_set_vgpr_msb 1                        ;  msbs: dst=0 src0=1 src1=0 src2=0
	v_dual_mul_f32 v13, v23 /*v279*/, v167 :: v_dual_fmac_f32 v59, v13 /*v269*/, v156
	v_fma_f32 v17, v12 /*v268*/, v156, -v17
	s_set_vgpr_msb 0                        ;  msbs: dst=0 src0=0 src1=0 src2=0
	v_add_f32_e32 v5, v5, v57
	v_add_f32_e32 v9, v9, v15
	s_set_vgpr_msb 1                        ;  msbs: dst=0 src0=1 src1=0 src2=0
	v_dual_mul_f32 v63, v16 /*v272*/, v161 :: v_dual_mul_f32 v65, v18 /*v274*/, v163
	s_wait_dscnt 0x3
	v_dual_mul_f32 v15, v25 /*v281*/, v169 :: v_dual_fmac_f32 v61, v15 /*v271*/, v158
	v_fma_f32 v19, v14 /*v270*/, v158, -v19
	;; [unrolled: 14-line block ×3, first 2 shown]
	s_set_vgpr_msb 0                        ;  msbs: dst=0 src0=0 src1=0 src2=0
	v_add_f32_e32 v5, v5, v63
	v_add_f32_e32 v9, v9, v21
	s_set_vgpr_msb 1                        ;  msbs: dst=0 src0=1 src1=0 src2=0
	v_dual_mul_f32 v21, v31 /*v287*/, v175 :: v_dual_fmac_f32 v67, v21 /*v277*/, v164
	v_dual_fmac_f32 v69, v23 /*v279*/, v166 :: v_dual_fma_f32 v11, v20 /*v276*/, v164, -v11
	s_set_vgpr_msb 0                        ;  msbs: dst=0 src0=0 src1=0 src2=0
	v_add_f32_e32 v5, v5, v65
	v_add_f32_e32 v9, v9, v23
	s_set_vgpr_msb 1                        ;  msbs: dst=0 src0=1 src1=0 src2=0
	v_dual_mul_f32 v71, v24 /*v280*/, v169 :: v_dual_mul_f32 v73, v26 /*v282*/, v171
	s_wait_dscnt 0x1
	v_dual_mul_f32 v23, v33 /*v289*/, v177 :: v_dual_fma_f32 v13, v22 /*v278*/, v166, -v13
	s_set_vgpr_msb 0                        ;  msbs: dst=0 src0=0 src1=0 src2=0
	v_add_f32_e32 v5, v5, v67
	v_add_f32_e32 v9, v9, v11
	s_set_vgpr_msb 1                        ;  msbs: dst=0 src0=1 src1=0 src2=0
	v_dual_mul_f32 v11, v35 /*v291*/, v179 :: v_dual_fmac_f32 v71, v25 /*v281*/, v168
	v_dual_fmac_f32 v73, v27 /*v283*/, v170 :: v_dual_fma_f32 v15, v24 /*v280*/, v168, -v15
	s_set_vgpr_msb 0                        ;  msbs: dst=0 src0=0 src1=0 src2=0
	v_add_f32_e32 v5, v5, v69
	v_add_f32_e32 v9, v9, v13
	s_set_vgpr_msb 1                        ;  msbs: dst=0 src0=1 src1=0 src2=0
	v_dual_mul_f32 v75, v28 /*v284*/, v173 :: v_dual_mul_f32 v77, v30 /*v286*/, v175
	s_wait_dscnt 0x0
	v_dual_mul_f32 v13, v37 /*v293*/, v181 :: v_dual_fma_f32 v17, v26 /*v282*/, v170, -v17
	s_set_vgpr_msb 0                        ;  msbs: dst=0 src0=0 src1=0 src2=0
	v_add_f32_e32 v5, v5, v71
	v_add_f32_e32 v9, v9, v15
	s_set_vgpr_msb 1                        ;  msbs: dst=0 src0=1 src1=0 src2=0
	v_dual_mul_f32 v15, v39 /*v295*/, v183 :: v_dual_fmac_f32 v75, v29 /*v285*/, v172
	v_dual_fmac_f32 v77, v31 /*v287*/, v174 :: v_dual_fma_f32 v19, v28 /*v284*/, v172, -v19
	s_set_vgpr_msb 0                        ;  msbs: dst=0 src0=0 src1=0 src2=0
	v_add_f32_e32 v5, v5, v73
	v_add_f32_e32 v9, v9, v17
	s_set_vgpr_msb 1                        ;  msbs: dst=0 src0=1 src1=0 src2=0
	v_dual_mul_f32 v79, v32 /*v288*/, v177 :: v_dual_mul_f32 v81, v34 /*v290*/, v179
	v_fma_f32 v17, v30 /*v286*/, v174, -v21
	s_set_vgpr_msb 0                        ;  msbs: dst=0 src0=0 src1=0 src2=0
	v_add_f32_e32 v5, v5, v75
	v_add_f32_e32 v9, v9, v19
	s_set_vgpr_msb 1                        ;  msbs: dst=0 src0=1 src1=0 src2=0
	v_dual_fmac_f32 v79, v33 /*v289*/, v176 :: v_dual_fmac_f32 v81, v35 /*v291*/, v178
	v_fma_f32 v19, v32 /*v288*/, v176, -v23
	s_set_vgpr_msb 0                        ;  msbs: dst=0 src0=0 src1=0 src2=0
	v_add_f32_e32 v5, v5, v77
	v_add_f32_e32 v9, v9, v17
	s_set_vgpr_msb 0x41                     ;  msbs: dst=1 src0=1 src1=0 src2=0
	v_dual_mul_f32 v51 /*v307*/, v36 /*v292*/, v181 :: v_dual_mul_f32 v53 /*v309*/, v38 /*v294*/, v183
	s_set_vgpr_msb 1                        ;  msbs: dst=0 src0=1 src1=0 src2=0
	v_fma_f32 v11, v34 /*v290*/, v178, -v11
	s_set_vgpr_msb 0                        ;  msbs: dst=0 src0=0 src1=0 src2=0
	v_add_f32_e32 v5, v5, v79
	v_add_f32_e32 v9, v9, v19
	s_set_vgpr_msb 0x41                     ;  msbs: dst=1 src0=1 src1=0 src2=0
	v_dual_fmac_f32 v51 /*v307*/, v37 /*v293*/, v180 :: v_dual_fmac_f32 v53 /*v309*/, v39 /*v295*/, v182
	v_dual_fma_f32 v50 /*v306*/, v36 /*v292*/, v180, -v13 :: v_dual_fma_f32 v52 /*v308*/, v38 /*v294*/, v182, -v15
	s_set_vgpr_msb 0                        ;  msbs: dst=0 src0=0 src1=0 src2=0
	v_add_f32_e32 v113, v5, v81
	v_add_f32_e32 v112, v9, v11
	s_wait_loadcnt 0x2
	v_pk_mul_f32 v[116:117], v[232:233], v[192:193] op_sel:[1,1] op_sel_hi:[0,1]
	s_set_vgpr_msb 4                        ;  msbs: dst=0 src0=0 src1=1 src2=0
	s_delay_alu instid0(VALU_DEP_2) | instskip(SKIP_1) | instid1(VALU_DEP_2)
	v_pk_add_f32 v[112:113], v[112:113], v[50:51] /*v[306:307]*/
	s_set_vgpr_msb 0                        ;  msbs: dst=0 src0=0 src1=0 src2=0
	v_pk_fma_f32 v[114:115], v[232:233], v[192:193], v[116:117] neg_lo:[0,0,1] neg_hi:[0,0,1]
	s_set_vgpr_msb 4                        ;  msbs: dst=0 src0=0 src1=1 src2=0
	s_delay_alu instid0(VALU_DEP_2) | instskip(SKIP_1) | instid1(VALU_DEP_1)
	v_pk_add_f32 v[112:113], v[112:113], v[52:53] /*v[308:309]*/
	s_set_vgpr_msb 0                        ;  msbs: dst=0 src0=0 src1=0 src2=0
	v_pk_add_f32 v[104:105], v[112:113], v[104:105]
	v_mov_b32_e32 v112, v195
	s_delay_alu instid0(VALU_DEP_2) | instskip(SKIP_2) | instid1(VALU_DEP_3)
	v_pk_add_f32 v[104:105], v[104:105], v[106:107]
	v_pk_fma_f32 v[106:107], v[232:233], v[192:193], v[116:117] op_sel_hi:[1,0,1]
	s_set_vgpr_msb 1                        ;  msbs: dst=0 src0=1 src1=0 src2=0
	v_pk_mul_f32 v[112:113], v[46:47] /*v[302:303]*/, v[112:113] op_sel_hi:[1,0]
	s_set_vgpr_msb 0                        ;  msbs: dst=0 src0=0 src1=0 src2=0
	v_pk_add_f32 v[104:105], v[104:105], v[108:109]
	v_mov_b32_e32 v115, v107
	s_delay_alu instid0(VALU_DEP_3)
	v_pk_fma_f32 v[106:107], v[234:235], v[194:195], v[112:113] op_sel_hi:[1,0,1]
	s_wait_loadcnt 0x1
	v_pk_mul_f32 v[108:109], v[236:237], v[196:197] op_sel:[1,1] op_sel_hi:[0,1]
	v_mov_b32_e32 v106, v199
	v_pk_add_f32 v[104:105], v[104:105], v[110:111]
	v_pk_fma_f32 v[112:113], v[234:235], v[194:195], v[112:113] neg_lo:[0,0,1] neg_hi:[0,0,1]
	v_mov_b32_e32 v113, v107
	v_pk_fma_f32 v[110:111], v[236:237], v[196:197], v[108:109] op_sel_hi:[1,0,1]
	s_set_vgpr_msb 1                        ;  msbs: dst=0 src0=1 src1=0 src2=0
	v_pk_mul_f32 v[106:107], v[48:49] /*v[304:305]*/, v[106:107] op_sel_hi:[1,0]
	s_set_vgpr_msb 0                        ;  msbs: dst=0 src0=0 src1=0 src2=0
	v_pk_add_f32 v[104:105], v[104:105], v[114:115]
	v_pk_fma_f32 v[108:109], v[236:237], v[196:197], v[108:109] neg_lo:[0,0,1] neg_hi:[0,0,1]
	v_mov_b32_e32 v109, v111
	v_pk_fma_f32 v[110:111], v[238:239], v[198:199], v[106:107] op_sel_hi:[1,0,1]
	s_delay_alu instid0(VALU_DEP_4) | instskip(SKIP_1) | instid1(VALU_DEP_3)
	v_pk_add_f32 v[104:105], v[104:105], v[112:113]
	v_pk_fma_f32 v[106:107], v[238:239], v[198:199], v[106:107] neg_lo:[0,0,1] neg_hi:[0,0,1]
	v_mov_b32_e32 v107, v111
	s_delay_alu instid0(VALU_DEP_3) | instskip(NEXT) | instid1(VALU_DEP_1)
	v_pk_add_f32 v[104:105], v[104:105], v[108:109]
	v_pk_add_f32 v[104:105], v[104:105], v[106:107]
	s_wait_loadcnt 0x0
	s_set_vgpr_msb 1                        ;  msbs: dst=0 src0=1 src1=0 src2=0
	s_delay_alu instid0(VALU_DEP_1)
	v_pk_add_f32 v[104:105], v[40:41] /*v[296:297]*/, v[104:105] neg_lo:[0,1] neg_hi:[0,1]
	scratch_store_b64 off, v[104:105], off offset:16
	s_wait_xcnt 0x0
	v_cmpx_lt_u32_e32 1, v0
	s_set_vgpr_msb 0                        ;  msbs: dst=0 src0=0 src1=0 src2=0
	s_cbranch_execz .LBB50_317
; %bb.316:
	scratch_load_b64 v[104:105], off, off offset:8
	v_mov_b64_e32 v[106:107], 0
	scratch_store_b64 off, v[106:107], off offset:8
	s_wait_loadcnt 0x0
	ds_store_b64 v1, v[104:105]
.LBB50_317:
	s_wait_xcnt 0x0
	s_or_b32 exec_lo, exec_lo, s0
	s_wait_storecnt_dscnt 0x0
	s_barrier_signal -1
	s_barrier_wait -1
	s_clause 0x1a
	scratch_load_b128 v[106:109], off, off offset:16
	scratch_load_b128 v[110:113], off, off offset:32
	;; [unrolled: 1-line block ×24, first 2 shown]
	s_set_vgpr_msb 64                       ;  msbs: dst=1 src0=0 src1=0 src2=0
	scratch_load_b64 v[44:45] /*v[300:301]*/, off, off offset:8
	scratch_load_b64 v[42:43] /*v[298:299]*/, off, off offset:400
	s_set_vgpr_msb 0                        ;  msbs: dst=0 src0=0 src1=0 src2=0
	v_dual_mov_b32 v104, 0 :: v_dual_ashrrev_i32 v53, 31, v52
	ds_load_b128 v[202:205], v104 offset:432
	ds_load_b128 v[206:209], v104 offset:448
	;; [unrolled: 1-line block ×14, first 2 shown]
	s_set_vgpr_msb 64                       ;  msbs: dst=1 src0=0 src1=0 src2=0
	ds_load_b128 v[2:5] /*v[258:261]*/, v104 offset:592
	ds_load_b128 v[6:9] /*v[262:265]*/, v104 offset:608
	;; [unrolled: 1-line block ×10, first 2 shown]
	ds_load_b64 v[46:47] /*v[302:303]*/, v104 offset:816
	s_wait_dscnt 0x14
	v_dual_mov_b32 v48 /*v304*/, v221 :: v_dual_mov_b32 v49 /*v305*/, v220
	s_wait_dscnt 0x11
	v_dual_mov_b32 v50 /*v306*/, v233 :: v_dual_mov_b32 v51 /*v307*/, v232
	;; [unrolled: 2-line block ×4, first 2 shown]
	s_set_vgpr_msb 0                        ;  msbs: dst=0 src0=0 src1=0 src2=0
	v_dual_ashrrev_i32 v5, 31, v4 :: v_dual_ashrrev_i32 v11, 31, v10
	v_dual_ashrrev_i32 v9, 31, v8 :: v_dual_ashrrev_i32 v15, 31, v14
	v_dual_ashrrev_i32 v13, 31, v12 :: v_dual_ashrrev_i32 v19, 31, v18
	v_dual_ashrrev_i32 v17, 31, v16 :: v_dual_ashrrev_i32 v23, 31, v22
	v_dual_ashrrev_i32 v21, 31, v20 :: v_dual_ashrrev_i32 v27, 31, v26
	v_dual_ashrrev_i32 v25, 31, v24 :: v_dual_ashrrev_i32 v31, 31, v30
	v_dual_ashrrev_i32 v29, 31, v28 :: v_dual_ashrrev_i32 v35, 31, v34
	v_dual_ashrrev_i32 v33, 31, v32 :: v_dual_ashrrev_i32 v39, 31, v38
	v_dual_ashrrev_i32 v37, 31, v36 :: v_dual_ashrrev_i32 v43, 31, v42
	v_dual_ashrrev_i32 v41, 31, v40 :: v_dual_ashrrev_i32 v47, 31, v46
	v_dual_ashrrev_i32 v45, 31, v44 :: v_dual_ashrrev_i32 v51, 31, v50
	v_dual_ashrrev_i32 v49, 31, v48 :: v_dual_ashrrev_i32 v55, 31, v54
	v_dual_ashrrev_i32 v57, 31, v56 :: v_dual_ashrrev_i32 v59, 31, v58
	v_dual_ashrrev_i32 v61, 31, v60 :: v_dual_ashrrev_i32 v63, 31, v62
	v_dual_ashrrev_i32 v65, 31, v64 :: v_dual_ashrrev_i32 v67, 31, v66
	v_dual_ashrrev_i32 v69, 31, v68 :: v_dual_ashrrev_i32 v71, 31, v70
	v_dual_ashrrev_i32 v73, 31, v72 :: v_dual_ashrrev_i32 v75, 31, v74
	v_dual_ashrrev_i32 v77, 31, v76 :: v_dual_ashrrev_i32 v79, 31, v78
	s_mov_b32 s0, exec_lo
	s_wait_loadcnt 0x19
	v_dual_mul_f32 v81, v202, v107 :: v_dual_mul_f32 v83, v204, v109
	v_dual_mul_f32 v85, v203, v107 :: v_dual_mul_f32 v87, v205, v109
	s_wait_loadcnt 0x18
	v_dual_mul_f32 v89, v206, v111 :: v_dual_mul_f32 v91, v208, v113
	s_wait_loadcnt 0x17
	v_dual_mul_f32 v93, v210, v115 :: v_dual_mul_f32 v95, v212, v117
	v_dual_mul_f32 v97, v207, v111 :: v_dual_mul_f32 v99, v209, v113
	;; [unrolled: 1-line block ×3, first 2 shown]
	s_wait_loadcnt 0x16
	v_dual_mul_f32 v105, v214, v119 :: v_dual_mul_f32 v107, v216, v121
	s_wait_loadcnt 0x15
	v_dual_mul_f32 v109, v222, v123 :: v_dual_mul_f32 v111, v224, v125
	;; [unrolled: 2-line block ×3, first 2 shown]
	v_dual_mul_f32 v115, v215, v119 :: v_dual_mul_f32 v119, v228, v129
	v_dual_mul_f32 v121, v223, v123 :: v_dual_mul_f32 v123, v225, v125
	;; [unrolled: 1-line block ×3, first 2 shown]
	s_wait_loadcnt 0x13
	v_dual_mul_f32 v129, v238, v131 :: v_dual_fmac_f32 v81, v203, v106
	v_dual_fmac_f32 v83, v205, v108 :: v_dual_fma_f32 v85, v202, v106, -v85
	s_wait_loadcnt 0x12
	v_dual_fma_f32 v87, v204, v108, -v87 :: v_dual_mul_f32 v106, v242, v135
	s_delay_alu instid0(VALU_DEP_3) | instskip(NEXT) | instid1(VALU_DEP_3)
	v_dual_fmac_f32 v93, v211, v114 :: v_dual_add_f32 v81, 0, v81
	v_dual_fma_f32 v101, v210, v114, -v101 :: v_dual_add_f32 v85, 0, v85
	s_wait_loadcnt_dscnt 0x110c
	v_dual_mul_f32 v203, v252, v141 :: v_dual_fmac_f32 v89, v207, v110
	v_dual_fmac_f32 v91, v209, v112 :: v_dual_fma_f32 v97, v206, v110, -v97
	v_dual_fma_f32 v103, v212, v116, -v103 :: v_dual_add_f32 v81, v81, v83
	v_dual_add_f32 v83, v85, v87 :: v_dual_fmac_f32 v105, v215, v118
	v_dual_fma_f32 v99, v208, v112, -v99 :: v_dual_mul_f32 v110, v251, v139
	s_set_vgpr_msb 64                       ;  msbs: dst=1 src0=0 src1=0 src2=0
	v_mul_f32_e32 v56 /*v312*/, v240, v133
	s_set_vgpr_msb 0                        ;  msbs: dst=0 src0=0 src1=0 src2=0
	v_add_f32_e32 v83, v83, v97
	v_dual_add_f32 v81, v81, v89 :: v_dual_mul_f32 v108, v239, v131
	v_mul_f32_e32 v131, v241, v133
	v_dual_mul_f32 v133, v244, v137 :: v_dual_mul_f32 v135, v243, v135
	s_delay_alu instid0(VALU_DEP_4) | instskip(NEXT) | instid1(VALU_DEP_4)
	v_add_f32_e32 v83, v83, v99
	v_add_f32_e32 v81, v81, v91
	v_dual_mul_f32 v137, v245, v137 :: v_dual_mul_f32 v202, v250, v139
	s_wait_loadcnt_dscnt 0x100b
	v_dual_mul_f32 v112, v253, v141 :: v_dual_mul_f32 v139, v254, v143
	v_dual_mul_f32 v143, v255, v143 :: v_dual_fmac_f32 v95, v213, v116
	v_add_f32_e32 v81, v81, v93
	v_dual_add_f32 v83, v83, v101 :: v_dual_fma_f32 v101, v214, v118, -v115
	v_fmac_f32_e32 v107, v217, v120
	v_fmac_f32_e32 v111, v225, v124
	s_delay_alu instid0(VALU_DEP_4) | instskip(NEXT) | instid1(VALU_DEP_4)
	v_add_f32_e32 v81, v81, v95
	v_dual_add_f32 v83, v83, v103 :: v_dual_fma_f32 v103, v216, v120, -v117
	v_dual_fmac_f32 v119, v229, v128 :: v_dual_fma_f32 v108, v238, v130, -v108
	s_delay_alu instid0(VALU_DEP_3) | instskip(NEXT) | instid1(VALU_DEP_3)
	v_add_f32_e32 v81, v81, v105
	v_dual_add_f32 v83, v83, v101 :: v_dual_fma_f32 v105, v222, v122, -v121
	v_fmac_f32_e32 v109, v223, v122
	s_set_vgpr_msb 64                       ;  msbs: dst=1 src0=0 src1=0 src2=0
	v_fmac_f32_e32 v56 /*v312*/, v241, v132
	s_set_vgpr_msb 0                        ;  msbs: dst=0 src0=0 src1=0 src2=0
	v_add_f32_e32 v81, v81, v107
	v_dual_add_f32 v83, v83, v103 :: v_dual_fma_f32 v107, v224, v124, -v123
	v_dual_fmac_f32 v106, v243, v134 :: v_dual_fmac_f32 v133, v245, v136
	s_delay_alu instid0(VALU_DEP_3) | instskip(NEXT) | instid1(VALU_DEP_3)
	v_dual_fmac_f32 v202, v251, v138 :: v_dual_add_f32 v81, v81, v109
	v_dual_add_f32 v83, v83, v105 :: v_dual_fma_f32 v109, v226, v126, -v125
	v_dual_fmac_f32 v113, v227, v126 :: v_dual_fmac_f32 v203, v253, v140
	s_delay_alu instid0(VALU_DEP_3) | instskip(NEXT) | instid1(VALU_DEP_3)
	v_add_f32_e32 v81, v81, v111
	v_dual_add_f32 v83, v83, v107 :: v_dual_fma_f32 v107, v228, v128, -v127
	s_set_vgpr_msb 1                        ;  msbs: dst=0 src0=1 src1=0 src2=0
	v_dual_mul_f32 v141, v0 /*v256*/, v145 :: v_dual_mul_f32 v145, v1 /*v257*/, v145
	s_set_vgpr_msb 0                        ;  msbs: dst=0 src0=0 src1=0 src2=0
	v_add_f32_e32 v81, v81, v113
	v_add_f32_e32 v83, v83, v109
	v_dual_fmac_f32 v129, v239, v130 :: v_dual_fma_f32 v109, v240, v132, -v131
	s_wait_loadcnt_dscnt 0xf0a
	s_set_vgpr_msb 1                        ;  msbs: dst=0 src0=1 src1=0 src2=0
	v_dual_mul_f32 v204, v2 /*v258*/, v147 :: v_dual_mul_f32 v205, v4 /*v260*/, v149
	s_set_vgpr_msb 0                        ;  msbs: dst=0 src0=0 src1=0 src2=0
	v_add_f32_e32 v81, v81, v119
	v_add_f32_e32 v83, v83, v107
	s_wait_loadcnt_dscnt 0x803
	s_set_vgpr_msb 1                        ;  msbs: dst=0 src0=1 src1=0 src2=0
	v_dual_mul_f32 v101, v3 /*v259*/, v147 :: v_dual_mul_f32 v105, v32 /*v288*/, v177
	v_dual_fma_f32 v117, v0 /*v256*/, v144, -v145 :: v_dual_fmac_f32 v204, v3 /*v259*/, v146
	s_set_vgpr_msb 0                        ;  msbs: dst=0 src0=0 src1=0 src2=0
	v_dual_add_f32 v81, v81, v129 :: v_dual_add_f32 v83, v83, v108
	v_fma_f32 v108, v242, v134, -v135
	s_set_vgpr_msb 1                        ;  msbs: dst=0 src0=1 src1=0 src2=0
	v_dual_mul_f32 v114, v6 /*v262*/, v151 :: v_dual_mul_f32 v116, v8 /*v264*/, v153
	s_set_vgpr_msb 4                        ;  msbs: dst=0 src0=0 src1=1 src2=0
	v_add_f32_e32 v81, v81, v56 /*v312*/
	s_wait_loadcnt 0x5
	s_set_vgpr_msb 0                        ;  msbs: dst=0 src0=0 src1=0 src2=0
	v_dual_add_f32 v83, v83, v109 :: v_dual_mul_f32 v109, v218, v187
	v_fma_f32 v111, v244, v136, -v137
	s_set_vgpr_msb 1                        ;  msbs: dst=0 src0=1 src1=0 src2=0
	v_dual_mul_f32 v95, v30 /*v286*/, v175 :: v_dual_mul_f32 v103, v5 /*v261*/, v149
	s_set_vgpr_msb 0                        ;  msbs: dst=0 src0=0 src1=0 src2=0
	v_dual_add_f32 v81, v81, v106 :: v_dual_add_f32 v83, v83, v108
	v_fma_f32 v108, v250, v138, -v110
	s_set_vgpr_msb 1                        ;  msbs: dst=0 src0=1 src1=0 src2=0
	v_fmac_f32_e32 v141, v1 /*v257*/, v144
	v_fma_f32 v101, v2 /*v258*/, v146, -v101
	s_set_vgpr_msb 0                        ;  msbs: dst=0 src0=0 src1=0 src2=0
	v_dual_add_f32 v81, v81, v133 :: v_dual_add_f32 v83, v83, v111
	v_fma_f32 v111, v252, v140, -v112
	s_set_vgpr_msb 1                        ;  msbs: dst=0 src0=1 src1=0 src2=0
	v_dual_fmac_f32 v205, v5 /*v261*/, v148 :: v_dual_fma_f32 v103, v4 /*v260*/, v148, -v103
	s_set_vgpr_msb 0                        ;  msbs: dst=0 src0=0 src1=0 src2=0
	v_dual_add_f32 v81, v81, v202 :: v_dual_add_f32 v83, v83, v108
	v_fmac_f32_e32 v139, v255, v142
	v_fma_f32 v112, v254, v142, -v143
	s_set_vgpr_msb 1                        ;  msbs: dst=0 src0=1 src1=0 src2=0
	v_fmac_f32_e32 v114, v7 /*v263*/, v150
	s_set_vgpr_msb 0                        ;  msbs: dst=0 src0=0 src1=0 src2=0
	v_add_f32_e32 v81, v81, v203
	v_add_f32_e32 v83, v83, v111
	s_set_vgpr_msb 1                        ;  msbs: dst=0 src0=1 src1=0 src2=0
	v_dual_mul_f32 v106, v7 /*v263*/, v151 :: v_dual_mul_f32 v110, v9 /*v265*/, v153
	v_dual_mul_f32 v85, v10 /*v266*/, v155 :: v_dual_mul_f32 v87, v12 /*v268*/, v157
	s_set_vgpr_msb 0                        ;  msbs: dst=0 src0=0 src1=0 src2=0
	v_dual_add_f32 v81, v81, v139 :: v_dual_add_f32 v83, v83, v112
	s_set_vgpr_msb 1                        ;  msbs: dst=0 src0=1 src1=0 src2=0
	v_dual_mul_f32 v112, v15 /*v271*/, v159 :: v_dual_fma_f32 v106, v6 /*v262*/, v150, -v106
	v_dual_mul_f32 v108, v11 /*v267*/, v155 :: v_dual_mul_f32 v111, v13 /*v269*/, v157
	s_set_vgpr_msb 0                        ;  msbs: dst=0 src0=0 src1=0 src2=0
	v_add_f32_e32 v83, v83, v117
	s_set_vgpr_msb 1                        ;  msbs: dst=0 src0=1 src1=0 src2=0
	v_mul_f32_e32 v117, v17 /*v273*/, v161
	v_dual_fmac_f32 v116, v9 /*v265*/, v152 :: v_dual_fma_f32 v110, v8 /*v264*/, v152, -v110
	v_fmac_f32_e32 v85, v11 /*v267*/, v154
	s_set_vgpr_msb 0                        ;  msbs: dst=0 src0=0 src1=0 src2=0
	v_add_f32_e32 v83, v83, v101
	v_add_f32_e32 v81, v81, v141
	s_set_vgpr_msb 1                        ;  msbs: dst=0 src0=1 src1=0 src2=0
	v_dual_mul_f32 v101, v19 /*v275*/, v163 :: v_dual_fma_f32 v108, v10 /*v266*/, v154, -v108
	v_dual_mul_f32 v206, v14 /*v270*/, v159 :: v_dual_mul_f32 v89, v16 /*v272*/, v161
	s_set_vgpr_msb 0                        ;  msbs: dst=0 src0=0 src1=0 src2=0
	v_dual_add_f32 v83, v83, v103 :: v_dual_add_f32 v81, v81, v204
	s_set_vgpr_msb 1                        ;  msbs: dst=0 src0=1 src1=0 src2=0
	v_mul_f32_e32 v103, v21 /*v277*/, v165
	v_fmac_f32_e32 v87, v13 /*v269*/, v156
	v_dual_fma_f32 v111, v12 /*v268*/, v156, -v111 :: v_dual_fmac_f32 v206, v15 /*v271*/, v158
	s_set_vgpr_msb 0                        ;  msbs: dst=0 src0=0 src1=0 src2=0
	v_dual_add_f32 v81, v81, v205 :: v_dual_add_f32 v83, v83, v106
	s_set_vgpr_msb 1                        ;  msbs: dst=0 src0=1 src1=0 src2=0
	v_mul_f32_e32 v106, v23 /*v279*/, v167
	v_dual_mul_f32 v97, v18 /*v274*/, v163 :: v_dual_mul_f32 v207, v20 /*v276*/, v165
	s_set_vgpr_msb 0                        ;  msbs: dst=0 src0=0 src1=0 src2=0
	v_add_f32_e32 v81, v81, v114
	v_add_f32_e32 v83, v83, v110
	s_set_vgpr_msb 1                        ;  msbs: dst=0 src0=1 src1=0 src2=0
	v_mul_f32_e32 v110, v25 /*v281*/, v169
	v_fmac_f32_e32 v89, v17 /*v273*/, v160
	v_dual_fmac_f32 v97, v19 /*v275*/, v162 :: v_dual_fmac_f32 v207, v21 /*v277*/, v164
	s_set_vgpr_msb 0                        ;  msbs: dst=0 src0=0 src1=0 src2=0
	v_add_f32_e32 v81, v81, v116
	v_add_f32_e32 v83, v83, v108
	s_set_vgpr_msb 1                        ;  msbs: dst=0 src0=1 src1=0 src2=0
	v_fma_f32 v108, v14 /*v270*/, v158, -v112
	v_dual_fma_f32 v101, v18 /*v274*/, v162, -v101 :: v_dual_fma_f32 v103, v20 /*v276*/, v164, -v103
	s_set_vgpr_msb 0                        ;  msbs: dst=0 src0=0 src1=0 src2=0
	v_add_f32_e32 v81, v81, v85
	s_set_vgpr_msb 1                        ;  msbs: dst=0 src0=1 src1=0 src2=0
	v_mul_f32_e32 v85, v27 /*v283*/, v171
	s_set_vgpr_msb 0                        ;  msbs: dst=0 src0=0 src1=0 src2=0
	v_add_f32_e32 v83, v83, v111
	s_set_vgpr_msb 1                        ;  msbs: dst=0 src0=1 src1=0 src2=0
	v_dual_fma_f32 v111, v16 /*v272*/, v160, -v117 :: v_dual_mul_f32 v91, v22 /*v278*/, v167
	v_mul_f32_e32 v99, v24 /*v280*/, v169
	s_set_vgpr_msb 0                        ;  msbs: dst=0 src0=0 src1=0 src2=0
	v_add_f32_e32 v81, v81, v87
	s_set_vgpr_msb 1                        ;  msbs: dst=0 src0=1 src1=0 src2=0
	v_mul_f32_e32 v87, v29 /*v285*/, v173
	s_set_vgpr_msb 0                        ;  msbs: dst=0 src0=0 src1=0 src2=0
	v_add_f32_e32 v83, v83, v108
	s_set_vgpr_msb 1                        ;  msbs: dst=0 src0=1 src1=0 src2=0
	v_mul_f32_e32 v108, v31 /*v287*/, v175
	v_fmac_f32_e32 v91, v23 /*v279*/, v166
	s_set_vgpr_msb 0                        ;  msbs: dst=0 src0=0 src1=0 src2=0
	v_add_f32_e32 v81, v81, v206
	s_set_vgpr_msb 1                        ;  msbs: dst=0 src0=1 src1=0 src2=0
	v_dual_mul_f32 v208, v26 /*v282*/, v171 :: v_dual_mul_f32 v93, v28 /*v284*/, v173
	v_dual_fmac_f32 v99, v25 /*v281*/, v168 :: v_dual_fma_f32 v85, v26 /*v282*/, v170, -v85
	s_set_vgpr_msb 0                        ;  msbs: dst=0 src0=0 src1=0 src2=0
	v_add_f32_e32 v81, v81, v89
	s_set_vgpr_msb 1                        ;  msbs: dst=0 src0=1 src1=0 src2=0
	v_mul_f32_e32 v89, v33 /*v289*/, v177
	s_set_vgpr_msb 0                        ;  msbs: dst=0 src0=0 src1=0 src2=0
	v_add_f32_e32 v83, v83, v111
	s_set_vgpr_msb 1                        ;  msbs: dst=0 src0=1 src1=0 src2=0
	v_dual_fmac_f32 v208, v27 /*v283*/, v170 :: v_dual_fmac_f32 v93, v29 /*v285*/, v172
	v_fma_f32 v87, v28 /*v284*/, v172, -v87
	v_fmac_f32_e32 v95, v31 /*v287*/, v174
	s_set_vgpr_msb 0                        ;  msbs: dst=0 src0=0 src1=0 src2=0
	v_add_f32_e32 v83, v83, v101
	v_add_f32_e32 v81, v81, v97
	s_wait_dscnt 0x2
	s_set_vgpr_msb 1                        ;  msbs: dst=0 src0=1 src1=0 src2=0
	v_dual_mul_f32 v97, v35 /*v291*/, v179 :: v_dual_fma_f32 v101, v22 /*v278*/, v166, -v106
	v_fma_f32 v106, v24 /*v280*/, v168, -v110
	s_set_vgpr_msb 0                        ;  msbs: dst=0 src0=0 src1=0 src2=0
	v_add_f32_e32 v83, v83, v103
	v_add_f32_e32 v81, v81, v207
	s_set_vgpr_msb 1                        ;  msbs: dst=0 src0=1 src1=0 src2=0
	v_dual_mul_f32 v103, v37 /*v293*/, v181 :: v_dual_mul_f32 v115, v34 /*v290*/, v179
	v_mul_f32_e32 v113, v36 /*v292*/, v181
	s_set_vgpr_msb 0                        ;  msbs: dst=0 src0=0 src1=0 src2=0
	v_dual_add_f32 v83, v83, v101 :: v_dual_add_f32 v81, v81, v91
	s_wait_dscnt 0x1
	s_set_vgpr_msb 1                        ;  msbs: dst=0 src0=1 src1=0 src2=0
	v_dual_mul_f32 v91, v39 /*v295*/, v183 :: v_dual_fma_f32 v101, v30 /*v286*/, v174, -v108
	v_dual_mul_f32 v118, v38 /*v294*/, v183 :: v_dual_mul_f32 v107, v40 /*v296*/, v185
	s_set_vgpr_msb 0                        ;  msbs: dst=0 src0=0 src1=0 src2=0
	v_dual_add_f32 v81, v81, v99 :: v_dual_add_f32 v83, v83, v106
	s_set_vgpr_msb 1                        ;  msbs: dst=0 src0=1 src1=0 src2=0
	v_mul_f32_e32 v99, v41 /*v297*/, v185
	s_set_vgpr_msb 0                        ;  msbs: dst=0 src0=0 src1=0 src2=0
	v_mov_b32_e32 v108, v189
	s_set_vgpr_msb 1                        ;  msbs: dst=0 src0=1 src1=0 src2=0
	v_dual_fmac_f32 v105, v33 /*v289*/, v176 :: v_dual_fmac_f32 v115, v35 /*v291*/, v178
	s_set_vgpr_msb 0                        ;  msbs: dst=0 src0=0 src1=0 src2=0
	v_dual_add_f32 v81, v81, v208 :: v_dual_add_f32 v83, v83, v85
	v_mul_f32_e32 v85, v219, v187
	s_set_vgpr_msb 1                        ;  msbs: dst=0 src0=1 src1=0 src2=0
	v_dual_fmac_f32 v118, v39 /*v295*/, v182 :: v_dual_fmac_f32 v113, v37 /*v293*/, v180
	s_set_vgpr_msb 0                        ;  msbs: dst=0 src0=0 src1=0 src2=0
	v_dual_add_f32 v81, v81, v93 :: v_dual_add_f32 v83, v83, v87
	s_set_vgpr_msb 1                        ;  msbs: dst=0 src0=1 src1=0 src2=0
	v_fma_f32 v87, v32 /*v288*/, v176, -v89
	v_dual_fma_f32 v89, v34 /*v290*/, v178, -v97 :: v_dual_fmac_f32 v107, v41 /*v297*/, v184
	s_set_vgpr_msb 0                        ;  msbs: dst=0 src0=0 src1=0 src2=0
	v_dual_add_f32 v81, v81, v95 :: v_dual_add_f32 v83, v83, v101
	s_set_vgpr_msb 1                        ;  msbs: dst=0 src0=1 src1=0 src2=0
	v_fma_f32 v106, v40 /*v296*/, v184, -v99
	v_pk_mul_f32 v[116:117], v[48:49] /*v[304:305]*/, v[108:109] op_sel_hi:[1,0]
	s_set_vgpr_msb 0                        ;  msbs: dst=0 src0=0 src1=0 src2=0
	v_dual_fmac_f32 v109, v219, v186 :: v_dual_add_f32 v81, v81, v105
	v_add_f32_e32 v83, v83, v87
	s_set_vgpr_msb 1                        ;  msbs: dst=0 src0=1 src1=0 src2=0
	v_fma_f32 v87, v36 /*v292*/, v180, -v103
	s_wait_loadcnt 0x4
	s_set_vgpr_msb 0                        ;  msbs: dst=0 src0=0 src1=0 src2=0
	v_mov_b32_e32 v112, v193
	v_pk_mul_f32 v[110:111], v[230:231], v[190:191] op_sel:[1,1] op_sel_hi:[0,1]
	s_wait_loadcnt 0x3
	v_dual_mov_b32 v120, v197 :: v_dual_fma_f32 v108, v218, v186, -v85
	v_add_f32_e32 v83, v83, v89
	s_set_vgpr_msb 1                        ;  msbs: dst=0 src0=1 src1=0 src2=0
	v_fma_f32 v89, v38 /*v294*/, v182, -v91
	s_set_vgpr_msb 0                        ;  msbs: dst=0 src0=0 src1=0 src2=0
	v_pk_fma_f32 v[122:123], v[220:221], v[188:189], v[116:117] op_sel_hi:[1,0,1]
	v_pk_fma_f32 v[116:117], v[220:221], v[188:189], v[116:117] neg_lo:[0,0,1] neg_hi:[0,0,1]
	s_set_vgpr_msb 1                        ;  msbs: dst=0 src0=1 src1=0 src2=0
	v_pk_mul_f32 v[120:121], v[52:53] /*v[308:309]*/, v[120:121] op_sel_hi:[1,0]
	s_set_vgpr_msb 0                        ;  msbs: dst=0 src0=0 src1=0 src2=0
	v_add_f32_e32 v83, v83, v87
	v_dual_add_f32 v81, v81, v115 :: v_dual_ashrrev_i32 v87, 31, v86
	v_mov_b32_e32 v117, v123
	v_pk_mul_f32 v[114:115], v[234:235], v[194:195] op_sel:[1,1] op_sel_hi:[0,1]
	s_delay_alu instid0(VALU_DEP_3)
	v_dual_ashrrev_i32 v91, 31, v90 :: v_dual_add_f32 v81, v81, v113
	s_set_vgpr_msb 1                        ;  msbs: dst=0 src0=1 src1=0 src2=0
	v_pk_mul_f32 v[112:113], v[50:51] /*v[306:307]*/, v[112:113] op_sel_hi:[1,0]
	v_dual_ashrrev_i32 v93, 31, v92 :: v_dual_ashrrev_i32 v95, 31, v94
	v_dual_ashrrev_i32 v97, 31, v96 :: v_dual_ashrrev_i32 v99, 31, v98
	s_set_vgpr_msb 0                        ;  msbs: dst=0 src0=0 src1=0 src2=0
	v_dual_add_f32 v119, v81, v118 :: v_dual_add_f32 v118, v83, v89
	v_dual_ashrrev_i32 v83, 31, v82 :: v_dual_ashrrev_i32 v81, 31, v80
	v_ashrrev_i32_e32 v89, 31, v88
	v_dual_ashrrev_i32 v101, 31, v100 :: v_dual_ashrrev_i32 v103, 31, v102
	s_delay_alu instid0(VALU_DEP_4) | instskip(SKIP_2) | instid1(VALU_DEP_3)
	v_pk_add_f32 v[106:107], v[118:119], v[106:107]
	v_pk_fma_f32 v[118:119], v[230:231], v[190:191], v[110:111] op_sel_hi:[1,0,1]
	v_pk_fma_f32 v[110:111], v[230:231], v[190:191], v[110:111] neg_lo:[0,0,1] neg_hi:[0,0,1]
	v_pk_add_f32 v[106:107], v[106:107], v[108:109]
	s_delay_alu instid0(VALU_DEP_3)
	v_mov_b32_e32 v111, v119
	v_pk_fma_f32 v[118:119], v[232:233], v[192:193], v[112:113] op_sel_hi:[1,0,1]
	v_pk_fma_f32 v[112:113], v[232:233], v[192:193], v[112:113] neg_lo:[0,0,1] neg_hi:[0,0,1]
	s_wait_loadcnt 0x2
	v_pk_mul_f32 v[108:109], v[246:247], v[198:199] op_sel:[1,1] op_sel_hi:[0,1]
	v_pk_add_f32 v[106:107], v[106:107], v[116:117]
	v_pk_fma_f32 v[116:117], v[234:235], v[194:195], v[114:115] op_sel_hi:[1,0,1]
	v_mov_b32_e32 v113, v119
	v_pk_fma_f32 v[114:115], v[234:235], v[194:195], v[114:115] neg_lo:[0,0,1] neg_hi:[0,0,1]
	v_pk_fma_f32 v[118:119], v[236:237], v[196:197], v[120:121] neg_lo:[0,0,1] neg_hi:[0,0,1]
	v_pk_add_f32 v[106:107], v[106:107], v[110:111]
	v_dual_mov_b32 v110, v201 :: v_dual_mov_b32 v115, v117
	v_pk_fma_f32 v[116:117], v[236:237], v[196:197], v[120:121] op_sel_hi:[1,0,1]
	s_delay_alu instid0(VALU_DEP_3)
	v_pk_add_f32 v[106:107], v[106:107], v[112:113]
	v_pk_fma_f32 v[112:113], v[246:247], v[198:199], v[108:109] op_sel_hi:[1,0,1]
	s_set_vgpr_msb 1                        ;  msbs: dst=0 src0=1 src1=0 src2=0
	v_pk_mul_f32 v[110:111], v[54:55] /*v[310:311]*/, v[110:111] op_sel_hi:[1,0]
	s_set_vgpr_msb 0                        ;  msbs: dst=0 src0=0 src1=0 src2=0
	v_mov_b32_e32 v119, v117
	v_pk_fma_f32 v[108:109], v[246:247], v[198:199], v[108:109] neg_lo:[0,0,1] neg_hi:[0,0,1]
	v_pk_add_f32 v[106:107], v[106:107], v[114:115]
	v_mov_b32_e32 v109, v113
	v_pk_fma_f32 v[112:113], v[248:249], v[200:201], v[110:111] op_sel_hi:[1,0,1]
	s_wait_loadcnt_dscnt 0x0
	s_set_vgpr_msb 5                        ;  msbs: dst=0 src0=1 src1=1 src2=0
	v_pk_mul_f32 v[114:115], v[46:47] /*v[302:303]*/, v[42:43] /*v[298:299]*/ op_sel:[1,1] op_sel_hi:[0,1]
	s_set_vgpr_msb 0                        ;  msbs: dst=0 src0=0 src1=0 src2=0
	v_pk_fma_f32 v[110:111], v[248:249], v[200:201], v[110:111] neg_lo:[0,0,1] neg_hi:[0,0,1]
	v_pk_add_f32 v[106:107], v[106:107], v[118:119]
	v_mov_b32_e32 v111, v113
	s_set_vgpr_msb 5                        ;  msbs: dst=0 src0=1 src1=1 src2=0
	v_pk_fma_f32 v[112:113], v[46:47] /*v[302:303]*/, v[42:43] /*v[298:299]*/, v[114:115] neg_lo:[0,0,1] neg_hi:[0,0,1]
	s_set_vgpr_msb 0                        ;  msbs: dst=0 src0=0 src1=0 src2=0
	v_pk_add_f32 v[106:107], v[106:107], v[108:109]
	s_set_vgpr_msb 5                        ;  msbs: dst=0 src0=1 src1=1 src2=0
	v_pk_fma_f32 v[108:109], v[46:47] /*v[302:303]*/, v[42:43] /*v[298:299]*/, v[114:115] op_sel_hi:[1,0,1]
	s_set_vgpr_msb 0                        ;  msbs: dst=0 src0=0 src1=0 src2=0
	v_ashrrev_i32_e32 v85, 31, v84
	v_pk_add_f32 v[106:107], v[106:107], v[110:111]
	s_delay_alu instid0(VALU_DEP_3) | instskip(NEXT) | instid1(VALU_DEP_1)
	v_mov_b32_e32 v113, v109
	v_pk_add_f32 v[106:107], v[106:107], v[112:113]
	s_set_vgpr_msb 1                        ;  msbs: dst=0 src0=1 src1=0 src2=0
	s_delay_alu instid0(VALU_DEP_1)
	v_pk_add_f32 v[106:107], v[44:45] /*v[300:301]*/, v[106:107] neg_lo:[0,1] neg_hi:[0,1]
	scratch_store_b64 off, v[106:107], off offset:8
	s_wait_xcnt 0x0
	v_cmpx_ne_u32_e32 0, v0
	s_set_vgpr_msb 0                        ;  msbs: dst=0 src0=0 src1=0 src2=0
	s_cbranch_execz .LBB50_319
; %bb.318:
	scratch_load_b64 v[106:107], off, off
	v_mov_b64_e32 v[108:109], 0
	scratch_store_b64 off, v[108:109], off
	s_wait_loadcnt 0x0
	ds_store_b64 v1, v[106:107]
.LBB50_319:
	s_wait_xcnt 0x0
	s_or_b32 exec_lo, exec_lo, s0
	s_wait_storecnt_dscnt 0x0
	s_barrier_signal -1
	s_barrier_wait -1
	s_clause 0xf
	scratch_load_b128 v[110:113], off, off offset:8
	scratch_load_b128 v[118:121], off, off offset:24
	;; [unrolled: 1-line block ×16, first 2 shown]
	ds_load_2addr_b64 v[106:109], v104 offset0:53 offset1:54
	ds_load_2addr_b64 v[114:117], v104 offset0:55 offset1:56
	s_clause 0x1
	scratch_load_b128 v[238:241], off, off offset:264
	scratch_load_b128 v[246:249], off, off offset:280
	ds_load_2addr_b64 v[122:125], v104 offset0:57 offset1:58
	ds_load_2addr_b64 v[130:133], v104 offset0:59 offset1:60
	s_clause 0x2
	scratch_load_b128 v[254:257], off, off offset:296
	s_set_vgpr_msb 64                       ;  msbs: dst=1 src0=0 src1=0 src2=0
	scratch_load_b128 v[6:9] /*v[262:265]*/, off, off offset:312
	s_set_vgpr_msb 0                        ;  msbs: dst=0 src0=0 src1=0 src2=0
	ds_load_2addr_b64 v[138:141], v104 offset0:61 offset1:62
	ds_load_2addr_b64 v[146:149], v104 offset0:63 offset1:64
	;; [unrolled: 1-line block ×15, first 2 shown]
	s_set_vgpr_msb 64                       ;  msbs: dst=1 src0=0 src1=0 src2=0
	ds_load_2addr_b64 v[2:5] /*v[258:261]*/, v104 offset0:91 offset1:92
	ds_load_2addr_b64 v[10:13] /*v[266:269]*/, v104 offset0:93 offset1:94
	s_clause 0x4
	scratch_load_b128 v[14:17] /*v[270:273]*/, off, off offset:328
	scratch_load_b128 v[18:21] /*v[274:277]*/, off, off offset:344
	;; [unrolled: 1-line block ×5, first 2 shown]
	s_and_b32 vcc_lo, exec_lo, s18
	s_wait_loadcnt_dscnt 0x1814
	s_set_vgpr_msb 0                        ;  msbs: dst=0 src0=0 src1=0 src2=0
	v_dual_mul_f32 v0, v106, v111 :: v_dual_mul_f32 v1, v108, v113
	s_delay_alu instid0(VALU_DEP_1) | instskip(NEXT) | instid1(VALU_DEP_2)
	v_dual_mul_f32 v105, v109, v113 :: v_dual_fmac_f32 v0, v107, v110
	v_fmac_f32_e32 v1, v109, v112
	s_delay_alu instid0(VALU_DEP_2) | instskip(NEXT) | instid1(VALU_DEP_3)
	v_fma_f32 v105, v108, v112, -v105
	v_add_f32_e32 v0, 0, v0
	s_wait_loadcnt_dscnt 0x1713
	s_delay_alu instid0(VALU_DEP_1) | instskip(NEXT) | instid1(VALU_DEP_1)
	v_dual_add_f32 v0, v0, v1 :: v_dual_mul_f32 v1, v114, v119
	v_fmac_f32_e32 v1, v115, v118
	s_delay_alu instid0(VALU_DEP_1) | instskip(SKIP_1) | instid1(VALU_DEP_1)
	v_add_f32_e32 v0, v0, v1
	v_mul_f32_e32 v1, v116, v121
	v_fmac_f32_e32 v1, v117, v120
	s_wait_loadcnt_dscnt 0x1612
	s_delay_alu instid0(VALU_DEP_1)
	v_dual_add_f32 v0, v0, v1 :: v_dual_mul_f32 v1, v122, v127
	s_wait_loadcnt_dscnt 0x400
	s_set_vgpr_msb 0x45                     ;  msbs: dst=1 src0=1 src1=1 src2=0
	v_dual_mul_f32 v35 /*v291*/, v10 /*v266*/, v15 /*v271*/ :: v_dual_mul_f32 v37 /*v293*/, v12 /*v268*/, v17 /*v273*/
	s_set_vgpr_msb 0                        ;  msbs: dst=0 src0=0 src1=0 src2=0
	v_fmac_f32_e32 v1, v123, v126
	s_set_vgpr_msb 0x45                     ;  msbs: dst=1 src0=1 src1=1 src2=0
	s_delay_alu instid0(VALU_DEP_2) | instskip(SKIP_1) | instid1(VALU_DEP_2)
	v_dual_fmac_f32 v35 /*v291*/, v11 /*v267*/, v14 /*v270*/ :: v_dual_fmac_f32 v37 /*v293*/, v13 /*v269*/, v16 /*v272*/
	s_set_vgpr_msb 0                        ;  msbs: dst=0 src0=0 src1=0 src2=0
	v_add_f32_e32 v0, v0, v1
	v_mul_f32_e32 v1, v124, v129
	s_delay_alu instid0(VALU_DEP_1) | instskip(NEXT) | instid1(VALU_DEP_1)
	v_fmac_f32_e32 v1, v125, v128
	v_dual_add_f32 v0, v0, v1 :: v_dual_mul_f32 v1, v130, v135
	s_delay_alu instid0(VALU_DEP_1) | instskip(NEXT) | instid1(VALU_DEP_1)
	v_fmac_f32_e32 v1, v131, v134
	v_add_f32_e32 v0, v0, v1
	v_mul_f32_e32 v1, v132, v137
	s_delay_alu instid0(VALU_DEP_1) | instskip(NEXT) | instid1(VALU_DEP_1)
	v_fmac_f32_e32 v1, v133, v136
	v_dual_add_f32 v0, v0, v1 :: v_dual_mul_f32 v1, v138, v143
	s_delay_alu instid0(VALU_DEP_1) | instskip(NEXT) | instid1(VALU_DEP_1)
	v_fmac_f32_e32 v1, v139, v142
	;; [unrolled: 7-line block ×16, first 2 shown]
	v_add_f32_e32 v0, v0, v1
	s_set_vgpr_msb 4                        ;  msbs: dst=0 src0=0 src1=1 src2=0
	v_mul_f32_e32 v1, v252, v1 /*v257*/
	s_delay_alu instid0(VALU_DEP_1) | instskip(SKIP_1) | instid1(VALU_DEP_1)
	v_fmac_f32_e32 v1, v253, v0 /*v256*/
	s_set_vgpr_msb 0                        ;  msbs: dst=0 src0=0 src1=0 src2=0
	v_add_f32_e32 v0, v0, v1
	s_set_vgpr_msb 5                        ;  msbs: dst=0 src0=1 src1=1 src2=0
	v_mul_f32_e32 v1, v2 /*v258*/, v7 /*v263*/
	s_delay_alu instid0(VALU_DEP_1) | instskip(SKIP_1) | instid1(VALU_DEP_1)
	v_fmac_f32_e32 v1, v3 /*v259*/, v6 /*v262*/
	s_set_vgpr_msb 0                        ;  msbs: dst=0 src0=0 src1=0 src2=0
	v_add_f32_e32 v0, v0, v1
	s_set_vgpr_msb 5                        ;  msbs: dst=0 src0=1 src1=1 src2=0
	v_mul_f32_e32 v1, v4 /*v260*/, v9 /*v265*/
	s_delay_alu instid0(VALU_DEP_1) | instskip(SKIP_1) | instid1(VALU_DEP_1)
	v_fmac_f32_e32 v1, v5 /*v261*/, v8 /*v264*/
	s_set_vgpr_msb 0                        ;  msbs: dst=0 src0=0 src1=0 src2=0
	v_dual_add_f32 v1, v0, v1 :: v_dual_mul_f32 v0, v107, v111
	s_delay_alu instid0(VALU_DEP_1) | instskip(NEXT) | instid1(VALU_DEP_1)
	v_fma_f32 v0, v106, v110, -v0
	v_add_f32_e32 v0, 0, v0
	s_delay_alu instid0(VALU_DEP_1) | instskip(NEXT) | instid1(VALU_DEP_1)
	v_dual_add_f32 v0, v0, v105 :: v_dual_mul_f32 v105, v115, v119
	v_fma_f32 v105, v114, v118, -v105
	s_delay_alu instid0(VALU_DEP_1) | instskip(SKIP_1) | instid1(VALU_DEP_1)
	v_add_f32_e32 v0, v0, v105
	v_mul_f32_e32 v105, v117, v121
	v_fma_f32 v105, v116, v120, -v105
	ds_load_2addr_b64 v[106:109], v104 offset0:95 offset1:96
	ds_load_2addr_b64 v[110:113], v104 offset0:97 offset1:98
	;; [unrolled: 1-line block ×4, first 2 shown]
	v_dual_add_f32 v0, v0, v105 :: v_dual_mul_f32 v105, v123, v127
	s_delay_alu instid0(VALU_DEP_1) | instskip(NEXT) | instid1(VALU_DEP_1)
	v_fma_f32 v105, v122, v126, -v105
	v_add_f32_e32 v0, v0, v105
	v_mul_f32_e32 v105, v125, v129
	s_delay_alu instid0(VALU_DEP_1) | instskip(NEXT) | instid1(VALU_DEP_1)
	v_fma_f32 v105, v124, v128, -v105
	v_dual_add_f32 v0, v0, v105 :: v_dual_mul_f32 v105, v131, v135
	s_delay_alu instid0(VALU_DEP_1) | instskip(NEXT) | instid1(VALU_DEP_1)
	v_fma_f32 v105, v130, v134, -v105
	v_add_f32_e32 v0, v0, v105
	v_mul_f32_e32 v105, v133, v137
	s_delay_alu instid0(VALU_DEP_1) | instskip(NEXT) | instid1(VALU_DEP_1)
	v_fma_f32 v105, v132, v136, -v105
	;; [unrolled: 7-line block ×16, first 2 shown]
	v_dual_add_f32 v0, v0, v105 :: v_dual_mul_f32 v105, v251, v255
	s_delay_alu instid0(VALU_DEP_1) | instskip(NEXT) | instid1(VALU_DEP_1)
	v_fma_f32 v105, v250, v254, -v105
	v_add_f32_e32 v0, v0, v105
	s_set_vgpr_msb 4                        ;  msbs: dst=0 src0=0 src1=1 src2=0
	v_mul_f32_e32 v105, v253, v1 /*v257*/
	s_delay_alu instid0(VALU_DEP_1) | instskip(SKIP_1) | instid1(VALU_DEP_1)
	v_fma_f32 v105, v252, v0 /*v256*/, -v105
	s_set_vgpr_msb 0                        ;  msbs: dst=0 src0=0 src1=0 src2=0
	v_add_f32_e32 v0, v0, v105
	s_set_vgpr_msb 5                        ;  msbs: dst=0 src0=1 src1=1 src2=0
	v_mul_f32_e32 v105, v3 /*v259*/, v7 /*v263*/
	s_delay_alu instid0(VALU_DEP_1) | instskip(SKIP_1) | instid1(VALU_DEP_1)
	v_fma_f32 v105, v2 /*v258*/, v6 /*v262*/, -v105
	s_set_vgpr_msb 0                        ;  msbs: dst=0 src0=0 src1=0 src2=0
	v_add_f32_e32 v0, v0, v105
	s_set_vgpr_msb 5                        ;  msbs: dst=0 src0=1 src1=1 src2=0
	v_mul_f32_e32 v105, v5 /*v261*/, v9 /*v265*/
	s_delay_alu instid0(VALU_DEP_1) | instskip(SKIP_1) | instid1(VALU_DEP_1)
	v_fma_f32 v105, v4 /*v260*/, v8 /*v264*/, -v105
	s_set_vgpr_msb 0                        ;  msbs: dst=0 src0=0 src1=0 src2=0
	v_add_f32_e32 v0, v0, v105
	s_set_vgpr_msb 5                        ;  msbs: dst=0 src0=1 src1=1 src2=0
	v_mul_f32_e32 v105, v11 /*v267*/, v15 /*v271*/
	s_set_vgpr_msb 0x45                     ;  msbs: dst=1 src0=1 src1=1 src2=0
	s_delay_alu instid0(VALU_DEP_1) | instskip(SKIP_3) | instid1(VALU_DEP_1)
	v_fma_f32 v34 /*v290*/, v10 /*v266*/, v14 /*v270*/, -v105
	s_set_vgpr_msb 5                        ;  msbs: dst=0 src0=1 src1=1 src2=0
	v_mul_f32_e32 v105, v13 /*v269*/, v17 /*v273*/
	s_set_vgpr_msb 0x45                     ;  msbs: dst=1 src0=1 src1=1 src2=0
	v_fma_f32 v36 /*v292*/, v12 /*v268*/, v16 /*v272*/, -v105
	s_wait_loadcnt_dscnt 0x303
	s_set_vgpr_msb 4                        ;  msbs: dst=0 src0=0 src1=1 src2=0
	v_pk_mul_f32 v[104:105], v[106:107], v[18:19] /*v[274:275]*/ op_sel:[1,1] op_sel_hi:[0,1]
	v_pk_add_f32 v[0:1], v[0:1], v[34:35] /*v[290:291]*/
	s_delay_alu instid0(VALU_DEP_2)
	v_pk_fma_f32 v[122:123], v[106:107], v[18:19] /*v[274:275]*/, v[104:105] neg_lo:[0,0,1] neg_hi:[0,0,1]
	v_pk_fma_f32 v[104:105], v[106:107], v[18:19] /*v[274:275]*/, v[104:105] op_sel_hi:[1,0,1]
	v_mov_b32_e32 v104, v109
	s_set_vgpr_msb 1                        ;  msbs: dst=0 src0=1 src1=0 src2=0
	v_mov_b32_e32 v106, v21 /*v277*/
	s_set_vgpr_msb 4                        ;  msbs: dst=0 src0=0 src1=1 src2=0
	v_pk_add_f32 v[0:1], v[0:1], v[36:37] /*v[292:293]*/
	v_dual_mov_b32 v123, v105 :: v_dual_mov_b32 v105, v108
	s_set_vgpr_msb 0                        ;  msbs: dst=0 src0=0 src1=0 src2=0
	s_delay_alu instid0(VALU_DEP_1) | instskip(NEXT) | instid1(VALU_DEP_2)
	v_pk_add_f32 v[0:1], v[0:1], v[122:123]
	v_pk_mul_f32 v[104:105], v[104:105], v[106:107] op_sel_hi:[1,0]
	s_set_vgpr_msb 4                        ;  msbs: dst=0 src0=0 src1=1 src2=0
	s_delay_alu instid0(VALU_DEP_1) | instskip(SKIP_1) | instid1(VALU_DEP_1)
	v_pk_fma_f32 v[106:107], v[108:109], v[20:21] /*v[276:277]*/, v[104:105] neg_lo:[0,0,1] neg_hi:[0,0,1]
	v_pk_fma_f32 v[104:105], v[108:109], v[20:21] /*v[276:277]*/, v[104:105] op_sel_hi:[1,0,1]
	v_mov_b32_e32 v107, v105
	s_wait_loadcnt_dscnt 0x202
	v_pk_mul_f32 v[104:105], v[110:111], v[22:23] /*v[278:279]*/ op_sel:[1,1] op_sel_hi:[0,1]
	s_set_vgpr_msb 0                        ;  msbs: dst=0 src0=0 src1=0 src2=0
	s_delay_alu instid0(VALU_DEP_2) | instskip(SKIP_1) | instid1(VALU_DEP_2)
	v_pk_add_f32 v[0:1], v[0:1], v[106:107]
	s_set_vgpr_msb 4                        ;  msbs: dst=0 src0=0 src1=1 src2=0
	v_pk_fma_f32 v[106:107], v[110:111], v[22:23] /*v[278:279]*/, v[104:105] neg_lo:[0,0,1] neg_hi:[0,0,1]
	v_pk_fma_f32 v[104:105], v[110:111], v[22:23] /*v[278:279]*/, v[104:105] op_sel_hi:[1,0,1]
	s_delay_alu instid0(VALU_DEP_1) | instskip(SKIP_2) | instid1(VALU_DEP_2)
	v_dual_mov_b32 v104, v113 :: v_dual_mov_b32 v107, v105
	v_mov_b32_e32 v105, v112
	s_set_vgpr_msb 0                        ;  msbs: dst=0 src0=0 src1=0 src2=0
	v_pk_add_f32 v[0:1], v[0:1], v[106:107]
	s_set_vgpr_msb 1                        ;  msbs: dst=0 src0=1 src1=0 src2=0
	v_mov_b32_e32 v106, v25 /*v281*/
	s_set_vgpr_msb 0                        ;  msbs: dst=0 src0=0 src1=0 src2=0
	s_delay_alu instid0(VALU_DEP_1) | instskip(SKIP_1) | instid1(VALU_DEP_1)
	v_pk_mul_f32 v[104:105], v[104:105], v[106:107] op_sel_hi:[1,0]
	s_set_vgpr_msb 4                        ;  msbs: dst=0 src0=0 src1=1 src2=0
	v_pk_fma_f32 v[106:107], v[112:113], v[24:25] /*v[280:281]*/, v[104:105] neg_lo:[0,0,1] neg_hi:[0,0,1]
	v_pk_fma_f32 v[104:105], v[112:113], v[24:25] /*v[280:281]*/, v[104:105] op_sel_hi:[1,0,1]
	s_delay_alu instid0(VALU_DEP_1) | instskip(SKIP_3) | instid1(VALU_DEP_2)
	v_mov_b32_e32 v107, v105
	s_wait_loadcnt_dscnt 0x101
	v_pk_mul_f32 v[104:105], v[114:115], v[26:27] /*v[282:283]*/ op_sel:[1,1] op_sel_hi:[0,1]
	s_set_vgpr_msb 0                        ;  msbs: dst=0 src0=0 src1=0 src2=0
	v_pk_add_f32 v[0:1], v[0:1], v[106:107]
	s_set_vgpr_msb 4                        ;  msbs: dst=0 src0=0 src1=1 src2=0
	s_delay_alu instid0(VALU_DEP_2) | instskip(SKIP_1) | instid1(VALU_DEP_1)
	v_pk_fma_f32 v[106:107], v[114:115], v[26:27] /*v[282:283]*/, v[104:105] neg_lo:[0,0,1] neg_hi:[0,0,1]
	v_pk_fma_f32 v[104:105], v[114:115], v[26:27] /*v[282:283]*/, v[104:105] op_sel_hi:[1,0,1]
	v_dual_mov_b32 v104, v117 :: v_dual_mov_b32 v107, v105
	v_mov_b32_e32 v105, v116
	s_set_vgpr_msb 0                        ;  msbs: dst=0 src0=0 src1=0 src2=0
	s_delay_alu instid0(VALU_DEP_2) | instskip(SKIP_3) | instid1(VALU_DEP_1)
	v_pk_add_f32 v[0:1], v[0:1], v[106:107]
	s_set_vgpr_msb 1                        ;  msbs: dst=0 src0=1 src1=0 src2=0
	v_mov_b32_e32 v106, v29 /*v285*/
	s_set_vgpr_msb 0                        ;  msbs: dst=0 src0=0 src1=0 src2=0
	v_pk_mul_f32 v[104:105], v[104:105], v[106:107] op_sel_hi:[1,0]
	s_set_vgpr_msb 4                        ;  msbs: dst=0 src0=0 src1=1 src2=0
	s_delay_alu instid0(VALU_DEP_1) | instskip(SKIP_1) | instid1(VALU_DEP_1)
	v_pk_fma_f32 v[106:107], v[116:117], v[28:29] /*v[284:285]*/, v[104:105] neg_lo:[0,0,1] neg_hi:[0,0,1]
	v_pk_fma_f32 v[104:105], v[116:117], v[28:29] /*v[284:285]*/, v[104:105] op_sel_hi:[1,0,1]
	v_mov_b32_e32 v107, v105
	s_wait_loadcnt_dscnt 0x0
	v_pk_mul_f32 v[104:105], v[118:119], v[30:31] /*v[286:287]*/ op_sel:[1,1] op_sel_hi:[0,1]
	s_set_vgpr_msb 0                        ;  msbs: dst=0 src0=0 src1=0 src2=0
	s_delay_alu instid0(VALU_DEP_2) | instskip(SKIP_1) | instid1(VALU_DEP_2)
	v_pk_add_f32 v[0:1], v[0:1], v[106:107]
	s_set_vgpr_msb 4                        ;  msbs: dst=0 src0=0 src1=1 src2=0
	v_pk_fma_f32 v[106:107], v[118:119], v[30:31] /*v[286:287]*/, v[104:105] neg_lo:[0,0,1] neg_hi:[0,0,1]
	v_pk_fma_f32 v[104:105], v[118:119], v[30:31] /*v[286:287]*/, v[104:105] op_sel_hi:[1,0,1]
	s_delay_alu instid0(VALU_DEP_1) | instskip(SKIP_2) | instid1(VALU_DEP_2)
	v_dual_mov_b32 v104, v121 :: v_dual_mov_b32 v107, v105
	v_mov_b32_e32 v105, v120
	s_set_vgpr_msb 0                        ;  msbs: dst=0 src0=0 src1=0 src2=0
	v_pk_add_f32 v[0:1], v[0:1], v[106:107]
	s_set_vgpr_msb 1                        ;  msbs: dst=0 src0=1 src1=0 src2=0
	v_mov_b32_e32 v106, v33 /*v289*/
	s_set_vgpr_msb 0                        ;  msbs: dst=0 src0=0 src1=0 src2=0
	s_delay_alu instid0(VALU_DEP_1) | instskip(SKIP_1) | instid1(VALU_DEP_1)
	v_pk_mul_f32 v[104:105], v[104:105], v[106:107] op_sel_hi:[1,0]
	s_set_vgpr_msb 4                        ;  msbs: dst=0 src0=0 src1=1 src2=0
	v_pk_fma_f32 v[106:107], v[120:121], v[32:33] /*v[288:289]*/, v[104:105] neg_lo:[0,0,1] neg_hi:[0,0,1]
	v_pk_fma_f32 v[104:105], v[120:121], v[32:33] /*v[288:289]*/, v[104:105] op_sel_hi:[1,0,1]
	s_delay_alu instid0(VALU_DEP_1) | instskip(SKIP_4) | instid1(VALU_DEP_1)
	v_mov_b32_e32 v107, v105
	scratch_load_b64 v[104:105], off, off
	s_set_vgpr_msb 0                        ;  msbs: dst=0 src0=0 src1=0 src2=0
	v_pk_add_f32 v[0:1], v[0:1], v[106:107]
	s_wait_loadcnt 0x0
	v_pk_add_f32 v[0:1], v[104:105], v[0:1] neg_lo:[0,1] neg_hi:[0,1]
	scratch_store_b64 off, v[0:1], off
	s_cbranch_vccz .LBB50_420
; %bb.320:
	s_wait_xcnt 0x0
	v_mov_b32_e32 v0, 0
	global_load_b32 v1, v0, s[2:3] offset:196
	s_wait_loadcnt 0x0
	v_cmp_ne_u32_e32 vcc_lo, 50, v1
	s_cbranch_vccz .LBB50_322
; %bb.321:
	v_lshlrev_b32_e32 v1, 3, v1
	scratch_load_b64 v[104:105], v1, off offset:-8
	scratch_load_b64 v[106:107], off, off offset:392
	s_wait_loadcnt 0x1
	scratch_store_b64 off, v[104:105], off offset:392
	s_wait_loadcnt 0x0
	scratch_store_b64 v1, v[106:107], off offset:-8
.LBB50_322:
	global_load_b32 v0, v0, s[2:3] offset:192
	s_wait_loadcnt 0x0
	v_cmp_eq_u32_e32 vcc_lo, 49, v0
	s_cbranch_vccnz .LBB50_324
; %bb.323:
	s_wait_xcnt 0x0
	v_lshlrev_b32_e32 v0, 3, v0
	s_delay_alu instid0(VALU_DEP_1)
	v_mov_b32_e32 v106, v0
	scratch_load_b64 v[0:1], v106, off offset:-8
	scratch_load_b64 v[104:105], off, off offset:384
	s_wait_loadcnt 0x1
	scratch_store_b64 off, v[0:1], off offset:384
	s_wait_loadcnt 0x0
	scratch_store_b64 v106, v[104:105], off offset:-8
.LBB50_324:
	s_wait_xcnt 0x0
	v_mov_b32_e32 v0, 0
	global_load_b32 v1, v0, s[2:3] offset:188
	s_wait_loadcnt 0x0
	v_cmp_eq_u32_e32 vcc_lo, 48, v1
	s_cbranch_vccnz .LBB50_326
; %bb.325:
	v_lshlrev_b32_e32 v1, 3, v1
	scratch_load_b64 v[104:105], v1, off offset:-8
	scratch_load_b64 v[106:107], off, off offset:376
	s_wait_loadcnt 0x1
	scratch_store_b64 off, v[104:105], off offset:376
	s_wait_loadcnt 0x0
	scratch_store_b64 v1, v[106:107], off offset:-8
.LBB50_326:
	global_load_b32 v0, v0, s[2:3] offset:184
	s_wait_loadcnt 0x0
	v_cmp_eq_u32_e32 vcc_lo, 47, v0
	s_cbranch_vccnz .LBB50_328
; %bb.327:
	s_wait_xcnt 0x0
	v_lshlrev_b32_e32 v0, 3, v0
	s_delay_alu instid0(VALU_DEP_1)
	v_mov_b32_e32 v106, v0
	scratch_load_b64 v[0:1], v106, off offset:-8
	scratch_load_b64 v[104:105], off, off offset:368
	s_wait_loadcnt 0x1
	scratch_store_b64 off, v[0:1], off offset:368
	s_wait_loadcnt 0x0
	scratch_store_b64 v106, v[104:105], off offset:-8
.LBB50_328:
	s_wait_xcnt 0x0
	v_mov_b32_e32 v0, 0
	global_load_b32 v1, v0, s[2:3] offset:180
	s_wait_loadcnt 0x0
	v_cmp_eq_u32_e32 vcc_lo, 46, v1
	s_cbranch_vccnz .LBB50_330
; %bb.329:
	v_lshlrev_b32_e32 v1, 3, v1
	scratch_load_b64 v[104:105], v1, off offset:-8
	scratch_load_b64 v[106:107], off, off offset:360
	s_wait_loadcnt 0x1
	scratch_store_b64 off, v[104:105], off offset:360
	s_wait_loadcnt 0x0
	scratch_store_b64 v1, v[106:107], off offset:-8
.LBB50_330:
	;; [unrolled: 31-line block ×24, first 2 shown]
	global_load_b32 v104, v0, s[2:3]
	scratch_load_b64 v[0:1], off, off
	s_wait_loadcnt 0x1
	v_cmp_eq_u32_e32 vcc_lo, 1, v104
	s_cbranch_vccnz .LBB50_420
; %bb.419:
	v_lshlrev_b32_e32 v104, 3, v104
	s_delay_alu instid0(VALU_DEP_1)
	v_mov_b32_e32 v106, v104
	scratch_load_b64 v[104:105], v106, off offset:-8
	s_wait_loadcnt 0x0
	scratch_store_b64 off, v[104:105], off
	scratch_store_b64 v106, v[0:1], off offset:-8
	scratch_load_b64 v[0:1], off, off
.LBB50_420:
	v_lshl_add_u64 v[104:105], v[4:5], 3, s[4:5]
	v_lshl_add_u64 v[106:107], v[8:9], 3, s[4:5]
	;; [unrolled: 1-line block ×4, first 2 shown]
	s_clause 0x18
	scratch_load_b128 v[100:103], off, off offset:8
	scratch_load_b128 v[108:111], off, off offset:24
	;; [unrolled: 1-line block ×25, first 2 shown]
	v_lshl_add_u64 v[10:11], v[10:11], 3, s[4:5]
	v_lshl_add_u64 v[12:13], v[12:13], 3, s[4:5]
	;; [unrolled: 1-line block ×45, first 2 shown]
	s_wait_loadcnt 0x19
	global_store_b64 v[2:3], v[0:1], off
	s_wait_loadcnt 0x18
	s_clause 0x1
	global_store_b64 v[6:7], v[100:101], off
	global_store_b64 v[104:105], v[102:103], off
	s_wait_loadcnt 0x17
	s_clause 0x1
	global_store_b64 v[106:107], v[108:109], off
	;; [unrolled: 4-line block ×25, first 2 shown]
	global_store_b64 v[8:9], v[202:203], off
	s_sendmsg sendmsg(MSG_DEALLOC_VGPRS)
	s_endpgm
	.section	.rodata,"a",@progbits
	.p2align	6, 0x0
	.amdhsa_kernel _ZN9rocsolver6v33100L18getri_kernel_smallILi51E19rocblas_complex_numIfEPS3_EEvT1_iilPiilS6_bb
		.amdhsa_group_segment_fixed_size 824
		.amdhsa_private_segment_fixed_size 416
		.amdhsa_kernarg_size 60
		.amdhsa_user_sgpr_count 2
		.amdhsa_user_sgpr_dispatch_ptr 0
		.amdhsa_user_sgpr_queue_ptr 0
		.amdhsa_user_sgpr_kernarg_segment_ptr 1
		.amdhsa_user_sgpr_dispatch_id 0
		.amdhsa_user_sgpr_kernarg_preload_length 0
		.amdhsa_user_sgpr_kernarg_preload_offset 0
		.amdhsa_user_sgpr_private_segment_size 0
		.amdhsa_wavefront_size32 1
		.amdhsa_uses_dynamic_stack 0
		.amdhsa_enable_private_segment 1
		.amdhsa_system_sgpr_workgroup_id_x 1
		.amdhsa_system_sgpr_workgroup_id_y 0
		.amdhsa_system_sgpr_workgroup_id_z 0
		.amdhsa_system_sgpr_workgroup_info 0
		.amdhsa_system_vgpr_workitem_id 0
		.amdhsa_next_free_vgpr 313
		.amdhsa_next_free_sgpr 19
		.amdhsa_named_barrier_count 0
		.amdhsa_reserve_vcc 1
		.amdhsa_float_round_mode_32 0
		.amdhsa_float_round_mode_16_64 0
		.amdhsa_float_denorm_mode_32 3
		.amdhsa_float_denorm_mode_16_64 3
		.amdhsa_fp16_overflow 0
		.amdhsa_memory_ordered 1
		.amdhsa_forward_progress 1
		.amdhsa_inst_pref_size 255
		.amdhsa_round_robin_scheduling 0
		.amdhsa_exception_fp_ieee_invalid_op 0
		.amdhsa_exception_fp_denorm_src 0
		.amdhsa_exception_fp_ieee_div_zero 0
		.amdhsa_exception_fp_ieee_overflow 0
		.amdhsa_exception_fp_ieee_underflow 0
		.amdhsa_exception_fp_ieee_inexact 0
		.amdhsa_exception_int_div_zero 0
	.end_amdhsa_kernel
	.section	.text._ZN9rocsolver6v33100L18getri_kernel_smallILi51E19rocblas_complex_numIfEPS3_EEvT1_iilPiilS6_bb,"axG",@progbits,_ZN9rocsolver6v33100L18getri_kernel_smallILi51E19rocblas_complex_numIfEPS3_EEvT1_iilPiilS6_bb,comdat
.Lfunc_end50:
	.size	_ZN9rocsolver6v33100L18getri_kernel_smallILi51E19rocblas_complex_numIfEPS3_EEvT1_iilPiilS6_bb, .Lfunc_end50-_ZN9rocsolver6v33100L18getri_kernel_smallILi51E19rocblas_complex_numIfEPS3_EEvT1_iilPiilS6_bb
                                        ; -- End function
	.set _ZN9rocsolver6v33100L18getri_kernel_smallILi51E19rocblas_complex_numIfEPS3_EEvT1_iilPiilS6_bb.num_vgpr, 313
	.set _ZN9rocsolver6v33100L18getri_kernel_smallILi51E19rocblas_complex_numIfEPS3_EEvT1_iilPiilS6_bb.num_agpr, 0
	.set _ZN9rocsolver6v33100L18getri_kernel_smallILi51E19rocblas_complex_numIfEPS3_EEvT1_iilPiilS6_bb.numbered_sgpr, 19
	.set _ZN9rocsolver6v33100L18getri_kernel_smallILi51E19rocblas_complex_numIfEPS3_EEvT1_iilPiilS6_bb.num_named_barrier, 0
	.set _ZN9rocsolver6v33100L18getri_kernel_smallILi51E19rocblas_complex_numIfEPS3_EEvT1_iilPiilS6_bb.private_seg_size, 416
	.set _ZN9rocsolver6v33100L18getri_kernel_smallILi51E19rocblas_complex_numIfEPS3_EEvT1_iilPiilS6_bb.uses_vcc, 1
	.set _ZN9rocsolver6v33100L18getri_kernel_smallILi51E19rocblas_complex_numIfEPS3_EEvT1_iilPiilS6_bb.uses_flat_scratch, 1
	.set _ZN9rocsolver6v33100L18getri_kernel_smallILi51E19rocblas_complex_numIfEPS3_EEvT1_iilPiilS6_bb.has_dyn_sized_stack, 0
	.set _ZN9rocsolver6v33100L18getri_kernel_smallILi51E19rocblas_complex_numIfEPS3_EEvT1_iilPiilS6_bb.has_recursion, 0
	.set _ZN9rocsolver6v33100L18getri_kernel_smallILi51E19rocblas_complex_numIfEPS3_EEvT1_iilPiilS6_bb.has_indirect_call, 0
	.section	.AMDGPU.csdata,"",@progbits
; Kernel info:
; codeLenInByte = 96680
; TotalNumSgprs: 21
; NumVgprs: 313
; ScratchSize: 416
; MemoryBound: 0
; FloatMode: 240
; IeeeMode: 1
; LDSByteSize: 824 bytes/workgroup (compile time only)
; SGPRBlocks: 0
; VGPRBlocks: 19
; NumSGPRsForWavesPerEU: 21
; NumVGPRsForWavesPerEU: 313
; NamedBarCnt: 0
; Occupancy: 3
; WaveLimiterHint : 1
; COMPUTE_PGM_RSRC2:SCRATCH_EN: 1
; COMPUTE_PGM_RSRC2:USER_SGPR: 2
; COMPUTE_PGM_RSRC2:TRAP_HANDLER: 0
; COMPUTE_PGM_RSRC2:TGID_X_EN: 1
; COMPUTE_PGM_RSRC2:TGID_Y_EN: 0
; COMPUTE_PGM_RSRC2:TGID_Z_EN: 0
; COMPUTE_PGM_RSRC2:TIDIG_COMP_CNT: 0
	.section	.text._ZN9rocsolver6v33100L18getri_kernel_smallILi52E19rocblas_complex_numIfEPS3_EEvT1_iilPiilS6_bb,"axG",@progbits,_ZN9rocsolver6v33100L18getri_kernel_smallILi52E19rocblas_complex_numIfEPS3_EEvT1_iilPiilS6_bb,comdat
	.globl	_ZN9rocsolver6v33100L18getri_kernel_smallILi52E19rocblas_complex_numIfEPS3_EEvT1_iilPiilS6_bb ; -- Begin function _ZN9rocsolver6v33100L18getri_kernel_smallILi52E19rocblas_complex_numIfEPS3_EEvT1_iilPiilS6_bb
	.p2align	8
	.type	_ZN9rocsolver6v33100L18getri_kernel_smallILi52E19rocblas_complex_numIfEPS3_EEvT1_iilPiilS6_bb,@function
_ZN9rocsolver6v33100L18getri_kernel_smallILi52E19rocblas_complex_numIfEPS3_EEvT1_iilPiilS6_bb: ; @_ZN9rocsolver6v33100L18getri_kernel_smallILi52E19rocblas_complex_numIfEPS3_EEvT1_iilPiilS6_bb
; %bb.0:
	s_mov_b32 s2, exec_lo
	v_cmpx_gt_u32_e32 52, v0
	s_cbranch_execz .LBB51_222
; %bb.1:
	s_clause 0x2
	s_load_b32 s2, s[0:1], 0x38
	s_load_b128 s[12:15], s[0:1], 0x10
	s_load_b128 s[4:7], s[0:1], 0x28
	s_getreg_b32 s9, hwreg(HW_REG_IB_STS2, 6, 4)
	s_wait_kmcnt 0x0
	s_bitcmp1_b32 s2, 8
	s_cselect_b32 s18, -1, 0
	s_bfe_u32 s3, ttmp6, 0x4000c
	s_and_b32 s8, ttmp6, 15
	s_add_co_i32 s3, s3, 1
	s_delay_alu instid0(SALU_CYCLE_1) | instskip(NEXT) | instid1(SALU_CYCLE_1)
	s_mul_i32 s3, ttmp9, s3
	s_add_co_i32 s8, s8, s3
	s_cmp_eq_u32 s9, 0
	s_cselect_b32 s16, ttmp9, s8
	s_bfe_u32 s2, s2, 0x10008
	s_ashr_i32 s17, s16, 31
	s_cmp_eq_u32 s2, 0
                                        ; implicit-def: $sgpr2_sgpr3
	s_cbranch_scc1 .LBB51_3
; %bb.2:
	s_load_b32 s2, s[0:1], 0x20
	s_mul_u64 s[4:5], s[4:5], s[16:17]
	s_delay_alu instid0(SALU_CYCLE_1) | instskip(NEXT) | instid1(SALU_CYCLE_1)
	s_lshl_b64 s[4:5], s[4:5], 2
	s_add_nc_u64 s[4:5], s[14:15], s[4:5]
	s_wait_kmcnt 0x0
	s_ashr_i32 s3, s2, 31
	s_delay_alu instid0(SALU_CYCLE_1) | instskip(NEXT) | instid1(SALU_CYCLE_1)
	s_lshl_b64 s[2:3], s[2:3], 2
	s_add_nc_u64 s[2:3], s[4:5], s[2:3]
.LBB51_3:
	s_clause 0x1
	s_load_b128 s[8:11], s[0:1], 0x0
	s_load_b32 s14, s[0:1], 0x38
	s_wait_xcnt 0x0
	s_mul_u64 s[0:1], s[12:13], s[16:17]
	v_mov_b32_e32 v107, 0
	s_lshl_b64 s[0:1], s[0:1], 3
	s_wait_kmcnt 0x0
	v_add3_u32 v4, s11, s11, v0
	s_ashr_i32 s5, s10, 31
	s_mov_b32 s4, s10
	s_add_nc_u64 s[0:1], s[8:9], s[0:1]
	s_lshl_b64 s[4:5], s[4:5], 3
	v_add_nc_u32_e32 v8, s11, v4
	s_add_nc_u64 s[4:5], s[0:1], s[4:5]
	s_ashr_i32 s1, s11, 31
	s_mov_b32 s0, s11
	s_bitcmp0_b32 s14, 0
	v_add_nc_u32_e32 v10, s11, v8
	s_delay_alu instid0(VALU_DEP_1) | instskip(NEXT) | instid1(VALU_DEP_1)
	v_add_nc_u32_e32 v12, s11, v10
	v_add_nc_u32_e32 v14, s11, v12
	s_delay_alu instid0(VALU_DEP_1) | instskip(NEXT) | instid1(VALU_DEP_1)
	v_add_nc_u32_e32 v16, s11, v14
	;; [unrolled: 3-line block ×16, first 2 shown]
	v_add_nc_u32_e32 v74, s11, v72
	s_delay_alu instid0(VALU_DEP_1) | instskip(NEXT) | instid1(VALU_DEP_1)
	v_dual_lshlrev_b32 v106, 3, v0 :: v_dual_add_nc_u32 v76, s11, v74
	v_add_nc_u64_e32 v[2:3], s[4:5], v[106:107]
	s_delay_alu instid0(VALU_DEP_2) | instskip(NEXT) | instid1(VALU_DEP_2)
	v_add_nc_u32_e32 v78, s11, v76
	v_lshl_add_u64 v[6:7], s[0:1], 3, v[2:3]
	s_mov_b32 s1, -1
	s_delay_alu instid0(VALU_DEP_2)
	v_add_nc_u32_e32 v80, s11, v78
	s_clause 0x9
	global_load_b64 v[108:109], v0, s[4:5] scale_offset
	global_load_b64 v[110:111], v[6:7], off
	global_load_b64 v[112:113], v4, s[4:5] scale_offset
	global_load_b64 v[114:115], v8, s[4:5] scale_offset
	;; [unrolled: 1-line block ×8, first 2 shown]
	v_add_nc_u32_e32 v82, s11, v80
	s_clause 0xf
	global_load_b64 v[128:129], v22, s[4:5] scale_offset
	global_load_b64 v[130:131], v24, s[4:5] scale_offset
	;; [unrolled: 1-line block ×16, first 2 shown]
	v_add_nc_u32_e32 v84, s11, v82
	s_clause 0xb
	global_load_b64 v[160:161], v54, s[4:5] scale_offset
	global_load_b64 v[162:163], v56, s[4:5] scale_offset
	;; [unrolled: 1-line block ×12, first 2 shown]
	v_add_nc_u32_e32 v86, s11, v84
	s_delay_alu instid0(VALU_DEP_1)
	v_add_nc_u32_e32 v88, s11, v86
	s_clause 0x3
	global_load_b64 v[184:185], v78, s[4:5] scale_offset
	global_load_b64 v[186:187], v80, s[4:5] scale_offset
	;; [unrolled: 1-line block ×4, first 2 shown]
	v_add_nc_u32_e32 v90, s11, v88
	s_delay_alu instid0(VALU_DEP_1) | instskip(NEXT) | instid1(VALU_DEP_1)
	v_add_nc_u32_e32 v92, s11, v90
	v_add_nc_u32_e32 v94, s11, v92
	s_delay_alu instid0(VALU_DEP_1)
	v_add_nc_u32_e32 v96, s11, v94
	s_clause 0x3
	global_load_b64 v[192:193], v86, s[4:5] scale_offset
	global_load_b64 v[194:195], v88, s[4:5] scale_offset
	;; [unrolled: 1-line block ×4, first 2 shown]
	v_add_nc_u32_e32 v98, s11, v96
	s_delay_alu instid0(VALU_DEP_1) | instskip(NEXT) | instid1(VALU_DEP_1)
	v_add_nc_u32_e32 v100, s11, v98
	v_add_nc_u32_e32 v102, s11, v100
	s_delay_alu instid0(VALU_DEP_1)
	v_add_nc_u32_e32 v104, s11, v102
	s_clause 0x5
	global_load_b64 v[200:201], v94, s[4:5] scale_offset
	global_load_b64 v[202:203], v96, s[4:5] scale_offset
	;; [unrolled: 1-line block ×6, first 2 shown]
	s_wait_loadcnt 0x32
	scratch_store_b128 off, v[108:111], off
	s_wait_loadcnt 0x30
	scratch_store_b128 off, v[112:115], off offset:16
	s_wait_loadcnt 0x2e
	scratch_store_b128 off, v[116:119], off offset:32
	;; [unrolled: 2-line block ×25, first 2 shown]
	s_cbranch_scc1 .LBB51_220
; %bb.4:
	v_cmp_eq_u32_e64 s0, 0, v0
	s_wait_xcnt 0x0
	s_and_saveexec_b32 s1, s0
; %bb.5:
	v_mov_b32_e32 v1, 0
	ds_store_b32 v1, v1 offset:832
; %bb.6:
	s_or_b32 exec_lo, exec_lo, s1
	s_wait_storecnt_dscnt 0x0
	s_barrier_signal -1
	s_barrier_wait -1
	scratch_load_b64 v[108:109], v0, off scale_offset
	s_wait_loadcnt 0x0
	v_cmp_eq_f32_e32 vcc_lo, 0, v108
	v_cmp_eq_f32_e64 s1, 0, v109
	s_and_b32 s1, vcc_lo, s1
	s_delay_alu instid0(SALU_CYCLE_1)
	s_and_saveexec_b32 s8, s1
	s_cbranch_execz .LBB51_10
; %bb.7:
	v_mov_b32_e32 v1, 0
	s_mov_b32 s9, 0
	ds_load_b32 v5, v1 offset:832
	s_wait_dscnt 0x0
	v_readfirstlane_b32 s1, v5
	v_add_nc_u32_e32 v5, 1, v0
	s_cmp_eq_u32 s1, 0
	s_delay_alu instid0(VALU_DEP_1) | instskip(SKIP_1) | instid1(SALU_CYCLE_1)
	v_cmp_gt_i32_e32 vcc_lo, s1, v5
	s_cselect_b32 s10, -1, 0
	s_or_b32 s10, s10, vcc_lo
	s_delay_alu instid0(SALU_CYCLE_1)
	s_and_b32 exec_lo, exec_lo, s10
	s_cbranch_execz .LBB51_10
; %bb.8:
	v_mov_b32_e32 v9, s1
.LBB51_9:                               ; =>This Inner Loop Header: Depth=1
	ds_cmpstore_rtn_b32 v9, v1, v5, v9 offset:832
	s_wait_dscnt 0x0
	v_cmp_ne_u32_e32 vcc_lo, 0, v9
	v_cmp_le_i32_e64 s1, v9, v5
	s_and_b32 s1, vcc_lo, s1
	s_delay_alu instid0(SALU_CYCLE_1) | instskip(NEXT) | instid1(SALU_CYCLE_1)
	s_and_b32 s1, exec_lo, s1
	s_or_b32 s9, s1, s9
	s_delay_alu instid0(SALU_CYCLE_1)
	s_and_not1_b32 exec_lo, exec_lo, s9
	s_cbranch_execnz .LBB51_9
.LBB51_10:
	s_or_b32 exec_lo, exec_lo, s8
	v_mov_b32_e32 v1, 0
	s_barrier_signal -1
	s_barrier_wait -1
	ds_load_b32 v5, v1 offset:832
	s_and_saveexec_b32 s1, s0
	s_cbranch_execz .LBB51_12
; %bb.11:
	s_lshl_b64 s[8:9], s[16:17], 2
	s_delay_alu instid0(SALU_CYCLE_1)
	s_add_nc_u64 s[8:9], s[6:7], s[8:9]
	s_wait_dscnt 0x0
	global_store_b32 v1, v5, s[8:9]
.LBB51_12:
	s_wait_xcnt 0x0
	s_or_b32 exec_lo, exec_lo, s1
	s_wait_dscnt 0x0
	v_cmp_ne_u32_e32 vcc_lo, 0, v5
	s_mov_b32 s1, 0
	s_cbranch_vccnz .LBB51_220
; %bb.13:
	v_lshl_add_u32 v5, v0, 3, 0
                                        ; implicit-def: $vgpr111
                                        ; implicit-def: $vgpr112
	scratch_load_b64 v[108:109], v5, off
	s_wait_loadcnt 0x0
	v_cmp_ngt_f32_e64 s1, |v108|, |v109|
	s_wait_xcnt 0x0
	s_and_saveexec_b32 s8, s1
	s_delay_alu instid0(SALU_CYCLE_1)
	s_xor_b32 s1, exec_lo, s8
	s_cbranch_execz .LBB51_15
; %bb.14:
	v_div_scale_f32 v1, null, v109, v109, v108
	v_div_scale_f32 v13, vcc_lo, v108, v109, v108
	s_delay_alu instid0(VALU_DEP_2) | instskip(SKIP_1) | instid1(TRANS32_DEP_1)
	v_rcp_f32_e32 v9, v1
	v_nop
	v_fma_f32 v11, -v1, v9, 1.0
	s_delay_alu instid0(VALU_DEP_1) | instskip(NEXT) | instid1(VALU_DEP_1)
	v_fmac_f32_e32 v9, v11, v9
	v_mul_f32_e32 v11, v13, v9
	s_delay_alu instid0(VALU_DEP_1) | instskip(NEXT) | instid1(VALU_DEP_1)
	v_fma_f32 v15, -v1, v11, v13
	v_fmac_f32_e32 v11, v15, v9
	s_delay_alu instid0(VALU_DEP_1) | instskip(NEXT) | instid1(VALU_DEP_1)
	v_fma_f32 v1, -v1, v11, v13
	v_div_fmas_f32 v1, v1, v9, v11
	s_delay_alu instid0(VALU_DEP_1) | instskip(NEXT) | instid1(VALU_DEP_1)
	v_div_fixup_f32 v1, v1, v109, v108
	v_fmac_f32_e32 v109, v108, v1
	s_delay_alu instid0(VALU_DEP_1) | instskip(NEXT) | instid1(VALU_DEP_1)
	v_div_scale_f32 v9, null, v109, v109, -1.0
	v_rcp_f32_e32 v11, v9
	v_nop
	s_delay_alu instid0(TRANS32_DEP_1) | instskip(NEXT) | instid1(VALU_DEP_1)
	v_fma_f32 v13, -v9, v11, 1.0
	v_fmac_f32_e32 v11, v13, v11
	v_div_scale_f32 v13, vcc_lo, -1.0, v109, -1.0
	s_delay_alu instid0(VALU_DEP_1) | instskip(NEXT) | instid1(VALU_DEP_1)
	v_mul_f32_e32 v15, v13, v11
	v_fma_f32 v17, -v9, v15, v13
	s_delay_alu instid0(VALU_DEP_1) | instskip(NEXT) | instid1(VALU_DEP_1)
	v_fmac_f32_e32 v15, v17, v11
	v_fma_f32 v9, -v9, v15, v13
	s_delay_alu instid0(VALU_DEP_1) | instskip(NEXT) | instid1(VALU_DEP_1)
	v_div_fmas_f32 v9, v9, v11, v15
	v_div_fixup_f32 v111, v9, v109, -1.0
                                        ; implicit-def: $vgpr108_vgpr109
	s_delay_alu instid0(VALU_DEP_1) | instskip(NEXT) | instid1(VALU_DEP_1)
	v_mul_f32_e32 v112, v1, v111
	v_xor_b32_e32 v110, 0x80000000, v112
.LBB51_15:
	s_and_not1_saveexec_b32 s1, s1
	s_cbranch_execz .LBB51_17
; %bb.16:
	v_div_scale_f32 v1, null, v108, v108, v109
	v_div_scale_f32 v13, vcc_lo, v109, v108, v109
	s_delay_alu instid0(VALU_DEP_2) | instskip(SKIP_1) | instid1(TRANS32_DEP_1)
	v_rcp_f32_e32 v9, v1
	v_nop
	v_fma_f32 v11, -v1, v9, 1.0
	s_delay_alu instid0(VALU_DEP_1) | instskip(NEXT) | instid1(VALU_DEP_1)
	v_fmac_f32_e32 v9, v11, v9
	v_mul_f32_e32 v11, v13, v9
	s_delay_alu instid0(VALU_DEP_1) | instskip(NEXT) | instid1(VALU_DEP_1)
	v_fma_f32 v15, -v1, v11, v13
	v_fmac_f32_e32 v11, v15, v9
	s_delay_alu instid0(VALU_DEP_1) | instskip(NEXT) | instid1(VALU_DEP_1)
	v_fma_f32 v1, -v1, v11, v13
	v_div_fmas_f32 v1, v1, v9, v11
	s_delay_alu instid0(VALU_DEP_1) | instskip(NEXT) | instid1(VALU_DEP_1)
	v_div_fixup_f32 v1, v1, v108, v109
	v_fmac_f32_e32 v108, v109, v1
	s_delay_alu instid0(VALU_DEP_1) | instskip(SKIP_1) | instid1(VALU_DEP_2)
	v_div_scale_f32 v9, null, v108, v108, 1.0
	v_div_scale_f32 v15, vcc_lo, 1.0, v108, 1.0
	v_rcp_f32_e32 v11, v9
	v_nop
	s_delay_alu instid0(TRANS32_DEP_1) | instskip(NEXT) | instid1(VALU_DEP_1)
	v_fma_f32 v13, -v9, v11, 1.0
	v_fmac_f32_e32 v11, v13, v11
	s_delay_alu instid0(VALU_DEP_1) | instskip(NEXT) | instid1(VALU_DEP_1)
	v_mul_f32_e32 v13, v15, v11
	v_fma_f32 v17, -v9, v13, v15
	s_delay_alu instid0(VALU_DEP_1) | instskip(NEXT) | instid1(VALU_DEP_1)
	v_fmac_f32_e32 v13, v17, v11
	v_fma_f32 v9, -v9, v13, v15
	s_delay_alu instid0(VALU_DEP_1) | instskip(NEXT) | instid1(VALU_DEP_1)
	v_div_fmas_f32 v9, v9, v11, v13
	v_div_fixup_f32 v110, v9, v108, 1.0
	s_delay_alu instid0(VALU_DEP_1)
	v_xor_b32_e32 v112, 0x80000000, v110
	v_mul_f32_e64 v111, v1, -v110
.LBB51_17:
	s_or_b32 exec_lo, exec_lo, s1
	scratch_store_b64 v5, v[110:111], off
	scratch_load_b64 v[108:109], off, off offset:8
	v_xor_b32_e32 v113, 0x80000000, v111
	v_add_nc_u32_e32 v1, 0x1a0, v106
	s_wait_loadcnt 0x0
	ds_store_2addr_b64 v106, v[112:113], v[108:109] offset1:52
	s_wait_storecnt_dscnt 0x0
	s_barrier_signal -1
	s_barrier_wait -1
	s_wait_xcnt 0x0
	s_and_saveexec_b32 s1, s0
	s_cbranch_execz .LBB51_19
; %bb.18:
	scratch_load_b64 v[108:109], v5, off
	ds_load_b64 v[110:111], v1
	s_wait_loadcnt_dscnt 0x0
	v_pk_mul_f32 v[114:115], v[110:111], v[108:109] op_sel:[1,1] op_sel_hi:[0,1]
	s_delay_alu instid0(VALU_DEP_1) | instskip(SKIP_2) | instid1(VALU_DEP_3)
	v_pk_fma_f32 v[116:117], v[110:111], v[108:109], v[114:115] op_sel_hi:[1,0,1]
	v_mov_b32_e32 v9, 0
	v_pk_fma_f32 v[108:109], v[110:111], v[108:109], v[114:115] neg_lo:[0,0,1] neg_hi:[0,0,1]
	v_mov_b32_e32 v109, v117
	ds_load_b64 v[112:113], v9 offset:8
	v_pk_add_f32 v[108:109], v[108:109], 0 op_sel_hi:[1,0]
	s_wait_dscnt 0x0
	s_delay_alu instid0(VALU_DEP_1) | instskip(NEXT) | instid1(VALU_DEP_1)
	v_pk_mul_f32 v[110:111], v[108:109], v[112:113] op_sel:[1,1] op_sel_hi:[0,1]
	v_pk_fma_f32 v[114:115], v[108:109], v[112:113], v[110:111] op_sel_hi:[1,0,1]
	v_pk_fma_f32 v[108:109], v[108:109], v[112:113], v[110:111] neg_lo:[0,0,1] neg_hi:[0,0,1]
	s_delay_alu instid0(VALU_DEP_2)
	v_mov_b32_e32 v109, v115
	scratch_store_b64 off, v[108:109], off offset:8
.LBB51_19:
	s_wait_xcnt 0x0
	s_or_b32 exec_lo, exec_lo, s1
	s_wait_storecnt 0x0
	s_barrier_signal -1
	s_barrier_wait -1
	scratch_load_b64 v[108:109], off, off offset:16
	s_mov_b32 s1, exec_lo
	s_wait_loadcnt 0x0
	ds_store_b64 v1, v[108:109]
	s_wait_dscnt 0x0
	s_barrier_signal -1
	s_barrier_wait -1
	v_cmpx_gt_u32_e32 2, v0
	s_cbranch_execz .LBB51_23
; %bb.20:
	scratch_load_b64 v[108:109], v5, off
	ds_load_b64 v[110:111], v1
	s_wait_loadcnt_dscnt 0x0
	v_pk_mul_f32 v[112:113], v[110:111], v[108:109] op_sel:[1,1] op_sel_hi:[0,1]
	s_delay_alu instid0(VALU_DEP_1) | instskip(SKIP_1) | instid1(VALU_DEP_2)
	v_pk_fma_f32 v[114:115], v[110:111], v[108:109], v[112:113] op_sel_hi:[1,0,1]
	v_pk_fma_f32 v[108:109], v[110:111], v[108:109], v[112:113] neg_lo:[0,0,1] neg_hi:[0,0,1]
	v_mov_b32_e32 v109, v115
	s_delay_alu instid0(VALU_DEP_1)
	v_pk_add_f32 v[108:109], v[108:109], 0 op_sel_hi:[1,0]
	s_and_saveexec_b32 s8, s0
	s_cbranch_execz .LBB51_22
; %bb.21:
	scratch_load_b64 v[110:111], off, off offset:8
	v_mov_b32_e32 v5, 0
	ds_load_b64 v[112:113], v5 offset:424
	s_wait_loadcnt_dscnt 0x0
	v_pk_mul_f32 v[114:115], v[112:113], v[110:111] op_sel:[1,1] op_sel_hi:[0,1]
	s_delay_alu instid0(VALU_DEP_1) | instskip(SKIP_1) | instid1(VALU_DEP_2)
	v_pk_fma_f32 v[116:117], v[112:113], v[110:111], v[114:115] op_sel_hi:[1,0,1]
	v_pk_fma_f32 v[110:111], v[112:113], v[110:111], v[114:115] neg_lo:[0,0,1] neg_hi:[0,0,1]
	v_mov_b32_e32 v111, v117
	s_delay_alu instid0(VALU_DEP_1)
	v_pk_add_f32 v[108:109], v[108:109], v[110:111]
.LBB51_22:
	s_or_b32 exec_lo, exec_lo, s8
	v_mov_b32_e32 v5, 0
	ds_load_b64 v[110:111], v5 offset:16
	s_wait_dscnt 0x0
	v_pk_mul_f32 v[112:113], v[108:109], v[110:111] op_sel:[1,1] op_sel_hi:[0,1]
	s_delay_alu instid0(VALU_DEP_1) | instskip(SKIP_1) | instid1(VALU_DEP_2)
	v_pk_fma_f32 v[114:115], v[108:109], v[110:111], v[112:113] op_sel_hi:[1,0,1]
	v_pk_fma_f32 v[108:109], v[108:109], v[110:111], v[112:113] neg_lo:[0,0,1] neg_hi:[0,0,1]
	v_mov_b32_e32 v109, v115
	scratch_store_b64 off, v[108:109], off offset:16
.LBB51_23:
	s_wait_xcnt 0x0
	s_or_b32 exec_lo, exec_lo, s1
	s_wait_storecnt 0x0
	s_barrier_signal -1
	s_barrier_wait -1
	scratch_load_b64 v[108:109], off, off offset:24
	v_add_nc_u32_e32 v5, -1, v0
	s_mov_b32 s0, exec_lo
	s_wait_loadcnt 0x0
	ds_store_b64 v1, v[108:109]
	s_wait_dscnt 0x0
	s_barrier_signal -1
	s_barrier_wait -1
	v_cmpx_gt_u32_e32 3, v0
	s_cbranch_execz .LBB51_27
; %bb.24:
	v_dual_mov_b32 v108, 0 :: v_dual_add_nc_u32 v9, -1, v0
	v_add_nc_u32_e32 v11, 0x1a0, v106
	v_mov_b32_e32 v13, v106
	s_mov_b32 s1, 0
	s_delay_alu instid0(VALU_DEP_3)
	v_mov_b32_e32 v109, v108
.LBB51_25:                              ; =>This Inner Loop Header: Depth=1
	scratch_load_b64 v[110:111], v13, off
	ds_load_b64 v[112:113], v11
	s_wait_xcnt 0x0
	v_dual_add_nc_u32 v11, 8, v11 :: v_dual_add_nc_u32 v13, 8, v13
	s_wait_loadcnt_dscnt 0x0
	v_pk_mul_f32 v[114:115], v[112:113], v[110:111] op_sel:[1,1] op_sel_hi:[0,1]
	s_delay_alu instid0(VALU_DEP_1) | instskip(SKIP_2) | instid1(VALU_DEP_3)
	v_pk_fma_f32 v[116:117], v[112:113], v[110:111], v[114:115] op_sel_hi:[1,0,1]
	v_add_nc_u32_e32 v9, 1, v9
	v_pk_fma_f32 v[110:111], v[112:113], v[110:111], v[114:115] neg_lo:[0,0,1] neg_hi:[0,0,1]
	v_mov_b32_e32 v111, v117
	s_delay_alu instid0(VALU_DEP_3) | instskip(NEXT) | instid1(VALU_DEP_2)
	v_cmp_lt_u32_e32 vcc_lo, 1, v9
	v_pk_add_f32 v[108:109], v[108:109], v[110:111]
	s_or_b32 s1, vcc_lo, s1
	s_delay_alu instid0(SALU_CYCLE_1)
	s_and_not1_b32 exec_lo, exec_lo, s1
	s_cbranch_execnz .LBB51_25
; %bb.26:
	s_or_b32 exec_lo, exec_lo, s1
	v_mov_b32_e32 v9, 0
	ds_load_b64 v[110:111], v9 offset:24
	s_wait_dscnt 0x0
	v_pk_mul_f32 v[112:113], v[108:109], v[110:111] op_sel:[1,1] op_sel_hi:[0,1]
	s_delay_alu instid0(VALU_DEP_1) | instskip(SKIP_1) | instid1(VALU_DEP_2)
	v_pk_fma_f32 v[114:115], v[108:109], v[110:111], v[112:113] op_sel_hi:[1,0,1]
	v_pk_fma_f32 v[108:109], v[108:109], v[110:111], v[112:113] neg_lo:[0,0,1] neg_hi:[0,0,1]
	v_mov_b32_e32 v109, v115
	scratch_store_b64 off, v[108:109], off offset:24
.LBB51_27:
	s_wait_xcnt 0x0
	s_or_b32 exec_lo, exec_lo, s0
	s_wait_storecnt 0x0
	s_barrier_signal -1
	s_barrier_wait -1
	scratch_load_b64 v[108:109], off, off offset:32
	s_mov_b32 s0, exec_lo
	s_wait_loadcnt 0x0
	ds_store_b64 v1, v[108:109]
	s_wait_dscnt 0x0
	s_barrier_signal -1
	s_barrier_wait -1
	v_cmpx_gt_u32_e32 4, v0
	s_cbranch_execz .LBB51_31
; %bb.28:
	v_dual_mov_b32 v108, 0 :: v_dual_add_nc_u32 v9, -1, v0
	v_add_nc_u32_e32 v11, 0x1a0, v106
	v_mov_b32_e32 v13, v106
	s_mov_b32 s1, 0
	s_delay_alu instid0(VALU_DEP_3)
	v_mov_b32_e32 v109, v108
.LBB51_29:                              ; =>This Inner Loop Header: Depth=1
	scratch_load_b64 v[110:111], v13, off
	ds_load_b64 v[112:113], v11
	s_wait_xcnt 0x0
	v_dual_add_nc_u32 v11, 8, v11 :: v_dual_add_nc_u32 v13, 8, v13
	s_wait_loadcnt_dscnt 0x0
	v_pk_mul_f32 v[114:115], v[112:113], v[110:111] op_sel:[1,1] op_sel_hi:[0,1]
	s_delay_alu instid0(VALU_DEP_1) | instskip(SKIP_2) | instid1(VALU_DEP_3)
	v_pk_fma_f32 v[116:117], v[112:113], v[110:111], v[114:115] op_sel_hi:[1,0,1]
	v_add_nc_u32_e32 v9, 1, v9
	v_pk_fma_f32 v[110:111], v[112:113], v[110:111], v[114:115] neg_lo:[0,0,1] neg_hi:[0,0,1]
	v_mov_b32_e32 v111, v117
	s_delay_alu instid0(VALU_DEP_3) | instskip(NEXT) | instid1(VALU_DEP_2)
	v_cmp_lt_u32_e32 vcc_lo, 2, v9
	v_pk_add_f32 v[108:109], v[108:109], v[110:111]
	s_or_b32 s1, vcc_lo, s1
	s_delay_alu instid0(SALU_CYCLE_1)
	s_and_not1_b32 exec_lo, exec_lo, s1
	s_cbranch_execnz .LBB51_29
; %bb.30:
	s_or_b32 exec_lo, exec_lo, s1
	v_mov_b32_e32 v9, 0
	ds_load_b64 v[110:111], v9 offset:32
	s_wait_dscnt 0x0
	v_pk_mul_f32 v[112:113], v[108:109], v[110:111] op_sel:[1,1] op_sel_hi:[0,1]
	s_delay_alu instid0(VALU_DEP_1) | instskip(SKIP_1) | instid1(VALU_DEP_2)
	v_pk_fma_f32 v[114:115], v[108:109], v[110:111], v[112:113] op_sel_hi:[1,0,1]
	v_pk_fma_f32 v[108:109], v[108:109], v[110:111], v[112:113] neg_lo:[0,0,1] neg_hi:[0,0,1]
	v_mov_b32_e32 v109, v115
	scratch_store_b64 off, v[108:109], off offset:32
.LBB51_31:
	s_wait_xcnt 0x0
	s_or_b32 exec_lo, exec_lo, s0
	s_wait_storecnt 0x0
	s_barrier_signal -1
	s_barrier_wait -1
	scratch_load_b64 v[108:109], off, off offset:40
	;; [unrolled: 52-line block ×19, first 2 shown]
	s_mov_b32 s0, exec_lo
	s_wait_loadcnt 0x0
	ds_store_b64 v1, v[108:109]
	s_wait_dscnt 0x0
	s_barrier_signal -1
	s_barrier_wait -1
	v_cmpx_gt_u32_e32 22, v0
	s_cbranch_execz .LBB51_103
; %bb.100:
	v_dual_mov_b32 v108, 0 :: v_dual_add_nc_u32 v9, -1, v0
	v_add_nc_u32_e32 v11, 0x1a0, v106
	v_mov_b32_e32 v13, v106
	s_mov_b32 s1, 0
	s_delay_alu instid0(VALU_DEP_3)
	v_mov_b32_e32 v109, v108
.LBB51_101:                             ; =>This Inner Loop Header: Depth=1
	scratch_load_b64 v[110:111], v13, off
	ds_load_b64 v[112:113], v11
	s_wait_xcnt 0x0
	v_dual_add_nc_u32 v11, 8, v11 :: v_dual_add_nc_u32 v13, 8, v13
	s_wait_loadcnt_dscnt 0x0
	v_pk_mul_f32 v[114:115], v[112:113], v[110:111] op_sel:[1,1] op_sel_hi:[0,1]
	s_delay_alu instid0(VALU_DEP_1) | instskip(SKIP_2) | instid1(VALU_DEP_3)
	v_pk_fma_f32 v[116:117], v[112:113], v[110:111], v[114:115] op_sel_hi:[1,0,1]
	v_add_nc_u32_e32 v9, 1, v9
	v_pk_fma_f32 v[110:111], v[112:113], v[110:111], v[114:115] neg_lo:[0,0,1] neg_hi:[0,0,1]
	v_mov_b32_e32 v111, v117
	s_delay_alu instid0(VALU_DEP_3) | instskip(NEXT) | instid1(VALU_DEP_2)
	v_cmp_lt_u32_e32 vcc_lo, 20, v9
	v_pk_add_f32 v[108:109], v[108:109], v[110:111]
	s_or_b32 s1, vcc_lo, s1
	s_delay_alu instid0(SALU_CYCLE_1)
	s_and_not1_b32 exec_lo, exec_lo, s1
	s_cbranch_execnz .LBB51_101
; %bb.102:
	s_or_b32 exec_lo, exec_lo, s1
	v_mov_b32_e32 v9, 0
	ds_load_b64 v[110:111], v9 offset:176
	s_wait_dscnt 0x0
	v_pk_mul_f32 v[112:113], v[108:109], v[110:111] op_sel:[1,1] op_sel_hi:[0,1]
	s_delay_alu instid0(VALU_DEP_1) | instskip(SKIP_1) | instid1(VALU_DEP_2)
	v_pk_fma_f32 v[114:115], v[108:109], v[110:111], v[112:113] op_sel_hi:[1,0,1]
	v_pk_fma_f32 v[108:109], v[108:109], v[110:111], v[112:113] neg_lo:[0,0,1] neg_hi:[0,0,1]
	v_mov_b32_e32 v109, v115
	scratch_store_b64 off, v[108:109], off offset:176
.LBB51_103:
	s_wait_xcnt 0x0
	s_or_b32 exec_lo, exec_lo, s0
	s_wait_storecnt 0x0
	s_barrier_signal -1
	s_barrier_wait -1
	scratch_load_b64 v[108:109], off, off offset:184
	s_mov_b32 s0, exec_lo
	s_wait_loadcnt 0x0
	ds_store_b64 v1, v[108:109]
	s_wait_dscnt 0x0
	s_barrier_signal -1
	s_barrier_wait -1
	v_cmpx_gt_u32_e32 23, v0
	s_cbranch_execz .LBB51_107
; %bb.104:
	v_dual_mov_b32 v108, 0 :: v_dual_add_nc_u32 v9, -1, v0
	v_add_nc_u32_e32 v11, 0x1a0, v106
	v_mov_b32_e32 v13, v106
	s_mov_b32 s1, 0
	s_delay_alu instid0(VALU_DEP_3)
	v_mov_b32_e32 v109, v108
.LBB51_105:                             ; =>This Inner Loop Header: Depth=1
	scratch_load_b64 v[110:111], v13, off
	ds_load_b64 v[112:113], v11
	s_wait_xcnt 0x0
	v_dual_add_nc_u32 v11, 8, v11 :: v_dual_add_nc_u32 v13, 8, v13
	s_wait_loadcnt_dscnt 0x0
	v_pk_mul_f32 v[114:115], v[112:113], v[110:111] op_sel:[1,1] op_sel_hi:[0,1]
	s_delay_alu instid0(VALU_DEP_1) | instskip(SKIP_2) | instid1(VALU_DEP_3)
	v_pk_fma_f32 v[116:117], v[112:113], v[110:111], v[114:115] op_sel_hi:[1,0,1]
	v_add_nc_u32_e32 v9, 1, v9
	v_pk_fma_f32 v[110:111], v[112:113], v[110:111], v[114:115] neg_lo:[0,0,1] neg_hi:[0,0,1]
	v_mov_b32_e32 v111, v117
	s_delay_alu instid0(VALU_DEP_3) | instskip(NEXT) | instid1(VALU_DEP_2)
	v_cmp_lt_u32_e32 vcc_lo, 21, v9
	v_pk_add_f32 v[108:109], v[108:109], v[110:111]
	s_or_b32 s1, vcc_lo, s1
	s_delay_alu instid0(SALU_CYCLE_1)
	s_and_not1_b32 exec_lo, exec_lo, s1
	s_cbranch_execnz .LBB51_105
; %bb.106:
	s_or_b32 exec_lo, exec_lo, s1
	v_mov_b32_e32 v9, 0
	ds_load_b64 v[110:111], v9 offset:184
	s_wait_dscnt 0x0
	v_pk_mul_f32 v[112:113], v[108:109], v[110:111] op_sel:[1,1] op_sel_hi:[0,1]
	s_delay_alu instid0(VALU_DEP_1) | instskip(SKIP_1) | instid1(VALU_DEP_2)
	v_pk_fma_f32 v[114:115], v[108:109], v[110:111], v[112:113] op_sel_hi:[1,0,1]
	v_pk_fma_f32 v[108:109], v[108:109], v[110:111], v[112:113] neg_lo:[0,0,1] neg_hi:[0,0,1]
	v_mov_b32_e32 v109, v115
	scratch_store_b64 off, v[108:109], off offset:184
.LBB51_107:
	s_wait_xcnt 0x0
	s_or_b32 exec_lo, exec_lo, s0
	s_wait_storecnt 0x0
	s_barrier_signal -1
	s_barrier_wait -1
	scratch_load_b64 v[108:109], off, off offset:192
	;; [unrolled: 52-line block ×29, first 2 shown]
	s_mov_b32 s0, exec_lo
	s_wait_loadcnt 0x0
	ds_store_b64 v1, v[108:109]
	s_wait_dscnt 0x0
	s_barrier_signal -1
	s_barrier_wait -1
	v_cmpx_ne_u32_e32 51, v0
	s_cbranch_execz .LBB51_219
; %bb.216:
	v_dual_mov_b32 v108, 0 :: v_dual_mov_b32 v9, v106
	s_mov_b32 s1, 0
	s_delay_alu instid0(VALU_DEP_1)
	v_mov_b32_e32 v109, v108
.LBB51_217:                             ; =>This Inner Loop Header: Depth=1
	scratch_load_b64 v[106:107], v9, off
	ds_load_b64 v[110:111], v1
	v_add_nc_u32_e32 v1, 8, v1
	s_wait_xcnt 0x0
	v_add_nc_u32_e32 v9, 8, v9
	s_wait_loadcnt_dscnt 0x0
	v_pk_mul_f32 v[112:113], v[110:111], v[106:107] op_sel:[1,1] op_sel_hi:[0,1]
	s_delay_alu instid0(VALU_DEP_1) | instskip(SKIP_2) | instid1(VALU_DEP_3)
	v_pk_fma_f32 v[114:115], v[110:111], v[106:107], v[112:113] op_sel_hi:[1,0,1]
	v_add_nc_u32_e32 v5, 1, v5
	v_pk_fma_f32 v[106:107], v[110:111], v[106:107], v[112:113] neg_lo:[0,0,1] neg_hi:[0,0,1]
	v_mov_b32_e32 v107, v115
	s_delay_alu instid0(VALU_DEP_3) | instskip(NEXT) | instid1(VALU_DEP_2)
	v_cmp_lt_u32_e32 vcc_lo, 49, v5
	v_pk_add_f32 v[108:109], v[108:109], v[106:107]
	s_or_b32 s1, vcc_lo, s1
	s_delay_alu instid0(SALU_CYCLE_1)
	s_and_not1_b32 exec_lo, exec_lo, s1
	s_cbranch_execnz .LBB51_217
; %bb.218:
	s_or_b32 exec_lo, exec_lo, s1
	v_mov_b32_e32 v1, 0
	ds_load_b64 v[106:107], v1 offset:408
	s_wait_dscnt 0x0
	v_pk_mul_f32 v[110:111], v[108:109], v[106:107] op_sel:[1,1] op_sel_hi:[0,1]
	s_delay_alu instid0(VALU_DEP_1) | instskip(SKIP_1) | instid1(VALU_DEP_2)
	v_pk_fma_f32 v[112:113], v[108:109], v[106:107], v[110:111] op_sel_hi:[1,0,1]
	v_pk_fma_f32 v[106:107], v[108:109], v[106:107], v[110:111] neg_lo:[0,0,1] neg_hi:[0,0,1]
	v_mov_b32_e32 v107, v113
	scratch_store_b64 off, v[106:107], off offset:408
.LBB51_219:
	s_wait_xcnt 0x0
	s_or_b32 exec_lo, exec_lo, s0
	s_mov_b32 s1, -1
	s_wait_storecnt 0x0
	s_barrier_signal -1
	s_barrier_wait -1
.LBB51_220:
	s_and_b32 vcc_lo, exec_lo, s1
	s_cbranch_vccz .LBB51_222
; %bb.221:
	v_mov_b32_e32 v1, 0
	s_lshl_b64 s[0:1], s[16:17], 2
	s_delay_alu instid0(SALU_CYCLE_1)
	s_add_nc_u64 s[0:1], s[6:7], s[0:1]
	global_load_b32 v1, v1, s[0:1]
	s_wait_loadcnt 0x0
	v_cmp_ne_u32_e32 vcc_lo, 0, v1
	s_cbranch_vccz .LBB51_223
.LBB51_222:
	s_sendmsg sendmsg(MSG_DEALLOC_VGPRS)
	s_endpgm
.LBB51_223:
	s_wait_xcnt 0x0
	v_lshl_add_u32 v1, v0, 3, 0x1a0
	s_mov_b32 s0, exec_lo
	v_cmpx_eq_u32_e32 51, v0
	s_cbranch_execz .LBB51_225
; %bb.224:
	scratch_load_b64 v[106:107], off, off offset:400
	v_mov_b64_e32 v[108:109], 0
	scratch_store_b64 off, v[108:109], off offset:400
	s_wait_loadcnt 0x0
	ds_store_b64 v1, v[106:107]
.LBB51_225:
	s_wait_xcnt 0x0
	s_or_b32 exec_lo, exec_lo, s0
	s_wait_storecnt_dscnt 0x0
	s_barrier_signal -1
	s_barrier_wait -1
	s_clause 0x1
	scratch_load_b64 v[106:107], off, off offset:408
	scratch_load_b64 v[108:109], off, off offset:400
	v_mov_b32_e32 v5, 0
	s_mov_b32 s0, exec_lo
	ds_load_b64 v[110:111], v5 offset:824
	s_wait_loadcnt_dscnt 0x100
	v_pk_mul_f32 v[112:113], v[110:111], v[106:107] op_sel:[1,1] op_sel_hi:[0,1]
	s_delay_alu instid0(VALU_DEP_1) | instskip(SKIP_1) | instid1(VALU_DEP_2)
	v_pk_fma_f32 v[114:115], v[110:111], v[106:107], v[112:113] op_sel_hi:[1,0,1]
	v_pk_fma_f32 v[106:107], v[110:111], v[106:107], v[112:113] neg_lo:[0,0,1] neg_hi:[0,0,1]
	v_mov_b32_e32 v107, v115
	s_delay_alu instid0(VALU_DEP_1) | instskip(SKIP_1) | instid1(VALU_DEP_1)
	v_pk_add_f32 v[106:107], v[106:107], 0 op_sel_hi:[1,0]
	s_wait_loadcnt 0x0
	v_pk_add_f32 v[106:107], v[108:109], v[106:107] neg_lo:[0,1] neg_hi:[0,1]
	scratch_store_b64 off, v[106:107], off offset:400
	s_wait_xcnt 0x0
	v_cmpx_lt_u32_e32 49, v0
	s_cbranch_execz .LBB51_227
; %bb.226:
	scratch_load_b64 v[106:107], off, off offset:392
	v_mov_b64_e32 v[108:109], 0
	scratch_store_b64 off, v[108:109], off offset:392
	s_wait_loadcnt 0x0
	ds_store_b64 v1, v[106:107]
.LBB51_227:
	s_wait_xcnt 0x0
	s_or_b32 exec_lo, exec_lo, s0
	s_wait_storecnt_dscnt 0x0
	s_barrier_signal -1
	s_barrier_wait -1
	s_clause 0x1
	scratch_load_b128 v[106:109], off, off offset:400
	scratch_load_b64 v[114:115], off, off offset:392
	ds_load_b128 v[110:113], v5 offset:816
	s_mov_b32 s0, exec_lo
	s_wait_dscnt 0x0
	v_dual_mov_b32 v116, v113 :: v_dual_mov_b32 v117, v112
	s_wait_loadcnt 0x1
	v_pk_mul_f32 v[118:119], v[110:111], v[106:107] op_sel:[1,1] op_sel_hi:[0,1]
	s_delay_alu instid0(VALU_DEP_1) | instskip(SKIP_2) | instid1(VALU_DEP_3)
	v_pk_fma_f32 v[122:123], v[110:111], v[106:107], v[118:119] op_sel_hi:[1,0,1]
	v_mov_b32_e32 v120, v109
	v_pk_fma_f32 v[106:107], v[110:111], v[106:107], v[118:119] neg_lo:[0,0,1] neg_hi:[0,0,1]
	v_mov_b32_e32 v107, v123
	s_delay_alu instid0(VALU_DEP_3) | instskip(NEXT) | instid1(VALU_DEP_2)
	v_pk_mul_f32 v[116:117], v[116:117], v[120:121] op_sel_hi:[1,0]
	v_pk_add_f32 v[106:107], v[106:107], 0 op_sel_hi:[1,0]
	s_delay_alu instid0(VALU_DEP_2) | instskip(SKIP_1) | instid1(VALU_DEP_2)
	v_pk_fma_f32 v[110:111], v[112:113], v[108:109], v[116:117] op_sel_hi:[1,0,1]
	v_pk_fma_f32 v[108:109], v[112:113], v[108:109], v[116:117] neg_lo:[0,0,1] neg_hi:[0,0,1]
	v_mov_b32_e32 v109, v111
	s_delay_alu instid0(VALU_DEP_1) | instskip(SKIP_1) | instid1(VALU_DEP_1)
	v_pk_add_f32 v[106:107], v[106:107], v[108:109]
	s_wait_loadcnt 0x0
	v_pk_add_f32 v[106:107], v[114:115], v[106:107] neg_lo:[0,1] neg_hi:[0,1]
	scratch_store_b64 off, v[106:107], off offset:392
	s_wait_xcnt 0x0
	v_cmpx_lt_u32_e32 48, v0
	s_cbranch_execz .LBB51_229
; %bb.228:
	scratch_load_b64 v[106:107], off, off offset:384
	v_mov_b64_e32 v[108:109], 0
	scratch_store_b64 off, v[108:109], off offset:384
	s_wait_loadcnt 0x0
	ds_store_b64 v1, v[106:107]
.LBB51_229:
	s_wait_xcnt 0x0
	s_or_b32 exec_lo, exec_lo, s0
	s_wait_storecnt_dscnt 0x0
	s_barrier_signal -1
	s_barrier_wait -1
	s_clause 0x2
	scratch_load_b128 v[106:109], off, off offset:392
	scratch_load_b64 v[114:115], off, off offset:408
	scratch_load_b64 v[116:117], off, off offset:384
	v_mov_b32_e32 v5, 0
	ds_load_2addr_b64 v[110:113], v5 offset0:101 offset1:102
	ds_load_b64 v[118:119], v5 offset:824
	s_mov_b32 s0, exec_lo
	s_wait_dscnt 0x1
	v_dual_mov_b32 v120, v113 :: v_dual_mov_b32 v121, v112
	s_wait_loadcnt 0x2
	v_mov_b32_e32 v124, v109
	v_pk_mul_f32 v[122:123], v[110:111], v[106:107] op_sel:[1,1] op_sel_hi:[0,1]
	s_delay_alu instid0(VALU_DEP_2) | instskip(NEXT) | instid1(VALU_DEP_2)
	v_pk_mul_f32 v[120:121], v[120:121], v[124:125] op_sel_hi:[1,0]
	v_pk_fma_f32 v[126:127], v[110:111], v[106:107], v[122:123] op_sel_hi:[1,0,1]
	v_pk_fma_f32 v[106:107], v[110:111], v[106:107], v[122:123] neg_lo:[0,0,1] neg_hi:[0,0,1]
	s_wait_loadcnt_dscnt 0x100
	v_pk_mul_f32 v[122:123], v[118:119], v[114:115] op_sel:[1,1] op_sel_hi:[0,1]
	v_pk_fma_f32 v[110:111], v[112:113], v[108:109], v[120:121] op_sel_hi:[1,0,1]
	v_mov_b32_e32 v107, v127
	v_pk_fma_f32 v[108:109], v[112:113], v[108:109], v[120:121] neg_lo:[0,0,1] neg_hi:[0,0,1]
	s_delay_alu instid0(VALU_DEP_4) | instskip(NEXT) | instid1(VALU_DEP_4)
	v_pk_fma_f32 v[112:113], v[118:119], v[114:115], v[122:123] neg_lo:[0,0,1] neg_hi:[0,0,1]
	v_mov_b32_e32 v109, v111
	s_delay_alu instid0(VALU_DEP_4) | instskip(SKIP_1) | instid1(VALU_DEP_2)
	v_pk_add_f32 v[106:107], v[106:107], 0 op_sel_hi:[1,0]
	v_pk_fma_f32 v[110:111], v[118:119], v[114:115], v[122:123] op_sel_hi:[1,0,1]
	v_pk_add_f32 v[106:107], v[106:107], v[108:109]
	s_delay_alu instid0(VALU_DEP_2) | instskip(NEXT) | instid1(VALU_DEP_1)
	v_mov_b32_e32 v113, v111
	v_pk_add_f32 v[106:107], v[106:107], v[112:113]
	s_wait_loadcnt 0x0
	s_delay_alu instid0(VALU_DEP_1)
	v_pk_add_f32 v[106:107], v[116:117], v[106:107] neg_lo:[0,1] neg_hi:[0,1]
	scratch_store_b64 off, v[106:107], off offset:384
	s_wait_xcnt 0x0
	v_cmpx_lt_u32_e32 47, v0
	s_cbranch_execz .LBB51_231
; %bb.230:
	scratch_load_b64 v[106:107], off, off offset:376
	v_mov_b64_e32 v[108:109], 0
	scratch_store_b64 off, v[108:109], off offset:376
	s_wait_loadcnt 0x0
	ds_store_b64 v1, v[106:107]
.LBB51_231:
	s_wait_xcnt 0x0
	s_or_b32 exec_lo, exec_lo, s0
	s_wait_storecnt_dscnt 0x0
	s_barrier_signal -1
	s_barrier_wait -1
	s_clause 0x2
	scratch_load_b128 v[106:109], off, off offset:384
	scratch_load_b128 v[110:113], off, off offset:400
	scratch_load_b64 v[122:123], off, off offset:376
	ds_load_b128 v[114:117], v5 offset:800
	ds_load_b128 v[118:121], v5 offset:816
	s_mov_b32 s0, exec_lo
	s_wait_dscnt 0x1
	v_dual_mov_b32 v124, v117 :: v_dual_mov_b32 v125, v116
	s_wait_loadcnt_dscnt 0x200
	v_dual_mov_b32 v130, v121 :: v_dual_mov_b32 v128, v109
	v_pk_mul_f32 v[126:127], v[114:115], v[106:107] op_sel:[1,1] op_sel_hi:[0,1]
	s_delay_alu instid0(VALU_DEP_2) | instskip(NEXT) | instid1(VALU_DEP_2)
	v_pk_mul_f32 v[124:125], v[124:125], v[128:129] op_sel_hi:[1,0]
	v_pk_fma_f32 v[132:133], v[114:115], v[106:107], v[126:127] op_sel_hi:[1,0,1]
	v_pk_fma_f32 v[106:107], v[114:115], v[106:107], v[126:127] neg_lo:[0,0,1] neg_hi:[0,0,1]
	v_mov_b32_e32 v131, v120
	s_wait_loadcnt 0x1
	v_pk_mul_f32 v[128:129], v[118:119], v[110:111] op_sel:[1,1] op_sel_hi:[0,1]
	v_pk_fma_f32 v[114:115], v[116:117], v[108:109], v[124:125] op_sel_hi:[1,0,1]
	v_dual_mov_b32 v107, v133 :: v_dual_mov_b32 v114, v113
	v_pk_fma_f32 v[108:109], v[116:117], v[108:109], v[124:125] neg_lo:[0,0,1] neg_hi:[0,0,1]
	s_delay_alu instid0(VALU_DEP_4) | instskip(NEXT) | instid1(VALU_DEP_4)
	v_pk_fma_f32 v[126:127], v[118:119], v[110:111], v[128:129] op_sel_hi:[1,0,1]
	v_mov_b32_e32 v109, v115
	s_delay_alu instid0(VALU_DEP_4) | instskip(SKIP_2) | instid1(VALU_DEP_3)
	v_pk_add_f32 v[106:107], v[106:107], 0 op_sel_hi:[1,0]
	v_pk_mul_f32 v[114:115], v[130:131], v[114:115] op_sel_hi:[1,0]
	v_pk_fma_f32 v[110:111], v[118:119], v[110:111], v[128:129] neg_lo:[0,0,1] neg_hi:[0,0,1]
	v_pk_add_f32 v[106:107], v[106:107], v[108:109]
	s_delay_alu instid0(VALU_DEP_3) | instskip(SKIP_2) | instid1(VALU_DEP_3)
	v_pk_fma_f32 v[108:109], v[120:121], v[112:113], v[114:115] op_sel_hi:[1,0,1]
	v_mov_b32_e32 v111, v127
	v_pk_fma_f32 v[112:113], v[120:121], v[112:113], v[114:115] neg_lo:[0,0,1] neg_hi:[0,0,1]
	v_mov_b32_e32 v113, v109
	s_delay_alu instid0(VALU_DEP_3) | instskip(NEXT) | instid1(VALU_DEP_1)
	v_pk_add_f32 v[106:107], v[106:107], v[110:111]
	v_pk_add_f32 v[106:107], v[106:107], v[112:113]
	s_wait_loadcnt 0x0
	s_delay_alu instid0(VALU_DEP_1)
	v_pk_add_f32 v[106:107], v[122:123], v[106:107] neg_lo:[0,1] neg_hi:[0,1]
	scratch_store_b64 off, v[106:107], off offset:376
	s_wait_xcnt 0x0
	v_cmpx_lt_u32_e32 46, v0
	s_cbranch_execz .LBB51_233
; %bb.232:
	scratch_load_b64 v[106:107], off, off offset:368
	v_mov_b64_e32 v[108:109], 0
	scratch_store_b64 off, v[108:109], off offset:368
	s_wait_loadcnt 0x0
	ds_store_b64 v1, v[106:107]
.LBB51_233:
	s_wait_xcnt 0x0
	s_or_b32 exec_lo, exec_lo, s0
	s_wait_storecnt_dscnt 0x0
	s_barrier_signal -1
	s_barrier_wait -1
	s_clause 0x3
	scratch_load_b128 v[106:109], off, off offset:376
	scratch_load_b128 v[110:113], off, off offset:392
	scratch_load_b64 v[122:123], off, off offset:408
	scratch_load_b64 v[124:125], off, off offset:368
	v_mov_b32_e32 v5, 0
	ds_load_2addr_b64 v[114:117], v5 offset0:99 offset1:100
	ds_load_2addr_b64 v[118:121], v5 offset0:101 offset1:102
	s_mov_b32 s0, exec_lo
	s_wait_dscnt 0x1
	v_dual_mov_b32 v126, v117 :: v_dual_mov_b32 v127, v116
	ds_load_b64 v[132:133], v5 offset:824
	s_wait_dscnt 0x1
	v_dual_mov_b32 v134, v121 :: v_dual_mov_b32 v135, v120
	s_wait_loadcnt 0x3
	v_pk_mul_f32 v[128:129], v[114:115], v[106:107] op_sel:[1,1] op_sel_hi:[0,1]
	v_mov_b32_e32 v130, v109
	s_delay_alu instid0(VALU_DEP_2) | instskip(NEXT) | instid1(VALU_DEP_2)
	v_pk_fma_f32 v[136:137], v[114:115], v[106:107], v[128:129] op_sel_hi:[1,0,1]
	v_pk_mul_f32 v[126:127], v[126:127], v[130:131] op_sel_hi:[1,0]
	v_pk_fma_f32 v[106:107], v[114:115], v[106:107], v[128:129] neg_lo:[0,0,1] neg_hi:[0,0,1]
	s_wait_loadcnt 0x2
	v_pk_mul_f32 v[130:131], v[118:119], v[110:111] op_sel:[1,1] op_sel_hi:[0,1]
	v_dual_mov_b32 v136, v113 :: v_dual_mov_b32 v107, v137
	v_pk_fma_f32 v[114:115], v[116:117], v[108:109], v[126:127] op_sel_hi:[1,0,1]
	v_pk_fma_f32 v[108:109], v[116:117], v[108:109], v[126:127] neg_lo:[0,0,1] neg_hi:[0,0,1]
	s_delay_alu instid0(VALU_DEP_4) | instskip(NEXT) | instid1(VALU_DEP_4)
	v_pk_fma_f32 v[128:129], v[118:119], v[110:111], v[130:131] op_sel_hi:[1,0,1]
	v_pk_mul_f32 v[134:135], v[134:135], v[136:137] op_sel_hi:[1,0]
	v_pk_add_f32 v[106:107], v[106:107], 0 op_sel_hi:[1,0]
	v_mov_b32_e32 v109, v115
	v_pk_fma_f32 v[110:111], v[118:119], v[110:111], v[130:131] neg_lo:[0,0,1] neg_hi:[0,0,1]
	v_mov_b32_e32 v111, v129
	v_pk_fma_f32 v[114:115], v[120:121], v[112:113], v[134:135] op_sel_hi:[1,0,1]
	v_pk_fma_f32 v[112:113], v[120:121], v[112:113], v[134:135] neg_lo:[0,0,1] neg_hi:[0,0,1]
	v_pk_add_f32 v[106:107], v[106:107], v[108:109]
	s_wait_loadcnt_dscnt 0x100
	v_pk_mul_f32 v[108:109], v[132:133], v[122:123] op_sel:[1,1] op_sel_hi:[0,1]
	s_delay_alu instid0(VALU_DEP_2) | instskip(NEXT) | instid1(VALU_DEP_2)
	v_pk_add_f32 v[106:107], v[106:107], v[110:111]
	v_pk_fma_f32 v[110:111], v[132:133], v[122:123], v[108:109] op_sel_hi:[1,0,1]
	v_mov_b32_e32 v113, v115
	v_pk_fma_f32 v[108:109], v[132:133], v[122:123], v[108:109] neg_lo:[0,0,1] neg_hi:[0,0,1]
	s_delay_alu instid0(VALU_DEP_3) | instskip(NEXT) | instid1(VALU_DEP_3)
	v_mov_b32_e32 v109, v111
	v_pk_add_f32 v[106:107], v[106:107], v[112:113]
	s_delay_alu instid0(VALU_DEP_1) | instskip(SKIP_1) | instid1(VALU_DEP_1)
	v_pk_add_f32 v[106:107], v[106:107], v[108:109]
	s_wait_loadcnt 0x0
	v_pk_add_f32 v[106:107], v[124:125], v[106:107] neg_lo:[0,1] neg_hi:[0,1]
	scratch_store_b64 off, v[106:107], off offset:368
	s_wait_xcnt 0x0
	v_cmpx_lt_u32_e32 45, v0
	s_cbranch_execz .LBB51_235
; %bb.234:
	scratch_load_b64 v[106:107], off, off offset:360
	v_mov_b64_e32 v[108:109], 0
	scratch_store_b64 off, v[108:109], off offset:360
	s_wait_loadcnt 0x0
	ds_store_b64 v1, v[106:107]
.LBB51_235:
	s_wait_xcnt 0x0
	s_or_b32 exec_lo, exec_lo, s0
	s_wait_storecnt_dscnt 0x0
	s_barrier_signal -1
	s_barrier_wait -1
	s_clause 0x3
	scratch_load_b128 v[106:109], off, off offset:368
	scratch_load_b128 v[110:113], off, off offset:384
	scratch_load_b128 v[114:117], off, off offset:400
	scratch_load_b64 v[130:131], off, off offset:360
	ds_load_b128 v[118:121], v5 offset:784
	ds_load_b128 v[122:125], v5 offset:800
	;; [unrolled: 1-line block ×3, first 2 shown]
	s_mov_b32 s0, exec_lo
	s_wait_dscnt 0x2
	v_dual_mov_b32 v132, v121 :: v_dual_mov_b32 v133, v120
	s_wait_dscnt 0x1
	v_dual_mov_b32 v134, v125 :: v_dual_mov_b32 v135, v124
	;; [unrolled: 2-line block ×3, first 2 shown]
	s_wait_loadcnt 0x3
	v_pk_mul_f32 v[136:137], v[118:119], v[106:107] op_sel:[1,1] op_sel_hi:[0,1]
	v_mov_b32_e32 v138, v109
	s_delay_alu instid0(VALU_DEP_2) | instskip(NEXT) | instid1(VALU_DEP_2)
	v_pk_fma_f32 v[142:143], v[118:119], v[106:107], v[136:137] op_sel_hi:[1,0,1]
	v_pk_mul_f32 v[132:133], v[132:133], v[138:139] op_sel_hi:[1,0]
	v_pk_fma_f32 v[106:107], v[118:119], v[106:107], v[136:137] neg_lo:[0,0,1] neg_hi:[0,0,1]
	s_wait_loadcnt 0x2
	v_pk_mul_f32 v[138:139], v[122:123], v[110:111] op_sel:[1,1] op_sel_hi:[0,1]
	v_mov_b32_e32 v142, v113
	v_pk_fma_f32 v[118:119], v[120:121], v[108:109], v[132:133] op_sel_hi:[1,0,1]
	v_mov_b32_e32 v107, v143
	v_pk_fma_f32 v[108:109], v[120:121], v[108:109], v[132:133] neg_lo:[0,0,1] neg_hi:[0,0,1]
	v_pk_fma_f32 v[136:137], v[122:123], v[110:111], v[138:139] op_sel_hi:[1,0,1]
	v_pk_mul_f32 v[134:135], v[134:135], v[142:143] op_sel_hi:[1,0]
	v_mov_b32_e32 v109, v119
	v_pk_add_f32 v[106:107], v[106:107], 0 op_sel_hi:[1,0]
	v_pk_fma_f32 v[110:111], v[122:123], v[110:111], v[138:139] neg_lo:[0,0,1] neg_hi:[0,0,1]
	s_wait_loadcnt 0x1
	v_pk_mul_f32 v[118:119], v[126:127], v[114:115] op_sel:[1,1] op_sel_hi:[0,1]
	v_mov_b32_e32 v111, v137
	v_pk_fma_f32 v[120:121], v[124:125], v[112:113], v[134:135] op_sel_hi:[1,0,1]
	v_pk_add_f32 v[106:107], v[106:107], v[108:109]
	v_mov_b32_e32 v108, v117
	v_pk_fma_f32 v[112:113], v[124:125], v[112:113], v[134:135] neg_lo:[0,0,1] neg_hi:[0,0,1]
	v_pk_fma_f32 v[122:123], v[126:127], v[114:115], v[118:119] op_sel_hi:[1,0,1]
	v_mov_b32_e32 v113, v121
	v_pk_add_f32 v[106:107], v[106:107], v[110:111]
	v_pk_mul_f32 v[108:109], v[140:141], v[108:109] op_sel_hi:[1,0]
	v_pk_fma_f32 v[110:111], v[126:127], v[114:115], v[118:119] neg_lo:[0,0,1] neg_hi:[0,0,1]
	v_mov_b32_e32 v111, v123
	s_delay_alu instid0(VALU_DEP_4) | instskip(NEXT) | instid1(VALU_DEP_4)
	v_pk_add_f32 v[106:107], v[106:107], v[112:113]
	v_pk_fma_f32 v[112:113], v[128:129], v[116:117], v[108:109] op_sel_hi:[1,0,1]
	v_pk_fma_f32 v[108:109], v[128:129], v[116:117], v[108:109] neg_lo:[0,0,1] neg_hi:[0,0,1]
	s_delay_alu instid0(VALU_DEP_3) | instskip(NEXT) | instid1(VALU_DEP_3)
	v_pk_add_f32 v[106:107], v[106:107], v[110:111]
	v_mov_b32_e32 v109, v113
	s_delay_alu instid0(VALU_DEP_1) | instskip(SKIP_1) | instid1(VALU_DEP_1)
	v_pk_add_f32 v[106:107], v[106:107], v[108:109]
	s_wait_loadcnt 0x0
	v_pk_add_f32 v[106:107], v[130:131], v[106:107] neg_lo:[0,1] neg_hi:[0,1]
	scratch_store_b64 off, v[106:107], off offset:360
	s_wait_xcnt 0x0
	v_cmpx_lt_u32_e32 44, v0
	s_cbranch_execz .LBB51_237
; %bb.236:
	scratch_load_b64 v[106:107], off, off offset:352
	v_mov_b64_e32 v[108:109], 0
	scratch_store_b64 off, v[108:109], off offset:352
	s_wait_loadcnt 0x0
	ds_store_b64 v1, v[106:107]
.LBB51_237:
	s_wait_xcnt 0x0
	s_or_b32 exec_lo, exec_lo, s0
	s_wait_storecnt_dscnt 0x0
	s_barrier_signal -1
	s_barrier_wait -1
	s_clause 0x4
	scratch_load_b128 v[106:109], off, off offset:360
	scratch_load_b128 v[110:113], off, off offset:376
	;; [unrolled: 1-line block ×3, first 2 shown]
	scratch_load_b64 v[130:131], off, off offset:408
	scratch_load_b64 v[132:133], off, off offset:352
	v_mov_b32_e32 v5, 0
	ds_load_2addr_b64 v[118:121], v5 offset0:97 offset1:98
	ds_load_2addr_b64 v[122:125], v5 offset0:99 offset1:100
	;; [unrolled: 1-line block ×3, first 2 shown]
	ds_load_b64 v[134:135], v5 offset:824
	s_mov_b32 s0, exec_lo
	s_wait_dscnt 0x3
	v_dual_mov_b32 v136, v121 :: v_dual_mov_b32 v137, v120
	s_wait_dscnt 0x2
	v_dual_mov_b32 v138, v125 :: v_dual_mov_b32 v139, v124
	;; [unrolled: 2-line block ×3, first 2 shown]
	s_wait_loadcnt 0x4
	v_pk_mul_f32 v[140:141], v[118:119], v[106:107] op_sel:[1,1] op_sel_hi:[0,1]
	v_mov_b32_e32 v142, v109
	s_wait_loadcnt 0x3
	v_pk_mul_f32 v[146:147], v[122:123], v[110:111] op_sel:[1,1] op_sel_hi:[0,1]
	s_wait_loadcnt 0x2
	v_pk_mul_f32 v[150:151], v[126:127], v[114:115] op_sel:[1,1] op_sel_hi:[0,1]
	v_pk_fma_f32 v[148:149], v[118:119], v[106:107], v[140:141] op_sel_hi:[1,0,1]
	v_pk_mul_f32 v[136:137], v[136:137], v[142:143] op_sel_hi:[1,0]
	v_pk_fma_f32 v[106:107], v[118:119], v[106:107], v[140:141] neg_lo:[0,0,1] neg_hi:[0,0,1]
	v_mov_b32_e32 v142, v113
	v_pk_fma_f32 v[140:141], v[122:123], v[110:111], v[146:147] op_sel_hi:[1,0,1]
	v_mov_b32_e32 v107, v149
	v_pk_fma_f32 v[118:119], v[120:121], v[108:109], v[136:137] op_sel_hi:[1,0,1]
	v_pk_fma_f32 v[108:109], v[120:121], v[108:109], v[136:137] neg_lo:[0,0,1] neg_hi:[0,0,1]
	v_pk_mul_f32 v[138:139], v[138:139], v[142:143] op_sel_hi:[1,0]
	v_pk_fma_f32 v[110:111], v[122:123], v[110:111], v[146:147] neg_lo:[0,0,1] neg_hi:[0,0,1]
	v_pk_add_f32 v[106:107], v[106:107], 0 op_sel_hi:[1,0]
	v_dual_mov_b32 v109, v119 :: v_dual_mov_b32 v118, v117
	s_delay_alu instid0(VALU_DEP_4) | instskip(SKIP_2) | instid1(VALU_DEP_4)
	v_pk_fma_f32 v[120:121], v[124:125], v[112:113], v[138:139] op_sel_hi:[1,0,1]
	v_mov_b32_e32 v111, v141
	v_pk_fma_f32 v[112:113], v[124:125], v[112:113], v[138:139] neg_lo:[0,0,1] neg_hi:[0,0,1]
	v_pk_add_f32 v[106:107], v[106:107], v[108:109]
	v_pk_fma_f32 v[108:109], v[126:127], v[114:115], v[150:151] op_sel_hi:[1,0,1]
	v_pk_mul_f32 v[118:119], v[144:145], v[118:119] op_sel_hi:[1,0]
	v_mov_b32_e32 v113, v121
	s_delay_alu instid0(VALU_DEP_4)
	v_pk_add_f32 v[106:107], v[106:107], v[110:111]
	v_pk_fma_f32 v[110:111], v[126:127], v[114:115], v[150:151] neg_lo:[0,0,1] neg_hi:[0,0,1]
	v_mov_b32_e32 v111, v109
	v_pk_fma_f32 v[108:109], v[128:129], v[116:117], v[118:119] op_sel_hi:[1,0,1]
	v_pk_fma_f32 v[114:115], v[128:129], v[116:117], v[118:119] neg_lo:[0,0,1] neg_hi:[0,0,1]
	v_pk_add_f32 v[106:107], v[106:107], v[112:113]
	s_wait_loadcnt_dscnt 0x100
	v_pk_mul_f32 v[112:113], v[134:135], v[130:131] op_sel:[1,1] op_sel_hi:[0,1]
	v_mov_b32_e32 v115, v109
	s_delay_alu instid0(VALU_DEP_3) | instskip(NEXT) | instid1(VALU_DEP_3)
	v_pk_add_f32 v[106:107], v[106:107], v[110:111]
	v_pk_fma_f32 v[108:109], v[134:135], v[130:131], v[112:113] op_sel_hi:[1,0,1]
	v_pk_fma_f32 v[110:111], v[134:135], v[130:131], v[112:113] neg_lo:[0,0,1] neg_hi:[0,0,1]
	s_delay_alu instid0(VALU_DEP_3) | instskip(NEXT) | instid1(VALU_DEP_3)
	v_pk_add_f32 v[106:107], v[106:107], v[114:115]
	v_mov_b32_e32 v111, v109
	s_delay_alu instid0(VALU_DEP_1) | instskip(SKIP_1) | instid1(VALU_DEP_1)
	v_pk_add_f32 v[106:107], v[106:107], v[110:111]
	s_wait_loadcnt 0x0
	v_pk_add_f32 v[106:107], v[132:133], v[106:107] neg_lo:[0,1] neg_hi:[0,1]
	scratch_store_b64 off, v[106:107], off offset:352
	s_wait_xcnt 0x0
	v_cmpx_lt_u32_e32 43, v0
	s_cbranch_execz .LBB51_239
; %bb.238:
	scratch_load_b64 v[106:107], off, off offset:344
	v_mov_b64_e32 v[108:109], 0
	scratch_store_b64 off, v[108:109], off offset:344
	s_wait_loadcnt 0x0
	ds_store_b64 v1, v[106:107]
.LBB51_239:
	s_wait_xcnt 0x0
	s_or_b32 exec_lo, exec_lo, s0
	s_wait_storecnt_dscnt 0x0
	s_barrier_signal -1
	s_barrier_wait -1
	s_clause 0x4
	scratch_load_b128 v[106:109], off, off offset:352
	scratch_load_b128 v[110:113], off, off offset:368
	;; [unrolled: 1-line block ×4, first 2 shown]
	scratch_load_b64 v[138:139], off, off offset:344
	ds_load_b128 v[122:125], v5 offset:768
	ds_load_b128 v[126:129], v5 offset:784
	;; [unrolled: 1-line block ×4, first 2 shown]
	s_mov_b32 s0, exec_lo
	s_wait_dscnt 0x3
	v_dual_mov_b32 v140, v125 :: v_dual_mov_b32 v141, v124
	s_wait_dscnt 0x2
	v_dual_mov_b32 v142, v129 :: v_dual_mov_b32 v143, v128
	;; [unrolled: 2-line block ×3, first 2 shown]
	v_dual_mov_b32 v145, v132 :: v_dual_mov_b32 v150, v137
	s_wait_loadcnt 0x4
	v_mov_b32_e32 v148, v109
	v_pk_mul_f32 v[146:147], v[122:123], v[106:107] op_sel:[1,1] op_sel_hi:[0,1]
	s_wait_loadcnt 0x3
	v_pk_mul_f32 v[152:153], v[126:127], v[110:111] op_sel:[1,1] op_sel_hi:[0,1]
	s_wait_loadcnt 0x2
	v_pk_mul_f32 v[156:157], v[130:131], v[114:115] op_sel:[1,1] op_sel_hi:[0,1]
	v_pk_mul_f32 v[140:141], v[140:141], v[148:149] op_sel_hi:[1,0]
	v_pk_fma_f32 v[154:155], v[122:123], v[106:107], v[146:147] op_sel_hi:[1,0,1]
	v_pk_fma_f32 v[106:107], v[122:123], v[106:107], v[146:147] neg_lo:[0,0,1] neg_hi:[0,0,1]
	v_mov_b32_e32 v148, v113
	v_pk_fma_f32 v[146:147], v[126:127], v[110:111], v[152:153] op_sel_hi:[1,0,1]
	v_pk_fma_f32 v[122:123], v[124:125], v[108:109], v[140:141] op_sel_hi:[1,0,1]
	v_mov_b32_e32 v107, v155
	v_pk_fma_f32 v[108:109], v[124:125], v[108:109], v[140:141] neg_lo:[0,0,1] neg_hi:[0,0,1]
	v_pk_mul_f32 v[142:143], v[142:143], v[148:149] op_sel_hi:[1,0]
	s_delay_alu instid0(VALU_DEP_4) | instskip(NEXT) | instid1(VALU_DEP_4)
	v_dual_mov_b32 v122, v117 :: v_dual_mov_b32 v109, v123
	v_pk_add_f32 v[106:107], v[106:107], 0 op_sel_hi:[1,0]
	v_pk_fma_f32 v[110:111], v[126:127], v[110:111], v[152:153] neg_lo:[0,0,1] neg_hi:[0,0,1]
	v_mov_b32_e32 v111, v147
	v_pk_fma_f32 v[124:125], v[128:129], v[112:113], v[142:143] op_sel_hi:[1,0,1]
	v_pk_mul_f32 v[122:123], v[144:145], v[122:123] op_sel_hi:[1,0]
	v_pk_add_f32 v[106:107], v[106:107], v[108:109]
	v_pk_fma_f32 v[108:109], v[130:131], v[114:115], v[156:157] op_sel_hi:[1,0,1]
	v_pk_fma_f32 v[112:113], v[128:129], v[112:113], v[142:143] neg_lo:[0,0,1] neg_hi:[0,0,1]
	v_mov_b32_e32 v113, v125
	v_pk_fma_f32 v[114:115], v[130:131], v[114:115], v[156:157] neg_lo:[0,0,1] neg_hi:[0,0,1]
	v_pk_add_f32 v[106:107], v[106:107], v[110:111]
	v_mov_b32_e32 v115, v109
	v_pk_fma_f32 v[108:109], v[132:133], v[116:117], v[122:123] op_sel_hi:[1,0,1]
	s_wait_loadcnt 0x1
	v_pk_mul_f32 v[110:111], v[134:135], v[118:119] op_sel:[1,1] op_sel_hi:[0,1]
	v_mov_b32_e32 v108, v121
	v_pk_add_f32 v[106:107], v[106:107], v[112:113]
	v_pk_fma_f32 v[116:117], v[132:133], v[116:117], v[122:123] neg_lo:[0,0,1] neg_hi:[0,0,1]
	v_mov_b32_e32 v117, v109
	v_pk_fma_f32 v[112:113], v[134:135], v[118:119], v[110:111] op_sel_hi:[1,0,1]
	v_pk_mul_f32 v[108:109], v[150:151], v[108:109] op_sel_hi:[1,0]
	v_pk_add_f32 v[106:107], v[106:107], v[114:115]
	v_pk_fma_f32 v[110:111], v[134:135], v[118:119], v[110:111] neg_lo:[0,0,1] neg_hi:[0,0,1]
	s_delay_alu instid0(VALU_DEP_4) | instskip(NEXT) | instid1(VALU_DEP_4)
	v_mov_b32_e32 v111, v113
	v_pk_fma_f32 v[112:113], v[136:137], v[120:121], v[108:109] op_sel_hi:[1,0,1]
	s_delay_alu instid0(VALU_DEP_4) | instskip(SKIP_1) | instid1(VALU_DEP_3)
	v_pk_add_f32 v[106:107], v[106:107], v[116:117]
	v_pk_fma_f32 v[108:109], v[136:137], v[120:121], v[108:109] neg_lo:[0,0,1] neg_hi:[0,0,1]
	v_mov_b32_e32 v109, v113
	s_delay_alu instid0(VALU_DEP_3) | instskip(NEXT) | instid1(VALU_DEP_1)
	v_pk_add_f32 v[106:107], v[106:107], v[110:111]
	v_pk_add_f32 v[106:107], v[106:107], v[108:109]
	s_wait_loadcnt 0x0
	s_delay_alu instid0(VALU_DEP_1)
	v_pk_add_f32 v[106:107], v[138:139], v[106:107] neg_lo:[0,1] neg_hi:[0,1]
	scratch_store_b64 off, v[106:107], off offset:344
	s_wait_xcnt 0x0
	v_cmpx_lt_u32_e32 42, v0
	s_cbranch_execz .LBB51_241
; %bb.240:
	scratch_load_b64 v[106:107], off, off offset:336
	v_mov_b64_e32 v[108:109], 0
	scratch_store_b64 off, v[108:109], off offset:336
	s_wait_loadcnt 0x0
	ds_store_b64 v1, v[106:107]
.LBB51_241:
	s_wait_xcnt 0x0
	s_or_b32 exec_lo, exec_lo, s0
	s_wait_storecnt_dscnt 0x0
	s_barrier_signal -1
	s_barrier_wait -1
	s_clause 0x5
	scratch_load_b128 v[106:109], off, off offset:344
	scratch_load_b128 v[110:113], off, off offset:360
	;; [unrolled: 1-line block ×4, first 2 shown]
	scratch_load_b64 v[138:139], off, off offset:408
	scratch_load_b64 v[140:141], off, off offset:336
	v_mov_b32_e32 v5, 0
	ds_load_2addr_b64 v[122:125], v5 offset0:95 offset1:96
	ds_load_2addr_b64 v[126:129], v5 offset0:97 offset1:98
	;; [unrolled: 1-line block ×4, first 2 shown]
	ds_load_b64 v[142:143], v5 offset:824
	s_mov_b32 s0, exec_lo
	s_wait_dscnt 0x4
	v_dual_mov_b32 v144, v125 :: v_dual_mov_b32 v145, v124
	s_wait_dscnt 0x1
	v_dual_mov_b32 v146, v129 :: v_dual_mov_b32 v151, v136
	v_dual_mov_b32 v147, v128 :: v_dual_mov_b32 v148, v133
	;; [unrolled: 1-line block ×3, first 2 shown]
	s_wait_loadcnt 0x5
	v_dual_mov_b32 v152, v109 :: v_dual_mul_f32 v153, v122, v107
	v_mul_f32_e32 v9, v123, v107
	s_wait_loadcnt 0x4
	v_pk_mul_f32 v[154:155], v[126:127], v[110:111] op_sel:[1,1] op_sel_hi:[0,1]
	v_mov_b32_e32 v156, v113
	s_wait_loadcnt 0x3
	v_pk_mul_f32 v[158:159], v[130:131], v[114:115] op_sel:[1,1] op_sel_hi:[0,1]
	v_pk_mul_f32 v[144:145], v[144:145], v[152:153] op_sel_hi:[1,0]
	v_fmac_f32_e32 v153, v123, v106
	v_dual_fma_f32 v152, v122, v106, -v9 :: v_dual_mov_b32 v106, v117
	v_pk_fma_f32 v[160:161], v[126:127], v[110:111], v[154:155] op_sel_hi:[1,0,1]
	s_delay_alu instid0(VALU_DEP_4)
	v_pk_fma_f32 v[122:123], v[124:125], v[108:109], v[144:145] op_sel_hi:[1,0,1]
	v_pk_fma_f32 v[108:109], v[124:125], v[108:109], v[144:145] neg_lo:[0,0,1] neg_hi:[0,0,1]
	v_pk_mul_f32 v[146:147], v[146:147], v[156:157] op_sel_hi:[1,0]
	v_pk_add_f32 v[152:153], v[152:153], 0 op_sel_hi:[1,0]
	v_pk_fma_f32 v[110:111], v[126:127], v[110:111], v[154:155] neg_lo:[0,0,1] neg_hi:[0,0,1]
	v_dual_mov_b32 v109, v123 :: v_dual_mov_b32 v111, v161
	s_delay_alu instid0(VALU_DEP_4) | instskip(SKIP_2) | instid1(VALU_DEP_4)
	v_pk_fma_f32 v[124:125], v[128:129], v[112:113], v[146:147] op_sel_hi:[1,0,1]
	v_pk_fma_f32 v[112:113], v[128:129], v[112:113], v[146:147] neg_lo:[0,0,1] neg_hi:[0,0,1]
	v_pk_fma_f32 v[126:127], v[130:131], v[114:115], v[158:159] op_sel_hi:[1,0,1]
	v_pk_add_f32 v[108:109], v[152:153], v[108:109]
	v_pk_mul_f32 v[106:107], v[148:149], v[106:107] op_sel_hi:[1,0]
	v_mov_b32_e32 v113, v125
	v_pk_fma_f32 v[114:115], v[130:131], v[114:115], v[158:159] neg_lo:[0,0,1] neg_hi:[0,0,1]
	s_wait_loadcnt 0x2
	v_pk_mul_f32 v[122:123], v[134:135], v[118:119] op_sel:[1,1] op_sel_hi:[0,1]
	v_pk_add_f32 v[108:109], v[108:109], v[110:111]
	v_mov_b32_e32 v110, v121
	v_pk_fma_f32 v[124:125], v[132:133], v[116:117], v[106:107] op_sel_hi:[1,0,1]
	v_mov_b32_e32 v115, v127
	v_pk_fma_f32 v[106:107], v[132:133], v[116:117], v[106:107] neg_lo:[0,0,1] neg_hi:[0,0,1]
	v_pk_add_f32 v[108:109], v[108:109], v[112:113]
	v_pk_fma_f32 v[112:113], v[134:135], v[118:119], v[122:123] op_sel_hi:[1,0,1]
	v_pk_mul_f32 v[110:111], v[150:151], v[110:111] op_sel_hi:[1,0]
	v_mov_b32_e32 v107, v125
	s_delay_alu instid0(VALU_DEP_4)
	v_pk_add_f32 v[108:109], v[108:109], v[114:115]
	v_pk_fma_f32 v[114:115], v[134:135], v[118:119], v[122:123] neg_lo:[0,0,1] neg_hi:[0,0,1]
	v_mov_b32_e32 v115, v113
	v_pk_fma_f32 v[112:113], v[136:137], v[120:121], v[110:111] op_sel_hi:[1,0,1]
	v_pk_fma_f32 v[110:111], v[136:137], v[120:121], v[110:111] neg_lo:[0,0,1] neg_hi:[0,0,1]
	v_pk_add_f32 v[106:107], v[108:109], v[106:107]
	s_wait_loadcnt_dscnt 0x100
	v_pk_mul_f32 v[108:109], v[142:143], v[138:139] op_sel:[1,1] op_sel_hi:[0,1]
	v_mov_b32_e32 v111, v113
	s_delay_alu instid0(VALU_DEP_3) | instskip(NEXT) | instid1(VALU_DEP_3)
	v_pk_add_f32 v[106:107], v[106:107], v[114:115]
	v_pk_fma_f32 v[112:113], v[142:143], v[138:139], v[108:109] op_sel_hi:[1,0,1]
	v_pk_fma_f32 v[108:109], v[142:143], v[138:139], v[108:109] neg_lo:[0,0,1] neg_hi:[0,0,1]
	s_delay_alu instid0(VALU_DEP_3) | instskip(NEXT) | instid1(VALU_DEP_3)
	v_pk_add_f32 v[106:107], v[106:107], v[110:111]
	v_mov_b32_e32 v109, v113
	s_delay_alu instid0(VALU_DEP_1) | instskip(SKIP_1) | instid1(VALU_DEP_1)
	v_pk_add_f32 v[106:107], v[106:107], v[108:109]
	s_wait_loadcnt 0x0
	v_pk_add_f32 v[106:107], v[140:141], v[106:107] neg_lo:[0,1] neg_hi:[0,1]
	scratch_store_b64 off, v[106:107], off offset:336
	s_wait_xcnt 0x0
	v_cmpx_lt_u32_e32 41, v0
	s_cbranch_execz .LBB51_243
; %bb.242:
	scratch_load_b64 v[106:107], off, off offset:328
	v_mov_b64_e32 v[108:109], 0
	scratch_store_b64 off, v[108:109], off offset:328
	s_wait_loadcnt 0x0
	ds_store_b64 v1, v[106:107]
.LBB51_243:
	s_wait_xcnt 0x0
	s_or_b32 exec_lo, exec_lo, s0
	s_wait_storecnt_dscnt 0x0
	s_barrier_signal -1
	s_barrier_wait -1
	s_clause 0x5
	scratch_load_b128 v[106:109], off, off offset:336
	scratch_load_b128 v[110:113], off, off offset:352
	;; [unrolled: 1-line block ×5, first 2 shown]
	scratch_load_b64 v[146:147], off, off offset:328
	ds_load_b128 v[126:129], v5 offset:768
	ds_load_b128 v[130:133], v5 offset:784
	;; [unrolled: 1-line block ×5, first 2 shown]
	s_mov_b32 s0, exec_lo
	s_wait_dscnt 0x4
	v_dual_mov_b32 v148, v129 :: v_dual_mov_b32 v149, v128
	s_wait_dscnt 0x3
	v_dual_mov_b32 v150, v133 :: v_dual_mov_b32 v151, v132
	;; [unrolled: 2-line block ×4, first 2 shown]
	s_wait_loadcnt_dscnt 0x500
	v_dual_mul_f32 v157, v142, v107 :: v_dual_mul_f32 v159, v144, v109
	v_dual_mul_f32 v5, v143, v107 :: v_dual_mul_f32 v9, v145, v109
	s_wait_loadcnt 0x4
	v_pk_mul_f32 v[160:161], v[126:127], v[110:111] op_sel:[1,1] op_sel_hi:[0,1]
	s_wait_loadcnt 0x3
	v_dual_mov_b32 v162, v113 :: v_dual_mov_b32 v166, v117
	v_dual_fmac_f32 v157, v143, v106 :: v_dual_fmac_f32 v159, v145, v108
	v_fma_f32 v156, v142, v106, -v5
	v_fma_f32 v158, v144, v108, -v9
	v_pk_fma_f32 v[106:107], v[126:127], v[110:111], v[160:161] op_sel_hi:[1,0,1]
	v_pk_mul_f32 v[108:109], v[148:149], v[162:163] op_sel_hi:[1,0]
	v_pk_fma_f32 v[110:111], v[126:127], v[110:111], v[160:161] neg_lo:[0,0,1] neg_hi:[0,0,1]
	v_pk_mul_f32 v[164:165], v[130:131], v[114:115] op_sel:[1,1] op_sel_hi:[0,1]
	v_pk_mul_f32 v[148:149], v[150:151], v[166:167] op_sel_hi:[1,0]
	v_mov_b32_e32 v111, v107
	v_pk_add_f32 v[142:143], v[156:157], 0 op_sel_hi:[1,0]
	v_pk_fma_f32 v[106:107], v[128:129], v[112:113], v[108:109] op_sel_hi:[1,0,1]
	v_pk_fma_f32 v[108:109], v[128:129], v[112:113], v[108:109] neg_lo:[0,0,1] neg_hi:[0,0,1]
	s_wait_loadcnt 0x2
	v_pk_mul_f32 v[144:145], v[134:135], v[118:119] op_sel:[1,1] op_sel_hi:[0,1]
	v_pk_fma_f32 v[112:113], v[130:131], v[114:115], v[164:165] neg_lo:[0,0,1] neg_hi:[0,0,1]
	v_mov_b32_e32 v109, v107
	v_pk_add_f32 v[126:127], v[142:143], v[158:159]
	v_pk_fma_f32 v[142:143], v[130:131], v[114:115], v[164:165] op_sel_hi:[1,0,1]
	v_pk_fma_f32 v[114:115], v[132:133], v[116:117], v[148:149] op_sel_hi:[1,0,1]
	v_pk_fma_f32 v[116:117], v[132:133], v[116:117], v[148:149] neg_lo:[0,0,1] neg_hi:[0,0,1]
	s_delay_alu instid0(VALU_DEP_4) | instskip(NEXT) | instid1(VALU_DEP_4)
	v_pk_add_f32 v[106:107], v[126:127], v[110:111]
	v_dual_mov_b32 v110, v121 :: v_dual_mov_b32 v113, v143
	s_delay_alu instid0(VALU_DEP_2) | instskip(SKIP_1) | instid1(VALU_DEP_3)
	v_pk_add_f32 v[106:107], v[106:107], v[108:109]
	v_pk_fma_f32 v[108:109], v[134:135], v[118:119], v[144:145] op_sel_hi:[1,0,1]
	v_pk_mul_f32 v[110:111], v[152:153], v[110:111] op_sel_hi:[1,0]
	v_mov_b32_e32 v117, v115
	v_pk_fma_f32 v[114:115], v[134:135], v[118:119], v[144:145] neg_lo:[0,0,1] neg_hi:[0,0,1]
	v_pk_add_f32 v[106:107], v[106:107], v[112:113]
	v_mov_b32_e32 v115, v109
	v_pk_fma_f32 v[108:109], v[136:137], v[120:121], v[110:111] op_sel_hi:[1,0,1]
	s_wait_loadcnt 0x1
	v_pk_mul_f32 v[112:113], v[138:139], v[122:123] op_sel:[1,1] op_sel_hi:[0,1]
	v_mov_b32_e32 v108, v125
	v_pk_add_f32 v[106:107], v[106:107], v[116:117]
	v_pk_fma_f32 v[110:111], v[136:137], v[120:121], v[110:111] neg_lo:[0,0,1] neg_hi:[0,0,1]
	v_mov_b32_e32 v111, v109
	v_pk_fma_f32 v[116:117], v[138:139], v[122:123], v[112:113] op_sel_hi:[1,0,1]
	v_pk_mul_f32 v[108:109], v[154:155], v[108:109] op_sel_hi:[1,0]
	v_pk_add_f32 v[106:107], v[106:107], v[114:115]
	v_pk_fma_f32 v[112:113], v[138:139], v[122:123], v[112:113] neg_lo:[0,0,1] neg_hi:[0,0,1]
	s_delay_alu instid0(VALU_DEP_2) | instskip(NEXT) | instid1(VALU_DEP_4)
	v_pk_add_f32 v[106:107], v[106:107], v[110:111]
	v_pk_fma_f32 v[110:111], v[140:141], v[124:125], v[108:109] op_sel_hi:[1,0,1]
	v_mov_b32_e32 v113, v117
	v_pk_fma_f32 v[108:109], v[140:141], v[124:125], v[108:109] neg_lo:[0,0,1] neg_hi:[0,0,1]
	s_delay_alu instid0(VALU_DEP_3) | instskip(NEXT) | instid1(VALU_DEP_3)
	v_mov_b32_e32 v109, v111
	v_pk_add_f32 v[106:107], v[106:107], v[112:113]
	s_delay_alu instid0(VALU_DEP_1) | instskip(SKIP_1) | instid1(VALU_DEP_1)
	v_pk_add_f32 v[106:107], v[106:107], v[108:109]
	s_wait_loadcnt 0x0
	v_pk_add_f32 v[106:107], v[146:147], v[106:107] neg_lo:[0,1] neg_hi:[0,1]
	scratch_store_b64 off, v[106:107], off offset:328
	s_wait_xcnt 0x0
	v_cmpx_lt_u32_e32 40, v0
	s_cbranch_execz .LBB51_245
; %bb.244:
	scratch_load_b64 v[106:107], off, off offset:320
	v_mov_b64_e32 v[108:109], 0
	scratch_store_b64 off, v[108:109], off offset:320
	s_wait_loadcnt 0x0
	ds_store_b64 v1, v[106:107]
.LBB51_245:
	s_wait_xcnt 0x0
	s_or_b32 exec_lo, exec_lo, s0
	s_wait_storecnt_dscnt 0x0
	s_barrier_signal -1
	s_barrier_wait -1
	s_clause 0x6
	scratch_load_b128 v[106:109], off, off offset:328
	scratch_load_b128 v[110:113], off, off offset:344
	;; [unrolled: 1-line block ×5, first 2 shown]
	scratch_load_b64 v[146:147], off, off offset:408
	scratch_load_b64 v[148:149], off, off offset:320
	v_mov_b32_e32 v5, 0
	ds_load_2addr_b64 v[126:129], v5 offset0:95 offset1:96
	ds_load_2addr_b64 v[130:133], v5 offset0:97 offset1:98
	ds_load_2addr_b64 v[134:137], v5 offset0:99 offset1:100
	ds_load_2addr_b64 v[138:141], v5 offset0:101 offset1:102
	ds_load_2addr_b64 v[142:145], v5 offset0:93 offset1:94
	ds_load_b64 v[150:151], v5 offset:824
	s_mov_b32 s0, exec_lo
	s_wait_dscnt 0x5
	v_dual_mov_b32 v152, v129 :: v_dual_mov_b32 v153, v128
	s_wait_dscnt 0x2
	v_dual_mov_b32 v154, v133 :: v_dual_mov_b32 v159, v140
	v_dual_mov_b32 v155, v132 :: v_dual_mov_b32 v156, v137
	;; [unrolled: 1-line block ×3, first 2 shown]
	s_wait_loadcnt_dscnt 0x601
	v_dual_mul_f32 v9, v142, v107 :: v_dual_mul_f32 v11, v143, v107
	v_dual_mul_f32 v13, v145, v109 :: v_dual_mul_f32 v161, v144, v109
	s_wait_loadcnt 0x5
	v_dual_mul_f32 v163, v126, v111 :: v_dual_mul_f32 v15, v127, v111
	s_wait_loadcnt 0x4
	v_dual_mov_b32 v162, v113 :: v_dual_mov_b32 v166, v117
	v_dual_fmac_f32 v9, v143, v106 :: v_dual_fma_f32 v11, v142, v106, -v11
	v_fmac_f32_e32 v161, v145, v108
	v_pk_mul_f32 v[164:165], v[130:131], v[114:115] op_sel:[1,1] op_sel_hi:[0,1]
	s_delay_alu instid0(VALU_DEP_3)
	v_dual_fma_f32 v160, v144, v108, -v13 :: v_dual_add_f32 v109, 0, v9
	v_pk_mul_f32 v[106:107], v[152:153], v[162:163] op_sel_hi:[1,0]
	s_wait_loadcnt 0x3
	v_dual_add_f32 v108, 0, v11 :: v_dual_mov_b32 v142, v121
	v_fmac_f32_e32 v163, v127, v110
	v_fma_f32 v162, v126, v110, -v15
	v_pk_fma_f32 v[110:111], v[128:129], v[112:113], v[106:107] op_sel_hi:[1,0,1]
	s_delay_alu instid0(VALU_DEP_4) | instskip(SKIP_4) | instid1(VALU_DEP_4)
	v_pk_add_f32 v[108:109], v[108:109], v[160:161]
	v_pk_fma_f32 v[126:127], v[130:131], v[114:115], v[164:165] op_sel_hi:[1,0,1]
	v_pk_fma_f32 v[106:107], v[128:129], v[112:113], v[106:107] neg_lo:[0,0,1] neg_hi:[0,0,1]
	v_pk_fma_f32 v[112:113], v[130:131], v[114:115], v[164:165] neg_lo:[0,0,1] neg_hi:[0,0,1]
	v_pk_mul_f32 v[144:145], v[154:155], v[166:167] op_sel_hi:[1,0]
	v_dual_mov_b32 v107, v111 :: v_dual_mov_b32 v113, v127
	v_pk_add_f32 v[108:109], v[108:109], v[162:163]
	v_pk_mul_f32 v[168:169], v[134:135], v[118:119] op_sel:[1,1] op_sel_hi:[0,1]
	s_delay_alu instid0(VALU_DEP_4)
	v_pk_fma_f32 v[114:115], v[132:133], v[116:117], v[144:145] op_sel_hi:[1,0,1]
	v_pk_fma_f32 v[116:117], v[132:133], v[116:117], v[144:145] neg_lo:[0,0,1] neg_hi:[0,0,1]
	v_pk_mul_f32 v[126:127], v[156:157], v[142:143] op_sel_hi:[1,0]
	v_pk_add_f32 v[106:107], v[108:109], v[106:107]
	v_pk_fma_f32 v[108:109], v[134:135], v[118:119], v[168:169] op_sel_hi:[1,0,1]
	s_wait_loadcnt 0x2
	v_dual_mov_b32 v117, v115 :: v_dual_mov_b32 v108, v125
	v_pk_mul_f32 v[110:111], v[138:139], v[122:123] op_sel:[1,1] op_sel_hi:[0,1]
	v_pk_add_f32 v[106:107], v[106:107], v[112:113]
	v_pk_fma_f32 v[112:113], v[134:135], v[118:119], v[168:169] neg_lo:[0,0,1] neg_hi:[0,0,1]
	v_pk_fma_f32 v[114:115], v[136:137], v[120:121], v[126:127] op_sel_hi:[1,0,1]
	v_mov_b32_e32 v113, v109
	v_pk_fma_f32 v[118:119], v[136:137], v[120:121], v[126:127] neg_lo:[0,0,1] neg_hi:[0,0,1]
	v_pk_add_f32 v[106:107], v[106:107], v[116:117]
	v_pk_fma_f32 v[116:117], v[138:139], v[122:123], v[110:111] op_sel_hi:[1,0,1]
	v_pk_mul_f32 v[108:109], v[158:159], v[108:109] op_sel_hi:[1,0]
	v_mov_b32_e32 v119, v115
	v_pk_fma_f32 v[110:111], v[138:139], v[122:123], v[110:111] neg_lo:[0,0,1] neg_hi:[0,0,1]
	v_pk_add_f32 v[106:107], v[106:107], v[112:113]
	s_wait_loadcnt_dscnt 0x100
	v_pk_mul_f32 v[114:115], v[150:151], v[146:147] op_sel:[1,1] op_sel_hi:[0,1]
	v_pk_fma_f32 v[112:113], v[140:141], v[124:125], v[108:109] op_sel_hi:[1,0,1]
	v_mov_b32_e32 v111, v117
	v_pk_fma_f32 v[108:109], v[140:141], v[124:125], v[108:109] neg_lo:[0,0,1] neg_hi:[0,0,1]
	v_pk_add_f32 v[106:107], v[106:107], v[118:119]
	s_delay_alu instid0(VALU_DEP_4) | instskip(SKIP_1) | instid1(VALU_DEP_3)
	v_mov_b32_e32 v109, v113
	v_pk_fma_f32 v[112:113], v[150:151], v[146:147], v[114:115] neg_lo:[0,0,1] neg_hi:[0,0,1]
	v_pk_add_f32 v[106:107], v[106:107], v[110:111]
	v_pk_fma_f32 v[110:111], v[150:151], v[146:147], v[114:115] op_sel_hi:[1,0,1]
	s_delay_alu instid0(VALU_DEP_2) | instskip(NEXT) | instid1(VALU_DEP_2)
	v_pk_add_f32 v[106:107], v[106:107], v[108:109]
	v_mov_b32_e32 v113, v111
	s_delay_alu instid0(VALU_DEP_1) | instskip(SKIP_1) | instid1(VALU_DEP_1)
	v_pk_add_f32 v[106:107], v[106:107], v[112:113]
	s_wait_loadcnt 0x0
	v_pk_add_f32 v[106:107], v[148:149], v[106:107] neg_lo:[0,1] neg_hi:[0,1]
	scratch_store_b64 off, v[106:107], off offset:320
	s_wait_xcnt 0x0
	v_cmpx_lt_u32_e32 39, v0
	s_cbranch_execz .LBB51_247
; %bb.246:
	scratch_load_b64 v[106:107], off, off offset:312
	v_mov_b64_e32 v[108:109], 0
	scratch_store_b64 off, v[108:109], off offset:312
	s_wait_loadcnt 0x0
	ds_store_b64 v1, v[106:107]
.LBB51_247:
	s_wait_xcnt 0x0
	s_or_b32 exec_lo, exec_lo, s0
	s_wait_storecnt_dscnt 0x0
	s_barrier_signal -1
	s_barrier_wait -1
	s_clause 0x6
	scratch_load_b128 v[106:109], off, off offset:320
	scratch_load_b128 v[110:113], off, off offset:336
	;; [unrolled: 1-line block ×6, first 2 shown]
	scratch_load_b64 v[154:155], off, off offset:312
	ds_load_b128 v[130:133], v5 offset:768
	ds_load_b128 v[134:137], v5 offset:784
	;; [unrolled: 1-line block ×6, first 2 shown]
	s_mov_b32 s0, exec_lo
	s_wait_dscnt 0x5
	v_dual_mov_b32 v156, v133 :: v_dual_mov_b32 v157, v132
	s_wait_dscnt 0x4
	v_dual_mov_b32 v158, v137 :: v_dual_mov_b32 v159, v136
	;; [unrolled: 2-line block ×4, first 2 shown]
	s_wait_loadcnt_dscnt 0x601
	v_dual_mul_f32 v5, v146, v107 :: v_dual_mul_f32 v9, v148, v109
	v_dual_mul_f32 v11, v147, v107 :: v_dual_mul_f32 v13, v149, v109
	s_wait_loadcnt 0x4
	s_delay_alu instid0(VALU_DEP_2)
	v_dual_mov_b32 v170, v117 :: v_dual_fmac_f32 v5, v147, v106
	s_wait_dscnt 0x0
	v_dual_mul_f32 v165, v150, v111 :: v_dual_mul_f32 v167, v152, v113
	v_dual_fma_f32 v11, v146, v106, -v11 :: v_dual_fmac_f32 v9, v149, v108
	v_dual_mul_f32 v15, v151, v111 :: v_dual_mul_f32 v17, v153, v113
	v_dual_fma_f32 v13, v148, v108, -v13 :: v_dual_add_f32 v5, 0, v5
	s_wait_loadcnt 0x3
	s_delay_alu instid0(VALU_DEP_3) | instskip(SKIP_3) | instid1(VALU_DEP_4)
	v_dual_add_f32 v11, 0, v11 :: v_dual_mov_b32 v108, v121
	v_pk_mul_f32 v[168:169], v[130:131], v[114:115] op_sel:[1,1] op_sel_hi:[0,1]
	v_dual_fmac_f32 v165, v151, v110 :: v_dual_fma_f32 v164, v150, v110, -v15
	v_dual_add_f32 v111, v5, v9 :: v_dual_fma_f32 v166, v152, v112, -v17
	v_dual_add_f32 v110, v11, v13 :: v_dual_fmac_f32 v167, v153, v112
	s_delay_alu instid0(VALU_DEP_4) | instskip(SKIP_2) | instid1(VALU_DEP_4)
	v_pk_fma_f32 v[112:113], v[130:131], v[114:115], v[168:169] op_sel_hi:[1,0,1]
	v_pk_mul_f32 v[146:147], v[156:157], v[170:171] op_sel_hi:[1,0]
	v_pk_fma_f32 v[114:115], v[130:131], v[114:115], v[168:169] neg_lo:[0,0,1] neg_hi:[0,0,1]
	v_pk_add_f32 v[110:111], v[110:111], v[164:165]
	v_pk_mul_f32 v[106:107], v[134:135], v[118:119] op_sel:[1,1] op_sel_hi:[0,1]
	v_mov_b32_e32 v115, v113
	v_pk_fma_f32 v[112:113], v[132:133], v[116:117], v[146:147] op_sel_hi:[1,0,1]
	v_pk_fma_f32 v[116:117], v[132:133], v[116:117], v[146:147] neg_lo:[0,0,1] neg_hi:[0,0,1]
	v_pk_add_f32 v[110:111], v[110:111], v[166:167]
	v_pk_fma_f32 v[130:131], v[134:135], v[118:119], v[106:107] op_sel_hi:[1,0,1]
	v_pk_mul_f32 v[108:109], v[158:159], v[108:109] op_sel_hi:[1,0]
	v_mov_b32_e32 v117, v113
	v_pk_fma_f32 v[106:107], v[134:135], v[118:119], v[106:107] neg_lo:[0,0,1] neg_hi:[0,0,1]
	v_pk_add_f32 v[110:111], v[110:111], v[114:115]
	s_wait_loadcnt 0x2
	v_pk_mul_f32 v[148:149], v[138:139], v[122:123] op_sel:[1,1] op_sel_hi:[0,1]
	v_dual_mov_b32 v112, v125 :: v_dual_mov_b32 v107, v131
	v_pk_fma_f32 v[114:115], v[136:137], v[120:121], v[108:109] op_sel_hi:[1,0,1]
	v_pk_add_f32 v[110:111], v[110:111], v[116:117]
	v_pk_fma_f32 v[108:109], v[136:137], v[120:121], v[108:109] neg_lo:[0,0,1] neg_hi:[0,0,1]
	v_pk_fma_f32 v[116:117], v[138:139], v[122:123], v[148:149] op_sel_hi:[1,0,1]
	v_pk_mul_f32 v[112:113], v[160:161], v[112:113] op_sel_hi:[1,0]
	v_mov_b32_e32 v109, v115
	v_pk_add_f32 v[106:107], v[110:111], v[106:107]
	v_pk_fma_f32 v[114:115], v[138:139], v[122:123], v[148:149] neg_lo:[0,0,1] neg_hi:[0,0,1]
	s_wait_loadcnt 0x1
	v_pk_mul_f32 v[110:111], v[142:143], v[126:127] op_sel:[1,1] op_sel_hi:[0,1]
	v_mov_b32_e32 v115, v117
	v_pk_fma_f32 v[116:117], v[140:141], v[124:125], v[112:113] op_sel_hi:[1,0,1]
	v_pk_add_f32 v[106:107], v[106:107], v[108:109]
	v_mov_b32_e32 v108, v129
	v_pk_fma_f32 v[112:113], v[140:141], v[124:125], v[112:113] neg_lo:[0,0,1] neg_hi:[0,0,1]
	v_pk_fma_f32 v[118:119], v[142:143], v[126:127], v[110:111] op_sel_hi:[1,0,1]
	v_mov_b32_e32 v113, v117
	v_pk_add_f32 v[106:107], v[106:107], v[114:115]
	v_pk_mul_f32 v[108:109], v[162:163], v[108:109] op_sel_hi:[1,0]
	v_pk_fma_f32 v[110:111], v[142:143], v[126:127], v[110:111] neg_lo:[0,0,1] neg_hi:[0,0,1]
	s_delay_alu instid0(VALU_DEP_3) | instskip(NEXT) | instid1(VALU_DEP_3)
	v_pk_add_f32 v[106:107], v[106:107], v[112:113]
	v_pk_fma_f32 v[112:113], v[144:145], v[128:129], v[108:109] op_sel_hi:[1,0,1]
	v_mov_b32_e32 v111, v119
	v_pk_fma_f32 v[108:109], v[144:145], v[128:129], v[108:109] neg_lo:[0,0,1] neg_hi:[0,0,1]
	s_delay_alu instid0(VALU_DEP_3) | instskip(NEXT) | instid1(VALU_DEP_3)
	v_mov_b32_e32 v109, v113
	v_pk_add_f32 v[106:107], v[106:107], v[110:111]
	s_delay_alu instid0(VALU_DEP_1) | instskip(SKIP_1) | instid1(VALU_DEP_1)
	v_pk_add_f32 v[106:107], v[106:107], v[108:109]
	s_wait_loadcnt 0x0
	v_pk_add_f32 v[106:107], v[154:155], v[106:107] neg_lo:[0,1] neg_hi:[0,1]
	scratch_store_b64 off, v[106:107], off offset:312
	s_wait_xcnt 0x0
	v_cmpx_lt_u32_e32 38, v0
	s_cbranch_execz .LBB51_249
; %bb.248:
	scratch_load_b64 v[106:107], off, off offset:304
	v_mov_b64_e32 v[108:109], 0
	scratch_store_b64 off, v[108:109], off offset:304
	s_wait_loadcnt 0x0
	ds_store_b64 v1, v[106:107]
.LBB51_249:
	s_wait_xcnt 0x0
	s_or_b32 exec_lo, exec_lo, s0
	s_wait_storecnt_dscnt 0x0
	s_barrier_signal -1
	s_barrier_wait -1
	s_clause 0x7
	scratch_load_b128 v[106:109], off, off offset:312
	scratch_load_b128 v[110:113], off, off offset:328
	;; [unrolled: 1-line block ×6, first 2 shown]
	scratch_load_b64 v[154:155], off, off offset:408
	scratch_load_b64 v[156:157], off, off offset:304
	v_mov_b32_e32 v5, 0
	ds_load_2addr_b64 v[130:133], v5 offset0:95 offset1:96
	ds_load_2addr_b64 v[134:137], v5 offset0:97 offset1:98
	;; [unrolled: 1-line block ×6, first 2 shown]
	ds_load_b64 v[158:159], v5 offset:824
	s_mov_b32 s0, exec_lo
	s_wait_dscnt 0x6
	v_dual_mov_b32 v160, v133 :: v_dual_mov_b32 v161, v132
	s_wait_dscnt 0x3
	v_dual_mov_b32 v162, v137 :: v_dual_mov_b32 v167, v144
	v_dual_mov_b32 v163, v136 :: v_dual_mov_b32 v164, v141
	;; [unrolled: 1-line block ×3, first 2 shown]
	s_wait_loadcnt_dscnt 0x702
	v_dual_mul_f32 v9, v146, v107 :: v_dual_mul_f32 v15, v147, v107
	v_dual_mul_f32 v17, v149, v109 :: v_dual_mul_f32 v11, v148, v109
	s_wait_loadcnt_dscnt 0x601
	s_delay_alu instid0(VALU_DEP_2) | instskip(NEXT) | instid1(VALU_DEP_3)
	v_dual_mul_f32 v13, v150, v111 :: v_dual_fmac_f32 v9, v147, v106
	v_dual_fma_f32 v15, v146, v106, -v15 :: v_dual_mul_f32 v19, v151, v111
	v_mul_f32_e32 v21, v153, v113
	s_wait_loadcnt 0x4
	v_dual_mov_b32 v106, v121 :: v_dual_fma_f32 v17, v148, v108, -v17
	v_dual_fmac_f32 v11, v149, v108 :: v_dual_add_f32 v9, 0, v9
	v_dual_add_f32 v15, 0, v15 :: v_dual_fmac_f32 v13, v151, v110
	v_dual_mul_f32 v169, v152, v113 :: v_dual_mul_f32 v171, v130, v115
	v_dual_mul_f32 v23, v131, v115 :: v_dual_mov_b32 v170, v117
	s_delay_alu instid0(VALU_DEP_4) | instskip(NEXT) | instid1(VALU_DEP_3)
	v_dual_fma_f32 v19, v150, v110, -v19 :: v_dual_add_f32 v9, v9, v11
	v_dual_add_f32 v11, v15, v17 :: v_dual_fmac_f32 v169, v153, v112
	v_pk_mul_f32 v[172:173], v[134:135], v[118:119] op_sel:[1,1] op_sel_hi:[0,1]
	s_delay_alu instid0(VALU_DEP_3)
	v_dual_fma_f32 v168, v152, v112, -v21 :: v_dual_add_f32 v113, v9, v13
	v_pk_mul_f32 v[110:111], v[160:161], v[170:171] op_sel_hi:[1,0]
	s_wait_loadcnt 0x3
	v_dual_add_f32 v112, v11, v19 :: v_dual_mov_b32 v146, v125
	v_fmac_f32_e32 v171, v131, v114
	v_fma_f32 v170, v130, v114, -v23
	v_pk_fma_f32 v[114:115], v[132:133], v[116:117], v[110:111] op_sel_hi:[1,0,1]
	s_delay_alu instid0(VALU_DEP_4) | instskip(SKIP_4) | instid1(VALU_DEP_4)
	v_pk_add_f32 v[112:113], v[112:113], v[168:169]
	v_pk_fma_f32 v[130:131], v[134:135], v[118:119], v[172:173] op_sel_hi:[1,0,1]
	v_pk_fma_f32 v[110:111], v[132:133], v[116:117], v[110:111] neg_lo:[0,0,1] neg_hi:[0,0,1]
	v_pk_fma_f32 v[116:117], v[134:135], v[118:119], v[172:173] neg_lo:[0,0,1] neg_hi:[0,0,1]
	v_pk_mul_f32 v[106:107], v[162:163], v[106:107] op_sel_hi:[1,0]
	v_dual_mov_b32 v111, v115 :: v_dual_mov_b32 v117, v131
	v_pk_add_f32 v[112:113], v[112:113], v[170:171]
	v_pk_mul_f32 v[108:109], v[138:139], v[122:123] op_sel:[1,1] op_sel_hi:[0,1]
	s_delay_alu instid0(VALU_DEP_4)
	v_pk_fma_f32 v[118:119], v[136:137], v[120:121], v[106:107] op_sel_hi:[1,0,1]
	v_pk_fma_f32 v[106:107], v[136:137], v[120:121], v[106:107] neg_lo:[0,0,1] neg_hi:[0,0,1]
	v_pk_mul_f32 v[130:131], v[164:165], v[146:147] op_sel_hi:[1,0]
	v_pk_add_f32 v[110:111], v[112:113], v[110:111]
	v_pk_fma_f32 v[112:113], v[138:139], v[122:123], v[108:109] op_sel_hi:[1,0,1]
	s_wait_loadcnt 0x2
	v_dual_mov_b32 v107, v119 :: v_dual_mov_b32 v112, v129
	v_pk_fma_f32 v[108:109], v[138:139], v[122:123], v[108:109] neg_lo:[0,0,1] neg_hi:[0,0,1]
	v_pk_add_f32 v[110:111], v[110:111], v[116:117]
	v_pk_mul_f32 v[114:115], v[142:143], v[126:127] op_sel:[1,1] op_sel_hi:[0,1]
	v_pk_fma_f32 v[116:117], v[140:141], v[124:125], v[130:131] op_sel_hi:[1,0,1]
	v_mov_b32_e32 v109, v113
	v_pk_fma_f32 v[118:119], v[140:141], v[124:125], v[130:131] neg_lo:[0,0,1] neg_hi:[0,0,1]
	v_pk_add_f32 v[106:107], v[110:111], v[106:107]
	v_pk_fma_f32 v[110:111], v[142:143], v[126:127], v[114:115] op_sel_hi:[1,0,1]
	v_pk_mul_f32 v[112:113], v[166:167], v[112:113] op_sel_hi:[1,0]
	v_mov_b32_e32 v119, v117
	s_delay_alu instid0(VALU_DEP_4)
	v_pk_add_f32 v[106:107], v[106:107], v[108:109]
	v_pk_fma_f32 v[108:109], v[142:143], v[126:127], v[114:115] neg_lo:[0,0,1] neg_hi:[0,0,1]
	v_mov_b32_e32 v109, v111
	v_pk_fma_f32 v[110:111], v[144:145], v[128:129], v[112:113] op_sel_hi:[1,0,1]
	s_wait_loadcnt_dscnt 0x100
	v_pk_mul_f32 v[114:115], v[158:159], v[154:155] op_sel:[1,1] op_sel_hi:[0,1]
	v_pk_add_f32 v[106:107], v[106:107], v[118:119]
	v_pk_fma_f32 v[112:113], v[144:145], v[128:129], v[112:113] neg_lo:[0,0,1] neg_hi:[0,0,1]
	v_mov_b32_e32 v113, v111
	s_delay_alu instid0(VALU_DEP_4) | instskip(NEXT) | instid1(VALU_DEP_4)
	v_pk_fma_f32 v[110:111], v[158:159], v[154:155], v[114:115] neg_lo:[0,0,1] neg_hi:[0,0,1]
	v_pk_add_f32 v[106:107], v[106:107], v[108:109]
	v_pk_fma_f32 v[108:109], v[158:159], v[154:155], v[114:115] op_sel_hi:[1,0,1]
	s_delay_alu instid0(VALU_DEP_2) | instskip(NEXT) | instid1(VALU_DEP_2)
	v_pk_add_f32 v[106:107], v[106:107], v[112:113]
	v_mov_b32_e32 v111, v109
	s_delay_alu instid0(VALU_DEP_1) | instskip(SKIP_1) | instid1(VALU_DEP_1)
	v_pk_add_f32 v[106:107], v[106:107], v[110:111]
	s_wait_loadcnt 0x0
	v_pk_add_f32 v[106:107], v[156:157], v[106:107] neg_lo:[0,1] neg_hi:[0,1]
	scratch_store_b64 off, v[106:107], off offset:304
	s_wait_xcnt 0x0
	v_cmpx_lt_u32_e32 37, v0
	s_cbranch_execz .LBB51_251
; %bb.250:
	scratch_load_b64 v[106:107], off, off offset:296
	v_mov_b64_e32 v[108:109], 0
	scratch_store_b64 off, v[108:109], off offset:296
	s_wait_loadcnt 0x0
	ds_store_b64 v1, v[106:107]
.LBB51_251:
	s_wait_xcnt 0x0
	s_or_b32 exec_lo, exec_lo, s0
	s_wait_storecnt_dscnt 0x0
	s_barrier_signal -1
	s_barrier_wait -1
	s_clause 0x7
	scratch_load_b128 v[106:109], off, off offset:304
	scratch_load_b128 v[110:113], off, off offset:320
	;; [unrolled: 1-line block ×7, first 2 shown]
	scratch_load_b64 v[162:163], off, off offset:296
	ds_load_b128 v[134:137], v5 offset:768
	ds_load_b128 v[138:141], v5 offset:784
	;; [unrolled: 1-line block ×7, first 2 shown]
	s_mov_b32 s0, exec_lo
	s_wait_dscnt 0x6
	v_dual_mov_b32 v164, v137 :: v_dual_mov_b32 v165, v136
	s_wait_dscnt 0x5
	v_dual_mov_b32 v166, v141 :: v_dual_mov_b32 v167, v140
	;; [unrolled: 2-line block ×4, first 2 shown]
	s_wait_loadcnt_dscnt 0x702
	v_dual_mul_f32 v5, v150, v107 :: v_dual_mul_f32 v9, v152, v109
	v_dual_mul_f32 v15, v151, v107 :: v_dual_mul_f32 v17, v153, v109
	s_wait_loadcnt_dscnt 0x601
	v_dual_mul_f32 v11, v154, v111 :: v_dual_mul_f32 v13, v156, v113
	s_delay_alu instid0(VALU_DEP_2) | instskip(SKIP_1) | instid1(VALU_DEP_2)
	v_dual_fmac_f32 v5, v151, v106 :: v_dual_fma_f32 v15, v150, v106, -v15
	v_dual_mul_f32 v19, v155, v111 :: v_dual_mul_f32 v21, v157, v113
	v_dual_fmac_f32 v9, v153, v108 :: v_dual_add_f32 v5, 0, v5
	s_delay_alu instid0(VALU_DEP_3) | instskip(SKIP_2) | instid1(VALU_DEP_3)
	v_dual_fma_f32 v17, v152, v108, -v17 :: v_dual_add_f32 v15, 0, v15
	s_wait_loadcnt 0x4
	v_dual_mov_b32 v108, v121 :: v_dual_fmac_f32 v11, v155, v110
	v_dual_fma_f32 v19, v154, v110, -v19 :: v_dual_add_f32 v5, v5, v9
	s_delay_alu instid0(VALU_DEP_3)
	v_dual_add_f32 v9, v15, v17 :: v_dual_fmac_f32 v13, v157, v112
	s_wait_dscnt 0x0
	v_dual_mul_f32 v173, v158, v115 :: v_dual_mul_f32 v175, v160, v117
	v_dual_mul_f32 v23, v159, v115 :: v_dual_mul_f32 v25, v161, v117
	v_pk_mul_f32 v[106:107], v[134:135], v[118:119] op_sel:[1,1] op_sel_hi:[0,1]
	s_wait_loadcnt 0x3
	v_pk_mul_f32 v[110:111], v[138:139], v[122:123] op_sel:[1,1] op_sel_hi:[0,1]
	v_dual_fma_f32 v15, v156, v112, -v21 :: v_dual_add_f32 v5, v5, v11
	v_dual_add_f32 v9, v9, v19 :: v_dual_fmac_f32 v173, v159, v114
	v_dual_mov_b32 v112, v125 :: v_dual_fma_f32 v172, v158, v114, -v23
	s_delay_alu instid0(VALU_DEP_3)
	v_dual_add_f32 v115, v5, v13 :: v_dual_fma_f32 v174, v160, v116, -v25
	v_fmac_f32_e32 v175, v161, v116
	v_pk_fma_f32 v[116:117], v[134:135], v[118:119], v[106:107] op_sel_hi:[1,0,1]
	v_pk_fma_f32 v[106:107], v[134:135], v[118:119], v[106:107] neg_lo:[0,0,1] neg_hi:[0,0,1]
	v_pk_fma_f32 v[118:119], v[138:139], v[122:123], v[110:111] op_sel_hi:[1,0,1]
	v_add_f32_e32 v114, v9, v15
	v_pk_fma_f32 v[110:111], v[138:139], v[122:123], v[110:111] neg_lo:[0,0,1] neg_hi:[0,0,1]
	v_pk_mul_f32 v[108:109], v[164:165], v[108:109] op_sel_hi:[1,0]
	s_delay_alu instid0(VALU_DEP_4) | instskip(NEXT) | instid1(VALU_DEP_4)
	v_dual_mov_b32 v107, v117 :: v_dual_mov_b32 v111, v119
	v_pk_add_f32 v[114:115], v[114:115], v[172:173]
	v_pk_mul_f32 v[112:113], v[166:167], v[112:113] op_sel_hi:[1,0]
	s_delay_alu instid0(VALU_DEP_4)
	v_pk_fma_f32 v[116:117], v[136:137], v[120:121], v[108:109] op_sel_hi:[1,0,1]
	v_pk_fma_f32 v[108:109], v[136:137], v[120:121], v[108:109] neg_lo:[0,0,1] neg_hi:[0,0,1]
	s_wait_loadcnt 0x2
	v_pk_mul_f32 v[150:151], v[142:143], v[126:127] op_sel:[1,1] op_sel_hi:[0,1]
	v_pk_add_f32 v[114:115], v[114:115], v[174:175]
	v_mov_b32_e32 v109, v117
	v_pk_fma_f32 v[116:117], v[140:141], v[124:125], v[112:113] op_sel_hi:[1,0,1]
	v_pk_fma_f32 v[112:113], v[140:141], v[124:125], v[112:113] neg_lo:[0,0,1] neg_hi:[0,0,1]
	s_delay_alu instid0(VALU_DEP_4) | instskip(NEXT) | instid1(VALU_DEP_3)
	v_pk_add_f32 v[106:107], v[114:115], v[106:107]
	v_dual_mov_b32 v114, v129 :: v_dual_mov_b32 v113, v117
	v_pk_fma_f32 v[116:117], v[142:143], v[126:127], v[150:151] neg_lo:[0,0,1] neg_hi:[0,0,1]
	s_delay_alu instid0(VALU_DEP_3) | instskip(SKIP_1) | instid1(VALU_DEP_4)
	v_pk_add_f32 v[106:107], v[106:107], v[108:109]
	v_pk_fma_f32 v[108:109], v[142:143], v[126:127], v[150:151] op_sel_hi:[1,0,1]
	v_pk_mul_f32 v[114:115], v[168:169], v[114:115] op_sel_hi:[1,0]
	s_delay_alu instid0(VALU_DEP_3) | instskip(NEXT) | instid1(VALU_DEP_3)
	v_pk_add_f32 v[106:107], v[106:107], v[110:111]
	v_mov_b32_e32 v117, v109
	s_delay_alu instid0(VALU_DEP_3)
	v_pk_fma_f32 v[108:109], v[144:145], v[128:129], v[114:115] op_sel_hi:[1,0,1]
	s_wait_loadcnt 0x1
	v_pk_mul_f32 v[110:111], v[146:147], v[130:131] op_sel:[1,1] op_sel_hi:[0,1]
	v_mov_b32_e32 v108, v133
	v_pk_add_f32 v[106:107], v[106:107], v[112:113]
	v_pk_fma_f32 v[114:115], v[144:145], v[128:129], v[114:115] neg_lo:[0,0,1] neg_hi:[0,0,1]
	s_delay_alu instid0(VALU_DEP_4) | instskip(SKIP_1) | instid1(VALU_DEP_4)
	v_pk_fma_f32 v[112:113], v[146:147], v[130:131], v[110:111] op_sel_hi:[1,0,1]
	v_mov_b32_e32 v115, v109
	v_pk_add_f32 v[106:107], v[106:107], v[116:117]
	v_pk_mul_f32 v[108:109], v[170:171], v[108:109] op_sel_hi:[1,0]
	v_pk_fma_f32 v[110:111], v[146:147], v[130:131], v[110:111] neg_lo:[0,0,1] neg_hi:[0,0,1]
	v_mov_b32_e32 v111, v113
	s_delay_alu instid0(VALU_DEP_4) | instskip(NEXT) | instid1(VALU_DEP_4)
	v_pk_add_f32 v[106:107], v[106:107], v[114:115]
	v_pk_fma_f32 v[112:113], v[148:149], v[132:133], v[108:109] op_sel_hi:[1,0,1]
	v_pk_fma_f32 v[108:109], v[148:149], v[132:133], v[108:109] neg_lo:[0,0,1] neg_hi:[0,0,1]
	s_delay_alu instid0(VALU_DEP_3) | instskip(NEXT) | instid1(VALU_DEP_3)
	v_pk_add_f32 v[106:107], v[106:107], v[110:111]
	v_mov_b32_e32 v109, v113
	s_delay_alu instid0(VALU_DEP_1) | instskip(SKIP_1) | instid1(VALU_DEP_1)
	v_pk_add_f32 v[106:107], v[106:107], v[108:109]
	s_wait_loadcnt 0x0
	v_pk_add_f32 v[106:107], v[162:163], v[106:107] neg_lo:[0,1] neg_hi:[0,1]
	scratch_store_b64 off, v[106:107], off offset:296
	s_wait_xcnt 0x0
	v_cmpx_lt_u32_e32 36, v0
	s_cbranch_execz .LBB51_253
; %bb.252:
	scratch_load_b64 v[106:107], off, off offset:288
	v_mov_b64_e32 v[108:109], 0
	scratch_store_b64 off, v[108:109], off offset:288
	s_wait_loadcnt 0x0
	ds_store_b64 v1, v[106:107]
.LBB51_253:
	s_wait_xcnt 0x0
	s_or_b32 exec_lo, exec_lo, s0
	s_wait_storecnt_dscnt 0x0
	s_barrier_signal -1
	s_barrier_wait -1
	s_clause 0x8
	scratch_load_b128 v[106:109], off, off offset:296
	scratch_load_b128 v[110:113], off, off offset:312
	;; [unrolled: 1-line block ×7, first 2 shown]
	scratch_load_b64 v[162:163], off, off offset:408
	scratch_load_b64 v[164:165], off, off offset:288
	v_mov_b32_e32 v5, 0
	ds_load_2addr_b64 v[134:137], v5 offset0:95 offset1:96
	ds_load_2addr_b64 v[138:141], v5 offset0:97 offset1:98
	ds_load_2addr_b64 v[142:145], v5 offset0:99 offset1:100
	ds_load_2addr_b64 v[146:149], v5 offset0:101 offset1:102
	ds_load_2addr_b64 v[150:153], v5 offset0:89 offset1:90
	ds_load_2addr_b64 v[154:157], v5 offset0:91 offset1:92
	ds_load_2addr_b64 v[158:161], v5 offset0:93 offset1:94
	ds_load_b64 v[166:167], v5 offset:824
	s_mov_b32 s0, exec_lo
	s_wait_dscnt 0x7
	v_dual_mov_b32 v168, v137 :: v_dual_mov_b32 v169, v136
	s_wait_dscnt 0x4
	v_dual_mov_b32 v170, v141 :: v_dual_mov_b32 v175, v148
	v_dual_mov_b32 v171, v140 :: v_dual_mov_b32 v172, v145
	;; [unrolled: 1-line block ×3, first 2 shown]
	s_wait_loadcnt_dscnt 0x803
	v_dual_mul_f32 v9, v150, v107 :: v_dual_mul_f32 v19, v151, v107
	v_dual_mul_f32 v21, v153, v109 :: v_dual_mul_f32 v11, v152, v109
	s_wait_loadcnt_dscnt 0x702
	v_mul_f32_e32 v13, v154, v111
	s_wait_loadcnt 0x5
	v_dual_mul_f32 v31, v135, v119 :: v_dual_fma_f32 v19, v150, v106, -v19
	v_dual_fmac_f32 v9, v151, v106 :: v_dual_mov_b32 v106, v121
	v_dual_mul_f32 v23, v155, v111 :: v_dual_mul_f32 v25, v157, v113
	v_dual_fmac_f32 v11, v153, v108 :: v_dual_fma_f32 v21, v152, v108, -v21
	s_delay_alu instid0(VALU_DEP_3) | instskip(SKIP_3) | instid1(VALU_DEP_3)
	v_dual_add_f32 v9, 0, v9 :: v_dual_add_f32 v19, 0, v19
	s_wait_dscnt 0x1
	v_dual_mul_f32 v15, v156, v113 :: v_dual_mul_f32 v17, v158, v115
	v_dual_fmac_f32 v13, v155, v110 :: v_dual_fma_f32 v23, v154, v110, -v23
	v_dual_add_f32 v9, v9, v11 :: v_dual_add_f32 v11, v19, v21
	v_dual_mul_f32 v27, v159, v115 :: v_dual_mul_f32 v29, v161, v117
	s_wait_loadcnt 0x4
	v_dual_mov_b32 v110, v125 :: v_dual_fma_f32 v19, v156, v112, -v25
	s_delay_alu instid0(VALU_DEP_3) | instskip(SKIP_2) | instid1(VALU_DEP_2)
	v_dual_fmac_f32 v15, v157, v112 :: v_dual_add_f32 v11, v11, v23
	v_dual_add_f32 v9, v9, v13 :: v_dual_fmac_f32 v17, v159, v114
	v_dual_mul_f32 v177, v160, v117 :: v_dual_mul_f32 v179, v134, v119
	v_dual_fma_f32 v13, v158, v114, -v27 :: v_dual_add_f32 v9, v9, v15
	s_delay_alu instid0(VALU_DEP_2) | instskip(SKIP_1) | instid1(VALU_DEP_3)
	v_dual_add_f32 v11, v11, v19 :: v_dual_fmac_f32 v177, v161, v116
	v_pk_mul_f32 v[108:109], v[138:139], v[122:123] op_sel:[1,1] op_sel_hi:[0,1]
	v_dual_fma_f32 v176, v160, v116, -v29 :: v_dual_add_f32 v115, v9, v17
	v_pk_mul_f32 v[106:107], v[168:169], v[106:107] op_sel_hi:[1,0]
	s_wait_loadcnt 0x3
	v_dual_add_f32 v114, v11, v13 :: v_dual_mov_b32 v116, v129
	v_fmac_f32_e32 v179, v135, v118
	v_fma_f32 v178, v134, v118, -v31
	v_pk_fma_f32 v[118:119], v[136:137], v[120:121], v[106:107] op_sel_hi:[1,0,1]
	s_delay_alu instid0(VALU_DEP_4) | instskip(SKIP_4) | instid1(VALU_DEP_4)
	v_pk_add_f32 v[114:115], v[114:115], v[176:177]
	v_pk_fma_f32 v[134:135], v[138:139], v[122:123], v[108:109] op_sel_hi:[1,0,1]
	v_pk_fma_f32 v[106:107], v[136:137], v[120:121], v[106:107] neg_lo:[0,0,1] neg_hi:[0,0,1]
	v_pk_fma_f32 v[108:109], v[138:139], v[122:123], v[108:109] neg_lo:[0,0,1] neg_hi:[0,0,1]
	v_pk_mul_f32 v[110:111], v[170:171], v[110:111] op_sel_hi:[1,0]
	v_dual_mov_b32 v107, v119 :: v_dual_mov_b32 v109, v135
	v_pk_add_f32 v[114:115], v[114:115], v[178:179]
	v_pk_mul_f32 v[112:113], v[142:143], v[126:127] op_sel:[1,1] op_sel_hi:[0,1]
	s_delay_alu instid0(VALU_DEP_4)
	v_pk_fma_f32 v[120:121], v[140:141], v[124:125], v[110:111] op_sel_hi:[1,0,1]
	v_pk_fma_f32 v[110:111], v[140:141], v[124:125], v[110:111] neg_lo:[0,0,1] neg_hi:[0,0,1]
	v_pk_mul_f32 v[116:117], v[172:173], v[116:117] op_sel_hi:[1,0]
	v_pk_add_f32 v[106:107], v[114:115], v[106:107]
	v_pk_fma_f32 v[114:115], v[142:143], v[126:127], v[112:113] op_sel_hi:[1,0,1]
	v_mov_b32_e32 v111, v121
	v_pk_fma_f32 v[112:113], v[142:143], v[126:127], v[112:113] neg_lo:[0,0,1] neg_hi:[0,0,1]
	s_wait_loadcnt 0x2
	v_pk_mul_f32 v[118:119], v[146:147], v[130:131] op_sel:[1,1] op_sel_hi:[0,1]
	v_pk_add_f32 v[106:107], v[106:107], v[108:109]
	v_dual_mov_b32 v108, v133 :: v_dual_mov_b32 v113, v115
	v_pk_fma_f32 v[114:115], v[144:145], v[128:129], v[116:117] op_sel_hi:[1,0,1]
	v_pk_fma_f32 v[116:117], v[144:145], v[128:129], v[116:117] neg_lo:[0,0,1] neg_hi:[0,0,1]
	s_delay_alu instid0(VALU_DEP_4)
	v_pk_add_f32 v[106:107], v[106:107], v[110:111]
	v_pk_fma_f32 v[110:111], v[146:147], v[130:131], v[118:119] op_sel_hi:[1,0,1]
	v_pk_mul_f32 v[108:109], v[174:175], v[108:109] op_sel_hi:[1,0]
	v_mov_b32_e32 v117, v115
	s_wait_loadcnt_dscnt 0x100
	v_pk_mul_f32 v[114:115], v[166:167], v[162:163] op_sel:[1,1] op_sel_hi:[0,1]
	v_pk_add_f32 v[106:107], v[106:107], v[112:113]
	v_pk_fma_f32 v[112:113], v[146:147], v[130:131], v[118:119] neg_lo:[0,0,1] neg_hi:[0,0,1]
	v_mov_b32_e32 v113, v111
	v_pk_fma_f32 v[110:111], v[148:149], v[132:133], v[108:109] op_sel_hi:[1,0,1]
	v_pk_fma_f32 v[108:109], v[148:149], v[132:133], v[108:109] neg_lo:[0,0,1] neg_hi:[0,0,1]
	v_pk_add_f32 v[106:107], v[106:107], v[116:117]
	s_delay_alu instid0(VALU_DEP_3) | instskip(SKIP_1) | instid1(VALU_DEP_3)
	v_mov_b32_e32 v109, v111
	v_pk_fma_f32 v[110:111], v[166:167], v[162:163], v[114:115] op_sel_hi:[1,0,1]
	v_pk_add_f32 v[106:107], v[106:107], v[112:113]
	v_pk_fma_f32 v[112:113], v[166:167], v[162:163], v[114:115] neg_lo:[0,0,1] neg_hi:[0,0,1]
	s_delay_alu instid0(VALU_DEP_3) | instskip(NEXT) | instid1(VALU_DEP_3)
	v_mov_b32_e32 v113, v111
	v_pk_add_f32 v[106:107], v[106:107], v[108:109]
	s_delay_alu instid0(VALU_DEP_1) | instskip(SKIP_1) | instid1(VALU_DEP_1)
	v_pk_add_f32 v[106:107], v[106:107], v[112:113]
	s_wait_loadcnt 0x0
	v_pk_add_f32 v[106:107], v[164:165], v[106:107] neg_lo:[0,1] neg_hi:[0,1]
	scratch_store_b64 off, v[106:107], off offset:288
	s_wait_xcnt 0x0
	v_cmpx_lt_u32_e32 35, v0
	s_cbranch_execz .LBB51_255
; %bb.254:
	scratch_load_b64 v[106:107], off, off offset:280
	v_mov_b64_e32 v[108:109], 0
	scratch_store_b64 off, v[108:109], off offset:280
	s_wait_loadcnt 0x0
	ds_store_b64 v1, v[106:107]
.LBB51_255:
	s_wait_xcnt 0x0
	s_or_b32 exec_lo, exec_lo, s0
	s_wait_storecnt_dscnt 0x0
	s_barrier_signal -1
	s_barrier_wait -1
	s_clause 0x8
	scratch_load_b128 v[106:109], off, off offset:288
	scratch_load_b128 v[110:113], off, off offset:304
	;; [unrolled: 1-line block ×8, first 2 shown]
	scratch_load_b64 v[170:171], off, off offset:280
	ds_load_b128 v[138:141], v5 offset:768
	ds_load_b128 v[142:145], v5 offset:784
	;; [unrolled: 1-line block ×8, first 2 shown]
	s_mov_b32 s0, exec_lo
	s_wait_dscnt 0x7
	v_dual_mov_b32 v172, v141 :: v_dual_mov_b32 v173, v140
	s_wait_dscnt 0x6
	v_dual_mov_b32 v174, v145 :: v_dual_mov_b32 v175, v144
	;; [unrolled: 2-line block ×4, first 2 shown]
	s_wait_loadcnt_dscnt 0x803
	v_dual_mul_f32 v5, v154, v107 :: v_dual_mul_f32 v9, v156, v109
	v_dual_mul_f32 v19, v155, v107 :: v_dual_mul_f32 v21, v157, v109
	s_wait_loadcnt_dscnt 0x702
	v_dual_mul_f32 v11, v158, v111 :: v_dual_mul_f32 v13, v160, v113
	s_delay_alu instid0(VALU_DEP_2) | instskip(SKIP_3) | instid1(VALU_DEP_3)
	v_dual_fmac_f32 v5, v155, v106 :: v_dual_fma_f32 v19, v154, v106, -v19
	v_dual_mul_f32 v23, v159, v111 :: v_dual_mul_f32 v25, v161, v113
	s_wait_loadcnt_dscnt 0x500
	v_dual_mul_f32 v31, v167, v119 :: v_dual_fmac_f32 v9, v157, v108
	v_dual_fma_f32 v21, v156, v108, -v21 :: v_dual_add_f32 v5, 0, v5
	v_dual_add_f32 v19, 0, v19 :: v_dual_mul_f32 v33, v169, v121
	v_fmac_f32_e32 v11, v159, v110
	s_delay_alu instid0(VALU_DEP_3) | instskip(NEXT) | instid1(VALU_DEP_3)
	v_dual_fma_f32 v23, v158, v110, -v23 :: v_dual_add_f32 v5, v5, v9
	v_dual_add_f32 v9, v19, v21 :: v_dual_mul_f32 v15, v162, v115
	v_dual_mul_f32 v17, v164, v117 :: v_dual_mul_f32 v27, v163, v115
	v_mul_f32_e32 v29, v165, v117
	s_delay_alu instid0(VALU_DEP_3) | instskip(SKIP_1) | instid1(VALU_DEP_4)
	v_dual_fmac_f32 v13, v161, v112 :: v_dual_fmac_f32 v15, v163, v114
	v_dual_fma_f32 v19, v160, v112, -v25 :: v_dual_add_f32 v5, v5, v11
	v_dual_add_f32 v9, v9, v23 :: v_dual_fma_f32 v11, v162, v114, -v27
	v_dual_mul_f32 v181, v166, v119 :: v_dual_mul_f32 v183, v168, v121
	s_delay_alu instid0(VALU_DEP_3) | instskip(NEXT) | instid1(VALU_DEP_3)
	v_add_f32_e32 v5, v5, v13
	v_dual_add_f32 v9, v9, v19 :: v_dual_fma_f32 v180, v166, v118, -v31
	s_wait_loadcnt 0x4
	v_dual_mov_b32 v108, v125 :: v_dual_fma_f32 v13, v164, v116, -v29
	v_fmac_f32_e32 v17, v165, v116
	s_delay_alu instid0(VALU_DEP_3) | instskip(SKIP_2) | instid1(VALU_DEP_3)
	v_dual_add_f32 v9, v9, v11 :: v_dual_fmac_f32 v181, v167, v118
	v_dual_add_f32 v5, v5, v15 :: v_dual_fma_f32 v182, v168, v120, -v33
	v_pk_mul_f32 v[106:107], v[138:139], v[122:123] op_sel:[1,1] op_sel_hi:[0,1]
	v_add_f32_e32 v114, v9, v13
	v_fmac_f32_e32 v183, v169, v120
	s_delay_alu instid0(VALU_DEP_4)
	v_add_f32_e32 v115, v5, v17
	v_pk_mul_f32 v[108:109], v[172:173], v[108:109] op_sel_hi:[1,0]
	v_pk_fma_f32 v[116:117], v[138:139], v[122:123], v[106:107] op_sel_hi:[1,0,1]
	v_pk_fma_f32 v[106:107], v[138:139], v[122:123], v[106:107] neg_lo:[0,0,1] neg_hi:[0,0,1]
	s_wait_loadcnt 0x3
	v_pk_mul_f32 v[110:111], v[142:143], v[126:127] op_sel:[1,1] op_sel_hi:[0,1]
	v_pk_add_f32 v[114:115], v[114:115], v[180:181]
	v_dual_mov_b32 v112, v129 :: v_dual_mov_b32 v107, v117
	v_pk_fma_f32 v[116:117], v[140:141], v[124:125], v[108:109] op_sel_hi:[1,0,1]
	v_pk_fma_f32 v[108:109], v[140:141], v[124:125], v[108:109] neg_lo:[0,0,1] neg_hi:[0,0,1]
	s_delay_alu instid0(VALU_DEP_4)
	v_pk_add_f32 v[114:115], v[114:115], v[182:183]
	v_pk_fma_f32 v[120:121], v[142:143], v[126:127], v[110:111] op_sel_hi:[1,0,1]
	v_pk_mul_f32 v[112:113], v[174:175], v[112:113] op_sel_hi:[1,0]
	v_mov_b32_e32 v109, v117
	s_wait_loadcnt 0x2
	v_pk_mul_f32 v[118:119], v[146:147], v[130:131] op_sel:[1,1] op_sel_hi:[0,1]
	v_pk_add_f32 v[106:107], v[114:115], v[106:107]
	v_mov_b32_e32 v114, v133
	v_pk_fma_f32 v[110:111], v[142:143], v[126:127], v[110:111] neg_lo:[0,0,1] neg_hi:[0,0,1]
	v_pk_fma_f32 v[116:117], v[144:145], v[128:129], v[112:113] op_sel_hi:[1,0,1]
	v_mov_b32_e32 v111, v121
	v_pk_add_f32 v[106:107], v[106:107], v[108:109]
	v_pk_fma_f32 v[108:109], v[146:147], v[130:131], v[118:119] op_sel_hi:[1,0,1]
	v_pk_mul_f32 v[114:115], v[176:177], v[114:115] op_sel_hi:[1,0]
	v_pk_fma_f32 v[112:113], v[144:145], v[128:129], v[112:113] neg_lo:[0,0,1] neg_hi:[0,0,1]
	v_mov_b32_e32 v113, v117
	v_pk_add_f32 v[106:107], v[106:107], v[110:111]
	v_pk_fma_f32 v[116:117], v[146:147], v[130:131], v[118:119] neg_lo:[0,0,1] neg_hi:[0,0,1]
	v_mov_b32_e32 v117, v109
	v_pk_fma_f32 v[108:109], v[148:149], v[132:133], v[114:115] op_sel_hi:[1,0,1]
	s_wait_loadcnt 0x1
	v_pk_mul_f32 v[110:111], v[150:151], v[134:135] op_sel:[1,1] op_sel_hi:[0,1]
	v_pk_add_f32 v[106:107], v[106:107], v[112:113]
	v_mov_b32_e32 v108, v137
	v_pk_fma_f32 v[114:115], v[148:149], v[132:133], v[114:115] neg_lo:[0,0,1] neg_hi:[0,0,1]
	s_delay_alu instid0(VALU_DEP_4)
	v_pk_fma_f32 v[112:113], v[150:151], v[134:135], v[110:111] op_sel_hi:[1,0,1]
	v_mov_b32_e32 v115, v109
	v_pk_add_f32 v[106:107], v[106:107], v[116:117]
	v_pk_mul_f32 v[108:109], v[178:179], v[108:109] op_sel_hi:[1,0]
	v_pk_fma_f32 v[110:111], v[150:151], v[134:135], v[110:111] neg_lo:[0,0,1] neg_hi:[0,0,1]
	v_mov_b32_e32 v111, v113
	s_delay_alu instid0(VALU_DEP_4) | instskip(NEXT) | instid1(VALU_DEP_4)
	v_pk_add_f32 v[106:107], v[106:107], v[114:115]
	v_pk_fma_f32 v[112:113], v[152:153], v[136:137], v[108:109] op_sel_hi:[1,0,1]
	v_pk_fma_f32 v[108:109], v[152:153], v[136:137], v[108:109] neg_lo:[0,0,1] neg_hi:[0,0,1]
	s_delay_alu instid0(VALU_DEP_3) | instskip(NEXT) | instid1(VALU_DEP_3)
	v_pk_add_f32 v[106:107], v[106:107], v[110:111]
	v_mov_b32_e32 v109, v113
	s_delay_alu instid0(VALU_DEP_1) | instskip(SKIP_1) | instid1(VALU_DEP_1)
	v_pk_add_f32 v[106:107], v[106:107], v[108:109]
	s_wait_loadcnt 0x0
	v_pk_add_f32 v[106:107], v[170:171], v[106:107] neg_lo:[0,1] neg_hi:[0,1]
	scratch_store_b64 off, v[106:107], off offset:280
	s_wait_xcnt 0x0
	v_cmpx_lt_u32_e32 34, v0
	s_cbranch_execz .LBB51_257
; %bb.256:
	scratch_load_b64 v[106:107], off, off offset:272
	v_mov_b64_e32 v[108:109], 0
	scratch_store_b64 off, v[108:109], off offset:272
	s_wait_loadcnt 0x0
	ds_store_b64 v1, v[106:107]
.LBB51_257:
	s_wait_xcnt 0x0
	s_or_b32 exec_lo, exec_lo, s0
	s_wait_storecnt_dscnt 0x0
	s_barrier_signal -1
	s_barrier_wait -1
	s_clause 0x9
	scratch_load_b128 v[106:109], off, off offset:280
	scratch_load_b128 v[110:113], off, off offset:296
	;; [unrolled: 1-line block ×8, first 2 shown]
	scratch_load_b64 v[170:171], off, off offset:408
	scratch_load_b64 v[172:173], off, off offset:272
	v_mov_b32_e32 v5, 0
	ds_load_2addr_b64 v[138:141], v5 offset0:95 offset1:96
	ds_load_2addr_b64 v[142:145], v5 offset0:97 offset1:98
	;; [unrolled: 1-line block ×8, first 2 shown]
	ds_load_b64 v[174:175], v5 offset:824
	s_mov_b32 s0, exec_lo
	s_wait_dscnt 0x8
	v_dual_mov_b32 v176, v141 :: v_dual_mov_b32 v177, v140
	s_wait_dscnt 0x5
	v_dual_mov_b32 v178, v145 :: v_dual_mov_b32 v183, v152
	v_dual_mov_b32 v179, v144 :: v_dual_mov_b32 v180, v149
	;; [unrolled: 1-line block ×3, first 2 shown]
	s_wait_loadcnt_dscnt 0x904
	v_dual_mul_f32 v9, v154, v107 :: v_dual_mul_f32 v23, v155, v107
	v_dual_mul_f32 v25, v157, v109 :: v_dual_mul_f32 v11, v156, v109
	s_wait_loadcnt_dscnt 0x803
	v_mul_f32_e32 v13, v158, v111
	s_wait_loadcnt_dscnt 0x601
	v_dual_mul_f32 v35, v167, v119 :: v_dual_fma_f32 v23, v154, v106, -v23
	v_dual_fmac_f32 v9, v155, v106 :: v_dual_mul_f32 v37, v169, v121
	v_dual_mul_f32 v27, v159, v111 :: v_dual_mul_f32 v29, v161, v113
	v_dual_fmac_f32 v11, v157, v108 :: v_dual_fma_f32 v25, v156, v108, -v25
	s_delay_alu instid0(VALU_DEP_3) | instskip(SKIP_3) | instid1(VALU_DEP_3)
	v_dual_add_f32 v9, 0, v9 :: v_dual_add_f32 v23, 0, v23
	v_dual_mul_f32 v15, v160, v113 :: v_dual_mul_f32 v17, v162, v115
	s_wait_loadcnt 0x5
	v_dual_mul_f32 v39, v139, v123 :: v_dual_fma_f32 v27, v158, v110, -v27
	v_dual_fmac_f32 v13, v159, v110 :: v_dual_add_f32 v9, v9, v11
	v_dual_add_f32 v11, v23, v25 :: v_dual_mov_b32 v106, v125
	v_dual_mul_f32 v31, v163, v115 :: v_dual_mul_f32 v33, v165, v117
	v_dual_fmac_f32 v15, v161, v112 :: v_dual_fma_f32 v23, v160, v112, -v29
	s_delay_alu instid0(VALU_DEP_3) | instskip(SKIP_1) | instid1(VALU_DEP_4)
	v_dual_add_f32 v9, v9, v13 :: v_dual_add_f32 v11, v11, v27
	v_dual_mul_f32 v19, v164, v117 :: v_dual_mul_f32 v21, v166, v119
	v_dual_fmac_f32 v17, v163, v114 :: v_dual_fma_f32 v13, v162, v114, -v31
	s_delay_alu instid0(VALU_DEP_3) | instskip(SKIP_3) | instid1(VALU_DEP_3)
	v_dual_add_f32 v9, v9, v15 :: v_dual_fma_f32 v15, v164, v116, -v33
	s_wait_loadcnt 0x4
	v_dual_add_f32 v11, v11, v23 :: v_dual_mov_b32 v110, v129
	v_fmac_f32_e32 v19, v165, v116
	v_dual_add_f32 v9, v9, v17 :: v_dual_fmac_f32 v21, v167, v118
	s_delay_alu instid0(VALU_DEP_3) | instskip(SKIP_1) | instid1(VALU_DEP_3)
	v_add_f32_e32 v11, v11, v13
	v_dual_mul_f32 v185, v168, v121 :: v_dual_mul_f32 v187, v138, v123
	v_dual_fma_f32 v13, v166, v118, -v35 :: v_dual_add_f32 v9, v9, v19
	s_delay_alu instid0(VALU_DEP_2) | instskip(SKIP_1) | instid1(VALU_DEP_3)
	v_dual_add_f32 v11, v11, v15 :: v_dual_fmac_f32 v185, v169, v120
	v_pk_mul_f32 v[108:109], v[142:143], v[126:127] op_sel:[1,1] op_sel_hi:[0,1]
	v_dual_fma_f32 v184, v168, v120, -v37 :: v_dual_add_f32 v115, v9, v21
	v_pk_mul_f32 v[106:107], v[176:177], v[106:107] op_sel_hi:[1,0]
	s_wait_loadcnt 0x3
	v_dual_add_f32 v114, v11, v13 :: v_dual_mov_b32 v116, v133
	v_pk_fma_f32 v[120:121], v[142:143], v[126:127], v[108:109] op_sel_hi:[1,0,1]
	v_fmac_f32_e32 v187, v139, v122
	v_pk_fma_f32 v[118:119], v[140:141], v[124:125], v[106:107] op_sel_hi:[1,0,1]
	v_fma_f32 v186, v138, v122, -v39
	v_pk_add_f32 v[114:115], v[114:115], v[184:185]
	v_pk_fma_f32 v[106:107], v[140:141], v[124:125], v[106:107] neg_lo:[0,0,1] neg_hi:[0,0,1]
	v_pk_fma_f32 v[108:109], v[142:143], v[126:127], v[108:109] neg_lo:[0,0,1] neg_hi:[0,0,1]
	v_pk_mul_f32 v[110:111], v[178:179], v[110:111] op_sel_hi:[1,0]
	v_dual_mov_b32 v107, v119 :: v_dual_mov_b32 v109, v121
	v_pk_add_f32 v[114:115], v[114:115], v[186:187]
	v_pk_mul_f32 v[112:113], v[146:147], v[130:131] op_sel:[1,1] op_sel_hi:[0,1]
	s_delay_alu instid0(VALU_DEP_4)
	v_pk_fma_f32 v[120:121], v[144:145], v[128:129], v[110:111] op_sel_hi:[1,0,1]
	v_pk_fma_f32 v[110:111], v[144:145], v[128:129], v[110:111] neg_lo:[0,0,1] neg_hi:[0,0,1]
	v_pk_mul_f32 v[116:117], v[180:181], v[116:117] op_sel_hi:[1,0]
	v_pk_add_f32 v[106:107], v[114:115], v[106:107]
	v_pk_fma_f32 v[114:115], v[146:147], v[130:131], v[112:113] op_sel_hi:[1,0,1]
	v_mov_b32_e32 v111, v121
	v_pk_fma_f32 v[112:113], v[146:147], v[130:131], v[112:113] neg_lo:[0,0,1] neg_hi:[0,0,1]
	s_wait_loadcnt 0x2
	v_pk_mul_f32 v[118:119], v[150:151], v[134:135] op_sel:[1,1] op_sel_hi:[0,1]
	v_pk_add_f32 v[106:107], v[106:107], v[108:109]
	v_dual_mov_b32 v108, v137 :: v_dual_mov_b32 v113, v115
	v_pk_fma_f32 v[114:115], v[148:149], v[132:133], v[116:117] op_sel_hi:[1,0,1]
	v_pk_fma_f32 v[116:117], v[148:149], v[132:133], v[116:117] neg_lo:[0,0,1] neg_hi:[0,0,1]
	s_delay_alu instid0(VALU_DEP_4)
	v_pk_add_f32 v[106:107], v[106:107], v[110:111]
	v_pk_fma_f32 v[110:111], v[150:151], v[134:135], v[118:119] op_sel_hi:[1,0,1]
	v_pk_mul_f32 v[108:109], v[182:183], v[108:109] op_sel_hi:[1,0]
	v_mov_b32_e32 v117, v115
	s_wait_loadcnt_dscnt 0x100
	v_pk_mul_f32 v[114:115], v[174:175], v[170:171] op_sel:[1,1] op_sel_hi:[0,1]
	v_pk_add_f32 v[106:107], v[106:107], v[112:113]
	v_pk_fma_f32 v[112:113], v[150:151], v[134:135], v[118:119] neg_lo:[0,0,1] neg_hi:[0,0,1]
	v_mov_b32_e32 v113, v111
	v_pk_fma_f32 v[110:111], v[152:153], v[136:137], v[108:109] op_sel_hi:[1,0,1]
	v_pk_fma_f32 v[108:109], v[152:153], v[136:137], v[108:109] neg_lo:[0,0,1] neg_hi:[0,0,1]
	v_pk_add_f32 v[106:107], v[106:107], v[116:117]
	s_delay_alu instid0(VALU_DEP_3) | instskip(SKIP_1) | instid1(VALU_DEP_3)
	v_mov_b32_e32 v109, v111
	v_pk_fma_f32 v[110:111], v[174:175], v[170:171], v[114:115] op_sel_hi:[1,0,1]
	v_pk_add_f32 v[106:107], v[106:107], v[112:113]
	v_pk_fma_f32 v[112:113], v[174:175], v[170:171], v[114:115] neg_lo:[0,0,1] neg_hi:[0,0,1]
	s_delay_alu instid0(VALU_DEP_3) | instskip(NEXT) | instid1(VALU_DEP_3)
	v_mov_b32_e32 v113, v111
	v_pk_add_f32 v[106:107], v[106:107], v[108:109]
	s_delay_alu instid0(VALU_DEP_1) | instskip(SKIP_1) | instid1(VALU_DEP_1)
	v_pk_add_f32 v[106:107], v[106:107], v[112:113]
	s_wait_loadcnt 0x0
	v_pk_add_f32 v[106:107], v[172:173], v[106:107] neg_lo:[0,1] neg_hi:[0,1]
	scratch_store_b64 off, v[106:107], off offset:272
	s_wait_xcnt 0x0
	v_cmpx_lt_u32_e32 33, v0
	s_cbranch_execz .LBB51_259
; %bb.258:
	scratch_load_b64 v[106:107], off, off offset:264
	v_mov_b64_e32 v[108:109], 0
	scratch_store_b64 off, v[108:109], off offset:264
	s_wait_loadcnt 0x0
	ds_store_b64 v1, v[106:107]
.LBB51_259:
	s_wait_xcnt 0x0
	s_or_b32 exec_lo, exec_lo, s0
	s_wait_storecnt_dscnt 0x0
	s_barrier_signal -1
	s_barrier_wait -1
	s_clause 0x9
	scratch_load_b128 v[106:109], off, off offset:272
	scratch_load_b128 v[110:113], off, off offset:288
	scratch_load_b128 v[114:117], off, off offset:304
	scratch_load_b128 v[118:121], off, off offset:320
	scratch_load_b128 v[122:125], off, off offset:336
	scratch_load_b128 v[126:129], off, off offset:352
	scratch_load_b128 v[130:133], off, off offset:368
	scratch_load_b128 v[134:137], off, off offset:384
	scratch_load_b128 v[138:141], off, off offset:400
	scratch_load_b64 v[178:179], off, off offset:264
	ds_load_b128 v[142:145], v5 offset:768
	ds_load_b128 v[146:149], v5 offset:784
	;; [unrolled: 1-line block ×9, first 2 shown]
	s_mov_b32 s0, exec_lo
	s_wait_dscnt 0x8
	v_dual_mov_b32 v180, v145 :: v_dual_mov_b32 v181, v144
	s_wait_dscnt 0x7
	v_dual_mov_b32 v182, v149 :: v_dual_mov_b32 v183, v148
	;; [unrolled: 2-line block ×4, first 2 shown]
	s_wait_loadcnt_dscnt 0x904
	v_dual_mul_f32 v5, v158, v107 :: v_dual_mul_f32 v9, v160, v109
	v_dual_mul_f32 v23, v159, v107 :: v_dual_mul_f32 v25, v161, v109
	s_wait_loadcnt_dscnt 0x803
	v_dual_mul_f32 v11, v162, v111 :: v_dual_mul_f32 v13, v164, v113
	s_delay_alu instid0(VALU_DEP_2) | instskip(SKIP_3) | instid1(VALU_DEP_3)
	v_dual_fmac_f32 v5, v159, v106 :: v_dual_fma_f32 v23, v158, v106, -v23
	v_dual_mul_f32 v27, v163, v111 :: v_dual_mul_f32 v29, v165, v113
	s_wait_loadcnt_dscnt 0x601
	v_dual_mul_f32 v35, v171, v119 :: v_dual_fmac_f32 v9, v161, v108
	v_dual_fma_f32 v25, v160, v108, -v25 :: v_dual_add_f32 v5, 0, v5
	v_dual_add_f32 v23, 0, v23 :: v_dual_mul_f32 v37, v173, v121
	v_fmac_f32_e32 v11, v163, v110
	s_delay_alu instid0(VALU_DEP_3) | instskip(NEXT) | instid1(VALU_DEP_3)
	v_dual_fma_f32 v27, v162, v110, -v27 :: v_dual_add_f32 v5, v5, v9
	v_dual_add_f32 v9, v23, v25 :: v_dual_mul_f32 v15, v166, v115
	v_dual_mul_f32 v17, v168, v117 :: v_dual_mul_f32 v31, v167, v115
	s_wait_loadcnt_dscnt 0x500
	v_dual_mul_f32 v33, v169, v117 :: v_dual_mul_f32 v23, v175, v123
	v_fmac_f32_e32 v13, v165, v112
	v_dual_fma_f32 v25, v164, v112, -v29 :: v_dual_add_f32 v5, v5, v11
	v_dual_add_f32 v9, v9, v27 :: v_dual_fmac_f32 v15, v167, v114
	v_dual_mul_f32 v19, v170, v119 :: v_dual_mul_f32 v21, v172, v121
	v_dual_mul_f32 v11, v177, v125 :: v_dual_fma_f32 v27, v166, v114, -v31
	s_delay_alu instid0(VALU_DEP_4) | instskip(NEXT) | instid1(VALU_DEP_3)
	v_dual_add_f32 v5, v5, v13 :: v_dual_fma_f32 v13, v168, v116, -v33
	v_dual_add_f32 v9, v9, v25 :: v_dual_fmac_f32 v19, v171, v118
	v_dual_mul_f32 v189, v174, v123 :: v_dual_mul_f32 v191, v176, v125
	v_fmac_f32_e32 v17, v169, v116
	s_delay_alu instid0(VALU_DEP_4) | instskip(NEXT) | instid1(VALU_DEP_3)
	v_add_f32_e32 v5, v5, v15
	v_dual_add_f32 v9, v9, v27 :: v_dual_fmac_f32 v189, v175, v122
	v_dual_fma_f32 v15, v170, v118, -v35 :: v_dual_fmac_f32 v21, v173, v120
	s_delay_alu instid0(VALU_DEP_2)
	v_dual_fma_f32 v188, v174, v122, -v23 :: v_dual_add_f32 v9, v9, v13
	v_fma_f32 v190, v176, v124, -v11
	v_dual_fma_f32 v13, v172, v120, -v37 :: v_dual_add_f32 v5, v5, v17
	s_wait_loadcnt 0x4
	v_pk_mul_f32 v[106:107], v[142:143], v[126:127] op_sel:[1,1] op_sel_hi:[0,1]
	v_add_f32_e32 v9, v9, v15
	s_wait_loadcnt 0x3
	v_dual_mov_b32 v108, v129 :: v_dual_mov_b32 v112, v133
	v_add_f32_e32 v5, v5, v19
	v_fmac_f32_e32 v191, v177, v124
	v_add_f32_e32 v114, v9, v13
	v_pk_fma_f32 v[116:117], v[142:143], v[126:127], v[106:107] op_sel_hi:[1,0,1]
	v_pk_mul_f32 v[108:109], v[180:181], v[108:109] op_sel_hi:[1,0]
	v_add_f32_e32 v115, v5, v21
	v_pk_fma_f32 v[106:107], v[142:143], v[126:127], v[106:107] neg_lo:[0,0,1] neg_hi:[0,0,1]
	v_pk_mul_f32 v[110:111], v[146:147], v[130:131] op_sel:[1,1] op_sel_hi:[0,1]
	v_mov_b32_e32 v107, v117
	v_pk_fma_f32 v[116:117], v[144:145], v[128:129], v[108:109] op_sel_hi:[1,0,1]
	v_pk_add_f32 v[114:115], v[114:115], v[188:189]
	v_pk_fma_f32 v[108:109], v[144:145], v[128:129], v[108:109] neg_lo:[0,0,1] neg_hi:[0,0,1]
	v_pk_fma_f32 v[120:121], v[146:147], v[130:131], v[110:111] op_sel_hi:[1,0,1]
	v_pk_mul_f32 v[112:113], v[182:183], v[112:113] op_sel_hi:[1,0]
	v_mov_b32_e32 v109, v117
	v_pk_add_f32 v[114:115], v[114:115], v[190:191]
	s_wait_loadcnt 0x2
	v_pk_mul_f32 v[118:119], v[150:151], v[134:135] op_sel:[1,1] op_sel_hi:[0,1]
	v_pk_fma_f32 v[110:111], v[146:147], v[130:131], v[110:111] neg_lo:[0,0,1] neg_hi:[0,0,1]
	v_mov_b32_e32 v111, v121
	v_pk_fma_f32 v[116:117], v[148:149], v[132:133], v[112:113] op_sel_hi:[1,0,1]
	v_pk_add_f32 v[106:107], v[114:115], v[106:107]
	v_mov_b32_e32 v114, v137
	v_pk_fma_f32 v[112:113], v[148:149], v[132:133], v[112:113] neg_lo:[0,0,1] neg_hi:[0,0,1]
	s_delay_alu instid0(VALU_DEP_3) | instskip(SKIP_1) | instid1(VALU_DEP_4)
	v_pk_add_f32 v[106:107], v[106:107], v[108:109]
	v_pk_fma_f32 v[108:109], v[150:151], v[134:135], v[118:119] op_sel_hi:[1,0,1]
	v_pk_mul_f32 v[114:115], v[184:185], v[114:115] op_sel_hi:[1,0]
	v_mov_b32_e32 v113, v117
	v_pk_fma_f32 v[116:117], v[150:151], v[134:135], v[118:119] neg_lo:[0,0,1] neg_hi:[0,0,1]
	v_pk_add_f32 v[106:107], v[106:107], v[110:111]
	v_mov_b32_e32 v117, v109
	v_pk_fma_f32 v[108:109], v[152:153], v[136:137], v[114:115] op_sel_hi:[1,0,1]
	s_wait_loadcnt 0x1
	v_pk_mul_f32 v[110:111], v[154:155], v[138:139] op_sel:[1,1] op_sel_hi:[0,1]
	v_mov_b32_e32 v108, v141
	v_pk_add_f32 v[106:107], v[106:107], v[112:113]
	v_pk_fma_f32 v[114:115], v[152:153], v[136:137], v[114:115] neg_lo:[0,0,1] neg_hi:[0,0,1]
	v_mov_b32_e32 v115, v109
	v_pk_fma_f32 v[112:113], v[154:155], v[138:139], v[110:111] op_sel_hi:[1,0,1]
	v_pk_mul_f32 v[108:109], v[186:187], v[108:109] op_sel_hi:[1,0]
	v_pk_add_f32 v[106:107], v[106:107], v[116:117]
	v_pk_fma_f32 v[110:111], v[154:155], v[138:139], v[110:111] neg_lo:[0,0,1] neg_hi:[0,0,1]
	s_delay_alu instid0(VALU_DEP_4) | instskip(NEXT) | instid1(VALU_DEP_4)
	v_mov_b32_e32 v111, v113
	v_pk_fma_f32 v[112:113], v[156:157], v[140:141], v[108:109] op_sel_hi:[1,0,1]
	s_delay_alu instid0(VALU_DEP_4) | instskip(SKIP_1) | instid1(VALU_DEP_3)
	v_pk_add_f32 v[106:107], v[106:107], v[114:115]
	v_pk_fma_f32 v[108:109], v[156:157], v[140:141], v[108:109] neg_lo:[0,0,1] neg_hi:[0,0,1]
	v_mov_b32_e32 v109, v113
	s_delay_alu instid0(VALU_DEP_3) | instskip(NEXT) | instid1(VALU_DEP_1)
	v_pk_add_f32 v[106:107], v[106:107], v[110:111]
	v_pk_add_f32 v[106:107], v[106:107], v[108:109]
	s_wait_loadcnt 0x0
	s_delay_alu instid0(VALU_DEP_1)
	v_pk_add_f32 v[106:107], v[178:179], v[106:107] neg_lo:[0,1] neg_hi:[0,1]
	scratch_store_b64 off, v[106:107], off offset:264
	s_wait_xcnt 0x0
	v_cmpx_lt_u32_e32 32, v0
	s_cbranch_execz .LBB51_261
; %bb.260:
	scratch_load_b64 v[106:107], off, off offset:256
	v_mov_b64_e32 v[108:109], 0
	scratch_store_b64 off, v[108:109], off offset:256
	s_wait_loadcnt 0x0
	ds_store_b64 v1, v[106:107]
.LBB51_261:
	s_wait_xcnt 0x0
	s_or_b32 exec_lo, exec_lo, s0
	s_wait_storecnt_dscnt 0x0
	s_barrier_signal -1
	s_barrier_wait -1
	s_clause 0xa
	scratch_load_b128 v[106:109], off, off offset:264
	scratch_load_b128 v[110:113], off, off offset:280
	;; [unrolled: 1-line block ×9, first 2 shown]
	scratch_load_b64 v[178:179], off, off offset:408
	scratch_load_b64 v[180:181], off, off offset:256
	v_mov_b32_e32 v5, 0
	ds_load_2addr_b64 v[142:145], v5 offset0:95 offset1:96
	ds_load_2addr_b64 v[146:149], v5 offset0:97 offset1:98
	;; [unrolled: 1-line block ×9, first 2 shown]
	ds_load_b64 v[182:183], v5 offset:824
	s_mov_b32 s0, exec_lo
	s_wait_dscnt 0x9
	v_dual_mov_b32 v184, v145 :: v_dual_mov_b32 v185, v144
	s_wait_dscnt 0x6
	v_dual_mov_b32 v186, v149 :: v_dual_mov_b32 v191, v156
	v_dual_mov_b32 v187, v148 :: v_dual_mov_b32 v188, v153
	;; [unrolled: 1-line block ×3, first 2 shown]
	s_wait_loadcnt_dscnt 0xa05
	v_dual_mul_f32 v9, v158, v107 :: v_dual_mul_f32 v27, v159, v107
	v_dual_mul_f32 v29, v161, v109 :: v_dual_mul_f32 v11, v160, v109
	s_wait_loadcnt_dscnt 0x904
	v_mul_f32_e32 v13, v162, v111
	s_wait_loadcnt_dscnt 0x702
	v_dual_mul_f32 v39, v171, v119 :: v_dual_fma_f32 v27, v158, v106, -v27
	v_dual_fmac_f32 v9, v159, v106 :: v_dual_mul_f32 v41, v173, v121
	v_dual_mul_f32 v31, v163, v111 :: v_dual_mul_f32 v33, v165, v113
	v_dual_fmac_f32 v11, v161, v108 :: v_dual_fma_f32 v29, v160, v108, -v29
	s_delay_alu instid0(VALU_DEP_3) | instskip(SKIP_3) | instid1(VALU_DEP_3)
	v_dual_add_f32 v9, 0, v9 :: v_dual_add_f32 v27, 0, v27
	v_dual_mul_f32 v15, v164, v113 :: v_dual_mul_f32 v17, v166, v115
	s_wait_loadcnt_dscnt 0x601
	v_dual_mul_f32 v43, v175, v123 :: v_dual_fma_f32 v31, v162, v110, -v31
	v_dual_fmac_f32 v13, v163, v110 :: v_dual_add_f32 v9, v9, v11
	s_delay_alu instid0(VALU_DEP_3) | instskip(SKIP_2) | instid1(VALU_DEP_3)
	v_dual_add_f32 v11, v27, v29 :: v_dual_fmac_f32 v15, v165, v112
	v_dual_mul_f32 v35, v167, v115 :: v_dual_mul_f32 v37, v169, v117
	v_dual_mul_f32 v27, v177, v125 :: v_dual_fma_f32 v29, v164, v112, -v33
	v_dual_add_f32 v9, v9, v13 :: v_dual_add_f32 v11, v11, v31
	v_dual_mul_f32 v19, v168, v117 :: v_dual_mul_f32 v21, v170, v119
	s_wait_loadcnt 0x5
	v_dual_mul_f32 v13, v143, v127 :: v_dual_fma_f32 v31, v166, v114, -v35
	s_delay_alu instid0(VALU_DEP_3) | instskip(SKIP_2) | instid1(VALU_DEP_2)
	v_dual_fmac_f32 v17, v167, v114 :: v_dual_add_f32 v9, v9, v15
	v_dual_add_f32 v11, v11, v29 :: v_dual_mov_b32 v106, v129
	v_dual_fmac_f32 v19, v169, v116 :: v_dual_fma_f32 v15, v168, v116, -v37
	v_dual_add_f32 v9, v9, v17 :: v_dual_add_f32 v11, v11, v31
	v_dual_mul_f32 v23, v172, v121 :: v_dual_mul_f32 v25, v174, v123
	v_dual_fmac_f32 v21, v171, v118 :: v_dual_fma_f32 v17, v170, v118, -v39
	s_delay_alu instid0(VALU_DEP_3) | instskip(SKIP_3) | instid1(VALU_DEP_3)
	v_add_f32_e32 v9, v9, v19
	s_wait_loadcnt 0x4
	v_dual_add_f32 v11, v11, v15 :: v_dual_mov_b32 v110, v133
	v_dual_fmac_f32 v23, v173, v120 :: v_dual_fma_f32 v15, v172, v120, -v41
	v_dual_add_f32 v9, v9, v21 :: v_dual_fmac_f32 v25, v175, v122
	s_delay_alu instid0(VALU_DEP_3) | instskip(SKIP_1) | instid1(VALU_DEP_3)
	v_add_f32_e32 v11, v11, v17
	v_dual_mul_f32 v193, v176, v125 :: v_dual_mul_f32 v195, v142, v127
	v_dual_fma_f32 v17, v174, v122, -v43 :: v_dual_add_f32 v9, v9, v23
	s_delay_alu instid0(VALU_DEP_2) | instskip(SKIP_2) | instid1(VALU_DEP_4)
	v_dual_add_f32 v11, v11, v15 :: v_dual_fmac_f32 v193, v177, v124
	v_fma_f32 v192, v176, v124, -v27
	v_pk_mul_f32 v[106:107], v[184:185], v[106:107] op_sel_hi:[1,0]
	v_add_f32_e32 v115, v9, v25
	s_wait_loadcnt 0x3
	v_dual_add_f32 v114, v11, v17 :: v_dual_mov_b32 v116, v137
	v_pk_mul_f32 v[108:109], v[146:147], v[130:131] op_sel:[1,1] op_sel_hi:[0,1]
	v_dual_fmac_f32 v195, v143, v126 :: v_dual_fma_f32 v194, v142, v126, -v13
	v_pk_fma_f32 v[118:119], v[144:145], v[128:129], v[106:107] op_sel_hi:[1,0,1]
	s_delay_alu instid0(VALU_DEP_4)
	v_pk_add_f32 v[114:115], v[114:115], v[192:193]
	v_pk_fma_f32 v[106:107], v[144:145], v[128:129], v[106:107] neg_lo:[0,0,1] neg_hi:[0,0,1]
	v_pk_fma_f32 v[120:121], v[146:147], v[130:131], v[108:109] op_sel_hi:[1,0,1]
	v_pk_mul_f32 v[110:111], v[186:187], v[110:111] op_sel_hi:[1,0]
	v_mov_b32_e32 v107, v119
	v_pk_add_f32 v[114:115], v[114:115], v[194:195]
	v_pk_fma_f32 v[108:109], v[146:147], v[130:131], v[108:109] neg_lo:[0,0,1] neg_hi:[0,0,1]
	v_pk_mul_f32 v[112:113], v[150:151], v[134:135] op_sel:[1,1] op_sel_hi:[0,1]
	v_mov_b32_e32 v109, v121
	v_pk_fma_f32 v[120:121], v[148:149], v[132:133], v[110:111] op_sel_hi:[1,0,1]
	v_pk_add_f32 v[106:107], v[114:115], v[106:107]
	v_pk_fma_f32 v[110:111], v[148:149], v[132:133], v[110:111] neg_lo:[0,0,1] neg_hi:[0,0,1]
	v_pk_fma_f32 v[114:115], v[150:151], v[134:135], v[112:113] op_sel_hi:[1,0,1]
	v_pk_mul_f32 v[116:117], v[188:189], v[116:117] op_sel_hi:[1,0]
	v_mov_b32_e32 v111, v121
	v_pk_add_f32 v[106:107], v[106:107], v[108:109]
	v_pk_fma_f32 v[112:113], v[150:151], v[134:135], v[112:113] neg_lo:[0,0,1] neg_hi:[0,0,1]
	s_wait_loadcnt 0x2
	v_pk_mul_f32 v[118:119], v[154:155], v[138:139] op_sel:[1,1] op_sel_hi:[0,1]
	v_dual_mov_b32 v108, v141 :: v_dual_mov_b32 v113, v115
	v_pk_fma_f32 v[114:115], v[152:153], v[136:137], v[116:117] op_sel_hi:[1,0,1]
	v_pk_add_f32 v[106:107], v[106:107], v[110:111]
	v_pk_fma_f32 v[116:117], v[152:153], v[136:137], v[116:117] neg_lo:[0,0,1] neg_hi:[0,0,1]
	v_pk_fma_f32 v[110:111], v[154:155], v[138:139], v[118:119] op_sel_hi:[1,0,1]
	v_pk_mul_f32 v[108:109], v[190:191], v[108:109] op_sel_hi:[1,0]
	v_mov_b32_e32 v117, v115
	v_pk_add_f32 v[106:107], v[106:107], v[112:113]
	v_pk_fma_f32 v[112:113], v[154:155], v[138:139], v[118:119] neg_lo:[0,0,1] neg_hi:[0,0,1]
	v_mov_b32_e32 v113, v111
	v_pk_fma_f32 v[110:111], v[156:157], v[140:141], v[108:109] op_sel_hi:[1,0,1]
	s_wait_loadcnt_dscnt 0x100
	v_pk_mul_f32 v[114:115], v[182:183], v[178:179] op_sel:[1,1] op_sel_hi:[0,1]
	v_pk_add_f32 v[106:107], v[106:107], v[116:117]
	v_pk_fma_f32 v[108:109], v[156:157], v[140:141], v[108:109] neg_lo:[0,0,1] neg_hi:[0,0,1]
	v_mov_b32_e32 v109, v111
	s_delay_alu instid0(VALU_DEP_4) | instskip(NEXT) | instid1(VALU_DEP_4)
	v_pk_fma_f32 v[110:111], v[182:183], v[178:179], v[114:115] op_sel_hi:[1,0,1]
	v_pk_add_f32 v[106:107], v[106:107], v[112:113]
	v_pk_fma_f32 v[112:113], v[182:183], v[178:179], v[114:115] neg_lo:[0,0,1] neg_hi:[0,0,1]
	s_delay_alu instid0(VALU_DEP_3) | instskip(NEXT) | instid1(VALU_DEP_3)
	v_mov_b32_e32 v113, v111
	v_pk_add_f32 v[106:107], v[106:107], v[108:109]
	s_delay_alu instid0(VALU_DEP_1) | instskip(SKIP_1) | instid1(VALU_DEP_1)
	v_pk_add_f32 v[106:107], v[106:107], v[112:113]
	s_wait_loadcnt 0x0
	v_pk_add_f32 v[106:107], v[180:181], v[106:107] neg_lo:[0,1] neg_hi:[0,1]
	scratch_store_b64 off, v[106:107], off offset:256
	s_wait_xcnt 0x0
	v_cmpx_lt_u32_e32 31, v0
	s_cbranch_execz .LBB51_263
; %bb.262:
	scratch_load_b64 v[106:107], off, off offset:248
	v_mov_b64_e32 v[108:109], 0
	scratch_store_b64 off, v[108:109], off offset:248
	s_wait_loadcnt 0x0
	ds_store_b64 v1, v[106:107]
.LBB51_263:
	s_wait_xcnt 0x0
	s_or_b32 exec_lo, exec_lo, s0
	s_wait_storecnt_dscnt 0x0
	s_barrier_signal -1
	s_barrier_wait -1
	s_clause 0xa
	scratch_load_b128 v[106:109], off, off offset:256
	scratch_load_b128 v[110:113], off, off offset:272
	;; [unrolled: 1-line block ×10, first 2 shown]
	scratch_load_b64 v[186:187], off, off offset:248
	ds_load_b128 v[146:149], v5 offset:768
	ds_load_b128 v[150:153], v5 offset:784
	;; [unrolled: 1-line block ×10, first 2 shown]
	s_mov_b32 s0, exec_lo
	s_wait_dscnt 0x9
	v_dual_mov_b32 v188, v149 :: v_dual_mov_b32 v189, v148
	s_wait_dscnt 0x8
	v_dual_mov_b32 v190, v153 :: v_dual_mov_b32 v191, v152
	;; [unrolled: 2-line block ×4, first 2 shown]
	s_wait_loadcnt_dscnt 0xa05
	v_dual_mul_f32 v5, v162, v107 :: v_dual_mul_f32 v9, v164, v109
	v_dual_mul_f32 v27, v163, v107 :: v_dual_mul_f32 v29, v165, v109
	s_wait_loadcnt_dscnt 0x904
	v_dual_mul_f32 v11, v166, v111 :: v_dual_mul_f32 v13, v168, v113
	s_delay_alu instid0(VALU_DEP_2) | instskip(SKIP_3) | instid1(VALU_DEP_3)
	v_dual_fmac_f32 v5, v163, v106 :: v_dual_fma_f32 v27, v162, v106, -v27
	v_dual_mul_f32 v31, v167, v111 :: v_dual_mul_f32 v33, v169, v113
	s_wait_loadcnt_dscnt 0x702
	v_dual_mul_f32 v39, v175, v119 :: v_dual_fmac_f32 v9, v165, v108
	v_dual_fma_f32 v29, v164, v108, -v29 :: v_dual_add_f32 v5, 0, v5
	v_dual_add_f32 v27, 0, v27 :: v_dual_mul_f32 v41, v177, v121
	v_fmac_f32_e32 v11, v167, v110
	s_delay_alu instid0(VALU_DEP_3) | instskip(NEXT) | instid1(VALU_DEP_3)
	v_dual_fma_f32 v31, v166, v110, -v31 :: v_dual_add_f32 v5, v5, v9
	v_dual_add_f32 v9, v27, v29 :: v_dual_mul_f32 v15, v170, v115
	v_dual_mul_f32 v17, v172, v117 :: v_dual_mul_f32 v35, v171, v115
	s_wait_loadcnt_dscnt 0x601
	v_dual_mul_f32 v37, v173, v117 :: v_dual_mul_f32 v27, v179, v123
	v_fmac_f32_e32 v13, v169, v112
	v_dual_fma_f32 v29, v168, v112, -v33 :: v_dual_add_f32 v5, v5, v11
	v_dual_add_f32 v9, v9, v31 :: v_dual_fmac_f32 v15, v171, v114
	v_dual_mul_f32 v11, v181, v125 :: v_dual_fma_f32 v31, v170, v114, -v35
	s_wait_loadcnt_dscnt 0x500
	s_delay_alu instid0(VALU_DEP_3) | instskip(NEXT) | instid1(VALU_DEP_3)
	v_dual_add_f32 v5, v5, v13 :: v_dual_mul_f32 v13, v183, v127
	v_dual_add_f32 v9, v9, v29 :: v_dual_fma_f32 v29, v172, v116, -v37
	v_dual_mul_f32 v19, v174, v119 :: v_dual_mul_f32 v21, v176, v121
	v_fmac_f32_e32 v17, v173, v116
	s_delay_alu instid0(VALU_DEP_4) | instskip(NEXT) | instid1(VALU_DEP_3)
	v_add_f32_e32 v5, v5, v15
	v_dual_add_f32 v9, v9, v31 :: v_dual_fmac_f32 v19, v175, v118
	v_fma_f32 v31, v174, v118, -v39
	v_dual_mul_f32 v23, v178, v123 :: v_dual_mul_f32 v25, v180, v125
	s_delay_alu instid0(VALU_DEP_4) | instskip(NEXT) | instid1(VALU_DEP_4)
	v_dual_add_f32 v5, v5, v17 :: v_dual_fma_f32 v17, v176, v120, -v41
	v_dual_add_f32 v9, v9, v29 :: v_dual_fma_f32 v11, v180, v124, -v11
	v_dual_mul_f32 v197, v182, v127 :: v_dual_mul_f32 v199, v184, v129
	v_fmac_f32_e32 v21, v177, v120
	s_delay_alu instid0(VALU_DEP_4) | instskip(NEXT) | instid1(VALU_DEP_4)
	v_add_f32_e32 v5, v5, v19
	v_dual_add_f32 v9, v9, v31 :: v_dual_fma_f32 v196, v182, v126, -v13
	v_dual_mul_f32 v15, v185, v129 :: v_dual_fmac_f32 v23, v179, v122
	s_delay_alu instid0(VALU_DEP_2) | instskip(NEXT) | instid1(VALU_DEP_4)
	v_dual_fma_f32 v19, v178, v122, -v27 :: v_dual_add_f32 v9, v9, v17
	v_dual_fmac_f32 v197, v183, v126 :: v_dual_add_f32 v5, v5, v21
	s_delay_alu instid0(VALU_DEP_3) | instskip(SKIP_1) | instid1(VALU_DEP_4)
	v_fma_f32 v198, v184, v128, -v15
	v_fmac_f32_e32 v25, v181, v124
	v_add_f32_e32 v9, v9, v19
	s_wait_loadcnt 0x4
	v_pk_mul_f32 v[106:107], v[146:147], v[130:131] op_sel:[1,1] op_sel_hi:[0,1]
	v_add_f32_e32 v5, v5, v23
	s_wait_loadcnt 0x3
	v_dual_mov_b32 v108, v133 :: v_dual_mov_b32 v112, v137
	v_add_f32_e32 v114, v9, v11
	v_fmac_f32_e32 v199, v185, v128
	v_add_f32_e32 v115, v5, v25
	v_pk_fma_f32 v[116:117], v[146:147], v[130:131], v[106:107] op_sel_hi:[1,0,1]
	v_pk_mul_f32 v[108:109], v[188:189], v[108:109] op_sel_hi:[1,0]
	v_pk_fma_f32 v[106:107], v[146:147], v[130:131], v[106:107] neg_lo:[0,0,1] neg_hi:[0,0,1]
	v_pk_mul_f32 v[110:111], v[150:151], v[134:135] op_sel:[1,1] op_sel_hi:[0,1]
	v_pk_add_f32 v[114:115], v[114:115], v[196:197]
	v_mov_b32_e32 v107, v117
	v_pk_fma_f32 v[116:117], v[148:149], v[132:133], v[108:109] op_sel_hi:[1,0,1]
	v_pk_fma_f32 v[108:109], v[148:149], v[132:133], v[108:109] neg_lo:[0,0,1] neg_hi:[0,0,1]
	v_pk_fma_f32 v[120:121], v[150:151], v[134:135], v[110:111] op_sel_hi:[1,0,1]
	v_pk_add_f32 v[114:115], v[114:115], v[198:199]
	v_pk_mul_f32 v[112:113], v[190:191], v[112:113] op_sel_hi:[1,0]
	v_mov_b32_e32 v109, v117
	s_wait_loadcnt 0x2
	v_pk_mul_f32 v[118:119], v[154:155], v[138:139] op_sel:[1,1] op_sel_hi:[0,1]
	v_pk_fma_f32 v[110:111], v[150:151], v[134:135], v[110:111] neg_lo:[0,0,1] neg_hi:[0,0,1]
	v_pk_add_f32 v[106:107], v[114:115], v[106:107]
	v_dual_mov_b32 v114, v141 :: v_dual_mov_b32 v111, v121
	v_pk_fma_f32 v[116:117], v[152:153], v[136:137], v[112:113] op_sel_hi:[1,0,1]
	v_pk_fma_f32 v[112:113], v[152:153], v[136:137], v[112:113] neg_lo:[0,0,1] neg_hi:[0,0,1]
	s_delay_alu instid0(VALU_DEP_4)
	v_pk_add_f32 v[106:107], v[106:107], v[108:109]
	v_pk_fma_f32 v[108:109], v[154:155], v[138:139], v[118:119] op_sel_hi:[1,0,1]
	v_pk_mul_f32 v[114:115], v[192:193], v[114:115] op_sel_hi:[1,0]
	v_mov_b32_e32 v113, v117
	v_pk_fma_f32 v[116:117], v[154:155], v[138:139], v[118:119] neg_lo:[0,0,1] neg_hi:[0,0,1]
	v_pk_add_f32 v[106:107], v[106:107], v[110:111]
	v_mov_b32_e32 v117, v109
	v_pk_fma_f32 v[108:109], v[156:157], v[140:141], v[114:115] op_sel_hi:[1,0,1]
	s_wait_loadcnt 0x1
	v_pk_mul_f32 v[110:111], v[158:159], v[142:143] op_sel:[1,1] op_sel_hi:[0,1]
	v_mov_b32_e32 v108, v145
	v_pk_add_f32 v[106:107], v[106:107], v[112:113]
	v_pk_fma_f32 v[114:115], v[156:157], v[140:141], v[114:115] neg_lo:[0,0,1] neg_hi:[0,0,1]
	v_mov_b32_e32 v115, v109
	v_pk_fma_f32 v[112:113], v[158:159], v[142:143], v[110:111] op_sel_hi:[1,0,1]
	v_pk_mul_f32 v[108:109], v[194:195], v[108:109] op_sel_hi:[1,0]
	v_pk_add_f32 v[106:107], v[106:107], v[116:117]
	v_pk_fma_f32 v[110:111], v[158:159], v[142:143], v[110:111] neg_lo:[0,0,1] neg_hi:[0,0,1]
	s_delay_alu instid0(VALU_DEP_4) | instskip(NEXT) | instid1(VALU_DEP_4)
	v_mov_b32_e32 v111, v113
	v_pk_fma_f32 v[112:113], v[160:161], v[144:145], v[108:109] op_sel_hi:[1,0,1]
	s_delay_alu instid0(VALU_DEP_4) | instskip(SKIP_1) | instid1(VALU_DEP_3)
	v_pk_add_f32 v[106:107], v[106:107], v[114:115]
	v_pk_fma_f32 v[108:109], v[160:161], v[144:145], v[108:109] neg_lo:[0,0,1] neg_hi:[0,0,1]
	v_mov_b32_e32 v109, v113
	s_delay_alu instid0(VALU_DEP_3) | instskip(NEXT) | instid1(VALU_DEP_1)
	v_pk_add_f32 v[106:107], v[106:107], v[110:111]
	v_pk_add_f32 v[106:107], v[106:107], v[108:109]
	s_wait_loadcnt 0x0
	s_delay_alu instid0(VALU_DEP_1)
	v_pk_add_f32 v[106:107], v[186:187], v[106:107] neg_lo:[0,1] neg_hi:[0,1]
	scratch_store_b64 off, v[106:107], off offset:248
	s_wait_xcnt 0x0
	v_cmpx_lt_u32_e32 30, v0
	s_cbranch_execz .LBB51_265
; %bb.264:
	scratch_load_b64 v[106:107], off, off offset:240
	v_mov_b64_e32 v[108:109], 0
	scratch_store_b64 off, v[108:109], off offset:240
	s_wait_loadcnt 0x0
	ds_store_b64 v1, v[106:107]
.LBB51_265:
	s_wait_xcnt 0x0
	s_or_b32 exec_lo, exec_lo, s0
	s_wait_storecnt_dscnt 0x0
	s_barrier_signal -1
	s_barrier_wait -1
	s_clause 0xb
	scratch_load_b128 v[106:109], off, off offset:248
	scratch_load_b128 v[110:113], off, off offset:264
	;; [unrolled: 1-line block ×10, first 2 shown]
	scratch_load_b64 v[186:187], off, off offset:408
	scratch_load_b64 v[188:189], off, off offset:240
	v_mov_b32_e32 v5, 0
	ds_load_2addr_b64 v[146:149], v5 offset0:95 offset1:96
	ds_load_2addr_b64 v[150:153], v5 offset0:97 offset1:98
	;; [unrolled: 1-line block ×10, first 2 shown]
	ds_load_b64 v[190:191], v5 offset:824
	s_mov_b32 s0, exec_lo
	s_wait_dscnt 0xa
	v_dual_mov_b32 v192, v149 :: v_dual_mov_b32 v193, v148
	s_wait_dscnt 0x7
	v_dual_mov_b32 v194, v153 :: v_dual_mov_b32 v199, v160
	v_dual_mov_b32 v195, v152 :: v_dual_mov_b32 v196, v157
	;; [unrolled: 1-line block ×3, first 2 shown]
	s_wait_loadcnt_dscnt 0xb06
	v_dual_mul_f32 v9, v162, v107 :: v_dual_mul_f32 v31, v163, v107
	v_dual_mul_f32 v33, v165, v109 :: v_dual_mul_f32 v11, v164, v109
	s_wait_loadcnt_dscnt 0xa05
	v_mul_f32_e32 v13, v166, v111
	s_wait_loadcnt_dscnt 0x803
	v_dual_mul_f32 v43, v175, v119 :: v_dual_fma_f32 v31, v162, v106, -v31
	v_dual_fmac_f32 v9, v163, v106 :: v_dual_mul_f32 v45, v177, v121
	v_dual_mul_f32 v35, v167, v111 :: v_dual_mul_f32 v37, v169, v113
	v_dual_fmac_f32 v11, v165, v108 :: v_dual_fma_f32 v33, v164, v108, -v33
	s_delay_alu instid0(VALU_DEP_3) | instskip(SKIP_3) | instid1(VALU_DEP_3)
	v_dual_add_f32 v9, 0, v9 :: v_dual_add_f32 v31, 0, v31
	v_dual_mul_f32 v15, v168, v113 :: v_dual_mul_f32 v17, v170, v115
	s_wait_loadcnt_dscnt 0x702
	v_dual_mul_f32 v47, v179, v123 :: v_dual_fma_f32 v35, v166, v110, -v35
	v_dual_fmac_f32 v13, v167, v110 :: v_dual_add_f32 v9, v9, v11
	s_delay_alu instid0(VALU_DEP_3) | instskip(SKIP_2) | instid1(VALU_DEP_3)
	v_dual_add_f32 v11, v31, v33 :: v_dual_fmac_f32 v15, v169, v112
	v_dual_mul_f32 v39, v171, v115 :: v_dual_mul_f32 v41, v173, v117
	v_dual_mul_f32 v31, v181, v125 :: v_dual_fma_f32 v33, v168, v112, -v37
	v_dual_add_f32 v9, v9, v13 :: v_dual_add_f32 v11, v11, v35
	v_dual_mul_f32 v19, v172, v117 :: v_dual_mul_f32 v21, v174, v119
	s_wait_loadcnt_dscnt 0x601
	v_dual_mul_f32 v13, v183, v127 :: v_dual_fma_f32 v35, v170, v114, -v39
	s_delay_alu instid0(VALU_DEP_3) | instskip(NEXT) | instid1(VALU_DEP_3)
	v_dual_fmac_f32 v17, v171, v114 :: v_dual_add_f32 v9, v9, v15
	v_dual_add_f32 v11, v11, v33 :: v_dual_fmac_f32 v19, v173, v116
	v_dual_mul_f32 v15, v185, v129 :: v_dual_fma_f32 v33, v172, v116, -v41
	s_delay_alu instid0(VALU_DEP_2) | instskip(SKIP_3) | instid1(VALU_DEP_3)
	v_dual_add_f32 v9, v9, v17 :: v_dual_add_f32 v11, v11, v35
	v_dual_mul_f32 v23, v176, v121 :: v_dual_mul_f32 v25, v178, v123
	s_wait_loadcnt 0x5
	v_dual_mul_f32 v17, v147, v131 :: v_dual_fma_f32 v35, v174, v118, -v43
	v_dual_fmac_f32 v21, v175, v118 :: v_dual_add_f32 v9, v9, v19
	v_dual_add_f32 v11, v11, v33 :: v_dual_mov_b32 v106, v133
	v_dual_fmac_f32 v23, v177, v120 :: v_dual_fma_f32 v19, v176, v120, -v45
	s_delay_alu instid0(VALU_DEP_2) | instskip(SKIP_2) | instid1(VALU_DEP_3)
	v_dual_add_f32 v9, v9, v21 :: v_dual_add_f32 v11, v11, v35
	v_dual_mul_f32 v27, v180, v125 :: v_dual_mul_f32 v29, v182, v127
	v_dual_fmac_f32 v25, v179, v122 :: v_dual_fma_f32 v21, v178, v122, -v47
	v_add_f32_e32 v9, v9, v23
	s_wait_loadcnt 0x4
	v_dual_add_f32 v11, v11, v19 :: v_dual_mov_b32 v110, v137
	v_fmac_f32_e32 v27, v181, v124
	s_delay_alu instid0(VALU_DEP_3) | instskip(SKIP_1) | instid1(VALU_DEP_4)
	v_dual_fma_f32 v19, v180, v124, -v31 :: v_dual_add_f32 v9, v9, v25
	v_fmac_f32_e32 v29, v183, v126
	v_add_f32_e32 v11, v11, v21
	v_dual_mul_f32 v201, v184, v129 :: v_dual_mul_f32 v203, v146, v131
	s_delay_alu instid0(VALU_DEP_4) | instskip(NEXT) | instid1(VALU_DEP_2)
	v_dual_fma_f32 v13, v182, v126, -v13 :: v_dual_add_f32 v9, v9, v27
	v_dual_add_f32 v11, v11, v19 :: v_dual_fmac_f32 v201, v185, v128
	v_fma_f32 v200, v184, v128, -v15
	v_pk_mul_f32 v[106:107], v[192:193], v[106:107] op_sel_hi:[1,0]
	s_delay_alu instid0(VALU_DEP_4)
	v_add_f32_e32 v115, v9, v29
	s_wait_loadcnt 0x3
	v_dual_add_f32 v114, v11, v13 :: v_dual_mov_b32 v116, v141
	v_pk_mul_f32 v[108:109], v[150:151], v[134:135] op_sel:[1,1] op_sel_hi:[0,1]
	v_dual_fmac_f32 v203, v147, v130 :: v_dual_fma_f32 v202, v146, v130, -v17
	v_pk_fma_f32 v[118:119], v[148:149], v[132:133], v[106:107] op_sel_hi:[1,0,1]
	s_delay_alu instid0(VALU_DEP_4)
	v_pk_add_f32 v[114:115], v[114:115], v[200:201]
	v_pk_fma_f32 v[106:107], v[148:149], v[132:133], v[106:107] neg_lo:[0,0,1] neg_hi:[0,0,1]
	v_pk_fma_f32 v[120:121], v[150:151], v[134:135], v[108:109] op_sel_hi:[1,0,1]
	v_pk_mul_f32 v[110:111], v[194:195], v[110:111] op_sel_hi:[1,0]
	v_mov_b32_e32 v107, v119
	v_pk_add_f32 v[114:115], v[114:115], v[202:203]
	v_pk_fma_f32 v[108:109], v[150:151], v[134:135], v[108:109] neg_lo:[0,0,1] neg_hi:[0,0,1]
	v_pk_mul_f32 v[112:113], v[154:155], v[138:139] op_sel:[1,1] op_sel_hi:[0,1]
	v_mov_b32_e32 v109, v121
	v_pk_fma_f32 v[120:121], v[152:153], v[136:137], v[110:111] op_sel_hi:[1,0,1]
	v_pk_add_f32 v[106:107], v[114:115], v[106:107]
	v_pk_fma_f32 v[110:111], v[152:153], v[136:137], v[110:111] neg_lo:[0,0,1] neg_hi:[0,0,1]
	v_pk_fma_f32 v[114:115], v[154:155], v[138:139], v[112:113] op_sel_hi:[1,0,1]
	v_pk_mul_f32 v[116:117], v[196:197], v[116:117] op_sel_hi:[1,0]
	v_mov_b32_e32 v111, v121
	v_pk_add_f32 v[106:107], v[106:107], v[108:109]
	v_pk_fma_f32 v[112:113], v[154:155], v[138:139], v[112:113] neg_lo:[0,0,1] neg_hi:[0,0,1]
	s_wait_loadcnt 0x2
	v_pk_mul_f32 v[118:119], v[158:159], v[142:143] op_sel:[1,1] op_sel_hi:[0,1]
	v_dual_mov_b32 v108, v145 :: v_dual_mov_b32 v113, v115
	v_pk_fma_f32 v[114:115], v[156:157], v[140:141], v[116:117] op_sel_hi:[1,0,1]
	v_pk_add_f32 v[106:107], v[106:107], v[110:111]
	v_pk_fma_f32 v[116:117], v[156:157], v[140:141], v[116:117] neg_lo:[0,0,1] neg_hi:[0,0,1]
	v_pk_fma_f32 v[110:111], v[158:159], v[142:143], v[118:119] op_sel_hi:[1,0,1]
	v_pk_mul_f32 v[108:109], v[198:199], v[108:109] op_sel_hi:[1,0]
	v_mov_b32_e32 v117, v115
	v_pk_add_f32 v[106:107], v[106:107], v[112:113]
	v_pk_fma_f32 v[112:113], v[158:159], v[142:143], v[118:119] neg_lo:[0,0,1] neg_hi:[0,0,1]
	v_mov_b32_e32 v113, v111
	v_pk_fma_f32 v[110:111], v[160:161], v[144:145], v[108:109] op_sel_hi:[1,0,1]
	s_wait_loadcnt_dscnt 0x100
	v_pk_mul_f32 v[114:115], v[190:191], v[186:187] op_sel:[1,1] op_sel_hi:[0,1]
	v_pk_add_f32 v[106:107], v[106:107], v[116:117]
	v_pk_fma_f32 v[108:109], v[160:161], v[144:145], v[108:109] neg_lo:[0,0,1] neg_hi:[0,0,1]
	v_mov_b32_e32 v109, v111
	s_delay_alu instid0(VALU_DEP_4) | instskip(NEXT) | instid1(VALU_DEP_4)
	v_pk_fma_f32 v[110:111], v[190:191], v[186:187], v[114:115] op_sel_hi:[1,0,1]
	v_pk_add_f32 v[106:107], v[106:107], v[112:113]
	v_pk_fma_f32 v[112:113], v[190:191], v[186:187], v[114:115] neg_lo:[0,0,1] neg_hi:[0,0,1]
	s_delay_alu instid0(VALU_DEP_3) | instskip(NEXT) | instid1(VALU_DEP_3)
	v_mov_b32_e32 v113, v111
	v_pk_add_f32 v[106:107], v[106:107], v[108:109]
	s_delay_alu instid0(VALU_DEP_1) | instskip(SKIP_1) | instid1(VALU_DEP_1)
	v_pk_add_f32 v[106:107], v[106:107], v[112:113]
	s_wait_loadcnt 0x0
	v_pk_add_f32 v[106:107], v[188:189], v[106:107] neg_lo:[0,1] neg_hi:[0,1]
	scratch_store_b64 off, v[106:107], off offset:240
	s_wait_xcnt 0x0
	v_cmpx_lt_u32_e32 29, v0
	s_cbranch_execz .LBB51_267
; %bb.266:
	scratch_load_b64 v[106:107], off, off offset:232
	v_mov_b64_e32 v[108:109], 0
	scratch_store_b64 off, v[108:109], off offset:232
	s_wait_loadcnt 0x0
	ds_store_b64 v1, v[106:107]
.LBB51_267:
	s_wait_xcnt 0x0
	s_or_b32 exec_lo, exec_lo, s0
	s_wait_storecnt_dscnt 0x0
	s_barrier_signal -1
	s_barrier_wait -1
	s_clause 0xb
	scratch_load_b128 v[106:109], off, off offset:240
	scratch_load_b128 v[110:113], off, off offset:256
	;; [unrolled: 1-line block ×11, first 2 shown]
	scratch_load_b64 v[194:195], off, off offset:232
	ds_load_b128 v[150:153], v5 offset:768
	ds_load_b128 v[154:157], v5 offset:784
	;; [unrolled: 1-line block ×11, first 2 shown]
	s_mov_b32 s0, exec_lo
	s_wait_dscnt 0xa
	v_dual_mov_b32 v196, v153 :: v_dual_mov_b32 v197, v152
	s_wait_dscnt 0x9
	v_dual_mov_b32 v198, v157 :: v_dual_mov_b32 v199, v156
	;; [unrolled: 2-line block ×4, first 2 shown]
	s_wait_loadcnt_dscnt 0xb06
	v_dual_mul_f32 v5, v166, v107 :: v_dual_mul_f32 v9, v168, v109
	v_dual_mul_f32 v31, v167, v107 :: v_dual_mul_f32 v33, v169, v109
	s_wait_loadcnt_dscnt 0xa05
	v_dual_mul_f32 v11, v170, v111 :: v_dual_mul_f32 v13, v172, v113
	s_delay_alu instid0(VALU_DEP_2) | instskip(SKIP_3) | instid1(VALU_DEP_3)
	v_dual_fmac_f32 v5, v167, v106 :: v_dual_fma_f32 v31, v166, v106, -v31
	v_dual_mul_f32 v35, v171, v111 :: v_dual_mul_f32 v37, v173, v113
	s_wait_loadcnt_dscnt 0x803
	v_dual_mul_f32 v43, v179, v119 :: v_dual_fmac_f32 v9, v169, v108
	v_dual_fma_f32 v33, v168, v108, -v33 :: v_dual_add_f32 v5, 0, v5
	v_dual_add_f32 v31, 0, v31 :: v_dual_mul_f32 v45, v181, v121
	v_fmac_f32_e32 v11, v171, v110
	s_delay_alu instid0(VALU_DEP_3) | instskip(NEXT) | instid1(VALU_DEP_3)
	v_dual_fma_f32 v35, v170, v110, -v35 :: v_dual_add_f32 v5, v5, v9
	v_dual_add_f32 v9, v31, v33 :: v_dual_mul_f32 v15, v174, v115
	v_dual_mul_f32 v17, v176, v117 :: v_dual_mul_f32 v39, v175, v115
	v_dual_mul_f32 v41, v177, v117 :: v_dual_fma_f32 v33, v172, v112, -v37
	s_delay_alu instid0(VALU_DEP_4) | instskip(NEXT) | instid1(VALU_DEP_4)
	v_add_f32_e32 v5, v5, v11
	v_dual_add_f32 v9, v9, v35 :: v_dual_fmac_f32 v15, v175, v114
	s_wait_loadcnt_dscnt 0x702
	v_dual_mul_f32 v31, v183, v123 :: v_dual_fmac_f32 v13, v173, v112
	v_dual_mul_f32 v11, v185, v125 :: v_dual_fma_f32 v35, v174, v114, -v39
	s_delay_alu instid0(VALU_DEP_3) | instskip(SKIP_1) | instid1(VALU_DEP_3)
	v_dual_add_f32 v9, v9, v33 :: v_dual_fma_f32 v33, v176, v116, -v41
	s_wait_loadcnt_dscnt 0x601
	v_dual_add_f32 v5, v5, v13 :: v_dual_mul_f32 v13, v187, v127
	v_dual_mul_f32 v19, v178, v119 :: v_dual_mul_f32 v21, v180, v121
	s_delay_alu instid0(VALU_DEP_3) | instskip(SKIP_1) | instid1(VALU_DEP_4)
	v_add_f32_e32 v9, v9, v35
	v_fmac_f32_e32 v17, v177, v116
	v_dual_add_f32 v5, v5, v15 :: v_dual_fma_f32 v35, v178, v118, -v43
	v_dual_mul_f32 v23, v182, v123 :: v_dual_mul_f32 v25, v184, v125
	s_delay_alu instid0(VALU_DEP_4) | instskip(NEXT) | instid1(VALU_DEP_3)
	v_dual_add_f32 v9, v9, v33 :: v_dual_fma_f32 v31, v182, v122, -v31
	v_dual_fmac_f32 v19, v179, v118 :: v_dual_add_f32 v5, v5, v17
	s_delay_alu instid0(VALU_DEP_3) | instskip(NEXT) | instid1(VALU_DEP_3)
	v_dual_fmac_f32 v23, v183, v122 :: v_dual_fma_f32 v33, v180, v120, -v45
	v_dual_add_f32 v9, v9, v35 :: v_dual_fma_f32 v13, v186, v126, -v13
	v_dual_mul_f32 v27, v186, v127 :: v_dual_mul_f32 v29, v188, v129
	s_wait_loadcnt_dscnt 0x500
	v_dual_mul_f32 v15, v189, v129 :: v_dual_mul_f32 v17, v191, v131
	s_delay_alu instid0(VALU_DEP_2) | instskip(SKIP_1) | instid1(VALU_DEP_3)
	v_dual_fmac_f32 v21, v181, v120 :: v_dual_fmac_f32 v27, v187, v126
	v_dual_add_f32 v5, v5, v19 :: v_dual_fma_f32 v11, v184, v124, -v11
	v_dual_add_f32 v9, v9, v33 :: v_dual_fma_f32 v204, v190, v130, -v17
	v_dual_mul_f32 v205, v190, v131 :: v_dual_mul_f32 v207, v192, v133
	s_delay_alu instid0(VALU_DEP_3) | instskip(NEXT) | instid1(VALU_DEP_3)
	v_add_f32_e32 v5, v5, v21
	v_add_f32_e32 v9, v9, v31
	v_mul_f32_e32 v19, v193, v133
	v_fmac_f32_e32 v25, v185, v124
	v_fmac_f32_e32 v205, v191, v130
	;; [unrolled: 1-line block ×3, first 2 shown]
	v_dual_add_f32 v9, v9, v11 :: v_dual_fma_f32 v11, v188, v128, -v15
	v_dual_add_f32 v5, v5, v23 :: v_dual_fma_f32 v206, v192, v132, -v19
	s_wait_loadcnt 0x4
	v_pk_mul_f32 v[106:107], v[150:151], v[134:135] op_sel:[1,1] op_sel_hi:[0,1]
	s_delay_alu instid0(VALU_DEP_3)
	v_add_f32_e32 v9, v9, v13
	s_wait_loadcnt 0x3
	v_dual_mov_b32 v108, v137 :: v_dual_mov_b32 v112, v141
	v_add_f32_e32 v5, v5, v25
	v_fmac_f32_e32 v207, v193, v132
	v_add_f32_e32 v114, v9, v11
	v_pk_fma_f32 v[116:117], v[150:151], v[134:135], v[106:107] op_sel_hi:[1,0,1]
	v_pk_mul_f32 v[108:109], v[196:197], v[108:109] op_sel_hi:[1,0]
	v_add_f32_e32 v5, v5, v27
	v_pk_fma_f32 v[106:107], v[150:151], v[134:135], v[106:107] neg_lo:[0,0,1] neg_hi:[0,0,1]
	v_pk_mul_f32 v[110:111], v[154:155], v[138:139] op_sel:[1,1] op_sel_hi:[0,1]
	v_mov_b32_e32 v107, v117
	v_pk_fma_f32 v[116:117], v[152:153], v[136:137], v[108:109] op_sel_hi:[1,0,1]
	v_add_f32_e32 v115, v5, v29
	v_pk_fma_f32 v[108:109], v[152:153], v[136:137], v[108:109] neg_lo:[0,0,1] neg_hi:[0,0,1]
	v_pk_fma_f32 v[120:121], v[154:155], v[138:139], v[110:111] op_sel_hi:[1,0,1]
	v_pk_mul_f32 v[112:113], v[198:199], v[112:113] op_sel_hi:[1,0]
	v_mov_b32_e32 v109, v117
	v_pk_add_f32 v[114:115], v[114:115], v[204:205]
	s_wait_loadcnt 0x2
	v_pk_mul_f32 v[118:119], v[158:159], v[142:143] op_sel:[1,1] op_sel_hi:[0,1]
	v_pk_fma_f32 v[110:111], v[154:155], v[138:139], v[110:111] neg_lo:[0,0,1] neg_hi:[0,0,1]
	v_mov_b32_e32 v111, v121
	v_pk_fma_f32 v[116:117], v[156:157], v[140:141], v[112:113] op_sel_hi:[1,0,1]
	v_pk_add_f32 v[114:115], v[114:115], v[206:207]
	v_pk_fma_f32 v[112:113], v[156:157], v[140:141], v[112:113] neg_lo:[0,0,1] neg_hi:[0,0,1]
	s_delay_alu instid0(VALU_DEP_2) | instskip(SKIP_1) | instid1(VALU_DEP_2)
	v_pk_add_f32 v[106:107], v[114:115], v[106:107]
	v_mov_b32_e32 v114, v145
	v_pk_add_f32 v[106:107], v[106:107], v[108:109]
	v_pk_fma_f32 v[108:109], v[158:159], v[142:143], v[118:119] op_sel_hi:[1,0,1]
	s_delay_alu instid0(VALU_DEP_3)
	v_pk_mul_f32 v[114:115], v[200:201], v[114:115] op_sel_hi:[1,0]
	v_mov_b32_e32 v113, v117
	v_pk_fma_f32 v[116:117], v[158:159], v[142:143], v[118:119] neg_lo:[0,0,1] neg_hi:[0,0,1]
	v_pk_add_f32 v[106:107], v[106:107], v[110:111]
	v_mov_b32_e32 v117, v109
	v_pk_fma_f32 v[108:109], v[160:161], v[144:145], v[114:115] op_sel_hi:[1,0,1]
	s_wait_loadcnt 0x1
	v_pk_mul_f32 v[110:111], v[162:163], v[146:147] op_sel:[1,1] op_sel_hi:[0,1]
	v_mov_b32_e32 v108, v149
	v_pk_add_f32 v[106:107], v[106:107], v[112:113]
	v_pk_fma_f32 v[114:115], v[160:161], v[144:145], v[114:115] neg_lo:[0,0,1] neg_hi:[0,0,1]
	v_mov_b32_e32 v115, v109
	v_pk_fma_f32 v[112:113], v[162:163], v[146:147], v[110:111] op_sel_hi:[1,0,1]
	v_pk_mul_f32 v[108:109], v[202:203], v[108:109] op_sel_hi:[1,0]
	v_pk_add_f32 v[106:107], v[106:107], v[116:117]
	v_pk_fma_f32 v[110:111], v[162:163], v[146:147], v[110:111] neg_lo:[0,0,1] neg_hi:[0,0,1]
	s_delay_alu instid0(VALU_DEP_4) | instskip(NEXT) | instid1(VALU_DEP_4)
	v_mov_b32_e32 v111, v113
	v_pk_fma_f32 v[112:113], v[164:165], v[148:149], v[108:109] op_sel_hi:[1,0,1]
	s_delay_alu instid0(VALU_DEP_4) | instskip(SKIP_1) | instid1(VALU_DEP_3)
	v_pk_add_f32 v[106:107], v[106:107], v[114:115]
	v_pk_fma_f32 v[108:109], v[164:165], v[148:149], v[108:109] neg_lo:[0,0,1] neg_hi:[0,0,1]
	v_mov_b32_e32 v109, v113
	s_delay_alu instid0(VALU_DEP_3) | instskip(NEXT) | instid1(VALU_DEP_1)
	v_pk_add_f32 v[106:107], v[106:107], v[110:111]
	v_pk_add_f32 v[106:107], v[106:107], v[108:109]
	s_wait_loadcnt 0x0
	s_delay_alu instid0(VALU_DEP_1)
	v_pk_add_f32 v[106:107], v[194:195], v[106:107] neg_lo:[0,1] neg_hi:[0,1]
	scratch_store_b64 off, v[106:107], off offset:232
	s_wait_xcnt 0x0
	v_cmpx_lt_u32_e32 28, v0
	s_cbranch_execz .LBB51_269
; %bb.268:
	scratch_load_b64 v[106:107], off, off offset:224
	v_mov_b64_e32 v[108:109], 0
	scratch_store_b64 off, v[108:109], off offset:224
	s_wait_loadcnt 0x0
	ds_store_b64 v1, v[106:107]
.LBB51_269:
	s_wait_xcnt 0x0
	s_or_b32 exec_lo, exec_lo, s0
	s_wait_storecnt_dscnt 0x0
	s_barrier_signal -1
	s_barrier_wait -1
	s_clause 0xc
	scratch_load_b128 v[106:109], off, off offset:232
	scratch_load_b128 v[110:113], off, off offset:248
	scratch_load_b128 v[114:117], off, off offset:264
	scratch_load_b128 v[118:121], off, off offset:280
	scratch_load_b128 v[122:125], off, off offset:296
	scratch_load_b128 v[126:129], off, off offset:312
	scratch_load_b128 v[130:133], off, off offset:328
	scratch_load_b128 v[134:137], off, off offset:344
	scratch_load_b128 v[138:141], off, off offset:360
	scratch_load_b128 v[142:145], off, off offset:376
	scratch_load_b128 v[146:149], off, off offset:392
	scratch_load_b64 v[194:195], off, off offset:408
	scratch_load_b64 v[196:197], off, off offset:224
	v_mov_b32_e32 v5, 0
	ds_load_2addr_b64 v[150:153], v5 offset0:95 offset1:96
	ds_load_2addr_b64 v[154:157], v5 offset0:97 offset1:98
	;; [unrolled: 1-line block ×11, first 2 shown]
	ds_load_b64 v[198:199], v5 offset:824
	s_mov_b32 s0, exec_lo
	s_wait_dscnt 0xb
	v_dual_mov_b32 v200, v153 :: v_dual_mov_b32 v201, v152
	s_wait_dscnt 0x8
	v_dual_mov_b32 v202, v157 :: v_dual_mov_b32 v207, v164
	v_dual_mov_b32 v203, v156 :: v_dual_mov_b32 v204, v161
	;; [unrolled: 1-line block ×3, first 2 shown]
	s_wait_loadcnt_dscnt 0xc07
	v_dual_mul_f32 v9, v166, v107 :: v_dual_mul_f32 v35, v167, v107
	v_dual_mul_f32 v37, v169, v109 :: v_dual_mul_f32 v11, v168, v109
	s_wait_loadcnt_dscnt 0xb06
	v_mul_f32_e32 v13, v170, v111
	s_wait_loadcnt_dscnt 0x904
	v_dual_mul_f32 v47, v179, v119 :: v_dual_fma_f32 v35, v166, v106, -v35
	v_dual_fmac_f32 v9, v167, v106 :: v_dual_mul_f32 v49, v181, v121
	v_dual_mul_f32 v39, v171, v111 :: v_dual_mul_f32 v41, v173, v113
	v_dual_fmac_f32 v11, v169, v108 :: v_dual_fma_f32 v37, v168, v108, -v37
	s_delay_alu instid0(VALU_DEP_3) | instskip(SKIP_3) | instid1(VALU_DEP_3)
	v_dual_add_f32 v9, 0, v9 :: v_dual_add_f32 v35, 0, v35
	v_dual_mul_f32 v15, v172, v113 :: v_dual_mul_f32 v17, v174, v115
	s_wait_loadcnt_dscnt 0x803
	v_dual_mul_f32 v51, v183, v123 :: v_dual_fma_f32 v39, v170, v110, -v39
	v_dual_fmac_f32 v13, v171, v110 :: v_dual_add_f32 v9, v9, v11
	s_delay_alu instid0(VALU_DEP_3) | instskip(SKIP_2) | instid1(VALU_DEP_3)
	v_dual_add_f32 v11, v35, v37 :: v_dual_fmac_f32 v15, v173, v112
	v_dual_mul_f32 v43, v175, v115 :: v_dual_mul_f32 v45, v177, v117
	v_dual_mul_f32 v35, v185, v125 :: v_dual_fma_f32 v37, v172, v112, -v41
	v_dual_add_f32 v9, v9, v13 :: v_dual_add_f32 v11, v11, v39
	v_dual_mul_f32 v19, v176, v117 :: v_dual_mul_f32 v21, v178, v119
	s_wait_loadcnt_dscnt 0x701
	v_dual_mul_f32 v13, v191, v127 :: v_dual_fma_f32 v39, v174, v114, -v43
	s_delay_alu instid0(VALU_DEP_3) | instskip(NEXT) | instid1(VALU_DEP_3)
	v_dual_fmac_f32 v17, v175, v114 :: v_dual_add_f32 v9, v9, v15
	v_dual_add_f32 v11, v11, v37 :: v_dual_fmac_f32 v19, v177, v116
	v_dual_mul_f32 v15, v193, v129 :: v_dual_fma_f32 v37, v176, v116, -v45
	s_delay_alu instid0(VALU_DEP_2) | instskip(SKIP_3) | instid1(VALU_DEP_3)
	v_dual_add_f32 v9, v9, v17 :: v_dual_add_f32 v11, v11, v39
	v_dual_mul_f32 v23, v180, v121 :: v_dual_mul_f32 v25, v182, v123
	s_wait_loadcnt 0x6
	v_dual_mul_f32 v17, v187, v131 :: v_dual_fma_f32 v39, v178, v118, -v47
	v_dual_fmac_f32 v21, v179, v118 :: v_dual_add_f32 v9, v9, v19
	s_delay_alu instid0(VALU_DEP_3) | instskip(SKIP_1) | instid1(VALU_DEP_2)
	v_dual_add_f32 v11, v11, v37 :: v_dual_fmac_f32 v23, v181, v120
	v_dual_mul_f32 v19, v189, v133 :: v_dual_fma_f32 v37, v180, v120, -v49
	v_dual_add_f32 v9, v9, v21 :: v_dual_add_f32 v11, v11, v39
	v_dual_mul_f32 v27, v184, v125 :: v_dual_mul_f32 v29, v190, v127
	s_wait_loadcnt 0x5
	v_dual_mul_f32 v21, v151, v135 :: v_dual_fma_f32 v39, v182, v122, -v51
	s_delay_alu instid0(VALU_DEP_3) | instskip(SKIP_2) | instid1(VALU_DEP_3)
	v_dual_fmac_f32 v25, v183, v122 :: v_dual_add_f32 v9, v9, v23
	v_dual_add_f32 v11, v11, v37 :: v_dual_mov_b32 v106, v137
	v_fmac_f32_e32 v27, v185, v124
	v_dual_fma_f32 v23, v184, v124, -v35 :: v_dual_add_f32 v9, v9, v25
	s_delay_alu instid0(VALU_DEP_3) | instskip(SKIP_1) | instid1(VALU_DEP_3)
	v_dual_add_f32 v11, v11, v39 :: v_dual_mul_f32 v31, v192, v129
	v_dual_mul_f32 v33, v186, v131 :: v_dual_fmac_f32 v29, v191, v126
	v_dual_add_f32 v9, v9, v27 :: v_dual_fma_f32 v13, v190, v126, -v13
	s_wait_loadcnt 0x4
	s_delay_alu instid0(VALU_DEP_3) | instskip(SKIP_3) | instid1(VALU_DEP_4)
	v_dual_add_f32 v11, v11, v23 :: v_dual_mov_b32 v110, v141
	v_fma_f32 v15, v192, v128, -v15
	v_fmac_f32_e32 v31, v193, v128
	v_dual_add_f32 v9, v9, v29 :: v_dual_fmac_f32 v33, v187, v130
	v_add_f32_e32 v11, v11, v13
	v_dual_mul_f32 v209, v188, v133 :: v_dual_mul_f32 v211, v150, v135
	s_delay_alu instid0(VALU_DEP_3) | instskip(NEXT) | instid1(VALU_DEP_2)
	v_dual_fma_f32 v13, v186, v130, -v17 :: v_dual_add_f32 v9, v9, v31
	v_dual_add_f32 v11, v11, v15 :: v_dual_fmac_f32 v209, v189, v132
	v_fma_f32 v208, v188, v132, -v19
	v_pk_mul_f32 v[106:107], v[200:201], v[106:107] op_sel_hi:[1,0]
	s_delay_alu instid0(VALU_DEP_4)
	v_add_f32_e32 v115, v9, v33
	s_wait_loadcnt 0x3
	v_dual_add_f32 v114, v11, v13 :: v_dual_mov_b32 v116, v145
	v_pk_mul_f32 v[108:109], v[154:155], v[138:139] op_sel:[1,1] op_sel_hi:[0,1]
	v_dual_fmac_f32 v211, v151, v134 :: v_dual_fma_f32 v210, v150, v134, -v21
	v_pk_fma_f32 v[118:119], v[152:153], v[136:137], v[106:107] op_sel_hi:[1,0,1]
	s_delay_alu instid0(VALU_DEP_4)
	v_pk_add_f32 v[114:115], v[114:115], v[208:209]
	v_pk_fma_f32 v[106:107], v[152:153], v[136:137], v[106:107] neg_lo:[0,0,1] neg_hi:[0,0,1]
	v_pk_fma_f32 v[120:121], v[154:155], v[138:139], v[108:109] op_sel_hi:[1,0,1]
	v_pk_mul_f32 v[110:111], v[202:203], v[110:111] op_sel_hi:[1,0]
	v_mov_b32_e32 v107, v119
	v_pk_add_f32 v[114:115], v[114:115], v[210:211]
	v_pk_fma_f32 v[108:109], v[154:155], v[138:139], v[108:109] neg_lo:[0,0,1] neg_hi:[0,0,1]
	v_pk_mul_f32 v[112:113], v[158:159], v[142:143] op_sel:[1,1] op_sel_hi:[0,1]
	v_mov_b32_e32 v109, v121
	v_pk_fma_f32 v[120:121], v[156:157], v[140:141], v[110:111] op_sel_hi:[1,0,1]
	v_pk_add_f32 v[106:107], v[114:115], v[106:107]
	v_pk_fma_f32 v[110:111], v[156:157], v[140:141], v[110:111] neg_lo:[0,0,1] neg_hi:[0,0,1]
	v_pk_fma_f32 v[114:115], v[158:159], v[142:143], v[112:113] op_sel_hi:[1,0,1]
	v_pk_mul_f32 v[116:117], v[204:205], v[116:117] op_sel_hi:[1,0]
	v_mov_b32_e32 v111, v121
	v_pk_add_f32 v[106:107], v[106:107], v[108:109]
	v_pk_fma_f32 v[112:113], v[158:159], v[142:143], v[112:113] neg_lo:[0,0,1] neg_hi:[0,0,1]
	s_wait_loadcnt 0x2
	v_pk_mul_f32 v[118:119], v[162:163], v[146:147] op_sel:[1,1] op_sel_hi:[0,1]
	v_dual_mov_b32 v108, v149 :: v_dual_mov_b32 v113, v115
	v_pk_fma_f32 v[114:115], v[160:161], v[144:145], v[116:117] op_sel_hi:[1,0,1]
	v_pk_add_f32 v[106:107], v[106:107], v[110:111]
	v_pk_fma_f32 v[116:117], v[160:161], v[144:145], v[116:117] neg_lo:[0,0,1] neg_hi:[0,0,1]
	v_pk_fma_f32 v[110:111], v[162:163], v[146:147], v[118:119] op_sel_hi:[1,0,1]
	v_pk_mul_f32 v[108:109], v[206:207], v[108:109] op_sel_hi:[1,0]
	v_mov_b32_e32 v117, v115
	v_pk_add_f32 v[106:107], v[106:107], v[112:113]
	v_pk_fma_f32 v[112:113], v[162:163], v[146:147], v[118:119] neg_lo:[0,0,1] neg_hi:[0,0,1]
	v_mov_b32_e32 v113, v111
	v_pk_fma_f32 v[110:111], v[164:165], v[148:149], v[108:109] op_sel_hi:[1,0,1]
	s_wait_loadcnt_dscnt 0x100
	v_pk_mul_f32 v[114:115], v[198:199], v[194:195] op_sel:[1,1] op_sel_hi:[0,1]
	v_pk_add_f32 v[106:107], v[106:107], v[116:117]
	v_pk_fma_f32 v[108:109], v[164:165], v[148:149], v[108:109] neg_lo:[0,0,1] neg_hi:[0,0,1]
	v_mov_b32_e32 v109, v111
	s_delay_alu instid0(VALU_DEP_4) | instskip(NEXT) | instid1(VALU_DEP_4)
	v_pk_fma_f32 v[110:111], v[198:199], v[194:195], v[114:115] op_sel_hi:[1,0,1]
	v_pk_add_f32 v[106:107], v[106:107], v[112:113]
	v_pk_fma_f32 v[112:113], v[198:199], v[194:195], v[114:115] neg_lo:[0,0,1] neg_hi:[0,0,1]
	s_delay_alu instid0(VALU_DEP_3) | instskip(NEXT) | instid1(VALU_DEP_3)
	v_mov_b32_e32 v113, v111
	v_pk_add_f32 v[106:107], v[106:107], v[108:109]
	s_delay_alu instid0(VALU_DEP_1) | instskip(SKIP_1) | instid1(VALU_DEP_1)
	v_pk_add_f32 v[106:107], v[106:107], v[112:113]
	s_wait_loadcnt 0x0
	v_pk_add_f32 v[106:107], v[196:197], v[106:107] neg_lo:[0,1] neg_hi:[0,1]
	scratch_store_b64 off, v[106:107], off offset:224
	s_wait_xcnt 0x0
	v_cmpx_lt_u32_e32 27, v0
	s_cbranch_execz .LBB51_271
; %bb.270:
	scratch_load_b64 v[106:107], off, off offset:216
	v_mov_b64_e32 v[108:109], 0
	scratch_store_b64 off, v[108:109], off offset:216
	s_wait_loadcnt 0x0
	ds_store_b64 v1, v[106:107]
.LBB51_271:
	s_wait_xcnt 0x0
	s_or_b32 exec_lo, exec_lo, s0
	s_wait_storecnt_dscnt 0x0
	s_barrier_signal -1
	s_barrier_wait -1
	s_clause 0xc
	scratch_load_b128 v[106:109], off, off offset:224
	scratch_load_b128 v[110:113], off, off offset:240
	;; [unrolled: 1-line block ×12, first 2 shown]
	scratch_load_b64 v[202:203], off, off offset:216
	ds_load_b128 v[154:157], v5 offset:768
	ds_load_b128 v[158:161], v5 offset:784
	;; [unrolled: 1-line block ×12, first 2 shown]
	s_mov_b32 s0, exec_lo
	s_wait_dscnt 0xb
	v_dual_mov_b32 v204, v157 :: v_dual_mov_b32 v205, v156
	s_wait_dscnt 0xa
	v_dual_mov_b32 v206, v161 :: v_dual_mov_b32 v207, v160
	;; [unrolled: 2-line block ×4, first 2 shown]
	s_wait_loadcnt_dscnt 0xc07
	v_dual_mul_f32 v5, v170, v107 :: v_dual_mul_f32 v9, v172, v109
	v_dual_mul_f32 v35, v171, v107 :: v_dual_mul_f32 v37, v173, v109
	s_wait_loadcnt_dscnt 0xb06
	v_dual_mul_f32 v11, v174, v111 :: v_dual_mul_f32 v13, v176, v113
	s_delay_alu instid0(VALU_DEP_2) | instskip(SKIP_3) | instid1(VALU_DEP_3)
	v_dual_fmac_f32 v5, v171, v106 :: v_dual_fma_f32 v35, v170, v106, -v35
	v_dual_mul_f32 v39, v175, v111 :: v_dual_mul_f32 v41, v177, v113
	s_wait_loadcnt_dscnt 0x904
	v_dual_mul_f32 v47, v183, v119 :: v_dual_fmac_f32 v9, v173, v108
	v_dual_fma_f32 v37, v172, v108, -v37 :: v_dual_add_f32 v5, 0, v5
	v_dual_add_f32 v35, 0, v35 :: v_dual_mul_f32 v49, v185, v121
	v_fmac_f32_e32 v11, v175, v110
	s_delay_alu instid0(VALU_DEP_3) | instskip(NEXT) | instid1(VALU_DEP_3)
	v_dual_fma_f32 v39, v174, v110, -v39 :: v_dual_add_f32 v5, v5, v9
	v_dual_add_f32 v9, v35, v37 :: v_dual_mul_f32 v15, v178, v115
	v_dual_mul_f32 v17, v180, v117 :: v_dual_mul_f32 v43, v179, v115
	v_dual_mul_f32 v45, v181, v117 :: v_dual_fma_f32 v37, v176, v112, -v41
	s_delay_alu instid0(VALU_DEP_4) | instskip(NEXT) | instid1(VALU_DEP_4)
	v_add_f32_e32 v5, v5, v11
	v_dual_add_f32 v9, v9, v39 :: v_dual_fmac_f32 v15, v179, v114
	s_wait_loadcnt_dscnt 0x803
	v_dual_mul_f32 v35, v187, v123 :: v_dual_fmac_f32 v13, v177, v112
	v_dual_mul_f32 v11, v189, v125 :: v_dual_fma_f32 v39, v178, v114, -v43
	s_delay_alu instid0(VALU_DEP_3) | instskip(SKIP_1) | instid1(VALU_DEP_3)
	v_dual_add_f32 v9, v9, v37 :: v_dual_fma_f32 v37, v180, v116, -v45
	s_wait_loadcnt_dscnt 0x702
	v_dual_add_f32 v5, v5, v13 :: v_dual_mul_f32 v13, v191, v127
	v_dual_mul_f32 v19, v182, v119 :: v_dual_mul_f32 v21, v184, v121
	s_delay_alu instid0(VALU_DEP_3) | instskip(SKIP_1) | instid1(VALU_DEP_4)
	v_add_f32_e32 v9, v9, v39
	v_fmac_f32_e32 v17, v181, v116
	v_dual_add_f32 v5, v5, v15 :: v_dual_fma_f32 v39, v182, v118, -v47
	v_dual_mul_f32 v23, v186, v123 :: v_dual_mul_f32 v25, v188, v125
	s_delay_alu instid0(VALU_DEP_4) | instskip(NEXT) | instid1(VALU_DEP_3)
	v_dual_add_f32 v9, v9, v37 :: v_dual_fma_f32 v35, v186, v122, -v35
	v_dual_fmac_f32 v19, v183, v118 :: v_dual_add_f32 v5, v5, v17
	s_delay_alu instid0(VALU_DEP_3) | instskip(NEXT) | instid1(VALU_DEP_3)
	v_dual_fmac_f32 v23, v187, v122 :: v_dual_fma_f32 v37, v184, v120, -v49
	v_dual_add_f32 v9, v9, v39 :: v_dual_fma_f32 v13, v190, v126, -v13
	v_dual_mul_f32 v27, v190, v127 :: v_dual_mul_f32 v29, v192, v129
	s_wait_loadcnt_dscnt 0x601
	v_dual_mul_f32 v31, v194, v131 :: v_dual_mul_f32 v33, v196, v133
	s_delay_alu instid0(VALU_DEP_2) | instskip(SKIP_1) | instid1(VALU_DEP_3)
	v_dual_fmac_f32 v21, v185, v120 :: v_dual_fmac_f32 v27, v191, v126
	v_dual_add_f32 v5, v5, v19 :: v_dual_fma_f32 v11, v188, v124, -v11
	v_dual_add_f32 v9, v9, v37 :: v_dual_fmac_f32 v31, v195, v130
	v_dual_mul_f32 v15, v193, v129 :: v_dual_mul_f32 v17, v195, v131
	v_mul_f32_e32 v19, v197, v133
	s_wait_loadcnt_dscnt 0x500
	v_dual_add_f32 v5, v5, v21 :: v_dual_mul_f32 v21, v199, v135
	v_add_f32_e32 v9, v9, v35
	v_dual_mul_f32 v213, v198, v135 :: v_dual_mul_f32 v215, v200, v137
	v_fmac_f32_e32 v25, v189, v124
	v_fmac_f32_e32 v29, v193, v128
	s_delay_alu instid0(VALU_DEP_4)
	v_dual_add_f32 v9, v9, v11 :: v_dual_fma_f32 v11, v192, v128, -v15
	v_add_f32_e32 v5, v5, v23
	v_dual_mul_f32 v23, v201, v137 :: v_dual_fmac_f32 v213, v199, v134
	v_fma_f32 v212, v198, v134, -v21
	v_fmac_f32_e32 v33, v197, v132
	s_wait_loadcnt 0x4
	v_pk_mul_f32 v[106:107], v[154:155], v[138:139] op_sel:[1,1] op_sel_hi:[0,1]
	v_dual_fma_f32 v214, v200, v136, -v23 :: v_dual_add_f32 v9, v9, v13
	v_dual_fma_f32 v13, v194, v130, -v17 :: v_dual_add_f32 v5, v5, v25
	s_wait_loadcnt 0x3
	v_dual_mov_b32 v108, v141 :: v_dual_mov_b32 v112, v145
	s_delay_alu instid0(VALU_DEP_3) | instskip(NEXT) | instid1(VALU_DEP_3)
	v_dual_add_f32 v9, v9, v11 :: v_dual_fma_f32 v11, v196, v132, -v19
	v_add_f32_e32 v5, v5, v27
	v_fmac_f32_e32 v215, v201, v136
	v_pk_fma_f32 v[116:117], v[154:155], v[138:139], v[106:107] op_sel_hi:[1,0,1]
	s_delay_alu instid0(VALU_DEP_4)
	v_add_f32_e32 v9, v9, v13
	v_pk_mul_f32 v[108:109], v[204:205], v[108:109] op_sel_hi:[1,0]
	v_add_f32_e32 v5, v5, v29
	v_pk_fma_f32 v[106:107], v[154:155], v[138:139], v[106:107] neg_lo:[0,0,1] neg_hi:[0,0,1]
	v_pk_mul_f32 v[110:111], v[158:159], v[142:143] op_sel:[1,1] op_sel_hi:[0,1]
	v_add_f32_e32 v114, v9, v11
	v_mov_b32_e32 v107, v117
	v_add_f32_e32 v5, v5, v31
	v_pk_fma_f32 v[116:117], v[156:157], v[140:141], v[108:109] op_sel_hi:[1,0,1]
	v_pk_fma_f32 v[108:109], v[156:157], v[140:141], v[108:109] neg_lo:[0,0,1] neg_hi:[0,0,1]
	v_pk_fma_f32 v[120:121], v[158:159], v[142:143], v[110:111] op_sel_hi:[1,0,1]
	v_pk_mul_f32 v[112:113], v[206:207], v[112:113] op_sel_hi:[1,0]
	v_add_f32_e32 v115, v5, v33
	v_mov_b32_e32 v109, v117
	s_wait_loadcnt 0x2
	v_pk_mul_f32 v[118:119], v[162:163], v[146:147] op_sel:[1,1] op_sel_hi:[0,1]
	v_pk_fma_f32 v[110:111], v[158:159], v[142:143], v[110:111] neg_lo:[0,0,1] neg_hi:[0,0,1]
	v_mov_b32_e32 v111, v121
	v_pk_add_f32 v[114:115], v[114:115], v[212:213]
	v_pk_fma_f32 v[116:117], v[160:161], v[144:145], v[112:113] op_sel_hi:[1,0,1]
	v_pk_fma_f32 v[112:113], v[160:161], v[144:145], v[112:113] neg_lo:[0,0,1] neg_hi:[0,0,1]
	s_delay_alu instid0(VALU_DEP_3) | instskip(NEXT) | instid1(VALU_DEP_1)
	v_pk_add_f32 v[114:115], v[114:115], v[214:215]
	v_pk_add_f32 v[106:107], v[114:115], v[106:107]
	v_mov_b32_e32 v114, v149
	s_delay_alu instid0(VALU_DEP_2) | instskip(SKIP_1) | instid1(VALU_DEP_3)
	v_pk_add_f32 v[106:107], v[106:107], v[108:109]
	v_pk_fma_f32 v[108:109], v[162:163], v[146:147], v[118:119] op_sel_hi:[1,0,1]
	v_pk_mul_f32 v[114:115], v[208:209], v[114:115] op_sel_hi:[1,0]
	v_mov_b32_e32 v113, v117
	v_pk_fma_f32 v[116:117], v[162:163], v[146:147], v[118:119] neg_lo:[0,0,1] neg_hi:[0,0,1]
	v_pk_add_f32 v[106:107], v[106:107], v[110:111]
	v_mov_b32_e32 v117, v109
	v_pk_fma_f32 v[108:109], v[164:165], v[148:149], v[114:115] op_sel_hi:[1,0,1]
	s_wait_loadcnt 0x1
	v_pk_mul_f32 v[110:111], v[166:167], v[150:151] op_sel:[1,1] op_sel_hi:[0,1]
	v_mov_b32_e32 v108, v153
	v_pk_add_f32 v[106:107], v[106:107], v[112:113]
	v_pk_fma_f32 v[114:115], v[164:165], v[148:149], v[114:115] neg_lo:[0,0,1] neg_hi:[0,0,1]
	v_mov_b32_e32 v115, v109
	v_pk_fma_f32 v[112:113], v[166:167], v[150:151], v[110:111] op_sel_hi:[1,0,1]
	v_pk_mul_f32 v[108:109], v[210:211], v[108:109] op_sel_hi:[1,0]
	v_pk_add_f32 v[106:107], v[106:107], v[116:117]
	v_pk_fma_f32 v[110:111], v[166:167], v[150:151], v[110:111] neg_lo:[0,0,1] neg_hi:[0,0,1]
	s_delay_alu instid0(VALU_DEP_4) | instskip(NEXT) | instid1(VALU_DEP_4)
	v_mov_b32_e32 v111, v113
	v_pk_fma_f32 v[112:113], v[168:169], v[152:153], v[108:109] op_sel_hi:[1,0,1]
	s_delay_alu instid0(VALU_DEP_4) | instskip(SKIP_1) | instid1(VALU_DEP_3)
	v_pk_add_f32 v[106:107], v[106:107], v[114:115]
	v_pk_fma_f32 v[108:109], v[168:169], v[152:153], v[108:109] neg_lo:[0,0,1] neg_hi:[0,0,1]
	v_mov_b32_e32 v109, v113
	s_delay_alu instid0(VALU_DEP_3) | instskip(NEXT) | instid1(VALU_DEP_1)
	v_pk_add_f32 v[106:107], v[106:107], v[110:111]
	v_pk_add_f32 v[106:107], v[106:107], v[108:109]
	s_wait_loadcnt 0x0
	s_delay_alu instid0(VALU_DEP_1)
	v_pk_add_f32 v[106:107], v[202:203], v[106:107] neg_lo:[0,1] neg_hi:[0,1]
	scratch_store_b64 off, v[106:107], off offset:216
	s_wait_xcnt 0x0
	v_cmpx_lt_u32_e32 26, v0
	s_cbranch_execz .LBB51_273
; %bb.272:
	scratch_load_b64 v[106:107], off, off offset:208
	v_mov_b64_e32 v[108:109], 0
	scratch_store_b64 off, v[108:109], off offset:208
	s_wait_loadcnt 0x0
	ds_store_b64 v1, v[106:107]
.LBB51_273:
	s_wait_xcnt 0x0
	s_or_b32 exec_lo, exec_lo, s0
	s_wait_storecnt_dscnt 0x0
	s_barrier_signal -1
	s_barrier_wait -1
	s_clause 0xd
	scratch_load_b128 v[106:109], off, off offset:216
	scratch_load_b128 v[110:113], off, off offset:232
	;; [unrolled: 1-line block ×12, first 2 shown]
	scratch_load_b64 v[202:203], off, off offset:408
	scratch_load_b64 v[204:205], off, off offset:208
	v_mov_b32_e32 v5, 0
	ds_load_2addr_b64 v[154:157], v5 offset0:95 offset1:96
	ds_load_2addr_b64 v[158:161], v5 offset0:97 offset1:98
	ds_load_2addr_b64 v[162:165], v5 offset0:99 offset1:100
	ds_load_2addr_b64 v[166:169], v5 offset0:101 offset1:102
	ds_load_2addr_b64 v[170:173], v5 offset0:79 offset1:80
	ds_load_2addr_b64 v[174:177], v5 offset0:81 offset1:82
	ds_load_2addr_b64 v[178:181], v5 offset0:83 offset1:84
	ds_load_2addr_b64 v[182:185], v5 offset0:85 offset1:86
	ds_load_2addr_b64 v[186:189], v5 offset0:87 offset1:88
	ds_load_2addr_b64 v[190:193], v5 offset0:89 offset1:90
	ds_load_2addr_b64 v[194:197], v5 offset0:91 offset1:92
	ds_load_2addr_b64 v[198:201], v5 offset0:93 offset1:94
	ds_load_b64 v[206:207], v5 offset:824
	s_mov_b32 s0, exec_lo
	s_wait_dscnt 0xc
	v_dual_mov_b32 v208, v157 :: v_dual_mov_b32 v209, v156
	s_wait_dscnt 0x9
	v_dual_mov_b32 v210, v161 :: v_dual_mov_b32 v215, v168
	v_dual_mov_b32 v211, v160 :: v_dual_mov_b32 v212, v165
	;; [unrolled: 1-line block ×3, first 2 shown]
	s_wait_loadcnt_dscnt 0xd08
	v_dual_mul_f32 v9, v170, v107 :: v_dual_mul_f32 v39, v171, v107
	v_dual_mul_f32 v41, v173, v109 :: v_dual_mul_f32 v11, v172, v109
	s_wait_loadcnt_dscnt 0xc07
	v_mul_f32_e32 v13, v174, v111
	s_wait_loadcnt_dscnt 0xa05
	v_dual_mul_f32 v51, v183, v119 :: v_dual_fma_f32 v39, v170, v106, -v39
	v_dual_fmac_f32 v9, v171, v106 :: v_dual_mul_f32 v53, v185, v121
	v_dual_mul_f32 v43, v175, v111 :: v_dual_mul_f32 v45, v177, v113
	v_dual_fmac_f32 v11, v173, v108 :: v_dual_fma_f32 v41, v172, v108, -v41
	s_delay_alu instid0(VALU_DEP_3) | instskip(SKIP_3) | instid1(VALU_DEP_3)
	v_dual_add_f32 v9, 0, v9 :: v_dual_add_f32 v39, 0, v39
	v_dual_mul_f32 v15, v176, v113 :: v_dual_mul_f32 v17, v178, v115
	s_wait_loadcnt_dscnt 0x904
	v_dual_mul_f32 v55, v187, v123 :: v_dual_fma_f32 v43, v174, v110, -v43
	v_dual_fmac_f32 v13, v175, v110 :: v_dual_add_f32 v9, v9, v11
	s_delay_alu instid0(VALU_DEP_3) | instskip(SKIP_2) | instid1(VALU_DEP_3)
	v_dual_add_f32 v11, v39, v41 :: v_dual_fmac_f32 v15, v177, v112
	v_dual_mul_f32 v47, v179, v115 :: v_dual_mul_f32 v49, v181, v117
	v_dual_mul_f32 v39, v189, v125 :: v_dual_fma_f32 v41, v176, v112, -v45
	v_dual_add_f32 v9, v9, v13 :: v_dual_add_f32 v11, v11, v43
	v_dual_mul_f32 v19, v180, v117 :: v_dual_mul_f32 v21, v182, v119
	s_wait_loadcnt_dscnt 0x803
	v_dual_mul_f32 v13, v191, v127 :: v_dual_fma_f32 v43, v178, v114, -v47
	s_delay_alu instid0(VALU_DEP_3) | instskip(NEXT) | instid1(VALU_DEP_3)
	v_dual_fmac_f32 v17, v179, v114 :: v_dual_add_f32 v9, v9, v15
	v_dual_add_f32 v11, v11, v41 :: v_dual_fmac_f32 v19, v181, v116
	v_dual_mul_f32 v15, v193, v129 :: v_dual_fma_f32 v41, v180, v116, -v49
	s_delay_alu instid0(VALU_DEP_2) | instskip(SKIP_3) | instid1(VALU_DEP_3)
	v_dual_add_f32 v9, v9, v17 :: v_dual_add_f32 v11, v11, v43
	v_dual_mul_f32 v23, v184, v121 :: v_dual_mul_f32 v25, v186, v123
	s_wait_loadcnt_dscnt 0x702
	v_dual_mul_f32 v17, v195, v131 :: v_dual_fma_f32 v43, v182, v118, -v51
	v_dual_fmac_f32 v21, v183, v118 :: v_dual_add_f32 v9, v9, v19
	s_delay_alu instid0(VALU_DEP_3) | instskip(SKIP_1) | instid1(VALU_DEP_2)
	v_dual_add_f32 v11, v11, v41 :: v_dual_fmac_f32 v23, v185, v120
	v_dual_mul_f32 v19, v197, v133 :: v_dual_fma_f32 v41, v184, v120, -v53
	v_dual_add_f32 v9, v9, v21 :: v_dual_add_f32 v11, v11, v43
	v_dual_mul_f32 v27, v188, v125 :: v_dual_mul_f32 v29, v190, v127
	s_wait_loadcnt_dscnt 0x601
	v_dual_mul_f32 v21, v199, v135 :: v_dual_fma_f32 v43, v186, v122, -v55
	s_delay_alu instid0(VALU_DEP_3) | instskip(NEXT) | instid1(VALU_DEP_3)
	v_dual_fmac_f32 v25, v187, v122 :: v_dual_add_f32 v9, v9, v23
	v_dual_add_f32 v11, v11, v41 :: v_dual_fmac_f32 v27, v189, v124
	v_dual_mul_f32 v23, v201, v137 :: v_dual_fma_f32 v39, v188, v124, -v39
	s_delay_alu instid0(VALU_DEP_2) | instskip(SKIP_3) | instid1(VALU_DEP_3)
	v_dual_add_f32 v9, v9, v25 :: v_dual_add_f32 v11, v11, v43
	v_dual_mul_f32 v31, v192, v129 :: v_dual_mul_f32 v33, v194, v131
	s_wait_loadcnt 0x5
	v_dual_mul_f32 v25, v155, v139 :: v_dual_fma_f32 v13, v190, v126, -v13
	v_dual_fmac_f32 v29, v191, v126 :: v_dual_add_f32 v9, v9, v27
	v_dual_add_f32 v11, v11, v39 :: v_dual_mov_b32 v106, v141
	v_fmac_f32_e32 v31, v193, v128
	s_delay_alu instid0(VALU_DEP_3) | instskip(NEXT) | instid1(VALU_DEP_3)
	v_dual_fma_f32 v15, v192, v128, -v15 :: v_dual_add_f32 v9, v9, v29
	v_add_f32_e32 v11, v11, v13
	v_dual_mul_f32 v35, v196, v133 :: v_dual_mul_f32 v37, v198, v135
	s_delay_alu instid0(VALU_DEP_3) | instskip(NEXT) | instid1(VALU_DEP_3)
	v_dual_fmac_f32 v33, v195, v130 :: v_dual_add_f32 v9, v9, v31
	v_dual_fma_f32 v13, v194, v130, -v17 :: v_dual_add_f32 v11, v11, v15
	s_wait_loadcnt 0x4
	v_dual_mov_b32 v110, v145 :: v_dual_fma_f32 v15, v196, v132, -v19
	v_fmac_f32_e32 v35, v197, v132
	v_dual_add_f32 v9, v9, v33 :: v_dual_fmac_f32 v37, v199, v134
	v_add_f32_e32 v11, v11, v13
	v_dual_mul_f32 v217, v200, v137 :: v_dual_mul_f32 v219, v154, v139
	s_delay_alu instid0(VALU_DEP_3) | instskip(NEXT) | instid1(VALU_DEP_2)
	v_dual_fma_f32 v13, v198, v134, -v21 :: v_dual_add_f32 v9, v9, v35
	v_dual_add_f32 v11, v11, v15 :: v_dual_fmac_f32 v217, v201, v136
	v_fma_f32 v216, v200, v136, -v23
	v_pk_mul_f32 v[106:107], v[208:209], v[106:107] op_sel_hi:[1,0]
	s_delay_alu instid0(VALU_DEP_4)
	v_add_f32_e32 v115, v9, v37
	s_wait_loadcnt 0x3
	v_dual_add_f32 v114, v11, v13 :: v_dual_mov_b32 v116, v149
	v_pk_mul_f32 v[108:109], v[158:159], v[142:143] op_sel:[1,1] op_sel_hi:[0,1]
	v_dual_fmac_f32 v219, v155, v138 :: v_dual_fma_f32 v218, v154, v138, -v25
	v_pk_fma_f32 v[118:119], v[156:157], v[140:141], v[106:107] op_sel_hi:[1,0,1]
	s_delay_alu instid0(VALU_DEP_4)
	v_pk_add_f32 v[114:115], v[114:115], v[216:217]
	v_pk_fma_f32 v[106:107], v[156:157], v[140:141], v[106:107] neg_lo:[0,0,1] neg_hi:[0,0,1]
	v_pk_fma_f32 v[120:121], v[158:159], v[142:143], v[108:109] op_sel_hi:[1,0,1]
	v_pk_mul_f32 v[110:111], v[210:211], v[110:111] op_sel_hi:[1,0]
	v_mov_b32_e32 v107, v119
	v_pk_add_f32 v[114:115], v[114:115], v[218:219]
	v_pk_fma_f32 v[108:109], v[158:159], v[142:143], v[108:109] neg_lo:[0,0,1] neg_hi:[0,0,1]
	v_pk_mul_f32 v[112:113], v[162:163], v[146:147] op_sel:[1,1] op_sel_hi:[0,1]
	v_mov_b32_e32 v109, v121
	v_pk_fma_f32 v[120:121], v[160:161], v[144:145], v[110:111] op_sel_hi:[1,0,1]
	v_pk_add_f32 v[106:107], v[114:115], v[106:107]
	v_pk_fma_f32 v[110:111], v[160:161], v[144:145], v[110:111] neg_lo:[0,0,1] neg_hi:[0,0,1]
	v_pk_fma_f32 v[114:115], v[162:163], v[146:147], v[112:113] op_sel_hi:[1,0,1]
	v_pk_mul_f32 v[116:117], v[212:213], v[116:117] op_sel_hi:[1,0]
	v_mov_b32_e32 v111, v121
	v_pk_add_f32 v[106:107], v[106:107], v[108:109]
	v_pk_fma_f32 v[112:113], v[162:163], v[146:147], v[112:113] neg_lo:[0,0,1] neg_hi:[0,0,1]
	s_wait_loadcnt 0x2
	v_pk_mul_f32 v[118:119], v[166:167], v[150:151] op_sel:[1,1] op_sel_hi:[0,1]
	v_dual_mov_b32 v108, v153 :: v_dual_mov_b32 v113, v115
	v_pk_fma_f32 v[114:115], v[164:165], v[148:149], v[116:117] op_sel_hi:[1,0,1]
	v_pk_add_f32 v[106:107], v[106:107], v[110:111]
	v_pk_fma_f32 v[116:117], v[164:165], v[148:149], v[116:117] neg_lo:[0,0,1] neg_hi:[0,0,1]
	v_pk_fma_f32 v[110:111], v[166:167], v[150:151], v[118:119] op_sel_hi:[1,0,1]
	v_pk_mul_f32 v[108:109], v[214:215], v[108:109] op_sel_hi:[1,0]
	v_mov_b32_e32 v117, v115
	v_pk_add_f32 v[106:107], v[106:107], v[112:113]
	v_pk_fma_f32 v[112:113], v[166:167], v[150:151], v[118:119] neg_lo:[0,0,1] neg_hi:[0,0,1]
	v_mov_b32_e32 v113, v111
	v_pk_fma_f32 v[110:111], v[168:169], v[152:153], v[108:109] op_sel_hi:[1,0,1]
	s_wait_loadcnt_dscnt 0x100
	v_pk_mul_f32 v[114:115], v[206:207], v[202:203] op_sel:[1,1] op_sel_hi:[0,1]
	v_pk_add_f32 v[106:107], v[106:107], v[116:117]
	v_pk_fma_f32 v[108:109], v[168:169], v[152:153], v[108:109] neg_lo:[0,0,1] neg_hi:[0,0,1]
	v_mov_b32_e32 v109, v111
	s_delay_alu instid0(VALU_DEP_4) | instskip(NEXT) | instid1(VALU_DEP_4)
	v_pk_fma_f32 v[110:111], v[206:207], v[202:203], v[114:115] op_sel_hi:[1,0,1]
	v_pk_add_f32 v[106:107], v[106:107], v[112:113]
	v_pk_fma_f32 v[112:113], v[206:207], v[202:203], v[114:115] neg_lo:[0,0,1] neg_hi:[0,0,1]
	s_delay_alu instid0(VALU_DEP_3) | instskip(NEXT) | instid1(VALU_DEP_3)
	v_mov_b32_e32 v113, v111
	v_pk_add_f32 v[106:107], v[106:107], v[108:109]
	s_delay_alu instid0(VALU_DEP_1) | instskip(SKIP_1) | instid1(VALU_DEP_1)
	v_pk_add_f32 v[106:107], v[106:107], v[112:113]
	s_wait_loadcnt 0x0
	v_pk_add_f32 v[106:107], v[204:205], v[106:107] neg_lo:[0,1] neg_hi:[0,1]
	scratch_store_b64 off, v[106:107], off offset:208
	s_wait_xcnt 0x0
	v_cmpx_lt_u32_e32 25, v0
	s_cbranch_execz .LBB51_275
; %bb.274:
	scratch_load_b64 v[106:107], off, off offset:200
	v_mov_b64_e32 v[108:109], 0
	scratch_store_b64 off, v[108:109], off offset:200
	s_wait_loadcnt 0x0
	ds_store_b64 v1, v[106:107]
.LBB51_275:
	s_wait_xcnt 0x0
	s_or_b32 exec_lo, exec_lo, s0
	s_wait_storecnt_dscnt 0x0
	s_barrier_signal -1
	s_barrier_wait -1
	s_clause 0xd
	scratch_load_b128 v[106:109], off, off offset:208
	scratch_load_b128 v[110:113], off, off offset:224
	;; [unrolled: 1-line block ×13, first 2 shown]
	scratch_load_b64 v[210:211], off, off offset:200
	ds_load_b128 v[158:161], v5 offset:768
	ds_load_b128 v[162:165], v5 offset:784
	ds_load_b128 v[166:169], v5 offset:800
	ds_load_b128 v[170:173], v5 offset:816
	ds_load_b128 v[174:177], v5 offset:624
	ds_load_b128 v[178:181], v5 offset:640
	ds_load_b128 v[182:185], v5 offset:656
	ds_load_b128 v[186:189], v5 offset:672
	ds_load_b128 v[190:193], v5 offset:752
	ds_load_b128 v[194:197], v5 offset:688
	ds_load_b128 v[198:201], v5 offset:704
	ds_load_b128 v[202:205], v5 offset:720
	ds_load_b128 v[206:209], v5 offset:736
	s_mov_b32 s0, exec_lo
	s_wait_dscnt 0xc
	v_dual_mov_b32 v212, v161 :: v_dual_mov_b32 v213, v160
	s_wait_dscnt 0xb
	v_dual_mov_b32 v214, v165 :: v_dual_mov_b32 v215, v164
	;; [unrolled: 2-line block ×4, first 2 shown]
	s_wait_loadcnt_dscnt 0xd08
	v_dual_mul_f32 v5, v174, v107 :: v_dual_mul_f32 v9, v176, v109
	v_dual_mul_f32 v39, v175, v107 :: v_dual_mul_f32 v41, v177, v109
	s_wait_loadcnt_dscnt 0xc07
	v_dual_mul_f32 v11, v178, v111 :: v_dual_mul_f32 v13, v180, v113
	s_delay_alu instid0(VALU_DEP_2) | instskip(SKIP_3) | instid1(VALU_DEP_3)
	v_dual_fmac_f32 v5, v175, v106 :: v_dual_fma_f32 v39, v174, v106, -v39
	v_dual_mul_f32 v43, v179, v111 :: v_dual_mul_f32 v45, v181, v113
	s_wait_loadcnt_dscnt 0xa05
	v_dual_mul_f32 v51, v187, v119 :: v_dual_fmac_f32 v9, v177, v108
	v_dual_fma_f32 v41, v176, v108, -v41 :: v_dual_add_f32 v5, 0, v5
	v_dual_add_f32 v39, 0, v39 :: v_dual_mul_f32 v53, v189, v121
	v_fmac_f32_e32 v11, v179, v110
	s_delay_alu instid0(VALU_DEP_3) | instskip(NEXT) | instid1(VALU_DEP_3)
	v_dual_fma_f32 v43, v178, v110, -v43 :: v_dual_add_f32 v5, v5, v9
	v_dual_add_f32 v9, v39, v41 :: v_dual_mul_f32 v15, v182, v115
	v_dual_mul_f32 v17, v184, v117 :: v_dual_mul_f32 v47, v183, v115
	v_dual_mul_f32 v49, v185, v117 :: v_dual_fma_f32 v41, v180, v112, -v45
	s_delay_alu instid0(VALU_DEP_4) | instskip(NEXT) | instid1(VALU_DEP_4)
	v_add_f32_e32 v5, v5, v11
	v_dual_add_f32 v9, v9, v43 :: v_dual_fmac_f32 v15, v183, v114
	s_wait_loadcnt_dscnt 0x903
	v_dual_mul_f32 v39, v195, v123 :: v_dual_fmac_f32 v13, v181, v112
	v_dual_mul_f32 v11, v197, v125 :: v_dual_fma_f32 v43, v182, v114, -v47
	s_delay_alu instid0(VALU_DEP_3) | instskip(SKIP_1) | instid1(VALU_DEP_3)
	v_dual_add_f32 v9, v9, v41 :: v_dual_fma_f32 v41, v184, v116, -v49
	s_wait_loadcnt_dscnt 0x802
	v_dual_add_f32 v5, v5, v13 :: v_dual_mul_f32 v13, v199, v127
	v_dual_mul_f32 v19, v186, v119 :: v_dual_mul_f32 v21, v188, v121
	s_delay_alu instid0(VALU_DEP_3) | instskip(SKIP_1) | instid1(VALU_DEP_4)
	v_add_f32_e32 v9, v9, v43
	v_fmac_f32_e32 v17, v185, v116
	v_dual_add_f32 v5, v5, v15 :: v_dual_fma_f32 v43, v186, v118, -v51
	v_dual_mul_f32 v23, v194, v123 :: v_dual_mul_f32 v25, v196, v125
	s_delay_alu instid0(VALU_DEP_4) | instskip(NEXT) | instid1(VALU_DEP_3)
	v_dual_add_f32 v9, v9, v41 :: v_dual_fma_f32 v39, v194, v122, -v39
	v_dual_fmac_f32 v19, v187, v118 :: v_dual_add_f32 v5, v5, v17
	s_delay_alu instid0(VALU_DEP_3) | instskip(NEXT) | instid1(VALU_DEP_3)
	v_dual_fmac_f32 v23, v195, v122 :: v_dual_fma_f32 v41, v188, v120, -v53
	v_dual_add_f32 v9, v9, v43 :: v_dual_fma_f32 v13, v198, v126, -v13
	v_dual_mul_f32 v27, v198, v127 :: v_dual_mul_f32 v29, v200, v129
	s_wait_loadcnt_dscnt 0x701
	v_dual_mul_f32 v15, v201, v129 :: v_dual_mul_f32 v17, v203, v131
	s_delay_alu instid0(VALU_DEP_2) | instskip(SKIP_1) | instid1(VALU_DEP_3)
	v_dual_fmac_f32 v21, v189, v120 :: v_dual_fmac_f32 v27, v199, v126
	v_dual_add_f32 v5, v5, v19 :: v_dual_fma_f32 v11, v196, v124, -v11
	v_dual_add_f32 v9, v9, v41 :: v_dual_fma_f32 v15, v200, v128, -v15
	v_mul_f32_e32 v19, v205, v133
	s_wait_loadcnt_dscnt 0x600
	s_delay_alu instid0(VALU_DEP_3) | instskip(NEXT) | instid1(VALU_DEP_3)
	v_dual_add_f32 v5, v5, v21 :: v_dual_mul_f32 v21, v207, v135
	v_add_f32_e32 v9, v9, v39
	v_dual_mul_f32 v31, v202, v131 :: v_dual_mul_f32 v33, v204, v133
	s_wait_loadcnt 0x5
	v_dual_mul_f32 v221, v190, v139 :: v_dual_mul_f32 v223, v192, v141
	s_delay_alu instid0(VALU_DEP_3) | instskip(NEXT) | instid1(VALU_DEP_3)
	v_add_f32_e32 v9, v9, v11
	v_dual_fmac_f32 v25, v197, v124 :: v_dual_fmac_f32 v31, v203, v130
	v_mul_f32_e32 v11, v191, v139
	v_dual_add_f32 v5, v5, v23 :: v_dual_fma_f32 v17, v202, v130, -v17
	s_delay_alu instid0(VALU_DEP_4) | instskip(SKIP_1) | instid1(VALU_DEP_3)
	v_add_f32_e32 v9, v9, v13
	v_dual_mul_f32 v13, v193, v141 :: v_dual_fmac_f32 v223, v193, v140
	v_add_f32_e32 v5, v5, v25
	v_dual_fmac_f32 v29, v201, v128 :: v_dual_fma_f32 v220, v190, v138, -v11
	s_delay_alu instid0(VALU_DEP_3) | instskip(SKIP_2) | instid1(VALU_DEP_3)
	v_dual_fma_f32 v222, v192, v140, -v13 :: v_dual_add_f32 v9, v9, v15
	v_dual_fmac_f32 v221, v191, v138 :: v_dual_mul_f32 v35, v206, v135
	v_dual_mul_f32 v37, v208, v137 :: v_dual_fmac_f32 v33, v205, v132
	v_dual_add_f32 v9, v9, v17 :: v_dual_fma_f32 v17, v206, v134, -v21
	v_dual_add_f32 v5, v5, v27 :: v_dual_fma_f32 v15, v204, v132, -v19
	s_delay_alu instid0(VALU_DEP_4) | instskip(NEXT) | instid1(VALU_DEP_4)
	v_dual_mul_f32 v23, v209, v137 :: v_dual_fmac_f32 v35, v207, v134
	v_fmac_f32_e32 v37, v209, v136
	s_delay_alu instid0(VALU_DEP_3) | instskip(NEXT) | instid1(VALU_DEP_3)
	v_add_f32_e32 v5, v5, v29
	v_dual_add_f32 v9, v9, v15 :: v_dual_fma_f32 v15, v208, v136, -v23
	s_wait_loadcnt 0x4
	v_pk_mul_f32 v[106:107], v[158:159], v[142:143] op_sel:[1,1] op_sel_hi:[0,1]
	s_wait_loadcnt 0x3
	v_dual_mov_b32 v108, v145 :: v_dual_mov_b32 v112, v149
	v_add_f32_e32 v5, v5, v31
	v_add_f32_e32 v9, v9, v17
	v_pk_fma_f32 v[116:117], v[158:159], v[142:143], v[106:107] op_sel_hi:[1,0,1]
	s_delay_alu instid0(VALU_DEP_4)
	v_pk_mul_f32 v[108:109], v[212:213], v[108:109] op_sel_hi:[1,0]
	v_pk_fma_f32 v[106:107], v[158:159], v[142:143], v[106:107] neg_lo:[0,0,1] neg_hi:[0,0,1]
	v_add_f32_e32 v5, v5, v33
	v_add_f32_e32 v114, v9, v15
	v_pk_mul_f32 v[110:111], v[162:163], v[146:147] op_sel:[1,1] op_sel_hi:[0,1]
	v_mov_b32_e32 v107, v117
	v_pk_fma_f32 v[116:117], v[160:161], v[144:145], v[108:109] op_sel_hi:[1,0,1]
	v_add_f32_e32 v5, v5, v35
	v_pk_fma_f32 v[108:109], v[160:161], v[144:145], v[108:109] neg_lo:[0,0,1] neg_hi:[0,0,1]
	v_pk_fma_f32 v[120:121], v[162:163], v[146:147], v[110:111] op_sel_hi:[1,0,1]
	v_pk_mul_f32 v[112:113], v[214:215], v[112:113] op_sel_hi:[1,0]
	v_mov_b32_e32 v109, v117
	v_add_f32_e32 v115, v5, v37
	s_wait_loadcnt 0x2
	v_pk_mul_f32 v[118:119], v[166:167], v[150:151] op_sel:[1,1] op_sel_hi:[0,1]
	v_pk_fma_f32 v[110:111], v[162:163], v[146:147], v[110:111] neg_lo:[0,0,1] neg_hi:[0,0,1]
	v_mov_b32_e32 v111, v121
	v_pk_fma_f32 v[116:117], v[164:165], v[148:149], v[112:113] op_sel_hi:[1,0,1]
	v_pk_add_f32 v[114:115], v[114:115], v[220:221]
	v_pk_fma_f32 v[112:113], v[164:165], v[148:149], v[112:113] neg_lo:[0,0,1] neg_hi:[0,0,1]
	s_delay_alu instid0(VALU_DEP_2) | instskip(NEXT) | instid1(VALU_DEP_1)
	v_pk_add_f32 v[114:115], v[114:115], v[222:223]
	v_pk_add_f32 v[106:107], v[114:115], v[106:107]
	v_mov_b32_e32 v114, v153
	s_delay_alu instid0(VALU_DEP_2) | instskip(SKIP_1) | instid1(VALU_DEP_3)
	v_pk_add_f32 v[106:107], v[106:107], v[108:109]
	v_pk_fma_f32 v[108:109], v[166:167], v[150:151], v[118:119] op_sel_hi:[1,0,1]
	v_pk_mul_f32 v[114:115], v[216:217], v[114:115] op_sel_hi:[1,0]
	v_mov_b32_e32 v113, v117
	v_pk_fma_f32 v[116:117], v[166:167], v[150:151], v[118:119] neg_lo:[0,0,1] neg_hi:[0,0,1]
	v_pk_add_f32 v[106:107], v[106:107], v[110:111]
	v_mov_b32_e32 v117, v109
	v_pk_fma_f32 v[108:109], v[168:169], v[152:153], v[114:115] op_sel_hi:[1,0,1]
	s_wait_loadcnt 0x1
	v_pk_mul_f32 v[110:111], v[170:171], v[154:155] op_sel:[1,1] op_sel_hi:[0,1]
	v_mov_b32_e32 v108, v157
	v_pk_add_f32 v[106:107], v[106:107], v[112:113]
	v_pk_fma_f32 v[114:115], v[168:169], v[152:153], v[114:115] neg_lo:[0,0,1] neg_hi:[0,0,1]
	v_mov_b32_e32 v115, v109
	v_pk_fma_f32 v[112:113], v[170:171], v[154:155], v[110:111] op_sel_hi:[1,0,1]
	v_pk_mul_f32 v[108:109], v[218:219], v[108:109] op_sel_hi:[1,0]
	v_pk_add_f32 v[106:107], v[106:107], v[116:117]
	v_pk_fma_f32 v[110:111], v[170:171], v[154:155], v[110:111] neg_lo:[0,0,1] neg_hi:[0,0,1]
	s_delay_alu instid0(VALU_DEP_4) | instskip(NEXT) | instid1(VALU_DEP_4)
	v_mov_b32_e32 v111, v113
	v_pk_fma_f32 v[112:113], v[172:173], v[156:157], v[108:109] op_sel_hi:[1,0,1]
	s_delay_alu instid0(VALU_DEP_4) | instskip(SKIP_1) | instid1(VALU_DEP_3)
	v_pk_add_f32 v[106:107], v[106:107], v[114:115]
	v_pk_fma_f32 v[108:109], v[172:173], v[156:157], v[108:109] neg_lo:[0,0,1] neg_hi:[0,0,1]
	v_mov_b32_e32 v109, v113
	s_delay_alu instid0(VALU_DEP_3) | instskip(NEXT) | instid1(VALU_DEP_1)
	v_pk_add_f32 v[106:107], v[106:107], v[110:111]
	v_pk_add_f32 v[106:107], v[106:107], v[108:109]
	s_wait_loadcnt 0x0
	s_delay_alu instid0(VALU_DEP_1)
	v_pk_add_f32 v[106:107], v[210:211], v[106:107] neg_lo:[0,1] neg_hi:[0,1]
	scratch_store_b64 off, v[106:107], off offset:200
	s_wait_xcnt 0x0
	v_cmpx_lt_u32_e32 24, v0
	s_cbranch_execz .LBB51_277
; %bb.276:
	scratch_load_b64 v[106:107], off, off offset:192
	v_mov_b64_e32 v[108:109], 0
	scratch_store_b64 off, v[108:109], off offset:192
	s_wait_loadcnt 0x0
	ds_store_b64 v1, v[106:107]
.LBB51_277:
	s_wait_xcnt 0x0
	s_or_b32 exec_lo, exec_lo, s0
	s_wait_storecnt_dscnt 0x0
	s_barrier_signal -1
	s_barrier_wait -1
	s_clause 0xe
	scratch_load_b128 v[106:109], off, off offset:200
	scratch_load_b128 v[110:113], off, off offset:216
	;; [unrolled: 1-line block ×13, first 2 shown]
	scratch_load_b64 v[210:211], off, off offset:408
	scratch_load_b64 v[212:213], off, off offset:192
	v_mov_b32_e32 v5, 0
	ds_load_2addr_b64 v[158:161], v5 offset0:95 offset1:96
	ds_load_2addr_b64 v[162:165], v5 offset0:97 offset1:98
	;; [unrolled: 1-line block ×13, first 2 shown]
	ds_load_b64 v[214:215], v5 offset:824
	s_mov_b32 s0, exec_lo
	s_wait_dscnt 0xd
	v_dual_mov_b32 v216, v161 :: v_dual_mov_b32 v217, v160
	s_wait_dscnt 0xa
	v_dual_mov_b32 v218, v165 :: v_dual_mov_b32 v223, v172
	v_dual_mov_b32 v219, v164 :: v_dual_mov_b32 v220, v169
	;; [unrolled: 1-line block ×3, first 2 shown]
	s_wait_loadcnt_dscnt 0xe09
	v_dual_mul_f32 v9, v174, v107 :: v_dual_mul_f32 v43, v175, v107
	v_dual_mul_f32 v45, v177, v109 :: v_dual_mul_f32 v11, v176, v109
	s_wait_loadcnt_dscnt 0xd08
	v_mul_f32_e32 v13, v178, v111
	s_wait_loadcnt_dscnt 0xb05
	v_dual_mul_f32 v55, v191, v119 :: v_dual_fma_f32 v43, v174, v106, -v43
	v_dual_fmac_f32 v9, v175, v106 :: v_dual_mul_f32 v57, v193, v121
	v_dual_mul_f32 v47, v179, v111 :: v_dual_mul_f32 v49, v181, v113
	v_dual_fmac_f32 v11, v177, v108 :: v_dual_fma_f32 v45, v176, v108, -v45
	s_delay_alu instid0(VALU_DEP_3) | instskip(SKIP_3) | instid1(VALU_DEP_3)
	v_dual_add_f32 v9, 0, v9 :: v_dual_add_f32 v43, 0, v43
	v_dual_mul_f32 v15, v180, v113 :: v_dual_mul_f32 v17, v182, v115
	s_wait_loadcnt_dscnt 0xa04
	v_dual_mul_f32 v59, v195, v123 :: v_dual_fma_f32 v47, v178, v110, -v47
	v_dual_fmac_f32 v13, v179, v110 :: v_dual_add_f32 v9, v9, v11
	s_delay_alu instid0(VALU_DEP_3) | instskip(SKIP_2) | instid1(VALU_DEP_3)
	v_dual_add_f32 v11, v43, v45 :: v_dual_fmac_f32 v15, v181, v112
	v_dual_mul_f32 v51, v183, v115 :: v_dual_mul_f32 v53, v185, v117
	v_dual_mul_f32 v43, v197, v125 :: v_dual_fma_f32 v45, v180, v112, -v49
	v_dual_add_f32 v9, v9, v13 :: v_dual_add_f32 v11, v11, v47
	v_dual_mul_f32 v19, v184, v117 :: v_dual_mul_f32 v21, v190, v119
	s_wait_loadcnt_dscnt 0x903
	v_dual_mul_f32 v13, v199, v127 :: v_dual_fma_f32 v47, v182, v114, -v51
	s_delay_alu instid0(VALU_DEP_3) | instskip(NEXT) | instid1(VALU_DEP_3)
	v_dual_fmac_f32 v17, v183, v114 :: v_dual_add_f32 v9, v9, v15
	v_dual_add_f32 v11, v11, v45 :: v_dual_fmac_f32 v19, v185, v116
	v_dual_mul_f32 v15, v201, v129 :: v_dual_fma_f32 v45, v184, v116, -v53
	s_delay_alu instid0(VALU_DEP_2) | instskip(SKIP_3) | instid1(VALU_DEP_3)
	v_dual_add_f32 v9, v9, v17 :: v_dual_add_f32 v11, v11, v47
	v_dual_mul_f32 v23, v192, v121 :: v_dual_mul_f32 v25, v194, v123
	s_wait_loadcnt_dscnt 0x802
	v_dual_mul_f32 v17, v203, v131 :: v_dual_fma_f32 v47, v190, v118, -v55
	v_dual_fmac_f32 v21, v191, v118 :: v_dual_add_f32 v9, v9, v19
	s_delay_alu instid0(VALU_DEP_3) | instskip(SKIP_1) | instid1(VALU_DEP_2)
	v_dual_add_f32 v11, v11, v45 :: v_dual_fmac_f32 v23, v193, v120
	v_dual_mul_f32 v19, v205, v133 :: v_dual_fma_f32 v45, v192, v120, -v57
	v_dual_add_f32 v9, v9, v21 :: v_dual_add_f32 v11, v11, v47
	v_dual_mul_f32 v27, v196, v125 :: v_dual_mul_f32 v29, v198, v127
	s_wait_loadcnt_dscnt 0x701
	v_dual_mul_f32 v21, v207, v135 :: v_dual_fma_f32 v47, v194, v122, -v59
	s_delay_alu instid0(VALU_DEP_3) | instskip(NEXT) | instid1(VALU_DEP_3)
	v_dual_fmac_f32 v25, v195, v122 :: v_dual_add_f32 v9, v9, v23
	v_dual_add_f32 v11, v11, v45 :: v_dual_fmac_f32 v27, v197, v124
	v_dual_mul_f32 v23, v209, v137 :: v_dual_fma_f32 v43, v196, v124, -v43
	s_delay_alu instid0(VALU_DEP_2) | instskip(SKIP_3) | instid1(VALU_DEP_3)
	v_dual_add_f32 v9, v9, v25 :: v_dual_add_f32 v11, v11, v47
	v_dual_mul_f32 v31, v200, v129 :: v_dual_mul_f32 v33, v202, v131
	s_wait_loadcnt 0x6
	v_dual_mul_f32 v25, v187, v139 :: v_dual_fma_f32 v13, v198, v126, -v13
	v_dual_fmac_f32 v29, v199, v126 :: v_dual_add_f32 v9, v9, v27
	v_dual_add_f32 v11, v11, v43 :: v_dual_mul_f32 v27, v189, v141
	v_fmac_f32_e32 v31, v201, v128
	s_delay_alu instid0(VALU_DEP_3) | instskip(NEXT) | instid1(VALU_DEP_3)
	v_dual_fma_f32 v15, v200, v128, -v15 :: v_dual_add_f32 v9, v9, v29
	v_add_f32_e32 v11, v11, v13
	v_dual_mul_f32 v35, v204, v133 :: v_dual_mul_f32 v37, v206, v135
	s_wait_loadcnt 0x5
	v_dual_mul_f32 v13, v159, v143 :: v_dual_fma_f32 v17, v202, v130, -v17
	v_dual_fmac_f32 v33, v203, v130 :: v_dual_add_f32 v9, v9, v31
	v_dual_add_f32 v11, v11, v15 :: v_dual_mov_b32 v106, v145
	v_fmac_f32_e32 v35, v205, v132
	s_delay_alu instid0(VALU_DEP_3) | instskip(NEXT) | instid1(VALU_DEP_3)
	v_dual_fma_f32 v15, v204, v132, -v19 :: v_dual_add_f32 v9, v9, v33
	v_add_f32_e32 v11, v11, v17
	v_dual_mul_f32 v39, v208, v137 :: v_dual_mul_f32 v41, v186, v139
	s_delay_alu instid0(VALU_DEP_3) | instskip(NEXT) | instid1(VALU_DEP_3)
	v_dual_fmac_f32 v37, v207, v134 :: v_dual_add_f32 v9, v9, v35
	v_dual_fma_f32 v17, v206, v134, -v21 :: v_dual_add_f32 v11, v11, v15
	s_wait_loadcnt 0x4
	v_dual_mov_b32 v110, v149 :: v_dual_fma_f32 v15, v208, v136, -v23
	v_fmac_f32_e32 v39, v209, v136
	v_dual_add_f32 v9, v9, v37 :: v_dual_fmac_f32 v41, v187, v138
	v_add_f32_e32 v11, v11, v17
	v_dual_mul_f32 v225, v188, v141 :: v_dual_mul_f32 v227, v158, v143
	s_delay_alu instid0(VALU_DEP_3) | instskip(NEXT) | instid1(VALU_DEP_2)
	v_dual_fma_f32 v17, v186, v138, -v25 :: v_dual_add_f32 v9, v9, v39
	v_dual_add_f32 v11, v11, v15 :: v_dual_fmac_f32 v225, v189, v140
	v_fma_f32 v224, v188, v140, -v27
	v_pk_mul_f32 v[106:107], v[216:217], v[106:107] op_sel_hi:[1,0]
	s_delay_alu instid0(VALU_DEP_4)
	v_add_f32_e32 v115, v9, v41
	s_wait_loadcnt 0x3
	v_dual_add_f32 v114, v11, v17 :: v_dual_mov_b32 v116, v153
	v_pk_mul_f32 v[108:109], v[162:163], v[146:147] op_sel:[1,1] op_sel_hi:[0,1]
	v_dual_fmac_f32 v227, v159, v142 :: v_dual_fma_f32 v226, v158, v142, -v13
	v_pk_fma_f32 v[118:119], v[160:161], v[144:145], v[106:107] op_sel_hi:[1,0,1]
	s_delay_alu instid0(VALU_DEP_4)
	v_pk_add_f32 v[114:115], v[114:115], v[224:225]
	v_pk_fma_f32 v[106:107], v[160:161], v[144:145], v[106:107] neg_lo:[0,0,1] neg_hi:[0,0,1]
	v_pk_fma_f32 v[120:121], v[162:163], v[146:147], v[108:109] op_sel_hi:[1,0,1]
	v_pk_mul_f32 v[110:111], v[218:219], v[110:111] op_sel_hi:[1,0]
	v_mov_b32_e32 v107, v119
	v_pk_add_f32 v[114:115], v[114:115], v[226:227]
	v_pk_fma_f32 v[108:109], v[162:163], v[146:147], v[108:109] neg_lo:[0,0,1] neg_hi:[0,0,1]
	v_pk_mul_f32 v[112:113], v[166:167], v[150:151] op_sel:[1,1] op_sel_hi:[0,1]
	v_mov_b32_e32 v109, v121
	v_pk_fma_f32 v[120:121], v[164:165], v[148:149], v[110:111] op_sel_hi:[1,0,1]
	v_pk_add_f32 v[106:107], v[114:115], v[106:107]
	v_pk_fma_f32 v[110:111], v[164:165], v[148:149], v[110:111] neg_lo:[0,0,1] neg_hi:[0,0,1]
	v_pk_fma_f32 v[114:115], v[166:167], v[150:151], v[112:113] op_sel_hi:[1,0,1]
	v_pk_mul_f32 v[116:117], v[220:221], v[116:117] op_sel_hi:[1,0]
	v_mov_b32_e32 v111, v121
	v_pk_add_f32 v[106:107], v[106:107], v[108:109]
	v_pk_fma_f32 v[112:113], v[166:167], v[150:151], v[112:113] neg_lo:[0,0,1] neg_hi:[0,0,1]
	s_wait_loadcnt 0x2
	v_pk_mul_f32 v[118:119], v[170:171], v[154:155] op_sel:[1,1] op_sel_hi:[0,1]
	v_dual_mov_b32 v108, v157 :: v_dual_mov_b32 v113, v115
	v_pk_fma_f32 v[114:115], v[168:169], v[152:153], v[116:117] op_sel_hi:[1,0,1]
	v_pk_add_f32 v[106:107], v[106:107], v[110:111]
	v_pk_fma_f32 v[116:117], v[168:169], v[152:153], v[116:117] neg_lo:[0,0,1] neg_hi:[0,0,1]
	v_pk_fma_f32 v[110:111], v[170:171], v[154:155], v[118:119] op_sel_hi:[1,0,1]
	v_pk_mul_f32 v[108:109], v[222:223], v[108:109] op_sel_hi:[1,0]
	v_mov_b32_e32 v117, v115
	v_pk_add_f32 v[106:107], v[106:107], v[112:113]
	v_pk_fma_f32 v[112:113], v[170:171], v[154:155], v[118:119] neg_lo:[0,0,1] neg_hi:[0,0,1]
	v_mov_b32_e32 v113, v111
	v_pk_fma_f32 v[110:111], v[172:173], v[156:157], v[108:109] op_sel_hi:[1,0,1]
	s_wait_loadcnt_dscnt 0x100
	v_pk_mul_f32 v[114:115], v[214:215], v[210:211] op_sel:[1,1] op_sel_hi:[0,1]
	v_pk_add_f32 v[106:107], v[106:107], v[116:117]
	v_pk_fma_f32 v[108:109], v[172:173], v[156:157], v[108:109] neg_lo:[0,0,1] neg_hi:[0,0,1]
	v_mov_b32_e32 v109, v111
	s_delay_alu instid0(VALU_DEP_4) | instskip(NEXT) | instid1(VALU_DEP_4)
	v_pk_fma_f32 v[110:111], v[214:215], v[210:211], v[114:115] op_sel_hi:[1,0,1]
	v_pk_add_f32 v[106:107], v[106:107], v[112:113]
	v_pk_fma_f32 v[112:113], v[214:215], v[210:211], v[114:115] neg_lo:[0,0,1] neg_hi:[0,0,1]
	s_delay_alu instid0(VALU_DEP_3) | instskip(NEXT) | instid1(VALU_DEP_3)
	v_mov_b32_e32 v113, v111
	v_pk_add_f32 v[106:107], v[106:107], v[108:109]
	s_delay_alu instid0(VALU_DEP_1) | instskip(SKIP_1) | instid1(VALU_DEP_1)
	v_pk_add_f32 v[106:107], v[106:107], v[112:113]
	s_wait_loadcnt 0x0
	v_pk_add_f32 v[106:107], v[212:213], v[106:107] neg_lo:[0,1] neg_hi:[0,1]
	scratch_store_b64 off, v[106:107], off offset:192
	s_wait_xcnt 0x0
	v_cmpx_lt_u32_e32 23, v0
	s_cbranch_execz .LBB51_279
; %bb.278:
	scratch_load_b64 v[106:107], off, off offset:184
	v_mov_b64_e32 v[108:109], 0
	scratch_store_b64 off, v[108:109], off offset:184
	s_wait_loadcnt 0x0
	ds_store_b64 v1, v[106:107]
.LBB51_279:
	s_wait_xcnt 0x0
	s_or_b32 exec_lo, exec_lo, s0
	s_wait_storecnt_dscnt 0x0
	s_barrier_signal -1
	s_barrier_wait -1
	s_clause 0xe
	scratch_load_b128 v[106:109], off, off offset:192
	scratch_load_b128 v[110:113], off, off offset:208
	;; [unrolled: 1-line block ×14, first 2 shown]
	scratch_load_b64 v[218:219], off, off offset:184
	ds_load_b128 v[162:165], v5 offset:768
	ds_load_b128 v[166:169], v5 offset:784
	;; [unrolled: 1-line block ×14, first 2 shown]
	s_mov_b32 s0, exec_lo
	s_wait_dscnt 0xd
	v_dual_mov_b32 v220, v165 :: v_dual_mov_b32 v221, v164
	s_wait_dscnt 0xc
	v_dual_mov_b32 v222, v169 :: v_dual_mov_b32 v223, v168
	;; [unrolled: 2-line block ×4, first 2 shown]
	s_wait_loadcnt_dscnt 0xe09
	v_dual_mul_f32 v5, v178, v107 :: v_dual_mul_f32 v9, v180, v109
	v_dual_mul_f32 v43, v179, v107 :: v_dual_mul_f32 v45, v181, v109
	s_wait_loadcnt_dscnt 0xd08
	v_dual_mul_f32 v11, v182, v111 :: v_dual_mul_f32 v13, v184, v113
	s_delay_alu instid0(VALU_DEP_2) | instskip(SKIP_3) | instid1(VALU_DEP_3)
	v_dual_fmac_f32 v5, v179, v106 :: v_dual_fma_f32 v43, v178, v106, -v43
	v_dual_mul_f32 v47, v183, v111 :: v_dual_mul_f32 v49, v185, v113
	s_wait_loadcnt_dscnt 0xb06
	v_dual_mul_f32 v55, v191, v119 :: v_dual_fmac_f32 v9, v181, v108
	v_dual_fma_f32 v45, v180, v108, -v45 :: v_dual_add_f32 v5, 0, v5
	v_dual_add_f32 v43, 0, v43 :: v_dual_mul_f32 v57, v193, v121
	v_fmac_f32_e32 v11, v183, v110
	s_delay_alu instid0(VALU_DEP_3) | instskip(NEXT) | instid1(VALU_DEP_3)
	v_dual_fma_f32 v47, v182, v110, -v47 :: v_dual_add_f32 v5, v5, v9
	v_dual_add_f32 v9, v43, v45 :: v_dual_mul_f32 v15, v186, v115
	v_dual_mul_f32 v17, v188, v117 :: v_dual_mul_f32 v51, v187, v115
	v_dual_mul_f32 v53, v189, v117 :: v_dual_fma_f32 v45, v184, v112, -v49
	s_delay_alu instid0(VALU_DEP_4) | instskip(NEXT) | instid1(VALU_DEP_4)
	v_add_f32_e32 v5, v5, v11
	v_dual_add_f32 v9, v9, v47 :: v_dual_fmac_f32 v15, v187, v114
	s_wait_loadcnt_dscnt 0xa05
	v_dual_mul_f32 v43, v195, v123 :: v_dual_fmac_f32 v13, v185, v112
	v_dual_mul_f32 v11, v197, v125 :: v_dual_fma_f32 v47, v186, v114, -v51
	s_delay_alu instid0(VALU_DEP_3) | instskip(SKIP_1) | instid1(VALU_DEP_3)
	v_dual_add_f32 v9, v9, v45 :: v_dual_fma_f32 v45, v188, v116, -v53
	s_wait_loadcnt_dscnt 0x904
	v_dual_add_f32 v5, v5, v13 :: v_dual_mul_f32 v13, v199, v127
	v_dual_mul_f32 v19, v190, v119 :: v_dual_mul_f32 v21, v192, v121
	s_delay_alu instid0(VALU_DEP_3) | instskip(SKIP_1) | instid1(VALU_DEP_4)
	v_add_f32_e32 v9, v9, v47
	v_fmac_f32_e32 v17, v189, v116
	v_dual_add_f32 v5, v5, v15 :: v_dual_fma_f32 v47, v190, v118, -v55
	v_dual_mul_f32 v23, v194, v123 :: v_dual_mul_f32 v25, v196, v125
	s_delay_alu instid0(VALU_DEP_4) | instskip(NEXT) | instid1(VALU_DEP_3)
	v_dual_add_f32 v9, v9, v45 :: v_dual_fma_f32 v43, v194, v122, -v43
	v_dual_fmac_f32 v19, v191, v118 :: v_dual_add_f32 v5, v5, v17
	s_delay_alu instid0(VALU_DEP_3) | instskip(NEXT) | instid1(VALU_DEP_3)
	v_dual_fmac_f32 v23, v195, v122 :: v_dual_fma_f32 v45, v192, v120, -v57
	v_dual_add_f32 v9, v9, v47 :: v_dual_fma_f32 v13, v198, v126, -v13
	v_dual_mul_f32 v27, v198, v127 :: v_dual_mul_f32 v29, v200, v129
	s_wait_loadcnt_dscnt 0x803
	v_dual_mul_f32 v15, v201, v129 :: v_dual_mul_f32 v17, v203, v131
	s_delay_alu instid0(VALU_DEP_2) | instskip(SKIP_1) | instid1(VALU_DEP_3)
	v_dual_fmac_f32 v21, v193, v120 :: v_dual_fmac_f32 v27, v199, v126
	v_dual_add_f32 v5, v5, v19 :: v_dual_fma_f32 v11, v196, v124, -v11
	v_dual_add_f32 v9, v9, v45 :: v_dual_fma_f32 v15, v200, v128, -v15
	v_mul_f32_e32 v19, v205, v133
	s_wait_loadcnt_dscnt 0x702
	s_delay_alu instid0(VALU_DEP_3) | instskip(NEXT) | instid1(VALU_DEP_3)
	v_dual_add_f32 v5, v5, v21 :: v_dual_mul_f32 v21, v207, v135
	v_add_f32_e32 v9, v9, v43
	v_dual_mul_f32 v31, v202, v131 :: v_dual_mul_f32 v33, v204, v133
	v_fma_f32 v19, v204, v132, -v19
	v_fmac_f32_e32 v25, v197, v124
	s_delay_alu instid0(VALU_DEP_4) | instskip(SKIP_3) | instid1(VALU_DEP_3)
	v_dual_add_f32 v9, v9, v11 :: v_dual_fma_f32 v21, v206, v134, -v21
	s_wait_loadcnt_dscnt 0x601
	v_mul_f32_e32 v11, v211, v139
	v_dual_add_f32 v5, v5, v23 :: v_dual_fma_f32 v17, v202, v130, -v17
	v_dual_add_f32 v9, v9, v13 :: v_dual_mul_f32 v35, v206, v135
	s_wait_loadcnt_dscnt 0x500
	v_dual_mul_f32 v37, v208, v137 :: v_dual_mul_f32 v229, v214, v143
	v_dual_mul_f32 v231, v216, v145 :: v_dual_fmac_f32 v31, v203, v130
	s_delay_alu instid0(VALU_DEP_3) | instskip(SKIP_1) | instid1(VALU_DEP_4)
	v_dual_add_f32 v5, v5, v25 :: v_dual_fmac_f32 v35, v207, v134
	v_dual_fma_f32 v11, v210, v138, -v11 :: v_dual_add_f32 v9, v9, v15
	v_dual_fmac_f32 v229, v215, v142 :: v_dual_mul_f32 v39, v210, v139
	v_mul_f32_e32 v41, v212, v141
	v_dual_mul_f32 v23, v209, v137 :: v_dual_mul_f32 v15, v215, v143
	s_delay_alu instid0(VALU_DEP_3) | instskip(SKIP_4) | instid1(VALU_DEP_3)
	v_dual_fmac_f32 v29, v201, v128 :: v_dual_fmac_f32 v39, v211, v138
	v_add_f32_e32 v5, v5, v27
	v_add_f32_e32 v9, v9, v17
	v_dual_mul_f32 v13, v213, v141 :: v_dual_fmac_f32 v41, v213, v140
	v_dual_fmac_f32 v33, v205, v132 :: v_dual_fma_f32 v228, v214, v142, -v15
	v_dual_add_f32 v9, v9, v19 :: v_dual_fma_f32 v19, v208, v136, -v23
	s_delay_alu instid0(VALU_DEP_3) | instskip(SKIP_2) | instid1(VALU_DEP_3)
	v_dual_add_f32 v5, v5, v29 :: v_dual_fma_f32 v13, v212, v140, -v13
	v_dual_mul_f32 v17, v217, v145 :: v_dual_fmac_f32 v231, v217, v144
	v_fmac_f32_e32 v37, v209, v136
	v_add_f32_e32 v5, v5, v31
	s_delay_alu instid0(VALU_DEP_3)
	v_dual_add_f32 v9, v9, v21 :: v_dual_fma_f32 v230, v216, v144, -v17
	s_wait_loadcnt 0x4
	v_pk_mul_f32 v[106:107], v[162:163], v[146:147] op_sel:[1,1] op_sel_hi:[0,1]
	s_wait_loadcnt 0x3
	v_dual_mov_b32 v108, v149 :: v_dual_mov_b32 v112, v153
	v_add_f32_e32 v5, v5, v33
	v_add_f32_e32 v9, v9, v19
	v_pk_fma_f32 v[116:117], v[162:163], v[146:147], v[106:107] op_sel_hi:[1,0,1]
	s_delay_alu instid0(VALU_DEP_4)
	v_pk_mul_f32 v[108:109], v[220:221], v[108:109] op_sel_hi:[1,0]
	v_pk_fma_f32 v[106:107], v[162:163], v[146:147], v[106:107] neg_lo:[0,0,1] neg_hi:[0,0,1]
	v_add_f32_e32 v5, v5, v35
	v_add_f32_e32 v9, v9, v11
	v_pk_mul_f32 v[110:111], v[166:167], v[150:151] op_sel:[1,1] op_sel_hi:[0,1]
	v_mov_b32_e32 v107, v117
	v_pk_fma_f32 v[116:117], v[164:165], v[148:149], v[108:109] op_sel_hi:[1,0,1]
	v_add_f32_e32 v5, v5, v37
	v_add_f32_e32 v114, v9, v13
	v_pk_fma_f32 v[108:109], v[164:165], v[148:149], v[108:109] neg_lo:[0,0,1] neg_hi:[0,0,1]
	v_pk_fma_f32 v[120:121], v[166:167], v[150:151], v[110:111] op_sel_hi:[1,0,1]
	v_pk_mul_f32 v[112:113], v[222:223], v[112:113] op_sel_hi:[1,0]
	v_add_f32_e32 v5, v5, v39
	v_mov_b32_e32 v109, v117
	s_wait_loadcnt 0x2
	v_pk_mul_f32 v[118:119], v[170:171], v[154:155] op_sel:[1,1] op_sel_hi:[0,1]
	v_pk_fma_f32 v[110:111], v[166:167], v[150:151], v[110:111] neg_lo:[0,0,1] neg_hi:[0,0,1]
	v_mov_b32_e32 v111, v121
	v_add_f32_e32 v115, v5, v41
	v_pk_fma_f32 v[116:117], v[168:169], v[152:153], v[112:113] op_sel_hi:[1,0,1]
	v_pk_fma_f32 v[112:113], v[168:169], v[152:153], v[112:113] neg_lo:[0,0,1] neg_hi:[0,0,1]
	s_delay_alu instid0(VALU_DEP_3) | instskip(NEXT) | instid1(VALU_DEP_1)
	v_pk_add_f32 v[114:115], v[114:115], v[228:229]
	v_pk_add_f32 v[114:115], v[114:115], v[230:231]
	s_delay_alu instid0(VALU_DEP_1) | instskip(SKIP_1) | instid1(VALU_DEP_2)
	v_pk_add_f32 v[106:107], v[114:115], v[106:107]
	v_mov_b32_e32 v114, v157
	v_pk_add_f32 v[106:107], v[106:107], v[108:109]
	v_pk_fma_f32 v[108:109], v[170:171], v[154:155], v[118:119] op_sel_hi:[1,0,1]
	s_delay_alu instid0(VALU_DEP_3)
	v_pk_mul_f32 v[114:115], v[224:225], v[114:115] op_sel_hi:[1,0]
	v_mov_b32_e32 v113, v117
	v_pk_fma_f32 v[116:117], v[170:171], v[154:155], v[118:119] neg_lo:[0,0,1] neg_hi:[0,0,1]
	v_pk_add_f32 v[106:107], v[106:107], v[110:111]
	v_mov_b32_e32 v117, v109
	v_pk_fma_f32 v[108:109], v[172:173], v[156:157], v[114:115] op_sel_hi:[1,0,1]
	s_wait_loadcnt 0x1
	v_pk_mul_f32 v[110:111], v[174:175], v[158:159] op_sel:[1,1] op_sel_hi:[0,1]
	v_mov_b32_e32 v108, v161
	v_pk_add_f32 v[106:107], v[106:107], v[112:113]
	v_pk_fma_f32 v[114:115], v[172:173], v[156:157], v[114:115] neg_lo:[0,0,1] neg_hi:[0,0,1]
	v_mov_b32_e32 v115, v109
	v_pk_fma_f32 v[112:113], v[174:175], v[158:159], v[110:111] op_sel_hi:[1,0,1]
	v_pk_mul_f32 v[108:109], v[226:227], v[108:109] op_sel_hi:[1,0]
	v_pk_add_f32 v[106:107], v[106:107], v[116:117]
	v_pk_fma_f32 v[110:111], v[174:175], v[158:159], v[110:111] neg_lo:[0,0,1] neg_hi:[0,0,1]
	s_delay_alu instid0(VALU_DEP_4) | instskip(NEXT) | instid1(VALU_DEP_4)
	v_mov_b32_e32 v111, v113
	v_pk_fma_f32 v[112:113], v[176:177], v[160:161], v[108:109] op_sel_hi:[1,0,1]
	s_delay_alu instid0(VALU_DEP_4) | instskip(SKIP_1) | instid1(VALU_DEP_3)
	v_pk_add_f32 v[106:107], v[106:107], v[114:115]
	v_pk_fma_f32 v[108:109], v[176:177], v[160:161], v[108:109] neg_lo:[0,0,1] neg_hi:[0,0,1]
	v_mov_b32_e32 v109, v113
	s_delay_alu instid0(VALU_DEP_3) | instskip(NEXT) | instid1(VALU_DEP_1)
	v_pk_add_f32 v[106:107], v[106:107], v[110:111]
	v_pk_add_f32 v[106:107], v[106:107], v[108:109]
	s_wait_loadcnt 0x0
	s_delay_alu instid0(VALU_DEP_1)
	v_pk_add_f32 v[106:107], v[218:219], v[106:107] neg_lo:[0,1] neg_hi:[0,1]
	scratch_store_b64 off, v[106:107], off offset:184
	s_wait_xcnt 0x0
	v_cmpx_lt_u32_e32 22, v0
	s_cbranch_execz .LBB51_281
; %bb.280:
	scratch_load_b64 v[106:107], off, off offset:176
	v_mov_b64_e32 v[108:109], 0
	scratch_store_b64 off, v[108:109], off offset:176
	s_wait_loadcnt 0x0
	ds_store_b64 v1, v[106:107]
.LBB51_281:
	s_wait_xcnt 0x0
	s_or_b32 exec_lo, exec_lo, s0
	s_wait_storecnt_dscnt 0x0
	s_barrier_signal -1
	s_barrier_wait -1
	s_clause 0xf
	scratch_load_b128 v[106:109], off, off offset:184
	scratch_load_b128 v[110:113], off, off offset:200
	;; [unrolled: 1-line block ×14, first 2 shown]
	scratch_load_b64 v[218:219], off, off offset:408
	scratch_load_b64 v[220:221], off, off offset:176
	v_mov_b32_e32 v5, 0
	ds_load_2addr_b64 v[162:165], v5 offset0:95 offset1:96
	ds_load_2addr_b64 v[166:169], v5 offset0:97 offset1:98
	;; [unrolled: 1-line block ×14, first 2 shown]
	ds_load_b64 v[222:223], v5 offset:824
	s_mov_b32 s0, exec_lo
	s_wait_dscnt 0xe
	v_dual_mov_b32 v224, v165 :: v_dual_mov_b32 v225, v164
	s_wait_dscnt 0xb
	v_dual_mov_b32 v226, v169 :: v_dual_mov_b32 v231, v176
	v_dual_mov_b32 v227, v168 :: v_dual_mov_b32 v228, v173
	;; [unrolled: 1-line block ×3, first 2 shown]
	s_wait_loadcnt_dscnt 0xf0a
	v_dual_mul_f32 v9, v178, v107 :: v_dual_mul_f32 v47, v179, v107
	v_dual_mul_f32 v49, v181, v109 :: v_dual_mul_f32 v11, v180, v109
	s_wait_loadcnt_dscnt 0xe09
	v_mul_f32_e32 v13, v182, v111
	s_wait_loadcnt_dscnt 0xc07
	v_dual_mul_f32 v59, v191, v119 :: v_dual_fma_f32 v47, v178, v106, -v47
	v_dual_fmac_f32 v9, v179, v106 :: v_dual_mul_f32 v61, v193, v121
	v_dual_mul_f32 v51, v183, v111 :: v_dual_mul_f32 v53, v185, v113
	v_dual_fmac_f32 v11, v181, v108 :: v_dual_fma_f32 v49, v180, v108, -v49
	s_delay_alu instid0(VALU_DEP_3) | instskip(SKIP_3) | instid1(VALU_DEP_3)
	v_dual_add_f32 v9, 0, v9 :: v_dual_add_f32 v47, 0, v47
	v_dual_mul_f32 v15, v184, v113 :: v_dual_mul_f32 v17, v186, v115
	s_wait_loadcnt_dscnt 0xb06
	v_dual_mul_f32 v63, v195, v123 :: v_dual_fma_f32 v51, v182, v110, -v51
	v_dual_fmac_f32 v13, v183, v110 :: v_dual_add_f32 v9, v9, v11
	s_delay_alu instid0(VALU_DEP_3) | instskip(SKIP_2) | instid1(VALU_DEP_3)
	v_dual_add_f32 v11, v47, v49 :: v_dual_fmac_f32 v15, v185, v112
	v_dual_mul_f32 v55, v187, v115 :: v_dual_mul_f32 v57, v189, v117
	v_dual_mul_f32 v47, v197, v125 :: v_dual_fma_f32 v49, v184, v112, -v53
	v_dual_add_f32 v9, v9, v13 :: v_dual_add_f32 v11, v11, v51
	v_dual_mul_f32 v19, v188, v117 :: v_dual_mul_f32 v21, v190, v119
	s_wait_loadcnt_dscnt 0xa05
	v_dual_mul_f32 v13, v199, v127 :: v_dual_fma_f32 v51, v186, v114, -v55
	s_delay_alu instid0(VALU_DEP_3) | instskip(NEXT) | instid1(VALU_DEP_3)
	v_dual_fmac_f32 v17, v187, v114 :: v_dual_add_f32 v9, v9, v15
	v_dual_add_f32 v11, v11, v49 :: v_dual_fmac_f32 v19, v189, v116
	v_dual_mul_f32 v15, v201, v129 :: v_dual_fma_f32 v49, v188, v116, -v57
	s_delay_alu instid0(VALU_DEP_2) | instskip(SKIP_3) | instid1(VALU_DEP_3)
	v_dual_add_f32 v9, v9, v17 :: v_dual_add_f32 v11, v11, v51
	v_dual_mul_f32 v23, v192, v121 :: v_dual_mul_f32 v25, v194, v123
	s_wait_loadcnt_dscnt 0x904
	v_dual_mul_f32 v17, v203, v131 :: v_dual_fma_f32 v51, v190, v118, -v59
	v_dual_fmac_f32 v21, v191, v118 :: v_dual_add_f32 v9, v9, v19
	s_delay_alu instid0(VALU_DEP_3) | instskip(SKIP_1) | instid1(VALU_DEP_2)
	v_dual_add_f32 v11, v11, v49 :: v_dual_fmac_f32 v23, v193, v120
	v_dual_mul_f32 v19, v205, v133 :: v_dual_fma_f32 v49, v192, v120, -v61
	v_dual_add_f32 v9, v9, v21 :: v_dual_add_f32 v11, v11, v51
	v_dual_mul_f32 v27, v196, v125 :: v_dual_mul_f32 v29, v198, v127
	s_wait_loadcnt_dscnt 0x803
	v_dual_mul_f32 v21, v207, v135 :: v_dual_fma_f32 v51, v194, v122, -v63
	s_delay_alu instid0(VALU_DEP_3) | instskip(NEXT) | instid1(VALU_DEP_3)
	v_dual_fmac_f32 v25, v195, v122 :: v_dual_add_f32 v9, v9, v23
	v_dual_add_f32 v11, v11, v49 :: v_dual_fmac_f32 v27, v197, v124
	v_dual_mul_f32 v23, v209, v137 :: v_dual_fma_f32 v47, v196, v124, -v47
	s_delay_alu instid0(VALU_DEP_2) | instskip(SKIP_3) | instid1(VALU_DEP_3)
	v_dual_add_f32 v9, v9, v25 :: v_dual_add_f32 v11, v11, v51
	v_dual_mul_f32 v31, v200, v129 :: v_dual_mul_f32 v33, v202, v131
	s_wait_loadcnt_dscnt 0x702
	v_dual_mul_f32 v25, v211, v139 :: v_dual_fma_f32 v13, v198, v126, -v13
	v_dual_fmac_f32 v29, v199, v126 :: v_dual_add_f32 v9, v9, v27
	v_dual_add_f32 v11, v11, v47 :: v_dual_mul_f32 v27, v213, v141
	v_fmac_f32_e32 v31, v201, v128
	s_delay_alu instid0(VALU_DEP_3) | instskip(NEXT) | instid1(VALU_DEP_3)
	v_dual_fma_f32 v15, v200, v128, -v15 :: v_dual_add_f32 v9, v9, v29
	v_add_f32_e32 v11, v11, v13
	v_dual_mul_f32 v35, v204, v133 :: v_dual_mul_f32 v37, v206, v135
	s_wait_loadcnt_dscnt 0x601
	v_dual_mul_f32 v13, v215, v143 :: v_dual_fma_f32 v17, v202, v130, -v17
	v_dual_fmac_f32 v33, v203, v130 :: v_dual_add_f32 v9, v9, v31
	v_dual_add_f32 v11, v11, v15 :: v_dual_mul_f32 v15, v217, v145
	v_fmac_f32_e32 v35, v205, v132
	s_delay_alu instid0(VALU_DEP_3) | instskip(NEXT) | instid1(VALU_DEP_3)
	v_dual_fma_f32 v19, v204, v132, -v19 :: v_dual_add_f32 v9, v9, v33
	v_add_f32_e32 v11, v11, v17
	v_dual_mul_f32 v39, v208, v137 :: v_dual_mul_f32 v41, v210, v139
	s_wait_loadcnt 0x5
	v_dual_mul_f32 v17, v163, v147 :: v_dual_fma_f32 v21, v206, v134, -v21
	v_dual_fmac_f32 v37, v207, v134 :: v_dual_add_f32 v9, v9, v35
	v_dual_add_f32 v11, v11, v19 :: v_dual_mov_b32 v106, v149
	v_fmac_f32_e32 v39, v209, v136
	s_delay_alu instid0(VALU_DEP_3) | instskip(NEXT) | instid1(VALU_DEP_3)
	v_dual_fma_f32 v19, v208, v136, -v23 :: v_dual_add_f32 v9, v9, v37
	v_add_f32_e32 v11, v11, v21
	v_dual_mul_f32 v43, v212, v141 :: v_dual_mul_f32 v45, v214, v143
	s_delay_alu instid0(VALU_DEP_3) | instskip(NEXT) | instid1(VALU_DEP_3)
	v_dual_fmac_f32 v41, v211, v138 :: v_dual_add_f32 v9, v9, v39
	v_dual_fma_f32 v21, v210, v138, -v25 :: v_dual_add_f32 v11, v11, v19
	s_wait_loadcnt 0x4
	v_dual_mov_b32 v110, v153 :: v_dual_fma_f32 v19, v212, v140, -v27
	v_fmac_f32_e32 v43, v213, v140
	v_dual_add_f32 v9, v9, v41 :: v_dual_fmac_f32 v45, v215, v142
	v_add_f32_e32 v11, v11, v21
	v_dual_mul_f32 v233, v216, v145 :: v_dual_mul_f32 v235, v162, v147
	s_delay_alu instid0(VALU_DEP_3) | instskip(NEXT) | instid1(VALU_DEP_2)
	v_dual_fma_f32 v13, v214, v142, -v13 :: v_dual_add_f32 v9, v9, v43
	v_dual_add_f32 v11, v11, v19 :: v_dual_fmac_f32 v233, v217, v144
	v_fma_f32 v232, v216, v144, -v15
	v_pk_mul_f32 v[106:107], v[224:225], v[106:107] op_sel_hi:[1,0]
	s_delay_alu instid0(VALU_DEP_4)
	v_add_f32_e32 v115, v9, v45
	s_wait_loadcnt 0x3
	v_dual_add_f32 v114, v11, v13 :: v_dual_mov_b32 v116, v157
	v_pk_mul_f32 v[108:109], v[166:167], v[150:151] op_sel:[1,1] op_sel_hi:[0,1]
	v_dual_fmac_f32 v235, v163, v146 :: v_dual_fma_f32 v234, v162, v146, -v17
	v_pk_fma_f32 v[118:119], v[164:165], v[148:149], v[106:107] op_sel_hi:[1,0,1]
	s_delay_alu instid0(VALU_DEP_4)
	v_pk_add_f32 v[114:115], v[114:115], v[232:233]
	v_pk_fma_f32 v[106:107], v[164:165], v[148:149], v[106:107] neg_lo:[0,0,1] neg_hi:[0,0,1]
	v_pk_fma_f32 v[120:121], v[166:167], v[150:151], v[108:109] op_sel_hi:[1,0,1]
	v_pk_mul_f32 v[110:111], v[226:227], v[110:111] op_sel_hi:[1,0]
	v_mov_b32_e32 v107, v119
	v_pk_add_f32 v[114:115], v[114:115], v[234:235]
	v_pk_fma_f32 v[108:109], v[166:167], v[150:151], v[108:109] neg_lo:[0,0,1] neg_hi:[0,0,1]
	v_pk_mul_f32 v[112:113], v[170:171], v[154:155] op_sel:[1,1] op_sel_hi:[0,1]
	v_mov_b32_e32 v109, v121
	v_pk_fma_f32 v[120:121], v[168:169], v[152:153], v[110:111] op_sel_hi:[1,0,1]
	v_pk_add_f32 v[106:107], v[114:115], v[106:107]
	v_pk_fma_f32 v[110:111], v[168:169], v[152:153], v[110:111] neg_lo:[0,0,1] neg_hi:[0,0,1]
	v_pk_fma_f32 v[114:115], v[170:171], v[154:155], v[112:113] op_sel_hi:[1,0,1]
	v_pk_mul_f32 v[116:117], v[228:229], v[116:117] op_sel_hi:[1,0]
	v_mov_b32_e32 v111, v121
	v_pk_add_f32 v[106:107], v[106:107], v[108:109]
	v_pk_fma_f32 v[112:113], v[170:171], v[154:155], v[112:113] neg_lo:[0,0,1] neg_hi:[0,0,1]
	s_wait_loadcnt 0x2
	v_pk_mul_f32 v[118:119], v[174:175], v[158:159] op_sel:[1,1] op_sel_hi:[0,1]
	v_dual_mov_b32 v108, v161 :: v_dual_mov_b32 v113, v115
	v_pk_fma_f32 v[114:115], v[172:173], v[156:157], v[116:117] op_sel_hi:[1,0,1]
	v_pk_add_f32 v[106:107], v[106:107], v[110:111]
	v_pk_fma_f32 v[116:117], v[172:173], v[156:157], v[116:117] neg_lo:[0,0,1] neg_hi:[0,0,1]
	v_pk_fma_f32 v[110:111], v[174:175], v[158:159], v[118:119] op_sel_hi:[1,0,1]
	v_pk_mul_f32 v[108:109], v[230:231], v[108:109] op_sel_hi:[1,0]
	v_mov_b32_e32 v117, v115
	v_pk_add_f32 v[106:107], v[106:107], v[112:113]
	v_pk_fma_f32 v[112:113], v[174:175], v[158:159], v[118:119] neg_lo:[0,0,1] neg_hi:[0,0,1]
	v_mov_b32_e32 v113, v111
	v_pk_fma_f32 v[110:111], v[176:177], v[160:161], v[108:109] op_sel_hi:[1,0,1]
	s_wait_loadcnt_dscnt 0x100
	v_pk_mul_f32 v[114:115], v[222:223], v[218:219] op_sel:[1,1] op_sel_hi:[0,1]
	v_pk_add_f32 v[106:107], v[106:107], v[116:117]
	v_pk_fma_f32 v[108:109], v[176:177], v[160:161], v[108:109] neg_lo:[0,0,1] neg_hi:[0,0,1]
	v_mov_b32_e32 v109, v111
	s_delay_alu instid0(VALU_DEP_4) | instskip(NEXT) | instid1(VALU_DEP_4)
	v_pk_fma_f32 v[110:111], v[222:223], v[218:219], v[114:115] op_sel_hi:[1,0,1]
	v_pk_add_f32 v[106:107], v[106:107], v[112:113]
	v_pk_fma_f32 v[112:113], v[222:223], v[218:219], v[114:115] neg_lo:[0,0,1] neg_hi:[0,0,1]
	s_delay_alu instid0(VALU_DEP_3) | instskip(NEXT) | instid1(VALU_DEP_3)
	v_mov_b32_e32 v113, v111
	v_pk_add_f32 v[106:107], v[106:107], v[108:109]
	s_delay_alu instid0(VALU_DEP_1) | instskip(SKIP_1) | instid1(VALU_DEP_1)
	v_pk_add_f32 v[106:107], v[106:107], v[112:113]
	s_wait_loadcnt 0x0
	v_pk_add_f32 v[106:107], v[220:221], v[106:107] neg_lo:[0,1] neg_hi:[0,1]
	scratch_store_b64 off, v[106:107], off offset:176
	s_wait_xcnt 0x0
	v_cmpx_lt_u32_e32 21, v0
	s_cbranch_execz .LBB51_283
; %bb.282:
	scratch_load_b64 v[106:107], off, off offset:168
	v_mov_b64_e32 v[108:109], 0
	scratch_store_b64 off, v[108:109], off offset:168
	s_wait_loadcnt 0x0
	ds_store_b64 v1, v[106:107]
.LBB51_283:
	s_wait_xcnt 0x0
	s_or_b32 exec_lo, exec_lo, s0
	s_wait_storecnt_dscnt 0x0
	s_barrier_signal -1
	s_barrier_wait -1
	s_clause 0xf
	scratch_load_b128 v[106:109], off, off offset:176
	scratch_load_b128 v[110:113], off, off offset:192
	;; [unrolled: 1-line block ×15, first 2 shown]
	scratch_load_b64 v[226:227], off, off offset:168
	ds_load_b128 v[166:169], v5 offset:768
	ds_load_b128 v[170:173], v5 offset:784
	;; [unrolled: 1-line block ×15, first 2 shown]
	s_mov_b32 s0, exec_lo
	s_wait_dscnt 0xe
	v_dual_mov_b32 v228, v169 :: v_dual_mov_b32 v229, v168
	s_wait_dscnt 0xd
	v_dual_mov_b32 v230, v173 :: v_dual_mov_b32 v231, v172
	;; [unrolled: 2-line block ×4, first 2 shown]
	s_wait_loadcnt_dscnt 0xf0a
	v_dual_mul_f32 v5, v182, v107 :: v_dual_mul_f32 v9, v184, v109
	v_dual_mul_f32 v47, v183, v107 :: v_dual_mul_f32 v49, v185, v109
	s_wait_loadcnt_dscnt 0xe09
	v_dual_mul_f32 v11, v186, v111 :: v_dual_mul_f32 v13, v188, v113
	s_delay_alu instid0(VALU_DEP_2) | instskip(SKIP_3) | instid1(VALU_DEP_3)
	v_dual_fmac_f32 v5, v183, v106 :: v_dual_fma_f32 v47, v182, v106, -v47
	v_dual_mul_f32 v51, v187, v111 :: v_dual_mul_f32 v53, v189, v113
	s_wait_loadcnt_dscnt 0xc06
	v_dual_mul_f32 v59, v199, v119 :: v_dual_fmac_f32 v9, v185, v108
	v_dual_fma_f32 v49, v184, v108, -v49 :: v_dual_add_f32 v5, 0, v5
	v_dual_add_f32 v47, 0, v47 :: v_dual_mul_f32 v61, v201, v121
	v_fmac_f32_e32 v11, v187, v110
	s_delay_alu instid0(VALU_DEP_3) | instskip(NEXT) | instid1(VALU_DEP_3)
	v_dual_fma_f32 v51, v186, v110, -v51 :: v_dual_add_f32 v5, v5, v9
	v_dual_add_f32 v9, v47, v49 :: v_dual_mul_f32 v15, v194, v115
	v_dual_mul_f32 v17, v196, v117 :: v_dual_mul_f32 v55, v195, v115
	v_dual_mul_f32 v57, v197, v117 :: v_dual_fma_f32 v49, v188, v112, -v53
	s_delay_alu instid0(VALU_DEP_4) | instskip(NEXT) | instid1(VALU_DEP_4)
	v_add_f32_e32 v5, v5, v11
	v_dual_add_f32 v9, v9, v51 :: v_dual_fmac_f32 v15, v195, v114
	s_wait_loadcnt_dscnt 0xb05
	v_dual_mul_f32 v47, v203, v123 :: v_dual_fmac_f32 v13, v189, v112
	v_dual_mul_f32 v11, v205, v125 :: v_dual_fma_f32 v51, v194, v114, -v55
	s_delay_alu instid0(VALU_DEP_3) | instskip(SKIP_1) | instid1(VALU_DEP_3)
	v_dual_add_f32 v9, v9, v49 :: v_dual_fma_f32 v49, v196, v116, -v57
	s_wait_loadcnt_dscnt 0xa04
	v_dual_add_f32 v5, v5, v13 :: v_dual_mul_f32 v13, v207, v127
	v_dual_mul_f32 v19, v198, v119 :: v_dual_mul_f32 v21, v200, v121
	s_delay_alu instid0(VALU_DEP_3) | instskip(SKIP_1) | instid1(VALU_DEP_4)
	v_add_f32_e32 v9, v9, v51
	v_fmac_f32_e32 v17, v197, v116
	v_dual_add_f32 v5, v5, v15 :: v_dual_fma_f32 v51, v198, v118, -v59
	v_dual_mul_f32 v23, v202, v123 :: v_dual_mul_f32 v25, v204, v125
	s_delay_alu instid0(VALU_DEP_4) | instskip(NEXT) | instid1(VALU_DEP_3)
	v_dual_add_f32 v9, v9, v49 :: v_dual_fma_f32 v47, v202, v122, -v47
	v_dual_fmac_f32 v19, v199, v118 :: v_dual_add_f32 v5, v5, v17
	s_delay_alu instid0(VALU_DEP_3) | instskip(NEXT) | instid1(VALU_DEP_3)
	v_dual_fmac_f32 v23, v203, v122 :: v_dual_fma_f32 v49, v200, v120, -v61
	v_dual_add_f32 v9, v9, v51 :: v_dual_fma_f32 v13, v206, v126, -v13
	v_dual_mul_f32 v27, v206, v127 :: v_dual_mul_f32 v29, v208, v129
	s_wait_loadcnt_dscnt 0x903
	v_dual_mul_f32 v15, v209, v129 :: v_dual_mul_f32 v17, v211, v131
	s_delay_alu instid0(VALU_DEP_2) | instskip(SKIP_1) | instid1(VALU_DEP_3)
	v_dual_fmac_f32 v21, v201, v120 :: v_dual_fmac_f32 v27, v207, v126
	v_dual_add_f32 v5, v5, v19 :: v_dual_fma_f32 v11, v204, v124, -v11
	v_dual_add_f32 v9, v9, v49 :: v_dual_fma_f32 v15, v208, v128, -v15
	v_mul_f32_e32 v19, v213, v133
	s_wait_loadcnt_dscnt 0x802
	s_delay_alu instid0(VALU_DEP_3) | instskip(NEXT) | instid1(VALU_DEP_3)
	v_dual_add_f32 v5, v5, v21 :: v_dual_mul_f32 v21, v215, v135
	v_add_f32_e32 v9, v9, v47
	s_wait_loadcnt_dscnt 0x701
	v_dual_mul_f32 v39, v218, v139 :: v_dual_mul_f32 v41, v220, v141
	s_delay_alu instid0(VALU_DEP_3) | instskip(NEXT) | instid1(VALU_DEP_3)
	v_dual_fma_f32 v19, v212, v132, -v19 :: v_dual_fma_f32 v21, v214, v134, -v21
	v_add_f32_e32 v9, v9, v11
	s_wait_loadcnt_dscnt 0x600
	v_dual_mul_f32 v43, v222, v143 :: v_dual_mul_f32 v45, v224, v145
	v_mul_f32_e32 v11, v219, v139
	v_dual_add_f32 v5, v5, v23 :: v_dual_fma_f32 v17, v210, v130, -v17
	v_dual_add_f32 v9, v9, v13 :: v_dual_fmac_f32 v39, v219, v138
	v_dual_mul_f32 v31, v210, v131 :: v_dual_mul_f32 v33, v212, v133
	s_wait_loadcnt 0x5
	v_dual_mul_f32 v237, v190, v147 :: v_dual_mul_f32 v239, v192, v149
	s_delay_alu instid0(VALU_DEP_3) | instskip(NEXT) | instid1(VALU_DEP_3)
	v_dual_add_f32 v9, v9, v15 :: v_dual_fmac_f32 v43, v223, v142
	v_dual_fmac_f32 v25, v205, v124 :: v_dual_fmac_f32 v31, v211, v130
	v_dual_mul_f32 v35, v214, v135 :: v_dual_mul_f32 v37, v216, v137
	s_delay_alu instid0(VALU_DEP_3) | instskip(SKIP_1) | instid1(VALU_DEP_3)
	v_dual_add_f32 v9, v9, v17 :: v_dual_fmac_f32 v237, v191, v146
	v_dual_mul_f32 v23, v217, v137 :: v_dual_mul_f32 v15, v223, v143
	v_dual_add_f32 v5, v5, v25 :: v_dual_fmac_f32 v35, v215, v134
	s_delay_alu instid0(VALU_DEP_3) | instskip(SKIP_1) | instid1(VALU_DEP_3)
	v_add_f32_e32 v9, v9, v19
	v_dual_fmac_f32 v29, v209, v128 :: v_dual_mul_f32 v19, v191, v147
	v_dual_add_f32 v5, v5, v27 :: v_dual_fma_f32 v23, v216, v136, -v23
	s_delay_alu instid0(VALU_DEP_3) | instskip(SKIP_1) | instid1(VALU_DEP_3)
	v_add_f32_e32 v9, v9, v21
	v_dual_mul_f32 v13, v221, v141 :: v_dual_fma_f32 v11, v218, v138, -v11
	v_add_f32_e32 v5, v5, v29
	v_fmac_f32_e32 v33, v213, v132
	s_delay_alu instid0(VALU_DEP_4) | instskip(SKIP_1) | instid1(VALU_DEP_4)
	v_add_f32_e32 v9, v9, v23
	v_dual_mul_f32 v17, v225, v145 :: v_dual_fmac_f32 v45, v225, v144
	v_dual_fma_f32 v13, v220, v140, -v13 :: v_dual_add_f32 v5, v5, v31
	s_delay_alu instid0(VALU_DEP_3) | instskip(SKIP_2) | instid1(VALU_DEP_3)
	v_dual_add_f32 v9, v9, v11 :: v_dual_fma_f32 v11, v222, v142, -v15
	v_dual_fmac_f32 v37, v217, v136 :: v_dual_fma_f32 v236, v190, v146, -v19
	v_fmac_f32_e32 v41, v221, v140
	v_dual_add_f32 v9, v9, v13 :: v_dual_fma_f32 v13, v224, v144, -v17
	v_add_f32_e32 v5, v5, v33
	v_dual_mul_f32 v21, v193, v149 :: v_dual_fmac_f32 v239, v193, v148
	s_delay_alu instid0(VALU_DEP_3)
	v_add_f32_e32 v9, v9, v11
	s_wait_loadcnt 0x4
	v_pk_mul_f32 v[106:107], v[166:167], v[150:151] op_sel:[1,1] op_sel_hi:[0,1]
	v_add_f32_e32 v5, v5, v35
	s_wait_loadcnt 0x3
	v_dual_mov_b32 v108, v153 :: v_dual_mov_b32 v112, v157
	v_dual_add_f32 v114, v9, v13 :: v_dual_fma_f32 v238, v192, v148, -v21
	s_delay_alu instid0(VALU_DEP_3) | instskip(SKIP_1) | instid1(VALU_DEP_4)
	v_add_f32_e32 v5, v5, v37
	v_pk_fma_f32 v[116:117], v[166:167], v[150:151], v[106:107] op_sel_hi:[1,0,1]
	v_pk_mul_f32 v[108:109], v[228:229], v[108:109] op_sel_hi:[1,0]
	v_pk_fma_f32 v[106:107], v[166:167], v[150:151], v[106:107] neg_lo:[0,0,1] neg_hi:[0,0,1]
	v_pk_mul_f32 v[110:111], v[170:171], v[154:155] op_sel:[1,1] op_sel_hi:[0,1]
	v_add_f32_e32 v5, v5, v39
	v_mov_b32_e32 v107, v117
	v_pk_fma_f32 v[116:117], v[168:169], v[152:153], v[108:109] op_sel_hi:[1,0,1]
	v_pk_fma_f32 v[108:109], v[168:169], v[152:153], v[108:109] neg_lo:[0,0,1] neg_hi:[0,0,1]
	v_pk_fma_f32 v[120:121], v[170:171], v[154:155], v[110:111] op_sel_hi:[1,0,1]
	v_add_f32_e32 v5, v5, v41
	v_pk_mul_f32 v[112:113], v[230:231], v[112:113] op_sel_hi:[1,0]
	v_mov_b32_e32 v109, v117
	s_wait_loadcnt 0x2
	v_pk_mul_f32 v[118:119], v[174:175], v[158:159] op_sel:[1,1] op_sel_hi:[0,1]
	v_pk_fma_f32 v[110:111], v[170:171], v[154:155], v[110:111] neg_lo:[0,0,1] neg_hi:[0,0,1]
	v_add_f32_e32 v5, v5, v43
	v_mov_b32_e32 v111, v121
	v_pk_fma_f32 v[116:117], v[172:173], v[156:157], v[112:113] op_sel_hi:[1,0,1]
	v_pk_fma_f32 v[112:113], v[172:173], v[156:157], v[112:113] neg_lo:[0,0,1] neg_hi:[0,0,1]
	s_delay_alu instid0(VALU_DEP_4) | instskip(NEXT) | instid1(VALU_DEP_1)
	v_add_f32_e32 v115, v5, v45
	v_pk_add_f32 v[114:115], v[114:115], v[236:237]
	s_delay_alu instid0(VALU_DEP_1) | instskip(NEXT) | instid1(VALU_DEP_1)
	v_pk_add_f32 v[114:115], v[114:115], v[238:239]
	v_pk_add_f32 v[106:107], v[114:115], v[106:107]
	v_mov_b32_e32 v114, v161
	s_delay_alu instid0(VALU_DEP_2) | instskip(SKIP_1) | instid1(VALU_DEP_3)
	v_pk_add_f32 v[106:107], v[106:107], v[108:109]
	v_pk_fma_f32 v[108:109], v[174:175], v[158:159], v[118:119] op_sel_hi:[1,0,1]
	v_pk_mul_f32 v[114:115], v[232:233], v[114:115] op_sel_hi:[1,0]
	v_mov_b32_e32 v113, v117
	v_pk_fma_f32 v[116:117], v[174:175], v[158:159], v[118:119] neg_lo:[0,0,1] neg_hi:[0,0,1]
	v_pk_add_f32 v[106:107], v[106:107], v[110:111]
	v_mov_b32_e32 v117, v109
	v_pk_fma_f32 v[108:109], v[176:177], v[160:161], v[114:115] op_sel_hi:[1,0,1]
	s_wait_loadcnt 0x1
	v_pk_mul_f32 v[110:111], v[178:179], v[162:163] op_sel:[1,1] op_sel_hi:[0,1]
	v_mov_b32_e32 v108, v165
	v_pk_add_f32 v[106:107], v[106:107], v[112:113]
	v_pk_fma_f32 v[114:115], v[176:177], v[160:161], v[114:115] neg_lo:[0,0,1] neg_hi:[0,0,1]
	v_mov_b32_e32 v115, v109
	v_pk_fma_f32 v[112:113], v[178:179], v[162:163], v[110:111] op_sel_hi:[1,0,1]
	v_pk_mul_f32 v[108:109], v[234:235], v[108:109] op_sel_hi:[1,0]
	v_pk_add_f32 v[106:107], v[106:107], v[116:117]
	v_pk_fma_f32 v[110:111], v[178:179], v[162:163], v[110:111] neg_lo:[0,0,1] neg_hi:[0,0,1]
	s_delay_alu instid0(VALU_DEP_4) | instskip(NEXT) | instid1(VALU_DEP_4)
	v_mov_b32_e32 v111, v113
	v_pk_fma_f32 v[112:113], v[180:181], v[164:165], v[108:109] op_sel_hi:[1,0,1]
	s_delay_alu instid0(VALU_DEP_4) | instskip(SKIP_1) | instid1(VALU_DEP_3)
	v_pk_add_f32 v[106:107], v[106:107], v[114:115]
	v_pk_fma_f32 v[108:109], v[180:181], v[164:165], v[108:109] neg_lo:[0,0,1] neg_hi:[0,0,1]
	v_mov_b32_e32 v109, v113
	s_delay_alu instid0(VALU_DEP_3) | instskip(NEXT) | instid1(VALU_DEP_1)
	v_pk_add_f32 v[106:107], v[106:107], v[110:111]
	v_pk_add_f32 v[106:107], v[106:107], v[108:109]
	s_wait_loadcnt 0x0
	s_delay_alu instid0(VALU_DEP_1)
	v_pk_add_f32 v[106:107], v[226:227], v[106:107] neg_lo:[0,1] neg_hi:[0,1]
	scratch_store_b64 off, v[106:107], off offset:168
	s_wait_xcnt 0x0
	v_cmpx_lt_u32_e32 20, v0
	s_cbranch_execz .LBB51_285
; %bb.284:
	scratch_load_b64 v[106:107], off, off offset:160
	v_mov_b64_e32 v[108:109], 0
	scratch_store_b64 off, v[108:109], off offset:160
	s_wait_loadcnt 0x0
	ds_store_b64 v1, v[106:107]
.LBB51_285:
	s_wait_xcnt 0x0
	s_or_b32 exec_lo, exec_lo, s0
	s_wait_storecnt_dscnt 0x0
	s_barrier_signal -1
	s_barrier_wait -1
	s_clause 0x10
	scratch_load_b128 v[106:109], off, off offset:168
	scratch_load_b128 v[110:113], off, off offset:184
	;; [unrolled: 1-line block ×15, first 2 shown]
	scratch_load_b64 v[226:227], off, off offset:408
	scratch_load_b64 v[228:229], off, off offset:160
	v_mov_b32_e32 v5, 0
	ds_load_2addr_b64 v[166:169], v5 offset0:95 offset1:96
	ds_load_2addr_b64 v[170:173], v5 offset0:97 offset1:98
	;; [unrolled: 1-line block ×15, first 2 shown]
	ds_load_b64 v[230:231], v5 offset:824
	s_mov_b32 s0, exec_lo
	s_wait_dscnt 0xf
	v_dual_mov_b32 v232, v169 :: v_dual_mov_b32 v233, v168
	s_wait_dscnt 0xc
	v_dual_mov_b32 v234, v173 :: v_dual_mov_b32 v239, v180
	v_dual_mov_b32 v235, v172 :: v_dual_mov_b32 v236, v177
	;; [unrolled: 1-line block ×3, first 2 shown]
	s_wait_loadcnt_dscnt 0x100b
	v_dual_mul_f32 v9, v182, v107 :: v_dual_mul_f32 v51, v183, v107
	v_dual_mul_f32 v53, v185, v109 :: v_dual_mul_f32 v11, v184, v109
	s_wait_loadcnt_dscnt 0xf09
	v_mul_f32_e32 v13, v190, v111
	s_wait_loadcnt_dscnt 0xd07
	v_dual_mul_f32 v63, v199, v119 :: v_dual_fma_f32 v51, v182, v106, -v51
	v_dual_fmac_f32 v9, v183, v106 :: v_dual_mul_f32 v65, v201, v121
	v_dual_mul_f32 v55, v191, v111 :: v_dual_mul_f32 v57, v193, v113
	v_dual_fmac_f32 v11, v185, v108 :: v_dual_fma_f32 v53, v184, v108, -v53
	s_delay_alu instid0(VALU_DEP_3) | instskip(SKIP_3) | instid1(VALU_DEP_3)
	v_dual_add_f32 v9, 0, v9 :: v_dual_add_f32 v51, 0, v51
	v_dual_mul_f32 v15, v192, v113 :: v_dual_mul_f32 v17, v194, v115
	s_wait_loadcnt_dscnt 0xc06
	v_dual_mul_f32 v67, v203, v123 :: v_dual_fma_f32 v55, v190, v110, -v55
	v_dual_fmac_f32 v13, v191, v110 :: v_dual_add_f32 v9, v9, v11
	s_delay_alu instid0(VALU_DEP_3) | instskip(SKIP_2) | instid1(VALU_DEP_3)
	v_dual_add_f32 v11, v51, v53 :: v_dual_fmac_f32 v15, v193, v112
	v_dual_mul_f32 v59, v195, v115 :: v_dual_mul_f32 v61, v197, v117
	v_dual_mul_f32 v51, v205, v125 :: v_dual_fma_f32 v53, v192, v112, -v57
	v_dual_add_f32 v9, v9, v13 :: v_dual_add_f32 v11, v11, v55
	v_dual_mul_f32 v19, v196, v117 :: v_dual_mul_f32 v21, v198, v119
	s_wait_loadcnt_dscnt 0xb05
	v_dual_mul_f32 v13, v207, v127 :: v_dual_fma_f32 v55, v194, v114, -v59
	s_delay_alu instid0(VALU_DEP_3) | instskip(NEXT) | instid1(VALU_DEP_3)
	v_dual_fmac_f32 v17, v195, v114 :: v_dual_add_f32 v9, v9, v15
	v_dual_add_f32 v11, v11, v53 :: v_dual_fmac_f32 v19, v197, v116
	v_dual_mul_f32 v15, v209, v129 :: v_dual_fma_f32 v53, v196, v116, -v61
	s_delay_alu instid0(VALU_DEP_2) | instskip(SKIP_3) | instid1(VALU_DEP_3)
	v_dual_add_f32 v9, v9, v17 :: v_dual_add_f32 v11, v11, v55
	v_dual_mul_f32 v23, v200, v121 :: v_dual_mul_f32 v25, v202, v123
	s_wait_loadcnt_dscnt 0xa04
	v_dual_mul_f32 v17, v211, v131 :: v_dual_fma_f32 v55, v198, v118, -v63
	v_dual_fmac_f32 v21, v199, v118 :: v_dual_add_f32 v9, v9, v19
	s_delay_alu instid0(VALU_DEP_3) | instskip(SKIP_1) | instid1(VALU_DEP_2)
	v_dual_add_f32 v11, v11, v53 :: v_dual_fmac_f32 v23, v201, v120
	v_dual_mul_f32 v19, v213, v133 :: v_dual_fma_f32 v53, v200, v120, -v65
	v_dual_add_f32 v9, v9, v21 :: v_dual_add_f32 v11, v11, v55
	v_dual_mul_f32 v27, v204, v125 :: v_dual_mul_f32 v29, v206, v127
	s_wait_loadcnt_dscnt 0x903
	v_dual_mul_f32 v21, v215, v135 :: v_dual_fma_f32 v55, v202, v122, -v67
	s_delay_alu instid0(VALU_DEP_3) | instskip(NEXT) | instid1(VALU_DEP_3)
	v_dual_fmac_f32 v25, v203, v122 :: v_dual_add_f32 v9, v9, v23
	v_dual_add_f32 v11, v11, v53 :: v_dual_fmac_f32 v27, v205, v124
	v_dual_mul_f32 v23, v217, v137 :: v_dual_fma_f32 v51, v204, v124, -v51
	s_delay_alu instid0(VALU_DEP_2) | instskip(SKIP_3) | instid1(VALU_DEP_3)
	v_dual_add_f32 v9, v9, v25 :: v_dual_add_f32 v11, v11, v55
	v_dual_mul_f32 v31, v208, v129 :: v_dual_mul_f32 v33, v210, v131
	s_wait_loadcnt_dscnt 0x802
	v_dual_mul_f32 v25, v219, v139 :: v_dual_fma_f32 v13, v206, v126, -v13
	v_dual_fmac_f32 v29, v207, v126 :: v_dual_add_f32 v9, v9, v27
	v_dual_add_f32 v11, v11, v51 :: v_dual_mul_f32 v27, v221, v141
	v_fmac_f32_e32 v31, v209, v128
	s_delay_alu instid0(VALU_DEP_3) | instskip(NEXT) | instid1(VALU_DEP_3)
	v_dual_fma_f32 v15, v208, v128, -v15 :: v_dual_add_f32 v9, v9, v29
	v_add_f32_e32 v11, v11, v13
	v_dual_mul_f32 v35, v212, v133 :: v_dual_mul_f32 v37, v214, v135
	s_wait_loadcnt_dscnt 0x701
	v_dual_mul_f32 v13, v223, v143 :: v_dual_fma_f32 v17, v210, v130, -v17
	v_dual_fmac_f32 v33, v211, v130 :: v_dual_add_f32 v9, v9, v31
	v_dual_add_f32 v11, v11, v15 :: v_dual_mul_f32 v15, v225, v145
	v_fmac_f32_e32 v35, v213, v132
	s_delay_alu instid0(VALU_DEP_3) | instskip(NEXT) | instid1(VALU_DEP_3)
	v_dual_fma_f32 v19, v212, v132, -v19 :: v_dual_add_f32 v9, v9, v33
	v_add_f32_e32 v11, v11, v17
	v_dual_mul_f32 v39, v216, v137 :: v_dual_mul_f32 v41, v218, v139
	s_wait_loadcnt 0x6
	v_dual_mul_f32 v17, v187, v147 :: v_dual_fma_f32 v21, v214, v134, -v21
	v_dual_fmac_f32 v37, v215, v134 :: v_dual_add_f32 v9, v9, v35
	v_dual_add_f32 v11, v11, v19 :: v_dual_mul_f32 v19, v189, v149
	v_fmac_f32_e32 v39, v217, v136
	s_delay_alu instid0(VALU_DEP_3) | instskip(NEXT) | instid1(VALU_DEP_3)
	v_dual_fma_f32 v23, v216, v136, -v23 :: v_dual_add_f32 v9, v9, v37
	v_add_f32_e32 v11, v11, v21
	v_dual_mul_f32 v43, v220, v141 :: v_dual_mul_f32 v45, v222, v143
	s_wait_loadcnt 0x5
	v_dual_mul_f32 v21, v167, v151 :: v_dual_fma_f32 v25, v218, v138, -v25
	v_dual_fmac_f32 v41, v219, v138 :: v_dual_add_f32 v9, v9, v39
	v_dual_add_f32 v11, v11, v23 :: v_dual_mov_b32 v106, v153
	v_fmac_f32_e32 v43, v221, v140
	s_delay_alu instid0(VALU_DEP_3) | instskip(NEXT) | instid1(VALU_DEP_3)
	v_dual_fma_f32 v23, v220, v140, -v27 :: v_dual_add_f32 v9, v9, v41
	v_add_f32_e32 v11, v11, v25
	v_dual_mul_f32 v47, v224, v145 :: v_dual_mul_f32 v49, v186, v147
	s_delay_alu instid0(VALU_DEP_3) | instskip(NEXT) | instid1(VALU_DEP_3)
	v_dual_fmac_f32 v45, v223, v142 :: v_dual_add_f32 v9, v9, v43
	v_dual_fma_f32 v13, v222, v142, -v13 :: v_dual_add_f32 v11, v11, v23
	s_wait_loadcnt 0x4
	v_dual_mov_b32 v110, v157 :: v_dual_fma_f32 v15, v224, v144, -v15
	v_fmac_f32_e32 v47, v225, v144
	v_dual_add_f32 v9, v9, v45 :: v_dual_fmac_f32 v49, v187, v146
	v_add_f32_e32 v11, v11, v13
	v_dual_mul_f32 v241, v188, v149 :: v_dual_mul_f32 v243, v166, v151
	s_delay_alu instid0(VALU_DEP_3) | instskip(NEXT) | instid1(VALU_DEP_2)
	v_dual_fma_f32 v13, v186, v146, -v17 :: v_dual_add_f32 v9, v9, v47
	v_dual_add_f32 v11, v11, v15 :: v_dual_fmac_f32 v241, v189, v148
	v_fma_f32 v240, v188, v148, -v19
	v_pk_mul_f32 v[106:107], v[232:233], v[106:107] op_sel_hi:[1,0]
	s_delay_alu instid0(VALU_DEP_4)
	v_add_f32_e32 v115, v9, v49
	s_wait_loadcnt 0x3
	v_dual_add_f32 v114, v11, v13 :: v_dual_mov_b32 v116, v161
	v_pk_mul_f32 v[108:109], v[170:171], v[154:155] op_sel:[1,1] op_sel_hi:[0,1]
	v_dual_fmac_f32 v243, v167, v150 :: v_dual_fma_f32 v242, v166, v150, -v21
	v_pk_fma_f32 v[118:119], v[168:169], v[152:153], v[106:107] op_sel_hi:[1,0,1]
	s_delay_alu instid0(VALU_DEP_4)
	v_pk_add_f32 v[114:115], v[114:115], v[240:241]
	v_pk_fma_f32 v[106:107], v[168:169], v[152:153], v[106:107] neg_lo:[0,0,1] neg_hi:[0,0,1]
	v_pk_fma_f32 v[120:121], v[170:171], v[154:155], v[108:109] op_sel_hi:[1,0,1]
	v_pk_mul_f32 v[110:111], v[234:235], v[110:111] op_sel_hi:[1,0]
	v_mov_b32_e32 v107, v119
	v_pk_add_f32 v[114:115], v[114:115], v[242:243]
	v_pk_fma_f32 v[108:109], v[170:171], v[154:155], v[108:109] neg_lo:[0,0,1] neg_hi:[0,0,1]
	v_pk_mul_f32 v[112:113], v[174:175], v[158:159] op_sel:[1,1] op_sel_hi:[0,1]
	v_mov_b32_e32 v109, v121
	v_pk_fma_f32 v[120:121], v[172:173], v[156:157], v[110:111] op_sel_hi:[1,0,1]
	v_pk_add_f32 v[106:107], v[114:115], v[106:107]
	v_pk_fma_f32 v[110:111], v[172:173], v[156:157], v[110:111] neg_lo:[0,0,1] neg_hi:[0,0,1]
	v_pk_fma_f32 v[114:115], v[174:175], v[158:159], v[112:113] op_sel_hi:[1,0,1]
	v_pk_mul_f32 v[116:117], v[236:237], v[116:117] op_sel_hi:[1,0]
	v_mov_b32_e32 v111, v121
	v_pk_add_f32 v[106:107], v[106:107], v[108:109]
	v_pk_fma_f32 v[112:113], v[174:175], v[158:159], v[112:113] neg_lo:[0,0,1] neg_hi:[0,0,1]
	s_wait_loadcnt 0x2
	v_pk_mul_f32 v[118:119], v[178:179], v[162:163] op_sel:[1,1] op_sel_hi:[0,1]
	v_dual_mov_b32 v108, v165 :: v_dual_mov_b32 v113, v115
	v_pk_fma_f32 v[114:115], v[176:177], v[160:161], v[116:117] op_sel_hi:[1,0,1]
	v_pk_add_f32 v[106:107], v[106:107], v[110:111]
	v_pk_fma_f32 v[116:117], v[176:177], v[160:161], v[116:117] neg_lo:[0,0,1] neg_hi:[0,0,1]
	v_pk_fma_f32 v[110:111], v[178:179], v[162:163], v[118:119] op_sel_hi:[1,0,1]
	v_pk_mul_f32 v[108:109], v[238:239], v[108:109] op_sel_hi:[1,0]
	v_mov_b32_e32 v117, v115
	v_pk_add_f32 v[106:107], v[106:107], v[112:113]
	v_pk_fma_f32 v[112:113], v[178:179], v[162:163], v[118:119] neg_lo:[0,0,1] neg_hi:[0,0,1]
	v_mov_b32_e32 v113, v111
	v_pk_fma_f32 v[110:111], v[180:181], v[164:165], v[108:109] op_sel_hi:[1,0,1]
	s_wait_loadcnt_dscnt 0x100
	v_pk_mul_f32 v[114:115], v[230:231], v[226:227] op_sel:[1,1] op_sel_hi:[0,1]
	v_pk_add_f32 v[106:107], v[106:107], v[116:117]
	v_pk_fma_f32 v[108:109], v[180:181], v[164:165], v[108:109] neg_lo:[0,0,1] neg_hi:[0,0,1]
	v_mov_b32_e32 v109, v111
	s_delay_alu instid0(VALU_DEP_4) | instskip(NEXT) | instid1(VALU_DEP_4)
	v_pk_fma_f32 v[110:111], v[230:231], v[226:227], v[114:115] op_sel_hi:[1,0,1]
	v_pk_add_f32 v[106:107], v[106:107], v[112:113]
	v_pk_fma_f32 v[112:113], v[230:231], v[226:227], v[114:115] neg_lo:[0,0,1] neg_hi:[0,0,1]
	s_delay_alu instid0(VALU_DEP_3) | instskip(NEXT) | instid1(VALU_DEP_3)
	v_mov_b32_e32 v113, v111
	v_pk_add_f32 v[106:107], v[106:107], v[108:109]
	s_delay_alu instid0(VALU_DEP_1) | instskip(SKIP_1) | instid1(VALU_DEP_1)
	v_pk_add_f32 v[106:107], v[106:107], v[112:113]
	s_wait_loadcnt 0x0
	v_pk_add_f32 v[106:107], v[228:229], v[106:107] neg_lo:[0,1] neg_hi:[0,1]
	scratch_store_b64 off, v[106:107], off offset:160
	s_wait_xcnt 0x0
	v_cmpx_lt_u32_e32 19, v0
	s_cbranch_execz .LBB51_287
; %bb.286:
	scratch_load_b64 v[106:107], off, off offset:152
	v_mov_b64_e32 v[108:109], 0
	scratch_store_b64 off, v[108:109], off offset:152
	s_wait_loadcnt 0x0
	ds_store_b64 v1, v[106:107]
.LBB51_287:
	s_wait_xcnt 0x0
	s_or_b32 exec_lo, exec_lo, s0
	s_wait_storecnt_dscnt 0x0
	s_barrier_signal -1
	s_barrier_wait -1
	s_clause 0x10
	scratch_load_b128 v[106:109], off, off offset:160
	scratch_load_b128 v[110:113], off, off offset:176
	;; [unrolled: 1-line block ×16, first 2 shown]
	scratch_load_b64 v[234:235], off, off offset:152
	ds_load_b128 v[170:173], v5 offset:768
	ds_load_b128 v[174:177], v5 offset:784
	;; [unrolled: 1-line block ×16, first 2 shown]
	s_mov_b32 s0, exec_lo
	s_wait_dscnt 0xf
	v_dual_mov_b32 v236, v173 :: v_dual_mov_b32 v237, v172
	s_wait_dscnt 0xe
	v_dual_mov_b32 v238, v177 :: v_dual_mov_b32 v239, v176
	;; [unrolled: 2-line block ×4, first 2 shown]
	s_wait_loadcnt_dscnt 0x100b
	v_dual_mul_f32 v5, v186, v107 :: v_dual_mul_f32 v9, v188, v109
	v_dual_mul_f32 v51, v187, v107 :: v_dual_mul_f32 v53, v189, v109
	s_wait_loadcnt_dscnt 0xf0a
	v_dual_mul_f32 v11, v190, v111 :: v_dual_mul_f32 v13, v192, v113
	s_delay_alu instid0(VALU_DEP_2) | instskip(SKIP_3) | instid1(VALU_DEP_3)
	v_dual_fmac_f32 v5, v187, v106 :: v_dual_fma_f32 v51, v186, v106, -v51
	v_dual_mul_f32 v55, v191, v111 :: v_dual_mul_f32 v57, v193, v113
	s_wait_loadcnt_dscnt 0xd08
	v_dual_mul_f32 v63, v199, v119 :: v_dual_fmac_f32 v9, v189, v108
	v_dual_fma_f32 v53, v188, v108, -v53 :: v_dual_add_f32 v5, 0, v5
	v_dual_add_f32 v51, 0, v51 :: v_dual_mul_f32 v65, v201, v121
	v_fmac_f32_e32 v11, v191, v110
	s_delay_alu instid0(VALU_DEP_3) | instskip(NEXT) | instid1(VALU_DEP_3)
	v_dual_fma_f32 v55, v190, v110, -v55 :: v_dual_add_f32 v5, v5, v9
	v_dual_add_f32 v9, v51, v53 :: v_dual_mul_f32 v15, v194, v115
	v_dual_mul_f32 v17, v196, v117 :: v_dual_mul_f32 v59, v195, v115
	v_dual_mul_f32 v61, v197, v117 :: v_dual_fma_f32 v53, v192, v112, -v57
	s_delay_alu instid0(VALU_DEP_4) | instskip(NEXT) | instid1(VALU_DEP_4)
	v_add_f32_e32 v5, v5, v11
	v_dual_add_f32 v9, v9, v55 :: v_dual_fmac_f32 v15, v195, v114
	s_wait_loadcnt_dscnt 0xc07
	v_dual_mul_f32 v51, v203, v123 :: v_dual_fmac_f32 v13, v193, v112
	v_dual_mul_f32 v11, v205, v125 :: v_dual_fma_f32 v55, v194, v114, -v59
	s_delay_alu instid0(VALU_DEP_3) | instskip(SKIP_1) | instid1(VALU_DEP_3)
	v_dual_add_f32 v9, v9, v53 :: v_dual_fma_f32 v53, v196, v116, -v61
	s_wait_loadcnt_dscnt 0xb06
	v_dual_add_f32 v5, v5, v13 :: v_dual_mul_f32 v13, v207, v127
	v_dual_mul_f32 v19, v198, v119 :: v_dual_mul_f32 v21, v200, v121
	s_delay_alu instid0(VALU_DEP_3) | instskip(SKIP_1) | instid1(VALU_DEP_4)
	v_add_f32_e32 v9, v9, v55
	v_fmac_f32_e32 v17, v197, v116
	v_dual_add_f32 v5, v5, v15 :: v_dual_fma_f32 v55, v198, v118, -v63
	v_dual_mul_f32 v23, v202, v123 :: v_dual_mul_f32 v25, v204, v125
	s_delay_alu instid0(VALU_DEP_4) | instskip(NEXT) | instid1(VALU_DEP_3)
	v_dual_add_f32 v9, v9, v53 :: v_dual_fma_f32 v51, v202, v122, -v51
	v_dual_fmac_f32 v19, v199, v118 :: v_dual_add_f32 v5, v5, v17
	s_delay_alu instid0(VALU_DEP_3) | instskip(NEXT) | instid1(VALU_DEP_3)
	v_dual_fmac_f32 v23, v203, v122 :: v_dual_fma_f32 v53, v200, v120, -v65
	v_dual_add_f32 v9, v9, v55 :: v_dual_fma_f32 v13, v206, v126, -v13
	v_dual_mul_f32 v27, v206, v127 :: v_dual_mul_f32 v29, v208, v129
	s_wait_loadcnt_dscnt 0xa05
	v_dual_mul_f32 v15, v209, v129 :: v_dual_mul_f32 v17, v211, v131
	s_delay_alu instid0(VALU_DEP_2) | instskip(SKIP_1) | instid1(VALU_DEP_3)
	v_dual_fmac_f32 v21, v201, v120 :: v_dual_fmac_f32 v27, v207, v126
	v_dual_add_f32 v5, v5, v19 :: v_dual_fma_f32 v11, v204, v124, -v11
	v_dual_add_f32 v9, v9, v53 :: v_dual_fma_f32 v15, v208, v128, -v15
	v_mul_f32_e32 v19, v213, v133
	s_wait_loadcnt_dscnt 0x904
	s_delay_alu instid0(VALU_DEP_3) | instskip(NEXT) | instid1(VALU_DEP_3)
	v_dual_add_f32 v5, v5, v21 :: v_dual_mul_f32 v21, v215, v135
	v_add_f32_e32 v9, v9, v51
	s_wait_loadcnt_dscnt 0x803
	v_dual_mul_f32 v39, v218, v139 :: v_dual_mul_f32 v41, v220, v141
	s_delay_alu instid0(VALU_DEP_3) | instskip(NEXT) | instid1(VALU_DEP_3)
	v_dual_fma_f32 v19, v212, v132, -v19 :: v_dual_fma_f32 v21, v214, v134, -v21
	v_add_f32_e32 v9, v9, v11
	v_mul_f32_e32 v11, v219, v139
	v_dual_add_f32 v5, v5, v23 :: v_dual_fma_f32 v17, v210, v130, -v17
	s_delay_alu instid0(VALU_DEP_3) | instskip(NEXT) | instid1(VALU_DEP_3)
	v_dual_fmac_f32 v39, v219, v138 :: v_dual_add_f32 v9, v9, v13
	v_dual_mul_f32 v13, v221, v141 :: v_dual_fma_f32 v11, v218, v138, -v11
	v_dual_mul_f32 v31, v210, v131 :: v_dual_mul_f32 v33, v212, v133
	s_delay_alu instid0(VALU_DEP_2) | instskip(NEXT) | instid1(VALU_DEP_2)
	v_dual_add_f32 v9, v9, v15 :: v_dual_fma_f32 v13, v220, v140, -v13
	v_dual_fmac_f32 v25, v205, v124 :: v_dual_fmac_f32 v31, v211, v130
	v_dual_mul_f32 v35, v214, v135 :: v_dual_mul_f32 v37, v216, v137
	s_delay_alu instid0(VALU_DEP_3) | instskip(SKIP_2) | instid1(VALU_DEP_3)
	v_add_f32_e32 v9, v9, v17
	s_wait_loadcnt_dscnt 0x702
	v_dual_mul_f32 v23, v217, v137 :: v_dual_mul_f32 v15, v223, v143
	v_dual_add_f32 v5, v5, v25 :: v_dual_fmac_f32 v35, v215, v134
	s_delay_alu instid0(VALU_DEP_3) | instskip(SKIP_4) | instid1(VALU_DEP_3)
	v_add_f32_e32 v9, v9, v19
	s_wait_loadcnt_dscnt 0x500
	v_dual_mul_f32 v245, v230, v151 :: v_dual_mul_f32 v247, v232, v153
	v_dual_fmac_f32 v29, v209, v128 :: v_dual_mul_f32 v19, v227, v147
	v_dual_add_f32 v5, v5, v27 :: v_dual_fma_f32 v23, v216, v136, -v23
	v_dual_add_f32 v9, v9, v21 :: v_dual_fmac_f32 v245, v231, v150
	v_dual_mul_f32 v43, v222, v143 :: v_dual_mul_f32 v45, v224, v145
	s_delay_alu instid0(VALU_DEP_3) | instskip(NEXT) | instid1(VALU_DEP_3)
	v_add_f32_e32 v5, v5, v29
	v_add_f32_e32 v9, v9, v23
	s_delay_alu instid0(VALU_DEP_3) | instskip(SKIP_1) | instid1(VALU_DEP_4)
	v_dual_fmac_f32 v33, v213, v132 :: v_dual_fmac_f32 v43, v223, v142
	v_mul_f32_e32 v23, v231, v151
	v_dual_add_f32 v5, v5, v31 :: v_dual_fma_f32 v15, v222, v142, -v15
	s_delay_alu instid0(VALU_DEP_4) | instskip(SKIP_2) | instid1(VALU_DEP_2)
	v_add_f32_e32 v9, v9, v11
	v_dual_mul_f32 v47, v226, v147 :: v_dual_mul_f32 v49, v228, v149
	v_dual_mul_f32 v17, v225, v145 :: v_dual_fmac_f32 v45, v225, v144
	v_dual_add_f32 v5, v5, v33 :: v_dual_fmac_f32 v47, v227, v146
	s_delay_alu instid0(VALU_DEP_4) | instskip(SKIP_2) | instid1(VALU_DEP_4)
	v_add_f32_e32 v9, v9, v13
	v_dual_fmac_f32 v37, v217, v136 :: v_dual_fma_f32 v244, v230, v150, -v23
	v_dual_mul_f32 v21, v229, v149 :: v_dual_fmac_f32 v49, v229, v148
	v_dual_add_f32 v5, v5, v35 :: v_dual_fma_f32 v13, v224, v144, -v17
	s_delay_alu instid0(VALU_DEP_4) | instskip(SKIP_2) | instid1(VALU_DEP_3)
	v_add_f32_e32 v9, v9, v15
	v_dual_mul_f32 v11, v233, v153 :: v_dual_fmac_f32 v247, v233, v152
	v_dual_fmac_f32 v41, v221, v140 :: v_dual_fma_f32 v15, v226, v146, -v19
	v_dual_add_f32 v9, v9, v13 :: v_dual_fma_f32 v13, v228, v148, -v21
	s_delay_alu instid0(VALU_DEP_3) | instskip(SKIP_2) | instid1(VALU_DEP_3)
	v_dual_add_f32 v5, v5, v37 :: v_dual_fma_f32 v246, v232, v152, -v11
	s_wait_loadcnt 0x4
	v_pk_mul_f32 v[106:107], v[170:171], v[154:155] op_sel:[1,1] op_sel_hi:[0,1]
	v_add_f32_e32 v9, v9, v15
	s_wait_loadcnt 0x3
	v_dual_mov_b32 v108, v157 :: v_dual_mov_b32 v112, v161
	v_add_f32_e32 v5, v5, v39
	v_pk_fma_f32 v[116:117], v[170:171], v[154:155], v[106:107] op_sel_hi:[1,0,1]
	v_add_f32_e32 v114, v9, v13
	s_delay_alu instid0(VALU_DEP_4)
	v_pk_mul_f32 v[108:109], v[236:237], v[108:109] op_sel_hi:[1,0]
	v_pk_fma_f32 v[106:107], v[170:171], v[154:155], v[106:107] neg_lo:[0,0,1] neg_hi:[0,0,1]
	v_add_f32_e32 v5, v5, v41
	v_pk_mul_f32 v[110:111], v[174:175], v[158:159] op_sel:[1,1] op_sel_hi:[0,1]
	v_mov_b32_e32 v107, v117
	v_pk_fma_f32 v[116:117], v[172:173], v[156:157], v[108:109] op_sel_hi:[1,0,1]
	v_pk_fma_f32 v[108:109], v[172:173], v[156:157], v[108:109] neg_lo:[0,0,1] neg_hi:[0,0,1]
	v_add_f32_e32 v5, v5, v43
	v_pk_fma_f32 v[120:121], v[174:175], v[158:159], v[110:111] op_sel_hi:[1,0,1]
	v_pk_mul_f32 v[112:113], v[238:239], v[112:113] op_sel_hi:[1,0]
	v_mov_b32_e32 v109, v117
	s_wait_loadcnt 0x2
	v_pk_mul_f32 v[118:119], v[178:179], v[162:163] op_sel:[1,1] op_sel_hi:[0,1]
	v_add_f32_e32 v5, v5, v45
	v_pk_fma_f32 v[110:111], v[174:175], v[158:159], v[110:111] neg_lo:[0,0,1] neg_hi:[0,0,1]
	v_mov_b32_e32 v111, v121
	v_pk_fma_f32 v[116:117], v[176:177], v[160:161], v[112:113] op_sel_hi:[1,0,1]
	v_pk_fma_f32 v[112:113], v[176:177], v[160:161], v[112:113] neg_lo:[0,0,1] neg_hi:[0,0,1]
	v_add_f32_e32 v5, v5, v47
	s_delay_alu instid0(VALU_DEP_1) | instskip(NEXT) | instid1(VALU_DEP_1)
	v_add_f32_e32 v115, v5, v49
	v_pk_add_f32 v[114:115], v[114:115], v[244:245]
	s_delay_alu instid0(VALU_DEP_1) | instskip(NEXT) | instid1(VALU_DEP_1)
	v_pk_add_f32 v[114:115], v[114:115], v[246:247]
	v_pk_add_f32 v[106:107], v[114:115], v[106:107]
	v_mov_b32_e32 v114, v165
	s_delay_alu instid0(VALU_DEP_2) | instskip(SKIP_1) | instid1(VALU_DEP_3)
	v_pk_add_f32 v[106:107], v[106:107], v[108:109]
	v_pk_fma_f32 v[108:109], v[178:179], v[162:163], v[118:119] op_sel_hi:[1,0,1]
	v_pk_mul_f32 v[114:115], v[240:241], v[114:115] op_sel_hi:[1,0]
	v_mov_b32_e32 v113, v117
	v_pk_fma_f32 v[116:117], v[178:179], v[162:163], v[118:119] neg_lo:[0,0,1] neg_hi:[0,0,1]
	v_pk_add_f32 v[106:107], v[106:107], v[110:111]
	v_mov_b32_e32 v117, v109
	v_pk_fma_f32 v[108:109], v[180:181], v[164:165], v[114:115] op_sel_hi:[1,0,1]
	s_wait_loadcnt 0x1
	v_pk_mul_f32 v[110:111], v[182:183], v[166:167] op_sel:[1,1] op_sel_hi:[0,1]
	v_mov_b32_e32 v108, v169
	v_pk_add_f32 v[106:107], v[106:107], v[112:113]
	v_pk_fma_f32 v[114:115], v[180:181], v[164:165], v[114:115] neg_lo:[0,0,1] neg_hi:[0,0,1]
	v_mov_b32_e32 v115, v109
	v_pk_fma_f32 v[112:113], v[182:183], v[166:167], v[110:111] op_sel_hi:[1,0,1]
	v_pk_mul_f32 v[108:109], v[242:243], v[108:109] op_sel_hi:[1,0]
	v_pk_add_f32 v[106:107], v[106:107], v[116:117]
	v_pk_fma_f32 v[110:111], v[182:183], v[166:167], v[110:111] neg_lo:[0,0,1] neg_hi:[0,0,1]
	s_delay_alu instid0(VALU_DEP_4) | instskip(NEXT) | instid1(VALU_DEP_4)
	v_mov_b32_e32 v111, v113
	v_pk_fma_f32 v[112:113], v[184:185], v[168:169], v[108:109] op_sel_hi:[1,0,1]
	s_delay_alu instid0(VALU_DEP_4) | instskip(SKIP_1) | instid1(VALU_DEP_3)
	v_pk_add_f32 v[106:107], v[106:107], v[114:115]
	v_pk_fma_f32 v[108:109], v[184:185], v[168:169], v[108:109] neg_lo:[0,0,1] neg_hi:[0,0,1]
	v_mov_b32_e32 v109, v113
	s_delay_alu instid0(VALU_DEP_3) | instskip(NEXT) | instid1(VALU_DEP_1)
	v_pk_add_f32 v[106:107], v[106:107], v[110:111]
	v_pk_add_f32 v[106:107], v[106:107], v[108:109]
	s_wait_loadcnt 0x0
	s_delay_alu instid0(VALU_DEP_1)
	v_pk_add_f32 v[106:107], v[234:235], v[106:107] neg_lo:[0,1] neg_hi:[0,1]
	scratch_store_b64 off, v[106:107], off offset:152
	s_wait_xcnt 0x0
	v_cmpx_lt_u32_e32 18, v0
	s_cbranch_execz .LBB51_289
; %bb.288:
	scratch_load_b64 v[106:107], off, off offset:144
	v_mov_b64_e32 v[108:109], 0
	scratch_store_b64 off, v[108:109], off offset:144
	s_wait_loadcnt 0x0
	ds_store_b64 v1, v[106:107]
.LBB51_289:
	s_wait_xcnt 0x0
	s_or_b32 exec_lo, exec_lo, s0
	s_wait_storecnt_dscnt 0x0
	s_barrier_signal -1
	s_barrier_wait -1
	s_clause 0x11
	scratch_load_b128 v[106:109], off, off offset:152
	scratch_load_b128 v[110:113], off, off offset:168
	;; [unrolled: 1-line block ×16, first 2 shown]
	scratch_load_b64 v[234:235], off, off offset:408
	scratch_load_b64 v[236:237], off, off offset:144
	v_mov_b32_e32 v5, 0
	ds_load_2addr_b64 v[170:173], v5 offset0:95 offset1:96
	ds_load_2addr_b64 v[174:177], v5 offset0:97 offset1:98
	;; [unrolled: 1-line block ×16, first 2 shown]
	ds_load_b64 v[238:239], v5 offset:824
	s_mov_b32 s0, exec_lo
	s_wait_dscnt 0x10
	v_dual_mov_b32 v240, v173 :: v_dual_mov_b32 v241, v172
	s_wait_dscnt 0xd
	v_dual_mov_b32 v242, v177 :: v_dual_mov_b32 v247, v184
	v_dual_mov_b32 v243, v176 :: v_dual_mov_b32 v244, v181
	;; [unrolled: 1-line block ×3, first 2 shown]
	s_wait_loadcnt_dscnt 0x110c
	v_dual_mul_f32 v9, v186, v107 :: v_dual_mul_f32 v55, v187, v107
	v_dual_mul_f32 v57, v189, v109 :: v_dual_mul_f32 v11, v188, v109
	s_wait_loadcnt_dscnt 0x100b
	v_mul_f32_e32 v13, v190, v111
	s_wait_loadcnt_dscnt 0xe09
	v_dual_mul_f32 v67, v199, v119 :: v_dual_fma_f32 v55, v186, v106, -v55
	v_dual_fmac_f32 v9, v187, v106 :: v_dual_mul_f32 v69, v201, v121
	v_dual_mul_f32 v59, v191, v111 :: v_dual_mul_f32 v61, v193, v113
	v_dual_fmac_f32 v11, v189, v108 :: v_dual_fma_f32 v57, v188, v108, -v57
	s_delay_alu instid0(VALU_DEP_3) | instskip(SKIP_3) | instid1(VALU_DEP_3)
	v_dual_add_f32 v9, 0, v9 :: v_dual_add_f32 v55, 0, v55
	v_dual_mul_f32 v15, v192, v113 :: v_dual_mul_f32 v17, v194, v115
	s_wait_loadcnt_dscnt 0xd08
	v_dual_mul_f32 v71, v203, v123 :: v_dual_fma_f32 v59, v190, v110, -v59
	v_dual_fmac_f32 v13, v191, v110 :: v_dual_add_f32 v9, v9, v11
	s_delay_alu instid0(VALU_DEP_3) | instskip(SKIP_2) | instid1(VALU_DEP_3)
	v_dual_add_f32 v11, v55, v57 :: v_dual_fmac_f32 v15, v193, v112
	v_dual_mul_f32 v63, v195, v115 :: v_dual_mul_f32 v65, v197, v117
	v_dual_mul_f32 v55, v205, v125 :: v_dual_fma_f32 v57, v192, v112, -v61
	v_dual_add_f32 v9, v9, v13 :: v_dual_add_f32 v11, v11, v59
	v_dual_mul_f32 v19, v196, v117 :: v_dual_mul_f32 v21, v198, v119
	s_wait_loadcnt_dscnt 0xc07
	v_dual_mul_f32 v13, v207, v127 :: v_dual_fma_f32 v59, v194, v114, -v63
	s_delay_alu instid0(VALU_DEP_3) | instskip(NEXT) | instid1(VALU_DEP_3)
	v_dual_fmac_f32 v17, v195, v114 :: v_dual_add_f32 v9, v9, v15
	v_dual_add_f32 v11, v11, v57 :: v_dual_fmac_f32 v19, v197, v116
	v_dual_mul_f32 v15, v209, v129 :: v_dual_fma_f32 v57, v196, v116, -v65
	s_delay_alu instid0(VALU_DEP_2) | instskip(SKIP_3) | instid1(VALU_DEP_3)
	v_dual_add_f32 v9, v9, v17 :: v_dual_add_f32 v11, v11, v59
	v_dual_mul_f32 v23, v200, v121 :: v_dual_mul_f32 v25, v202, v123
	s_wait_loadcnt_dscnt 0xb06
	v_dual_mul_f32 v17, v211, v131 :: v_dual_fma_f32 v59, v198, v118, -v67
	v_dual_fmac_f32 v21, v199, v118 :: v_dual_add_f32 v9, v9, v19
	s_delay_alu instid0(VALU_DEP_3) | instskip(SKIP_1) | instid1(VALU_DEP_2)
	v_dual_add_f32 v11, v11, v57 :: v_dual_fmac_f32 v23, v201, v120
	v_dual_mul_f32 v19, v213, v133 :: v_dual_fma_f32 v57, v200, v120, -v69
	v_dual_add_f32 v9, v9, v21 :: v_dual_add_f32 v11, v11, v59
	v_dual_mul_f32 v27, v204, v125 :: v_dual_mul_f32 v29, v206, v127
	s_wait_loadcnt_dscnt 0xa05
	v_dual_mul_f32 v21, v215, v135 :: v_dual_fma_f32 v59, v202, v122, -v71
	s_delay_alu instid0(VALU_DEP_3) | instskip(NEXT) | instid1(VALU_DEP_3)
	v_dual_fmac_f32 v25, v203, v122 :: v_dual_add_f32 v9, v9, v23
	v_dual_add_f32 v11, v11, v57 :: v_dual_fmac_f32 v27, v205, v124
	v_dual_mul_f32 v23, v217, v137 :: v_dual_fma_f32 v55, v204, v124, -v55
	s_delay_alu instid0(VALU_DEP_2) | instskip(SKIP_3) | instid1(VALU_DEP_3)
	v_dual_add_f32 v9, v9, v25 :: v_dual_add_f32 v11, v11, v59
	v_dual_mul_f32 v31, v208, v129 :: v_dual_mul_f32 v33, v210, v131
	s_wait_loadcnt_dscnt 0x904
	v_dual_mul_f32 v25, v219, v139 :: v_dual_fma_f32 v13, v206, v126, -v13
	v_dual_fmac_f32 v29, v207, v126 :: v_dual_add_f32 v9, v9, v27
	v_dual_add_f32 v11, v11, v55 :: v_dual_mul_f32 v27, v221, v141
	v_fmac_f32_e32 v31, v209, v128
	s_delay_alu instid0(VALU_DEP_3) | instskip(NEXT) | instid1(VALU_DEP_3)
	v_dual_fma_f32 v15, v208, v128, -v15 :: v_dual_add_f32 v9, v9, v29
	v_add_f32_e32 v11, v11, v13
	v_dual_mul_f32 v35, v212, v133 :: v_dual_mul_f32 v37, v214, v135
	s_wait_loadcnt_dscnt 0x803
	v_dual_mul_f32 v13, v223, v143 :: v_dual_fma_f32 v17, v210, v130, -v17
	v_dual_fmac_f32 v33, v211, v130 :: v_dual_add_f32 v9, v9, v31
	v_dual_add_f32 v11, v11, v15 :: v_dual_mul_f32 v15, v225, v145
	v_fmac_f32_e32 v35, v213, v132
	s_delay_alu instid0(VALU_DEP_3) | instskip(NEXT) | instid1(VALU_DEP_3)
	v_dual_fma_f32 v19, v212, v132, -v19 :: v_dual_add_f32 v9, v9, v33
	v_add_f32_e32 v11, v11, v17
	;; [unrolled: 9-line block ×4, first 2 shown]
	v_dual_mul_f32 v47, v224, v145 :: v_dual_mul_f32 v49, v226, v147
	s_wait_loadcnt 0x5
	v_dual_mul_f32 v25, v171, v155 :: v_dual_fma_f32 v13, v222, v142, -v13
	v_dual_fmac_f32 v45, v223, v142 :: v_dual_add_f32 v9, v9, v43
	v_dual_add_f32 v11, v11, v27 :: v_dual_mov_b32 v106, v157
	v_fmac_f32_e32 v47, v225, v144
	s_delay_alu instid0(VALU_DEP_3) | instskip(NEXT) | instid1(VALU_DEP_3)
	v_dual_fma_f32 v15, v224, v144, -v15 :: v_dual_add_f32 v9, v9, v45
	v_add_f32_e32 v11, v11, v13
	v_dual_mul_f32 v51, v228, v149 :: v_dual_mul_f32 v53, v230, v151
	s_delay_alu instid0(VALU_DEP_3) | instskip(NEXT) | instid1(VALU_DEP_3)
	v_dual_fmac_f32 v49, v227, v146 :: v_dual_add_f32 v9, v9, v47
	v_dual_fma_f32 v13, v226, v146, -v17 :: v_dual_add_f32 v11, v11, v15
	s_wait_loadcnt 0x4
	v_dual_mov_b32 v110, v161 :: v_dual_fma_f32 v15, v228, v148, -v19
	v_fmac_f32_e32 v51, v229, v148
	v_dual_add_f32 v9, v9, v49 :: v_dual_fmac_f32 v53, v231, v150
	v_add_f32_e32 v11, v11, v13
	v_dual_mul_f32 v249, v232, v153 :: v_dual_mul_f32 v251, v170, v155
	s_delay_alu instid0(VALU_DEP_3) | instskip(NEXT) | instid1(VALU_DEP_2)
	v_dual_fma_f32 v13, v230, v150, -v21 :: v_dual_add_f32 v9, v9, v51
	v_dual_add_f32 v11, v11, v15 :: v_dual_fmac_f32 v249, v233, v152
	v_fma_f32 v248, v232, v152, -v23
	v_pk_mul_f32 v[106:107], v[240:241], v[106:107] op_sel_hi:[1,0]
	s_delay_alu instid0(VALU_DEP_4)
	v_add_f32_e32 v115, v9, v53
	s_wait_loadcnt 0x3
	v_dual_add_f32 v114, v11, v13 :: v_dual_mov_b32 v116, v165
	v_pk_mul_f32 v[108:109], v[174:175], v[158:159] op_sel:[1,1] op_sel_hi:[0,1]
	v_dual_fmac_f32 v251, v171, v154 :: v_dual_fma_f32 v250, v170, v154, -v25
	v_pk_fma_f32 v[118:119], v[172:173], v[156:157], v[106:107] op_sel_hi:[1,0,1]
	s_delay_alu instid0(VALU_DEP_4)
	v_pk_add_f32 v[114:115], v[114:115], v[248:249]
	v_pk_fma_f32 v[106:107], v[172:173], v[156:157], v[106:107] neg_lo:[0,0,1] neg_hi:[0,0,1]
	v_pk_fma_f32 v[120:121], v[174:175], v[158:159], v[108:109] op_sel_hi:[1,0,1]
	v_pk_mul_f32 v[110:111], v[242:243], v[110:111] op_sel_hi:[1,0]
	v_mov_b32_e32 v107, v119
	v_pk_add_f32 v[114:115], v[114:115], v[250:251]
	v_pk_fma_f32 v[108:109], v[174:175], v[158:159], v[108:109] neg_lo:[0,0,1] neg_hi:[0,0,1]
	v_pk_mul_f32 v[112:113], v[178:179], v[162:163] op_sel:[1,1] op_sel_hi:[0,1]
	v_mov_b32_e32 v109, v121
	v_pk_fma_f32 v[120:121], v[176:177], v[160:161], v[110:111] op_sel_hi:[1,0,1]
	v_pk_add_f32 v[106:107], v[114:115], v[106:107]
	v_pk_fma_f32 v[110:111], v[176:177], v[160:161], v[110:111] neg_lo:[0,0,1] neg_hi:[0,0,1]
	v_pk_fma_f32 v[114:115], v[178:179], v[162:163], v[112:113] op_sel_hi:[1,0,1]
	v_pk_mul_f32 v[116:117], v[244:245], v[116:117] op_sel_hi:[1,0]
	v_mov_b32_e32 v111, v121
	v_pk_add_f32 v[106:107], v[106:107], v[108:109]
	v_pk_fma_f32 v[112:113], v[178:179], v[162:163], v[112:113] neg_lo:[0,0,1] neg_hi:[0,0,1]
	s_wait_loadcnt 0x2
	v_pk_mul_f32 v[118:119], v[182:183], v[166:167] op_sel:[1,1] op_sel_hi:[0,1]
	v_dual_mov_b32 v108, v169 :: v_dual_mov_b32 v113, v115
	v_pk_fma_f32 v[114:115], v[180:181], v[164:165], v[116:117] op_sel_hi:[1,0,1]
	v_pk_add_f32 v[106:107], v[106:107], v[110:111]
	v_pk_fma_f32 v[116:117], v[180:181], v[164:165], v[116:117] neg_lo:[0,0,1] neg_hi:[0,0,1]
	v_pk_fma_f32 v[110:111], v[182:183], v[166:167], v[118:119] op_sel_hi:[1,0,1]
	v_pk_mul_f32 v[108:109], v[246:247], v[108:109] op_sel_hi:[1,0]
	v_mov_b32_e32 v117, v115
	v_pk_add_f32 v[106:107], v[106:107], v[112:113]
	v_pk_fma_f32 v[112:113], v[182:183], v[166:167], v[118:119] neg_lo:[0,0,1] neg_hi:[0,0,1]
	v_mov_b32_e32 v113, v111
	v_pk_fma_f32 v[110:111], v[184:185], v[168:169], v[108:109] op_sel_hi:[1,0,1]
	s_wait_loadcnt_dscnt 0x100
	v_pk_mul_f32 v[114:115], v[238:239], v[234:235] op_sel:[1,1] op_sel_hi:[0,1]
	v_pk_add_f32 v[106:107], v[106:107], v[116:117]
	v_pk_fma_f32 v[108:109], v[184:185], v[168:169], v[108:109] neg_lo:[0,0,1] neg_hi:[0,0,1]
	v_mov_b32_e32 v109, v111
	s_delay_alu instid0(VALU_DEP_4) | instskip(NEXT) | instid1(VALU_DEP_4)
	v_pk_fma_f32 v[110:111], v[238:239], v[234:235], v[114:115] op_sel_hi:[1,0,1]
	v_pk_add_f32 v[106:107], v[106:107], v[112:113]
	v_pk_fma_f32 v[112:113], v[238:239], v[234:235], v[114:115] neg_lo:[0,0,1] neg_hi:[0,0,1]
	s_delay_alu instid0(VALU_DEP_3) | instskip(NEXT) | instid1(VALU_DEP_3)
	v_mov_b32_e32 v113, v111
	v_pk_add_f32 v[106:107], v[106:107], v[108:109]
	s_delay_alu instid0(VALU_DEP_1) | instskip(SKIP_1) | instid1(VALU_DEP_1)
	v_pk_add_f32 v[106:107], v[106:107], v[112:113]
	s_wait_loadcnt 0x0
	v_pk_add_f32 v[106:107], v[236:237], v[106:107] neg_lo:[0,1] neg_hi:[0,1]
	scratch_store_b64 off, v[106:107], off offset:144
	s_wait_xcnt 0x0
	v_cmpx_lt_u32_e32 17, v0
	s_cbranch_execz .LBB51_291
; %bb.290:
	scratch_load_b64 v[106:107], off, off offset:136
	v_mov_b64_e32 v[108:109], 0
	scratch_store_b64 off, v[108:109], off offset:136
	s_wait_loadcnt 0x0
	ds_store_b64 v1, v[106:107]
.LBB51_291:
	s_wait_xcnt 0x0
	s_or_b32 exec_lo, exec_lo, s0
	s_wait_storecnt_dscnt 0x0
	s_barrier_signal -1
	s_barrier_wait -1
	s_clause 0x11
	scratch_load_b128 v[106:109], off, off offset:144
	scratch_load_b128 v[110:113], off, off offset:160
	;; [unrolled: 1-line block ×17, first 2 shown]
	scratch_load_b64 v[242:243], off, off offset:136
	ds_load_b128 v[174:177], v5 offset:768
	ds_load_b128 v[178:181], v5 offset:784
	;; [unrolled: 1-line block ×17, first 2 shown]
	s_mov_b32 s0, exec_lo
	s_wait_dscnt 0x10
	v_dual_mov_b32 v244, v177 :: v_dual_mov_b32 v245, v176
	s_wait_dscnt 0xf
	v_dual_mov_b32 v246, v181 :: v_dual_mov_b32 v247, v180
	;; [unrolled: 2-line block ×4, first 2 shown]
	s_wait_loadcnt_dscnt 0x110b
	v_dual_mul_f32 v5, v194, v107 :: v_dual_mul_f32 v9, v196, v109
	v_dual_mul_f32 v55, v195, v107 :: v_dual_mul_f32 v57, v197, v109
	s_wait_loadcnt_dscnt 0x100a
	v_dual_mul_f32 v11, v198, v111 :: v_dual_mul_f32 v13, v200, v113
	s_delay_alu instid0(VALU_DEP_2) | instskip(SKIP_3) | instid1(VALU_DEP_3)
	v_dual_fmac_f32 v5, v195, v106 :: v_dual_fma_f32 v55, v194, v106, -v55
	v_dual_mul_f32 v59, v199, v111 :: v_dual_mul_f32 v61, v201, v113
	s_wait_loadcnt_dscnt 0xe08
	v_dual_mul_f32 v67, v207, v119 :: v_dual_fmac_f32 v9, v197, v108
	v_dual_fma_f32 v57, v196, v108, -v57 :: v_dual_add_f32 v5, 0, v5
	v_dual_add_f32 v55, 0, v55 :: v_dual_mul_f32 v69, v209, v121
	v_fmac_f32_e32 v11, v199, v110
	s_delay_alu instid0(VALU_DEP_3) | instskip(NEXT) | instid1(VALU_DEP_3)
	v_dual_fma_f32 v59, v198, v110, -v59 :: v_dual_add_f32 v5, v5, v9
	v_dual_add_f32 v9, v55, v57 :: v_dual_mul_f32 v15, v202, v115
	v_dual_mul_f32 v17, v204, v117 :: v_dual_mul_f32 v63, v203, v115
	v_dual_mul_f32 v65, v205, v117 :: v_dual_fma_f32 v57, v200, v112, -v61
	s_delay_alu instid0(VALU_DEP_4) | instskip(NEXT) | instid1(VALU_DEP_4)
	v_add_f32_e32 v5, v5, v11
	v_dual_add_f32 v9, v9, v59 :: v_dual_fmac_f32 v15, v203, v114
	s_wait_loadcnt_dscnt 0xd07
	v_dual_mul_f32 v55, v211, v123 :: v_dual_fmac_f32 v13, v201, v112
	v_dual_mul_f32 v11, v213, v125 :: v_dual_fma_f32 v59, v202, v114, -v63
	s_delay_alu instid0(VALU_DEP_3) | instskip(SKIP_1) | instid1(VALU_DEP_3)
	v_dual_add_f32 v9, v9, v57 :: v_dual_fma_f32 v57, v204, v116, -v65
	s_wait_loadcnt_dscnt 0xc06
	v_dual_add_f32 v5, v5, v13 :: v_dual_mul_f32 v13, v215, v127
	v_dual_mul_f32 v19, v206, v119 :: v_dual_mul_f32 v21, v208, v121
	s_delay_alu instid0(VALU_DEP_3) | instskip(SKIP_1) | instid1(VALU_DEP_4)
	v_add_f32_e32 v9, v9, v59
	v_fmac_f32_e32 v17, v205, v116
	v_dual_add_f32 v5, v5, v15 :: v_dual_fma_f32 v59, v206, v118, -v67
	v_dual_mul_f32 v23, v210, v123 :: v_dual_mul_f32 v25, v212, v125
	s_delay_alu instid0(VALU_DEP_4) | instskip(NEXT) | instid1(VALU_DEP_3)
	v_dual_add_f32 v9, v9, v57 :: v_dual_fma_f32 v55, v210, v122, -v55
	v_dual_fmac_f32 v19, v207, v118 :: v_dual_add_f32 v5, v5, v17
	s_delay_alu instid0(VALU_DEP_3) | instskip(NEXT) | instid1(VALU_DEP_3)
	v_dual_fmac_f32 v23, v211, v122 :: v_dual_fma_f32 v57, v208, v120, -v69
	v_dual_add_f32 v9, v9, v59 :: v_dual_fma_f32 v13, v214, v126, -v13
	v_dual_mul_f32 v27, v214, v127 :: v_dual_mul_f32 v29, v216, v129
	s_wait_loadcnt_dscnt 0xb05
	v_dual_mul_f32 v15, v217, v129 :: v_dual_mul_f32 v17, v219, v131
	s_delay_alu instid0(VALU_DEP_2) | instskip(SKIP_1) | instid1(VALU_DEP_3)
	v_dual_fmac_f32 v21, v209, v120 :: v_dual_fmac_f32 v27, v215, v126
	v_dual_add_f32 v5, v5, v19 :: v_dual_fma_f32 v11, v212, v124, -v11
	v_dual_add_f32 v9, v9, v57 :: v_dual_fma_f32 v15, v216, v128, -v15
	v_mul_f32_e32 v19, v221, v133
	s_wait_loadcnt_dscnt 0xa04
	s_delay_alu instid0(VALU_DEP_3) | instskip(NEXT) | instid1(VALU_DEP_3)
	v_dual_add_f32 v5, v5, v21 :: v_dual_mul_f32 v21, v223, v135
	v_add_f32_e32 v9, v9, v55
	s_wait_loadcnt_dscnt 0x903
	v_dual_mul_f32 v39, v226, v139 :: v_dual_mul_f32 v41, v228, v141
	s_delay_alu instid0(VALU_DEP_3) | instskip(NEXT) | instid1(VALU_DEP_3)
	v_dual_fma_f32 v19, v220, v132, -v19 :: v_dual_fma_f32 v21, v222, v134, -v21
	v_add_f32_e32 v9, v9, v11
	v_mul_f32_e32 v11, v227, v139
	v_dual_add_f32 v5, v5, v23 :: v_dual_fma_f32 v17, v218, v130, -v17
	s_delay_alu instid0(VALU_DEP_3) | instskip(NEXT) | instid1(VALU_DEP_3)
	v_dual_fmac_f32 v39, v227, v138 :: v_dual_add_f32 v9, v9, v13
	v_dual_mul_f32 v13, v229, v141 :: v_dual_fma_f32 v11, v226, v138, -v11
	v_dual_mul_f32 v31, v218, v131 :: v_dual_mul_f32 v33, v220, v133
	s_delay_alu instid0(VALU_DEP_2) | instskip(NEXT) | instid1(VALU_DEP_2)
	v_dual_add_f32 v9, v9, v15 :: v_dual_fma_f32 v13, v228, v140, -v13
	v_dual_fmac_f32 v25, v213, v124 :: v_dual_fmac_f32 v31, v219, v130
	v_dual_mul_f32 v35, v222, v135 :: v_dual_mul_f32 v37, v224, v137
	s_wait_loadcnt_dscnt 0x701
	s_delay_alu instid0(VALU_DEP_3) | instskip(SKIP_3) | instid1(VALU_DEP_4)
	v_dual_add_f32 v9, v9, v17 :: v_dual_mul_f32 v47, v234, v147
	v_mul_f32_e32 v49, v236, v149
	v_dual_mul_f32 v23, v225, v137 :: v_dual_mul_f32 v15, v231, v143
	v_dual_add_f32 v5, v5, v25 :: v_dual_fmac_f32 v35, v223, v134
	v_dual_add_f32 v9, v9, v19 :: v_dual_fmac_f32 v47, v235, v146
	s_wait_loadcnt_dscnt 0x600
	v_dual_mul_f32 v51, v238, v151 :: v_dual_mul_f32 v53, v240, v153
	v_dual_fmac_f32 v29, v217, v128 :: v_dual_mul_f32 v19, v235, v147
	v_dual_add_f32 v5, v5, v27 :: v_dual_fma_f32 v23, v224, v136, -v23
	s_delay_alu instid0(VALU_DEP_3) | instskip(SKIP_1) | instid1(VALU_DEP_3)
	v_dual_add_f32 v9, v9, v21 :: v_dual_fmac_f32 v51, v239, v150
	v_dual_mul_f32 v43, v230, v143 :: v_dual_mul_f32 v45, v232, v145
	v_add_f32_e32 v5, v5, v29
	s_delay_alu instid0(VALU_DEP_3) | instskip(NEXT) | instid1(VALU_DEP_3)
	v_add_f32_e32 v9, v9, v23
	v_dual_fmac_f32 v33, v221, v132 :: v_dual_fmac_f32 v43, v231, v142
	v_mul_f32_e32 v23, v239, v151
	s_delay_alu instid0(VALU_DEP_4) | instskip(NEXT) | instid1(VALU_DEP_4)
	v_dual_add_f32 v5, v5, v31 :: v_dual_fma_f32 v15, v230, v142, -v15
	v_add_f32_e32 v9, v9, v11
	v_dual_mul_f32 v17, v233, v145 :: v_dual_fmac_f32 v45, v233, v144
	s_delay_alu instid0(VALU_DEP_3) | instskip(SKIP_1) | instid1(VALU_DEP_4)
	v_add_f32_e32 v5, v5, v33
	v_dual_fmac_f32 v37, v225, v136 :: v_dual_fma_f32 v19, v234, v146, -v19
	v_add_f32_e32 v9, v9, v13
	v_dual_mul_f32 v21, v237, v149 :: v_dual_fmac_f32 v49, v237, v148
	s_delay_alu instid0(VALU_DEP_4) | instskip(NEXT) | instid1(VALU_DEP_3)
	v_dual_fma_f32 v17, v232, v144, -v17 :: v_dual_add_f32 v5, v5, v35
	v_add_f32_e32 v9, v9, v15
	s_wait_loadcnt 0x5
	v_dual_mul_f32 v253, v190, v155 :: v_dual_mul_f32 v255, v192, v157
	v_fmac_f32_e32 v41, v229, v140
	v_mul_f32_e32 v15, v193, v157
	v_dual_add_f32 v9, v9, v17 :: v_dual_fma_f32 v17, v236, v148, -v21
	s_delay_alu instid0(VALU_DEP_4) | instskip(SKIP_1) | instid1(VALU_DEP_3)
	v_dual_add_f32 v5, v5, v37 :: v_dual_fmac_f32 v253, v191, v154
	v_fmac_f32_e32 v255, v193, v156
	v_dual_add_f32 v9, v9, v19 :: v_dual_fma_f32 v19, v238, v150, -v23
	s_delay_alu instid0(VALU_DEP_3) | instskip(SKIP_1) | instid1(VALU_DEP_3)
	v_dual_add_f32 v5, v5, v39 :: v_dual_fma_f32 v254, v192, v156, -v15
	v_dual_mul_f32 v11, v241, v153 :: v_dual_fmac_f32 v53, v241, v152
	v_add_f32_e32 v9, v9, v17
	s_delay_alu instid0(VALU_DEP_3) | instskip(NEXT) | instid1(VALU_DEP_3)
	v_dual_add_f32 v5, v5, v41 :: v_dual_mul_f32 v13, v191, v155
	v_fma_f32 v11, v240, v152, -v11
	s_wait_loadcnt 0x4
	v_pk_mul_f32 v[106:107], v[174:175], v[158:159] op_sel:[1,1] op_sel_hi:[0,1]
	v_add_f32_e32 v9, v9, v19
	v_add_f32_e32 v5, v5, v43
	s_wait_loadcnt 0x3
	v_dual_mov_b32 v108, v161 :: v_dual_mov_b32 v112, v165
	s_delay_alu instid0(VALU_DEP_3) | instskip(NEXT) | instid1(VALU_DEP_3)
	v_dual_fma_f32 v252, v190, v154, -v13 :: v_dual_add_f32 v114, v9, v11
	v_add_f32_e32 v5, v5, v45
	v_pk_fma_f32 v[116:117], v[174:175], v[158:159], v[106:107] op_sel_hi:[1,0,1]
	s_delay_alu instid0(VALU_DEP_4)
	v_pk_mul_f32 v[108:109], v[244:245], v[108:109] op_sel_hi:[1,0]
	v_pk_fma_f32 v[106:107], v[174:175], v[158:159], v[106:107] neg_lo:[0,0,1] neg_hi:[0,0,1]
	v_pk_mul_f32 v[110:111], v[178:179], v[162:163] op_sel:[1,1] op_sel_hi:[0,1]
	v_add_f32_e32 v5, v5, v47
	v_mov_b32_e32 v107, v117
	v_pk_fma_f32 v[116:117], v[176:177], v[160:161], v[108:109] op_sel_hi:[1,0,1]
	v_pk_fma_f32 v[108:109], v[176:177], v[160:161], v[108:109] neg_lo:[0,0,1] neg_hi:[0,0,1]
	v_pk_fma_f32 v[120:121], v[178:179], v[162:163], v[110:111] op_sel_hi:[1,0,1]
	v_add_f32_e32 v5, v5, v49
	v_pk_mul_f32 v[112:113], v[246:247], v[112:113] op_sel_hi:[1,0]
	v_mov_b32_e32 v109, v117
	s_wait_loadcnt 0x2
	v_pk_mul_f32 v[118:119], v[182:183], v[166:167] op_sel:[1,1] op_sel_hi:[0,1]
	v_pk_fma_f32 v[110:111], v[178:179], v[162:163], v[110:111] neg_lo:[0,0,1] neg_hi:[0,0,1]
	v_add_f32_e32 v5, v5, v51
	v_mov_b32_e32 v111, v121
	v_pk_fma_f32 v[116:117], v[180:181], v[164:165], v[112:113] op_sel_hi:[1,0,1]
	v_pk_fma_f32 v[112:113], v[180:181], v[164:165], v[112:113] neg_lo:[0,0,1] neg_hi:[0,0,1]
	s_delay_alu instid0(VALU_DEP_4) | instskip(NEXT) | instid1(VALU_DEP_1)
	v_add_f32_e32 v115, v5, v53
	v_pk_add_f32 v[114:115], v[114:115], v[252:253]
	s_delay_alu instid0(VALU_DEP_1) | instskip(NEXT) | instid1(VALU_DEP_1)
	v_pk_add_f32 v[114:115], v[114:115], v[254:255]
	v_pk_add_f32 v[106:107], v[114:115], v[106:107]
	v_mov_b32_e32 v114, v169
	s_delay_alu instid0(VALU_DEP_2) | instskip(SKIP_1) | instid1(VALU_DEP_3)
	v_pk_add_f32 v[106:107], v[106:107], v[108:109]
	v_pk_fma_f32 v[108:109], v[182:183], v[166:167], v[118:119] op_sel_hi:[1,0,1]
	v_pk_mul_f32 v[114:115], v[248:249], v[114:115] op_sel_hi:[1,0]
	v_mov_b32_e32 v113, v117
	v_pk_fma_f32 v[116:117], v[182:183], v[166:167], v[118:119] neg_lo:[0,0,1] neg_hi:[0,0,1]
	v_pk_add_f32 v[106:107], v[106:107], v[110:111]
	v_mov_b32_e32 v117, v109
	v_pk_fma_f32 v[108:109], v[184:185], v[168:169], v[114:115] op_sel_hi:[1,0,1]
	s_wait_loadcnt 0x1
	v_pk_mul_f32 v[110:111], v[186:187], v[170:171] op_sel:[1,1] op_sel_hi:[0,1]
	v_mov_b32_e32 v108, v173
	v_pk_add_f32 v[106:107], v[106:107], v[112:113]
	v_pk_fma_f32 v[114:115], v[184:185], v[168:169], v[114:115] neg_lo:[0,0,1] neg_hi:[0,0,1]
	v_mov_b32_e32 v115, v109
	v_pk_fma_f32 v[112:113], v[186:187], v[170:171], v[110:111] op_sel_hi:[1,0,1]
	v_pk_mul_f32 v[108:109], v[250:251], v[108:109] op_sel_hi:[1,0]
	v_pk_add_f32 v[106:107], v[106:107], v[116:117]
	v_pk_fma_f32 v[110:111], v[186:187], v[170:171], v[110:111] neg_lo:[0,0,1] neg_hi:[0,0,1]
	s_delay_alu instid0(VALU_DEP_4) | instskip(NEXT) | instid1(VALU_DEP_4)
	v_mov_b32_e32 v111, v113
	v_pk_fma_f32 v[112:113], v[188:189], v[172:173], v[108:109] op_sel_hi:[1,0,1]
	s_delay_alu instid0(VALU_DEP_4) | instskip(SKIP_1) | instid1(VALU_DEP_3)
	v_pk_add_f32 v[106:107], v[106:107], v[114:115]
	v_pk_fma_f32 v[108:109], v[188:189], v[172:173], v[108:109] neg_lo:[0,0,1] neg_hi:[0,0,1]
	v_mov_b32_e32 v109, v113
	s_delay_alu instid0(VALU_DEP_3) | instskip(NEXT) | instid1(VALU_DEP_1)
	v_pk_add_f32 v[106:107], v[106:107], v[110:111]
	v_pk_add_f32 v[106:107], v[106:107], v[108:109]
	s_wait_loadcnt 0x0
	s_delay_alu instid0(VALU_DEP_1)
	v_pk_add_f32 v[106:107], v[242:243], v[106:107] neg_lo:[0,1] neg_hi:[0,1]
	scratch_store_b64 off, v[106:107], off offset:136
	s_wait_xcnt 0x0
	v_cmpx_lt_u32_e32 16, v0
	s_cbranch_execz .LBB51_293
; %bb.292:
	scratch_load_b64 v[106:107], off, off offset:128
	v_mov_b64_e32 v[108:109], 0
	scratch_store_b64 off, v[108:109], off offset:128
	s_wait_loadcnt 0x0
	ds_store_b64 v1, v[106:107]
.LBB51_293:
	s_wait_xcnt 0x0
	s_or_b32 exec_lo, exec_lo, s0
	s_wait_storecnt_dscnt 0x0
	s_barrier_signal -1
	s_barrier_wait -1
	s_clause 0x12
	scratch_load_b128 v[106:109], off, off offset:136
	scratch_load_b128 v[110:113], off, off offset:152
	;; [unrolled: 1-line block ×17, first 2 shown]
	scratch_load_b64 v[242:243], off, off offset:408
	scratch_load_b64 v[244:245], off, off offset:128
	v_mov_b32_e32 v5, 0
	ds_load_2addr_b64 v[174:177], v5 offset0:95 offset1:96
	ds_load_2addr_b64 v[178:181], v5 offset0:97 offset1:98
	;; [unrolled: 1-line block ×17, first 2 shown]
	ds_load_b64 v[246:247], v5 offset:824
	s_mov_b32 s0, exec_lo
	s_wait_dscnt 0x11
	v_dual_mov_b32 v248, v177 :: v_dual_mov_b32 v249, v176
	s_wait_dscnt 0x10
	v_dual_mov_b32 v250, v181 :: v_dual_mov_b32 v251, v180
	;; [unrolled: 2-line block ×3, first 2 shown]
	v_dual_mov_b32 v253, v184 :: v_dual_mov_b32 v254, v193
	s_wait_loadcnt_dscnt 0x120c
	v_dual_mul_f32 v9, v194, v107 :: v_dual_mul_f32 v59, v195, v107
	v_dual_mul_f32 v61, v197, v109 :: v_dual_mul_f32 v11, v196, v109
	s_wait_loadcnt_dscnt 0x110b
	v_mul_f32_e32 v13, v198, v111
	s_wait_loadcnt_dscnt 0xf09
	v_dual_mul_f32 v71, v207, v119 :: v_dual_fma_f32 v59, v194, v106, -v59
	v_dual_fmac_f32 v9, v195, v106 :: v_dual_mul_f32 v73, v209, v121
	v_dual_mul_f32 v63, v199, v111 :: v_dual_mul_f32 v65, v201, v113
	v_dual_fmac_f32 v11, v197, v108 :: v_dual_fma_f32 v61, v196, v108, -v61
	s_delay_alu instid0(VALU_DEP_3) | instskip(SKIP_3) | instid1(VALU_DEP_3)
	v_dual_add_f32 v9, 0, v9 :: v_dual_add_f32 v59, 0, v59
	v_dual_mul_f32 v15, v200, v113 :: v_dual_mul_f32 v17, v202, v115
	s_wait_loadcnt_dscnt 0xe08
	v_dual_mul_f32 v75, v211, v123 :: v_dual_fma_f32 v63, v198, v110, -v63
	v_dual_fmac_f32 v13, v199, v110 :: v_dual_add_f32 v9, v9, v11
	s_delay_alu instid0(VALU_DEP_3) | instskip(SKIP_2) | instid1(VALU_DEP_3)
	v_dual_add_f32 v11, v59, v61 :: v_dual_fmac_f32 v15, v201, v112
	v_dual_mul_f32 v67, v203, v115 :: v_dual_mul_f32 v69, v205, v117
	v_dual_mul_f32 v59, v213, v125 :: v_dual_fma_f32 v61, v200, v112, -v65
	v_dual_add_f32 v9, v9, v13 :: v_dual_add_f32 v11, v11, v63
	v_dual_mul_f32 v19, v204, v117 :: v_dual_mul_f32 v21, v206, v119
	s_wait_loadcnt_dscnt 0xd07
	v_dual_mul_f32 v13, v215, v127 :: v_dual_fma_f32 v63, v202, v114, -v67
	s_delay_alu instid0(VALU_DEP_3) | instskip(NEXT) | instid1(VALU_DEP_3)
	v_dual_fmac_f32 v17, v203, v114 :: v_dual_add_f32 v9, v9, v15
	v_dual_add_f32 v11, v11, v61 :: v_dual_fmac_f32 v19, v205, v116
	v_dual_mul_f32 v15, v217, v129 :: v_dual_fma_f32 v61, v204, v116, -v69
	s_delay_alu instid0(VALU_DEP_2) | instskip(SKIP_3) | instid1(VALU_DEP_3)
	v_dual_add_f32 v9, v9, v17 :: v_dual_add_f32 v11, v11, v63
	v_dual_mul_f32 v23, v208, v121 :: v_dual_mul_f32 v25, v210, v123
	s_wait_loadcnt_dscnt 0xc06
	v_dual_mul_f32 v17, v219, v131 :: v_dual_fma_f32 v63, v206, v118, -v71
	v_dual_fmac_f32 v21, v207, v118 :: v_dual_add_f32 v9, v9, v19
	s_delay_alu instid0(VALU_DEP_3) | instskip(SKIP_1) | instid1(VALU_DEP_2)
	v_dual_add_f32 v11, v11, v61 :: v_dual_fmac_f32 v23, v209, v120
	v_dual_mul_f32 v19, v221, v133 :: v_dual_fma_f32 v61, v208, v120, -v73
	v_dual_add_f32 v9, v9, v21 :: v_dual_add_f32 v11, v11, v63
	v_dual_mul_f32 v27, v212, v125 :: v_dual_mul_f32 v29, v214, v127
	s_wait_loadcnt_dscnt 0xb05
	v_dual_mul_f32 v21, v223, v135 :: v_dual_fma_f32 v63, v210, v122, -v75
	s_delay_alu instid0(VALU_DEP_3) | instskip(NEXT) | instid1(VALU_DEP_3)
	v_dual_fmac_f32 v25, v211, v122 :: v_dual_add_f32 v9, v9, v23
	v_dual_add_f32 v11, v11, v61 :: v_dual_fmac_f32 v27, v213, v124
	v_dual_mul_f32 v23, v225, v137 :: v_dual_fma_f32 v59, v212, v124, -v59
	s_delay_alu instid0(VALU_DEP_2) | instskip(SKIP_3) | instid1(VALU_DEP_3)
	v_dual_add_f32 v9, v9, v25 :: v_dual_add_f32 v11, v11, v63
	v_dual_mul_f32 v31, v216, v129 :: v_dual_mul_f32 v33, v218, v131
	s_wait_loadcnt_dscnt 0xa04
	v_dual_mul_f32 v25, v227, v139 :: v_dual_fma_f32 v13, v214, v126, -v13
	v_dual_fmac_f32 v29, v215, v126 :: v_dual_add_f32 v9, v9, v27
	v_dual_add_f32 v11, v11, v59 :: v_dual_mul_f32 v27, v229, v141
	v_fmac_f32_e32 v31, v217, v128
	s_delay_alu instid0(VALU_DEP_3) | instskip(NEXT) | instid1(VALU_DEP_3)
	v_dual_fma_f32 v15, v216, v128, -v15 :: v_dual_add_f32 v9, v9, v29
	v_add_f32_e32 v11, v11, v13
	v_dual_mul_f32 v35, v220, v133 :: v_dual_mul_f32 v37, v222, v135
	s_wait_loadcnt_dscnt 0x903
	v_dual_mul_f32 v13, v231, v143 :: v_dual_fma_f32 v17, v218, v130, -v17
	v_dual_fmac_f32 v33, v219, v130 :: v_dual_add_f32 v9, v9, v31
	v_dual_add_f32 v11, v11, v15 :: v_dual_mul_f32 v15, v233, v145
	v_fmac_f32_e32 v35, v221, v132
	s_delay_alu instid0(VALU_DEP_3) | instskip(NEXT) | instid1(VALU_DEP_3)
	v_dual_fma_f32 v19, v220, v132, -v19 :: v_dual_add_f32 v9, v9, v33
	v_add_f32_e32 v11, v11, v17
	;; [unrolled: 9-line block ×4, first 2 shown]
	v_dual_mul_f32 v47, v232, v145 :: v_dual_mul_f32 v49, v234, v147
	s_wait_loadcnt 0x6
	v_dual_mul_f32 v25, v187, v155 :: v_dual_fma_f32 v13, v230, v142, -v13
	v_dual_fmac_f32 v45, v231, v142 :: v_dual_add_f32 v9, v9, v43
	v_dual_add_f32 v11, v11, v27 :: v_dual_mul_f32 v27, v189, v157
	v_fmac_f32_e32 v47, v233, v144
	s_delay_alu instid0(VALU_DEP_3) | instskip(NEXT) | instid1(VALU_DEP_3)
	v_dual_fma_f32 v15, v232, v144, -v15 :: v_dual_add_f32 v9, v9, v45
	v_add_f32_e32 v11, v11, v13
	v_dual_mul_f32 v51, v236, v149 :: v_dual_mul_f32 v53, v238, v151
	s_wait_loadcnt 0x5
	v_dual_mul_f32 v13, v175, v159 :: v_dual_fma_f32 v17, v234, v146, -v17
	v_dual_fmac_f32 v49, v235, v146 :: v_dual_add_f32 v9, v9, v47
	v_dual_add_f32 v11, v11, v15 :: v_dual_mov_b32 v106, v161
	v_fmac_f32_e32 v51, v237, v148
	s_delay_alu instid0(VALU_DEP_3) | instskip(NEXT) | instid1(VALU_DEP_3)
	v_dual_fma_f32 v15, v236, v148, -v19 :: v_dual_add_f32 v9, v9, v49
	v_add_f32_e32 v11, v11, v17
	v_dual_mul_f32 v55, v240, v153 :: v_dual_mul_f32 v57, v186, v155
	s_delay_alu instid0(VALU_DEP_3) | instskip(NEXT) | instid1(VALU_DEP_3)
	v_dual_fmac_f32 v53, v239, v150 :: v_dual_add_f32 v9, v9, v51
	v_dual_fma_f32 v17, v238, v150, -v21 :: v_dual_add_f32 v11, v11, v15
	s_wait_loadcnt 0x4
	v_dual_mov_b32 v110, v165 :: v_dual_fma_f32 v15, v240, v152, -v23
	v_fmac_f32_e32 v55, v241, v152
	v_dual_add_f32 v9, v9, v53 :: v_dual_fmac_f32 v57, v187, v154
	v_add_f32_e32 v11, v11, v17
	s_set_vgpr_msb 64                       ;  msbs: dst=1 src0=0 src1=0 src2=0
	v_dual_mul_f32 v1 /*v257*/, v188, v157 :: v_dual_mul_f32 v3 /*v259*/, v174, v159
	s_set_vgpr_msb 0                        ;  msbs: dst=0 src0=0 src1=0 src2=0
	v_dual_fma_f32 v17, v186, v154, -v25 :: v_dual_add_f32 v9, v9, v55
	v_add_f32_e32 v11, v11, v15
	s_set_vgpr_msb 64                       ;  msbs: dst=1 src0=0 src1=0 src2=0
	v_dual_fmac_f32 v1 /*v257*/, v189, v156 :: v_dual_fmac_f32 v3 /*v259*/, v175, v158
	v_dual_fma_f32 v0 /*v256*/, v188, v156, -v27 :: v_dual_fma_f32 v2 /*v258*/, v174, v158, -v13
	s_set_vgpr_msb 0                        ;  msbs: dst=0 src0=0 src1=0 src2=0
	v_pk_mul_f32 v[106:107], v[248:249], v[106:107] op_sel_hi:[1,0]
	v_add_f32_e32 v115, v9, v57
	s_wait_loadcnt 0x3
	v_dual_add_f32 v114, v11, v17 :: v_dual_mov_b32 v116, v169
	v_pk_mul_f32 v[108:109], v[178:179], v[162:163] op_sel:[1,1] op_sel_hi:[0,1]
	v_pk_fma_f32 v[118:119], v[176:177], v[160:161], v[106:107] op_sel_hi:[1,0,1]
	v_pk_fma_f32 v[106:107], v[176:177], v[160:161], v[106:107] neg_lo:[0,0,1] neg_hi:[0,0,1]
	s_set_vgpr_msb 4                        ;  msbs: dst=0 src0=0 src1=1 src2=0
	v_pk_add_f32 v[114:115], v[114:115], v[0:1] /*v[256:257]*/
	s_set_vgpr_msb 0                        ;  msbs: dst=0 src0=0 src1=0 src2=0
	v_pk_mul_f32 v[110:111], v[250:251], v[110:111] op_sel_hi:[1,0]
	v_pk_fma_f32 v[120:121], v[178:179], v[162:163], v[108:109] op_sel_hi:[1,0,1]
	v_mov_b32_e32 v107, v119
	v_pk_fma_f32 v[108:109], v[178:179], v[162:163], v[108:109] neg_lo:[0,0,1] neg_hi:[0,0,1]
	s_set_vgpr_msb 4                        ;  msbs: dst=0 src0=0 src1=1 src2=0
	v_pk_add_f32 v[114:115], v[114:115], v[2:3] /*v[258:259]*/
	s_set_vgpr_msb 0                        ;  msbs: dst=0 src0=0 src1=0 src2=0
	v_pk_mul_f32 v[112:113], v[182:183], v[166:167] op_sel:[1,1] op_sel_hi:[0,1]
	v_mov_b32_e32 v109, v121
	v_pk_fma_f32 v[120:121], v[180:181], v[164:165], v[110:111] op_sel_hi:[1,0,1]
	v_pk_fma_f32 v[110:111], v[180:181], v[164:165], v[110:111] neg_lo:[0,0,1] neg_hi:[0,0,1]
	v_pk_add_f32 v[106:107], v[114:115], v[106:107]
	v_pk_fma_f32 v[114:115], v[182:183], v[166:167], v[112:113] op_sel_hi:[1,0,1]
	v_pk_mul_f32 v[116:117], v[252:253], v[116:117] op_sel_hi:[1,0]
	v_mov_b32_e32 v111, v121
	v_pk_fma_f32 v[112:113], v[182:183], v[166:167], v[112:113] neg_lo:[0,0,1] neg_hi:[0,0,1]
	v_pk_add_f32 v[106:107], v[106:107], v[108:109]
	s_wait_loadcnt 0x2
	v_pk_mul_f32 v[118:119], v[190:191], v[170:171] op_sel:[1,1] op_sel_hi:[0,1]
	v_dual_mov_b32 v108, v173 :: v_dual_mov_b32 v113, v115
	v_pk_fma_f32 v[114:115], v[184:185], v[168:169], v[116:117] op_sel_hi:[1,0,1]
	v_pk_add_f32 v[106:107], v[106:107], v[110:111]
	v_pk_fma_f32 v[116:117], v[184:185], v[168:169], v[116:117] neg_lo:[0,0,1] neg_hi:[0,0,1]
	v_pk_fma_f32 v[110:111], v[190:191], v[170:171], v[118:119] op_sel_hi:[1,0,1]
	v_pk_mul_f32 v[108:109], v[254:255], v[108:109] op_sel_hi:[1,0]
	v_mov_b32_e32 v117, v115
	v_pk_add_f32 v[106:107], v[106:107], v[112:113]
	v_pk_fma_f32 v[112:113], v[190:191], v[170:171], v[118:119] neg_lo:[0,0,1] neg_hi:[0,0,1]
	v_mov_b32_e32 v113, v111
	v_pk_fma_f32 v[110:111], v[192:193], v[172:173], v[108:109] op_sel_hi:[1,0,1]
	s_wait_loadcnt_dscnt 0x100
	v_pk_mul_f32 v[114:115], v[246:247], v[242:243] op_sel:[1,1] op_sel_hi:[0,1]
	v_pk_add_f32 v[106:107], v[106:107], v[116:117]
	v_pk_fma_f32 v[108:109], v[192:193], v[172:173], v[108:109] neg_lo:[0,0,1] neg_hi:[0,0,1]
	v_mov_b32_e32 v109, v111
	s_delay_alu instid0(VALU_DEP_4) | instskip(NEXT) | instid1(VALU_DEP_4)
	v_pk_fma_f32 v[110:111], v[246:247], v[242:243], v[114:115] op_sel_hi:[1,0,1]
	v_pk_add_f32 v[106:107], v[106:107], v[112:113]
	v_pk_fma_f32 v[112:113], v[246:247], v[242:243], v[114:115] neg_lo:[0,0,1] neg_hi:[0,0,1]
	s_delay_alu instid0(VALU_DEP_3) | instskip(NEXT) | instid1(VALU_DEP_3)
	v_mov_b32_e32 v113, v111
	v_pk_add_f32 v[106:107], v[106:107], v[108:109]
	s_delay_alu instid0(VALU_DEP_1) | instskip(SKIP_1) | instid1(VALU_DEP_1)
	v_pk_add_f32 v[106:107], v[106:107], v[112:113]
	s_wait_loadcnt 0x0
	v_pk_add_f32 v[106:107], v[244:245], v[106:107] neg_lo:[0,1] neg_hi:[0,1]
	scratch_store_b64 off, v[106:107], off offset:128
	s_wait_xcnt 0x0
	v_cmpx_lt_u32_e32 15, v0
	s_cbranch_execz .LBB51_295
; %bb.294:
	scratch_load_b64 v[106:107], off, off offset:120
	v_mov_b64_e32 v[108:109], 0
	scratch_store_b64 off, v[108:109], off offset:120
	s_wait_loadcnt 0x0
	ds_store_b64 v1, v[106:107]
.LBB51_295:
	s_wait_xcnt 0x0
	s_or_b32 exec_lo, exec_lo, s0
	s_wait_storecnt_dscnt 0x0
	s_barrier_signal -1
	s_barrier_wait -1
	s_clause 0x12
	scratch_load_b128 v[106:109], off, off offset:128
	scratch_load_b128 v[110:113], off, off offset:144
	;; [unrolled: 1-line block ×18, first 2 shown]
	scratch_load_b64 v[250:251], off, off offset:120
	ds_load_b128 v[178:181], v5 offset:768
	ds_load_b128 v[182:185], v5 offset:784
	;; [unrolled: 1-line block ×18, first 2 shown]
	s_mov_b32 s0, exec_lo
	s_wait_dscnt 0x11
	v_dual_mov_b32 v252, v181 :: v_dual_mov_b32 v253, v180
	s_wait_dscnt 0x10
	v_dual_mov_b32 v254, v185 :: v_dual_mov_b32 v255, v184
	s_wait_dscnt 0xf
	s_set_vgpr_msb 64                       ;  msbs: dst=1 src0=0 src1=0 src2=0
	v_dual_mov_b32 v0 /*v256*/, v189 :: v_dual_mov_b32 v1 /*v257*/, v188
	s_wait_dscnt 0xe
	v_dual_mov_b32 v2 /*v258*/, v193 :: v_dual_mov_b32 v3 /*v259*/, v192
	s_wait_loadcnt_dscnt 0x120d
	s_set_vgpr_msb 0                        ;  msbs: dst=0 src0=0 src1=0 src2=0
	v_dual_mul_f32 v5, v194, v107 :: v_dual_mul_f32 v9, v196, v109
	v_dual_mul_f32 v59, v195, v107 :: v_dual_mul_f32 v61, v197, v109
	s_wait_loadcnt_dscnt 0x110c
	v_dual_mul_f32 v11, v198, v111 :: v_dual_mul_f32 v13, v200, v113
	s_delay_alu instid0(VALU_DEP_2) | instskip(SKIP_3) | instid1(VALU_DEP_3)
	v_dual_fmac_f32 v5, v195, v106 :: v_dual_fma_f32 v59, v194, v106, -v59
	v_dual_mul_f32 v63, v199, v111 :: v_dual_mul_f32 v65, v201, v113
	s_wait_loadcnt_dscnt 0xf0a
	v_dual_mul_f32 v71, v207, v119 :: v_dual_fmac_f32 v9, v197, v108
	v_dual_fma_f32 v61, v196, v108, -v61 :: v_dual_add_f32 v5, 0, v5
	v_dual_add_f32 v59, 0, v59 :: v_dual_mul_f32 v73, v209, v121
	v_fmac_f32_e32 v11, v199, v110
	s_delay_alu instid0(VALU_DEP_3) | instskip(NEXT) | instid1(VALU_DEP_3)
	v_dual_fma_f32 v63, v198, v110, -v63 :: v_dual_add_f32 v5, v5, v9
	v_dual_add_f32 v9, v59, v61 :: v_dual_mul_f32 v15, v202, v115
	v_dual_mul_f32 v17, v204, v117 :: v_dual_mul_f32 v67, v203, v115
	v_dual_mul_f32 v69, v205, v117 :: v_dual_fma_f32 v61, v200, v112, -v65
	s_delay_alu instid0(VALU_DEP_4) | instskip(NEXT) | instid1(VALU_DEP_4)
	v_add_f32_e32 v5, v5, v11
	v_dual_add_f32 v9, v9, v63 :: v_dual_fmac_f32 v15, v203, v114
	s_wait_loadcnt_dscnt 0xe09
	v_dual_mul_f32 v59, v211, v123 :: v_dual_fmac_f32 v13, v201, v112
	v_dual_mul_f32 v11, v213, v125 :: v_dual_fma_f32 v63, v202, v114, -v67
	s_delay_alu instid0(VALU_DEP_3) | instskip(SKIP_1) | instid1(VALU_DEP_3)
	v_dual_add_f32 v9, v9, v61 :: v_dual_fma_f32 v61, v204, v116, -v69
	s_wait_loadcnt_dscnt 0xd08
	v_dual_add_f32 v5, v5, v13 :: v_dual_mul_f32 v13, v215, v127
	v_dual_mul_f32 v19, v206, v119 :: v_dual_mul_f32 v21, v208, v121
	s_delay_alu instid0(VALU_DEP_3) | instskip(SKIP_1) | instid1(VALU_DEP_4)
	v_add_f32_e32 v9, v9, v63
	v_fmac_f32_e32 v17, v205, v116
	v_dual_add_f32 v5, v5, v15 :: v_dual_fma_f32 v63, v206, v118, -v71
	v_dual_mul_f32 v23, v210, v123 :: v_dual_mul_f32 v25, v212, v125
	s_delay_alu instid0(VALU_DEP_4) | instskip(NEXT) | instid1(VALU_DEP_3)
	v_dual_add_f32 v9, v9, v61 :: v_dual_fma_f32 v59, v210, v122, -v59
	v_dual_fmac_f32 v19, v207, v118 :: v_dual_add_f32 v5, v5, v17
	s_delay_alu instid0(VALU_DEP_3) | instskip(NEXT) | instid1(VALU_DEP_3)
	v_dual_fmac_f32 v23, v211, v122 :: v_dual_fma_f32 v61, v208, v120, -v73
	v_dual_add_f32 v9, v9, v63 :: v_dual_fma_f32 v13, v214, v126, -v13
	v_dual_mul_f32 v27, v214, v127 :: v_dual_mul_f32 v29, v216, v129
	s_wait_loadcnt_dscnt 0xc07
	v_dual_mul_f32 v15, v217, v129 :: v_dual_mul_f32 v17, v219, v131
	s_delay_alu instid0(VALU_DEP_2) | instskip(SKIP_1) | instid1(VALU_DEP_3)
	v_dual_fmac_f32 v21, v209, v120 :: v_dual_fmac_f32 v27, v215, v126
	v_dual_add_f32 v5, v5, v19 :: v_dual_fma_f32 v11, v212, v124, -v11
	v_dual_add_f32 v9, v9, v61 :: v_dual_fma_f32 v15, v216, v128, -v15
	v_mul_f32_e32 v19, v221, v133
	s_wait_loadcnt_dscnt 0xb06
	s_delay_alu instid0(VALU_DEP_3) | instskip(NEXT) | instid1(VALU_DEP_3)
	v_dual_add_f32 v5, v5, v21 :: v_dual_mul_f32 v21, v223, v135
	v_add_f32_e32 v9, v9, v59
	s_wait_loadcnt_dscnt 0xa05
	v_dual_mul_f32 v39, v226, v139 :: v_dual_mul_f32 v41, v228, v141
	s_delay_alu instid0(VALU_DEP_3) | instskip(NEXT) | instid1(VALU_DEP_3)
	v_dual_fma_f32 v19, v220, v132, -v19 :: v_dual_fma_f32 v21, v222, v134, -v21
	v_add_f32_e32 v9, v9, v11
	v_mul_f32_e32 v11, v227, v139
	v_dual_add_f32 v5, v5, v23 :: v_dual_fma_f32 v17, v218, v130, -v17
	s_delay_alu instid0(VALU_DEP_3) | instskip(NEXT) | instid1(VALU_DEP_3)
	v_dual_fmac_f32 v39, v227, v138 :: v_dual_add_f32 v9, v9, v13
	v_dual_mul_f32 v13, v229, v141 :: v_dual_fma_f32 v11, v226, v138, -v11
	v_dual_mul_f32 v31, v218, v131 :: v_dual_mul_f32 v33, v220, v133
	s_delay_alu instid0(VALU_DEP_2) | instskip(NEXT) | instid1(VALU_DEP_2)
	v_dual_add_f32 v9, v9, v15 :: v_dual_fma_f32 v13, v228, v140, -v13
	v_dual_fmac_f32 v25, v213, v124 :: v_dual_fmac_f32 v31, v219, v130
	v_dual_mul_f32 v35, v222, v135 :: v_dual_mul_f32 v37, v224, v137
	s_wait_loadcnt_dscnt 0x803
	s_delay_alu instid0(VALU_DEP_3) | instskip(SKIP_3) | instid1(VALU_DEP_4)
	v_dual_add_f32 v9, v9, v17 :: v_dual_mul_f32 v47, v234, v147
	v_mul_f32_e32 v49, v236, v149
	v_dual_mul_f32 v23, v225, v137 :: v_dual_mul_f32 v15, v231, v143
	v_dual_add_f32 v5, v5, v25 :: v_dual_fmac_f32 v35, v223, v134
	v_dual_add_f32 v9, v9, v19 :: v_dual_fmac_f32 v47, v235, v146
	v_dual_fmac_f32 v29, v217, v128 :: v_dual_mul_f32 v19, v235, v147
	s_delay_alu instid0(VALU_DEP_3) | instskip(NEXT) | instid1(VALU_DEP_3)
	v_dual_add_f32 v5, v5, v27 :: v_dual_fma_f32 v23, v224, v136, -v23
	v_dual_add_f32 v9, v9, v21 :: v_dual_mul_f32 v43, v230, v143
	v_mul_f32_e32 v45, v232, v145
	s_delay_alu instid0(VALU_DEP_3) | instskip(SKIP_1) | instid1(VALU_DEP_4)
	v_add_f32_e32 v5, v5, v29
	v_fmac_f32_e32 v33, v221, v132
	v_add_f32_e32 v9, v9, v23
	s_wait_loadcnt_dscnt 0x702
	v_dual_mul_f32 v23, v239, v151 :: v_dual_mul_f32 v17, v233, v145
	v_fmac_f32_e32 v45, v233, v144
	v_dual_add_f32 v5, v5, v31 :: v_dual_fma_f32 v15, v230, v142, -v15
	s_delay_alu instid0(VALU_DEP_3) | instskip(NEXT) | instid1(VALU_DEP_2)
	v_dual_fma_f32 v23, v238, v150, -v23 :: v_dual_add_f32 v9, v9, v11
	v_dual_fmac_f32 v43, v231, v142 :: v_dual_add_f32 v5, v5, v33
	v_fma_f32 v17, v232, v144, -v17
	v_dual_fmac_f32 v37, v225, v136 :: v_dual_fma_f32 v19, v234, v146, -v19
	s_delay_alu instid0(VALU_DEP_4) | instskip(SKIP_3) | instid1(VALU_DEP_3)
	v_add_f32_e32 v9, v9, v13
	v_dual_mul_f32 v21, v237, v149 :: v_dual_fmac_f32 v49, v237, v148
	v_add_f32_e32 v5, v5, v35
	v_dual_mul_f32 v51, v238, v151 :: v_dual_mul_f32 v53, v240, v153
	v_dual_add_f32 v9, v9, v15 :: v_dual_fma_f32 v21, v236, v148, -v21
	s_delay_alu instid0(VALU_DEP_2) | instskip(SKIP_2) | instid1(VALU_DEP_3)
	v_dual_add_f32 v5, v5, v37 :: v_dual_fmac_f32 v51, v239, v150
	s_wait_loadcnt_dscnt 0x601
	v_dual_mul_f32 v55, v242, v155 :: v_dual_mul_f32 v57, v244, v157
	v_add_f32_e32 v9, v9, v17
	v_fmac_f32_e32 v41, v229, v140
	v_dual_mul_f32 v11, v241, v153 :: v_dual_fmac_f32 v53, v241, v152
	v_add_f32_e32 v5, v5, v39
	s_delay_alu instid0(VALU_DEP_4) | instskip(SKIP_1) | instid1(VALU_DEP_4)
	v_add_f32_e32 v9, v9, v19
	v_dual_mul_f32 v15, v245, v157 :: v_dual_fmac_f32 v57, v245, v156
	v_fma_f32 v11, v240, v152, -v11
	s_delay_alu instid0(VALU_DEP_3)
	v_dual_fmac_f32 v55, v243, v154 :: v_dual_add_f32 v9, v9, v21
	v_dual_add_f32 v5, v5, v41 :: v_dual_mul_f32 v13, v243, v155
	s_wait_loadcnt_dscnt 0x500
	s_set_vgpr_msb 64                       ;  msbs: dst=1 src0=0 src1=0 src2=0
	v_dual_mul_f32 v5 /*v261*/, v246, v159 :: v_dual_mul_f32 v7 /*v263*/, v248, v161
	s_set_vgpr_msb 0                        ;  msbs: dst=0 src0=0 src1=0 src2=0
	v_add_f32_e32 v9, v9, v23
	v_dual_mul_f32 v17, v247, v159 :: v_dual_fma_f32 v13, v242, v154, -v13
	v_mul_f32_e32 v19, v249, v161
	s_wait_loadcnt 0x4
	v_pk_mul_f32 v[106:107], v[178:179], v[162:163] op_sel:[1,1] op_sel_hi:[0,1]
	v_dual_add_f32 v9, v9, v11 :: v_dual_fma_f32 v11, v244, v156, -v15
	v_add_f32_e32 v5, v5, v43
	s_wait_loadcnt 0x3
	v_dual_mov_b32 v108, v165 :: v_dual_mov_b32 v112, v169
	s_delay_alu instid0(VALU_DEP_3)
	v_add_f32_e32 v9, v9, v13
	s_set_vgpr_msb 64                       ;  msbs: dst=1 src0=0 src1=0 src2=0
	v_dual_fmac_f32 v5 /*v261*/, v247, v158 :: v_dual_fmac_f32 v7 /*v263*/, v249, v160
	s_set_vgpr_msb 0                        ;  msbs: dst=0 src0=0 src1=0 src2=0
	v_add_f32_e32 v5, v5, v45
	s_set_vgpr_msb 64                       ;  msbs: dst=1 src0=0 src1=0 src2=0
	v_dual_fma_f32 v4 /*v260*/, v246, v158, -v17 :: v_dual_fma_f32 v6 /*v262*/, v248, v160, -v19
	s_set_vgpr_msb 0                        ;  msbs: dst=0 src0=0 src1=0 src2=0
	v_add_f32_e32 v114, v9, v11
	v_pk_fma_f32 v[116:117], v[178:179], v[162:163], v[106:107] op_sel_hi:[1,0,1]
	v_add_f32_e32 v5, v5, v47
	v_pk_mul_f32 v[108:109], v[252:253], v[108:109] op_sel_hi:[1,0]
	v_pk_fma_f32 v[106:107], v[178:179], v[162:163], v[106:107] neg_lo:[0,0,1] neg_hi:[0,0,1]
	v_pk_mul_f32 v[110:111], v[182:183], v[166:167] op_sel:[1,1] op_sel_hi:[0,1]
	v_mov_b32_e32 v107, v117
	v_add_f32_e32 v5, v5, v49
	v_pk_fma_f32 v[116:117], v[180:181], v[164:165], v[108:109] op_sel_hi:[1,0,1]
	v_pk_fma_f32 v[108:109], v[180:181], v[164:165], v[108:109] neg_lo:[0,0,1] neg_hi:[0,0,1]
	v_pk_fma_f32 v[120:121], v[182:183], v[166:167], v[110:111] op_sel_hi:[1,0,1]
	v_pk_mul_f32 v[112:113], v[254:255], v[112:113] op_sel_hi:[1,0]
	v_add_f32_e32 v5, v5, v51
	v_mov_b32_e32 v109, v117
	s_wait_loadcnt 0x2
	v_pk_mul_f32 v[118:119], v[186:187], v[170:171] op_sel:[1,1] op_sel_hi:[0,1]
	v_pk_fma_f32 v[110:111], v[182:183], v[166:167], v[110:111] neg_lo:[0,0,1] neg_hi:[0,0,1]
	v_mov_b32_e32 v111, v121
	v_add_f32_e32 v5, v5, v53
	v_pk_fma_f32 v[116:117], v[184:185], v[168:169], v[112:113] op_sel_hi:[1,0,1]
	v_pk_fma_f32 v[112:113], v[184:185], v[168:169], v[112:113] neg_lo:[0,0,1] neg_hi:[0,0,1]
	s_delay_alu instid0(VALU_DEP_3) | instskip(NEXT) | instid1(VALU_DEP_1)
	v_add_f32_e32 v5, v5, v55
	v_add_f32_e32 v115, v5, v57
	s_set_vgpr_msb 4                        ;  msbs: dst=0 src0=0 src1=1 src2=0
	s_delay_alu instid0(VALU_DEP_1) | instskip(NEXT) | instid1(VALU_DEP_1)
	v_pk_add_f32 v[114:115], v[114:115], v[4:5] /*v[260:261]*/
	v_pk_add_f32 v[114:115], v[114:115], v[6:7] /*v[262:263]*/
	s_set_vgpr_msb 0                        ;  msbs: dst=0 src0=0 src1=0 src2=0
	s_delay_alu instid0(VALU_DEP_1) | instskip(SKIP_1) | instid1(VALU_DEP_2)
	v_pk_add_f32 v[106:107], v[114:115], v[106:107]
	v_mov_b32_e32 v114, v173
	v_pk_add_f32 v[106:107], v[106:107], v[108:109]
	v_pk_fma_f32 v[108:109], v[186:187], v[170:171], v[118:119] op_sel_hi:[1,0,1]
	s_set_vgpr_msb 1                        ;  msbs: dst=0 src0=1 src1=0 src2=0
	s_delay_alu instid0(VALU_DEP_3)
	v_pk_mul_f32 v[114:115], v[0:1] /*v[256:257]*/, v[114:115] op_sel_hi:[1,0]
	s_set_vgpr_msb 0                        ;  msbs: dst=0 src0=0 src1=0 src2=0
	v_mov_b32_e32 v113, v117
	v_pk_fma_f32 v[116:117], v[186:187], v[170:171], v[118:119] neg_lo:[0,0,1] neg_hi:[0,0,1]
	v_pk_add_f32 v[106:107], v[106:107], v[110:111]
	v_mov_b32_e32 v117, v109
	v_pk_fma_f32 v[108:109], v[188:189], v[172:173], v[114:115] op_sel_hi:[1,0,1]
	s_wait_loadcnt 0x1
	v_pk_mul_f32 v[110:111], v[190:191], v[174:175] op_sel:[1,1] op_sel_hi:[0,1]
	v_mov_b32_e32 v108, v177
	v_pk_add_f32 v[106:107], v[106:107], v[112:113]
	v_pk_fma_f32 v[114:115], v[188:189], v[172:173], v[114:115] neg_lo:[0,0,1] neg_hi:[0,0,1]
	v_mov_b32_e32 v115, v109
	v_pk_fma_f32 v[112:113], v[190:191], v[174:175], v[110:111] op_sel_hi:[1,0,1]
	s_set_vgpr_msb 1                        ;  msbs: dst=0 src0=1 src1=0 src2=0
	v_pk_mul_f32 v[108:109], v[2:3] /*v[258:259]*/, v[108:109] op_sel_hi:[1,0]
	s_set_vgpr_msb 0                        ;  msbs: dst=0 src0=0 src1=0 src2=0
	v_pk_add_f32 v[106:107], v[106:107], v[116:117]
	v_pk_fma_f32 v[110:111], v[190:191], v[174:175], v[110:111] neg_lo:[0,0,1] neg_hi:[0,0,1]
	v_mov_b32_e32 v111, v113
	v_pk_fma_f32 v[112:113], v[192:193], v[176:177], v[108:109] op_sel_hi:[1,0,1]
	s_delay_alu instid0(VALU_DEP_4) | instskip(SKIP_1) | instid1(VALU_DEP_3)
	v_pk_add_f32 v[106:107], v[106:107], v[114:115]
	v_pk_fma_f32 v[108:109], v[192:193], v[176:177], v[108:109] neg_lo:[0,0,1] neg_hi:[0,0,1]
	v_mov_b32_e32 v109, v113
	s_delay_alu instid0(VALU_DEP_3) | instskip(NEXT) | instid1(VALU_DEP_1)
	v_pk_add_f32 v[106:107], v[106:107], v[110:111]
	v_pk_add_f32 v[106:107], v[106:107], v[108:109]
	s_wait_loadcnt 0x0
	s_delay_alu instid0(VALU_DEP_1)
	v_pk_add_f32 v[106:107], v[250:251], v[106:107] neg_lo:[0,1] neg_hi:[0,1]
	scratch_store_b64 off, v[106:107], off offset:120
	s_wait_xcnt 0x0
	v_cmpx_lt_u32_e32 14, v0
	s_cbranch_execz .LBB51_297
; %bb.296:
	scratch_load_b64 v[106:107], off, off offset:112
	v_mov_b64_e32 v[108:109], 0
	scratch_store_b64 off, v[108:109], off offset:112
	s_wait_loadcnt 0x0
	ds_store_b64 v1, v[106:107]
.LBB51_297:
	s_wait_xcnt 0x0
	s_or_b32 exec_lo, exec_lo, s0
	s_wait_storecnt_dscnt 0x0
	s_barrier_signal -1
	s_barrier_wait -1
	s_clause 0x13
	scratch_load_b128 v[106:109], off, off offset:120
	scratch_load_b128 v[110:113], off, off offset:136
	;; [unrolled: 1-line block ×18, first 2 shown]
	scratch_load_b64 v[250:251], off, off offset:408
	scratch_load_b64 v[252:253], off, off offset:112
	v_mov_b32_e32 v5, 0
	ds_load_2addr_b64 v[178:181], v5 offset0:95 offset1:96
	ds_load_2addr_b64 v[182:185], v5 offset0:97 offset1:98
	;; [unrolled: 1-line block ×18, first 2 shown]
	ds_load_b64 v[254:255], v5 offset:824
	s_mov_b32 s0, exec_lo
	s_wait_dscnt 0x12
	s_set_vgpr_msb 64                       ;  msbs: dst=1 src0=0 src1=0 src2=0
	v_dual_mov_b32 v0 /*v256*/, v181 :: v_dual_mov_b32 v1 /*v257*/, v180
	s_wait_dscnt 0x11
	v_dual_mov_b32 v2 /*v258*/, v185 :: v_dual_mov_b32 v3 /*v259*/, v184
	s_wait_dscnt 0x10
	;; [unrolled: 2-line block ×3, first 2 shown]
	v_dual_mov_b32 v6 /*v262*/, v201 :: v_dual_mov_b32 v7 /*v263*/, v200
	s_wait_loadcnt 0x13
	s_set_vgpr_msb 0                        ;  msbs: dst=0 src0=0 src1=0 src2=0
	v_dual_mul_f32 v9, v190, v107 :: v_dual_mul_f32 v63, v191, v107
	v_dual_mul_f32 v65, v193, v109 :: v_dual_mul_f32 v11, v192, v109
	s_wait_loadcnt 0x12
	v_mul_f32_e32 v13, v194, v111
	s_wait_loadcnt_dscnt 0x100b
	v_dual_mul_f32 v75, v207, v119 :: v_dual_fma_f32 v63, v190, v106, -v63
	v_dual_fmac_f32 v9, v191, v106 :: v_dual_mul_f32 v77, v209, v121
	v_dual_mul_f32 v67, v195, v111 :: v_dual_mul_f32 v69, v197, v113
	v_dual_fmac_f32 v11, v193, v108 :: v_dual_fma_f32 v65, v192, v108, -v65
	s_delay_alu instid0(VALU_DEP_3) | instskip(SKIP_3) | instid1(VALU_DEP_3)
	v_dual_add_f32 v9, 0, v9 :: v_dual_add_f32 v63, 0, v63
	v_dual_mul_f32 v15, v196, v113 :: v_dual_mul_f32 v17, v202, v115
	s_wait_loadcnt_dscnt 0xf0a
	v_dual_mul_f32 v79, v211, v123 :: v_dual_fma_f32 v67, v194, v110, -v67
	v_dual_fmac_f32 v13, v195, v110 :: v_dual_add_f32 v9, v9, v11
	s_delay_alu instid0(VALU_DEP_3) | instskip(SKIP_2) | instid1(VALU_DEP_3)
	v_dual_add_f32 v11, v63, v65 :: v_dual_fmac_f32 v15, v197, v112
	v_dual_mul_f32 v71, v203, v115 :: v_dual_mul_f32 v73, v205, v117
	v_dual_mul_f32 v63, v213, v125 :: v_dual_fma_f32 v65, v196, v112, -v69
	v_dual_add_f32 v9, v9, v13 :: v_dual_add_f32 v11, v11, v67
	v_dual_mul_f32 v19, v204, v117 :: v_dual_mul_f32 v21, v206, v119
	s_wait_loadcnt_dscnt 0xe09
	v_dual_mul_f32 v13, v215, v127 :: v_dual_fma_f32 v67, v202, v114, -v71
	s_delay_alu instid0(VALU_DEP_3) | instskip(NEXT) | instid1(VALU_DEP_3)
	v_dual_fmac_f32 v17, v203, v114 :: v_dual_add_f32 v9, v9, v15
	v_dual_add_f32 v11, v11, v65 :: v_dual_fmac_f32 v19, v205, v116
	v_dual_mul_f32 v15, v217, v129 :: v_dual_fma_f32 v65, v204, v116, -v73
	s_delay_alu instid0(VALU_DEP_2) | instskip(SKIP_3) | instid1(VALU_DEP_3)
	v_dual_add_f32 v9, v9, v17 :: v_dual_add_f32 v11, v11, v67
	v_dual_mul_f32 v23, v208, v121 :: v_dual_mul_f32 v25, v210, v123
	s_wait_loadcnt_dscnt 0xd08
	v_dual_mul_f32 v17, v219, v131 :: v_dual_fma_f32 v67, v206, v118, -v75
	v_dual_fmac_f32 v21, v207, v118 :: v_dual_add_f32 v9, v9, v19
	s_delay_alu instid0(VALU_DEP_3) | instskip(SKIP_1) | instid1(VALU_DEP_2)
	v_dual_add_f32 v11, v11, v65 :: v_dual_fmac_f32 v23, v209, v120
	v_dual_mul_f32 v19, v221, v133 :: v_dual_fma_f32 v65, v208, v120, -v77
	v_dual_add_f32 v9, v9, v21 :: v_dual_add_f32 v11, v11, v67
	v_dual_mul_f32 v27, v212, v125 :: v_dual_mul_f32 v29, v214, v127
	s_wait_loadcnt_dscnt 0xc07
	v_dual_mul_f32 v21, v223, v135 :: v_dual_fma_f32 v67, v210, v122, -v79
	s_delay_alu instid0(VALU_DEP_3) | instskip(NEXT) | instid1(VALU_DEP_3)
	v_dual_fmac_f32 v25, v211, v122 :: v_dual_add_f32 v9, v9, v23
	v_dual_add_f32 v11, v11, v65 :: v_dual_fmac_f32 v27, v213, v124
	v_dual_mul_f32 v23, v225, v137 :: v_dual_fma_f32 v63, v212, v124, -v63
	s_delay_alu instid0(VALU_DEP_2) | instskip(SKIP_3) | instid1(VALU_DEP_3)
	v_dual_add_f32 v9, v9, v25 :: v_dual_add_f32 v11, v11, v67
	v_dual_mul_f32 v31, v216, v129 :: v_dual_mul_f32 v33, v218, v131
	s_wait_loadcnt_dscnt 0xb06
	v_dual_mul_f32 v25, v227, v139 :: v_dual_fma_f32 v13, v214, v126, -v13
	v_dual_fmac_f32 v29, v215, v126 :: v_dual_add_f32 v9, v9, v27
	v_dual_add_f32 v11, v11, v63 :: v_dual_mul_f32 v27, v229, v141
	v_fmac_f32_e32 v31, v217, v128
	s_delay_alu instid0(VALU_DEP_3) | instskip(NEXT) | instid1(VALU_DEP_3)
	v_dual_fma_f32 v15, v216, v128, -v15 :: v_dual_add_f32 v9, v9, v29
	v_add_f32_e32 v11, v11, v13
	v_dual_mul_f32 v35, v220, v133 :: v_dual_mul_f32 v37, v222, v135
	s_wait_loadcnt_dscnt 0xa05
	v_dual_mul_f32 v13, v231, v143 :: v_dual_fma_f32 v17, v218, v130, -v17
	v_dual_fmac_f32 v33, v219, v130 :: v_dual_add_f32 v9, v9, v31
	v_dual_add_f32 v11, v11, v15 :: v_dual_mul_f32 v15, v233, v145
	v_fmac_f32_e32 v35, v221, v132
	s_delay_alu instid0(VALU_DEP_3) | instskip(NEXT) | instid1(VALU_DEP_3)
	v_dual_fma_f32 v19, v220, v132, -v19 :: v_dual_add_f32 v9, v9, v33
	v_add_f32_e32 v11, v11, v17
	;; [unrolled: 9-line block ×6, first 2 shown]
	v_dual_mul_f32 v55, v240, v153 :: v_dual_mul_f32 v57, v242, v155
	s_wait_loadcnt 0x5
	v_dual_mul_f32 v17, v179, v163 :: v_dual_fma_f32 v21, v238, v150, -v21
	v_dual_fmac_f32 v53, v239, v150 :: v_dual_add_f32 v9, v9, v51
	v_dual_add_f32 v11, v11, v19 :: v_dual_mov_b32 v106, v165
	v_fmac_f32_e32 v55, v241, v152
	s_delay_alu instid0(VALU_DEP_3) | instskip(NEXT) | instid1(VALU_DEP_3)
	v_dual_fma_f32 v19, v240, v152, -v23 :: v_dual_add_f32 v9, v9, v53
	v_add_f32_e32 v11, v11, v21
	v_dual_mul_f32 v59, v244, v157 :: v_dual_mul_f32 v61, v246, v159
	s_delay_alu instid0(VALU_DEP_3) | instskip(NEXT) | instid1(VALU_DEP_3)
	v_dual_fmac_f32 v57, v243, v154 :: v_dual_add_f32 v9, v9, v55
	v_dual_fma_f32 v21, v242, v154, -v25 :: v_dual_add_f32 v11, v11, v19
	s_wait_loadcnt 0x4
	v_dual_mov_b32 v110, v169 :: v_dual_fma_f32 v19, v244, v156, -v27
	v_fmac_f32_e32 v59, v245, v156
	v_dual_add_f32 v9, v9, v57 :: v_dual_fmac_f32 v61, v247, v158
	v_add_f32_e32 v11, v11, v21
	s_set_vgpr_msb 64                       ;  msbs: dst=1 src0=0 src1=0 src2=0
	v_dual_mul_f32 v9 /*v265*/, v248, v161 :: v_dual_mul_f32 v11 /*v267*/, v178, v163
	s_set_vgpr_msb 0                        ;  msbs: dst=0 src0=0 src1=0 src2=0
	v_dual_fma_f32 v13, v246, v158, -v13 :: v_dual_add_f32 v9, v9, v59
	v_add_f32_e32 v11, v11, v19
	s_set_vgpr_msb 64                       ;  msbs: dst=1 src0=0 src1=0 src2=0
	v_dual_fmac_f32 v9 /*v265*/, v249, v160 :: v_dual_fmac_f32 v11 /*v267*/, v179, v162
	v_dual_fma_f32 v8 /*v264*/, v248, v160, -v15 :: v_dual_fma_f32 v10 /*v266*/, v178, v162, -v17
	s_set_vgpr_msb 1                        ;  msbs: dst=0 src0=1 src1=0 src2=0
	v_pk_mul_f32 v[106:107], v[0:1] /*v[256:257]*/, v[106:107] op_sel_hi:[1,0]
	s_set_vgpr_msb 0                        ;  msbs: dst=0 src0=0 src1=0 src2=0
	v_add_f32_e32 v115, v9, v61
	s_wait_loadcnt 0x3
	v_dual_add_f32 v114, v11, v13 :: v_dual_mov_b32 v116, v173
	v_pk_mul_f32 v[108:109], v[182:183], v[166:167] op_sel:[1,1] op_sel_hi:[0,1]
	v_pk_fma_f32 v[118:119], v[180:181], v[164:165], v[106:107] op_sel_hi:[1,0,1]
	v_pk_fma_f32 v[106:107], v[180:181], v[164:165], v[106:107] neg_lo:[0,0,1] neg_hi:[0,0,1]
	s_set_vgpr_msb 4                        ;  msbs: dst=0 src0=0 src1=1 src2=0
	v_pk_add_f32 v[114:115], v[114:115], v[8:9] /*v[264:265]*/
	s_set_vgpr_msb 1                        ;  msbs: dst=0 src0=1 src1=0 src2=0
	v_pk_mul_f32 v[110:111], v[2:3] /*v[258:259]*/, v[110:111] op_sel_hi:[1,0]
	s_set_vgpr_msb 0                        ;  msbs: dst=0 src0=0 src1=0 src2=0
	v_pk_fma_f32 v[120:121], v[182:183], v[166:167], v[108:109] op_sel_hi:[1,0,1]
	v_mov_b32_e32 v107, v119
	v_pk_fma_f32 v[108:109], v[182:183], v[166:167], v[108:109] neg_lo:[0,0,1] neg_hi:[0,0,1]
	s_set_vgpr_msb 4                        ;  msbs: dst=0 src0=0 src1=1 src2=0
	v_pk_add_f32 v[114:115], v[114:115], v[10:11] /*v[266:267]*/
	s_set_vgpr_msb 0                        ;  msbs: dst=0 src0=0 src1=0 src2=0
	v_pk_mul_f32 v[112:113], v[186:187], v[170:171] op_sel:[1,1] op_sel_hi:[0,1]
	v_mov_b32_e32 v109, v121
	v_pk_fma_f32 v[120:121], v[184:185], v[168:169], v[110:111] op_sel_hi:[1,0,1]
	v_pk_fma_f32 v[110:111], v[184:185], v[168:169], v[110:111] neg_lo:[0,0,1] neg_hi:[0,0,1]
	v_pk_add_f32 v[106:107], v[114:115], v[106:107]
	v_pk_fma_f32 v[114:115], v[186:187], v[170:171], v[112:113] op_sel_hi:[1,0,1]
	s_set_vgpr_msb 1                        ;  msbs: dst=0 src0=1 src1=0 src2=0
	v_pk_mul_f32 v[116:117], v[4:5] /*v[260:261]*/, v[116:117] op_sel_hi:[1,0]
	s_set_vgpr_msb 0                        ;  msbs: dst=0 src0=0 src1=0 src2=0
	v_mov_b32_e32 v111, v121
	v_pk_fma_f32 v[112:113], v[186:187], v[170:171], v[112:113] neg_lo:[0,0,1] neg_hi:[0,0,1]
	v_pk_add_f32 v[106:107], v[106:107], v[108:109]
	s_wait_loadcnt 0x2
	v_pk_mul_f32 v[118:119], v[198:199], v[174:175] op_sel:[1,1] op_sel_hi:[0,1]
	v_dual_mov_b32 v108, v177 :: v_dual_mov_b32 v113, v115
	v_pk_fma_f32 v[114:115], v[188:189], v[172:173], v[116:117] op_sel_hi:[1,0,1]
	v_pk_add_f32 v[106:107], v[106:107], v[110:111]
	v_pk_fma_f32 v[116:117], v[188:189], v[172:173], v[116:117] neg_lo:[0,0,1] neg_hi:[0,0,1]
	v_pk_fma_f32 v[110:111], v[198:199], v[174:175], v[118:119] op_sel_hi:[1,0,1]
	s_set_vgpr_msb 1                        ;  msbs: dst=0 src0=1 src1=0 src2=0
	v_pk_mul_f32 v[108:109], v[6:7] /*v[262:263]*/, v[108:109] op_sel_hi:[1,0]
	s_set_vgpr_msb 0                        ;  msbs: dst=0 src0=0 src1=0 src2=0
	v_mov_b32_e32 v117, v115
	v_pk_add_f32 v[106:107], v[106:107], v[112:113]
	v_pk_fma_f32 v[112:113], v[198:199], v[174:175], v[118:119] neg_lo:[0,0,1] neg_hi:[0,0,1]
	v_mov_b32_e32 v113, v111
	v_pk_fma_f32 v[110:111], v[200:201], v[176:177], v[108:109] op_sel_hi:[1,0,1]
	s_wait_loadcnt_dscnt 0x100
	v_pk_mul_f32 v[114:115], v[254:255], v[250:251] op_sel:[1,1] op_sel_hi:[0,1]
	v_pk_add_f32 v[106:107], v[106:107], v[116:117]
	v_pk_fma_f32 v[108:109], v[200:201], v[176:177], v[108:109] neg_lo:[0,0,1] neg_hi:[0,0,1]
	v_mov_b32_e32 v109, v111
	s_delay_alu instid0(VALU_DEP_4) | instskip(NEXT) | instid1(VALU_DEP_4)
	v_pk_fma_f32 v[110:111], v[254:255], v[250:251], v[114:115] op_sel_hi:[1,0,1]
	v_pk_add_f32 v[106:107], v[106:107], v[112:113]
	v_pk_fma_f32 v[112:113], v[254:255], v[250:251], v[114:115] neg_lo:[0,0,1] neg_hi:[0,0,1]
	s_delay_alu instid0(VALU_DEP_3) | instskip(NEXT) | instid1(VALU_DEP_3)
	v_mov_b32_e32 v113, v111
	v_pk_add_f32 v[106:107], v[106:107], v[108:109]
	s_delay_alu instid0(VALU_DEP_1) | instskip(SKIP_1) | instid1(VALU_DEP_1)
	v_pk_add_f32 v[106:107], v[106:107], v[112:113]
	s_wait_loadcnt 0x0
	v_pk_add_f32 v[106:107], v[252:253], v[106:107] neg_lo:[0,1] neg_hi:[0,1]
	scratch_store_b64 off, v[106:107], off offset:112
	s_wait_xcnt 0x0
	v_cmpx_lt_u32_e32 13, v0
	s_cbranch_execz .LBB51_299
; %bb.298:
	scratch_load_b64 v[106:107], off, off offset:104
	v_mov_b64_e32 v[108:109], 0
	scratch_store_b64 off, v[108:109], off offset:104
	s_wait_loadcnt 0x0
	ds_store_b64 v1, v[106:107]
.LBB51_299:
	s_wait_xcnt 0x0
	s_or_b32 exec_lo, exec_lo, s0
	s_wait_storecnt_dscnt 0x0
	s_barrier_signal -1
	s_barrier_wait -1
	s_clause 0x14
	scratch_load_b128 v[106:109], off, off offset:112
	scratch_load_b128 v[110:113], off, off offset:128
	;; [unrolled: 1-line block ×19, first 2 shown]
	s_set_vgpr_msb 64                       ;  msbs: dst=1 src0=0 src1=0 src2=0
	scratch_load_b64 v[2:3] /*v[258:259]*/, off, off offset:104
	s_set_vgpr_msb 0                        ;  msbs: dst=0 src0=0 src1=0 src2=0
	ds_load_b128 v[182:185], v5 offset:768
	ds_load_b128 v[186:189], v5 offset:784
	ds_load_b128 v[190:193], v5 offset:752
	ds_load_b128 v[194:197], v5 offset:800
	ds_load_b128 v[198:201], v5 offset:816
	ds_load_b128 v[202:205], v5 offset:528
	ds_load_b128 v[206:209], v5 offset:544
	ds_load_b128 v[210:213], v5 offset:560
	ds_load_b128 v[214:217], v5 offset:576
	ds_load_b128 v[218:221], v5 offset:592
	ds_load_b128 v[222:225], v5 offset:608
	ds_load_b128 v[226:229], v5 offset:624
	ds_load_b128 v[230:233], v5 offset:640
	ds_load_b128 v[234:237], v5 offset:656
	ds_load_b128 v[238:241], v5 offset:672
	ds_load_b128 v[242:245], v5 offset:688
	ds_load_b128 v[246:249], v5 offset:704
	ds_load_b128 v[250:253], v5 offset:720
	ds_load_b128 v[254:257], v5 offset:736
	s_mov_b32 s0, exec_lo
	s_wait_dscnt 0x12
	s_set_vgpr_msb 64                       ;  msbs: dst=1 src0=0 src1=0 src2=0
	v_dual_mov_b32 v4 /*v260*/, v185 :: v_dual_mov_b32 v5 /*v261*/, v184
	s_wait_dscnt 0x11
	v_dual_mov_b32 v6 /*v262*/, v189 :: v_dual_mov_b32 v7 /*v263*/, v188
	s_wait_dscnt 0xf
	;; [unrolled: 2-line block ×3, first 2 shown]
	v_dual_mov_b32 v10 /*v266*/, v201 :: v_dual_mov_b32 v11 /*v267*/, v200
	s_wait_loadcnt_dscnt 0x130d
	s_set_vgpr_msb 0                        ;  msbs: dst=0 src0=0 src1=0 src2=0
	v_dual_mul_f32 v5, v202, v107 :: v_dual_mul_f32 v9, v204, v109
	s_wait_loadcnt_dscnt 0x120c
	v_dual_mul_f32 v63, v203, v107 :: v_dual_mul_f32 v69, v209, v113
	s_wait_loadcnt_dscnt 0x110b
	v_mul_f32_e32 v71, v211, v115
	s_wait_loadcnt_dscnt 0x100a
	v_dual_fmac_f32 v5, v203, v106 :: v_dual_mul_f32 v77, v217, v121
	v_fma_f32 v63, v202, v106, -v63
	v_dual_mul_f32 v11, v206, v111 :: v_dual_mul_f32 v13, v208, v113
	v_dual_mul_f32 v65, v205, v109 :: v_dual_mul_f32 v67, v207, v111
	s_wait_loadcnt_dscnt 0x600
	v_dual_mul_f32 v73, v213, v117 :: v_dual_mul_f32 v59, v254, v159
	s_set_vgpr_msb 1                        ;  msbs: dst=0 src0=1 src1=0 src2=0
	v_dual_mul_f32 v61, v0 /*v256*/, v161 :: v_dual_add_f32 v63, 0, v63
	s_set_vgpr_msb 0                        ;  msbs: dst=0 src0=0 src1=0 src2=0
	v_dual_mul_f32 v75, v215, v119 :: v_dual_fmac_f32 v9, v205, v108
	v_dual_fma_f32 v65, v204, v108, -v65 :: v_dual_add_f32 v5, 0, v5
	v_fmac_f32_e32 v11, v207, v110
	v_fma_f32 v67, v206, v110, -v67
	v_dual_mul_f32 v15, v210, v115 :: v_dual_mul_f32 v17, v212, v117
	s_delay_alu instid0(VALU_DEP_4) | instskip(SKIP_2) | instid1(VALU_DEP_3)
	v_add_f32_e32 v5, v5, v9
	v_dual_add_f32 v9, v63, v65 :: v_dual_fma_f32 v65, v208, v112, -v69
	v_dual_mul_f32 v63, v219, v123 :: v_dual_fmac_f32 v13, v209, v112
	v_add_f32_e32 v5, v5, v11
	s_delay_alu instid0(VALU_DEP_3) | instskip(SKIP_1) | instid1(VALU_DEP_3)
	v_dual_add_f32 v9, v9, v67 :: v_dual_fmac_f32 v15, v211, v114
	v_dual_mul_f32 v11, v221, v125 :: v_dual_fma_f32 v67, v210, v114, -v71
	v_dual_add_f32 v5, v5, v13 :: v_dual_mul_f32 v13, v223, v127
	s_delay_alu instid0(VALU_DEP_3) | instskip(SKIP_2) | instid1(VALU_DEP_3)
	v_dual_add_f32 v9, v9, v65 :: v_dual_fma_f32 v65, v212, v116, -v73
	v_dual_mul_f32 v19, v214, v119 :: v_dual_mul_f32 v21, v216, v121
	v_fmac_f32_e32 v17, v213, v116
	v_add_f32_e32 v9, v9, v67
	v_dual_add_f32 v5, v5, v15 :: v_dual_fma_f32 v67, v214, v118, -v75
	v_dual_mul_f32 v23, v218, v123 :: v_dual_mul_f32 v25, v220, v125
	s_delay_alu instid0(VALU_DEP_3) | instskip(NEXT) | instid1(VALU_DEP_3)
	v_dual_add_f32 v9, v9, v65 :: v_dual_fma_f32 v63, v218, v122, -v63
	v_dual_fmac_f32 v19, v215, v118 :: v_dual_add_f32 v5, v5, v17
	s_delay_alu instid0(VALU_DEP_3) | instskip(NEXT) | instid1(VALU_DEP_3)
	v_dual_fmac_f32 v23, v219, v122 :: v_dual_fma_f32 v65, v216, v120, -v77
	v_dual_add_f32 v9, v9, v67 :: v_dual_fma_f32 v13, v222, v126, -v13
	v_dual_mul_f32 v27, v222, v127 :: v_dual_mul_f32 v29, v224, v129
	v_dual_mul_f32 v15, v225, v129 :: v_dual_mul_f32 v17, v227, v131
	s_delay_alu instid0(VALU_DEP_2) | instskip(SKIP_1) | instid1(VALU_DEP_3)
	v_dual_fmac_f32 v21, v217, v120 :: v_dual_fmac_f32 v27, v223, v126
	v_dual_add_f32 v5, v5, v19 :: v_dual_fma_f32 v11, v220, v124, -v11
	v_dual_add_f32 v9, v9, v65 :: v_dual_fma_f32 v15, v224, v128, -v15
	v_mul_f32_e32 v19, v229, v133
	s_delay_alu instid0(VALU_DEP_3) | instskip(NEXT) | instid1(VALU_DEP_3)
	v_dual_add_f32 v5, v5, v21 :: v_dual_mul_f32 v21, v231, v135
	v_add_f32_e32 v9, v9, v63
	v_dual_mul_f32 v39, v234, v139 :: v_dual_mul_f32 v41, v236, v141
	s_delay_alu instid0(VALU_DEP_3) | instskip(NEXT) | instid1(VALU_DEP_3)
	v_dual_fma_f32 v19, v228, v132, -v19 :: v_dual_fma_f32 v21, v230, v134, -v21
	v_add_f32_e32 v9, v9, v11
	v_mul_f32_e32 v11, v235, v139
	v_dual_add_f32 v5, v5, v23 :: v_dual_fma_f32 v17, v226, v130, -v17
	s_delay_alu instid0(VALU_DEP_3) | instskip(NEXT) | instid1(VALU_DEP_3)
	v_dual_fmac_f32 v39, v235, v138 :: v_dual_add_f32 v9, v9, v13
	v_dual_mul_f32 v13, v237, v141 :: v_dual_fma_f32 v11, v234, v138, -v11
	v_dual_mul_f32 v31, v226, v131 :: v_dual_mul_f32 v33, v228, v133
	s_delay_alu instid0(VALU_DEP_2) | instskip(NEXT) | instid1(VALU_DEP_2)
	v_dual_add_f32 v9, v9, v15 :: v_dual_fma_f32 v13, v236, v140, -v13
	v_dual_fmac_f32 v25, v221, v124 :: v_dual_fmac_f32 v31, v227, v130
	v_dual_mul_f32 v35, v230, v135 :: v_dual_mul_f32 v37, v232, v137
	s_delay_alu instid0(VALU_DEP_3) | instskip(SKIP_2) | instid1(VALU_DEP_4)
	v_dual_add_f32 v9, v9, v17 :: v_dual_mul_f32 v47, v242, v147
	v_mul_f32_e32 v49, v244, v149
	v_dual_mul_f32 v23, v233, v137 :: v_dual_mul_f32 v15, v239, v143
	v_dual_add_f32 v5, v5, v25 :: v_dual_fmac_f32 v35, v231, v134
	s_delay_alu instid0(VALU_DEP_4) | instskip(SKIP_1) | instid1(VALU_DEP_3)
	v_dual_add_f32 v9, v9, v19 :: v_dual_fmac_f32 v47, v243, v146
	v_dual_fmac_f32 v29, v225, v128 :: v_dual_mul_f32 v19, v243, v147
	v_dual_add_f32 v5, v5, v27 :: v_dual_fma_f32 v23, v232, v136, -v23
	s_delay_alu instid0(VALU_DEP_3) | instskip(SKIP_1) | instid1(VALU_DEP_3)
	v_dual_add_f32 v9, v9, v21 :: v_dual_mul_f32 v43, v238, v143
	v_mul_f32_e32 v45, v240, v145
	v_dual_add_f32 v5, v5, v29 :: v_dual_mul_f32 v55, v250, v155
	s_delay_alu instid0(VALU_DEP_3) | instskip(SKIP_1) | instid1(VALU_DEP_3)
	v_dual_mul_f32 v57, v252, v157 :: v_dual_add_f32 v9, v9, v23
	v_dual_mul_f32 v23, v247, v151 :: v_dual_fmac_f32 v33, v229, v132
	v_dual_fmac_f32 v43, v239, v142 :: v_dual_add_f32 v5, v5, v31
	v_fma_f32 v15, v238, v142, -v15
	s_delay_alu instid0(VALU_DEP_3) | instskip(SKIP_3) | instid1(VALU_DEP_4)
	v_dual_fma_f32 v23, v246, v150, -v23 :: v_dual_add_f32 v9, v9, v11
	v_dual_fmac_f32 v55, v251, v154 :: v_dual_mul_f32 v17, v241, v145
	v_fmac_f32_e32 v45, v241, v144
	v_add_f32_e32 v5, v5, v33
	v_add_f32_e32 v9, v9, v13
	v_dual_fmac_f32 v37, v233, v136 :: v_dual_fma_f32 v19, v242, v146, -v19
	v_dual_mul_f32 v21, v245, v149 :: v_dual_fmac_f32 v49, v245, v148
	s_delay_alu instid0(VALU_DEP_4) | instskip(NEXT) | instid1(VALU_DEP_4)
	v_dual_fma_f32 v17, v240, v144, -v17 :: v_dual_add_f32 v5, v5, v35
	v_add_f32_e32 v9, v9, v15
	v_dual_mul_f32 v51, v246, v151 :: v_dual_mul_f32 v53, v248, v153
	s_delay_alu instid0(VALU_DEP_3) | instskip(NEXT) | instid1(VALU_DEP_3)
	v_dual_fma_f32 v21, v244, v148, -v21 :: v_dual_add_f32 v5, v5, v37
	v_add_f32_e32 v9, v9, v17
	v_fmac_f32_e32 v41, v237, v140
	s_delay_alu instid0(VALU_DEP_4) | instskip(NEXT) | instid1(VALU_DEP_4)
	v_dual_mul_f32 v11, v249, v153 :: v_dual_fmac_f32 v53, v249, v152
	v_dual_fmac_f32 v51, v247, v150 :: v_dual_add_f32 v5, v5, v39
	s_delay_alu instid0(VALU_DEP_4) | instskip(NEXT) | instid1(VALU_DEP_3)
	v_add_f32_e32 v9, v9, v19
	v_dual_mul_f32 v13, v251, v155 :: v_dual_fma_f32 v11, v248, v152, -v11
	v_dual_fmac_f32 v59, v255, v158 :: v_dual_mul_f32 v15, v253, v157
	v_fmac_f32_e32 v57, v253, v156
	s_wait_loadcnt 0x5
	v_dual_add_f32 v9, v9, v21 :: v_dual_mul_f32 v21, v191, v163
	v_dual_add_f32 v5, v5, v41 :: v_dual_fma_f32 v13, v250, v154, -v13
	v_mul_f32_e32 v17, v255, v159
	s_delay_alu instid0(VALU_DEP_3)
	v_add_f32_e32 v9, v9, v23
	s_set_vgpr_msb 1                        ;  msbs: dst=0 src0=1 src1=0 src2=0
	v_dual_mul_f32 v19, v1 /*v257*/, v161 :: v_dual_fmac_f32 v61, v1 /*v257*/, v160
	s_set_vgpr_msb 0                        ;  msbs: dst=0 src0=0 src1=0 src2=0
	v_add_f32_e32 v5, v5, v43
	s_set_vgpr_msb 64                       ;  msbs: dst=1 src0=0 src1=0 src2=0
	v_dual_mul_f32 v13 /*v269*/, v190, v163 :: v_dual_mul_f32 v15 /*v271*/, v192, v165
	s_set_vgpr_msb 0                        ;  msbs: dst=0 src0=0 src1=0 src2=0
	v_dual_add_f32 v9, v9, v11 :: v_dual_fma_f32 v11, v252, v156, -v15
	v_add_f32_e32 v5, v5, v45
	v_mul_f32_e32 v23, v193, v165
	s_wait_loadcnt 0x4
	v_pk_mul_f32 v[106:107], v[182:183], v[166:167] op_sel:[1,1] op_sel_hi:[0,1]
	v_dual_add_f32 v9, v9, v13 :: v_dual_fma_f32 v13, v254, v158, -v17
	v_add_f32_e32 v5, v5, v47
	s_wait_loadcnt 0x3
	v_dual_mov_b32 v108, v169 :: v_dual_mov_b32 v112, v173
	s_delay_alu instid0(VALU_DEP_3)
	v_add_f32_e32 v9, v9, v11
	s_set_vgpr_msb 1                        ;  msbs: dst=0 src0=1 src1=0 src2=0
	v_fma_f32 v11, v0 /*v256*/, v160, -v19
	s_set_vgpr_msb 0                        ;  msbs: dst=0 src0=0 src1=0 src2=0
	v_add_f32_e32 v5, v5, v49
	s_set_vgpr_msb 64                       ;  msbs: dst=1 src0=0 src1=0 src2=0
	v_dual_fmac_f32 v13 /*v269*/, v191, v162 :: v_dual_fmac_f32 v15 /*v271*/, v193, v164
	s_set_vgpr_msb 0                        ;  msbs: dst=0 src0=0 src1=0 src2=0
	v_add_f32_e32 v9, v9, v13
	s_set_vgpr_msb 64                       ;  msbs: dst=1 src0=0 src1=0 src2=0
	v_dual_fma_f32 v12 /*v268*/, v190, v162, -v21 :: v_dual_fma_f32 v14 /*v270*/, v192, v164, -v23
	s_set_vgpr_msb 0                        ;  msbs: dst=0 src0=0 src1=0 src2=0
	v_add_f32_e32 v5, v5, v51
	v_pk_fma_f32 v[116:117], v[182:183], v[166:167], v[106:107] op_sel_hi:[1,0,1]
	v_add_f32_e32 v114, v9, v11
	s_set_vgpr_msb 1                        ;  msbs: dst=0 src0=1 src1=0 src2=0
	v_pk_mul_f32 v[108:109], v[4:5] /*v[260:261]*/, v[108:109] op_sel_hi:[1,0]
	s_set_vgpr_msb 0                        ;  msbs: dst=0 src0=0 src1=0 src2=0
	v_pk_fma_f32 v[106:107], v[182:183], v[166:167], v[106:107] neg_lo:[0,0,1] neg_hi:[0,0,1]
	v_add_f32_e32 v5, v5, v53
	v_pk_mul_f32 v[110:111], v[186:187], v[170:171] op_sel:[1,1] op_sel_hi:[0,1]
	v_mov_b32_e32 v107, v117
	v_pk_fma_f32 v[116:117], v[184:185], v[168:169], v[108:109] op_sel_hi:[1,0,1]
	v_pk_fma_f32 v[108:109], v[184:185], v[168:169], v[108:109] neg_lo:[0,0,1] neg_hi:[0,0,1]
	v_add_f32_e32 v5, v5, v55
	v_pk_fma_f32 v[120:121], v[186:187], v[170:171], v[110:111] op_sel_hi:[1,0,1]
	s_set_vgpr_msb 1                        ;  msbs: dst=0 src0=1 src1=0 src2=0
	v_pk_mul_f32 v[112:113], v[6:7] /*v[262:263]*/, v[112:113] op_sel_hi:[1,0]
	s_set_vgpr_msb 0                        ;  msbs: dst=0 src0=0 src1=0 src2=0
	v_mov_b32_e32 v109, v117
	s_wait_loadcnt 0x2
	v_pk_mul_f32 v[118:119], v[194:195], v[174:175] op_sel:[1,1] op_sel_hi:[0,1]
	v_add_f32_e32 v5, v5, v57
	v_pk_fma_f32 v[110:111], v[186:187], v[170:171], v[110:111] neg_lo:[0,0,1] neg_hi:[0,0,1]
	v_mov_b32_e32 v111, v121
	v_pk_fma_f32 v[116:117], v[188:189], v[172:173], v[112:113] op_sel_hi:[1,0,1]
	v_pk_fma_f32 v[112:113], v[188:189], v[172:173], v[112:113] neg_lo:[0,0,1] neg_hi:[0,0,1]
	v_add_f32_e32 v5, v5, v59
	s_delay_alu instid0(VALU_DEP_1) | instskip(SKIP_1) | instid1(VALU_DEP_1)
	v_add_f32_e32 v115, v5, v61
	s_set_vgpr_msb 4                        ;  msbs: dst=0 src0=0 src1=1 src2=0
	v_pk_add_f32 v[114:115], v[114:115], v[12:13] /*v[268:269]*/
	s_delay_alu instid0(VALU_DEP_1) | instskip(SKIP_1) | instid1(VALU_DEP_1)
	v_pk_add_f32 v[114:115], v[114:115], v[14:15] /*v[270:271]*/
	s_set_vgpr_msb 0                        ;  msbs: dst=0 src0=0 src1=0 src2=0
	v_pk_add_f32 v[106:107], v[114:115], v[106:107]
	v_mov_b32_e32 v114, v177
	s_delay_alu instid0(VALU_DEP_2) | instskip(SKIP_2) | instid1(VALU_DEP_3)
	v_pk_add_f32 v[106:107], v[106:107], v[108:109]
	v_pk_fma_f32 v[108:109], v[194:195], v[174:175], v[118:119] op_sel_hi:[1,0,1]
	s_set_vgpr_msb 1                        ;  msbs: dst=0 src0=1 src1=0 src2=0
	v_pk_mul_f32 v[114:115], v[8:9] /*v[264:265]*/, v[114:115] op_sel_hi:[1,0]
	s_set_vgpr_msb 0                        ;  msbs: dst=0 src0=0 src1=0 src2=0
	v_mov_b32_e32 v113, v117
	v_pk_fma_f32 v[116:117], v[194:195], v[174:175], v[118:119] neg_lo:[0,0,1] neg_hi:[0,0,1]
	v_pk_add_f32 v[106:107], v[106:107], v[110:111]
	v_mov_b32_e32 v117, v109
	v_pk_fma_f32 v[108:109], v[196:197], v[176:177], v[114:115] op_sel_hi:[1,0,1]
	s_wait_loadcnt 0x1
	v_pk_mul_f32 v[110:111], v[198:199], v[178:179] op_sel:[1,1] op_sel_hi:[0,1]
	v_mov_b32_e32 v108, v181
	v_pk_add_f32 v[106:107], v[106:107], v[112:113]
	v_pk_fma_f32 v[114:115], v[196:197], v[176:177], v[114:115] neg_lo:[0,0,1] neg_hi:[0,0,1]
	v_mov_b32_e32 v115, v109
	v_pk_fma_f32 v[112:113], v[198:199], v[178:179], v[110:111] op_sel_hi:[1,0,1]
	s_set_vgpr_msb 1                        ;  msbs: dst=0 src0=1 src1=0 src2=0
	v_pk_mul_f32 v[108:109], v[10:11] /*v[266:267]*/, v[108:109] op_sel_hi:[1,0]
	s_set_vgpr_msb 0                        ;  msbs: dst=0 src0=0 src1=0 src2=0
	v_pk_add_f32 v[106:107], v[106:107], v[116:117]
	v_pk_fma_f32 v[110:111], v[198:199], v[178:179], v[110:111] neg_lo:[0,0,1] neg_hi:[0,0,1]
	v_mov_b32_e32 v111, v113
	v_pk_fma_f32 v[112:113], v[200:201], v[180:181], v[108:109] op_sel_hi:[1,0,1]
	s_delay_alu instid0(VALU_DEP_4) | instskip(SKIP_1) | instid1(VALU_DEP_3)
	v_pk_add_f32 v[106:107], v[106:107], v[114:115]
	v_pk_fma_f32 v[108:109], v[200:201], v[180:181], v[108:109] neg_lo:[0,0,1] neg_hi:[0,0,1]
	v_mov_b32_e32 v109, v113
	s_delay_alu instid0(VALU_DEP_3) | instskip(NEXT) | instid1(VALU_DEP_1)
	v_pk_add_f32 v[106:107], v[106:107], v[110:111]
	v_pk_add_f32 v[106:107], v[106:107], v[108:109]
	s_wait_loadcnt 0x0
	s_set_vgpr_msb 1                        ;  msbs: dst=0 src0=1 src1=0 src2=0
	s_delay_alu instid0(VALU_DEP_1)
	v_pk_add_f32 v[106:107], v[2:3] /*v[258:259]*/, v[106:107] neg_lo:[0,1] neg_hi:[0,1]
	scratch_store_b64 off, v[106:107], off offset:104
	s_wait_xcnt 0x0
	v_cmpx_lt_u32_e32 12, v0
	s_set_vgpr_msb 0                        ;  msbs: dst=0 src0=0 src1=0 src2=0
	s_cbranch_execz .LBB51_301
; %bb.300:
	scratch_load_b64 v[106:107], off, off offset:96
	v_mov_b64_e32 v[108:109], 0
	scratch_store_b64 off, v[108:109], off offset:96
	s_wait_loadcnt 0x0
	ds_store_b64 v1, v[106:107]
.LBB51_301:
	s_wait_xcnt 0x0
	s_or_b32 exec_lo, exec_lo, s0
	s_wait_storecnt_dscnt 0x0
	s_barrier_signal -1
	s_barrier_wait -1
	s_clause 0x15
	scratch_load_b128 v[106:109], off, off offset:104
	scratch_load_b128 v[110:113], off, off offset:120
	scratch_load_b128 v[114:117], off, off offset:136
	scratch_load_b128 v[118:121], off, off offset:152
	scratch_load_b128 v[122:125], off, off offset:168
	scratch_load_b128 v[126:129], off, off offset:184
	scratch_load_b128 v[130:133], off, off offset:200
	scratch_load_b128 v[134:137], off, off offset:216
	scratch_load_b128 v[138:141], off, off offset:232
	scratch_load_b128 v[142:145], off, off offset:248
	scratch_load_b128 v[146:149], off, off offset:264
	scratch_load_b128 v[150:153], off, off offset:280
	scratch_load_b128 v[154:157], off, off offset:296
	scratch_load_b128 v[158:161], off, off offset:312
	scratch_load_b128 v[162:165], off, off offset:328
	scratch_load_b128 v[166:169], off, off offset:344
	scratch_load_b128 v[170:173], off, off offset:360
	scratch_load_b128 v[174:177], off, off offset:376
	scratch_load_b128 v[178:181], off, off offset:392
	s_set_vgpr_msb 64                       ;  msbs: dst=1 src0=0 src1=0 src2=0
	scratch_load_b64 v[2:3] /*v[258:259]*/, off, off offset:408
	scratch_load_b64 v[4:5] /*v[260:261]*/, off, off offset:96
	s_set_vgpr_msb 0                        ;  msbs: dst=0 src0=0 src1=0 src2=0
	v_mov_b32_e32 v5, 0
	ds_load_2addr_b64 v[182:185], v5 offset0:95 offset1:96
	ds_load_2addr_b64 v[186:189], v5 offset0:93 offset1:94
	;; [unrolled: 1-line block ×19, first 2 shown]
	s_set_vgpr_msb 64                       ;  msbs: dst=1 src0=0 src1=0 src2=0
	ds_load_b64 v[6:7] /*v[262:263]*/, v5 offset:824
	s_wait_dscnt 0x13
	v_dual_mov_b32 v8 /*v264*/, v185 :: v_dual_mov_b32 v9 /*v265*/, v184
	s_wait_dscnt 0x11
	v_dual_mov_b32 v10 /*v266*/, v193 :: v_dual_mov_b32 v11 /*v267*/, v192
	;; [unrolled: 2-line block ×4, first 2 shown]
	s_mov_b32 s0, exec_lo
	s_wait_loadcnt 0x14
	s_set_vgpr_msb 0                        ;  msbs: dst=0 src0=0 src1=0 src2=0
	v_dual_mul_f32 v9, v198, v107 :: v_dual_mul_f32 v67, v199, v107
	s_wait_loadcnt 0x13
	v_mul_f32_e32 v73, v205, v113
	v_dual_mul_f32 v11, v200, v109 :: v_dual_mul_f32 v13, v202, v111
	s_wait_loadcnt_dscnt 0x120c
	v_dual_mul_f32 v75, v211, v115 :: v_dual_fma_f32 v67, v198, v106, -v67
	s_delay_alu instid0(VALU_DEP_2) | instskip(SKIP_1) | instid1(VALU_DEP_3)
	v_dual_fmac_f32 v9, v199, v106 :: v_dual_fmac_f32 v11, v201, v108
	v_dual_mul_f32 v71, v203, v111 :: v_dual_mul_f32 v77, v213, v117
	v_dual_mul_f32 v69, v201, v109 :: v_dual_add_f32 v67, 0, v67
	s_wait_loadcnt_dscnt 0x701
	s_set_vgpr_msb 1                        ;  msbs: dst=0 src0=1 src1=0 src2=0
	v_mul_f32_e32 v63, v0 /*v256*/, v161
	s_wait_loadcnt 0x6
	s_set_vgpr_msb 0                        ;  msbs: dst=0 src0=0 src1=0 src2=0
	v_dual_mul_f32 v65, v186, v163 :: v_dual_add_f32 v9, 0, v9
	v_fma_f32 v69, v200, v108, -v69
	v_dual_mul_f32 v15, v204, v113 :: v_dual_mul_f32 v17, v210, v115
	v_dual_mul_f32 v83, v219, v123 :: v_dual_fma_f32 v71, v202, v110, -v71
	s_delay_alu instid0(VALU_DEP_4) | instskip(NEXT) | instid1(VALU_DEP_3)
	v_dual_fmac_f32 v13, v203, v110 :: v_dual_add_f32 v9, v9, v11
	v_dual_add_f32 v11, v67, v69 :: v_dual_fmac_f32 v15, v205, v112
	v_dual_mul_f32 v67, v221, v125 :: v_dual_fma_f32 v69, v204, v112, -v73
	s_delay_alu instid0(VALU_DEP_2) | instskip(SKIP_2) | instid1(VALU_DEP_3)
	v_dual_add_f32 v9, v9, v13 :: v_dual_add_f32 v11, v11, v71
	v_dual_mul_f32 v19, v212, v117 :: v_dual_mul_f32 v21, v214, v119
	v_dual_mul_f32 v13, v223, v127 :: v_dual_fma_f32 v71, v210, v114, -v75
	v_dual_fmac_f32 v17, v211, v114 :: v_dual_add_f32 v9, v9, v15
	s_delay_alu instid0(VALU_DEP_3) | instskip(SKIP_2) | instid1(VALU_DEP_3)
	v_dual_add_f32 v11, v11, v69 :: v_dual_fmac_f32 v19, v213, v116
	v_dual_mul_f32 v79, v215, v119 :: v_dual_mul_f32 v81, v217, v121
	v_dual_mul_f32 v15, v225, v129 :: v_dual_fma_f32 v69, v212, v116, -v77
	v_dual_add_f32 v9, v9, v17 :: v_dual_add_f32 v11, v11, v71
	v_dual_mul_f32 v23, v216, v121 :: v_dual_mul_f32 v25, v218, v123
	s_delay_alu instid0(VALU_DEP_4) | instskip(NEXT) | instid1(VALU_DEP_3)
	v_dual_mul_f32 v17, v227, v131 :: v_dual_fma_f32 v71, v214, v118, -v79
	v_dual_fmac_f32 v21, v215, v118 :: v_dual_add_f32 v9, v9, v19
	s_delay_alu instid0(VALU_DEP_3) | instskip(SKIP_1) | instid1(VALU_DEP_2)
	v_dual_add_f32 v11, v11, v69 :: v_dual_fmac_f32 v23, v217, v120
	v_dual_mul_f32 v19, v229, v133 :: v_dual_fma_f32 v69, v216, v120, -v81
	v_dual_add_f32 v9, v9, v21 :: v_dual_add_f32 v11, v11, v71
	v_dual_mul_f32 v27, v220, v125 :: v_dual_mul_f32 v29, v222, v127
	v_dual_mul_f32 v21, v231, v135 :: v_dual_fma_f32 v71, v218, v122, -v83
	s_delay_alu instid0(VALU_DEP_3) | instskip(NEXT) | instid1(VALU_DEP_3)
	v_dual_fmac_f32 v25, v219, v122 :: v_dual_add_f32 v9, v9, v23
	v_dual_add_f32 v11, v11, v69 :: v_dual_fmac_f32 v27, v221, v124
	v_dual_mul_f32 v23, v233, v137 :: v_dual_fma_f32 v67, v220, v124, -v67
	s_delay_alu instid0(VALU_DEP_2) | instskip(SKIP_2) | instid1(VALU_DEP_3)
	v_dual_add_f32 v9, v9, v25 :: v_dual_add_f32 v11, v11, v71
	v_dual_mul_f32 v31, v224, v129 :: v_dual_mul_f32 v33, v226, v131
	v_dual_mul_f32 v25, v235, v139 :: v_dual_fma_f32 v13, v222, v126, -v13
	v_dual_fmac_f32 v29, v223, v126 :: v_dual_add_f32 v9, v9, v27
	s_delay_alu instid0(VALU_DEP_4) | instskip(NEXT) | instid1(VALU_DEP_4)
	v_dual_add_f32 v11, v11, v67 :: v_dual_mul_f32 v27, v237, v141
	v_fmac_f32_e32 v31, v225, v128
	s_delay_alu instid0(VALU_DEP_3) | instskip(NEXT) | instid1(VALU_DEP_3)
	v_dual_fma_f32 v15, v224, v128, -v15 :: v_dual_add_f32 v9, v9, v29
	v_add_f32_e32 v11, v11, v13
	v_dual_mul_f32 v35, v228, v133 :: v_dual_mul_f32 v37, v230, v135
	v_dual_mul_f32 v13, v239, v143 :: v_dual_fma_f32 v17, v226, v130, -v17
	s_delay_alu instid0(VALU_DEP_4) | instskip(NEXT) | instid1(VALU_DEP_4)
	v_dual_fmac_f32 v33, v227, v130 :: v_dual_add_f32 v9, v9, v31
	v_dual_add_f32 v11, v11, v15 :: v_dual_mul_f32 v15, v241, v145
	s_delay_alu instid0(VALU_DEP_4) | instskip(NEXT) | instid1(VALU_DEP_3)
	v_fmac_f32_e32 v35, v229, v132
	v_dual_fma_f32 v19, v228, v132, -v19 :: v_dual_add_f32 v9, v9, v33
	s_delay_alu instid0(VALU_DEP_3) | instskip(SKIP_2) | instid1(VALU_DEP_4)
	v_add_f32_e32 v11, v11, v17
	v_dual_mul_f32 v39, v232, v137 :: v_dual_mul_f32 v41, v234, v139
	v_dual_mul_f32 v17, v243, v147 :: v_dual_fma_f32 v21, v230, v134, -v21
	v_dual_fmac_f32 v37, v231, v134 :: v_dual_add_f32 v9, v9, v35
	s_delay_alu instid0(VALU_DEP_4) | instskip(NEXT) | instid1(VALU_DEP_4)
	v_dual_add_f32 v11, v11, v19 :: v_dual_mul_f32 v19, v245, v149
	v_fmac_f32_e32 v39, v233, v136
	s_delay_alu instid0(VALU_DEP_3) | instskip(NEXT) | instid1(VALU_DEP_3)
	v_dual_fma_f32 v23, v232, v136, -v23 :: v_dual_add_f32 v9, v9, v37
	v_add_f32_e32 v11, v11, v21
	v_dual_mul_f32 v43, v236, v141 :: v_dual_mul_f32 v45, v238, v143
	v_dual_mul_f32 v21, v247, v151 :: v_dual_fma_f32 v25, v234, v138, -v25
	s_delay_alu instid0(VALU_DEP_4) | instskip(NEXT) | instid1(VALU_DEP_4)
	v_dual_fmac_f32 v41, v235, v138 :: v_dual_add_f32 v9, v9, v39
	v_dual_add_f32 v11, v11, v23 :: v_dual_mul_f32 v23, v249, v153
	s_delay_alu instid0(VALU_DEP_4) | instskip(NEXT) | instid1(VALU_DEP_3)
	v_fmac_f32_e32 v43, v237, v140
	v_dual_fma_f32 v27, v236, v140, -v27 :: v_dual_add_f32 v9, v9, v41
	s_delay_alu instid0(VALU_DEP_3) | instskip(SKIP_2) | instid1(VALU_DEP_4)
	v_add_f32_e32 v11, v11, v25
	v_dual_mul_f32 v47, v240, v145 :: v_dual_mul_f32 v49, v242, v147
	v_dual_mul_f32 v25, v251, v155 :: v_dual_fma_f32 v13, v238, v142, -v13
	v_dual_fmac_f32 v45, v239, v142 :: v_dual_add_f32 v9, v9, v43
	s_delay_alu instid0(VALU_DEP_4) | instskip(NEXT) | instid1(VALU_DEP_4)
	v_dual_add_f32 v11, v11, v27 :: v_dual_mul_f32 v27, v253, v157
	v_fmac_f32_e32 v47, v241, v144
	s_delay_alu instid0(VALU_DEP_3) | instskip(NEXT) | instid1(VALU_DEP_3)
	v_dual_fma_f32 v15, v240, v144, -v15 :: v_dual_add_f32 v9, v9, v45
	v_add_f32_e32 v11, v11, v13
	v_dual_mul_f32 v51, v244, v149 :: v_dual_mul_f32 v53, v246, v151
	v_dual_mul_f32 v13, v255, v159 :: v_dual_fma_f32 v17, v242, v146, -v17
	s_delay_alu instid0(VALU_DEP_4) | instskip(NEXT) | instid1(VALU_DEP_3)
	v_dual_fmac_f32 v49, v243, v146 :: v_dual_add_f32 v9, v9, v47
	v_dual_add_f32 v11, v11, v15 :: v_dual_fmac_f32 v51, v245, v148
	v_fma_f32 v19, v244, v148, -v19
	v_dual_mul_f32 v55, v248, v153 :: v_dual_mul_f32 v57, v250, v155
	s_delay_alu instid0(VALU_DEP_4) | instskip(NEXT) | instid1(VALU_DEP_4)
	v_add_f32_e32 v9, v9, v49
	v_dual_add_f32 v11, v11, v17 :: v_dual_fma_f32 v21, v246, v150, -v21
	s_delay_alu instid0(VALU_DEP_3) | instskip(NEXT) | instid1(VALU_DEP_3)
	v_dual_fmac_f32 v53, v247, v150 :: v_dual_fmac_f32 v55, v249, v152
	v_add_f32_e32 v9, v9, v51
	s_delay_alu instid0(VALU_DEP_3) | instskip(SKIP_1) | instid1(VALU_DEP_3)
	v_dual_add_f32 v11, v11, v19 :: v_dual_fma_f32 v23, v248, v152, -v23
	v_dual_mul_f32 v59, v252, v157 :: v_dual_mul_f32 v61, v254, v159
	v_add_f32_e32 v9, v9, v53
	s_delay_alu instid0(VALU_DEP_3) | instskip(NEXT) | instid1(VALU_DEP_3)
	v_dual_add_f32 v11, v11, v21 :: v_dual_fma_f32 v25, v250, v154, -v25
	v_dual_fmac_f32 v57, v251, v154 :: v_dual_fmac_f32 v59, v253, v156
	s_delay_alu instid0(VALU_DEP_3) | instskip(NEXT) | instid1(VALU_DEP_3)
	v_add_f32_e32 v9, v9, v55
	v_dual_add_f32 v11, v11, v23 :: v_dual_fma_f32 v23, v252, v156, -v27
	s_set_vgpr_msb 1                        ;  msbs: dst=0 src0=1 src1=0 src2=0
	v_dual_mul_f32 v15, v1 /*v257*/, v161 :: v_dual_fmac_f32 v63, v1 /*v257*/, v160
	s_set_vgpr_msb 0                        ;  msbs: dst=0 src0=0 src1=0 src2=0
	v_add_f32_e32 v9, v9, v57
	v_dual_add_f32 v11, v11, v25 :: v_dual_fma_f32 v13, v254, v158, -v13
	v_fmac_f32_e32 v61, v255, v158
	v_dual_mul_f32 v17, v187, v163 :: v_dual_mul_f32 v19, v189, v165
	s_delay_alu instid0(VALU_DEP_4)
	v_add_f32_e32 v9, v9, v59
	s_wait_loadcnt 0x4
	v_dual_add_f32 v11, v11, v23 :: v_dual_mov_b32 v110, v173
	s_set_vgpr_msb 1                        ;  msbs: dst=0 src0=1 src1=0 src2=0
	v_fma_f32 v15, v0 /*v256*/, v160, -v15
	s_set_vgpr_msb 64                       ;  msbs: dst=1 src0=0 src1=0 src2=0
	v_dual_mul_f32 v17 /*v273*/, v188, v165 :: v_dual_mul_f32 v19 /*v275*/, v182, v167
	s_set_vgpr_msb 0                        ;  msbs: dst=0 src0=0 src1=0 src2=0
	v_dual_add_f32 v9, v9, v61 :: v_dual_fmac_f32 v65, v187, v162
	v_dual_add_f32 v11, v11, v13 :: v_dual_fma_f32 v13, v186, v162, -v17
	v_dual_mul_f32 v21, v183, v167 :: v_dual_mov_b32 v106, v169
	s_set_vgpr_msb 64                       ;  msbs: dst=1 src0=0 src1=0 src2=0
	v_dual_fmac_f32 v17 /*v273*/, v189, v164 :: v_dual_fmac_f32 v19 /*v275*/, v183, v166
	s_set_vgpr_msb 0                        ;  msbs: dst=0 src0=0 src1=0 src2=0
	v_add_f32_e32 v11, v11, v15
	v_add_f32_e32 v9, v9, v63
	s_set_vgpr_msb 64                       ;  msbs: dst=1 src0=0 src1=0 src2=0
	v_dual_fma_f32 v16 /*v272*/, v188, v164, -v19 :: v_dual_fma_f32 v18 /*v274*/, v182, v166, -v21
	s_set_vgpr_msb 1                        ;  msbs: dst=0 src0=1 src1=0 src2=0
	v_pk_mul_f32 v[106:107], v[8:9] /*v[264:265]*/, v[106:107] op_sel_hi:[1,0]
	s_set_vgpr_msb 0                        ;  msbs: dst=0 src0=0 src1=0 src2=0
	v_add_f32_e32 v114, v11, v13
	v_add_f32_e32 v115, v9, v65
	v_pk_mul_f32 v[108:109], v[190:191], v[170:171] op_sel:[1,1] op_sel_hi:[0,1]
	s_set_vgpr_msb 1                        ;  msbs: dst=0 src0=1 src1=0 src2=0
	v_pk_mul_f32 v[110:111], v[10:11] /*v[266:267]*/, v[110:111] op_sel_hi:[1,0]
	s_set_vgpr_msb 0                        ;  msbs: dst=0 src0=0 src1=0 src2=0
	v_pk_fma_f32 v[118:119], v[184:185], v[168:169], v[106:107] op_sel_hi:[1,0,1]
	v_pk_fma_f32 v[106:107], v[184:185], v[168:169], v[106:107] neg_lo:[0,0,1] neg_hi:[0,0,1]
	s_set_vgpr_msb 4                        ;  msbs: dst=0 src0=0 src1=1 src2=0
	v_pk_add_f32 v[114:115], v[114:115], v[16:17] /*v[272:273]*/
	s_wait_loadcnt 0x3
	v_mov_b32_e32 v116, v177
	s_set_vgpr_msb 0                        ;  msbs: dst=0 src0=0 src1=0 src2=0
	v_pk_fma_f32 v[120:121], v[190:191], v[170:171], v[108:109] op_sel_hi:[1,0,1]
	v_mov_b32_e32 v107, v119
	v_pk_fma_f32 v[108:109], v[190:191], v[170:171], v[108:109] neg_lo:[0,0,1] neg_hi:[0,0,1]
	s_set_vgpr_msb 4                        ;  msbs: dst=0 src0=0 src1=1 src2=0
	v_pk_add_f32 v[114:115], v[114:115], v[18:19] /*v[274:275]*/
	s_set_vgpr_msb 0                        ;  msbs: dst=0 src0=0 src1=0 src2=0
	v_pk_mul_f32 v[112:113], v[194:195], v[174:175] op_sel:[1,1] op_sel_hi:[0,1]
	v_mov_b32_e32 v109, v121
	v_pk_fma_f32 v[120:121], v[192:193], v[172:173], v[110:111] op_sel_hi:[1,0,1]
	v_pk_fma_f32 v[110:111], v[192:193], v[172:173], v[110:111] neg_lo:[0,0,1] neg_hi:[0,0,1]
	v_pk_add_f32 v[106:107], v[114:115], v[106:107]
	v_pk_fma_f32 v[114:115], v[194:195], v[174:175], v[112:113] op_sel_hi:[1,0,1]
	s_set_vgpr_msb 1                        ;  msbs: dst=0 src0=1 src1=0 src2=0
	v_pk_mul_f32 v[116:117], v[12:13] /*v[268:269]*/, v[116:117] op_sel_hi:[1,0]
	s_set_vgpr_msb 0                        ;  msbs: dst=0 src0=0 src1=0 src2=0
	v_mov_b32_e32 v111, v121
	v_pk_fma_f32 v[112:113], v[194:195], v[174:175], v[112:113] neg_lo:[0,0,1] neg_hi:[0,0,1]
	v_pk_add_f32 v[106:107], v[106:107], v[108:109]
	s_wait_loadcnt 0x2
	v_pk_mul_f32 v[118:119], v[206:207], v[178:179] op_sel:[1,1] op_sel_hi:[0,1]
	v_dual_mov_b32 v108, v181 :: v_dual_mov_b32 v113, v115
	v_pk_fma_f32 v[114:115], v[196:197], v[176:177], v[116:117] op_sel_hi:[1,0,1]
	v_pk_add_f32 v[106:107], v[106:107], v[110:111]
	v_pk_fma_f32 v[116:117], v[196:197], v[176:177], v[116:117] neg_lo:[0,0,1] neg_hi:[0,0,1]
	v_pk_fma_f32 v[110:111], v[206:207], v[178:179], v[118:119] op_sel_hi:[1,0,1]
	s_set_vgpr_msb 1                        ;  msbs: dst=0 src0=1 src1=0 src2=0
	v_pk_mul_f32 v[108:109], v[14:15] /*v[270:271]*/, v[108:109] op_sel_hi:[1,0]
	s_set_vgpr_msb 0                        ;  msbs: dst=0 src0=0 src1=0 src2=0
	v_mov_b32_e32 v117, v115
	v_pk_add_f32 v[106:107], v[106:107], v[112:113]
	v_pk_fma_f32 v[112:113], v[206:207], v[178:179], v[118:119] neg_lo:[0,0,1] neg_hi:[0,0,1]
	v_mov_b32_e32 v113, v111
	v_pk_fma_f32 v[110:111], v[208:209], v[180:181], v[108:109] op_sel_hi:[1,0,1]
	s_wait_loadcnt_dscnt 0x100
	s_set_vgpr_msb 5                        ;  msbs: dst=0 src0=1 src1=1 src2=0
	v_pk_mul_f32 v[114:115], v[6:7] /*v[262:263]*/, v[2:3] /*v[258:259]*/ op_sel:[1,1] op_sel_hi:[0,1]
	s_set_vgpr_msb 0                        ;  msbs: dst=0 src0=0 src1=0 src2=0
	v_pk_add_f32 v[106:107], v[106:107], v[116:117]
	v_pk_fma_f32 v[108:109], v[208:209], v[180:181], v[108:109] neg_lo:[0,0,1] neg_hi:[0,0,1]
	v_mov_b32_e32 v109, v111
	s_set_vgpr_msb 5                        ;  msbs: dst=0 src0=1 src1=1 src2=0
	v_pk_fma_f32 v[110:111], v[6:7] /*v[262:263]*/, v[2:3] /*v[258:259]*/, v[114:115] op_sel_hi:[1,0,1]
	s_set_vgpr_msb 0                        ;  msbs: dst=0 src0=0 src1=0 src2=0
	v_pk_add_f32 v[106:107], v[106:107], v[112:113]
	s_set_vgpr_msb 5                        ;  msbs: dst=0 src0=1 src1=1 src2=0
	v_pk_fma_f32 v[112:113], v[6:7] /*v[262:263]*/, v[2:3] /*v[258:259]*/, v[114:115] neg_lo:[0,0,1] neg_hi:[0,0,1]
	s_set_vgpr_msb 0                        ;  msbs: dst=0 src0=0 src1=0 src2=0
	v_mov_b32_e32 v113, v111
	v_pk_add_f32 v[106:107], v[106:107], v[108:109]
	s_delay_alu instid0(VALU_DEP_1) | instskip(SKIP_2) | instid1(VALU_DEP_1)
	v_pk_add_f32 v[106:107], v[106:107], v[112:113]
	s_wait_loadcnt 0x0
	s_set_vgpr_msb 1                        ;  msbs: dst=0 src0=1 src1=0 src2=0
	v_pk_add_f32 v[106:107], v[4:5] /*v[260:261]*/, v[106:107] neg_lo:[0,1] neg_hi:[0,1]
	scratch_store_b64 off, v[106:107], off offset:96
	s_wait_xcnt 0x0
	v_cmpx_lt_u32_e32 11, v0
	s_set_vgpr_msb 0                        ;  msbs: dst=0 src0=0 src1=0 src2=0
	s_cbranch_execz .LBB51_303
; %bb.302:
	scratch_load_b64 v[106:107], off, off offset:88
	v_mov_b64_e32 v[108:109], 0
	scratch_store_b64 off, v[108:109], off offset:88
	s_wait_loadcnt 0x0
	ds_store_b64 v1, v[106:107]
.LBB51_303:
	s_wait_xcnt 0x0
	s_or_b32 exec_lo, exec_lo, s0
	s_wait_storecnt_dscnt 0x0
	s_barrier_signal -1
	s_barrier_wait -1
	ds_load_b128 v[106:109], v5 offset:512
	ds_load_b128 v[110:113], v5 offset:528
	;; [unrolled: 1-line block ×4, first 2 shown]
	s_clause 0xf
	scratch_load_b128 v[122:125], off, off offset:96
	scratch_load_b128 v[126:129], off, off offset:112
	;; [unrolled: 1-line block ×16, first 2 shown]
	ds_load_b128 v[218:221], v5 offset:736
	ds_load_b128 v[226:229], v5 offset:752
	;; [unrolled: 1-line block ×12, first 2 shown]
	s_clause 0x3
	scratch_load_b128 v[234:237], off, off offset:352
	scratch_load_b128 v[238:241], off, off offset:368
	;; [unrolled: 1-line block ×4, first 2 shown]
	s_mov_b32 s0, exec_lo
	s_wait_loadcnt_dscnt 0x130f
	v_dual_mul_f32 v9, v106, v123 :: v_dual_mul_f32 v11, v108, v125
	s_delay_alu instid0(VALU_DEP_1) | instskip(SKIP_2) | instid1(VALU_DEP_1)
	v_dual_fmac_f32 v9, v107, v122 :: v_dual_fmac_f32 v11, v109, v124
	s_wait_loadcnt_dscnt 0xe0a
	v_dual_mul_f32 v253, v226, v231 :: v_dual_mul_f32 v255, v228, v233
	v_dual_add_f32 v9, 0, v9 :: v_dual_fmac_f32 v253, v227, v230
	s_delay_alu instid0(VALU_DEP_2) | instskip(NEXT) | instid1(VALU_DEP_2)
	v_fmac_f32_e32 v255, v229, v232
	v_add_f32_e32 v9, v9, v11
	v_mul_f32_e32 v11, v110, v127
	s_delay_alu instid0(VALU_DEP_1) | instskip(NEXT) | instid1(VALU_DEP_1)
	v_fmac_f32_e32 v11, v111, v126
	v_dual_add_f32 v9, v9, v11 :: v_dual_mul_f32 v11, v112, v129
	s_delay_alu instid0(VALU_DEP_1) | instskip(NEXT) | instid1(VALU_DEP_1)
	v_fmac_f32_e32 v11, v113, v128
	v_add_f32_e32 v9, v9, v11
	v_mul_f32_e32 v11, v114, v131
	s_delay_alu instid0(VALU_DEP_1) | instskip(NEXT) | instid1(VALU_DEP_1)
	v_fmac_f32_e32 v11, v115, v130
	v_dual_add_f32 v9, v9, v11 :: v_dual_mul_f32 v11, v116, v133
	s_delay_alu instid0(VALU_DEP_1) | instskip(NEXT) | instid1(VALU_DEP_1)
	;; [unrolled: 7-line block ×3, first 2 shown]
	v_fmac_f32_e32 v11, v121, v136
	v_add_f32_e32 v9, v9, v11
	s_wait_loadcnt_dscnt 0xd09
	v_mul_f32_e32 v11, v138, v143
	s_delay_alu instid0(VALU_DEP_1) | instskip(NEXT) | instid1(VALU_DEP_1)
	v_fmac_f32_e32 v11, v139, v142
	v_dual_add_f32 v9, v9, v11 :: v_dual_mul_f32 v11, v140, v145
	s_delay_alu instid0(VALU_DEP_1) | instskip(NEXT) | instid1(VALU_DEP_1)
	v_fmac_f32_e32 v11, v141, v144
	v_add_f32_e32 v9, v9, v11
	s_wait_loadcnt_dscnt 0xc08
	v_mul_f32_e32 v11, v146, v151
	s_delay_alu instid0(VALU_DEP_1) | instskip(NEXT) | instid1(VALU_DEP_1)
	v_fmac_f32_e32 v11, v147, v150
	v_dual_add_f32 v9, v9, v11 :: v_dual_mul_f32 v11, v148, v153
	s_delay_alu instid0(VALU_DEP_1) | instskip(NEXT) | instid1(VALU_DEP_1)
	;; [unrolled: 8-line block ×10, first 2 shown]
	v_fmac_f32_e32 v11, v213, v216
	v_add_f32_e32 v9, v9, v11
	v_mul_f32_e32 v11, v218, v223
	s_delay_alu instid0(VALU_DEP_1) | instskip(NEXT) | instid1(VALU_DEP_1)
	v_fmac_f32_e32 v11, v219, v222
	v_dual_add_f32 v9, v9, v11 :: v_dual_mul_f32 v11, v220, v225
	s_delay_alu instid0(VALU_DEP_1) | instskip(NEXT) | instid1(VALU_DEP_1)
	v_fmac_f32_e32 v11, v221, v224
	v_add_f32_e32 v251, v9, v11
	v_dual_mul_f32 v9, v107, v123 :: v_dual_mul_f32 v11, v109, v125
	s_delay_alu instid0(VALU_DEP_1) | instskip(NEXT) | instid1(VALU_DEP_1)
	v_dual_fma_f32 v9, v106, v122, -v9 :: v_dual_fma_f32 v11, v108, v124, -v11
	v_add_f32_e32 v9, 0, v9
	s_delay_alu instid0(VALU_DEP_1) | instskip(SKIP_1) | instid1(VALU_DEP_1)
	v_add_f32_e32 v9, v9, v11
	v_mul_f32_e32 v11, v111, v127
	v_fma_f32 v11, v110, v126, -v11
	s_delay_alu instid0(VALU_DEP_1) | instskip(SKIP_1) | instid1(VALU_DEP_1)
	v_add_f32_e32 v9, v9, v11
	v_mul_f32_e32 v11, v113, v129
	v_fma_f32 v11, v112, v128, -v11
	;; [unrolled: 4-line block ×6, first 2 shown]
	ds_load_b128 v[106:109], v5 offset:768
	ds_load_b128 v[110:113], v5 offset:784
	;; [unrolled: 1-line block ×4, first 2 shown]
	v_add_f32_e32 v9, v9, v11
	v_mul_f32_e32 v11, v139, v143
	s_delay_alu instid0(VALU_DEP_1) | instskip(NEXT) | instid1(VALU_DEP_1)
	v_fma_f32 v11, v138, v142, -v11
	v_add_f32_e32 v9, v9, v11
	v_mul_f32_e32 v11, v141, v145
	s_wait_loadcnt_dscnt 0x303
	v_pk_mul_f32 v[124:125], v[106:107], v[234:235] op_sel:[1,1] op_sel_hi:[0,1]
	s_delay_alu instid0(VALU_DEP_2) | instskip(NEXT) | instid1(VALU_DEP_2)
	v_fma_f32 v11, v140, v144, -v11
	v_pk_fma_f32 v[126:127], v[106:107], v[234:235], v[124:125] neg_lo:[0,0,1] neg_hi:[0,0,1]
	v_pk_fma_f32 v[106:107], v[106:107], v[234:235], v[124:125] op_sel_hi:[1,0,1]
	v_mov_b32_e32 v124, v237
	s_delay_alu instid0(VALU_DEP_4) | instskip(SKIP_1) | instid1(VALU_DEP_1)
	v_add_f32_e32 v9, v9, v11
	v_mul_f32_e32 v11, v147, v151
	v_dual_mov_b32 v127, v107 :: v_dual_fma_f32 v11, v146, v150, -v11
	s_delay_alu instid0(VALU_DEP_1) | instskip(SKIP_1) | instid1(VALU_DEP_1)
	v_add_f32_e32 v9, v9, v11
	v_mul_f32_e32 v11, v149, v153
	v_fma_f32 v11, v148, v152, -v11
	s_delay_alu instid0(VALU_DEP_1) | instskip(SKIP_1) | instid1(VALU_DEP_1)
	v_add_f32_e32 v9, v9, v11
	v_mul_f32_e32 v11, v155, v159
	v_fma_f32 v11, v154, v158, -v11
	;; [unrolled: 4-line block ×19, first 2 shown]
	s_delay_alu instid0(VALU_DEP_1) | instskip(SKIP_1) | instid1(VALU_DEP_1)
	v_add_f32_e32 v250, v9, v11
	v_mul_f32_e32 v9, v227, v231
	v_dual_fma_f32 v252, v226, v230, -v9 :: v_dual_mul_f32 v9, v229, v233
	s_delay_alu instid0(VALU_DEP_1) | instskip(NEXT) | instid1(VALU_DEP_2)
	v_pk_add_f32 v[122:123], v[250:251], v[252:253]
	v_fma_f32 v254, v228, v232, -v9
	s_delay_alu instid0(VALU_DEP_1) | instskip(NEXT) | instid1(VALU_DEP_1)
	v_pk_add_f32 v[122:123], v[122:123], v[254:255]
	v_pk_add_f32 v[106:107], v[122:123], v[126:127]
	v_dual_mov_b32 v122, v109 :: v_dual_mov_b32 v123, v108
	s_delay_alu instid0(VALU_DEP_1) | instskip(NEXT) | instid1(VALU_DEP_1)
	v_pk_mul_f32 v[122:123], v[122:123], v[124:125] op_sel_hi:[1,0]
	v_pk_fma_f32 v[124:125], v[108:109], v[236:237], v[122:123] neg_lo:[0,0,1] neg_hi:[0,0,1]
	v_pk_fma_f32 v[108:109], v[108:109], v[236:237], v[122:123] op_sel_hi:[1,0,1]
	s_delay_alu instid0(VALU_DEP_1) | instskip(SKIP_2) | instid1(VALU_DEP_2)
	v_mov_b32_e32 v125, v109
	s_wait_loadcnt_dscnt 0x202
	v_pk_mul_f32 v[108:109], v[110:111], v[238:239] op_sel:[1,1] op_sel_hi:[0,1]
	v_pk_add_f32 v[106:107], v[106:107], v[124:125]
	s_delay_alu instid0(VALU_DEP_2) | instskip(SKIP_2) | instid1(VALU_DEP_2)
	v_pk_fma_f32 v[122:123], v[110:111], v[238:239], v[108:109] neg_lo:[0,0,1] neg_hi:[0,0,1]
	v_pk_fma_f32 v[108:109], v[110:111], v[238:239], v[108:109] op_sel_hi:[1,0,1]
	v_dual_mov_b32 v108, v113 :: v_dual_mov_b32 v110, v241
	v_dual_mov_b32 v123, v109 :: v_dual_mov_b32 v109, v112
	s_delay_alu instid0(VALU_DEP_1) | instskip(NEXT) | instid1(VALU_DEP_2)
	v_pk_add_f32 v[106:107], v[106:107], v[122:123]
	v_pk_mul_f32 v[108:109], v[108:109], v[110:111] op_sel_hi:[1,0]
	s_delay_alu instid0(VALU_DEP_1) | instskip(SKIP_1) | instid1(VALU_DEP_1)
	v_pk_fma_f32 v[110:111], v[112:113], v[240:241], v[108:109] neg_lo:[0,0,1] neg_hi:[0,0,1]
	v_pk_fma_f32 v[108:109], v[112:113], v[240:241], v[108:109] op_sel_hi:[1,0,1]
	v_mov_b32_e32 v111, v109
	s_wait_loadcnt_dscnt 0x101
	v_pk_mul_f32 v[108:109], v[114:115], v[242:243] op_sel:[1,1] op_sel_hi:[0,1]
	s_delay_alu instid0(VALU_DEP_2) | instskip(NEXT) | instid1(VALU_DEP_2)
	v_pk_add_f32 v[106:107], v[106:107], v[110:111]
	v_pk_fma_f32 v[110:111], v[114:115], v[242:243], v[108:109] neg_lo:[0,0,1] neg_hi:[0,0,1]
	v_pk_fma_f32 v[108:109], v[114:115], v[242:243], v[108:109] op_sel_hi:[1,0,1]
	s_delay_alu instid0(VALU_DEP_1) | instskip(SKIP_1) | instid1(VALU_DEP_2)
	v_dual_mov_b32 v108, v117 :: v_dual_mov_b32 v111, v109
	v_mov_b32_e32 v109, v116
	v_pk_add_f32 v[106:107], v[106:107], v[110:111]
	v_mov_b32_e32 v110, v245
	s_delay_alu instid0(VALU_DEP_1) | instskip(NEXT) | instid1(VALU_DEP_1)
	v_pk_mul_f32 v[108:109], v[108:109], v[110:111] op_sel_hi:[1,0]
	v_pk_fma_f32 v[110:111], v[116:117], v[244:245], v[108:109] neg_lo:[0,0,1] neg_hi:[0,0,1]
	v_pk_fma_f32 v[108:109], v[116:117], v[244:245], v[108:109] op_sel_hi:[1,0,1]
	s_delay_alu instid0(VALU_DEP_1) | instskip(SKIP_2) | instid1(VALU_DEP_2)
	v_mov_b32_e32 v111, v109
	s_wait_loadcnt_dscnt 0x0
	v_pk_mul_f32 v[108:109], v[118:119], v[246:247] op_sel:[1,1] op_sel_hi:[0,1]
	v_pk_add_f32 v[106:107], v[106:107], v[110:111]
	s_delay_alu instid0(VALU_DEP_2) | instskip(SKIP_1) | instid1(VALU_DEP_1)
	v_pk_fma_f32 v[110:111], v[118:119], v[246:247], v[108:109] neg_lo:[0,0,1] neg_hi:[0,0,1]
	v_pk_fma_f32 v[108:109], v[118:119], v[246:247], v[108:109] op_sel_hi:[1,0,1]
	v_dual_mov_b32 v108, v121 :: v_dual_mov_b32 v111, v109
	v_mov_b32_e32 v109, v120
	s_delay_alu instid0(VALU_DEP_2) | instskip(SKIP_1) | instid1(VALU_DEP_1)
	v_pk_add_f32 v[106:107], v[106:107], v[110:111]
	v_mov_b32_e32 v110, v249
	v_pk_mul_f32 v[108:109], v[108:109], v[110:111] op_sel_hi:[1,0]
	s_delay_alu instid0(VALU_DEP_1) | instskip(SKIP_1) | instid1(VALU_DEP_1)
	v_pk_fma_f32 v[110:111], v[120:121], v[248:249], v[108:109] neg_lo:[0,0,1] neg_hi:[0,0,1]
	v_pk_fma_f32 v[108:109], v[120:121], v[248:249], v[108:109] op_sel_hi:[1,0,1]
	v_mov_b32_e32 v111, v109
	scratch_load_b64 v[108:109], off, off offset:88
	v_pk_add_f32 v[106:107], v[106:107], v[110:111]
	s_wait_loadcnt 0x0
	s_delay_alu instid0(VALU_DEP_1)
	v_pk_add_f32 v[106:107], v[108:109], v[106:107] neg_lo:[0,1] neg_hi:[0,1]
	scratch_store_b64 off, v[106:107], off offset:88
	s_wait_xcnt 0x0
	v_cmpx_lt_u32_e32 10, v0
	s_cbranch_execz .LBB51_305
; %bb.304:
	scratch_load_b64 v[106:107], off, off offset:80
	v_mov_b64_e32 v[108:109], 0
	scratch_store_b64 off, v[108:109], off offset:80
	s_wait_loadcnt 0x0
	ds_store_b64 v1, v[106:107]
.LBB51_305:
	s_wait_xcnt 0x0
	s_or_b32 exec_lo, exec_lo, s0
	s_wait_storecnt_dscnt 0x0
	s_barrier_signal -1
	s_barrier_wait -1
	s_clause 0xf
	scratch_load_b128 v[110:113], off, off offset:88
	scratch_load_b128 v[118:121], off, off offset:104
	;; [unrolled: 1-line block ×16, first 2 shown]
	v_mov_b32_e32 v5, 0
	scratch_load_b128 v[238:241], off, off offset:344
	s_mov_b32 s0, exec_lo
	ds_load_2addr_b64 v[106:109], v5 offset0:63 offset1:64
	ds_load_2addr_b64 v[114:117], v5 offset0:65 offset1:66
	s_wait_loadcnt_dscnt 0x1001
	v_dual_mul_f32 v9, v106, v111 :: v_dual_mul_f32 v11, v108, v113
	ds_load_2addr_b64 v[122:125], v5 offset0:67 offset1:68
	ds_load_2addr_b64 v[130:133], v5 offset0:69 offset1:70
	;; [unrolled: 1-line block ×4, first 2 shown]
	v_dual_fmac_f32 v9, v107, v110 :: v_dual_fmac_f32 v11, v109, v112
	ds_load_2addr_b64 v[138:141], v5 offset0:71 offset1:72
	ds_load_2addr_b64 v[146:149], v5 offset0:73 offset1:74
	;; [unrolled: 1-line block ×3, first 2 shown]
	v_add_f32_e32 v9, 0, v9
	ds_load_2addr_b64 v[154:157], v5 offset0:75 offset1:76
	ds_load_2addr_b64 v[162:165], v5 offset0:77 offset1:78
	;; [unrolled: 1-line block ×4, first 2 shown]
	v_add_f32_e32 v9, v9, v11
	s_wait_loadcnt_dscnt 0xf0b
	v_mul_f32_e32 v11, v114, v119
	ds_load_2addr_b64 v[186:189], v5 offset0:83 offset1:84
	ds_load_2addr_b64 v[194:197], v5 offset0:85 offset1:86
	;; [unrolled: 1-line block ×4, first 2 shown]
	v_fmac_f32_e32 v11, v115, v118
	s_clause 0x4
	scratch_load_b128 v[242:245], off, off offset:360
	scratch_load_b128 v[246:249], off, off offset:376
	;; [unrolled: 1-line block ×3, first 2 shown]
	s_set_vgpr_msb 64                       ;  msbs: dst=1 src0=0 src1=0 src2=0
	scratch_load_b64 v[4:5] /*v[260:261]*/, off, off offset:408
	s_wait_loadcnt_dscnt 0x50b
	v_mul_f32_e32 v1 /*v257*/, v228, v233
	s_set_vgpr_msb 0                        ;  msbs: dst=0 src0=0 src1=0 src2=0
	v_dual_add_f32 v9, v9, v11 :: v_dual_mul_f32 v11, v116, v121
	s_wait_loadcnt_dscnt 0x408
	s_set_vgpr_msb 64                       ;  msbs: dst=1 src0=0 src1=0 src2=0
	v_dual_mul_f32 v3 /*v259*/, v234, v239 :: v_dual_fmac_f32 v1 /*v257*/, v229, v232
	s_set_vgpr_msb 0                        ;  msbs: dst=0 src0=0 src1=0 src2=0
	v_fmac_f32_e32 v11, v117, v120
	s_set_vgpr_msb 64                       ;  msbs: dst=1 src0=0 src1=0 src2=0
	s_delay_alu instid0(VALU_DEP_2) | instskip(SKIP_1) | instid1(VALU_DEP_2)
	v_fmac_f32_e32 v3 /*v259*/, v235, v238
	s_set_vgpr_msb 0                        ;  msbs: dst=0 src0=0 src1=0 src2=0
	v_add_f32_e32 v9, v9, v11
	v_mul_f32_e32 v11, v122, v127
	s_delay_alu instid0(VALU_DEP_1) | instskip(NEXT) | instid1(VALU_DEP_1)
	v_fmac_f32_e32 v11, v123, v126
	v_dual_add_f32 v9, v9, v11 :: v_dual_mul_f32 v11, v124, v129
	s_delay_alu instid0(VALU_DEP_1) | instskip(NEXT) | instid1(VALU_DEP_1)
	v_fmac_f32_e32 v11, v125, v128
	v_add_f32_e32 v9, v9, v11
	v_mul_f32_e32 v11, v130, v135
	s_delay_alu instid0(VALU_DEP_1) | instskip(NEXT) | instid1(VALU_DEP_1)
	v_fmac_f32_e32 v11, v131, v134
	v_dual_add_f32 v9, v9, v11 :: v_dual_mul_f32 v11, v132, v137
	s_delay_alu instid0(VALU_DEP_1) | instskip(NEXT) | instid1(VALU_DEP_1)
	v_fmac_f32_e32 v11, v133, v136
	;; [unrolled: 7-line block ×4, first 2 shown]
	v_add_f32_e32 v9, v9, v11
	s_wait_dscnt 0x7
	v_mul_f32_e32 v11, v154, v159
	s_delay_alu instid0(VALU_DEP_1) | instskip(NEXT) | instid1(VALU_DEP_1)
	v_fmac_f32_e32 v11, v155, v158
	v_dual_add_f32 v9, v9, v11 :: v_dual_mul_f32 v11, v156, v161
	s_delay_alu instid0(VALU_DEP_1) | instskip(NEXT) | instid1(VALU_DEP_1)
	v_fmac_f32_e32 v11, v157, v160
	v_add_f32_e32 v9, v9, v11
	s_wait_dscnt 0x6
	v_mul_f32_e32 v11, v162, v167
	s_delay_alu instid0(VALU_DEP_1) | instskip(NEXT) | instid1(VALU_DEP_1)
	v_fmac_f32_e32 v11, v163, v166
	v_dual_add_f32 v9, v9, v11 :: v_dual_mul_f32 v11, v164, v169
	s_delay_alu instid0(VALU_DEP_1) | instskip(NEXT) | instid1(VALU_DEP_1)
	v_fmac_f32_e32 v11, v165, v168
	;; [unrolled: 8-line block ×8, first 2 shown]
	v_add_f32_e32 v9, v9, v11
	v_mul_f32_e32 v11, v218, v223
	s_delay_alu instid0(VALU_DEP_1) | instskip(NEXT) | instid1(VALU_DEP_1)
	v_fmac_f32_e32 v11, v219, v222
	v_dual_add_f32 v9, v9, v11 :: v_dual_mul_f32 v11, v220, v225
	s_delay_alu instid0(VALU_DEP_1) | instskip(NEXT) | instid1(VALU_DEP_1)
	v_fmac_f32_e32 v11, v221, v224
	v_add_f32_e32 v9, v9, v11
	v_mul_f32_e32 v11, v226, v231
	s_delay_alu instid0(VALU_DEP_1) | instskip(NEXT) | instid1(VALU_DEP_1)
	v_fmac_f32_e32 v11, v227, v230
	v_add_f32_e32 v255, v9, v11
	v_dual_mul_f32 v9, v107, v111 :: v_dual_mul_f32 v11, v109, v113
	s_delay_alu instid0(VALU_DEP_1) | instskip(NEXT) | instid1(VALU_DEP_1)
	v_dual_fma_f32 v9, v106, v110, -v9 :: v_dual_fma_f32 v11, v108, v112, -v11
	v_add_f32_e32 v9, 0, v9
	s_delay_alu instid0(VALU_DEP_1) | instskip(SKIP_1) | instid1(VALU_DEP_1)
	v_add_f32_e32 v9, v9, v11
	v_mul_f32_e32 v11, v115, v119
	v_fma_f32 v11, v114, v118, -v11
	s_delay_alu instid0(VALU_DEP_1) | instskip(SKIP_1) | instid1(VALU_DEP_1)
	v_add_f32_e32 v9, v9, v11
	v_mul_f32_e32 v11, v117, v121
	v_fma_f32 v11, v116, v120, -v11
	ds_load_2addr_b64 v[106:109], v5 offset0:97 offset1:98
	ds_load_2addr_b64 v[110:113], v5 offset0:99 offset1:100
	ds_load_2addr_b64 v[114:117], v5 offset0:101 offset1:102
	ds_load_b64 v[118:119], v5 offset:824
	v_add_f32_e32 v9, v9, v11
	v_dual_mul_f32 v11, v123, v127 :: v_dual_mov_b32 v123, v236
	s_delay_alu instid0(VALU_DEP_1) | instskip(NEXT) | instid1(VALU_DEP_1)
	v_dual_fma_f32 v11, v122, v126, -v11 :: v_dual_mov_b32 v122, v237
	v_add_f32_e32 v9, v9, v11
	v_mul_f32_e32 v11, v125, v129
	s_delay_alu instid0(VALU_DEP_1) | instskip(NEXT) | instid1(VALU_DEP_1)
	v_dual_fma_f32 v11, v124, v128, -v11 :: v_dual_mov_b32 v124, v241
	v_add_f32_e32 v9, v9, v11
	v_mul_f32_e32 v11, v131, v135
	s_delay_alu instid0(VALU_DEP_3) | instskip(NEXT) | instid1(VALU_DEP_2)
	v_pk_mul_f32 v[122:123], v[122:123], v[124:125] op_sel_hi:[1,0]
	v_fma_f32 v11, v130, v134, -v11
	s_delay_alu instid0(VALU_DEP_2) | instskip(SKIP_1) | instid1(VALU_DEP_3)
	v_pk_fma_f32 v[124:125], v[236:237], v[240:241], v[122:123] neg_lo:[0,0,1] neg_hi:[0,0,1]
	v_pk_fma_f32 v[122:123], v[236:237], v[240:241], v[122:123] op_sel_hi:[1,0,1]
	v_add_f32_e32 v9, v9, v11
	s_delay_alu instid0(VALU_DEP_2) | instskip(SKIP_2) | instid1(VALU_DEP_2)
	v_dual_mul_f32 v11, v133, v137 :: v_dual_mov_b32 v125, v123
	s_wait_loadcnt_dscnt 0x303
	v_pk_mul_f32 v[122:123], v[106:107], v[242:243] op_sel:[1,1] op_sel_hi:[0,1]
	v_fma_f32 v11, v132, v136, -v11
	s_delay_alu instid0(VALU_DEP_1) | instskip(SKIP_1) | instid1(VALU_DEP_1)
	v_add_f32_e32 v9, v9, v11
	v_mul_f32_e32 v11, v139, v143
	v_fma_f32 v11, v138, v142, -v11
	s_delay_alu instid0(VALU_DEP_1) | instskip(SKIP_1) | instid1(VALU_DEP_1)
	v_add_f32_e32 v9, v9, v11
	v_mul_f32_e32 v11, v141, v145
	v_fma_f32 v11, v140, v144, -v11
	s_delay_alu instid0(VALU_DEP_1) | instskip(SKIP_1) | instid1(VALU_DEP_1)
	v_add_f32_e32 v9, v9, v11
	v_mul_f32_e32 v11, v147, v151
	v_fma_f32 v11, v146, v150, -v11
	s_delay_alu instid0(VALU_DEP_1) | instskip(SKIP_1) | instid1(VALU_DEP_1)
	v_add_f32_e32 v9, v9, v11
	v_mul_f32_e32 v11, v149, v153
	v_fma_f32 v11, v148, v152, -v11
	s_delay_alu instid0(VALU_DEP_1) | instskip(SKIP_1) | instid1(VALU_DEP_1)
	v_add_f32_e32 v9, v9, v11
	v_mul_f32_e32 v11, v155, v159
	v_fma_f32 v11, v154, v158, -v11
	s_delay_alu instid0(VALU_DEP_1) | instskip(SKIP_1) | instid1(VALU_DEP_1)
	v_add_f32_e32 v9, v9, v11
	v_mul_f32_e32 v11, v157, v161
	v_fma_f32 v11, v156, v160, -v11
	s_delay_alu instid0(VALU_DEP_1) | instskip(SKIP_1) | instid1(VALU_DEP_1)
	v_add_f32_e32 v9, v9, v11
	v_mul_f32_e32 v11, v163, v167
	v_fma_f32 v11, v162, v166, -v11
	s_delay_alu instid0(VALU_DEP_1) | instskip(SKIP_1) | instid1(VALU_DEP_1)
	v_add_f32_e32 v9, v9, v11
	v_mul_f32_e32 v11, v165, v169
	v_fma_f32 v11, v164, v168, -v11
	s_delay_alu instid0(VALU_DEP_1) | instskip(SKIP_1) | instid1(VALU_DEP_1)
	v_add_f32_e32 v9, v9, v11
	v_mul_f32_e32 v11, v171, v175
	v_fma_f32 v11, v170, v174, -v11
	s_delay_alu instid0(VALU_DEP_1) | instskip(SKIP_1) | instid1(VALU_DEP_1)
	v_add_f32_e32 v9, v9, v11
	v_mul_f32_e32 v11, v173, v177
	v_fma_f32 v11, v172, v176, -v11
	s_delay_alu instid0(VALU_DEP_1) | instskip(SKIP_1) | instid1(VALU_DEP_1)
	v_add_f32_e32 v9, v9, v11
	v_mul_f32_e32 v11, v179, v183
	v_fma_f32 v11, v178, v182, -v11
	s_delay_alu instid0(VALU_DEP_1) | instskip(SKIP_1) | instid1(VALU_DEP_1)
	v_add_f32_e32 v9, v9, v11
	v_mul_f32_e32 v11, v181, v185
	v_fma_f32 v11, v180, v184, -v11
	s_delay_alu instid0(VALU_DEP_1) | instskip(SKIP_1) | instid1(VALU_DEP_1)
	v_add_f32_e32 v9, v9, v11
	v_mul_f32_e32 v11, v187, v191
	v_fma_f32 v11, v186, v190, -v11
	s_delay_alu instid0(VALU_DEP_1) | instskip(SKIP_1) | instid1(VALU_DEP_1)
	v_add_f32_e32 v9, v9, v11
	v_mul_f32_e32 v11, v189, v193
	v_fma_f32 v11, v188, v192, -v11
	s_delay_alu instid0(VALU_DEP_1) | instskip(SKIP_1) | instid1(VALU_DEP_1)
	v_add_f32_e32 v9, v9, v11
	v_mul_f32_e32 v11, v195, v199
	v_fma_f32 v11, v194, v198, -v11
	s_delay_alu instid0(VALU_DEP_1) | instskip(SKIP_1) | instid1(VALU_DEP_1)
	v_add_f32_e32 v9, v9, v11
	v_mul_f32_e32 v11, v197, v201
	v_fma_f32 v11, v196, v200, -v11
	s_delay_alu instid0(VALU_DEP_1) | instskip(SKIP_1) | instid1(VALU_DEP_1)
	v_add_f32_e32 v9, v9, v11
	v_mul_f32_e32 v11, v203, v207
	v_fma_f32 v11, v202, v206, -v11
	s_delay_alu instid0(VALU_DEP_1) | instskip(SKIP_1) | instid1(VALU_DEP_1)
	v_add_f32_e32 v9, v9, v11
	v_mul_f32_e32 v11, v205, v209
	v_fma_f32 v11, v204, v208, -v11
	s_delay_alu instid0(VALU_DEP_1) | instskip(SKIP_1) | instid1(VALU_DEP_1)
	v_add_f32_e32 v9, v9, v11
	v_mul_f32_e32 v11, v211, v215
	v_fma_f32 v11, v210, v214, -v11
	s_delay_alu instid0(VALU_DEP_1) | instskip(SKIP_1) | instid1(VALU_DEP_1)
	v_add_f32_e32 v9, v9, v11
	v_mul_f32_e32 v11, v213, v217
	v_fma_f32 v11, v212, v216, -v11
	s_delay_alu instid0(VALU_DEP_1) | instskip(SKIP_1) | instid1(VALU_DEP_1)
	v_add_f32_e32 v9, v9, v11
	v_mul_f32_e32 v11, v219, v223
	v_fma_f32 v11, v218, v222, -v11
	s_delay_alu instid0(VALU_DEP_1) | instskip(SKIP_1) | instid1(VALU_DEP_1)
	v_add_f32_e32 v9, v9, v11
	v_mul_f32_e32 v11, v221, v225
	v_fma_f32 v11, v220, v224, -v11
	s_delay_alu instid0(VALU_DEP_1) | instskip(SKIP_1) | instid1(VALU_DEP_1)
	v_add_f32_e32 v9, v9, v11
	v_mul_f32_e32 v11, v227, v231
	v_fma_f32 v11, v226, v230, -v11
	s_delay_alu instid0(VALU_DEP_1) | instskip(SKIP_2) | instid1(VALU_DEP_1)
	v_add_f32_e32 v254, v9, v11
	v_mul_f32_e32 v9, v229, v233
	s_set_vgpr_msb 64                       ;  msbs: dst=1 src0=0 src1=0 src2=0
	v_fma_f32 v0 /*v256*/, v228, v232, -v9
	s_set_vgpr_msb 0                        ;  msbs: dst=0 src0=0 src1=0 src2=0
	v_mul_f32_e32 v9, v235, v239
	s_set_vgpr_msb 64                       ;  msbs: dst=1 src0=0 src1=0 src2=0
	s_delay_alu instid0(VALU_DEP_1) | instskip(SKIP_2) | instid1(VALU_DEP_1)
	v_fma_f32 v2 /*v258*/, v234, v238, -v9
	s_set_vgpr_msb 4                        ;  msbs: dst=0 src0=0 src1=1 src2=0
	v_pk_add_f32 v[120:121], v[254:255], v[0:1] /*v[256:257]*/
	v_pk_add_f32 v[120:121], v[120:121], v[2:3] /*v[258:259]*/
	s_set_vgpr_msb 0                        ;  msbs: dst=0 src0=0 src1=0 src2=0
	s_delay_alu instid0(VALU_DEP_1) | instskip(SKIP_2) | instid1(VALU_DEP_1)
	v_pk_add_f32 v[120:121], v[120:121], v[124:125]
	v_pk_fma_f32 v[124:125], v[106:107], v[242:243], v[122:123] neg_lo:[0,0,1] neg_hi:[0,0,1]
	v_pk_fma_f32 v[106:107], v[106:107], v[242:243], v[122:123] op_sel_hi:[1,0,1]
	v_dual_mov_b32 v122, v245 :: v_dual_mov_b32 v125, v107
	s_delay_alu instid0(VALU_DEP_1) | instskip(SKIP_1) | instid1(VALU_DEP_1)
	v_pk_add_f32 v[106:107], v[120:121], v[124:125]
	v_dual_mov_b32 v120, v109 :: v_dual_mov_b32 v121, v108
	v_pk_mul_f32 v[120:121], v[120:121], v[122:123] op_sel_hi:[1,0]
	s_delay_alu instid0(VALU_DEP_1) | instskip(SKIP_1) | instid1(VALU_DEP_1)
	v_pk_fma_f32 v[122:123], v[108:109], v[244:245], v[120:121] neg_lo:[0,0,1] neg_hi:[0,0,1]
	v_pk_fma_f32 v[108:109], v[108:109], v[244:245], v[120:121] op_sel_hi:[1,0,1]
	v_mov_b32_e32 v123, v109
	s_wait_loadcnt_dscnt 0x202
	v_pk_mul_f32 v[108:109], v[110:111], v[246:247] op_sel:[1,1] op_sel_hi:[0,1]
	s_delay_alu instid0(VALU_DEP_2) | instskip(NEXT) | instid1(VALU_DEP_2)
	v_pk_add_f32 v[106:107], v[106:107], v[122:123]
	v_pk_fma_f32 v[120:121], v[110:111], v[246:247], v[108:109] neg_lo:[0,0,1] neg_hi:[0,0,1]
	v_pk_fma_f32 v[108:109], v[110:111], v[246:247], v[108:109] op_sel_hi:[1,0,1]
	v_dual_mov_b32 v108, v113 :: v_dual_mov_b32 v110, v249
	s_delay_alu instid0(VALU_DEP_2) | instskip(NEXT) | instid1(VALU_DEP_1)
	v_dual_mov_b32 v121, v109 :: v_dual_mov_b32 v109, v112
	v_pk_add_f32 v[106:107], v[106:107], v[120:121]
	s_delay_alu instid0(VALU_DEP_2) | instskip(NEXT) | instid1(VALU_DEP_1)
	v_pk_mul_f32 v[108:109], v[108:109], v[110:111] op_sel_hi:[1,0]
	v_pk_fma_f32 v[110:111], v[112:113], v[248:249], v[108:109] neg_lo:[0,0,1] neg_hi:[0,0,1]
	v_pk_fma_f32 v[108:109], v[112:113], v[248:249], v[108:109] op_sel_hi:[1,0,1]
	s_delay_alu instid0(VALU_DEP_1) | instskip(SKIP_2) | instid1(VALU_DEP_2)
	v_mov_b32_e32 v111, v109
	s_wait_loadcnt_dscnt 0x101
	v_pk_mul_f32 v[108:109], v[114:115], v[250:251] op_sel:[1,1] op_sel_hi:[0,1]
	v_pk_add_f32 v[106:107], v[106:107], v[110:111]
	s_delay_alu instid0(VALU_DEP_2) | instskip(SKIP_1) | instid1(VALU_DEP_1)
	v_pk_fma_f32 v[110:111], v[114:115], v[250:251], v[108:109] neg_lo:[0,0,1] neg_hi:[0,0,1]
	v_pk_fma_f32 v[108:109], v[114:115], v[250:251], v[108:109] op_sel_hi:[1,0,1]
	v_dual_mov_b32 v108, v117 :: v_dual_mov_b32 v111, v109
	v_mov_b32_e32 v109, v116
	s_delay_alu instid0(VALU_DEP_2) | instskip(SKIP_1) | instid1(VALU_DEP_1)
	v_pk_add_f32 v[106:107], v[106:107], v[110:111]
	v_mov_b32_e32 v110, v253
	v_pk_mul_f32 v[108:109], v[108:109], v[110:111] op_sel_hi:[1,0]
	s_delay_alu instid0(VALU_DEP_1) | instskip(SKIP_1) | instid1(VALU_DEP_1)
	v_pk_fma_f32 v[110:111], v[116:117], v[252:253], v[108:109] neg_lo:[0,0,1] neg_hi:[0,0,1]
	v_pk_fma_f32 v[108:109], v[116:117], v[252:253], v[108:109] op_sel_hi:[1,0,1]
	v_mov_b32_e32 v111, v109
	s_wait_loadcnt_dscnt 0x0
	s_set_vgpr_msb 4                        ;  msbs: dst=0 src0=0 src1=1 src2=0
	v_pk_mul_f32 v[108:109], v[118:119], v[4:5] /*v[260:261]*/ op_sel:[1,1] op_sel_hi:[0,1]
	s_set_vgpr_msb 0                        ;  msbs: dst=0 src0=0 src1=0 src2=0
	v_pk_add_f32 v[106:107], v[106:107], v[110:111]
	s_set_vgpr_msb 4                        ;  msbs: dst=0 src0=0 src1=1 src2=0
	s_delay_alu instid0(VALU_DEP_2) | instskip(SKIP_1) | instid1(VALU_DEP_1)
	v_pk_fma_f32 v[110:111], v[118:119], v[4:5] /*v[260:261]*/, v[108:109] neg_lo:[0,0,1] neg_hi:[0,0,1]
	v_pk_fma_f32 v[108:109], v[118:119], v[4:5] /*v[260:261]*/, v[108:109] op_sel_hi:[1,0,1]
	v_mov_b32_e32 v111, v109
	scratch_load_b64 v[108:109], off, off offset:80
	s_set_vgpr_msb 0                        ;  msbs: dst=0 src0=0 src1=0 src2=0
	v_pk_add_f32 v[106:107], v[106:107], v[110:111]
	s_wait_loadcnt 0x0
	s_delay_alu instid0(VALU_DEP_1)
	v_pk_add_f32 v[106:107], v[108:109], v[106:107] neg_lo:[0,1] neg_hi:[0,1]
	scratch_store_b64 off, v[106:107], off offset:80
	s_wait_xcnt 0x0
	v_cmpx_lt_u32_e32 9, v0
	s_cbranch_execz .LBB51_307
; %bb.306:
	scratch_load_b64 v[106:107], off, off offset:72
	v_mov_b64_e32 v[108:109], 0
	scratch_store_b64 off, v[108:109], off offset:72
	s_wait_loadcnt 0x0
	ds_store_b64 v1, v[106:107]
.LBB51_307:
	s_wait_xcnt 0x0
	s_or_b32 exec_lo, exec_lo, s0
	s_wait_storecnt_dscnt 0x0
	s_barrier_signal -1
	s_barrier_wait -1
	ds_load_b128 v[106:109], v5 offset:496
	ds_load_b128 v[110:113], v5 offset:512
	;; [unrolled: 1-line block ×4, first 2 shown]
	s_clause 0x10
	scratch_load_b128 v[122:125], off, off offset:80
	scratch_load_b128 v[126:129], off, off offset:96
	;; [unrolled: 1-line block ×17, first 2 shown]
	ds_load_b128 v[138:141], v5 offset:560
	ds_load_b128 v[146:149], v5 offset:576
	;; [unrolled: 1-line block ×13, first 2 shown]
	s_clause 0x3
	scratch_load_b128 v[242:245], off, off offset:352
	scratch_load_b128 v[246:249], off, off offset:368
	;; [unrolled: 1-line block ×4, first 2 shown]
	s_mov_b32 s0, exec_lo
	s_wait_loadcnt_dscnt 0x1410
	v_dual_mul_f32 v9, v106, v123 :: v_dual_mul_f32 v11, v108, v125
	s_delay_alu instid0(VALU_DEP_1) | instskip(NEXT) | instid1(VALU_DEP_1)
	v_dual_fmac_f32 v9, v107, v122 :: v_dual_fmac_f32 v11, v109, v124
	v_add_f32_e32 v9, 0, v9
	s_delay_alu instid0(VALU_DEP_1)
	v_add_f32_e32 v9, v9, v11
	s_wait_loadcnt_dscnt 0x130f
	v_mul_f32_e32 v11, v110, v127
	s_wait_loadcnt_dscnt 0x40a
	s_set_vgpr_msb 64                       ;  msbs: dst=1 src0=0 src1=0 src2=0
	v_dual_mul_f32 v5 /*v261*/, v234, v239 :: v_dual_mul_f32 v7 /*v263*/, v236, v241
	s_set_vgpr_msb 0                        ;  msbs: dst=0 src0=0 src1=0 src2=0
	v_fmac_f32_e32 v11, v111, v126
	s_set_vgpr_msb 64                       ;  msbs: dst=1 src0=0 src1=0 src2=0
	s_delay_alu instid0(VALU_DEP_2) | instskip(SKIP_1) | instid1(VALU_DEP_2)
	v_dual_fmac_f32 v5 /*v261*/, v235, v238 :: v_dual_fmac_f32 v7 /*v263*/, v237, v240
	s_set_vgpr_msb 0                        ;  msbs: dst=0 src0=0 src1=0 src2=0
	v_dual_add_f32 v9, v9, v11 :: v_dual_mul_f32 v11, v112, v129
	s_delay_alu instid0(VALU_DEP_1) | instskip(NEXT) | instid1(VALU_DEP_1)
	v_fmac_f32_e32 v11, v113, v128
	v_add_f32_e32 v9, v9, v11
	v_mul_f32_e32 v11, v114, v131
	s_delay_alu instid0(VALU_DEP_1) | instskip(NEXT) | instid1(VALU_DEP_1)
	v_fmac_f32_e32 v11, v115, v130
	v_dual_add_f32 v9, v9, v11 :: v_dual_mul_f32 v11, v116, v133
	s_delay_alu instid0(VALU_DEP_1) | instskip(NEXT) | instid1(VALU_DEP_1)
	v_fmac_f32_e32 v11, v117, v132
	v_add_f32_e32 v9, v9, v11
	v_mul_f32_e32 v11, v118, v135
	s_delay_alu instid0(VALU_DEP_1) | instskip(NEXT) | instid1(VALU_DEP_1)
	v_fmac_f32_e32 v11, v119, v134
	;; [unrolled: 7-line block ×4, first 2 shown]
	v_dual_add_f32 v9, v9, v11 :: v_dual_mul_f32 v11, v148, v153
	s_delay_alu instid0(VALU_DEP_1) | instskip(NEXT) | instid1(VALU_DEP_1)
	v_fmac_f32_e32 v11, v149, v152
	v_add_f32_e32 v9, v9, v11
	s_wait_dscnt 0x9
	v_mul_f32_e32 v11, v154, v159
	s_delay_alu instid0(VALU_DEP_1) | instskip(NEXT) | instid1(VALU_DEP_1)
	v_fmac_f32_e32 v11, v155, v158
	v_dual_add_f32 v9, v9, v11 :: v_dual_mul_f32 v11, v156, v161
	s_delay_alu instid0(VALU_DEP_1) | instskip(NEXT) | instid1(VALU_DEP_1)
	v_fmac_f32_e32 v11, v157, v160
	v_add_f32_e32 v9, v9, v11
	s_wait_dscnt 0x8
	v_mul_f32_e32 v11, v162, v167
	s_delay_alu instid0(VALU_DEP_1) | instskip(NEXT) | instid1(VALU_DEP_1)
	v_fmac_f32_e32 v11, v163, v166
	;; [unrolled: 8-line block ×10, first 2 shown]
	v_dual_add_f32 v9, v9, v11 :: v_dual_mul_f32 v11, v228, v233
	s_delay_alu instid0(VALU_DEP_1) | instskip(SKIP_1) | instid1(VALU_DEP_1)
	v_fmac_f32_e32 v11, v229, v232
	s_set_vgpr_msb 64                       ;  msbs: dst=1 src0=0 src1=0 src2=0
	v_add_f32_e32 v3 /*v259*/, v9, v11
	s_set_vgpr_msb 0                        ;  msbs: dst=0 src0=0 src1=0 src2=0
	v_dual_mul_f32 v9, v107, v123 :: v_dual_mul_f32 v11, v109, v125
	s_delay_alu instid0(VALU_DEP_1) | instskip(NEXT) | instid1(VALU_DEP_1)
	v_dual_fma_f32 v9, v106, v122, -v9 :: v_dual_fma_f32 v11, v108, v124, -v11
	v_add_f32_e32 v9, 0, v9
	s_delay_alu instid0(VALU_DEP_1) | instskip(SKIP_1) | instid1(VALU_DEP_1)
	v_add_f32_e32 v9, v9, v11
	v_mul_f32_e32 v11, v111, v127
	v_fma_f32 v11, v110, v126, -v11
	s_delay_alu instid0(VALU_DEP_1) | instskip(SKIP_1) | instid1(VALU_DEP_1)
	v_add_f32_e32 v9, v9, v11
	v_mul_f32_e32 v11, v113, v129
	v_fma_f32 v11, v112, v128, -v11
	;; [unrolled: 4-line block ×6, first 2 shown]
	ds_load_b128 v[106:109], v5 offset:768
	ds_load_b128 v[110:113], v5 offset:784
	;; [unrolled: 1-line block ×4, first 2 shown]
	v_add_f32_e32 v9, v9, v11
	v_mul_f32_e32 v11, v139, v143
	s_delay_alu instid0(VALU_DEP_1) | instskip(NEXT) | instid1(VALU_DEP_1)
	v_fma_f32 v11, v138, v142, -v11
	v_add_f32_e32 v9, v9, v11
	v_mul_f32_e32 v11, v141, v145
	s_wait_loadcnt_dscnt 0x303
	v_pk_mul_f32 v[124:125], v[106:107], v[242:243] op_sel:[1,1] op_sel_hi:[0,1]
	s_delay_alu instid0(VALU_DEP_2) | instskip(NEXT) | instid1(VALU_DEP_2)
	v_fma_f32 v11, v140, v144, -v11
	v_pk_fma_f32 v[126:127], v[106:107], v[242:243], v[124:125] neg_lo:[0,0,1] neg_hi:[0,0,1]
	v_pk_fma_f32 v[106:107], v[106:107], v[242:243], v[124:125] op_sel_hi:[1,0,1]
	v_mov_b32_e32 v124, v245
	s_delay_alu instid0(VALU_DEP_4) | instskip(SKIP_1) | instid1(VALU_DEP_1)
	v_add_f32_e32 v9, v9, v11
	v_mul_f32_e32 v11, v147, v151
	v_dual_mov_b32 v127, v107 :: v_dual_fma_f32 v11, v146, v150, -v11
	s_delay_alu instid0(VALU_DEP_1) | instskip(SKIP_1) | instid1(VALU_DEP_1)
	v_add_f32_e32 v9, v9, v11
	v_mul_f32_e32 v11, v149, v153
	v_fma_f32 v11, v148, v152, -v11
	s_delay_alu instid0(VALU_DEP_1) | instskip(SKIP_1) | instid1(VALU_DEP_1)
	v_add_f32_e32 v9, v9, v11
	v_mul_f32_e32 v11, v155, v159
	v_fma_f32 v11, v154, v158, -v11
	;; [unrolled: 4-line block ×21, first 2 shown]
	s_set_vgpr_msb 64                       ;  msbs: dst=1 src0=0 src1=0 src2=0
	s_delay_alu instid0(VALU_DEP_1) | instskip(SKIP_3) | instid1(VALU_DEP_1)
	v_add_f32_e32 v2 /*v258*/, v9, v11
	s_set_vgpr_msb 0                        ;  msbs: dst=0 src0=0 src1=0 src2=0
	v_mul_f32_e32 v9, v235, v239
	s_set_vgpr_msb 64                       ;  msbs: dst=1 src0=0 src1=0 src2=0
	v_fma_f32 v4 /*v260*/, v234, v238, -v9
	s_set_vgpr_msb 0                        ;  msbs: dst=0 src0=0 src1=0 src2=0
	v_mul_f32_e32 v9, v237, v241
	s_set_vgpr_msb 5                        ;  msbs: dst=0 src0=1 src1=1 src2=0
	s_delay_alu instid0(VALU_DEP_2) | instskip(SKIP_1) | instid1(VALU_DEP_2)
	v_pk_add_f32 v[122:123], v[2:3] /*v[258:259]*/, v[4:5] /*v[260:261]*/
	s_set_vgpr_msb 64                       ;  msbs: dst=1 src0=0 src1=0 src2=0
	v_fma_f32 v6 /*v262*/, v236, v240, -v9
	s_set_vgpr_msb 4                        ;  msbs: dst=0 src0=0 src1=1 src2=0
	s_delay_alu instid0(VALU_DEP_1) | instskip(SKIP_1) | instid1(VALU_DEP_1)
	v_pk_add_f32 v[122:123], v[122:123], v[6:7] /*v[262:263]*/
	s_set_vgpr_msb 0                        ;  msbs: dst=0 src0=0 src1=0 src2=0
	v_pk_add_f32 v[106:107], v[122:123], v[126:127]
	v_dual_mov_b32 v122, v109 :: v_dual_mov_b32 v123, v108
	s_delay_alu instid0(VALU_DEP_1) | instskip(NEXT) | instid1(VALU_DEP_1)
	v_pk_mul_f32 v[122:123], v[122:123], v[124:125] op_sel_hi:[1,0]
	v_pk_fma_f32 v[124:125], v[108:109], v[244:245], v[122:123] neg_lo:[0,0,1] neg_hi:[0,0,1]
	v_pk_fma_f32 v[108:109], v[108:109], v[244:245], v[122:123] op_sel_hi:[1,0,1]
	s_delay_alu instid0(VALU_DEP_1) | instskip(SKIP_2) | instid1(VALU_DEP_2)
	v_mov_b32_e32 v125, v109
	s_wait_loadcnt_dscnt 0x202
	v_pk_mul_f32 v[108:109], v[110:111], v[246:247] op_sel:[1,1] op_sel_hi:[0,1]
	v_pk_add_f32 v[106:107], v[106:107], v[124:125]
	s_delay_alu instid0(VALU_DEP_2) | instskip(SKIP_2) | instid1(VALU_DEP_2)
	v_pk_fma_f32 v[122:123], v[110:111], v[246:247], v[108:109] neg_lo:[0,0,1] neg_hi:[0,0,1]
	v_pk_fma_f32 v[108:109], v[110:111], v[246:247], v[108:109] op_sel_hi:[1,0,1]
	v_dual_mov_b32 v108, v113 :: v_dual_mov_b32 v110, v249
	v_dual_mov_b32 v123, v109 :: v_dual_mov_b32 v109, v112
	s_delay_alu instid0(VALU_DEP_1) | instskip(NEXT) | instid1(VALU_DEP_2)
	v_pk_add_f32 v[106:107], v[106:107], v[122:123]
	v_pk_mul_f32 v[108:109], v[108:109], v[110:111] op_sel_hi:[1,0]
	s_delay_alu instid0(VALU_DEP_1) | instskip(SKIP_1) | instid1(VALU_DEP_1)
	v_pk_fma_f32 v[110:111], v[112:113], v[248:249], v[108:109] neg_lo:[0,0,1] neg_hi:[0,0,1]
	v_pk_fma_f32 v[108:109], v[112:113], v[248:249], v[108:109] op_sel_hi:[1,0,1]
	v_mov_b32_e32 v111, v109
	s_wait_loadcnt_dscnt 0x101
	v_pk_mul_f32 v[108:109], v[114:115], v[250:251] op_sel:[1,1] op_sel_hi:[0,1]
	s_delay_alu instid0(VALU_DEP_2) | instskip(NEXT) | instid1(VALU_DEP_2)
	v_pk_add_f32 v[106:107], v[106:107], v[110:111]
	v_pk_fma_f32 v[110:111], v[114:115], v[250:251], v[108:109] neg_lo:[0,0,1] neg_hi:[0,0,1]
	v_pk_fma_f32 v[108:109], v[114:115], v[250:251], v[108:109] op_sel_hi:[1,0,1]
	s_delay_alu instid0(VALU_DEP_1) | instskip(SKIP_1) | instid1(VALU_DEP_2)
	v_dual_mov_b32 v108, v117 :: v_dual_mov_b32 v111, v109
	v_mov_b32_e32 v109, v116
	v_pk_add_f32 v[106:107], v[106:107], v[110:111]
	v_mov_b32_e32 v110, v253
	s_delay_alu instid0(VALU_DEP_1) | instskip(NEXT) | instid1(VALU_DEP_1)
	v_pk_mul_f32 v[108:109], v[108:109], v[110:111] op_sel_hi:[1,0]
	v_pk_fma_f32 v[110:111], v[116:117], v[252:253], v[108:109] neg_lo:[0,0,1] neg_hi:[0,0,1]
	v_pk_fma_f32 v[108:109], v[116:117], v[252:253], v[108:109] op_sel_hi:[1,0,1]
	s_delay_alu instid0(VALU_DEP_1) | instskip(SKIP_2) | instid1(VALU_DEP_2)
	v_mov_b32_e32 v111, v109
	s_wait_loadcnt_dscnt 0x0
	v_pk_mul_f32 v[108:109], v[118:119], v[254:255] op_sel:[1,1] op_sel_hi:[0,1]
	v_pk_add_f32 v[106:107], v[106:107], v[110:111]
	s_delay_alu instid0(VALU_DEP_2) | instskip(SKIP_1) | instid1(VALU_DEP_1)
	v_pk_fma_f32 v[110:111], v[118:119], v[254:255], v[108:109] neg_lo:[0,0,1] neg_hi:[0,0,1]
	v_pk_fma_f32 v[108:109], v[118:119], v[254:255], v[108:109] op_sel_hi:[1,0,1]
	v_dual_mov_b32 v108, v121 :: v_dual_mov_b32 v111, v109
	v_mov_b32_e32 v109, v120
	s_delay_alu instid0(VALU_DEP_2) | instskip(SKIP_3) | instid1(VALU_DEP_1)
	v_pk_add_f32 v[106:107], v[106:107], v[110:111]
	s_set_vgpr_msb 1                        ;  msbs: dst=0 src0=1 src1=0 src2=0
	v_mov_b32_e32 v110, v1 /*v257*/
	s_set_vgpr_msb 0                        ;  msbs: dst=0 src0=0 src1=0 src2=0
	v_pk_mul_f32 v[108:109], v[108:109], v[110:111] op_sel_hi:[1,0]
	s_set_vgpr_msb 4                        ;  msbs: dst=0 src0=0 src1=1 src2=0
	s_delay_alu instid0(VALU_DEP_1) | instskip(SKIP_1) | instid1(VALU_DEP_1)
	v_pk_fma_f32 v[110:111], v[120:121], v[0:1] /*v[256:257]*/, v[108:109] neg_lo:[0,0,1] neg_hi:[0,0,1]
	v_pk_fma_f32 v[108:109], v[120:121], v[0:1] /*v[256:257]*/, v[108:109] op_sel_hi:[1,0,1]
	v_mov_b32_e32 v111, v109
	scratch_load_b64 v[108:109], off, off offset:72
	s_set_vgpr_msb 0                        ;  msbs: dst=0 src0=0 src1=0 src2=0
	v_pk_add_f32 v[106:107], v[106:107], v[110:111]
	s_wait_loadcnt 0x0
	s_delay_alu instid0(VALU_DEP_1)
	v_pk_add_f32 v[106:107], v[108:109], v[106:107] neg_lo:[0,1] neg_hi:[0,1]
	scratch_store_b64 off, v[106:107], off offset:72
	s_wait_xcnt 0x0
	v_cmpx_lt_u32_e32 8, v0
	s_cbranch_execz .LBB51_309
; %bb.308:
	scratch_load_b64 v[106:107], off, off offset:64
	v_mov_b64_e32 v[108:109], 0
	scratch_store_b64 off, v[108:109], off offset:64
	s_wait_loadcnt 0x0
	ds_store_b64 v1, v[106:107]
.LBB51_309:
	s_wait_xcnt 0x0
	s_or_b32 exec_lo, exec_lo, s0
	s_wait_storecnt_dscnt 0x0
	s_barrier_signal -1
	s_barrier_wait -1
	s_clause 0xf
	scratch_load_b128 v[110:113], off, off offset:72
	scratch_load_b128 v[118:121], off, off offset:88
	;; [unrolled: 1-line block ×16, first 2 shown]
	v_mov_b32_e32 v5, 0
	s_clause 0x1
	scratch_load_b128 v[238:241], off, off offset:328
	scratch_load_b128 v[246:249], off, off offset:344
	s_mov_b32 s0, exec_lo
	ds_load_2addr_b64 v[106:109], v5 offset0:61 offset1:62
	ds_load_2addr_b64 v[114:117], v5 offset0:63 offset1:64
	s_wait_loadcnt_dscnt 0x1101
	v_dual_mul_f32 v9, v106, v111 :: v_dual_mul_f32 v11, v108, v113
	ds_load_2addr_b64 v[122:125], v5 offset0:65 offset1:66
	ds_load_2addr_b64 v[130:133], v5 offset0:67 offset1:68
	;; [unrolled: 1-line block ×4, first 2 shown]
	v_dual_fmac_f32 v9, v107, v110 :: v_dual_fmac_f32 v11, v109, v112
	ds_load_2addr_b64 v[138:141], v5 offset0:69 offset1:70
	ds_load_2addr_b64 v[146:149], v5 offset0:71 offset1:72
	;; [unrolled: 1-line block ×4, first 2 shown]
	v_add_f32_e32 v9, 0, v9
	ds_load_2addr_b64 v[170:173], v5 offset0:77 offset1:78
	ds_load_2addr_b64 v[178:181], v5 offset0:79 offset1:80
	;; [unrolled: 1-line block ×4, first 2 shown]
	v_add_f32_e32 v9, v9, v11
	s_wait_loadcnt_dscnt 0x100c
	v_mul_f32_e32 v11, v114, v119
	ds_load_2addr_b64 v[202:205], v5 offset0:85 offset1:86
	ds_load_2addr_b64 v[210:213], v5 offset0:87 offset1:88
	ds_load_2addr_b64 v[218:221], v5 offset0:89 offset1:90
	ds_load_2addr_b64 v[226:229], v5 offset0:91 offset1:92
	v_fmac_f32_e32 v11, v115, v118
	s_clause 0x4
	scratch_load_b128 v[250:253], off, off offset:360
	scratch_load_b128 v[254:257], off, off offset:376
	s_set_vgpr_msb 64                       ;  msbs: dst=1 src0=0 src1=0 src2=0
	scratch_load_b128 v[2:5] /*v[258:261]*/, off, off offset:392
	scratch_load_b64 v[12:13] /*v[268:269]*/, off, off offset:408
	s_wait_loadcnt_dscnt 0x40c
	v_dual_mul_f32 v9 /*v265*/, v236, v241 :: v_dual_mul_f32 v11 /*v267*/, v242, v247
	s_set_vgpr_msb 0                        ;  msbs: dst=0 src0=0 src1=0 src2=0
	v_dual_add_f32 v9, v9, v11 :: v_dual_mul_f32 v11, v116, v121
	s_set_vgpr_msb 64                       ;  msbs: dst=1 src0=0 src1=0 src2=0
	s_delay_alu instid0(VALU_DEP_2) | instskip(SKIP_1) | instid1(VALU_DEP_2)
	v_fmac_f32_e32 v9 /*v265*/, v237, v240
	s_set_vgpr_msb 0                        ;  msbs: dst=0 src0=0 src1=0 src2=0
	v_fmac_f32_e32 v11, v117, v120
	s_delay_alu instid0(VALU_DEP_1) | instskip(SKIP_1) | instid1(VALU_DEP_1)
	v_add_f32_e32 v9, v9, v11
	v_mul_f32_e32 v11, v122, v127
	v_fmac_f32_e32 v11, v123, v126
	s_delay_alu instid0(VALU_DEP_1) | instskip(NEXT) | instid1(VALU_DEP_1)
	v_dual_add_f32 v9, v9, v11 :: v_dual_mul_f32 v11, v124, v129
	v_fmac_f32_e32 v11, v125, v128
	s_delay_alu instid0(VALU_DEP_1) | instskip(SKIP_1) | instid1(VALU_DEP_1)
	v_add_f32_e32 v9, v9, v11
	v_mul_f32_e32 v11, v130, v135
	v_fmac_f32_e32 v11, v131, v134
	s_delay_alu instid0(VALU_DEP_1) | instskip(NEXT) | instid1(VALU_DEP_1)
	v_dual_add_f32 v9, v9, v11 :: v_dual_mul_f32 v11, v132, v137
	v_fmac_f32_e32 v11, v133, v136
	s_delay_alu instid0(VALU_DEP_1) | instskip(SKIP_2) | instid1(VALU_DEP_1)
	v_add_f32_e32 v9, v9, v11
	s_wait_dscnt 0xb
	v_mul_f32_e32 v11, v138, v143
	v_fmac_f32_e32 v11, v139, v142
	s_delay_alu instid0(VALU_DEP_1) | instskip(NEXT) | instid1(VALU_DEP_1)
	v_dual_add_f32 v9, v9, v11 :: v_dual_mul_f32 v11, v140, v145
	v_fmac_f32_e32 v11, v141, v144
	s_delay_alu instid0(VALU_DEP_1) | instskip(SKIP_2) | instid1(VALU_DEP_1)
	v_add_f32_e32 v9, v9, v11
	s_wait_dscnt 0xa
	;; [unrolled: 8-line block ×12, first 2 shown]
	v_mul_f32_e32 v11, v226, v231
	v_fmac_f32_e32 v11, v227, v230
	s_delay_alu instid0(VALU_DEP_1) | instskip(NEXT) | instid1(VALU_DEP_1)
	v_dual_add_f32 v9, v9, v11 :: v_dual_mul_f32 v11, v228, v233
	v_fmac_f32_e32 v11, v229, v232
	s_delay_alu instid0(VALU_DEP_1) | instskip(SKIP_1) | instid1(VALU_DEP_1)
	v_add_f32_e32 v9, v9, v11
	v_mul_f32_e32 v11, v234, v239
	v_fmac_f32_e32 v11, v235, v238
	s_set_vgpr_msb 64                       ;  msbs: dst=1 src0=0 src1=0 src2=0
	s_delay_alu instid0(VALU_DEP_1) | instskip(SKIP_2) | instid1(VALU_DEP_1)
	v_add_f32_e32 v7 /*v263*/, v9, v11
	s_set_vgpr_msb 0                        ;  msbs: dst=0 src0=0 src1=0 src2=0
	v_dual_mul_f32 v9, v107, v111 :: v_dual_mul_f32 v11, v109, v113
	v_dual_fma_f32 v9, v106, v110, -v9 :: v_dual_fma_f32 v11, v108, v112, -v11
	s_delay_alu instid0(VALU_DEP_1) | instskip(NEXT) | instid1(VALU_DEP_1)
	v_add_f32_e32 v9, 0, v9
	v_add_f32_e32 v9, v9, v11
	v_mul_f32_e32 v11, v115, v119
	s_delay_alu instid0(VALU_DEP_1) | instskip(NEXT) | instid1(VALU_DEP_1)
	v_fma_f32 v11, v114, v118, -v11
	v_add_f32_e32 v9, v9, v11
	v_mul_f32_e32 v11, v117, v121
	s_delay_alu instid0(VALU_DEP_1)
	v_fma_f32 v11, v116, v120, -v11
	ds_load_2addr_b64 v[106:109], v5 offset0:97 offset1:98
	ds_load_2addr_b64 v[110:113], v5 offset0:99 offset1:100
	;; [unrolled: 1-line block ×3, first 2 shown]
	ds_load_b64 v[118:119], v5 offset:824
	v_add_f32_e32 v9, v9, v11
	v_dual_mul_f32 v11, v123, v127 :: v_dual_mov_b32 v123, v244
	s_delay_alu instid0(VALU_DEP_1) | instskip(NEXT) | instid1(VALU_DEP_1)
	v_dual_fma_f32 v11, v122, v126, -v11 :: v_dual_mov_b32 v122, v245
	v_add_f32_e32 v9, v9, v11
	v_mul_f32_e32 v11, v125, v129
	s_delay_alu instid0(VALU_DEP_1) | instskip(NEXT) | instid1(VALU_DEP_1)
	v_dual_fma_f32 v11, v124, v128, -v11 :: v_dual_mov_b32 v124, v249
	v_add_f32_e32 v9, v9, v11
	v_mul_f32_e32 v11, v131, v135
	s_delay_alu instid0(VALU_DEP_3) | instskip(NEXT) | instid1(VALU_DEP_2)
	v_pk_mul_f32 v[122:123], v[122:123], v[124:125] op_sel_hi:[1,0]
	v_fma_f32 v11, v130, v134, -v11
	s_delay_alu instid0(VALU_DEP_2) | instskip(SKIP_1) | instid1(VALU_DEP_3)
	v_pk_fma_f32 v[124:125], v[244:245], v[248:249], v[122:123] neg_lo:[0,0,1] neg_hi:[0,0,1]
	v_pk_fma_f32 v[122:123], v[244:245], v[248:249], v[122:123] op_sel_hi:[1,0,1]
	v_add_f32_e32 v9, v9, v11
	s_delay_alu instid0(VALU_DEP_2) | instskip(SKIP_2) | instid1(VALU_DEP_2)
	v_dual_mul_f32 v11, v133, v137 :: v_dual_mov_b32 v125, v123
	s_wait_loadcnt_dscnt 0x303
	v_pk_mul_f32 v[122:123], v[106:107], v[250:251] op_sel:[1,1] op_sel_hi:[0,1]
	v_fma_f32 v11, v132, v136, -v11
	s_delay_alu instid0(VALU_DEP_1) | instskip(SKIP_1) | instid1(VALU_DEP_1)
	v_add_f32_e32 v9, v9, v11
	v_mul_f32_e32 v11, v139, v143
	v_fma_f32 v11, v138, v142, -v11
	s_delay_alu instid0(VALU_DEP_1) | instskip(SKIP_1) | instid1(VALU_DEP_1)
	v_add_f32_e32 v9, v9, v11
	v_mul_f32_e32 v11, v141, v145
	;; [unrolled: 4-line block ×25, first 2 shown]
	v_fma_f32 v11, v234, v238, -v11
	s_set_vgpr_msb 64                       ;  msbs: dst=1 src0=0 src1=0 src2=0
	s_delay_alu instid0(VALU_DEP_1) | instskip(SKIP_3) | instid1(VALU_DEP_1)
	v_dual_fmac_f32 v11 /*v267*/, v243, v246 :: v_dual_add_f32 v6 /*v262*/, v9, v11
	s_set_vgpr_msb 0                        ;  msbs: dst=0 src0=0 src1=0 src2=0
	v_mul_f32_e32 v9, v237, v241
	s_set_vgpr_msb 64                       ;  msbs: dst=1 src0=0 src1=0 src2=0
	v_fma_f32 v8 /*v264*/, v236, v240, -v9
	s_set_vgpr_msb 0                        ;  msbs: dst=0 src0=0 src1=0 src2=0
	v_mul_f32_e32 v9, v243, v247
	s_set_vgpr_msb 64                       ;  msbs: dst=1 src0=0 src1=0 src2=0
	s_delay_alu instid0(VALU_DEP_1) | instskip(SKIP_3) | instid1(VALU_DEP_1)
	v_fma_f32 v10 /*v266*/, v242, v246, -v9
	s_set_vgpr_msb 5                        ;  msbs: dst=0 src0=1 src1=1 src2=0
	v_pk_add_f32 v[120:121], v[6:7] /*v[262:263]*/, v[8:9] /*v[264:265]*/
	s_set_vgpr_msb 4                        ;  msbs: dst=0 src0=0 src1=1 src2=0
	v_pk_add_f32 v[120:121], v[120:121], v[10:11] /*v[266:267]*/
	s_set_vgpr_msb 0                        ;  msbs: dst=0 src0=0 src1=0 src2=0
	s_delay_alu instid0(VALU_DEP_1) | instskip(SKIP_2) | instid1(VALU_DEP_1)
	v_pk_add_f32 v[120:121], v[120:121], v[124:125]
	v_pk_fma_f32 v[124:125], v[106:107], v[250:251], v[122:123] neg_lo:[0,0,1] neg_hi:[0,0,1]
	v_pk_fma_f32 v[106:107], v[106:107], v[250:251], v[122:123] op_sel_hi:[1,0,1]
	v_dual_mov_b32 v122, v253 :: v_dual_mov_b32 v125, v107
	s_delay_alu instid0(VALU_DEP_1) | instskip(SKIP_1) | instid1(VALU_DEP_1)
	v_pk_add_f32 v[106:107], v[120:121], v[124:125]
	v_dual_mov_b32 v120, v109 :: v_dual_mov_b32 v121, v108
	v_pk_mul_f32 v[120:121], v[120:121], v[122:123] op_sel_hi:[1,0]
	s_delay_alu instid0(VALU_DEP_1) | instskip(SKIP_1) | instid1(VALU_DEP_1)
	v_pk_fma_f32 v[122:123], v[108:109], v[252:253], v[120:121] neg_lo:[0,0,1] neg_hi:[0,0,1]
	v_pk_fma_f32 v[108:109], v[108:109], v[252:253], v[120:121] op_sel_hi:[1,0,1]
	v_mov_b32_e32 v123, v109
	s_wait_loadcnt_dscnt 0x202
	v_pk_mul_f32 v[108:109], v[110:111], v[254:255] op_sel:[1,1] op_sel_hi:[0,1]
	s_delay_alu instid0(VALU_DEP_2) | instskip(NEXT) | instid1(VALU_DEP_2)
	v_pk_add_f32 v[106:107], v[106:107], v[122:123]
	v_pk_fma_f32 v[120:121], v[110:111], v[254:255], v[108:109] neg_lo:[0,0,1] neg_hi:[0,0,1]
	v_pk_fma_f32 v[108:109], v[110:111], v[254:255], v[108:109] op_sel_hi:[1,0,1]
	v_mov_b32_e32 v108, v113
	s_set_vgpr_msb 1                        ;  msbs: dst=0 src0=1 src1=0 src2=0
	v_mov_b32_e32 v110, v1 /*v257*/
	s_set_vgpr_msb 0                        ;  msbs: dst=0 src0=0 src1=0 src2=0
	v_dual_mov_b32 v121, v109 :: v_dual_mov_b32 v109, v112
	s_delay_alu instid0(VALU_DEP_1) | instskip(NEXT) | instid1(VALU_DEP_2)
	v_pk_add_f32 v[106:107], v[106:107], v[120:121]
	v_pk_mul_f32 v[108:109], v[108:109], v[110:111] op_sel_hi:[1,0]
	s_set_vgpr_msb 4                        ;  msbs: dst=0 src0=0 src1=1 src2=0
	s_delay_alu instid0(VALU_DEP_1) | instskip(SKIP_1) | instid1(VALU_DEP_1)
	v_pk_fma_f32 v[110:111], v[112:113], v[0:1] /*v[256:257]*/, v[108:109] neg_lo:[0,0,1] neg_hi:[0,0,1]
	v_pk_fma_f32 v[108:109], v[112:113], v[0:1] /*v[256:257]*/, v[108:109] op_sel_hi:[1,0,1]
	v_mov_b32_e32 v111, v109
	s_wait_loadcnt_dscnt 0x101
	v_pk_mul_f32 v[108:109], v[114:115], v[2:3] /*v[258:259]*/ op_sel:[1,1] op_sel_hi:[0,1]
	s_set_vgpr_msb 0                        ;  msbs: dst=0 src0=0 src1=0 src2=0
	s_delay_alu instid0(VALU_DEP_2) | instskip(SKIP_1) | instid1(VALU_DEP_2)
	v_pk_add_f32 v[106:107], v[106:107], v[110:111]
	s_set_vgpr_msb 4                        ;  msbs: dst=0 src0=0 src1=1 src2=0
	v_pk_fma_f32 v[110:111], v[114:115], v[2:3] /*v[258:259]*/, v[108:109] neg_lo:[0,0,1] neg_hi:[0,0,1]
	v_pk_fma_f32 v[108:109], v[114:115], v[2:3] /*v[258:259]*/, v[108:109] op_sel_hi:[1,0,1]
	s_delay_alu instid0(VALU_DEP_1) | instskip(SKIP_2) | instid1(VALU_DEP_2)
	v_dual_mov_b32 v108, v117 :: v_dual_mov_b32 v111, v109
	v_mov_b32_e32 v109, v116
	s_set_vgpr_msb 0                        ;  msbs: dst=0 src0=0 src1=0 src2=0
	v_pk_add_f32 v[106:107], v[106:107], v[110:111]
	s_set_vgpr_msb 1                        ;  msbs: dst=0 src0=1 src1=0 src2=0
	v_mov_b32_e32 v110, v5 /*v261*/
	s_set_vgpr_msb 0                        ;  msbs: dst=0 src0=0 src1=0 src2=0
	s_delay_alu instid0(VALU_DEP_1) | instskip(SKIP_1) | instid1(VALU_DEP_1)
	v_pk_mul_f32 v[108:109], v[108:109], v[110:111] op_sel_hi:[1,0]
	s_set_vgpr_msb 4                        ;  msbs: dst=0 src0=0 src1=1 src2=0
	v_pk_fma_f32 v[110:111], v[116:117], v[4:5] /*v[260:261]*/, v[108:109] neg_lo:[0,0,1] neg_hi:[0,0,1]
	v_pk_fma_f32 v[108:109], v[116:117], v[4:5] /*v[260:261]*/, v[108:109] op_sel_hi:[1,0,1]
	s_delay_alu instid0(VALU_DEP_1) | instskip(SKIP_3) | instid1(VALU_DEP_2)
	v_mov_b32_e32 v111, v109
	s_wait_loadcnt_dscnt 0x0
	v_pk_mul_f32 v[108:109], v[118:119], v[12:13] /*v[268:269]*/ op_sel:[1,1] op_sel_hi:[0,1]
	s_set_vgpr_msb 0                        ;  msbs: dst=0 src0=0 src1=0 src2=0
	v_pk_add_f32 v[106:107], v[106:107], v[110:111]
	s_set_vgpr_msb 4                        ;  msbs: dst=0 src0=0 src1=1 src2=0
	s_delay_alu instid0(VALU_DEP_2) | instskip(SKIP_1) | instid1(VALU_DEP_1)
	v_pk_fma_f32 v[110:111], v[118:119], v[12:13] /*v[268:269]*/, v[108:109] neg_lo:[0,0,1] neg_hi:[0,0,1]
	v_pk_fma_f32 v[108:109], v[118:119], v[12:13] /*v[268:269]*/, v[108:109] op_sel_hi:[1,0,1]
	v_mov_b32_e32 v111, v109
	scratch_load_b64 v[108:109], off, off offset:64
	s_set_vgpr_msb 0                        ;  msbs: dst=0 src0=0 src1=0 src2=0
	v_pk_add_f32 v[106:107], v[106:107], v[110:111]
	s_wait_loadcnt 0x0
	s_delay_alu instid0(VALU_DEP_1)
	v_pk_add_f32 v[106:107], v[108:109], v[106:107] neg_lo:[0,1] neg_hi:[0,1]
	scratch_store_b64 off, v[106:107], off offset:64
	s_wait_xcnt 0x0
	v_cmpx_lt_u32_e32 7, v0
	s_cbranch_execz .LBB51_311
; %bb.310:
	scratch_load_b64 v[106:107], off, off offset:56
	v_mov_b64_e32 v[108:109], 0
	scratch_store_b64 off, v[108:109], off offset:56
	s_wait_loadcnt 0x0
	ds_store_b64 v1, v[106:107]
.LBB51_311:
	s_wait_xcnt 0x0
	s_or_b32 exec_lo, exec_lo, s0
	s_wait_storecnt_dscnt 0x0
	s_barrier_signal -1
	s_barrier_wait -1
	ds_load_b128 v[106:109], v5 offset:480
	ds_load_b128 v[110:113], v5 offset:496
	ds_load_b128 v[114:117], v5 offset:512
	ds_load_b128 v[118:121], v5 offset:528
	s_clause 0x11
	scratch_load_b128 v[122:125], off, off offset:64
	scratch_load_b128 v[126:129], off, off offset:80
	;; [unrolled: 1-line block ×18, first 2 shown]
	ds_load_b128 v[138:141], v5 offset:544
	ds_load_b128 v[146:149], v5 offset:560
	ds_load_b128 v[234:237], v5 offset:736
	ds_load_b128 v[242:245], v5 offset:752
	ds_load_b128 v[154:157], v5 offset:576
	ds_load_b128 v[162:165], v5 offset:592
	ds_load_b128 v[170:173], v5 offset:608
	ds_load_b128 v[178:181], v5 offset:624
	ds_load_b128 v[186:189], v5 offset:640
	ds_load_b128 v[194:197], v5 offset:656
	ds_load_b128 v[202:205], v5 offset:672
	ds_load_b128 v[210:213], v5 offset:688
	ds_load_b128 v[218:221], v5 offset:704
	ds_load_b128 v[226:229], v5 offset:720
	s_clause 0x4
	scratch_load_b128 v[250:253], off, off offset:352
	scratch_load_b128 v[254:257], off, off offset:368
	s_set_vgpr_msb 64                       ;  msbs: dst=1 src0=0 src1=0 src2=0
	scratch_load_b128 v[2:5] /*v[258:261]*/, off, off offset:384
	scratch_load_b128 v[6:9] /*v[262:265]*/, off, off offset:400
	s_mov_b32 s0, exec_lo
	s_wait_loadcnt_dscnt 0x1511
	s_set_vgpr_msb 0                        ;  msbs: dst=0 src0=0 src1=0 src2=0
	v_dual_mul_f32 v9, v106, v123 :: v_dual_mul_f32 v11, v108, v125
	s_delay_alu instid0(VALU_DEP_1) | instskip(NEXT) | instid1(VALU_DEP_1)
	v_dual_fmac_f32 v9, v107, v122 :: v_dual_fmac_f32 v11, v109, v124
	v_add_f32_e32 v9, 0, v9
	s_delay_alu instid0(VALU_DEP_1)
	v_add_f32_e32 v9, v9, v11
	s_wait_loadcnt_dscnt 0x1410
	v_mul_f32_e32 v11, v110, v127
	s_wait_loadcnt_dscnt 0x40a
	s_set_vgpr_msb 64                       ;  msbs: dst=1 src0=0 src1=0 src2=0
	v_dual_mul_f32 v13 /*v269*/, v242, v247 :: v_dual_mul_f32 v15 /*v271*/, v244, v249
	s_set_vgpr_msb 0                        ;  msbs: dst=0 src0=0 src1=0 src2=0
	v_fmac_f32_e32 v11, v111, v126
	s_set_vgpr_msb 64                       ;  msbs: dst=1 src0=0 src1=0 src2=0
	s_delay_alu instid0(VALU_DEP_2) | instskip(SKIP_1) | instid1(VALU_DEP_2)
	v_dual_fmac_f32 v13 /*v269*/, v243, v246 :: v_dual_fmac_f32 v15 /*v271*/, v245, v248
	s_set_vgpr_msb 0                        ;  msbs: dst=0 src0=0 src1=0 src2=0
	v_dual_add_f32 v9, v9, v11 :: v_dual_mul_f32 v11, v112, v129
	s_delay_alu instid0(VALU_DEP_1) | instskip(NEXT) | instid1(VALU_DEP_1)
	v_fmac_f32_e32 v11, v113, v128
	v_add_f32_e32 v9, v9, v11
	v_mul_f32_e32 v11, v114, v131
	s_delay_alu instid0(VALU_DEP_1) | instskip(NEXT) | instid1(VALU_DEP_1)
	v_fmac_f32_e32 v11, v115, v130
	v_dual_add_f32 v9, v9, v11 :: v_dual_mul_f32 v11, v116, v133
	s_delay_alu instid0(VALU_DEP_1) | instskip(NEXT) | instid1(VALU_DEP_1)
	v_fmac_f32_e32 v11, v117, v132
	v_add_f32_e32 v9, v9, v11
	v_mul_f32_e32 v11, v118, v135
	s_delay_alu instid0(VALU_DEP_1) | instskip(NEXT) | instid1(VALU_DEP_1)
	v_fmac_f32_e32 v11, v119, v134
	;; [unrolled: 7-line block ×4, first 2 shown]
	v_dual_add_f32 v9, v9, v11 :: v_dual_mul_f32 v11, v148, v153
	s_delay_alu instid0(VALU_DEP_1) | instskip(NEXT) | instid1(VALU_DEP_1)
	v_fmac_f32_e32 v11, v149, v152
	v_add_f32_e32 v9, v9, v11
	s_wait_dscnt 0x9
	v_mul_f32_e32 v11, v154, v159
	s_delay_alu instid0(VALU_DEP_1) | instskip(NEXT) | instid1(VALU_DEP_1)
	v_fmac_f32_e32 v11, v155, v158
	v_dual_add_f32 v9, v9, v11 :: v_dual_mul_f32 v11, v156, v161
	s_delay_alu instid0(VALU_DEP_1) | instskip(NEXT) | instid1(VALU_DEP_1)
	v_fmac_f32_e32 v11, v157, v160
	v_add_f32_e32 v9, v9, v11
	s_wait_dscnt 0x8
	v_mul_f32_e32 v11, v162, v167
	s_delay_alu instid0(VALU_DEP_1) | instskip(NEXT) | instid1(VALU_DEP_1)
	v_fmac_f32_e32 v11, v163, v166
	;; [unrolled: 8-line block ×10, first 2 shown]
	v_dual_add_f32 v9, v9, v11 :: v_dual_mul_f32 v11, v228, v233
	s_delay_alu instid0(VALU_DEP_1) | instskip(NEXT) | instid1(VALU_DEP_1)
	v_fmac_f32_e32 v11, v229, v232
	v_add_f32_e32 v9, v9, v11
	v_mul_f32_e32 v11, v234, v239
	s_delay_alu instid0(VALU_DEP_1) | instskip(NEXT) | instid1(VALU_DEP_1)
	v_fmac_f32_e32 v11, v235, v238
	v_dual_add_f32 v9, v9, v11 :: v_dual_mul_f32 v11, v236, v241
	s_delay_alu instid0(VALU_DEP_1) | instskip(SKIP_1) | instid1(VALU_DEP_1)
	v_fmac_f32_e32 v11, v237, v240
	s_set_vgpr_msb 64                       ;  msbs: dst=1 src0=0 src1=0 src2=0
	v_add_f32_e32 v11 /*v267*/, v9, v11
	s_set_vgpr_msb 0                        ;  msbs: dst=0 src0=0 src1=0 src2=0
	v_dual_mul_f32 v9, v107, v123 :: v_dual_mul_f32 v11, v109, v125
	s_delay_alu instid0(VALU_DEP_1) | instskip(NEXT) | instid1(VALU_DEP_1)
	v_dual_fma_f32 v9, v106, v122, -v9 :: v_dual_fma_f32 v11, v108, v124, -v11
	v_add_f32_e32 v9, 0, v9
	s_delay_alu instid0(VALU_DEP_1) | instskip(SKIP_1) | instid1(VALU_DEP_1)
	v_add_f32_e32 v9, v9, v11
	v_mul_f32_e32 v11, v111, v127
	v_fma_f32 v11, v110, v126, -v11
	s_delay_alu instid0(VALU_DEP_1) | instskip(SKIP_1) | instid1(VALU_DEP_1)
	v_add_f32_e32 v9, v9, v11
	v_mul_f32_e32 v11, v113, v129
	v_fma_f32 v11, v112, v128, -v11
	;; [unrolled: 4-line block ×6, first 2 shown]
	ds_load_b128 v[106:109], v5 offset:768
	ds_load_b128 v[110:113], v5 offset:784
	;; [unrolled: 1-line block ×4, first 2 shown]
	v_add_f32_e32 v9, v9, v11
	v_mul_f32_e32 v11, v139, v143
	s_delay_alu instid0(VALU_DEP_1) | instskip(NEXT) | instid1(VALU_DEP_1)
	v_fma_f32 v11, v138, v142, -v11
	v_add_f32_e32 v9, v9, v11
	v_mul_f32_e32 v11, v141, v145
	s_wait_loadcnt_dscnt 0x303
	v_pk_mul_f32 v[124:125], v[106:107], v[250:251] op_sel:[1,1] op_sel_hi:[0,1]
	s_delay_alu instid0(VALU_DEP_2) | instskip(NEXT) | instid1(VALU_DEP_2)
	v_fma_f32 v11, v140, v144, -v11
	v_pk_fma_f32 v[126:127], v[106:107], v[250:251], v[124:125] neg_lo:[0,0,1] neg_hi:[0,0,1]
	v_pk_fma_f32 v[106:107], v[106:107], v[250:251], v[124:125] op_sel_hi:[1,0,1]
	v_mov_b32_e32 v124, v253
	s_delay_alu instid0(VALU_DEP_4) | instskip(SKIP_1) | instid1(VALU_DEP_1)
	v_add_f32_e32 v9, v9, v11
	v_mul_f32_e32 v11, v147, v151
	v_dual_mov_b32 v127, v107 :: v_dual_fma_f32 v11, v146, v150, -v11
	s_delay_alu instid0(VALU_DEP_1) | instskip(SKIP_1) | instid1(VALU_DEP_1)
	v_add_f32_e32 v9, v9, v11
	v_mul_f32_e32 v11, v149, v153
	v_fma_f32 v11, v148, v152, -v11
	s_delay_alu instid0(VALU_DEP_1) | instskip(SKIP_1) | instid1(VALU_DEP_1)
	v_add_f32_e32 v9, v9, v11
	v_mul_f32_e32 v11, v155, v159
	v_fma_f32 v11, v154, v158, -v11
	;; [unrolled: 4-line block ×23, first 2 shown]
	s_set_vgpr_msb 64                       ;  msbs: dst=1 src0=0 src1=0 src2=0
	s_delay_alu instid0(VALU_DEP_1) | instskip(SKIP_3) | instid1(VALU_DEP_1)
	v_add_f32_e32 v10 /*v266*/, v9, v11
	s_set_vgpr_msb 0                        ;  msbs: dst=0 src0=0 src1=0 src2=0
	v_mul_f32_e32 v9, v243, v247
	s_set_vgpr_msb 64                       ;  msbs: dst=1 src0=0 src1=0 src2=0
	v_fma_f32 v12 /*v268*/, v242, v246, -v9
	s_set_vgpr_msb 0                        ;  msbs: dst=0 src0=0 src1=0 src2=0
	v_mul_f32_e32 v9, v245, v249
	s_set_vgpr_msb 5                        ;  msbs: dst=0 src0=1 src1=1 src2=0
	s_delay_alu instid0(VALU_DEP_2) | instskip(SKIP_1) | instid1(VALU_DEP_2)
	v_pk_add_f32 v[122:123], v[10:11] /*v[266:267]*/, v[12:13] /*v[268:269]*/
	s_set_vgpr_msb 64                       ;  msbs: dst=1 src0=0 src1=0 src2=0
	v_fma_f32 v14 /*v270*/, v244, v248, -v9
	s_set_vgpr_msb 4                        ;  msbs: dst=0 src0=0 src1=1 src2=0
	s_delay_alu instid0(VALU_DEP_1) | instskip(SKIP_1) | instid1(VALU_DEP_1)
	v_pk_add_f32 v[122:123], v[122:123], v[14:15] /*v[270:271]*/
	s_set_vgpr_msb 0                        ;  msbs: dst=0 src0=0 src1=0 src2=0
	v_pk_add_f32 v[106:107], v[122:123], v[126:127]
	v_dual_mov_b32 v122, v109 :: v_dual_mov_b32 v123, v108
	s_delay_alu instid0(VALU_DEP_1) | instskip(NEXT) | instid1(VALU_DEP_1)
	v_pk_mul_f32 v[122:123], v[122:123], v[124:125] op_sel_hi:[1,0]
	v_pk_fma_f32 v[124:125], v[108:109], v[252:253], v[122:123] neg_lo:[0,0,1] neg_hi:[0,0,1]
	v_pk_fma_f32 v[108:109], v[108:109], v[252:253], v[122:123] op_sel_hi:[1,0,1]
	s_delay_alu instid0(VALU_DEP_1) | instskip(SKIP_2) | instid1(VALU_DEP_2)
	v_mov_b32_e32 v125, v109
	s_wait_loadcnt_dscnt 0x202
	v_pk_mul_f32 v[108:109], v[110:111], v[254:255] op_sel:[1,1] op_sel_hi:[0,1]
	v_pk_add_f32 v[106:107], v[106:107], v[124:125]
	s_delay_alu instid0(VALU_DEP_2)
	v_pk_fma_f32 v[122:123], v[110:111], v[254:255], v[108:109] neg_lo:[0,0,1] neg_hi:[0,0,1]
	v_pk_fma_f32 v[108:109], v[110:111], v[254:255], v[108:109] op_sel_hi:[1,0,1]
	v_mov_b32_e32 v108, v113
	s_set_vgpr_msb 1                        ;  msbs: dst=0 src0=1 src1=0 src2=0
	v_mov_b32_e32 v110, v1 /*v257*/
	s_set_vgpr_msb 0                        ;  msbs: dst=0 src0=0 src1=0 src2=0
	v_dual_mov_b32 v123, v109 :: v_dual_mov_b32 v109, v112
	s_delay_alu instid0(VALU_DEP_1) | instskip(NEXT) | instid1(VALU_DEP_2)
	v_pk_add_f32 v[106:107], v[106:107], v[122:123]
	v_pk_mul_f32 v[108:109], v[108:109], v[110:111] op_sel_hi:[1,0]
	s_set_vgpr_msb 4                        ;  msbs: dst=0 src0=0 src1=1 src2=0
	s_delay_alu instid0(VALU_DEP_1) | instskip(SKIP_1) | instid1(VALU_DEP_1)
	v_pk_fma_f32 v[110:111], v[112:113], v[0:1] /*v[256:257]*/, v[108:109] neg_lo:[0,0,1] neg_hi:[0,0,1]
	v_pk_fma_f32 v[108:109], v[112:113], v[0:1] /*v[256:257]*/, v[108:109] op_sel_hi:[1,0,1]
	v_mov_b32_e32 v111, v109
	s_wait_loadcnt_dscnt 0x101
	v_pk_mul_f32 v[108:109], v[114:115], v[2:3] /*v[258:259]*/ op_sel:[1,1] op_sel_hi:[0,1]
	s_set_vgpr_msb 0                        ;  msbs: dst=0 src0=0 src1=0 src2=0
	s_delay_alu instid0(VALU_DEP_2) | instskip(SKIP_1) | instid1(VALU_DEP_2)
	v_pk_add_f32 v[106:107], v[106:107], v[110:111]
	s_set_vgpr_msb 4                        ;  msbs: dst=0 src0=0 src1=1 src2=0
	v_pk_fma_f32 v[110:111], v[114:115], v[2:3] /*v[258:259]*/, v[108:109] neg_lo:[0,0,1] neg_hi:[0,0,1]
	v_pk_fma_f32 v[108:109], v[114:115], v[2:3] /*v[258:259]*/, v[108:109] op_sel_hi:[1,0,1]
	s_delay_alu instid0(VALU_DEP_1) | instskip(SKIP_2) | instid1(VALU_DEP_2)
	v_dual_mov_b32 v108, v117 :: v_dual_mov_b32 v111, v109
	v_mov_b32_e32 v109, v116
	s_set_vgpr_msb 0                        ;  msbs: dst=0 src0=0 src1=0 src2=0
	v_pk_add_f32 v[106:107], v[106:107], v[110:111]
	s_set_vgpr_msb 1                        ;  msbs: dst=0 src0=1 src1=0 src2=0
	v_mov_b32_e32 v110, v5 /*v261*/
	s_set_vgpr_msb 0                        ;  msbs: dst=0 src0=0 src1=0 src2=0
	s_delay_alu instid0(VALU_DEP_1) | instskip(SKIP_1) | instid1(VALU_DEP_1)
	v_pk_mul_f32 v[108:109], v[108:109], v[110:111] op_sel_hi:[1,0]
	s_set_vgpr_msb 4                        ;  msbs: dst=0 src0=0 src1=1 src2=0
	v_pk_fma_f32 v[110:111], v[116:117], v[4:5] /*v[260:261]*/, v[108:109] neg_lo:[0,0,1] neg_hi:[0,0,1]
	v_pk_fma_f32 v[108:109], v[116:117], v[4:5] /*v[260:261]*/, v[108:109] op_sel_hi:[1,0,1]
	s_delay_alu instid0(VALU_DEP_1) | instskip(SKIP_3) | instid1(VALU_DEP_2)
	v_mov_b32_e32 v111, v109
	s_wait_loadcnt_dscnt 0x0
	v_pk_mul_f32 v[108:109], v[118:119], v[6:7] /*v[262:263]*/ op_sel:[1,1] op_sel_hi:[0,1]
	s_set_vgpr_msb 0                        ;  msbs: dst=0 src0=0 src1=0 src2=0
	v_pk_add_f32 v[106:107], v[106:107], v[110:111]
	s_set_vgpr_msb 4                        ;  msbs: dst=0 src0=0 src1=1 src2=0
	s_delay_alu instid0(VALU_DEP_2) | instskip(SKIP_1) | instid1(VALU_DEP_1)
	v_pk_fma_f32 v[110:111], v[118:119], v[6:7] /*v[262:263]*/, v[108:109] neg_lo:[0,0,1] neg_hi:[0,0,1]
	v_pk_fma_f32 v[108:109], v[118:119], v[6:7] /*v[262:263]*/, v[108:109] op_sel_hi:[1,0,1]
	v_dual_mov_b32 v108, v121 :: v_dual_mov_b32 v111, v109
	v_mov_b32_e32 v109, v120
	s_set_vgpr_msb 0                        ;  msbs: dst=0 src0=0 src1=0 src2=0
	s_delay_alu instid0(VALU_DEP_2) | instskip(SKIP_3) | instid1(VALU_DEP_1)
	v_pk_add_f32 v[106:107], v[106:107], v[110:111]
	s_set_vgpr_msb 1                        ;  msbs: dst=0 src0=1 src1=0 src2=0
	v_mov_b32_e32 v110, v9 /*v265*/
	s_set_vgpr_msb 0                        ;  msbs: dst=0 src0=0 src1=0 src2=0
	v_pk_mul_f32 v[108:109], v[108:109], v[110:111] op_sel_hi:[1,0]
	s_set_vgpr_msb 4                        ;  msbs: dst=0 src0=0 src1=1 src2=0
	s_delay_alu instid0(VALU_DEP_1) | instskip(SKIP_1) | instid1(VALU_DEP_1)
	v_pk_fma_f32 v[110:111], v[120:121], v[8:9] /*v[264:265]*/, v[108:109] neg_lo:[0,0,1] neg_hi:[0,0,1]
	v_pk_fma_f32 v[108:109], v[120:121], v[8:9] /*v[264:265]*/, v[108:109] op_sel_hi:[1,0,1]
	v_mov_b32_e32 v111, v109
	scratch_load_b64 v[108:109], off, off offset:56
	s_set_vgpr_msb 0                        ;  msbs: dst=0 src0=0 src1=0 src2=0
	v_pk_add_f32 v[106:107], v[106:107], v[110:111]
	s_wait_loadcnt 0x0
	s_delay_alu instid0(VALU_DEP_1)
	v_pk_add_f32 v[106:107], v[108:109], v[106:107] neg_lo:[0,1] neg_hi:[0,1]
	scratch_store_b64 off, v[106:107], off offset:56
	s_wait_xcnt 0x0
	v_cmpx_lt_u32_e32 6, v0
	s_cbranch_execz .LBB51_313
; %bb.312:
	scratch_load_b64 v[106:107], off, off offset:48
	v_mov_b64_e32 v[108:109], 0
	scratch_store_b64 off, v[108:109], off offset:48
	s_wait_loadcnt 0x0
	ds_store_b64 v1, v[106:107]
.LBB51_313:
	s_wait_xcnt 0x0
	s_or_b32 exec_lo, exec_lo, s0
	s_wait_storecnt_dscnt 0x0
	s_barrier_signal -1
	s_barrier_wait -1
	s_clause 0xf
	scratch_load_b128 v[110:113], off, off offset:56
	scratch_load_b128 v[118:121], off, off offset:72
	;; [unrolled: 1-line block ×16, first 2 shown]
	v_mov_b32_e32 v5, 0
	s_clause 0x2
	scratch_load_b128 v[238:241], off, off offset:312
	scratch_load_b128 v[246:249], off, off offset:328
	;; [unrolled: 1-line block ×3, first 2 shown]
	s_mov_b32 s0, exec_lo
	ds_load_2addr_b64 v[106:109], v5 offset0:59 offset1:60
	ds_load_2addr_b64 v[114:117], v5 offset0:61 offset1:62
	s_wait_loadcnt_dscnt 0x1201
	v_dual_mul_f32 v9, v106, v111 :: v_dual_mul_f32 v11, v108, v113
	ds_load_2addr_b64 v[122:125], v5 offset0:63 offset1:64
	ds_load_2addr_b64 v[130:133], v5 offset0:65 offset1:66
	;; [unrolled: 1-line block ×4, first 2 shown]
	v_dual_fmac_f32 v9, v107, v110 :: v_dual_fmac_f32 v11, v109, v112
	ds_load_2addr_b64 v[138:141], v5 offset0:67 offset1:68
	ds_load_2addr_b64 v[146:149], v5 offset0:69 offset1:70
	;; [unrolled: 1-line block ×3, first 2 shown]
	v_add_f32_e32 v9, 0, v9
	ds_load_2addr_b64 v[154:157], v5 offset0:71 offset1:72
	ds_load_2addr_b64 v[162:165], v5 offset0:73 offset1:74
	;; [unrolled: 1-line block ×4, first 2 shown]
	v_add_f32_e32 v9, v9, v11
	s_wait_loadcnt_dscnt 0x110b
	v_mul_f32_e32 v11, v114, v119
	ds_load_2addr_b64 v[186:189], v5 offset0:79 offset1:80
	ds_load_2addr_b64 v[194:197], v5 offset0:81 offset1:82
	;; [unrolled: 1-line block ×4, first 2 shown]
	v_fmac_f32_e32 v11, v115, v118
	ds_load_2addr_b64 v[218:221], v5 offset0:87 offset1:88
	ds_load_2addr_b64 v[226:229], v5 offset0:89 offset1:90
	s_set_vgpr_msb 64                       ;  msbs: dst=1 src0=0 src1=0 src2=0
	s_clause 0x3
	scratch_load_b128 v[2:5] /*v[258:261]*/, off, off offset:360
	scratch_load_b128 v[6:9] /*v[262:265]*/, off, off offset:376
	;; [unrolled: 1-line block ×3, first 2 shown]
	scratch_load_b64 v[20:21] /*v[276:277]*/, off, off offset:408
	s_wait_loadcnt_dscnt 0x50d
	v_mul_f32_e32 v17 /*v273*/, v244, v249
	s_set_vgpr_msb 0                        ;  msbs: dst=0 src0=0 src1=0 src2=0
	v_dual_add_f32 v9, v9, v11 :: v_dual_mul_f32 v11, v116, v121
	s_wait_loadcnt_dscnt 0x40a
	s_set_vgpr_msb 64                       ;  msbs: dst=1 src0=0 src1=0 src2=0
	v_dual_mul_f32 v19 /*v275*/, v250, v255 :: v_dual_fmac_f32 v17 /*v273*/, v245, v248
	s_set_vgpr_msb 0                        ;  msbs: dst=0 src0=0 src1=0 src2=0
	v_fmac_f32_e32 v11, v117, v120
	s_delay_alu instid0(VALU_DEP_1) | instskip(SKIP_1) | instid1(VALU_DEP_1)
	v_add_f32_e32 v9, v9, v11
	v_mul_f32_e32 v11, v122, v127
	v_fmac_f32_e32 v11, v123, v126
	s_delay_alu instid0(VALU_DEP_1) | instskip(NEXT) | instid1(VALU_DEP_1)
	v_dual_add_f32 v9, v9, v11 :: v_dual_mul_f32 v11, v124, v129
	v_fmac_f32_e32 v11, v125, v128
	s_delay_alu instid0(VALU_DEP_1) | instskip(SKIP_1) | instid1(VALU_DEP_1)
	v_add_f32_e32 v9, v9, v11
	v_mul_f32_e32 v11, v130, v135
	v_fmac_f32_e32 v11, v131, v134
	s_delay_alu instid0(VALU_DEP_1) | instskip(NEXT) | instid1(VALU_DEP_1)
	v_dual_add_f32 v9, v9, v11 :: v_dual_mul_f32 v11, v132, v137
	;; [unrolled: 7-line block ×4, first 2 shown]
	v_fmac_f32_e32 v11, v149, v152
	s_delay_alu instid0(VALU_DEP_1) | instskip(SKIP_2) | instid1(VALU_DEP_1)
	v_add_f32_e32 v9, v9, v11
	s_wait_dscnt 0x9
	v_mul_f32_e32 v11, v154, v159
	v_fmac_f32_e32 v11, v155, v158
	s_delay_alu instid0(VALU_DEP_1) | instskip(NEXT) | instid1(VALU_DEP_1)
	v_dual_add_f32 v9, v9, v11 :: v_dual_mul_f32 v11, v156, v161
	v_fmac_f32_e32 v11, v157, v160
	s_delay_alu instid0(VALU_DEP_1) | instskip(SKIP_2) | instid1(VALU_DEP_1)
	v_add_f32_e32 v9, v9, v11
	s_wait_dscnt 0x8
	v_mul_f32_e32 v11, v162, v167
	v_fmac_f32_e32 v11, v163, v166
	s_delay_alu instid0(VALU_DEP_1) | instskip(NEXT) | instid1(VALU_DEP_1)
	v_dual_add_f32 v9, v9, v11 :: v_dual_mul_f32 v11, v164, v169
	;; [unrolled: 8-line block ×10, first 2 shown]
	v_fmac_f32_e32 v11, v229, v232
	s_delay_alu instid0(VALU_DEP_1) | instskip(SKIP_1) | instid1(VALU_DEP_1)
	v_add_f32_e32 v9, v9, v11
	v_mul_f32_e32 v11, v234, v239
	v_fmac_f32_e32 v11, v235, v238
	s_delay_alu instid0(VALU_DEP_1) | instskip(NEXT) | instid1(VALU_DEP_1)
	v_dual_add_f32 v9, v9, v11 :: v_dual_mul_f32 v11, v236, v241
	v_fmac_f32_e32 v11, v237, v240
	s_delay_alu instid0(VALU_DEP_1) | instskip(SKIP_1) | instid1(VALU_DEP_1)
	v_add_f32_e32 v9, v9, v11
	v_mul_f32_e32 v11, v242, v247
	v_fmac_f32_e32 v11, v243, v246
	s_set_vgpr_msb 64                       ;  msbs: dst=1 src0=0 src1=0 src2=0
	s_delay_alu instid0(VALU_DEP_1) | instskip(SKIP_2) | instid1(VALU_DEP_1)
	v_add_f32_e32 v15 /*v271*/, v9, v11
	s_set_vgpr_msb 0                        ;  msbs: dst=0 src0=0 src1=0 src2=0
	v_dual_mul_f32 v9, v107, v111 :: v_dual_mul_f32 v11, v109, v113
	v_dual_fma_f32 v9, v106, v110, -v9 :: v_dual_fma_f32 v11, v108, v112, -v11
	s_delay_alu instid0(VALU_DEP_1) | instskip(NEXT) | instid1(VALU_DEP_1)
	v_add_f32_e32 v9, 0, v9
	v_add_f32_e32 v9, v9, v11
	v_mul_f32_e32 v11, v115, v119
	s_delay_alu instid0(VALU_DEP_1) | instskip(NEXT) | instid1(VALU_DEP_1)
	v_fma_f32 v11, v114, v118, -v11
	v_add_f32_e32 v9, v9, v11
	v_mul_f32_e32 v11, v117, v121
	s_delay_alu instid0(VALU_DEP_1)
	v_fma_f32 v11, v116, v120, -v11
	ds_load_2addr_b64 v[106:109], v5 offset0:97 offset1:98
	ds_load_2addr_b64 v[110:113], v5 offset0:99 offset1:100
	;; [unrolled: 1-line block ×3, first 2 shown]
	ds_load_b64 v[118:119], v5 offset:824
	v_add_f32_e32 v9, v9, v11
	v_dual_mul_f32 v11, v123, v127 :: v_dual_mov_b32 v123, v252
	s_delay_alu instid0(VALU_DEP_1) | instskip(NEXT) | instid1(VALU_DEP_1)
	v_dual_fma_f32 v11, v122, v126, -v11 :: v_dual_mov_b32 v122, v253
	v_add_f32_e32 v9, v9, v11
	v_mul_f32_e32 v11, v125, v129
	s_delay_alu instid0(VALU_DEP_1) | instskip(SKIP_3) | instid1(VALU_DEP_2)
	v_fma_f32 v11, v124, v128, -v11
	s_set_vgpr_msb 1                        ;  msbs: dst=0 src0=1 src1=0 src2=0
	v_mov_b32_e32 v124, v1 /*v257*/
	s_set_vgpr_msb 0                        ;  msbs: dst=0 src0=0 src1=0 src2=0
	v_add_f32_e32 v9, v9, v11
	v_mul_f32_e32 v11, v131, v135
	s_delay_alu instid0(VALU_DEP_3) | instskip(NEXT) | instid1(VALU_DEP_2)
	v_pk_mul_f32 v[122:123], v[122:123], v[124:125] op_sel_hi:[1,0]
	v_fma_f32 v11, v130, v134, -v11
	s_set_vgpr_msb 4                        ;  msbs: dst=0 src0=0 src1=1 src2=0
	s_delay_alu instid0(VALU_DEP_2) | instskip(SKIP_3) | instid1(VALU_DEP_2)
	v_pk_fma_f32 v[124:125], v[252:253], v[0:1] /*v[256:257]*/, v[122:123] neg_lo:[0,0,1] neg_hi:[0,0,1]
	v_pk_fma_f32 v[122:123], v[252:253], v[0:1] /*v[256:257]*/, v[122:123] op_sel_hi:[1,0,1]
	s_set_vgpr_msb 0                        ;  msbs: dst=0 src0=0 src1=0 src2=0
	v_add_f32_e32 v9, v9, v11
	v_dual_mul_f32 v11, v133, v137 :: v_dual_mov_b32 v125, v123
	s_wait_loadcnt_dscnt 0x303
	s_set_vgpr_msb 4                        ;  msbs: dst=0 src0=0 src1=1 src2=0
	v_pk_mul_f32 v[122:123], v[106:107], v[2:3] /*v[258:259]*/ op_sel:[1,1] op_sel_hi:[0,1]
	s_set_vgpr_msb 0                        ;  msbs: dst=0 src0=0 src1=0 src2=0
	v_fma_f32 v11, v132, v136, -v11
	s_delay_alu instid0(VALU_DEP_1) | instskip(SKIP_1) | instid1(VALU_DEP_1)
	v_add_f32_e32 v9, v9, v11
	v_mul_f32_e32 v11, v139, v143
	v_fma_f32 v11, v138, v142, -v11
	s_delay_alu instid0(VALU_DEP_1) | instskip(SKIP_1) | instid1(VALU_DEP_1)
	v_add_f32_e32 v9, v9, v11
	v_mul_f32_e32 v11, v141, v145
	v_fma_f32 v11, v140, v144, -v11
	s_delay_alu instid0(VALU_DEP_1) | instskip(SKIP_1) | instid1(VALU_DEP_1)
	v_add_f32_e32 v9, v9, v11
	v_mul_f32_e32 v11, v147, v151
	v_fma_f32 v11, v146, v150, -v11
	s_delay_alu instid0(VALU_DEP_1) | instskip(SKIP_1) | instid1(VALU_DEP_1)
	v_add_f32_e32 v9, v9, v11
	v_mul_f32_e32 v11, v149, v153
	v_fma_f32 v11, v148, v152, -v11
	s_delay_alu instid0(VALU_DEP_1) | instskip(SKIP_1) | instid1(VALU_DEP_1)
	v_add_f32_e32 v9, v9, v11
	v_mul_f32_e32 v11, v155, v159
	v_fma_f32 v11, v154, v158, -v11
	s_delay_alu instid0(VALU_DEP_1) | instskip(SKIP_1) | instid1(VALU_DEP_1)
	v_add_f32_e32 v9, v9, v11
	v_mul_f32_e32 v11, v157, v161
	v_fma_f32 v11, v156, v160, -v11
	s_delay_alu instid0(VALU_DEP_1) | instskip(SKIP_1) | instid1(VALU_DEP_1)
	v_add_f32_e32 v9, v9, v11
	v_mul_f32_e32 v11, v163, v167
	v_fma_f32 v11, v162, v166, -v11
	s_delay_alu instid0(VALU_DEP_1) | instskip(SKIP_1) | instid1(VALU_DEP_1)
	v_add_f32_e32 v9, v9, v11
	v_mul_f32_e32 v11, v165, v169
	v_fma_f32 v11, v164, v168, -v11
	s_delay_alu instid0(VALU_DEP_1) | instskip(SKIP_1) | instid1(VALU_DEP_1)
	v_add_f32_e32 v9, v9, v11
	v_mul_f32_e32 v11, v171, v175
	v_fma_f32 v11, v170, v174, -v11
	s_delay_alu instid0(VALU_DEP_1) | instskip(SKIP_1) | instid1(VALU_DEP_1)
	v_add_f32_e32 v9, v9, v11
	v_mul_f32_e32 v11, v173, v177
	v_fma_f32 v11, v172, v176, -v11
	s_delay_alu instid0(VALU_DEP_1) | instskip(SKIP_1) | instid1(VALU_DEP_1)
	v_add_f32_e32 v9, v9, v11
	v_mul_f32_e32 v11, v179, v183
	v_fma_f32 v11, v178, v182, -v11
	s_delay_alu instid0(VALU_DEP_1) | instskip(SKIP_1) | instid1(VALU_DEP_1)
	v_add_f32_e32 v9, v9, v11
	v_mul_f32_e32 v11, v181, v185
	v_fma_f32 v11, v180, v184, -v11
	s_delay_alu instid0(VALU_DEP_1) | instskip(SKIP_1) | instid1(VALU_DEP_1)
	v_add_f32_e32 v9, v9, v11
	v_mul_f32_e32 v11, v187, v191
	v_fma_f32 v11, v186, v190, -v11
	s_delay_alu instid0(VALU_DEP_1) | instskip(SKIP_1) | instid1(VALU_DEP_1)
	v_add_f32_e32 v9, v9, v11
	v_mul_f32_e32 v11, v189, v193
	v_fma_f32 v11, v188, v192, -v11
	s_delay_alu instid0(VALU_DEP_1) | instskip(SKIP_1) | instid1(VALU_DEP_1)
	v_add_f32_e32 v9, v9, v11
	v_mul_f32_e32 v11, v195, v199
	v_fma_f32 v11, v194, v198, -v11
	s_delay_alu instid0(VALU_DEP_1) | instskip(SKIP_1) | instid1(VALU_DEP_1)
	v_add_f32_e32 v9, v9, v11
	v_mul_f32_e32 v11, v197, v201
	v_fma_f32 v11, v196, v200, -v11
	s_delay_alu instid0(VALU_DEP_1) | instskip(SKIP_1) | instid1(VALU_DEP_1)
	v_add_f32_e32 v9, v9, v11
	v_mul_f32_e32 v11, v203, v207
	v_fma_f32 v11, v202, v206, -v11
	s_delay_alu instid0(VALU_DEP_1) | instskip(SKIP_1) | instid1(VALU_DEP_1)
	v_add_f32_e32 v9, v9, v11
	v_mul_f32_e32 v11, v205, v209
	v_fma_f32 v11, v204, v208, -v11
	s_delay_alu instid0(VALU_DEP_1) | instskip(SKIP_1) | instid1(VALU_DEP_1)
	v_add_f32_e32 v9, v9, v11
	v_mul_f32_e32 v11, v211, v215
	v_fma_f32 v11, v210, v214, -v11
	s_delay_alu instid0(VALU_DEP_1) | instskip(SKIP_1) | instid1(VALU_DEP_1)
	v_add_f32_e32 v9, v9, v11
	v_mul_f32_e32 v11, v213, v217
	v_fma_f32 v11, v212, v216, -v11
	s_delay_alu instid0(VALU_DEP_1) | instskip(SKIP_1) | instid1(VALU_DEP_1)
	v_add_f32_e32 v9, v9, v11
	v_mul_f32_e32 v11, v219, v223
	v_fma_f32 v11, v218, v222, -v11
	s_delay_alu instid0(VALU_DEP_1) | instskip(SKIP_1) | instid1(VALU_DEP_1)
	v_add_f32_e32 v9, v9, v11
	v_mul_f32_e32 v11, v221, v225
	v_fma_f32 v11, v220, v224, -v11
	s_delay_alu instid0(VALU_DEP_1) | instskip(SKIP_1) | instid1(VALU_DEP_1)
	v_add_f32_e32 v9, v9, v11
	v_mul_f32_e32 v11, v227, v231
	v_fma_f32 v11, v226, v230, -v11
	s_delay_alu instid0(VALU_DEP_1) | instskip(SKIP_1) | instid1(VALU_DEP_1)
	v_add_f32_e32 v9, v9, v11
	v_mul_f32_e32 v11, v229, v233
	v_fma_f32 v11, v228, v232, -v11
	s_delay_alu instid0(VALU_DEP_1) | instskip(SKIP_1) | instid1(VALU_DEP_1)
	v_add_f32_e32 v9, v9, v11
	v_mul_f32_e32 v11, v235, v239
	v_fma_f32 v11, v234, v238, -v11
	s_delay_alu instid0(VALU_DEP_1) | instskip(SKIP_1) | instid1(VALU_DEP_1)
	v_add_f32_e32 v9, v9, v11
	v_mul_f32_e32 v11, v237, v241
	v_fma_f32 v11, v236, v240, -v11
	s_delay_alu instid0(VALU_DEP_1) | instskip(SKIP_1) | instid1(VALU_DEP_1)
	v_add_f32_e32 v9, v9, v11
	v_mul_f32_e32 v11, v243, v247
	v_fma_f32 v11, v242, v246, -v11
	s_set_vgpr_msb 64                       ;  msbs: dst=1 src0=0 src1=0 src2=0
	s_delay_alu instid0(VALU_DEP_1) | instskip(SKIP_3) | instid1(VALU_DEP_1)
	v_dual_fmac_f32 v19 /*v275*/, v251, v254 :: v_dual_add_f32 v14 /*v270*/, v9, v11
	s_set_vgpr_msb 0                        ;  msbs: dst=0 src0=0 src1=0 src2=0
	v_mul_f32_e32 v9, v245, v249
	s_set_vgpr_msb 64                       ;  msbs: dst=1 src0=0 src1=0 src2=0
	v_fma_f32 v16 /*v272*/, v244, v248, -v9
	s_set_vgpr_msb 0                        ;  msbs: dst=0 src0=0 src1=0 src2=0
	v_mul_f32_e32 v9, v251, v255
	s_set_vgpr_msb 64                       ;  msbs: dst=1 src0=0 src1=0 src2=0
	s_delay_alu instid0(VALU_DEP_1) | instskip(SKIP_3) | instid1(VALU_DEP_1)
	v_fma_f32 v18 /*v274*/, v250, v254, -v9
	s_set_vgpr_msb 5                        ;  msbs: dst=0 src0=1 src1=1 src2=0
	v_pk_add_f32 v[120:121], v[14:15] /*v[270:271]*/, v[16:17] /*v[272:273]*/
	s_set_vgpr_msb 4                        ;  msbs: dst=0 src0=0 src1=1 src2=0
	v_pk_add_f32 v[120:121], v[120:121], v[18:19] /*v[274:275]*/
	s_set_vgpr_msb 0                        ;  msbs: dst=0 src0=0 src1=0 src2=0
	s_delay_alu instid0(VALU_DEP_1)
	v_pk_add_f32 v[120:121], v[120:121], v[124:125]
	s_set_vgpr_msb 4                        ;  msbs: dst=0 src0=0 src1=1 src2=0
	v_pk_fma_f32 v[124:125], v[106:107], v[2:3] /*v[258:259]*/, v[122:123] neg_lo:[0,0,1] neg_hi:[0,0,1]
	v_pk_fma_f32 v[106:107], v[106:107], v[2:3] /*v[258:259]*/, v[122:123] op_sel_hi:[1,0,1]
	s_set_vgpr_msb 1                        ;  msbs: dst=0 src0=1 src1=0 src2=0
	v_mov_b32_e32 v122, v5 /*v261*/
	s_set_vgpr_msb 0                        ;  msbs: dst=0 src0=0 src1=0 src2=0
	s_delay_alu instid0(VALU_DEP_2) | instskip(NEXT) | instid1(VALU_DEP_1)
	v_mov_b32_e32 v125, v107
	v_pk_add_f32 v[106:107], v[120:121], v[124:125]
	v_dual_mov_b32 v120, v109 :: v_dual_mov_b32 v121, v108
	s_delay_alu instid0(VALU_DEP_1) | instskip(SKIP_1) | instid1(VALU_DEP_1)
	v_pk_mul_f32 v[120:121], v[120:121], v[122:123] op_sel_hi:[1,0]
	s_set_vgpr_msb 4                        ;  msbs: dst=0 src0=0 src1=1 src2=0
	v_pk_fma_f32 v[122:123], v[108:109], v[4:5] /*v[260:261]*/, v[120:121] neg_lo:[0,0,1] neg_hi:[0,0,1]
	v_pk_fma_f32 v[108:109], v[108:109], v[4:5] /*v[260:261]*/, v[120:121] op_sel_hi:[1,0,1]
	s_delay_alu instid0(VALU_DEP_1) | instskip(SKIP_3) | instid1(VALU_DEP_2)
	v_mov_b32_e32 v123, v109
	s_wait_loadcnt_dscnt 0x202
	v_pk_mul_f32 v[108:109], v[110:111], v[6:7] /*v[262:263]*/ op_sel:[1,1] op_sel_hi:[0,1]
	s_set_vgpr_msb 0                        ;  msbs: dst=0 src0=0 src1=0 src2=0
	v_pk_add_f32 v[106:107], v[106:107], v[122:123]
	s_set_vgpr_msb 4                        ;  msbs: dst=0 src0=0 src1=1 src2=0
	s_delay_alu instid0(VALU_DEP_2)
	v_pk_fma_f32 v[120:121], v[110:111], v[6:7] /*v[262:263]*/, v[108:109] neg_lo:[0,0,1] neg_hi:[0,0,1]
	v_pk_fma_f32 v[108:109], v[110:111], v[6:7] /*v[262:263]*/, v[108:109] op_sel_hi:[1,0,1]
	v_mov_b32_e32 v108, v113
	s_set_vgpr_msb 1                        ;  msbs: dst=0 src0=1 src1=0 src2=0
	v_mov_b32_e32 v110, v9 /*v265*/
	s_set_vgpr_msb 0                        ;  msbs: dst=0 src0=0 src1=0 src2=0
	v_dual_mov_b32 v121, v109 :: v_dual_mov_b32 v109, v112
	s_delay_alu instid0(VALU_DEP_1) | instskip(NEXT) | instid1(VALU_DEP_2)
	v_pk_add_f32 v[106:107], v[106:107], v[120:121]
	v_pk_mul_f32 v[108:109], v[108:109], v[110:111] op_sel_hi:[1,0]
	s_set_vgpr_msb 4                        ;  msbs: dst=0 src0=0 src1=1 src2=0
	s_delay_alu instid0(VALU_DEP_1) | instskip(SKIP_1) | instid1(VALU_DEP_1)
	v_pk_fma_f32 v[110:111], v[112:113], v[8:9] /*v[264:265]*/, v[108:109] neg_lo:[0,0,1] neg_hi:[0,0,1]
	v_pk_fma_f32 v[108:109], v[112:113], v[8:9] /*v[264:265]*/, v[108:109] op_sel_hi:[1,0,1]
	v_mov_b32_e32 v111, v109
	s_wait_loadcnt_dscnt 0x101
	v_pk_mul_f32 v[108:109], v[114:115], v[10:11] /*v[266:267]*/ op_sel:[1,1] op_sel_hi:[0,1]
	s_set_vgpr_msb 0                        ;  msbs: dst=0 src0=0 src1=0 src2=0
	s_delay_alu instid0(VALU_DEP_2) | instskip(SKIP_1) | instid1(VALU_DEP_2)
	v_pk_add_f32 v[106:107], v[106:107], v[110:111]
	s_set_vgpr_msb 4                        ;  msbs: dst=0 src0=0 src1=1 src2=0
	v_pk_fma_f32 v[110:111], v[114:115], v[10:11] /*v[266:267]*/, v[108:109] neg_lo:[0,0,1] neg_hi:[0,0,1]
	v_pk_fma_f32 v[108:109], v[114:115], v[10:11] /*v[266:267]*/, v[108:109] op_sel_hi:[1,0,1]
	s_delay_alu instid0(VALU_DEP_1) | instskip(SKIP_2) | instid1(VALU_DEP_2)
	v_dual_mov_b32 v108, v117 :: v_dual_mov_b32 v111, v109
	v_mov_b32_e32 v109, v116
	s_set_vgpr_msb 0                        ;  msbs: dst=0 src0=0 src1=0 src2=0
	v_pk_add_f32 v[106:107], v[106:107], v[110:111]
	s_set_vgpr_msb 1                        ;  msbs: dst=0 src0=1 src1=0 src2=0
	v_mov_b32_e32 v110, v13 /*v269*/
	s_set_vgpr_msb 0                        ;  msbs: dst=0 src0=0 src1=0 src2=0
	s_delay_alu instid0(VALU_DEP_1) | instskip(SKIP_1) | instid1(VALU_DEP_1)
	v_pk_mul_f32 v[108:109], v[108:109], v[110:111] op_sel_hi:[1,0]
	s_set_vgpr_msb 4                        ;  msbs: dst=0 src0=0 src1=1 src2=0
	v_pk_fma_f32 v[110:111], v[116:117], v[12:13] /*v[268:269]*/, v[108:109] neg_lo:[0,0,1] neg_hi:[0,0,1]
	v_pk_fma_f32 v[108:109], v[116:117], v[12:13] /*v[268:269]*/, v[108:109] op_sel_hi:[1,0,1]
	s_delay_alu instid0(VALU_DEP_1) | instskip(SKIP_3) | instid1(VALU_DEP_2)
	v_mov_b32_e32 v111, v109
	s_wait_loadcnt_dscnt 0x0
	v_pk_mul_f32 v[108:109], v[118:119], v[20:21] /*v[276:277]*/ op_sel:[1,1] op_sel_hi:[0,1]
	s_set_vgpr_msb 0                        ;  msbs: dst=0 src0=0 src1=0 src2=0
	v_pk_add_f32 v[106:107], v[106:107], v[110:111]
	s_set_vgpr_msb 4                        ;  msbs: dst=0 src0=0 src1=1 src2=0
	s_delay_alu instid0(VALU_DEP_2) | instskip(SKIP_1) | instid1(VALU_DEP_1)
	v_pk_fma_f32 v[110:111], v[118:119], v[20:21] /*v[276:277]*/, v[108:109] neg_lo:[0,0,1] neg_hi:[0,0,1]
	v_pk_fma_f32 v[108:109], v[118:119], v[20:21] /*v[276:277]*/, v[108:109] op_sel_hi:[1,0,1]
	v_mov_b32_e32 v111, v109
	scratch_load_b64 v[108:109], off, off offset:48
	s_set_vgpr_msb 0                        ;  msbs: dst=0 src0=0 src1=0 src2=0
	v_pk_add_f32 v[106:107], v[106:107], v[110:111]
	s_wait_loadcnt 0x0
	s_delay_alu instid0(VALU_DEP_1)
	v_pk_add_f32 v[106:107], v[108:109], v[106:107] neg_lo:[0,1] neg_hi:[0,1]
	scratch_store_b64 off, v[106:107], off offset:48
	s_wait_xcnt 0x0
	v_cmpx_lt_u32_e32 5, v0
	s_cbranch_execz .LBB51_315
; %bb.314:
	scratch_load_b64 v[106:107], off, off offset:40
	v_mov_b64_e32 v[108:109], 0
	scratch_store_b64 off, v[108:109], off offset:40
	s_wait_loadcnt 0x0
	ds_store_b64 v1, v[106:107]
.LBB51_315:
	s_wait_xcnt 0x0
	s_or_b32 exec_lo, exec_lo, s0
	s_wait_storecnt_dscnt 0x0
	s_barrier_signal -1
	s_barrier_wait -1
	ds_load_b128 v[106:109], v5 offset:464
	ds_load_b128 v[110:113], v5 offset:480
	;; [unrolled: 1-line block ×4, first 2 shown]
	s_clause 0x12
	scratch_load_b128 v[122:125], off, off offset:48
	scratch_load_b128 v[126:129], off, off offset:64
	;; [unrolled: 1-line block ×19, first 2 shown]
	ds_load_b128 v[138:141], v5 offset:528
	ds_load_b128 v[146:149], v5 offset:544
	;; [unrolled: 1-line block ×15, first 2 shown]
	s_set_vgpr_msb 64                       ;  msbs: dst=1 src0=0 src1=0 src2=0
	s_clause 0x3
	scratch_load_b128 v[2:5] /*v[258:261]*/, off, off offset:352
	scratch_load_b128 v[6:9] /*v[262:265]*/, off, off offset:368
	;; [unrolled: 1-line block ×4, first 2 shown]
	s_mov_b32 s0, exec_lo
	s_wait_loadcnt_dscnt 0x1612
	s_set_vgpr_msb 0                        ;  msbs: dst=0 src0=0 src1=0 src2=0
	v_dual_mul_f32 v9, v106, v123 :: v_dual_mul_f32 v11, v108, v125
	s_delay_alu instid0(VALU_DEP_1) | instskip(NEXT) | instid1(VALU_DEP_1)
	v_dual_fmac_f32 v9, v107, v122 :: v_dual_fmac_f32 v11, v109, v124
	v_add_f32_e32 v9, 0, v9
	s_delay_alu instid0(VALU_DEP_1)
	v_add_f32_e32 v9, v9, v11
	s_wait_loadcnt_dscnt 0x1511
	v_mul_f32_e32 v11, v110, v127
	s_wait_loadcnt_dscnt 0x40c
	s_set_vgpr_msb 64                       ;  msbs: dst=1 src0=0 src1=0 src2=0
	v_mul_f32_e32 v21 /*v277*/, v250, v255
	s_set_vgpr_msb 0                        ;  msbs: dst=0 src0=0 src1=0 src2=0
	v_fmac_f32_e32 v11, v111, v126
	s_delay_alu instid0(VALU_DEP_1) | instskip(NEXT) | instid1(VALU_DEP_1)
	v_dual_add_f32 v9, v9, v11 :: v_dual_mul_f32 v11, v112, v129
	v_fmac_f32_e32 v11, v113, v128
	s_delay_alu instid0(VALU_DEP_1) | instskip(SKIP_1) | instid1(VALU_DEP_1)
	v_add_f32_e32 v9, v9, v11
	v_mul_f32_e32 v11, v114, v131
	v_fmac_f32_e32 v11, v115, v130
	s_delay_alu instid0(VALU_DEP_1) | instskip(NEXT) | instid1(VALU_DEP_1)
	v_dual_add_f32 v9, v9, v11 :: v_dual_mul_f32 v11, v116, v133
	v_fmac_f32_e32 v11, v117, v132
	s_delay_alu instid0(VALU_DEP_1) | instskip(SKIP_1) | instid1(VALU_DEP_1)
	v_add_f32_e32 v9, v9, v11
	v_mul_f32_e32 v11, v118, v135
	v_fmac_f32_e32 v11, v119, v134
	s_delay_alu instid0(VALU_DEP_1) | instskip(NEXT) | instid1(VALU_DEP_1)
	v_dual_add_f32 v9, v9, v11 :: v_dual_mul_f32 v11, v120, v137
	v_fmac_f32_e32 v11, v121, v136
	s_delay_alu instid0(VALU_DEP_1) | instskip(SKIP_1) | instid1(VALU_DEP_1)
	v_add_f32_e32 v9, v9, v11
	v_mul_f32_e32 v11, v138, v143
	v_fmac_f32_e32 v11, v139, v142
	s_delay_alu instid0(VALU_DEP_1) | instskip(NEXT) | instid1(VALU_DEP_1)
	v_dual_add_f32 v9, v9, v11 :: v_dual_mul_f32 v11, v140, v145
	v_fmac_f32_e32 v11, v141, v144
	s_delay_alu instid0(VALU_DEP_1) | instskip(SKIP_1) | instid1(VALU_DEP_1)
	v_add_f32_e32 v9, v9, v11
	v_mul_f32_e32 v11, v146, v151
	v_fmac_f32_e32 v11, v147, v150
	s_delay_alu instid0(VALU_DEP_1) | instskip(NEXT) | instid1(VALU_DEP_1)
	v_dual_add_f32 v9, v9, v11 :: v_dual_mul_f32 v11, v148, v153
	v_fmac_f32_e32 v11, v149, v152
	s_delay_alu instid0(VALU_DEP_1) | instskip(SKIP_2) | instid1(VALU_DEP_1)
	v_add_f32_e32 v9, v9, v11
	s_wait_dscnt 0xb
	v_mul_f32_e32 v11, v154, v159
	v_fmac_f32_e32 v11, v155, v158
	s_delay_alu instid0(VALU_DEP_1) | instskip(NEXT) | instid1(VALU_DEP_1)
	v_dual_add_f32 v9, v9, v11 :: v_dual_mul_f32 v11, v156, v161
	v_fmac_f32_e32 v11, v157, v160
	s_delay_alu instid0(VALU_DEP_1) | instskip(SKIP_2) | instid1(VALU_DEP_1)
	v_add_f32_e32 v9, v9, v11
	s_wait_dscnt 0xa
	v_mul_f32_e32 v11, v162, v167
	v_fmac_f32_e32 v11, v163, v166
	s_delay_alu instid0(VALU_DEP_1) | instskip(NEXT) | instid1(VALU_DEP_1)
	v_dual_add_f32 v9, v9, v11 :: v_dual_mul_f32 v11, v164, v169
	v_fmac_f32_e32 v11, v165, v168
	s_delay_alu instid0(VALU_DEP_1) | instskip(SKIP_2) | instid1(VALU_DEP_1)
	v_add_f32_e32 v9, v9, v11
	s_wait_dscnt 0x9
	v_mul_f32_e32 v11, v170, v175
	v_fmac_f32_e32 v11, v171, v174
	s_delay_alu instid0(VALU_DEP_1) | instskip(NEXT) | instid1(VALU_DEP_1)
	v_dual_add_f32 v9, v9, v11 :: v_dual_mul_f32 v11, v172, v177
	v_fmac_f32_e32 v11, v173, v176
	s_delay_alu instid0(VALU_DEP_1) | instskip(SKIP_2) | instid1(VALU_DEP_1)
	v_add_f32_e32 v9, v9, v11
	s_wait_dscnt 0x8
	v_mul_f32_e32 v11, v178, v183
	v_fmac_f32_e32 v11, v179, v182
	s_delay_alu instid0(VALU_DEP_1) | instskip(NEXT) | instid1(VALU_DEP_1)
	v_dual_add_f32 v9, v9, v11 :: v_dual_mul_f32 v11, v180, v185
	v_fmac_f32_e32 v11, v181, v184
	s_delay_alu instid0(VALU_DEP_1) | instskip(SKIP_2) | instid1(VALU_DEP_1)
	v_add_f32_e32 v9, v9, v11
	s_wait_dscnt 0x7
	v_mul_f32_e32 v11, v186, v191
	v_fmac_f32_e32 v11, v187, v190
	s_delay_alu instid0(VALU_DEP_1) | instskip(NEXT) | instid1(VALU_DEP_1)
	v_dual_add_f32 v9, v9, v11 :: v_dual_mul_f32 v11, v188, v193
	v_fmac_f32_e32 v11, v189, v192
	s_delay_alu instid0(VALU_DEP_1) | instskip(SKIP_2) | instid1(VALU_DEP_1)
	v_add_f32_e32 v9, v9, v11
	s_wait_dscnt 0x6
	v_mul_f32_e32 v11, v194, v199
	v_fmac_f32_e32 v11, v195, v198
	s_delay_alu instid0(VALU_DEP_1) | instskip(NEXT) | instid1(VALU_DEP_1)
	v_dual_add_f32 v9, v9, v11 :: v_dual_mul_f32 v11, v196, v201
	v_fmac_f32_e32 v11, v197, v200
	s_delay_alu instid0(VALU_DEP_1) | instskip(SKIP_2) | instid1(VALU_DEP_1)
	v_add_f32_e32 v9, v9, v11
	s_wait_dscnt 0x5
	v_mul_f32_e32 v11, v202, v207
	v_fmac_f32_e32 v11, v203, v206
	s_delay_alu instid0(VALU_DEP_1) | instskip(NEXT) | instid1(VALU_DEP_1)
	v_dual_add_f32 v9, v9, v11 :: v_dual_mul_f32 v11, v204, v209
	v_fmac_f32_e32 v11, v205, v208
	s_delay_alu instid0(VALU_DEP_1) | instskip(SKIP_2) | instid1(VALU_DEP_1)
	v_add_f32_e32 v9, v9, v11
	s_wait_dscnt 0x4
	v_mul_f32_e32 v11, v210, v215
	v_fmac_f32_e32 v11, v211, v214
	s_delay_alu instid0(VALU_DEP_1) | instskip(NEXT) | instid1(VALU_DEP_1)
	v_dual_add_f32 v9, v9, v11 :: v_dual_mul_f32 v11, v212, v217
	v_fmac_f32_e32 v11, v213, v216
	s_delay_alu instid0(VALU_DEP_1) | instskip(SKIP_2) | instid1(VALU_DEP_1)
	v_add_f32_e32 v9, v9, v11
	s_wait_dscnt 0x3
	v_mul_f32_e32 v11, v218, v223
	v_fmac_f32_e32 v11, v219, v222
	s_delay_alu instid0(VALU_DEP_1) | instskip(NEXT) | instid1(VALU_DEP_1)
	v_dual_add_f32 v9, v9, v11 :: v_dual_mul_f32 v11, v220, v225
	v_fmac_f32_e32 v11, v221, v224
	s_delay_alu instid0(VALU_DEP_1) | instskip(SKIP_2) | instid1(VALU_DEP_1)
	v_add_f32_e32 v9, v9, v11
	s_wait_dscnt 0x2
	v_mul_f32_e32 v11, v226, v231
	v_fmac_f32_e32 v11, v227, v230
	s_delay_alu instid0(VALU_DEP_1) | instskip(NEXT) | instid1(VALU_DEP_1)
	v_dual_add_f32 v9, v9, v11 :: v_dual_mul_f32 v11, v228, v233
	v_fmac_f32_e32 v11, v229, v232
	s_delay_alu instid0(VALU_DEP_1) | instskip(SKIP_2) | instid1(VALU_DEP_1)
	v_add_f32_e32 v9, v9, v11
	s_wait_dscnt 0x1
	v_mul_f32_e32 v11, v234, v239
	v_fmac_f32_e32 v11, v235, v238
	s_delay_alu instid0(VALU_DEP_1) | instskip(NEXT) | instid1(VALU_DEP_1)
	v_dual_add_f32 v9, v9, v11 :: v_dual_mul_f32 v11, v236, v241
	v_fmac_f32_e32 v11, v237, v240
	s_delay_alu instid0(VALU_DEP_1) | instskip(SKIP_2) | instid1(VALU_DEP_1)
	v_add_f32_e32 v9, v9, v11
	s_wait_dscnt 0x0
	v_mul_f32_e32 v11, v242, v247
	v_fmac_f32_e32 v11, v243, v246
	s_delay_alu instid0(VALU_DEP_1) | instskip(NEXT) | instid1(VALU_DEP_1)
	v_dual_add_f32 v9, v9, v11 :: v_dual_mul_f32 v11, v244, v249
	v_fmac_f32_e32 v11, v245, v248
	s_set_vgpr_msb 64                       ;  msbs: dst=1 src0=0 src1=0 src2=0
	s_delay_alu instid0(VALU_DEP_1) | instskip(SKIP_2) | instid1(VALU_DEP_1)
	v_add_f32_e32 v19 /*v275*/, v9, v11
	s_set_vgpr_msb 0                        ;  msbs: dst=0 src0=0 src1=0 src2=0
	v_dual_mul_f32 v9, v107, v123 :: v_dual_mul_f32 v11, v109, v125
	v_dual_fma_f32 v9, v106, v122, -v9 :: v_dual_fma_f32 v11, v108, v124, -v11
	s_delay_alu instid0(VALU_DEP_1) | instskip(NEXT) | instid1(VALU_DEP_1)
	v_add_f32_e32 v9, 0, v9
	v_add_f32_e32 v9, v9, v11
	v_mul_f32_e32 v11, v111, v127
	s_delay_alu instid0(VALU_DEP_1) | instskip(NEXT) | instid1(VALU_DEP_1)
	v_fma_f32 v11, v110, v126, -v11
	v_add_f32_e32 v9, v9, v11
	v_mul_f32_e32 v11, v113, v129
	s_delay_alu instid0(VALU_DEP_1) | instskip(NEXT) | instid1(VALU_DEP_1)
	v_fma_f32 v11, v112, v128, -v11
	;; [unrolled: 4-line block ×5, first 2 shown]
	v_add_f32_e32 v9, v9, v11
	v_mul_f32_e32 v11, v121, v137
	s_delay_alu instid0(VALU_DEP_1)
	v_fma_f32 v11, v120, v136, -v11
	ds_load_b128 v[106:109], v5 offset:768
	ds_load_b128 v[110:113], v5 offset:784
	;; [unrolled: 1-line block ×4, first 2 shown]
	v_add_f32_e32 v9, v9, v11
	v_mul_f32_e32 v11, v139, v143
	s_delay_alu instid0(VALU_DEP_1) | instskip(NEXT) | instid1(VALU_DEP_1)
	v_fma_f32 v11, v138, v142, -v11
	v_add_f32_e32 v9, v9, v11
	v_mul_f32_e32 v11, v141, v145
	s_wait_loadcnt_dscnt 0x303
	s_set_vgpr_msb 4                        ;  msbs: dst=0 src0=0 src1=1 src2=0
	v_pk_mul_f32 v[124:125], v[106:107], v[2:3] /*v[258:259]*/ op_sel:[1,1] op_sel_hi:[0,1]
	s_set_vgpr_msb 0                        ;  msbs: dst=0 src0=0 src1=0 src2=0
	v_fma_f32 v11, v140, v144, -v11
	s_set_vgpr_msb 4                        ;  msbs: dst=0 src0=0 src1=1 src2=0
	s_delay_alu instid0(VALU_DEP_2)
	v_pk_fma_f32 v[126:127], v[106:107], v[2:3] /*v[258:259]*/, v[124:125] neg_lo:[0,0,1] neg_hi:[0,0,1]
	v_pk_fma_f32 v[106:107], v[106:107], v[2:3] /*v[258:259]*/, v[124:125] op_sel_hi:[1,0,1]
	s_set_vgpr_msb 1                        ;  msbs: dst=0 src0=1 src1=0 src2=0
	v_mov_b32_e32 v124, v5 /*v261*/
	s_set_vgpr_msb 0                        ;  msbs: dst=0 src0=0 src1=0 src2=0
	v_add_f32_e32 v9, v9, v11
	v_mul_f32_e32 v11, v147, v151
	s_delay_alu instid0(VALU_DEP_1) | instskip(NEXT) | instid1(VALU_DEP_1)
	v_dual_mov_b32 v127, v107 :: v_dual_fma_f32 v11, v146, v150, -v11
	v_add_f32_e32 v9, v9, v11
	v_mul_f32_e32 v11, v149, v153
	s_delay_alu instid0(VALU_DEP_1) | instskip(NEXT) | instid1(VALU_DEP_1)
	v_fma_f32 v11, v148, v152, -v11
	v_add_f32_e32 v9, v9, v11
	v_mul_f32_e32 v11, v155, v159
	s_delay_alu instid0(VALU_DEP_1) | instskip(NEXT) | instid1(VALU_DEP_1)
	v_fma_f32 v11, v154, v158, -v11
	v_add_f32_e32 v9, v9, v11
	v_mul_f32_e32 v11, v157, v161
	s_delay_alu instid0(VALU_DEP_1) | instskip(NEXT) | instid1(VALU_DEP_1)
	v_fma_f32 v11, v156, v160, -v11
	v_add_f32_e32 v9, v9, v11
	v_mul_f32_e32 v11, v163, v167
	s_delay_alu instid0(VALU_DEP_1) | instskip(NEXT) | instid1(VALU_DEP_1)
	v_fma_f32 v11, v162, v166, -v11
	v_add_f32_e32 v9, v9, v11
	v_mul_f32_e32 v11, v165, v169
	s_delay_alu instid0(VALU_DEP_1) | instskip(NEXT) | instid1(VALU_DEP_1)
	v_fma_f32 v11, v164, v168, -v11
	v_add_f32_e32 v9, v9, v11
	v_mul_f32_e32 v11, v171, v175
	s_delay_alu instid0(VALU_DEP_1) | instskip(NEXT) | instid1(VALU_DEP_1)
	v_fma_f32 v11, v170, v174, -v11
	v_add_f32_e32 v9, v9, v11
	v_mul_f32_e32 v11, v173, v177
	s_delay_alu instid0(VALU_DEP_1) | instskip(NEXT) | instid1(VALU_DEP_1)
	v_fma_f32 v11, v172, v176, -v11
	v_add_f32_e32 v9, v9, v11
	v_mul_f32_e32 v11, v179, v183
	s_delay_alu instid0(VALU_DEP_1) | instskip(NEXT) | instid1(VALU_DEP_1)
	v_fma_f32 v11, v178, v182, -v11
	v_add_f32_e32 v9, v9, v11
	v_mul_f32_e32 v11, v181, v185
	s_delay_alu instid0(VALU_DEP_1) | instskip(NEXT) | instid1(VALU_DEP_1)
	v_fma_f32 v11, v180, v184, -v11
	v_add_f32_e32 v9, v9, v11
	v_mul_f32_e32 v11, v187, v191
	s_delay_alu instid0(VALU_DEP_1) | instskip(NEXT) | instid1(VALU_DEP_1)
	v_fma_f32 v11, v186, v190, -v11
	v_add_f32_e32 v9, v9, v11
	v_mul_f32_e32 v11, v189, v193
	s_delay_alu instid0(VALU_DEP_1) | instskip(NEXT) | instid1(VALU_DEP_1)
	v_fma_f32 v11, v188, v192, -v11
	v_add_f32_e32 v9, v9, v11
	v_mul_f32_e32 v11, v195, v199
	s_delay_alu instid0(VALU_DEP_1) | instskip(NEXT) | instid1(VALU_DEP_1)
	v_fma_f32 v11, v194, v198, -v11
	v_add_f32_e32 v9, v9, v11
	v_mul_f32_e32 v11, v197, v201
	s_delay_alu instid0(VALU_DEP_1) | instskip(NEXT) | instid1(VALU_DEP_1)
	v_fma_f32 v11, v196, v200, -v11
	v_add_f32_e32 v9, v9, v11
	v_mul_f32_e32 v11, v203, v207
	s_delay_alu instid0(VALU_DEP_1) | instskip(NEXT) | instid1(VALU_DEP_1)
	v_fma_f32 v11, v202, v206, -v11
	v_add_f32_e32 v9, v9, v11
	v_mul_f32_e32 v11, v205, v209
	s_delay_alu instid0(VALU_DEP_1) | instskip(NEXT) | instid1(VALU_DEP_1)
	v_fma_f32 v11, v204, v208, -v11
	v_add_f32_e32 v9, v9, v11
	v_mul_f32_e32 v11, v211, v215
	s_delay_alu instid0(VALU_DEP_1) | instskip(NEXT) | instid1(VALU_DEP_1)
	v_fma_f32 v11, v210, v214, -v11
	v_add_f32_e32 v9, v9, v11
	v_mul_f32_e32 v11, v213, v217
	s_delay_alu instid0(VALU_DEP_1) | instskip(NEXT) | instid1(VALU_DEP_1)
	v_fma_f32 v11, v212, v216, -v11
	v_add_f32_e32 v9, v9, v11
	v_mul_f32_e32 v11, v219, v223
	s_delay_alu instid0(VALU_DEP_1) | instskip(NEXT) | instid1(VALU_DEP_1)
	v_fma_f32 v11, v218, v222, -v11
	v_add_f32_e32 v9, v9, v11
	v_mul_f32_e32 v11, v221, v225
	s_delay_alu instid0(VALU_DEP_1) | instskip(NEXT) | instid1(VALU_DEP_1)
	v_fma_f32 v11, v220, v224, -v11
	v_add_f32_e32 v9, v9, v11
	v_mul_f32_e32 v11, v227, v231
	s_delay_alu instid0(VALU_DEP_1) | instskip(NEXT) | instid1(VALU_DEP_1)
	v_fma_f32 v11, v226, v230, -v11
	v_add_f32_e32 v9, v9, v11
	v_mul_f32_e32 v11, v229, v233
	s_delay_alu instid0(VALU_DEP_1) | instskip(NEXT) | instid1(VALU_DEP_1)
	v_fma_f32 v11, v228, v232, -v11
	v_add_f32_e32 v9, v9, v11
	v_mul_f32_e32 v11, v235, v239
	s_delay_alu instid0(VALU_DEP_1) | instskip(NEXT) | instid1(VALU_DEP_1)
	v_fma_f32 v11, v234, v238, -v11
	v_add_f32_e32 v9, v9, v11
	v_mul_f32_e32 v11, v237, v241
	s_delay_alu instid0(VALU_DEP_1) | instskip(NEXT) | instid1(VALU_DEP_1)
	v_fma_f32 v11, v236, v240, -v11
	v_add_f32_e32 v9, v9, v11
	v_mul_f32_e32 v11, v243, v247
	s_delay_alu instid0(VALU_DEP_1) | instskip(NEXT) | instid1(VALU_DEP_1)
	v_fma_f32 v11, v242, v246, -v11
	v_add_f32_e32 v9, v9, v11
	v_mul_f32_e32 v11, v245, v249
	s_delay_alu instid0(VALU_DEP_1) | instskip(SKIP_1) | instid1(VALU_DEP_1)
	v_fma_f32 v11, v244, v248, -v11
	s_set_vgpr_msb 64                       ;  msbs: dst=1 src0=0 src1=0 src2=0
	v_add_f32_e32 v18 /*v274*/, v9, v11
	s_set_vgpr_msb 0                        ;  msbs: dst=0 src0=0 src1=0 src2=0
	v_mul_f32_e32 v9, v251, v255
	s_set_vgpr_msb 64                       ;  msbs: dst=1 src0=0 src1=0 src2=0
	s_delay_alu instid0(VALU_DEP_1)
	v_fma_f32 v20 /*v276*/, v250, v254, -v9
	v_fmac_f32_e32 v21 /*v277*/, v251, v254
	s_set_vgpr_msb 4                        ;  msbs: dst=0 src0=0 src1=1 src2=0
	v_mul_f32_e32 v9, v253, v1 /*v257*/
	s_set_vgpr_msb 0x44                     ;  msbs: dst=1 src0=0 src1=1 src2=0
	v_mul_f32_e32 v23 /*v279*/, v252, v1 /*v257*/
	s_set_vgpr_msb 5                        ;  msbs: dst=0 src0=1 src1=1 src2=0
	v_pk_add_f32 v[122:123], v[18:19] /*v[274:275]*/, v[20:21] /*v[276:277]*/
	s_set_vgpr_msb 0x44                     ;  msbs: dst=1 src0=0 src1=1 src2=0
	v_fma_f32 v22 /*v278*/, v252, v0 /*v256*/, -v9
	v_fmac_f32_e32 v23 /*v279*/, v253, v0 /*v256*/
	s_set_vgpr_msb 4                        ;  msbs: dst=0 src0=0 src1=1 src2=0
	s_delay_alu instid0(VALU_DEP_1) | instskip(SKIP_1) | instid1(VALU_DEP_1)
	v_pk_add_f32 v[122:123], v[122:123], v[22:23] /*v[278:279]*/
	s_set_vgpr_msb 0                        ;  msbs: dst=0 src0=0 src1=0 src2=0
	v_pk_add_f32 v[106:107], v[122:123], v[126:127]
	v_dual_mov_b32 v122, v109 :: v_dual_mov_b32 v123, v108
	s_delay_alu instid0(VALU_DEP_1) | instskip(SKIP_1) | instid1(VALU_DEP_1)
	v_pk_mul_f32 v[122:123], v[122:123], v[124:125] op_sel_hi:[1,0]
	s_set_vgpr_msb 4                        ;  msbs: dst=0 src0=0 src1=1 src2=0
	v_pk_fma_f32 v[124:125], v[108:109], v[4:5] /*v[260:261]*/, v[122:123] neg_lo:[0,0,1] neg_hi:[0,0,1]
	v_pk_fma_f32 v[108:109], v[108:109], v[4:5] /*v[260:261]*/, v[122:123] op_sel_hi:[1,0,1]
	s_delay_alu instid0(VALU_DEP_1) | instskip(SKIP_3) | instid1(VALU_DEP_2)
	v_mov_b32_e32 v125, v109
	s_wait_loadcnt_dscnt 0x202
	v_pk_mul_f32 v[108:109], v[110:111], v[6:7] /*v[262:263]*/ op_sel:[1,1] op_sel_hi:[0,1]
	s_set_vgpr_msb 0                        ;  msbs: dst=0 src0=0 src1=0 src2=0
	v_pk_add_f32 v[106:107], v[106:107], v[124:125]
	s_set_vgpr_msb 4                        ;  msbs: dst=0 src0=0 src1=1 src2=0
	s_delay_alu instid0(VALU_DEP_2)
	v_pk_fma_f32 v[122:123], v[110:111], v[6:7] /*v[262:263]*/, v[108:109] neg_lo:[0,0,1] neg_hi:[0,0,1]
	v_pk_fma_f32 v[108:109], v[110:111], v[6:7] /*v[262:263]*/, v[108:109] op_sel_hi:[1,0,1]
	v_mov_b32_e32 v108, v113
	s_set_vgpr_msb 1                        ;  msbs: dst=0 src0=1 src1=0 src2=0
	v_mov_b32_e32 v110, v9 /*v265*/
	s_set_vgpr_msb 0                        ;  msbs: dst=0 src0=0 src1=0 src2=0
	v_dual_mov_b32 v123, v109 :: v_dual_mov_b32 v109, v112
	s_delay_alu instid0(VALU_DEP_1) | instskip(NEXT) | instid1(VALU_DEP_2)
	v_pk_add_f32 v[106:107], v[106:107], v[122:123]
	v_pk_mul_f32 v[108:109], v[108:109], v[110:111] op_sel_hi:[1,0]
	s_set_vgpr_msb 4                        ;  msbs: dst=0 src0=0 src1=1 src2=0
	s_delay_alu instid0(VALU_DEP_1) | instskip(SKIP_1) | instid1(VALU_DEP_1)
	v_pk_fma_f32 v[110:111], v[112:113], v[8:9] /*v[264:265]*/, v[108:109] neg_lo:[0,0,1] neg_hi:[0,0,1]
	v_pk_fma_f32 v[108:109], v[112:113], v[8:9] /*v[264:265]*/, v[108:109] op_sel_hi:[1,0,1]
	v_mov_b32_e32 v111, v109
	s_wait_loadcnt_dscnt 0x101
	v_pk_mul_f32 v[108:109], v[114:115], v[10:11] /*v[266:267]*/ op_sel:[1,1] op_sel_hi:[0,1]
	s_set_vgpr_msb 0                        ;  msbs: dst=0 src0=0 src1=0 src2=0
	s_delay_alu instid0(VALU_DEP_2) | instskip(SKIP_1) | instid1(VALU_DEP_2)
	v_pk_add_f32 v[106:107], v[106:107], v[110:111]
	s_set_vgpr_msb 4                        ;  msbs: dst=0 src0=0 src1=1 src2=0
	v_pk_fma_f32 v[110:111], v[114:115], v[10:11] /*v[266:267]*/, v[108:109] neg_lo:[0,0,1] neg_hi:[0,0,1]
	v_pk_fma_f32 v[108:109], v[114:115], v[10:11] /*v[266:267]*/, v[108:109] op_sel_hi:[1,0,1]
	s_delay_alu instid0(VALU_DEP_1) | instskip(SKIP_2) | instid1(VALU_DEP_2)
	v_dual_mov_b32 v108, v117 :: v_dual_mov_b32 v111, v109
	v_mov_b32_e32 v109, v116
	s_set_vgpr_msb 0                        ;  msbs: dst=0 src0=0 src1=0 src2=0
	v_pk_add_f32 v[106:107], v[106:107], v[110:111]
	s_set_vgpr_msb 1                        ;  msbs: dst=0 src0=1 src1=0 src2=0
	v_mov_b32_e32 v110, v13 /*v269*/
	s_set_vgpr_msb 0                        ;  msbs: dst=0 src0=0 src1=0 src2=0
	s_delay_alu instid0(VALU_DEP_1) | instskip(SKIP_1) | instid1(VALU_DEP_1)
	v_pk_mul_f32 v[108:109], v[108:109], v[110:111] op_sel_hi:[1,0]
	s_set_vgpr_msb 4                        ;  msbs: dst=0 src0=0 src1=1 src2=0
	v_pk_fma_f32 v[110:111], v[116:117], v[12:13] /*v[268:269]*/, v[108:109] neg_lo:[0,0,1] neg_hi:[0,0,1]
	v_pk_fma_f32 v[108:109], v[116:117], v[12:13] /*v[268:269]*/, v[108:109] op_sel_hi:[1,0,1]
	s_delay_alu instid0(VALU_DEP_1) | instskip(SKIP_3) | instid1(VALU_DEP_2)
	v_mov_b32_e32 v111, v109
	s_wait_loadcnt_dscnt 0x0
	v_pk_mul_f32 v[108:109], v[118:119], v[14:15] /*v[270:271]*/ op_sel:[1,1] op_sel_hi:[0,1]
	s_set_vgpr_msb 0                        ;  msbs: dst=0 src0=0 src1=0 src2=0
	v_pk_add_f32 v[106:107], v[106:107], v[110:111]
	s_set_vgpr_msb 4                        ;  msbs: dst=0 src0=0 src1=1 src2=0
	s_delay_alu instid0(VALU_DEP_2) | instskip(SKIP_1) | instid1(VALU_DEP_1)
	v_pk_fma_f32 v[110:111], v[118:119], v[14:15] /*v[270:271]*/, v[108:109] neg_lo:[0,0,1] neg_hi:[0,0,1]
	v_pk_fma_f32 v[108:109], v[118:119], v[14:15] /*v[270:271]*/, v[108:109] op_sel_hi:[1,0,1]
	v_dual_mov_b32 v108, v121 :: v_dual_mov_b32 v111, v109
	v_mov_b32_e32 v109, v120
	s_set_vgpr_msb 0                        ;  msbs: dst=0 src0=0 src1=0 src2=0
	s_delay_alu instid0(VALU_DEP_2) | instskip(SKIP_3) | instid1(VALU_DEP_1)
	v_pk_add_f32 v[106:107], v[106:107], v[110:111]
	s_set_vgpr_msb 1                        ;  msbs: dst=0 src0=1 src1=0 src2=0
	v_mov_b32_e32 v110, v17 /*v273*/
	s_set_vgpr_msb 0                        ;  msbs: dst=0 src0=0 src1=0 src2=0
	v_pk_mul_f32 v[108:109], v[108:109], v[110:111] op_sel_hi:[1,0]
	s_set_vgpr_msb 4                        ;  msbs: dst=0 src0=0 src1=1 src2=0
	s_delay_alu instid0(VALU_DEP_1) | instskip(SKIP_1) | instid1(VALU_DEP_1)
	v_pk_fma_f32 v[110:111], v[120:121], v[16:17] /*v[272:273]*/, v[108:109] neg_lo:[0,0,1] neg_hi:[0,0,1]
	v_pk_fma_f32 v[108:109], v[120:121], v[16:17] /*v[272:273]*/, v[108:109] op_sel_hi:[1,0,1]
	v_mov_b32_e32 v111, v109
	scratch_load_b64 v[108:109], off, off offset:40
	s_set_vgpr_msb 0                        ;  msbs: dst=0 src0=0 src1=0 src2=0
	v_pk_add_f32 v[106:107], v[106:107], v[110:111]
	s_wait_loadcnt 0x0
	s_delay_alu instid0(VALU_DEP_1)
	v_pk_add_f32 v[106:107], v[108:109], v[106:107] neg_lo:[0,1] neg_hi:[0,1]
	scratch_store_b64 off, v[106:107], off offset:40
	s_wait_xcnt 0x0
	v_cmpx_lt_u32_e32 4, v0
	s_cbranch_execz .LBB51_317
; %bb.316:
	scratch_load_b64 v[106:107], off, off offset:32
	v_mov_b64_e32 v[108:109], 0
	scratch_store_b64 off, v[108:109], off offset:32
	s_wait_loadcnt 0x0
	ds_store_b64 v1, v[106:107]
.LBB51_317:
	s_wait_xcnt 0x0
	s_or_b32 exec_lo, exec_lo, s0
	s_wait_storecnt_dscnt 0x0
	s_barrier_signal -1
	s_barrier_wait -1
	s_clause 0xf
	scratch_load_b128 v[110:113], off, off offset:40
	scratch_load_b128 v[118:121], off, off offset:56
	;; [unrolled: 1-line block ×16, first 2 shown]
	v_mov_b32_e32 v5, 0
	s_clause 0x4
	scratch_load_b128 v[238:241], off, off offset:296
	scratch_load_b128 v[246:249], off, off offset:312
	;; [unrolled: 1-line block ×3, first 2 shown]
	s_set_vgpr_msb 64                       ;  msbs: dst=1 src0=0 src1=0 src2=0
	scratch_load_b128 v[6:9] /*v[262:265]*/, off, off offset:344
	s_set_vgpr_msb 0                        ;  msbs: dst=0 src0=0 src1=0 src2=0
	ds_load_2addr_b64 v[106:109], v5 offset0:57 offset1:58
	ds_load_2addr_b64 v[114:117], v5 offset0:59 offset1:60
	s_mov_b32 s0, exec_lo
	s_wait_loadcnt_dscnt 0x1301
	v_dual_mul_f32 v9, v106, v111 :: v_dual_mul_f32 v11, v108, v113
	ds_load_2addr_b64 v[122:125], v5 offset0:61 offset1:62
	ds_load_2addr_b64 v[130:133], v5 offset0:63 offset1:64
	ds_load_2addr_b64 v[138:141], v5 offset0:65 offset1:66
	ds_load_2addr_b64 v[146:149], v5 offset0:67 offset1:68
	v_dual_fmac_f32 v9, v107, v110 :: v_dual_fmac_f32 v11, v109, v112
	ds_load_2addr_b64 v[154:157], v5 offset0:69 offset1:70
	ds_load_2addr_b64 v[162:165], v5 offset0:71 offset1:72
	;; [unrolled: 1-line block ×4, first 2 shown]
	v_add_f32_e32 v9, 0, v9
	ds_load_2addr_b64 v[186:189], v5 offset0:77 offset1:78
	ds_load_2addr_b64 v[194:197], v5 offset0:79 offset1:80
	ds_load_2addr_b64 v[202:205], v5 offset0:81 offset1:82
	ds_load_2addr_b64 v[210:213], v5 offset0:83 offset1:84
	v_add_f32_e32 v9, v9, v11
	s_wait_loadcnt_dscnt 0x120c
	v_mul_f32_e32 v11, v114, v119
	ds_load_2addr_b64 v[218:221], v5 offset0:85 offset1:86
	ds_load_2addr_b64 v[226:229], v5 offset0:87 offset1:88
	;; [unrolled: 1-line block ×4, first 2 shown]
	v_fmac_f32_e32 v11, v115, v118
	ds_load_2addr_b64 v[250:253], v5 offset0:93 offset1:94
	s_set_vgpr_msb 64                       ;  msbs: dst=1 src0=0 src1=0 src2=0
	ds_load_2addr_b64 v[2:5] /*v[258:261]*/, v5 offset0:95 offset1:96
	s_clause 0x3
	scratch_load_b128 v[10:13] /*v[266:269]*/, off, off offset:360
	scratch_load_b128 v[14:17] /*v[270:273]*/, off, off offset:376
	;; [unrolled: 1-line block ×3, first 2 shown]
	scratch_load_b64 v[28:29] /*v[284:285]*/, off, off offset:408
	s_set_vgpr_msb 0                        ;  msbs: dst=0 src0=0 src1=0 src2=0
	v_dual_add_f32 v9, v9, v11 :: v_dual_mul_f32 v11, v116, v121
	s_delay_alu instid0(VALU_DEP_1) | instskip(NEXT) | instid1(VALU_DEP_1)
	v_fmac_f32_e32 v11, v117, v120
	v_add_f32_e32 v9, v9, v11
	s_wait_loadcnt_dscnt 0x1511
	v_mul_f32_e32 v11, v122, v127
	s_delay_alu instid0(VALU_DEP_1) | instskip(NEXT) | instid1(VALU_DEP_1)
	v_fmac_f32_e32 v11, v123, v126
	v_dual_add_f32 v9, v9, v11 :: v_dual_mul_f32 v11, v124, v129
	s_delay_alu instid0(VALU_DEP_1) | instskip(NEXT) | instid1(VALU_DEP_1)
	v_fmac_f32_e32 v11, v125, v128
	v_add_f32_e32 v9, v9, v11
	s_wait_loadcnt_dscnt 0x1410
	v_mul_f32_e32 v11, v130, v135
	s_delay_alu instid0(VALU_DEP_1) | instskip(NEXT) | instid1(VALU_DEP_1)
	v_fmac_f32_e32 v11, v131, v134
	v_dual_add_f32 v9, v9, v11 :: v_dual_mul_f32 v11, v132, v137
	s_delay_alu instid0(VALU_DEP_1) | instskip(NEXT) | instid1(VALU_DEP_1)
	v_fmac_f32_e32 v11, v133, v136
	v_add_f32_e32 v9, v9, v11
	s_wait_loadcnt_dscnt 0x130f
	v_mul_f32_e32 v11, v138, v143
	s_delay_alu instid0(VALU_DEP_1) | instskip(NEXT) | instid1(VALU_DEP_1)
	v_fmac_f32_e32 v11, v139, v142
	v_dual_add_f32 v9, v9, v11 :: v_dual_mul_f32 v11, v140, v145
	s_delay_alu instid0(VALU_DEP_1) | instskip(NEXT) | instid1(VALU_DEP_1)
	v_fmac_f32_e32 v11, v141, v144
	v_add_f32_e32 v9, v9, v11
	s_wait_loadcnt_dscnt 0x120e
	v_mul_f32_e32 v11, v146, v151
	s_delay_alu instid0(VALU_DEP_1) | instskip(NEXT) | instid1(VALU_DEP_1)
	v_fmac_f32_e32 v11, v147, v150
	v_dual_add_f32 v9, v9, v11 :: v_dual_mul_f32 v11, v148, v153
	s_delay_alu instid0(VALU_DEP_1) | instskip(NEXT) | instid1(VALU_DEP_1)
	v_fmac_f32_e32 v11, v149, v152
	v_add_f32_e32 v9, v9, v11
	s_wait_loadcnt_dscnt 0x110d
	v_mul_f32_e32 v11, v154, v159
	s_delay_alu instid0(VALU_DEP_1) | instskip(NEXT) | instid1(VALU_DEP_1)
	v_fmac_f32_e32 v11, v155, v158
	v_dual_add_f32 v9, v9, v11 :: v_dual_mul_f32 v11, v156, v161
	s_delay_alu instid0(VALU_DEP_1) | instskip(NEXT) | instid1(VALU_DEP_1)
	v_fmac_f32_e32 v11, v157, v160
	v_add_f32_e32 v9, v9, v11
	s_wait_loadcnt_dscnt 0x100c
	v_mul_f32_e32 v11, v162, v167
	s_delay_alu instid0(VALU_DEP_1) | instskip(NEXT) | instid1(VALU_DEP_1)
	v_fmac_f32_e32 v11, v163, v166
	v_dual_add_f32 v9, v9, v11 :: v_dual_mul_f32 v11, v164, v169
	s_delay_alu instid0(VALU_DEP_1) | instskip(NEXT) | instid1(VALU_DEP_1)
	v_fmac_f32_e32 v11, v165, v168
	v_add_f32_e32 v9, v9, v11
	s_wait_loadcnt_dscnt 0xf0b
	v_mul_f32_e32 v11, v170, v175
	s_delay_alu instid0(VALU_DEP_1) | instskip(NEXT) | instid1(VALU_DEP_1)
	v_fmac_f32_e32 v11, v171, v174
	v_dual_add_f32 v9, v9, v11 :: v_dual_mul_f32 v11, v172, v177
	s_delay_alu instid0(VALU_DEP_1) | instskip(NEXT) | instid1(VALU_DEP_1)
	v_fmac_f32_e32 v11, v173, v176
	v_add_f32_e32 v9, v9, v11
	s_wait_loadcnt_dscnt 0xe0a
	v_mul_f32_e32 v11, v178, v183
	s_delay_alu instid0(VALU_DEP_1) | instskip(NEXT) | instid1(VALU_DEP_1)
	v_fmac_f32_e32 v11, v179, v182
	v_dual_add_f32 v9, v9, v11 :: v_dual_mul_f32 v11, v180, v185
	s_delay_alu instid0(VALU_DEP_1) | instskip(NEXT) | instid1(VALU_DEP_1)
	v_fmac_f32_e32 v11, v181, v184
	v_add_f32_e32 v9, v9, v11
	s_wait_loadcnt_dscnt 0xd09
	v_mul_f32_e32 v11, v186, v191
	s_delay_alu instid0(VALU_DEP_1) | instskip(NEXT) | instid1(VALU_DEP_1)
	v_fmac_f32_e32 v11, v187, v190
	v_dual_add_f32 v9, v9, v11 :: v_dual_mul_f32 v11, v188, v193
	s_delay_alu instid0(VALU_DEP_1) | instskip(NEXT) | instid1(VALU_DEP_1)
	v_fmac_f32_e32 v11, v189, v192
	v_add_f32_e32 v9, v9, v11
	s_wait_loadcnt_dscnt 0xc08
	v_mul_f32_e32 v11, v194, v199
	s_delay_alu instid0(VALU_DEP_1) | instskip(NEXT) | instid1(VALU_DEP_1)
	v_fmac_f32_e32 v11, v195, v198
	v_dual_add_f32 v9, v9, v11 :: v_dual_mul_f32 v11, v196, v201
	s_delay_alu instid0(VALU_DEP_1) | instskip(NEXT) | instid1(VALU_DEP_1)
	v_fmac_f32_e32 v11, v197, v200
	v_add_f32_e32 v9, v9, v11
	s_wait_loadcnt_dscnt 0xb07
	v_mul_f32_e32 v11, v202, v207
	s_delay_alu instid0(VALU_DEP_1) | instskip(NEXT) | instid1(VALU_DEP_1)
	v_fmac_f32_e32 v11, v203, v206
	v_dual_add_f32 v9, v9, v11 :: v_dual_mul_f32 v11, v204, v209
	s_delay_alu instid0(VALU_DEP_1) | instskip(NEXT) | instid1(VALU_DEP_1)
	v_fmac_f32_e32 v11, v205, v208
	v_add_f32_e32 v9, v9, v11
	s_wait_loadcnt_dscnt 0xa06
	v_mul_f32_e32 v11, v210, v215
	s_delay_alu instid0(VALU_DEP_1) | instskip(NEXT) | instid1(VALU_DEP_1)
	v_fmac_f32_e32 v11, v211, v214
	v_dual_add_f32 v9, v9, v11 :: v_dual_mul_f32 v11, v212, v217
	s_delay_alu instid0(VALU_DEP_1) | instskip(NEXT) | instid1(VALU_DEP_1)
	v_fmac_f32_e32 v11, v213, v216
	v_add_f32_e32 v9, v9, v11
	s_wait_loadcnt_dscnt 0x905
	v_mul_f32_e32 v11, v218, v223
	s_delay_alu instid0(VALU_DEP_1) | instskip(NEXT) | instid1(VALU_DEP_1)
	v_fmac_f32_e32 v11, v219, v222
	v_dual_add_f32 v9, v9, v11 :: v_dual_mul_f32 v11, v220, v225
	s_delay_alu instid0(VALU_DEP_1) | instskip(NEXT) | instid1(VALU_DEP_1)
	v_fmac_f32_e32 v11, v221, v224
	v_add_f32_e32 v9, v9, v11
	s_wait_loadcnt_dscnt 0x804
	v_mul_f32_e32 v11, v226, v231
	s_delay_alu instid0(VALU_DEP_1) | instskip(NEXT) | instid1(VALU_DEP_1)
	v_fmac_f32_e32 v11, v227, v230
	v_dual_add_f32 v9, v9, v11 :: v_dual_mul_f32 v11, v228, v233
	s_delay_alu instid0(VALU_DEP_1) | instskip(NEXT) | instid1(VALU_DEP_1)
	v_fmac_f32_e32 v11, v229, v232
	v_add_f32_e32 v9, v9, v11
	s_wait_loadcnt_dscnt 0x703
	v_mul_f32_e32 v11, v234, v239
	s_delay_alu instid0(VALU_DEP_1) | instskip(NEXT) | instid1(VALU_DEP_1)
	v_fmac_f32_e32 v11, v235, v238
	v_dual_add_f32 v9, v9, v11 :: v_dual_mul_f32 v11, v236, v241
	s_delay_alu instid0(VALU_DEP_1) | instskip(NEXT) | instid1(VALU_DEP_1)
	v_fmac_f32_e32 v11, v237, v240
	v_add_f32_e32 v9, v9, v11
	s_wait_loadcnt_dscnt 0x602
	v_mul_f32_e32 v11, v242, v247
	s_delay_alu instid0(VALU_DEP_1) | instskip(NEXT) | instid1(VALU_DEP_1)
	v_fmac_f32_e32 v11, v243, v246
	v_dual_add_f32 v9, v9, v11 :: v_dual_mul_f32 v11, v244, v249
	s_delay_alu instid0(VALU_DEP_1) | instskip(NEXT) | instid1(VALU_DEP_1)
	v_fmac_f32_e32 v11, v245, v248
	v_add_f32_e32 v9, v9, v11
	s_wait_loadcnt_dscnt 0x501
	v_mul_f32_e32 v11, v250, v255
	s_delay_alu instid0(VALU_DEP_1) | instskip(SKIP_1) | instid1(VALU_DEP_1)
	v_fmac_f32_e32 v11, v251, v254
	s_set_vgpr_msb 64                       ;  msbs: dst=1 src0=0 src1=0 src2=0
	v_add_f32_e32 v23 /*v279*/, v9, v11
	s_set_vgpr_msb 0                        ;  msbs: dst=0 src0=0 src1=0 src2=0
	v_dual_mul_f32 v9, v107, v111 :: v_dual_mul_f32 v11, v109, v113
	s_delay_alu instid0(VALU_DEP_1) | instskip(NEXT) | instid1(VALU_DEP_1)
	v_dual_fma_f32 v9, v106, v110, -v9 :: v_dual_fma_f32 v11, v108, v112, -v11
	v_add_f32_e32 v9, 0, v9
	s_delay_alu instid0(VALU_DEP_1) | instskip(SKIP_1) | instid1(VALU_DEP_1)
	v_add_f32_e32 v9, v9, v11
	v_mul_f32_e32 v11, v115, v119
	v_fma_f32 v11, v114, v118, -v11
	s_delay_alu instid0(VALU_DEP_1) | instskip(SKIP_1) | instid1(VALU_DEP_1)
	v_add_f32_e32 v9, v9, v11
	v_mul_f32_e32 v11, v117, v121
	v_fma_f32 v11, v116, v120, -v11
	ds_load_2addr_b64 v[106:109], v5 offset0:97 offset1:98
	ds_load_2addr_b64 v[110:113], v5 offset0:99 offset1:100
	;; [unrolled: 1-line block ×3, first 2 shown]
	ds_load_b64 v[118:119], v5 offset:824
	v_add_f32_e32 v9, v9, v11
	v_mul_f32_e32 v11, v123, v127
	s_wait_dscnt 0x4
	s_set_vgpr_msb 1                        ;  msbs: dst=0 src0=1 src1=0 src2=0
	v_mov_b32_e32 v123, v4 /*v260*/
	s_set_vgpr_msb 0                        ;  msbs: dst=0 src0=0 src1=0 src2=0
	v_fma_f32 v11, v122, v126, -v11
	s_set_vgpr_msb 1                        ;  msbs: dst=0 src0=1 src1=0 src2=0
	v_mov_b32_e32 v122, v5 /*v261*/
	s_set_vgpr_msb 0                        ;  msbs: dst=0 src0=0 src1=0 src2=0
	s_delay_alu instid0(VALU_DEP_2) | instskip(SKIP_1) | instid1(VALU_DEP_1)
	v_add_f32_e32 v9, v9, v11
	v_mul_f32_e32 v11, v125, v129
	v_fma_f32 v11, v124, v128, -v11
	s_wait_loadcnt 0x4
	s_set_vgpr_msb 1                        ;  msbs: dst=0 src0=1 src1=0 src2=0
	v_mov_b32_e32 v124, v9 /*v265*/
	s_set_vgpr_msb 0                        ;  msbs: dst=0 src0=0 src1=0 src2=0
	v_add_f32_e32 v9, v9, v11
	v_mul_f32_e32 v11, v131, v135
	s_delay_alu instid0(VALU_DEP_3) | instskip(NEXT) | instid1(VALU_DEP_2)
	v_pk_mul_f32 v[122:123], v[122:123], v[124:125] op_sel_hi:[1,0]
	v_fma_f32 v11, v130, v134, -v11
	s_set_vgpr_msb 5                        ;  msbs: dst=0 src0=1 src1=1 src2=0
	s_delay_alu instid0(VALU_DEP_2) | instskip(SKIP_3) | instid1(VALU_DEP_2)
	v_pk_fma_f32 v[124:125], v[4:5] /*v[260:261]*/, v[8:9] /*v[264:265]*/, v[122:123] neg_lo:[0,0,1] neg_hi:[0,0,1]
	v_pk_fma_f32 v[122:123], v[4:5] /*v[260:261]*/, v[8:9] /*v[264:265]*/, v[122:123] op_sel_hi:[1,0,1]
	s_set_vgpr_msb 0                        ;  msbs: dst=0 src0=0 src1=0 src2=0
	v_add_f32_e32 v9, v9, v11
	v_dual_mul_f32 v11, v133, v137 :: v_dual_mov_b32 v125, v123
	s_wait_loadcnt_dscnt 0x303
	s_set_vgpr_msb 4                        ;  msbs: dst=0 src0=0 src1=1 src2=0
	v_pk_mul_f32 v[122:123], v[106:107], v[10:11] /*v[266:267]*/ op_sel:[1,1] op_sel_hi:[0,1]
	s_set_vgpr_msb 0                        ;  msbs: dst=0 src0=0 src1=0 src2=0
	v_fma_f32 v11, v132, v136, -v11
	s_delay_alu instid0(VALU_DEP_1) | instskip(SKIP_1) | instid1(VALU_DEP_1)
	v_add_f32_e32 v9, v9, v11
	v_mul_f32_e32 v11, v139, v143
	v_fma_f32 v11, v138, v142, -v11
	s_delay_alu instid0(VALU_DEP_1) | instskip(SKIP_1) | instid1(VALU_DEP_1)
	v_add_f32_e32 v9, v9, v11
	v_mul_f32_e32 v11, v141, v145
	;; [unrolled: 4-line block ×29, first 2 shown]
	v_fma_f32 v11, v250, v254, -v11
	s_set_vgpr_msb 64                       ;  msbs: dst=1 src0=0 src1=0 src2=0
	s_delay_alu instid0(VALU_DEP_1) | instskip(SKIP_3) | instid1(VALU_DEP_1)
	v_add_f32_e32 v22 /*v278*/, v9, v11
	s_set_vgpr_msb 4                        ;  msbs: dst=0 src0=0 src1=1 src2=0
	v_mul_f32_e32 v9, v253, v1 /*v257*/
	s_set_vgpr_msb 0x44                     ;  msbs: dst=1 src0=0 src1=1 src2=0
	v_dual_mul_f32 v25 /*v281*/, v252, v1 /*v257*/ :: v_dual_fma_f32 v24 /*v280*/, v252, v0 /*v256*/, -v9
	s_set_vgpr_msb 5                        ;  msbs: dst=0 src0=1 src1=1 src2=0
	v_mul_f32_e32 v9, v3 /*v259*/, v7 /*v263*/
	s_set_vgpr_msb 0x44                     ;  msbs: dst=1 src0=0 src1=1 src2=0
	s_delay_alu instid0(VALU_DEP_2) | instskip(SKIP_1) | instid1(VALU_DEP_2)
	v_fmac_f32_e32 v25 /*v281*/, v253, v0 /*v256*/
	s_set_vgpr_msb 0x45                     ;  msbs: dst=1 src0=1 src1=1 src2=0
	v_dual_mul_f32 v27 /*v283*/, v2 /*v258*/, v7 /*v263*/ :: v_dual_fma_f32 v26 /*v282*/, v2 /*v258*/, v6 /*v262*/, -v9
	s_set_vgpr_msb 5                        ;  msbs: dst=0 src0=1 src1=1 src2=0
	s_delay_alu instid0(VALU_DEP_2) | instskip(SKIP_1) | instid1(VALU_DEP_2)
	v_pk_add_f32 v[120:121], v[22:23] /*v[278:279]*/, v[24:25] /*v[280:281]*/
	s_set_vgpr_msb 0x45                     ;  msbs: dst=1 src0=1 src1=1 src2=0
	v_fmac_f32_e32 v27 /*v283*/, v3 /*v259*/, v6 /*v262*/
	s_set_vgpr_msb 4                        ;  msbs: dst=0 src0=0 src1=1 src2=0
	s_delay_alu instid0(VALU_DEP_1) | instskip(SKIP_1) | instid1(VALU_DEP_1)
	v_pk_add_f32 v[120:121], v[120:121], v[26:27] /*v[282:283]*/
	s_set_vgpr_msb 0                        ;  msbs: dst=0 src0=0 src1=0 src2=0
	v_pk_add_f32 v[120:121], v[120:121], v[124:125]
	s_set_vgpr_msb 4                        ;  msbs: dst=0 src0=0 src1=1 src2=0
	v_pk_fma_f32 v[124:125], v[106:107], v[10:11] /*v[266:267]*/, v[122:123] neg_lo:[0,0,1] neg_hi:[0,0,1]
	v_pk_fma_f32 v[106:107], v[106:107], v[10:11] /*v[266:267]*/, v[122:123] op_sel_hi:[1,0,1]
	s_set_vgpr_msb 1                        ;  msbs: dst=0 src0=1 src1=0 src2=0
	v_mov_b32_e32 v122, v13 /*v269*/
	s_set_vgpr_msb 0                        ;  msbs: dst=0 src0=0 src1=0 src2=0
	s_delay_alu instid0(VALU_DEP_2) | instskip(NEXT) | instid1(VALU_DEP_1)
	v_mov_b32_e32 v125, v107
	v_pk_add_f32 v[106:107], v[120:121], v[124:125]
	v_dual_mov_b32 v120, v109 :: v_dual_mov_b32 v121, v108
	s_delay_alu instid0(VALU_DEP_1) | instskip(SKIP_1) | instid1(VALU_DEP_1)
	v_pk_mul_f32 v[120:121], v[120:121], v[122:123] op_sel_hi:[1,0]
	s_set_vgpr_msb 4                        ;  msbs: dst=0 src0=0 src1=1 src2=0
	v_pk_fma_f32 v[122:123], v[108:109], v[12:13] /*v[268:269]*/, v[120:121] neg_lo:[0,0,1] neg_hi:[0,0,1]
	v_pk_fma_f32 v[108:109], v[108:109], v[12:13] /*v[268:269]*/, v[120:121] op_sel_hi:[1,0,1]
	s_delay_alu instid0(VALU_DEP_1) | instskip(SKIP_3) | instid1(VALU_DEP_2)
	v_mov_b32_e32 v123, v109
	s_wait_loadcnt_dscnt 0x202
	v_pk_mul_f32 v[108:109], v[110:111], v[14:15] /*v[270:271]*/ op_sel:[1,1] op_sel_hi:[0,1]
	s_set_vgpr_msb 0                        ;  msbs: dst=0 src0=0 src1=0 src2=0
	v_pk_add_f32 v[106:107], v[106:107], v[122:123]
	s_set_vgpr_msb 4                        ;  msbs: dst=0 src0=0 src1=1 src2=0
	s_delay_alu instid0(VALU_DEP_2)
	v_pk_fma_f32 v[120:121], v[110:111], v[14:15] /*v[270:271]*/, v[108:109] neg_lo:[0,0,1] neg_hi:[0,0,1]
	v_pk_fma_f32 v[108:109], v[110:111], v[14:15] /*v[270:271]*/, v[108:109] op_sel_hi:[1,0,1]
	v_mov_b32_e32 v108, v113
	s_set_vgpr_msb 1                        ;  msbs: dst=0 src0=1 src1=0 src2=0
	v_mov_b32_e32 v110, v17 /*v273*/
	s_set_vgpr_msb 0                        ;  msbs: dst=0 src0=0 src1=0 src2=0
	v_dual_mov_b32 v121, v109 :: v_dual_mov_b32 v109, v112
	s_delay_alu instid0(VALU_DEP_1) | instskip(NEXT) | instid1(VALU_DEP_2)
	v_pk_add_f32 v[106:107], v[106:107], v[120:121]
	v_pk_mul_f32 v[108:109], v[108:109], v[110:111] op_sel_hi:[1,0]
	s_set_vgpr_msb 4                        ;  msbs: dst=0 src0=0 src1=1 src2=0
	s_delay_alu instid0(VALU_DEP_1) | instskip(SKIP_1) | instid1(VALU_DEP_1)
	v_pk_fma_f32 v[110:111], v[112:113], v[16:17] /*v[272:273]*/, v[108:109] neg_lo:[0,0,1] neg_hi:[0,0,1]
	v_pk_fma_f32 v[108:109], v[112:113], v[16:17] /*v[272:273]*/, v[108:109] op_sel_hi:[1,0,1]
	v_mov_b32_e32 v111, v109
	s_wait_loadcnt_dscnt 0x101
	v_pk_mul_f32 v[108:109], v[114:115], v[18:19] /*v[274:275]*/ op_sel:[1,1] op_sel_hi:[0,1]
	s_set_vgpr_msb 0                        ;  msbs: dst=0 src0=0 src1=0 src2=0
	s_delay_alu instid0(VALU_DEP_2) | instskip(SKIP_1) | instid1(VALU_DEP_2)
	v_pk_add_f32 v[106:107], v[106:107], v[110:111]
	s_set_vgpr_msb 4                        ;  msbs: dst=0 src0=0 src1=1 src2=0
	v_pk_fma_f32 v[110:111], v[114:115], v[18:19] /*v[274:275]*/, v[108:109] neg_lo:[0,0,1] neg_hi:[0,0,1]
	v_pk_fma_f32 v[108:109], v[114:115], v[18:19] /*v[274:275]*/, v[108:109] op_sel_hi:[1,0,1]
	s_delay_alu instid0(VALU_DEP_1) | instskip(SKIP_2) | instid1(VALU_DEP_2)
	v_dual_mov_b32 v108, v117 :: v_dual_mov_b32 v111, v109
	v_mov_b32_e32 v109, v116
	s_set_vgpr_msb 0                        ;  msbs: dst=0 src0=0 src1=0 src2=0
	v_pk_add_f32 v[106:107], v[106:107], v[110:111]
	s_set_vgpr_msb 1                        ;  msbs: dst=0 src0=1 src1=0 src2=0
	v_mov_b32_e32 v110, v21 /*v277*/
	s_set_vgpr_msb 0                        ;  msbs: dst=0 src0=0 src1=0 src2=0
	s_delay_alu instid0(VALU_DEP_1) | instskip(SKIP_1) | instid1(VALU_DEP_1)
	v_pk_mul_f32 v[108:109], v[108:109], v[110:111] op_sel_hi:[1,0]
	s_set_vgpr_msb 4                        ;  msbs: dst=0 src0=0 src1=1 src2=0
	v_pk_fma_f32 v[110:111], v[116:117], v[20:21] /*v[276:277]*/, v[108:109] neg_lo:[0,0,1] neg_hi:[0,0,1]
	v_pk_fma_f32 v[108:109], v[116:117], v[20:21] /*v[276:277]*/, v[108:109] op_sel_hi:[1,0,1]
	s_delay_alu instid0(VALU_DEP_1) | instskip(SKIP_3) | instid1(VALU_DEP_2)
	v_mov_b32_e32 v111, v109
	s_wait_loadcnt_dscnt 0x0
	v_pk_mul_f32 v[108:109], v[118:119], v[28:29] /*v[284:285]*/ op_sel:[1,1] op_sel_hi:[0,1]
	s_set_vgpr_msb 0                        ;  msbs: dst=0 src0=0 src1=0 src2=0
	v_pk_add_f32 v[106:107], v[106:107], v[110:111]
	s_set_vgpr_msb 4                        ;  msbs: dst=0 src0=0 src1=1 src2=0
	s_delay_alu instid0(VALU_DEP_2) | instskip(SKIP_1) | instid1(VALU_DEP_1)
	v_pk_fma_f32 v[110:111], v[118:119], v[28:29] /*v[284:285]*/, v[108:109] neg_lo:[0,0,1] neg_hi:[0,0,1]
	v_pk_fma_f32 v[108:109], v[118:119], v[28:29] /*v[284:285]*/, v[108:109] op_sel_hi:[1,0,1]
	v_mov_b32_e32 v111, v109
	scratch_load_b64 v[108:109], off, off offset:32
	s_set_vgpr_msb 0                        ;  msbs: dst=0 src0=0 src1=0 src2=0
	v_pk_add_f32 v[106:107], v[106:107], v[110:111]
	s_wait_loadcnt 0x0
	s_delay_alu instid0(VALU_DEP_1)
	v_pk_add_f32 v[106:107], v[108:109], v[106:107] neg_lo:[0,1] neg_hi:[0,1]
	scratch_store_b64 off, v[106:107], off offset:32
	s_wait_xcnt 0x0
	v_cmpx_lt_u32_e32 3, v0
	s_cbranch_execz .LBB51_319
; %bb.318:
	scratch_load_b64 v[106:107], off, off offset:24
	v_mov_b64_e32 v[108:109], 0
	scratch_store_b64 off, v[108:109], off offset:24
	s_wait_loadcnt 0x0
	ds_store_b64 v1, v[106:107]
.LBB51_319:
	s_wait_xcnt 0x0
	s_or_b32 exec_lo, exec_lo, s0
	s_wait_storecnt_dscnt 0x0
	s_barrier_signal -1
	s_barrier_wait -1
	s_clause 0x17
	scratch_load_b128 v[106:109], off, off offset:32
	scratch_load_b128 v[110:113], off, off offset:48
	;; [unrolled: 1-line block ×24, first 2 shown]
	ds_load_b128 v[202:205], v5 offset:448
	ds_load_b128 v[206:209], v5 offset:464
	;; [unrolled: 1-line block ×6, first 2 shown]
	s_set_vgpr_msb 64                       ;  msbs: dst=1 src0=0 src1=0 src2=0
	scratch_load_b64 v[42:43] /*v[298:299]*/, off, off offset:24
	s_set_vgpr_msb 0                        ;  msbs: dst=0 src0=0 src1=0 src2=0
	ds_load_b128 v[226:229], v5 offset:512
	ds_load_b128 v[230:233], v5 offset:528
	;; [unrolled: 1-line block ×8, first 2 shown]
	s_set_vgpr_msb 64                       ;  msbs: dst=1 src0=0 src1=0 src2=0
	ds_load_b128 v[2:5] /*v[258:261]*/, v5 offset:608
	ds_load_b128 v[6:9] /*v[262:265]*/, v5 offset:624
	;; [unrolled: 1-line block ×10, first 2 shown]
	s_mov_b32 s0, exec_lo
	s_wait_dscnt 0xf
	v_dual_mov_b32 v48 /*v304*/, v237 :: v_dual_mov_b32 v49 /*v305*/, v236
	s_wait_dscnt 0xe
	v_dual_mov_b32 v50 /*v306*/, v241 :: v_dual_mov_b32 v51 /*v307*/, v240
	v_dual_mov_b32 v44 /*v300*/, v221 :: v_dual_mov_b32 v45 /*v301*/, v220
	;; [unrolled: 1-line block ×3, first 2 shown]
	s_wait_loadcnt 0x18
	s_set_vgpr_msb 0                        ;  msbs: dst=0 src0=0 src1=0 src2=0
	v_dual_mul_f32 v5, v202, v107 :: v_dual_mul_f32 v9, v204, v109
	s_wait_loadcnt 0x17
	v_dual_mul_f32 v83, v203, v107 :: v_dual_mul_f32 v89, v209, v113
	s_wait_loadcnt 0x16
	;; [unrolled: 2-line block ×3, first 2 shown]
	v_dual_fmac_f32 v5, v203, v106 :: v_dual_mul_f32 v97, v217, v121
	v_fma_f32 v83, v202, v106, -v83
	s_wait_loadcnt_dscnt 0xf0a
	v_mul_f32_e32 v43, v254, v143
	v_dual_mul_f32 v11, v206, v111 :: v_dual_mul_f32 v13, v208, v113
	v_dual_mul_f32 v87, v207, v111 :: v_dual_mul_f32 v93, v213, v117
	v_dual_mul_f32 v95, v215, v119 :: v_dual_fmac_f32 v9, v205, v108
	v_dual_fma_f32 v85, v204, v108, -v85 :: v_dual_add_f32 v5, 0, v5
	s_wait_loadcnt_dscnt 0x601
	s_set_vgpr_msb 1                        ;  msbs: dst=0 src0=1 src1=0 src2=0
	v_dual_mul_f32 v81, v36 /*v292*/, v181 :: v_dual_add_f32 v83, 0, v83
	s_set_vgpr_msb 0                        ;  msbs: dst=0 src0=0 src1=0 src2=0
	v_fmac_f32_e32 v11, v207, v110
	v_dual_fma_f32 v87, v206, v110, -v87 :: v_dual_add_f32 v5, v5, v9
	v_dual_mul_f32 v15, v210, v115 :: v_dual_mul_f32 v17, v212, v117
	v_dual_add_f32 v9, v83, v85 :: v_dual_fma_f32 v85, v208, v112, -v89
	s_delay_alu instid0(VALU_DEP_3) | instskip(SKIP_1) | instid1(VALU_DEP_3)
	v_add_f32_e32 v5, v5, v11
	v_dual_mul_f32 v83, v227, v123 :: v_dual_fmac_f32 v13, v209, v112
	v_dual_add_f32 v9, v9, v87 :: v_dual_fmac_f32 v15, v211, v114
	v_dual_mul_f32 v11, v229, v125 :: v_dual_fma_f32 v87, v210, v114, -v91
	s_delay_alu instid0(VALU_DEP_3) | instskip(NEXT) | instid1(VALU_DEP_3)
	v_dual_add_f32 v5, v5, v13 :: v_dual_mul_f32 v13, v231, v127
	v_dual_add_f32 v9, v9, v85 :: v_dual_fma_f32 v85, v212, v116, -v93
	v_dual_mul_f32 v19, v214, v119 :: v_dual_mul_f32 v21, v216, v121
	v_fmac_f32_e32 v17, v213, v116
	s_delay_alu instid0(VALU_DEP_3) | instskip(SKIP_2) | instid1(VALU_DEP_3)
	v_add_f32_e32 v9, v9, v87
	v_dual_add_f32 v5, v5, v15 :: v_dual_fma_f32 v87, v214, v118, -v95
	v_dual_mul_f32 v23, v226, v123 :: v_dual_mul_f32 v25, v228, v125
	v_dual_add_f32 v9, v9, v85 :: v_dual_fma_f32 v83, v226, v122, -v83
	s_delay_alu instid0(VALU_DEP_3) | instskip(NEXT) | instid1(VALU_DEP_3)
	v_dual_fmac_f32 v19, v215, v118 :: v_dual_add_f32 v5, v5, v17
	v_dual_fmac_f32 v23, v227, v122 :: v_dual_fma_f32 v85, v216, v120, -v97
	s_delay_alu instid0(VALU_DEP_3) | instskip(SKIP_2) | instid1(VALU_DEP_2)
	v_dual_add_f32 v9, v9, v87 :: v_dual_fma_f32 v13, v230, v126, -v13
	v_dual_mul_f32 v27, v230, v127 :: v_dual_mul_f32 v29, v232, v129
	v_dual_mul_f32 v15, v233, v129 :: v_dual_mul_f32 v17, v243, v131
	v_dual_fmac_f32 v21, v217, v120 :: v_dual_fmac_f32 v27, v231, v126
	v_dual_add_f32 v5, v5, v19 :: v_dual_fma_f32 v11, v228, v124, -v11
	s_delay_alu instid0(VALU_DEP_3) | instskip(SKIP_1) | instid1(VALU_DEP_3)
	v_dual_add_f32 v9, v9, v85 :: v_dual_fma_f32 v15, v232, v128, -v15
	v_mul_f32_e32 v19, v245, v133
	v_dual_add_f32 v5, v5, v21 :: v_dual_mul_f32 v21, v247, v135
	s_delay_alu instid0(VALU_DEP_3) | instskip(SKIP_2) | instid1(VALU_DEP_3)
	v_add_f32_e32 v9, v9, v83
	v_dual_mul_f32 v31, v242, v131 :: v_dual_mul_f32 v33, v244, v133
	v_fmac_f32_e32 v25, v229, v124
	v_dual_fma_f32 v19, v244, v132, -v19 :: v_dual_add_f32 v9, v9, v11
	v_dual_fma_f32 v21, v246, v134, -v21 :: v_dual_mul_f32 v11, v251, v139
	v_dual_add_f32 v5, v5, v23 :: v_dual_fma_f32 v17, v242, v130, -v17
	v_dual_mul_f32 v35, v246, v135 :: v_dual_mul_f32 v37, v248, v137
	s_delay_alu instid0(VALU_DEP_3) | instskip(NEXT) | instid1(VALU_DEP_3)
	v_dual_add_f32 v9, v9, v13 :: v_dual_fma_f32 v11, v250, v138, -v11
	v_dual_fmac_f32 v31, v243, v130 :: v_dual_add_f32 v5, v5, v25
	s_delay_alu instid0(VALU_DEP_3)
	v_dual_fmac_f32 v35, v247, v134 :: v_dual_mul_f32 v39, v250, v139
	v_mul_f32_e32 v41, v252, v141
	v_mul_f32_e32 v23, v249, v137
	v_fmac_f32_e32 v29, v233, v128
	v_dual_add_f32 v9, v9, v15 :: v_dual_fmac_f32 v43, v255, v142
	v_mul_f32_e32 v15, v255, v143
	s_delay_alu instid0(VALU_DEP_4) | instskip(SKIP_1) | instid1(VALU_DEP_2)
	v_dual_add_f32 v5, v5, v27 :: v_dual_fma_f32 v23, v248, v136, -v23
	v_dual_mul_f32 v13, v253, v141 :: v_dual_fmac_f32 v41, v253, v140
	v_dual_fmac_f32 v39, v251, v138 :: v_dual_add_f32 v5, v5, v29
	s_delay_alu instid0(VALU_DEP_4) | instskip(NEXT) | instid1(VALU_DEP_3)
	v_dual_fmac_f32 v33, v245, v132 :: v_dual_fma_f32 v15, v254, v142, -v15
	v_dual_add_f32 v9, v9, v17 :: v_dual_fma_f32 v13, v252, v140, -v13
	s_delay_alu instid0(VALU_DEP_3)
	v_add_f32_e32 v5, v5, v31
	v_fmac_f32_e32 v37, v249, v136
	s_set_vgpr_msb 1                        ;  msbs: dst=0 src0=1 src1=0 src2=0
	v_dual_mul_f32 v45, v0 /*v256*/, v145 :: v_dual_mul_f32 v47, v2 /*v258*/, v147
	s_set_vgpr_msb 0                        ;  msbs: dst=0 src0=0 src1=0 src2=0
	v_add_f32_e32 v9, v9, v19
	v_add_f32_e32 v5, v5, v33
	s_set_vgpr_msb 1                        ;  msbs: dst=0 src0=1 src1=0 src2=0
	v_dual_mul_f32 v17, v1 /*v257*/, v145 :: v_dual_mul_f32 v19, v3 /*v259*/, v147
	v_dual_fmac_f32 v45, v1 /*v257*/, v144 :: v_dual_fmac_f32 v47, v3 /*v259*/, v146
	s_set_vgpr_msb 0                        ;  msbs: dst=0 src0=0 src1=0 src2=0
	v_add_f32_e32 v5, v5, v35
	v_add_f32_e32 v9, v9, v21
	s_set_vgpr_msb 1                        ;  msbs: dst=0 src0=1 src1=0 src2=0
	v_fma_f32 v17, v0 /*v256*/, v144, -v17
	v_dual_mul_f32 v49, v4 /*v260*/, v149 :: v_dual_mul_f32 v51, v6 /*v262*/, v151
	s_set_vgpr_msb 0                        ;  msbs: dst=0 src0=0 src1=0 src2=0
	v_add_f32_e32 v5, v5, v37
	v_add_f32_e32 v9, v9, v23
	s_set_vgpr_msb 1                        ;  msbs: dst=0 src0=1 src1=0 src2=0
	v_dual_mul_f32 v21, v5 /*v261*/, v149 :: v_dual_mul_f32 v23, v7 /*v263*/, v151
	v_fma_f32 v19, v2 /*v258*/, v146, -v19
	s_set_vgpr_msb 0                        ;  msbs: dst=0 src0=0 src1=0 src2=0
	v_add_f32_e32 v5, v5, v39
	v_add_f32_e32 v9, v9, v11
	s_set_vgpr_msb 1                        ;  msbs: dst=0 src0=1 src1=0 src2=0
	v_dual_fmac_f32 v49, v5 /*v261*/, v148 :: v_dual_fmac_f32 v51, v7 /*v263*/, v150
	v_fma_f32 v21, v4 /*v260*/, v148, -v21
	s_set_vgpr_msb 0                        ;  msbs: dst=0 src0=0 src1=0 src2=0
	v_add_f32_e32 v5, v5, v41
	v_add_f32_e32 v9, v9, v13
	s_set_vgpr_msb 1                        ;  msbs: dst=0 src0=1 src1=0 src2=0
	v_dual_mul_f32 v53, v8 /*v264*/, v153 :: v_dual_mul_f32 v55, v10 /*v266*/, v155
	v_dual_mul_f32 v11, v9 /*v265*/, v153 :: v_dual_mul_f32 v13, v11 /*v267*/, v155
	s_set_vgpr_msb 0                        ;  msbs: dst=0 src0=0 src1=0 src2=0
	v_add_f32_e32 v5, v5, v43
	v_add_f32_e32 v9, v9, v15
	s_set_vgpr_msb 1                        ;  msbs: dst=0 src0=1 src1=0 src2=0
	v_dual_mul_f32 v15, v13 /*v269*/, v157 :: v_dual_fma_f32 v23, v6 /*v262*/, v150, -v23
	v_dual_fmac_f32 v53, v9 /*v265*/, v152 :: v_dual_fma_f32 v11, v8 /*v264*/, v152, -v11
	s_set_vgpr_msb 0                        ;  msbs: dst=0 src0=0 src1=0 src2=0
	v_add_f32_e32 v5, v5, v45
	v_add_f32_e32 v9, v9, v17
	s_set_vgpr_msb 1                        ;  msbs: dst=0 src0=1 src1=0 src2=0
	v_dual_mul_f32 v17, v15 /*v271*/, v159 :: v_dual_mul_f32 v57, v12 /*v268*/, v157
	v_mul_f32_e32 v59, v14 /*v270*/, v159
	s_set_vgpr_msb 0                        ;  msbs: dst=0 src0=0 src1=0 src2=0
	v_add_f32_e32 v5, v5, v47
	v_add_f32_e32 v9, v9, v19
	s_set_vgpr_msb 1                        ;  msbs: dst=0 src0=1 src1=0 src2=0
	v_dual_mul_f32 v19, v17 /*v273*/, v161 :: v_dual_fmac_f32 v55, v11 /*v267*/, v154
	v_fma_f32 v13, v10 /*v266*/, v154, -v13
	s_set_vgpr_msb 0                        ;  msbs: dst=0 src0=0 src1=0 src2=0
	v_add_f32_e32 v5, v5, v49
	v_add_f32_e32 v9, v9, v21
	s_set_vgpr_msb 1                        ;  msbs: dst=0 src0=1 src1=0 src2=0
	v_dual_mul_f32 v21, v19 /*v275*/, v163 :: v_dual_fmac_f32 v57, v13 /*v269*/, v156
	v_fma_f32 v15, v12 /*v268*/, v156, -v15
	s_set_vgpr_msb 0                        ;  msbs: dst=0 src0=0 src1=0 src2=0
	v_add_f32_e32 v5, v5, v51
	v_add_f32_e32 v9, v9, v23
	s_set_vgpr_msb 1                        ;  msbs: dst=0 src0=1 src1=0 src2=0
	v_mul_f32_e32 v23, v21 /*v277*/, v165
	v_dual_mul_f32 v61, v16 /*v272*/, v161 :: v_dual_mul_f32 v63, v18 /*v274*/, v163
	s_set_vgpr_msb 0                        ;  msbs: dst=0 src0=0 src1=0 src2=0
	v_add_f32_e32 v5, v5, v53
	v_add_f32_e32 v9, v9, v11
	s_set_vgpr_msb 1                        ;  msbs: dst=0 src0=1 src1=0 src2=0
	v_mul_f32_e32 v11, v23 /*v279*/, v167
	v_dual_fmac_f32 v59, v15 /*v271*/, v158 :: v_dual_fma_f32 v17, v14 /*v270*/, v158, -v17
	s_set_vgpr_msb 0                        ;  msbs: dst=0 src0=0 src1=0 src2=0
	v_add_f32_e32 v5, v5, v55
	v_add_f32_e32 v9, v9, v13
	s_set_vgpr_msb 1                        ;  msbs: dst=0 src0=1 src1=0 src2=0
	v_mul_f32_e32 v13, v25 /*v281*/, v169
	v_dual_fmac_f32 v61, v17 /*v273*/, v160 :: v_dual_fma_f32 v19, v16 /*v272*/, v160, -v19
	s_set_vgpr_msb 0                        ;  msbs: dst=0 src0=0 src1=0 src2=0
	v_add_f32_e32 v5, v5, v57
	v_add_f32_e32 v9, v9, v15
	s_set_vgpr_msb 1                        ;  msbs: dst=0 src0=1 src1=0 src2=0
	v_dual_mul_f32 v15, v27 /*v283*/, v171 :: v_dual_mul_f32 v65, v20 /*v276*/, v165
	v_mul_f32_e32 v67, v22 /*v278*/, v167
	s_set_vgpr_msb 0                        ;  msbs: dst=0 src0=0 src1=0 src2=0
	v_add_f32_e32 v5, v5, v59
	v_add_f32_e32 v9, v9, v17
	s_set_vgpr_msb 1                        ;  msbs: dst=0 src0=1 src1=0 src2=0
	v_dual_mul_f32 v17, v29 /*v285*/, v173 :: v_dual_fmac_f32 v63, v19 /*v275*/, v162
	v_fma_f32 v21, v18 /*v274*/, v162, -v21
	s_set_vgpr_msb 0                        ;  msbs: dst=0 src0=0 src1=0 src2=0
	v_add_f32_e32 v5, v5, v61
	v_add_f32_e32 v9, v9, v19
	s_set_vgpr_msb 1                        ;  msbs: dst=0 src0=1 src1=0 src2=0
	v_dual_mul_f32 v19, v31 /*v287*/, v175 :: v_dual_fmac_f32 v65, v21 /*v277*/, v164
	v_fma_f32 v23, v20 /*v276*/, v164, -v23
	s_set_vgpr_msb 0                        ;  msbs: dst=0 src0=0 src1=0 src2=0
	v_add_f32_e32 v5, v5, v63
	v_add_f32_e32 v9, v9, v21
	s_set_vgpr_msb 1                        ;  msbs: dst=0 src0=1 src1=0 src2=0
	v_dual_mul_f32 v69, v24 /*v280*/, v169 :: v_dual_mul_f32 v71, v26 /*v282*/, v171
	v_dual_mul_f32 v21, v33 /*v289*/, v177 :: v_dual_fmac_f32 v67, v23 /*v279*/, v166
	v_fma_f32 v11, v22 /*v278*/, v166, -v11
	s_set_vgpr_msb 0                        ;  msbs: dst=0 src0=0 src1=0 src2=0
	v_add_f32_e32 v5, v5, v65
	v_add_f32_e32 v9, v9, v23
	s_set_vgpr_msb 1                        ;  msbs: dst=0 src0=1 src1=0 src2=0
	v_dual_mul_f32 v23, v35 /*v291*/, v179 :: v_dual_fmac_f32 v69, v25 /*v281*/, v168
	v_dual_fmac_f32 v71, v27 /*v283*/, v170 :: v_dual_fma_f32 v13, v24 /*v280*/, v168, -v13
	s_set_vgpr_msb 0                        ;  msbs: dst=0 src0=0 src1=0 src2=0
	v_add_f32_e32 v5, v5, v67
	v_add_f32_e32 v9, v9, v11
	s_set_vgpr_msb 1                        ;  msbs: dst=0 src0=1 src1=0 src2=0
	v_dual_mul_f32 v73, v28 /*v284*/, v173 :: v_dual_mul_f32 v75, v30 /*v286*/, v175
	v_dual_mul_f32 v11, v37 /*v293*/, v181 :: v_dual_fma_f32 v15, v26 /*v282*/, v170, -v15
	s_set_vgpr_msb 0                        ;  msbs: dst=0 src0=0 src1=0 src2=0
	v_add_f32_e32 v5, v5, v69
	v_add_f32_e32 v9, v9, v13
	s_wait_loadcnt_dscnt 0x500
	s_set_vgpr_msb 1                        ;  msbs: dst=0 src0=1 src1=0 src2=0
	v_dual_mul_f32 v13, v39 /*v295*/, v183 :: v_dual_fmac_f32 v73, v29 /*v285*/, v172
	v_dual_fmac_f32 v75, v31 /*v287*/, v174 :: v_dual_fma_f32 v17, v28 /*v284*/, v172, -v17
	s_set_vgpr_msb 0                        ;  msbs: dst=0 src0=0 src1=0 src2=0
	v_add_f32_e32 v5, v5, v71
	v_add_f32_e32 v9, v9, v15
	s_set_vgpr_msb 1                        ;  msbs: dst=0 src0=1 src1=0 src2=0
	v_dual_mul_f32 v77, v32 /*v288*/, v177 :: v_dual_mul_f32 v79, v34 /*v290*/, v179
	v_dual_mul_f32 v15, v41 /*v297*/, v185 :: v_dual_fma_f32 v19, v30 /*v286*/, v174, -v19
	s_set_vgpr_msb 0                        ;  msbs: dst=0 src0=0 src1=0 src2=0
	v_add_f32_e32 v5, v5, v73
	v_add_f32_e32 v9, v9, v17
	s_set_vgpr_msb 1                        ;  msbs: dst=0 src0=1 src1=0 src2=0
	v_fmac_f32_e32 v77, v33 /*v289*/, v176
	v_dual_fma_f32 v17, v32 /*v288*/, v176, -v21 :: v_dual_fmac_f32 v79, v35 /*v291*/, v178
	s_set_vgpr_msb 0                        ;  msbs: dst=0 src0=0 src1=0 src2=0
	v_add_f32_e32 v5, v5, v75
	v_add_f32_e32 v9, v9, v19
	s_set_vgpr_msb 1                        ;  msbs: dst=0 src0=1 src1=0 src2=0
	v_dual_fma_f32 v19, v34 /*v290*/, v178, -v23 :: v_dual_fmac_f32 v81, v37 /*v293*/, v180
	s_set_vgpr_msb 0x41                     ;  msbs: dst=1 src0=1 src1=0 src2=0
	v_dual_mul_f32 v53 /*v309*/, v38 /*v294*/, v183 :: v_dual_mul_f32 v55 /*v311*/, v40 /*v296*/, v185
	s_set_vgpr_msb 0                        ;  msbs: dst=0 src0=0 src1=0 src2=0
	v_add_f32_e32 v5, v5, v77
	v_add_f32_e32 v9, v9, v17
	s_set_vgpr_msb 1                        ;  msbs: dst=0 src0=1 src1=0 src2=0
	v_fma_f32 v11, v36 /*v292*/, v180, -v11
	s_wait_loadcnt 0x4
	s_set_vgpr_msb 0                        ;  msbs: dst=0 src0=0 src1=0 src2=0
	v_pk_mul_f32 v[106:107], v[218:219], v[186:187] op_sel:[1,1] op_sel_hi:[0,1]
	s_wait_loadcnt 0x3
	v_dual_mov_b32 v108, v189 :: v_dual_mov_b32 v112, v193
	v_add_f32_e32 v5, v5, v79
	v_add_f32_e32 v9, v9, v19
	s_set_vgpr_msb 0x41                     ;  msbs: dst=1 src0=1 src1=0 src2=0
	v_dual_fmac_f32 v53 /*v309*/, v39 /*v295*/, v182 :: v_dual_fmac_f32 v55 /*v311*/, v41 /*v297*/, v184
	v_dual_fma_f32 v52 /*v308*/, v38 /*v294*/, v182, -v13 :: v_dual_fma_f32 v54 /*v310*/, v40 /*v296*/, v184, -v15
	s_set_vgpr_msb 0                        ;  msbs: dst=0 src0=0 src1=0 src2=0
	v_add_f32_e32 v115, v5, v81
	v_add_f32_e32 v114, v9, v11
	v_pk_fma_f32 v[116:117], v[218:219], v[186:187], v[106:107] op_sel_hi:[1,0,1]
	s_set_vgpr_msb 1                        ;  msbs: dst=0 src0=1 src1=0 src2=0
	v_pk_mul_f32 v[108:109], v[44:45] /*v[300:301]*/, v[108:109] op_sel_hi:[1,0]
	s_set_vgpr_msb 0                        ;  msbs: dst=0 src0=0 src1=0 src2=0
	v_pk_fma_f32 v[106:107], v[218:219], v[186:187], v[106:107] neg_lo:[0,0,1] neg_hi:[0,0,1]
	v_pk_mul_f32 v[110:111], v[222:223], v[190:191] op_sel:[1,1] op_sel_hi:[0,1]
	s_set_vgpr_msb 4                        ;  msbs: dst=0 src0=0 src1=1 src2=0
	v_pk_add_f32 v[114:115], v[114:115], v[52:53] /*v[308:309]*/
	v_mov_b32_e32 v107, v117
	s_set_vgpr_msb 0                        ;  msbs: dst=0 src0=0 src1=0 src2=0
	v_pk_fma_f32 v[116:117], v[220:221], v[188:189], v[108:109] op_sel_hi:[1,0,1]
	v_pk_fma_f32 v[108:109], v[220:221], v[188:189], v[108:109] neg_lo:[0,0,1] neg_hi:[0,0,1]
	v_pk_fma_f32 v[120:121], v[222:223], v[190:191], v[110:111] op_sel_hi:[1,0,1]
	s_set_vgpr_msb 4                        ;  msbs: dst=0 src0=0 src1=1 src2=0
	v_pk_add_f32 v[114:115], v[114:115], v[54:55] /*v[310:311]*/
	s_set_vgpr_msb 1                        ;  msbs: dst=0 src0=1 src1=0 src2=0
	v_pk_mul_f32 v[112:113], v[46:47] /*v[302:303]*/, v[112:113] op_sel_hi:[1,0]
	s_set_vgpr_msb 0                        ;  msbs: dst=0 src0=0 src1=0 src2=0
	v_mov_b32_e32 v109, v117
	s_wait_loadcnt 0x2
	v_pk_mul_f32 v[118:119], v[234:235], v[194:195] op_sel:[1,1] op_sel_hi:[0,1]
	v_pk_fma_f32 v[110:111], v[222:223], v[190:191], v[110:111] neg_lo:[0,0,1] neg_hi:[0,0,1]
	v_pk_add_f32 v[106:107], v[114:115], v[106:107]
	v_dual_mov_b32 v114, v197 :: v_dual_mov_b32 v111, v121
	v_pk_fma_f32 v[116:117], v[224:225], v[192:193], v[112:113] op_sel_hi:[1,0,1]
	v_pk_fma_f32 v[112:113], v[224:225], v[192:193], v[112:113] neg_lo:[0,0,1] neg_hi:[0,0,1]
	s_delay_alu instid0(VALU_DEP_4)
	v_pk_add_f32 v[106:107], v[106:107], v[108:109]
	v_pk_fma_f32 v[108:109], v[234:235], v[194:195], v[118:119] op_sel_hi:[1,0,1]
	s_set_vgpr_msb 1                        ;  msbs: dst=0 src0=1 src1=0 src2=0
	v_pk_mul_f32 v[114:115], v[48:49] /*v[304:305]*/, v[114:115] op_sel_hi:[1,0]
	s_set_vgpr_msb 0                        ;  msbs: dst=0 src0=0 src1=0 src2=0
	v_mov_b32_e32 v113, v117
	v_pk_fma_f32 v[116:117], v[234:235], v[194:195], v[118:119] neg_lo:[0,0,1] neg_hi:[0,0,1]
	v_pk_add_f32 v[106:107], v[106:107], v[110:111]
	v_mov_b32_e32 v117, v109
	v_pk_fma_f32 v[108:109], v[236:237], v[196:197], v[114:115] op_sel_hi:[1,0,1]
	s_wait_loadcnt 0x1
	v_pk_mul_f32 v[110:111], v[238:239], v[198:199] op_sel:[1,1] op_sel_hi:[0,1]
	v_mov_b32_e32 v108, v201
	v_pk_add_f32 v[106:107], v[106:107], v[112:113]
	v_pk_fma_f32 v[114:115], v[236:237], v[196:197], v[114:115] neg_lo:[0,0,1] neg_hi:[0,0,1]
	v_mov_b32_e32 v115, v109
	v_pk_fma_f32 v[112:113], v[238:239], v[198:199], v[110:111] op_sel_hi:[1,0,1]
	s_set_vgpr_msb 1                        ;  msbs: dst=0 src0=1 src1=0 src2=0
	v_pk_mul_f32 v[108:109], v[50:51] /*v[306:307]*/, v[108:109] op_sel_hi:[1,0]
	s_set_vgpr_msb 0                        ;  msbs: dst=0 src0=0 src1=0 src2=0
	v_pk_add_f32 v[106:107], v[106:107], v[116:117]
	v_pk_fma_f32 v[110:111], v[238:239], v[198:199], v[110:111] neg_lo:[0,0,1] neg_hi:[0,0,1]
	v_mov_b32_e32 v111, v113
	v_pk_fma_f32 v[112:113], v[240:241], v[200:201], v[108:109] op_sel_hi:[1,0,1]
	s_delay_alu instid0(VALU_DEP_4) | instskip(SKIP_1) | instid1(VALU_DEP_3)
	v_pk_add_f32 v[106:107], v[106:107], v[114:115]
	v_pk_fma_f32 v[108:109], v[240:241], v[200:201], v[108:109] neg_lo:[0,0,1] neg_hi:[0,0,1]
	v_mov_b32_e32 v109, v113
	s_delay_alu instid0(VALU_DEP_3) | instskip(NEXT) | instid1(VALU_DEP_1)
	v_pk_add_f32 v[106:107], v[106:107], v[110:111]
	v_pk_add_f32 v[106:107], v[106:107], v[108:109]
	s_wait_loadcnt 0x0
	s_set_vgpr_msb 1                        ;  msbs: dst=0 src0=1 src1=0 src2=0
	s_delay_alu instid0(VALU_DEP_1)
	v_pk_add_f32 v[106:107], v[42:43] /*v[298:299]*/, v[106:107] neg_lo:[0,1] neg_hi:[0,1]
	scratch_store_b64 off, v[106:107], off offset:24
	s_wait_xcnt 0x0
	v_cmpx_lt_u32_e32 2, v0
	s_set_vgpr_msb 0                        ;  msbs: dst=0 src0=0 src1=0 src2=0
	s_cbranch_execz .LBB51_321
; %bb.320:
	scratch_load_b64 v[106:107], off, off offset:16
	v_mov_b64_e32 v[108:109], 0
	scratch_store_b64 off, v[108:109], off offset:16
	s_wait_loadcnt 0x0
	ds_store_b64 v1, v[106:107]
.LBB51_321:
	s_wait_xcnt 0x0
	s_or_b32 exec_lo, exec_lo, s0
	s_wait_storecnt_dscnt 0x0
	s_barrier_signal -1
	s_barrier_wait -1
	s_clause 0x19
	scratch_load_b128 v[106:109], off, off offset:24
	scratch_load_b128 v[110:113], off, off offset:40
	;; [unrolled: 1-line block ×24, first 2 shown]
	s_set_vgpr_msb 64                       ;  msbs: dst=1 src0=0 src1=0 src2=0
	scratch_load_b64 v[42:43] /*v[298:299]*/, off, off offset:408
	s_set_vgpr_msb 0                        ;  msbs: dst=0 src0=0 src1=0 src2=0
	v_mov_b32_e32 v85, 0
	s_set_vgpr_msb 64                       ;  msbs: dst=1 src0=0 src1=0 src2=0
	scratch_load_b64 v[44:45] /*v[300:301]*/, off, off offset:16
	s_set_vgpr_msb 0                        ;  msbs: dst=0 src0=0 src1=0 src2=0
	ds_load_2addr_b64 v[202:205], v85 offset0:55 offset1:56
	ds_load_2addr_b64 v[206:209], v85 offset0:57 offset1:58
	ds_load_2addr_b64 v[210:213], v85 offset0:59 offset1:60
	ds_load_2addr_b64 v[214:217], v85 offset0:61 offset1:62
	ds_load_2addr_b64 v[218:221], v85 offset0:95 offset1:96
	ds_load_2addr_b64 v[222:225], v85 offset0:63 offset1:64
	ds_load_2addr_b64 v[226:229], v85 offset0:65 offset1:66
	ds_load_2addr_b64 v[230:233], v85 offset0:97 offset1:98
	ds_load_2addr_b64 v[234:237], v85 offset0:99 offset1:100
	ds_load_2addr_b64 v[238:241], v85 offset0:67 offset1:68
	ds_load_2addr_b64 v[242:245], v85 offset0:69 offset1:70
	ds_load_2addr_b64 v[246:249], v85 offset0:101 offset1:102
	ds_load_2addr_b64 v[250:253], v85 offset0:71 offset1:72
	ds_load_2addr_b64 v[254:257], v85 offset0:73 offset1:74
	s_set_vgpr_msb 64                       ;  msbs: dst=1 src0=0 src1=0 src2=0
	ds_load_2addr_b64 v[2:5] /*v[258:261]*/, v85 offset0:75 offset1:76
	ds_load_2addr_b64 v[6:9] /*v[262:265]*/, v85 offset0:77 offset1:78
	;; [unrolled: 1-line block ×10, first 2 shown]
	ds_load_b64 v[46:47] /*v[302:303]*/, v85 offset:824
	s_wait_dscnt 0x14
	v_dual_mov_b32 v48 /*v304*/, v221 :: v_dual_mov_b32 v49 /*v305*/, v220
	s_wait_dscnt 0x11
	v_dual_mov_b32 v50 /*v306*/, v233 :: v_dual_mov_b32 v51 /*v307*/, v232
	;; [unrolled: 2-line block ×4, first 2 shown]
	s_mov_b32 s0, exec_lo
	s_wait_loadcnt 0x19
	s_set_vgpr_msb 0                        ;  msbs: dst=0 src0=0 src1=0 src2=0
	v_dual_mul_f32 v5, v202, v107 :: v_dual_mul_f32 v87, v203, v107
	v_dual_mul_f32 v89, v205, v109 :: v_dual_mul_f32 v9, v204, v109
	s_wait_loadcnt 0x18
	v_mul_f32_e32 v11, v206, v111
	s_wait_loadcnt 0x16
	v_dual_mul_f32 v99, v215, v119 :: v_dual_fma_f32 v87, v202, v106, -v87
	v_dual_fmac_f32 v5, v203, v106 :: v_dual_mul_f32 v101, v217, v121
	v_dual_mul_f32 v91, v207, v111 :: v_dual_mul_f32 v93, v209, v113
	s_delay_alu instid0(VALU_DEP_2) | instskip(NEXT) | instid1(VALU_DEP_4)
	v_dual_fmac_f32 v9, v205, v108 :: v_dual_add_f32 v5, 0, v5
	v_dual_fma_f32 v89, v204, v108, -v89 :: v_dual_add_f32 v87, 0, v87
	v_dual_mul_f32 v13, v208, v113 :: v_dual_mul_f32 v15, v210, v115
	s_wait_loadcnt 0x15
	v_dual_mul_f32 v103, v223, v123 :: v_dual_fma_f32 v91, v206, v110, -v91
	v_dual_fmac_f32 v11, v207, v110 :: v_dual_add_f32 v5, v5, v9
	s_delay_alu instid0(VALU_DEP_3) | instskip(SKIP_2) | instid1(VALU_DEP_2)
	v_dual_add_f32 v9, v87, v89 :: v_dual_fmac_f32 v13, v209, v112
	v_dual_mul_f32 v95, v211, v115 :: v_dual_mul_f32 v97, v213, v117
	v_dual_mul_f32 v87, v225, v125 :: v_dual_fma_f32 v89, v208, v112, -v93
	v_dual_add_f32 v9, v9, v91 :: v_dual_fma_f32 v91, v210, v114, -v95
	v_dual_add_f32 v5, v5, v11 :: v_dual_fmac_f32 v15, v211, v114
	v_dual_mul_f32 v17, v212, v117 :: v_dual_mul_f32 v19, v214, v119
	s_delay_alu instid0(VALU_DEP_3) | instskip(SKIP_1) | instid1(VALU_DEP_3)
	v_dual_add_f32 v9, v9, v89 :: v_dual_fma_f32 v89, v212, v116, -v97
	s_wait_loadcnt 0x14
	v_dual_mul_f32 v11, v227, v127 :: v_dual_add_f32 v5, v5, v13
	v_dual_mul_f32 v21, v216, v121 :: v_dual_mul_f32 v23, v222, v123
	s_delay_alu instid0(VALU_DEP_3) | instskip(SKIP_1) | instid1(VALU_DEP_4)
	v_add_f32_e32 v9, v9, v91
	v_dual_fmac_f32 v17, v213, v116 :: v_dual_fmac_f32 v19, v215, v118
	v_dual_add_f32 v5, v5, v15 :: v_dual_fma_f32 v91, v214, v118, -v99
	s_delay_alu instid0(VALU_DEP_3) | instskip(SKIP_1) | instid1(VALU_DEP_3)
	v_dual_add_f32 v9, v9, v89 :: v_dual_fmac_f32 v23, v223, v122
	v_dual_mul_f32 v25, v224, v125 :: v_dual_mul_f32 v27, v226, v127
	v_dual_add_f32 v5, v5, v17 :: v_dual_fma_f32 v89, v216, v120, -v101
	s_delay_alu instid0(VALU_DEP_3)
	v_add_f32_e32 v9, v9, v91
	s_wait_loadcnt 0x13
	v_dual_mul_f32 v13, v229, v129 :: v_dual_mul_f32 v15, v239, v131
	v_dual_mul_f32 v17, v241, v133 :: v_dual_fma_f32 v91, v222, v122, -v103
	v_fmac_f32_e32 v21, v217, v120
	v_dual_add_f32 v5, v5, v19 :: v_dual_fma_f32 v87, v224, v124, -v87
	v_dual_fmac_f32 v27, v227, v126 :: v_dual_add_f32 v9, v9, v89
	s_delay_alu instid0(VALU_DEP_2) | instskip(SKIP_2) | instid1(VALU_DEP_4)
	v_dual_fma_f32 v13, v228, v128, -v13 :: v_dual_add_f32 v5, v5, v21
	v_dual_fma_f32 v11, v226, v126, -v11 :: v_dual_mul_f32 v29, v228, v129
	v_mul_f32_e32 v31, v238, v131
	v_dual_add_f32 v9, v9, v91 :: v_dual_fma_f32 v17, v240, v132, -v17
	s_wait_loadcnt 0x12
	v_dual_mul_f32 v19, v243, v135 :: v_dual_fmac_f32 v25, v225, v124
	s_delay_alu instid0(VALU_DEP_3) | instskip(NEXT) | instid1(VALU_DEP_3)
	v_dual_fmac_f32 v31, v239, v130 :: v_dual_add_f32 v5, v5, v23
	v_dual_fma_f32 v15, v238, v130, -v15 :: v_dual_add_f32 v9, v9, v87
	s_delay_alu instid0(VALU_DEP_3) | instskip(SKIP_1) | instid1(VALU_DEP_4)
	v_dual_fma_f32 v19, v242, v134, -v19 :: v_dual_mul_f32 v33, v240, v133
	v_dual_mul_f32 v35, v242, v135 :: v_dual_mul_f32 v21, v245, v137
	v_add_f32_e32 v5, v5, v25
	s_delay_alu instid0(VALU_DEP_4) | instskip(SKIP_4) | instid1(VALU_DEP_3)
	v_add_f32_e32 v9, v9, v11
	s_wait_loadcnt_dscnt 0x100b
	v_dual_mul_f32 v11, v255, v143 :: v_dual_mul_f32 v25, v253, v141
	v_dual_fma_f32 v21, v244, v136, -v21 :: v_dual_mul_f32 v23, v251, v139
	v_fmac_f32_e32 v35, v243, v134
	v_dual_fma_f32 v11, v254, v142, -v11 :: v_dual_fma_f32 v25, v252, v140, -v25
	v_add_f32_e32 v9, v9, v13
	s_delay_alu instid0(VALU_DEP_4)
	v_dual_add_f32 v5, v5, v27 :: v_dual_fma_f32 v23, v250, v138, -v23
	s_set_vgpr_msb 1                        ;  msbs: dst=0 src0=1 src1=0 src2=0
	v_mul_f32_e32 v13, v1 /*v257*/, v145
	s_wait_loadcnt_dscnt 0xe09
	v_dual_mul_f32 v49, v4 /*v260*/, v149 :: v_dual_mul_f32 v51, v6 /*v262*/, v151
	s_set_vgpr_msb 0                        ;  msbs: dst=0 src0=0 src1=0 src2=0
	v_add_f32_e32 v9, v9, v15
	s_set_vgpr_msb 1                        ;  msbs: dst=0 src0=1 src1=0 src2=0
	v_dual_mul_f32 v15, v3 /*v259*/, v147 :: v_dual_fma_f32 v13, v0 /*v256*/, v144, -v13
	v_dual_fmac_f32 v49, v5 /*v261*/, v148 :: v_dual_mul_f32 v53, v8 /*v264*/, v153
	s_wait_loadcnt_dscnt 0xd08
	v_mul_f32_e32 v55, v10 /*v266*/, v155
	s_set_vgpr_msb 0                        ;  msbs: dst=0 src0=0 src1=0 src2=0
	v_add_f32_e32 v9, v9, v17
	s_set_vgpr_msb 1                        ;  msbs: dst=0 src0=1 src1=0 src2=0
	v_dual_mul_f32 v17, v5 /*v261*/, v149 :: v_dual_fma_f32 v15, v2 /*v258*/, v146, -v15
	v_dual_fmac_f32 v53, v9 /*v265*/, v152 :: v_dual_mul_f32 v45, v0 /*v256*/, v145
	v_mul_f32_e32 v47, v2 /*v258*/, v147
	s_set_vgpr_msb 0                        ;  msbs: dst=0 src0=0 src1=0 src2=0
	v_add_f32_e32 v9, v9, v19
	s_set_vgpr_msb 1                        ;  msbs: dst=0 src0=1 src1=0 src2=0
	v_dual_mul_f32 v19, v7 /*v263*/, v151 :: v_dual_fma_f32 v17, v4 /*v260*/, v148, -v17
	s_wait_loadcnt_dscnt 0xc07
	v_dual_mul_f32 v57, v12 /*v268*/, v157 :: v_dual_mul_f32 v59, v14 /*v270*/, v159
	s_set_vgpr_msb 0                        ;  msbs: dst=0 src0=0 src1=0 src2=0
	v_add_f32_e32 v9, v9, v21
	s_set_vgpr_msb 1                        ;  msbs: dst=0 src0=1 src1=0 src2=0
	v_dual_mul_f32 v21, v9 /*v265*/, v153 :: v_dual_fma_f32 v19, v6 /*v262*/, v150, -v19
	v_fmac_f32_e32 v45, v1 /*v257*/, v144
	v_fmac_f32_e32 v57, v13 /*v269*/, v156
	s_set_vgpr_msb 0                        ;  msbs: dst=0 src0=0 src1=0 src2=0
	v_add_f32_e32 v9, v9, v23
	s_set_vgpr_msb 1                        ;  msbs: dst=0 src0=1 src1=0 src2=0
	v_dual_mul_f32 v23, v11 /*v267*/, v155 :: v_dual_fma_f32 v21, v8 /*v264*/, v152, -v21
	s_wait_loadcnt_dscnt 0xb06
	v_dual_mul_f32 v61, v16 /*v272*/, v161 :: v_dual_mul_f32 v63, v18 /*v274*/, v163
	s_set_vgpr_msb 0                        ;  msbs: dst=0 src0=0 src1=0 src2=0
	v_add_f32_e32 v9, v9, v25
	s_set_vgpr_msb 1                        ;  msbs: dst=0 src0=1 src1=0 src2=0
	v_dual_mul_f32 v25, v13 /*v269*/, v157 :: v_dual_fma_f32 v23, v10 /*v266*/, v154, -v23
	v_dual_fmac_f32 v47, v3 /*v259*/, v146 :: v_dual_fmac_f32 v61, v17 /*v273*/, v160
	s_set_vgpr_msb 0                        ;  msbs: dst=0 src0=0 src1=0 src2=0
	v_add_f32_e32 v9, v9, v11
	s_set_vgpr_msb 1                        ;  msbs: dst=0 src0=1 src1=0 src2=0
	v_dual_mul_f32 v11, v15 /*v271*/, v159 :: v_dual_fma_f32 v25, v12 /*v268*/, v156, -v25
	s_wait_loadcnt_dscnt 0xa05
	v_dual_mul_f32 v65, v20 /*v276*/, v165 :: v_dual_mul_f32 v67, v22 /*v278*/, v167
	s_set_vgpr_msb 0                        ;  msbs: dst=0 src0=0 src1=0 src2=0
	v_add_f32_e32 v9, v9, v13
	s_set_vgpr_msb 1                        ;  msbs: dst=0 src0=1 src1=0 src2=0
	v_dual_mul_f32 v13, v17 /*v273*/, v161 :: v_dual_fma_f32 v11, v14 /*v270*/, v158, -v11
	v_dual_fmac_f32 v51, v7 /*v263*/, v150 :: v_dual_fmac_f32 v65, v21 /*v277*/, v164
	s_set_vgpr_msb 0                        ;  msbs: dst=0 src0=0 src1=0 src2=0
	v_add_f32_e32 v9, v9, v15
	s_set_vgpr_msb 1                        ;  msbs: dst=0 src0=1 src1=0 src2=0
	v_dual_mul_f32 v15, v19 /*v275*/, v163 :: v_dual_fma_f32 v13, v16 /*v272*/, v160, -v13
	s_set_vgpr_msb 0                        ;  msbs: dst=0 src0=0 src1=0 src2=0
	v_dual_mul_f32 v37, v244, v137 :: v_dual_mul_f32 v39, v250, v139
	v_add_f32_e32 v9, v9, v17
	s_set_vgpr_msb 1                        ;  msbs: dst=0 src0=1 src1=0 src2=0
	v_dual_mul_f32 v17, v21 /*v277*/, v165 :: v_dual_fma_f32 v15, v18 /*v274*/, v162, -v15
	s_wait_loadcnt_dscnt 0x904
	v_dual_mul_f32 v69, v24 /*v280*/, v169 :: v_dual_mul_f32 v71, v26 /*v282*/, v171
	s_set_vgpr_msb 0                        ;  msbs: dst=0 src0=0 src1=0 src2=0
	v_add_f32_e32 v9, v9, v19
	s_set_vgpr_msb 1                        ;  msbs: dst=0 src0=1 src1=0 src2=0
	v_dual_mul_f32 v19, v23 /*v279*/, v167 :: v_dual_fma_f32 v17, v20 /*v276*/, v164, -v17
	s_set_vgpr_msb 0                        ;  msbs: dst=0 src0=0 src1=0 src2=0
	v_dual_fmac_f32 v29, v229, v128 :: v_dual_fmac_f32 v39, v251, v138
	v_add_f32_e32 v9, v9, v21
	s_set_vgpr_msb 1                        ;  msbs: dst=0 src0=1 src1=0 src2=0
	v_dual_fmac_f32 v55, v11 /*v267*/, v154 :: v_dual_mul_f32 v21, v25 /*v281*/, v169
	v_dual_fma_f32 v19, v22 /*v278*/, v166, -v19 :: v_dual_fmac_f32 v69, v25 /*v281*/, v168
	s_set_vgpr_msb 0                        ;  msbs: dst=0 src0=0 src1=0 src2=0
	v_add_f32_e32 v9, v9, v23
	s_set_vgpr_msb 1                        ;  msbs: dst=0 src0=1 src1=0 src2=0
	v_mul_f32_e32 v23, v27 /*v283*/, v171
	s_wait_loadcnt 0x4
	s_set_vgpr_msb 0                        ;  msbs: dst=0 src0=0 src1=0 src2=0
	v_dual_mov_b32 v106, v189 :: v_dual_mov_b32 v110, v193
	v_dual_mul_f32 v41, v252, v141 :: v_dual_mul_f32 v43, v254, v143
	v_add_f32_e32 v9, v9, v25
	v_add_f32_e32 v5, v5, v29
	s_set_vgpr_msb 1                        ;  msbs: dst=0 src0=1 src1=0 src2=0
	v_fma_f32 v21, v24 /*v280*/, v168, -v21
	v_pk_mul_f32 v[106:107], v[48:49] /*v[304:305]*/, v[106:107] op_sel_hi:[1,0]
	s_wait_dscnt 0x3
	v_dual_mul_f32 v73, v28 /*v284*/, v173 :: v_dual_mul_f32 v75, v30 /*v286*/, v175
	s_set_vgpr_msb 0                        ;  msbs: dst=0 src0=0 src1=0 src2=0
	v_add_f32_e32 v9, v9, v11
	s_set_vgpr_msb 1                        ;  msbs: dst=0 src0=1 src1=0 src2=0
	v_mul_f32_e32 v11, v31 /*v287*/, v175
	s_set_vgpr_msb 0                        ;  msbs: dst=0 src0=0 src1=0 src2=0
	v_dual_fmac_f32 v33, v241, v132 :: v_dual_fmac_f32 v43, v255, v142
	s_set_vgpr_msb 1                        ;  msbs: dst=0 src0=1 src1=0 src2=0
	v_dual_fma_f32 v23, v26 /*v282*/, v170, -v23 :: v_dual_fmac_f32 v73, v29 /*v285*/, v172
	s_set_vgpr_msb 0                        ;  msbs: dst=0 src0=0 src1=0 src2=0
	v_add_f32_e32 v9, v9, v13
	v_pk_fma_f32 v[118:119], v[220:221], v[188:189], v[106:107] op_sel_hi:[1,0,1]
	v_add_f32_e32 v5, v5, v31
	v_pk_fma_f32 v[106:107], v[220:221], v[188:189], v[106:107] neg_lo:[0,0,1] neg_hi:[0,0,1]
	v_fmac_f32_e32 v37, v245, v136
	v_add_f32_e32 v9, v9, v15
	s_wait_dscnt 0x2
	s_set_vgpr_msb 1                        ;  msbs: dst=0 src0=1 src1=0 src2=0
	v_mul_f32_e32 v15, v35 /*v291*/, v179
	s_set_vgpr_msb 0                        ;  msbs: dst=0 src0=0 src1=0 src2=0
	v_dual_mov_b32 v107, v119 :: v_dual_fmac_f32 v41, v253, v140
	s_set_vgpr_msb 1                        ;  msbs: dst=0 src0=1 src1=0 src2=0
	v_dual_fmac_f32 v59, v15 /*v271*/, v158 :: v_dual_mul_f32 v25, v29 /*v285*/, v173
	s_set_vgpr_msb 0                        ;  msbs: dst=0 src0=0 src1=0 src2=0
	v_add_f32_e32 v9, v9, v17
	s_set_vgpr_msb 1                        ;  msbs: dst=0 src0=1 src1=0 src2=0
	v_dual_fmac_f32 v63, v19 /*v275*/, v162 :: v_dual_mul_f32 v13, v33 /*v289*/, v177
	v_dual_fmac_f32 v67, v23 /*v279*/, v166 :: v_dual_mul_f32 v17, v37 /*v293*/, v181
	s_set_vgpr_msb 0                        ;  msbs: dst=0 src0=0 src1=0 src2=0
	v_add_f32_e32 v9, v9, v19
	s_wait_dscnt 0x1
	s_set_vgpr_msb 1                        ;  msbs: dst=0 src0=1 src1=0 src2=0
	v_mul_f32_e32 v19, v39 /*v295*/, v183
	v_dual_fmac_f32 v71, v27 /*v283*/, v170 :: v_dual_fma_f32 v25, v28 /*v284*/, v172, -v25
	v_fmac_f32_e32 v75, v31 /*v287*/, v174
	s_set_vgpr_msb 0                        ;  msbs: dst=0 src0=0 src1=0 src2=0
	v_add_f32_e32 v9, v9, v21
	s_set_vgpr_msb 1                        ;  msbs: dst=0 src0=1 src1=0 src2=0
	v_mul_f32_e32 v21, v41 /*v297*/, v185
	v_dual_mul_f32 v77, v32 /*v288*/, v177 :: v_dual_mul_f32 v79, v34 /*v290*/, v179
	v_fma_f32 v11, v30 /*v286*/, v174, -v11
	s_set_vgpr_msb 0                        ;  msbs: dst=0 src0=0 src1=0 src2=0
	v_add_f32_e32 v9, v9, v23
	v_dual_mul_f32 v23, v219, v187 :: v_dual_add_f32 v5, v5, v33
	s_set_vgpr_msb 1                        ;  msbs: dst=0 src0=1 src1=0 src2=0
	v_fmac_f32_e32 v77, v33 /*v289*/, v176
	v_dual_fma_f32 v13, v32 /*v288*/, v176, -v13 :: v_dual_fmac_f32 v79, v35 /*v291*/, v178
	s_set_vgpr_msb 0                        ;  msbs: dst=0 src0=0 src1=0 src2=0
	v_add_f32_e32 v9, v9, v25
	v_add_f32_e32 v5, v5, v35
	s_set_vgpr_msb 1                        ;  msbs: dst=0 src0=1 src1=0 src2=0
	v_dual_mul_f32 v81, v36 /*v292*/, v181 :: v_dual_mul_f32 v83, v38 /*v294*/, v183
	s_set_vgpr_msb 0x41                     ;  msbs: dst=1 src0=1 src1=0 src2=0
	v_dual_mul_f32 v57 /*v313*/, v40 /*v296*/, v185 :: v_dual_fma_f32 v56 /*v312*/, v40 /*v296*/, v184, -v21
	s_set_vgpr_msb 0                        ;  msbs: dst=0 src0=0 src1=0 src2=0
	v_add_f32_e32 v5, v5, v37
	v_add_f32_e32 v9, v9, v11
	s_set_vgpr_msb 1                        ;  msbs: dst=0 src0=1 src1=0 src2=0
	v_dual_fma_f32 v11, v34 /*v290*/, v178, -v15 :: v_dual_fmac_f32 v81, v37 /*v293*/, v180
	v_fmac_f32_e32 v83, v39 /*v295*/, v182
	s_set_vgpr_msb 0                        ;  msbs: dst=0 src0=0 src1=0 src2=0
	v_add_f32_e32 v5, v5, v39
	v_add_f32_e32 v9, v9, v13
	s_set_vgpr_msb 1                        ;  msbs: dst=0 src0=1 src1=0 src2=0
	v_fma_f32 v13, v36 /*v292*/, v180, -v17
	s_set_vgpr_msb 64                       ;  msbs: dst=1 src0=0 src1=0 src2=0
	v_dual_mul_f32 v59 /*v315*/, v218, v187 :: v_dual_fma_f32 v58 /*v314*/, v218, v186, -v23
	s_set_vgpr_msb 0                        ;  msbs: dst=0 src0=0 src1=0 src2=0
	v_add_f32_e32 v5, v5, v41
	v_add_f32_e32 v9, v9, v11
	s_set_vgpr_msb 1                        ;  msbs: dst=0 src0=1 src1=0 src2=0
	v_fma_f32 v11, v38 /*v294*/, v182, -v19
	s_set_vgpr_msb 0x41                     ;  msbs: dst=1 src0=1 src1=0 src2=0
	v_fmac_f32_e32 v57 /*v313*/, v41 /*v297*/, v184
	s_set_vgpr_msb 0                        ;  msbs: dst=0 src0=0 src1=0 src2=0
	v_pk_mul_f32 v[108:109], v[230:231], v[190:191] op_sel:[1,1] op_sel_hi:[0,1]
	v_add_f32_e32 v5, v5, v43
	v_add_f32_e32 v9, v9, v13
	s_set_vgpr_msb 64                       ;  msbs: dst=1 src0=0 src1=0 src2=0
	v_fmac_f32_e32 v59 /*v315*/, v219, v186
	s_set_vgpr_msb 1                        ;  msbs: dst=0 src0=1 src1=0 src2=0
	v_pk_mul_f32 v[110:111], v[50:51] /*v[306:307]*/, v[110:111] op_sel_hi:[1,0]
	s_set_vgpr_msb 0                        ;  msbs: dst=0 src0=0 src1=0 src2=0
	v_pk_fma_f32 v[120:121], v[230:231], v[190:191], v[108:109] op_sel_hi:[1,0,1]
	v_add_f32_e32 v5, v5, v45
	v_add_f32_e32 v114, v9, v11
	v_pk_fma_f32 v[108:109], v[230:231], v[190:191], v[108:109] neg_lo:[0,0,1] neg_hi:[0,0,1]
	s_wait_loadcnt 0x3
	v_pk_mul_f32 v[112:113], v[234:235], v[194:195] op_sel:[1,1] op_sel_hi:[0,1]
	v_dual_mov_b32 v116, v197 :: v_dual_mov_b32 v109, v121
	v_add_f32_e32 v5, v5, v47
	v_pk_fma_f32 v[120:121], v[232:233], v[192:193], v[110:111] op_sel_hi:[1,0,1]
	v_pk_fma_f32 v[110:111], v[232:233], v[192:193], v[110:111] neg_lo:[0,0,1] neg_hi:[0,0,1]
	s_set_vgpr_msb 1                        ;  msbs: dst=0 src0=1 src1=0 src2=0
	v_pk_mul_f32 v[116:117], v[52:53] /*v[308:309]*/, v[116:117] op_sel_hi:[1,0]
	s_wait_loadcnt 0x2
	s_set_vgpr_msb 0                        ;  msbs: dst=0 src0=0 src1=0 src2=0
	v_pk_mul_f32 v[118:119], v[246:247], v[198:199] op_sel:[1,1] op_sel_hi:[0,1]
	v_add_f32_e32 v5, v5, v49
	v_mov_b32_e32 v111, v121
	s_delay_alu instid0(VALU_DEP_2) | instskip(NEXT) | instid1(VALU_DEP_1)
	v_add_f32_e32 v5, v5, v51
	v_add_f32_e32 v5, v5, v53
	s_delay_alu instid0(VALU_DEP_1) | instskip(NEXT) | instid1(VALU_DEP_1)
	v_add_f32_e32 v5, v5, v55
	v_add_f32_e32 v5, v5, v57
	s_delay_alu instid0(VALU_DEP_1) | instskip(NEXT) | instid1(VALU_DEP_1)
	;; [unrolled: 3-line block ×7, first 2 shown]
	v_add_f32_e32 v5, v5, v79
	v_add_f32_e32 v5, v5, v81
	s_delay_alu instid0(VALU_DEP_1) | instskip(SKIP_1) | instid1(VALU_DEP_1)
	v_add_f32_e32 v115, v5, v83
	s_set_vgpr_msb 4                        ;  msbs: dst=0 src0=0 src1=1 src2=0
	v_pk_add_f32 v[114:115], v[114:115], v[56:57] /*v[312:313]*/
	s_delay_alu instid0(VALU_DEP_1) | instskip(SKIP_1) | instid1(VALU_DEP_1)
	v_pk_add_f32 v[114:115], v[114:115], v[58:59] /*v[314:315]*/
	s_set_vgpr_msb 0                        ;  msbs: dst=0 src0=0 src1=0 src2=0
	v_pk_add_f32 v[106:107], v[114:115], v[106:107]
	v_pk_fma_f32 v[114:115], v[234:235], v[194:195], v[112:113] op_sel_hi:[1,0,1]
	v_pk_fma_f32 v[112:113], v[234:235], v[194:195], v[112:113] neg_lo:[0,0,1] neg_hi:[0,0,1]
	s_delay_alu instid0(VALU_DEP_3) | instskip(NEXT) | instid1(VALU_DEP_3)
	v_pk_add_f32 v[106:107], v[106:107], v[108:109]
	v_dual_mov_b32 v108, v201 :: v_dual_mov_b32 v113, v115
	v_pk_fma_f32 v[114:115], v[236:237], v[196:197], v[116:117] op_sel_hi:[1,0,1]
	v_pk_fma_f32 v[116:117], v[236:237], v[196:197], v[116:117] neg_lo:[0,0,1] neg_hi:[0,0,1]
	s_delay_alu instid0(VALU_DEP_4)
	v_pk_add_f32 v[106:107], v[106:107], v[110:111]
	v_pk_fma_f32 v[110:111], v[246:247], v[198:199], v[118:119] op_sel_hi:[1,0,1]
	s_set_vgpr_msb 1                        ;  msbs: dst=0 src0=1 src1=0 src2=0
	v_pk_mul_f32 v[108:109], v[54:55] /*v[310:311]*/, v[108:109] op_sel_hi:[1,0]
	s_set_vgpr_msb 0                        ;  msbs: dst=0 src0=0 src1=0 src2=0
	v_mov_b32_e32 v117, v115
	s_wait_loadcnt_dscnt 0x100
	s_set_vgpr_msb 5                        ;  msbs: dst=0 src0=1 src1=1 src2=0
	v_pk_mul_f32 v[114:115], v[46:47] /*v[302:303]*/, v[42:43] /*v[298:299]*/ op_sel:[1,1] op_sel_hi:[0,1]
	s_set_vgpr_msb 0                        ;  msbs: dst=0 src0=0 src1=0 src2=0
	v_pk_add_f32 v[106:107], v[106:107], v[112:113]
	v_pk_fma_f32 v[112:113], v[246:247], v[198:199], v[118:119] neg_lo:[0,0,1] neg_hi:[0,0,1]
	v_mov_b32_e32 v113, v111
	v_pk_fma_f32 v[110:111], v[248:249], v[200:201], v[108:109] op_sel_hi:[1,0,1]
	v_pk_fma_f32 v[108:109], v[248:249], v[200:201], v[108:109] neg_lo:[0,0,1] neg_hi:[0,0,1]
	v_pk_add_f32 v[106:107], v[106:107], v[116:117]
	s_delay_alu instid0(VALU_DEP_3)
	v_mov_b32_e32 v109, v111
	s_set_vgpr_msb 5                        ;  msbs: dst=0 src0=1 src1=1 src2=0
	v_pk_fma_f32 v[110:111], v[46:47] /*v[302:303]*/, v[42:43] /*v[298:299]*/, v[114:115] op_sel_hi:[1,0,1]
	s_set_vgpr_msb 0                        ;  msbs: dst=0 src0=0 src1=0 src2=0
	v_pk_add_f32 v[106:107], v[106:107], v[112:113]
	s_set_vgpr_msb 5                        ;  msbs: dst=0 src0=1 src1=1 src2=0
	v_pk_fma_f32 v[112:113], v[46:47] /*v[302:303]*/, v[42:43] /*v[298:299]*/, v[114:115] neg_lo:[0,0,1] neg_hi:[0,0,1]
	s_set_vgpr_msb 0                        ;  msbs: dst=0 src0=0 src1=0 src2=0
	v_mov_b32_e32 v113, v111
	v_pk_add_f32 v[106:107], v[106:107], v[108:109]
	s_delay_alu instid0(VALU_DEP_1) | instskip(SKIP_2) | instid1(VALU_DEP_1)
	v_pk_add_f32 v[106:107], v[106:107], v[112:113]
	s_wait_loadcnt 0x0
	s_set_vgpr_msb 1                        ;  msbs: dst=0 src0=1 src1=0 src2=0
	v_pk_add_f32 v[106:107], v[44:45] /*v[300:301]*/, v[106:107] neg_lo:[0,1] neg_hi:[0,1]
	scratch_store_b64 off, v[106:107], off offset:16
	s_wait_xcnt 0x0
	v_cmpx_lt_u32_e32 1, v0
	s_set_vgpr_msb 0                        ;  msbs: dst=0 src0=0 src1=0 src2=0
	s_cbranch_execz .LBB51_323
; %bb.322:
	scratch_load_b64 v[106:107], off, off offset:8
	v_mov_b64_e32 v[108:109], 0
	scratch_store_b64 off, v[108:109], off offset:8
	s_wait_loadcnt 0x0
	ds_store_b64 v1, v[106:107]
.LBB51_323:
	s_wait_xcnt 0x0
	s_or_b32 exec_lo, exec_lo, s0
	s_wait_storecnt_dscnt 0x0
	s_barrier_signal -1
	s_barrier_wait -1
	s_clause 0x18
	scratch_load_b128 v[106:109], off, off offset:16
	scratch_load_b128 v[110:113], off, off offset:32
	;; [unrolled: 1-line block ×25, first 2 shown]
	ds_load_b128 v[206:209], v85 offset:432
	ds_load_b128 v[210:213], v85 offset:448
	;; [unrolled: 1-line block ×13, first 2 shown]
	s_set_vgpr_msb 64                       ;  msbs: dst=1 src0=0 src1=0 src2=0
	ds_load_b128 v[2:5] /*v[258:261]*/, v85 offset:560
	ds_load_b128 v[6:9] /*v[262:265]*/, v85 offset:576
	scratch_load_b64 v[50:51] /*v[306:307]*/, off, off offset:8
	ds_load_b128 v[10:13] /*v[266:269]*/, v85 offset:592
	ds_load_b128 v[14:17] /*v[270:273]*/, v85 offset:608
	;; [unrolled: 1-line block ×10, first 2 shown]
	s_set_vgpr_msb 0                        ;  msbs: dst=0 src0=0 src1=0 src2=0
	v_ashrrev_i32_e32 v81, 31, v80
	v_dual_ashrrev_i32 v5, 31, v4 :: v_dual_ashrrev_i32 v11, 31, v10
	v_dual_ashrrev_i32 v9, 31, v8 :: v_dual_ashrrev_i32 v15, 31, v14
	v_dual_ashrrev_i32 v13, 31, v12 :: v_dual_ashrrev_i32 v19, 31, v18
	v_dual_ashrrev_i32 v17, 31, v16 :: v_dual_ashrrev_i32 v23, 31, v22
	s_wait_dscnt 0x13
	s_set_vgpr_msb 64                       ;  msbs: dst=1 src0=0 src1=0 src2=0
	v_dual_mov_b32 v52 /*v308*/, v229 :: v_dual_mov_b32 v53 /*v309*/, v228
	s_wait_dscnt 0x10
	v_dual_mov_b32 v54 /*v310*/, v241 :: v_dual_mov_b32 v55 /*v311*/, v240
	s_wait_dscnt 0xf
	;; [unrolled: 2-line block ×3, first 2 shown]
	s_set_vgpr_msb 0x41                     ;  msbs: dst=1 src0=1 src1=0 src2=0
	v_dual_mov_b32 v58 /*v314*/, v1 /*v257*/ :: v_dual_mov_b32 v59 /*v315*/, v0 /*v256*/
	s_set_vgpr_msb 0                        ;  msbs: dst=0 src0=0 src1=0 src2=0
	v_dual_ashrrev_i32 v21, 31, v20 :: v_dual_ashrrev_i32 v27, 31, v26
	v_dual_ashrrev_i32 v25, 31, v24 :: v_dual_ashrrev_i32 v31, 31, v30
	;; [unrolled: 1-line block ×15, first 2 shown]
	s_mov_b32 s0, exec_lo
	s_wait_loadcnt 0x18
	v_dual_mul_f32 v85, v206, v107 :: v_dual_mul_f32 v91, v212, v113
	v_dual_mul_f32 v93, v207, v107 :: v_dual_mul_f32 v95, v209, v109
	;; [unrolled: 1-line block ×3, first 2 shown]
	v_mul_f32_e32 v89, v210, v111
	s_delay_alu instid0(VALU_DEP_3)
	v_dual_fma_f32 v93, v206, v106, -v93 :: v_dual_fma_f32 v95, v208, v108, -v95
	s_wait_loadcnt 0x17
	v_dual_mul_f32 v99, v213, v113 :: v_dual_mul_f32 v101, v214, v115
	s_wait_loadcnt 0x16
	v_dual_mul_f32 v103, v216, v117 :: v_dual_mul_f32 v105, v218, v119
	v_dual_mul_f32 v107, v220, v121 :: v_dual_mul_f32 v109, v215, v115
	;; [unrolled: 1-line block ×3, first 2 shown]
	v_dual_fmac_f32 v85, v207, v106 :: v_dual_fmac_f32 v87, v209, v108
	v_add_f32_e32 v93, 0, v93
	s_wait_loadcnt 0x15
	v_dual_mul_f32 v115, v221, v121 :: v_dual_mul_f32 v117, v230, v123
	s_wait_loadcnt 0x14
	v_dual_mul_f32 v119, v232, v125 :: v_dual_mul_f32 v121, v234, v127
	s_wait_loadcnt 0x13
	s_set_vgpr_msb 64                       ;  msbs: dst=1 src0=0 src1=0 src2=0
	v_dual_mul_f32 v60 /*v316*/, v236, v129 :: v_dual_mul_f32 v61 /*v317*/, v246, v131
	s_set_vgpr_msb 0                        ;  msbs: dst=0 src0=0 src1=0 src2=0
	v_dual_mul_f32 v106, v231, v123 :: v_dual_mul_f32 v108, v233, v125
	v_dual_mul_f32 v123, v248, v133 :: v_dual_mul_f32 v125, v235, v127
	;; [unrolled: 1-line block ×3, first 2 shown]
	s_wait_loadcnt 0x12
	v_dual_mul_f32 v131, v249, v133 :: v_dual_mul_f32 v133, v250, v135
	v_dual_fmac_f32 v89, v211, v110 :: v_dual_fmac_f32 v91, v213, v112
	v_dual_fma_f32 v97, v210, v110, -v97 :: v_dual_fma_f32 v99, v212, v112, -v99
	v_dual_mul_f32 v110, v252, v137 :: v_dual_mul_f32 v112, v251, v135
	v_dual_mul_f32 v135, v253, v137 :: v_dual_fmac_f32 v101, v215, v114
	s_wait_loadcnt_dscnt 0x100a
	s_set_vgpr_msb 1                        ;  msbs: dst=0 src0=1 src1=0 src2=0
	v_mul_f32_e32 v207, v6 /*v262*/, v143
	s_set_vgpr_msb 0                        ;  msbs: dst=0 src0=0 src1=0 src2=0
	v_dual_fmac_f32 v103, v217, v116 :: v_dual_fma_f32 v109, v214, v114, -v109
	v_dual_fma_f32 v111, v216, v116, -v111 :: v_dual_add_f32 v85, 0, v85
	s_set_vgpr_msb 1                        ;  msbs: dst=0 src0=1 src1=0 src2=0
	v_dual_mul_f32 v114, v8 /*v264*/, v145 :: v_dual_mul_f32 v116, v7 /*v263*/, v143
	s_wait_loadcnt_dscnt 0xf09
	v_dual_mul_f32 v143, v9 /*v265*/, v145 :: v_dual_mul_f32 v145, v10 /*v266*/, v147
	s_set_vgpr_msb 0                        ;  msbs: dst=0 src0=0 src1=0 src2=0
	v_add_f32_e32 v93, v93, v95
	v_dual_add_f32 v85, v85, v87 :: v_dual_fmac_f32 v105, v219, v118
	v_dual_fmac_f32 v117, v231, v122 :: v_dual_fma_f32 v106, v230, v122, -v106
	s_delay_alu instid0(VALU_DEP_3) | instskip(NEXT) | instid1(VALU_DEP_3)
	v_add_f32_e32 v93, v93, v97
	v_dual_add_f32 v85, v85, v89 :: v_dual_fmac_f32 v121, v235, v126
	v_dual_fmac_f32 v107, v221, v120 :: v_dual_fmac_f32 v133, v251, v134
	s_delay_alu instid0(VALU_DEP_3)
	v_add_f32_e32 v93, v93, v99
	v_fmac_f32_e32 v119, v233, v124
	s_set_vgpr_msb 64                       ;  msbs: dst=1 src0=0 src1=0 src2=0
	v_dual_fmac_f32 v60 /*v316*/, v237, v128 :: v_dual_fmac_f32 v61 /*v317*/, v247, v130
	s_set_vgpr_msb 0                        ;  msbs: dst=0 src0=0 src1=0 src2=0
	v_fmac_f32_e32 v123, v249, v132
	v_dual_add_f32 v93, v93, v109 :: v_dual_fma_f32 v109, v218, v118, -v113
	v_dual_fma_f32 v113, v220, v120, -v115 :: v_dual_add_f32 v85, v85, v91
	s_set_vgpr_msb 1                        ;  msbs: dst=0 src0=1 src1=0 src2=0
	v_dual_mul_f32 v137, v2 /*v258*/, v139 :: v_dual_mul_f32 v206, v4 /*v260*/, v141
	s_set_vgpr_msb 0                        ;  msbs: dst=0 src0=0 src1=0 src2=0
	v_fmac_f32_e32 v110, v253, v136
	s_wait_loadcnt_dscnt 0x600
	s_set_vgpr_msb 1                        ;  msbs: dst=0 src0=1 src1=0 src2=0
	v_mul_f32_e32 v118, v48 /*v304*/, v185
	s_set_vgpr_msb 0                        ;  msbs: dst=0 src0=0 src1=0 src2=0
	v_add_f32_e32 v85, v85, v101
	s_set_vgpr_msb 1                        ;  msbs: dst=0 src0=1 src1=0 src2=0
	v_dual_fmac_f32 v137, v3 /*v259*/, v138 :: v_dual_mul_f32 v139, v3 /*v259*/, v139
	v_dual_mul_f32 v141, v5 /*v261*/, v141 :: v_dual_fmac_f32 v206, v5 /*v261*/, v140
	s_set_vgpr_msb 0                        ;  msbs: dst=0 src0=0 src1=0 src2=0
	v_add_f32_e32 v85, v85, v103
	s_set_vgpr_msb 1                        ;  msbs: dst=0 src0=1 src1=0 src2=0
	v_dual_fmac_f32 v207, v7 /*v263*/, v142 :: v_dual_fmac_f32 v114, v9 /*v265*/, v144
	v_dual_mul_f32 v87, v12 /*v268*/, v149 :: v_dual_mul_f32 v208, v14 /*v270*/, v151
	s_set_vgpr_msb 0                        ;  msbs: dst=0 src0=0 src1=0 src2=0
	v_add_f32_e32 v85, v85, v105
	s_set_vgpr_msb 1                        ;  msbs: dst=0 src0=1 src1=0 src2=0
	v_dual_fmac_f32 v145, v11 /*v267*/, v146 :: v_dual_mul_f32 v95, v16 /*v272*/, v153
	v_dual_mul_f32 v89, v18 /*v274*/, v155 :: v_dual_fmac_f32 v87, v13 /*v269*/, v148
	s_set_vgpr_msb 0                        ;  msbs: dst=0 src0=0 src1=0 src2=0
	v_dual_add_f32 v85, v85, v107 :: v_dual_fma_f32 v107, v232, v124, -v108
	v_dual_fma_f32 v108, v234, v126, -v125 :: v_dual_add_f32 v93, v93, v111
	s_set_vgpr_msb 1                        ;  msbs: dst=0 src0=1 src1=0 src2=0
	v_dual_fmac_f32 v208, v15 /*v271*/, v150 :: v_dual_fmac_f32 v95, v17 /*v273*/, v152
	v_dual_mul_f32 v209, v20 /*v276*/, v157 :: v_dual_mul_f32 v97, v22 /*v278*/, v159
	s_set_vgpr_msb 0                        ;  msbs: dst=0 src0=0 src1=0 src2=0
	v_dual_add_f32 v93, v93, v109 :: v_dual_fma_f32 v109, v246, v130, -v129
	s_set_vgpr_msb 1                        ;  msbs: dst=0 src0=1 src1=0 src2=0
	v_dual_fmac_f32 v89, v19 /*v275*/, v154 :: v_dual_mul_f32 v91, v24 /*v280*/, v161
	v_mul_f32_e32 v147, v11 /*v267*/, v147
	s_set_vgpr_msb 0                        ;  msbs: dst=0 src0=0 src1=0 src2=0
	v_add_f32_e32 v93, v93, v113
	s_set_vgpr_msb 1                        ;  msbs: dst=0 src0=1 src1=0 src2=0
	v_dual_mul_f32 v99, v13 /*v269*/, v149 :: v_dual_mul_f32 v101, v26 /*v282*/, v163
	v_dual_fmac_f32 v91, v25 /*v281*/, v160 :: v_dual_mul_f32 v149, v28 /*v284*/, v165
	v_mul_f32_e32 v210, v30 /*v286*/, v167
	s_set_vgpr_msb 0                        ;  msbs: dst=0 src0=0 src1=0 src2=0
	v_add_f32_e32 v93, v93, v106
	s_set_vgpr_msb 1                        ;  msbs: dst=0 src0=1 src1=0 src2=0
	v_dual_mul_f32 v103, v32 /*v288*/, v169 :: v_dual_mul_f32 v111, v34 /*v290*/, v171
	v_dual_mul_f32 v105, v36 /*v292*/, v173 :: v_dual_mul_f32 v113, v38 /*v294*/, v175
	s_set_vgpr_msb 0                        ;  msbs: dst=0 src0=0 src1=0 src2=0
	v_dual_add_f32 v93, v93, v107 :: v_dual_fma_f32 v107, v236, v128, -v127
	s_set_vgpr_msb 1                        ;  msbs: dst=0 src0=1 src1=0 src2=0
	v_dual_mul_f32 v106, v40 /*v296*/, v177 :: v_dual_mul_f32 v115, v42 /*v298*/, v179
	v_fmac_f32_e32 v113, v39 /*v295*/, v174
	s_set_vgpr_msb 0                        ;  msbs: dst=0 src0=0 src1=0 src2=0
	v_add_f32_e32 v93, v93, v108
	s_set_vgpr_msb 1                        ;  msbs: dst=0 src0=1 src1=0 src2=0
	v_dual_mul_f32 v108, v44 /*v300*/, v181 :: v_dual_fmac_f32 v106, v41 /*v297*/, v176
	v_fma_f32 v99, v12 /*v268*/, v148, -v99
	v_fmac_f32_e32 v209, v21 /*v277*/, v156
	s_set_vgpr_msb 0                        ;  msbs: dst=0 src0=0 src1=0 src2=0
	v_dual_add_f32 v93, v93, v107 :: v_dual_fma_f32 v107, v248, v132, -v131
	s_set_vgpr_msb 1                        ;  msbs: dst=0 src0=1 src1=0 src2=0
	v_fmac_f32_e32 v97, v23 /*v279*/, v158
	v_fmac_f32_e32 v101, v27 /*v283*/, v162
	v_fma_f32 v116, v6 /*v262*/, v142, -v116
	s_set_vgpr_msb 0                        ;  msbs: dst=0 src0=0 src1=0 src2=0
	v_dual_add_f32 v93, v93, v109 :: v_dual_fma_f32 v109, v250, v134, -v112
	v_dual_fma_f32 v112, v252, v136, -v135 :: v_dual_add_f32 v85, v85, v117
	s_set_vgpr_msb 1                        ;  msbs: dst=0 src0=1 src1=0 src2=0
	v_mul_f32_e32 v117, v46 /*v302*/, v183
	s_set_vgpr_msb 0                        ;  msbs: dst=0 src0=0 src1=0 src2=0
	v_add_f32_e32 v93, v93, v107
	s_wait_loadcnt 0x5
	v_mul_f32_e32 v107, v222, v187
	s_set_vgpr_msb 1                        ;  msbs: dst=0 src0=1 src1=0 src2=0
	v_fmac_f32_e32 v108, v45 /*v301*/, v180
	v_dual_fma_f32 v120, v8 /*v264*/, v144, -v143 :: v_dual_fmac_f32 v210, v31 /*v287*/, v166
	s_set_vgpr_msb 0                        ;  msbs: dst=0 src0=0 src1=0 src2=0
	v_add_f32_e32 v93, v93, v109
	v_dual_mul_f32 v109, v224, v189 :: v_dual_add_f32 v85, v85, v119
	v_fmac_f32_e32 v107, v223, v186
	s_set_vgpr_msb 1                        ;  msbs: dst=0 src0=1 src1=0 src2=0
	v_fma_f32 v119, v2 /*v258*/, v138, -v139
	v_fmac_f32_e32 v115, v43 /*v299*/, v178
	v_fmac_f32_e32 v111, v35 /*v291*/, v170
	s_set_vgpr_msb 0                        ;  msbs: dst=0 src0=0 src1=0 src2=0
	v_add_f32_e32 v85, v85, v121
	s_set_vgpr_msb 1                        ;  msbs: dst=0 src0=1 src1=0 src2=0
	v_dual_fma_f32 v121, v10 /*v266*/, v146, -v147 :: v_dual_fmac_f32 v118, v49 /*v305*/, v184
	s_set_vgpr_msb 0                        ;  msbs: dst=0 src0=0 src1=0 src2=0
	v_fmac_f32_e32 v109, v225, v188
	s_set_vgpr_msb 1                        ;  msbs: dst=0 src0=1 src1=0 src2=0
	v_fmac_f32_e32 v117, v47 /*v303*/, v182
	s_set_vgpr_msb 4                        ;  msbs: dst=0 src0=0 src1=1 src2=0
	v_add_f32_e32 v85, v85, v60 /*v316*/
	s_delay_alu instid0(VALU_DEP_1) | instskip(SKIP_1) | instid1(VALU_DEP_1)
	v_add_f32_e32 v85, v85, v61 /*v317*/
	s_set_vgpr_msb 0                        ;  msbs: dst=0 src0=0 src1=0 src2=0
	v_add_f32_e32 v85, v85, v123
	s_delay_alu instid0(VALU_DEP_1) | instskip(NEXT) | instid1(VALU_DEP_1)
	v_add_f32_e32 v85, v85, v133
	v_add_f32_e32 v85, v85, v110
	s_set_vgpr_msb 1                        ;  msbs: dst=0 src0=1 src1=0 src2=0
	v_mul_f32_e32 v110, v15 /*v271*/, v151
	s_set_vgpr_msb 0                        ;  msbs: dst=0 src0=0 src1=0 src2=0
	s_delay_alu instid0(VALU_DEP_2) | instskip(SKIP_1) | instid1(VALU_DEP_2)
	v_add_f32_e32 v85, v85, v137
	s_set_vgpr_msb 1                        ;  msbs: dst=0 src0=1 src1=0 src2=0
	v_fma_f32 v110, v14 /*v270*/, v150, -v110
	s_set_vgpr_msb 0                        ;  msbs: dst=0 src0=0 src1=0 src2=0
	s_delay_alu instid0(VALU_DEP_2) | instskip(NEXT) | instid1(VALU_DEP_1)
	v_add_f32_e32 v85, v85, v206
	v_add_f32_e32 v85, v85, v207
	s_delay_alu instid0(VALU_DEP_1) | instskip(SKIP_3) | instid1(VALU_DEP_2)
	v_add_f32_e32 v85, v85, v114
	s_set_vgpr_msb 1                        ;  msbs: dst=0 src0=1 src1=0 src2=0
	v_mul_f32_e32 v114, v23 /*v279*/, v159
	s_set_vgpr_msb 0                        ;  msbs: dst=0 src0=0 src1=0 src2=0
	v_add_f32_e32 v85, v85, v145
	s_delay_alu instid0(VALU_DEP_1) | instskip(NEXT) | instid1(VALU_DEP_1)
	v_add_f32_e32 v85, v85, v87
	v_add_f32_e32 v85, v85, v208
	s_delay_alu instid0(VALU_DEP_1) | instskip(SKIP_3) | instid1(VALU_DEP_2)
	v_add_f32_e32 v85, v85, v95
	s_set_vgpr_msb 1                        ;  msbs: dst=0 src0=1 src1=0 src2=0
	v_mul_f32_e32 v95, v31 /*v287*/, v167
	s_set_vgpr_msb 0                        ;  msbs: dst=0 src0=0 src1=0 src2=0
	v_add_f32_e32 v85, v85, v89
	s_set_vgpr_msb 1                        ;  msbs: dst=0 src0=1 src1=0 src2=0
	s_delay_alu instid0(VALU_DEP_2)
	v_dual_mul_f32 v89, v33 /*v289*/, v169 :: v_dual_fma_f32 v95, v30 /*v286*/, v166, -v95
	v_fmac_f32_e32 v103, v33 /*v289*/, v168
	s_set_vgpr_msb 0                        ;  msbs: dst=0 src0=0 src1=0 src2=0
	v_add_f32_e32 v85, v85, v209
	s_set_vgpr_msb 1                        ;  msbs: dst=0 src0=1 src1=0 src2=0
	v_fma_f32 v89, v32 /*v288*/, v168, -v89
	s_set_vgpr_msb 0                        ;  msbs: dst=0 src0=0 src1=0 src2=0
	s_delay_alu instid0(VALU_DEP_2) | instskip(SKIP_3) | instid1(VALU_DEP_2)
	v_add_f32_e32 v85, v85, v97
	s_set_vgpr_msb 1                        ;  msbs: dst=0 src0=1 src1=0 src2=0
	v_mul_f32_e32 v97, v37 /*v293*/, v173
	s_set_vgpr_msb 0                        ;  msbs: dst=0 src0=0 src1=0 src2=0
	v_add_f32_e32 v85, v85, v91
	s_set_vgpr_msb 1                        ;  msbs: dst=0 src0=1 src1=0 src2=0
	v_dual_mul_f32 v91, v39 /*v295*/, v175 :: v_dual_fmac_f32 v105, v37 /*v293*/, v172
	v_fma_f32 v97, v36 /*v292*/, v172, -v97
	s_set_vgpr_msb 0                        ;  msbs: dst=0 src0=0 src1=0 src2=0
	v_add_f32_e32 v85, v85, v101
	s_set_vgpr_msb 1                        ;  msbs: dst=0 src0=1 src1=0 src2=0
	v_dual_mul_f32 v101, v43 /*v299*/, v179 :: v_dual_fma_f32 v91, v38 /*v294*/, v174, -v91
	s_delay_alu instid0(VALU_DEP_1)
	v_fma_f32 v101, v42 /*v298*/, v178, -v101
	s_set_vgpr_msb 0                        ;  msbs: dst=0 src0=0 src1=0 src2=0
	v_add_f32_e32 v93, v93, v112
	s_set_vgpr_msb 1                        ;  msbs: dst=0 src0=1 src1=0 src2=0
	v_fma_f32 v112, v4 /*v260*/, v140, -v141
	s_set_vgpr_msb 0                        ;  msbs: dst=0 src0=0 src1=0 src2=0
	s_delay_alu instid0(VALU_DEP_2) | instskip(SKIP_3) | instid1(VALU_DEP_2)
	v_add_f32_e32 v93, v93, v119
	s_set_vgpr_msb 1                        ;  msbs: dst=0 src0=1 src1=0 src2=0
	v_mul_f32_e32 v119, v17 /*v273*/, v153
	s_set_vgpr_msb 0                        ;  msbs: dst=0 src0=0 src1=0 src2=0
	v_add_f32_e32 v93, v93, v112
	s_set_vgpr_msb 1                        ;  msbs: dst=0 src0=1 src1=0 src2=0
	v_mul_f32_e32 v112, v19 /*v275*/, v155
	s_set_vgpr_msb 0                        ;  msbs: dst=0 src0=0 src1=0 src2=0
	s_delay_alu instid0(VALU_DEP_2) | instskip(SKIP_1) | instid1(VALU_DEP_2)
	v_add_f32_e32 v93, v93, v116
	s_set_vgpr_msb 1                        ;  msbs: dst=0 src0=1 src1=0 src2=0
	v_dual_mul_f32 v116, v21 /*v277*/, v157 :: v_dual_fma_f32 v112, v18 /*v274*/, v154, -v112
	s_set_vgpr_msb 0                        ;  msbs: dst=0 src0=0 src1=0 src2=0
	s_delay_alu instid0(VALU_DEP_2) | instskip(SKIP_3) | instid1(VALU_DEP_2)
	v_add_f32_e32 v93, v93, v120
	s_set_vgpr_msb 1                        ;  msbs: dst=0 src0=1 src1=0 src2=0
	v_mul_f32_e32 v120, v25 /*v281*/, v161
	s_set_vgpr_msb 0                        ;  msbs: dst=0 src0=0 src1=0 src2=0
	v_add_f32_e32 v93, v93, v121
	s_delay_alu instid0(VALU_DEP_1) | instskip(SKIP_3) | instid1(VALU_DEP_2)
	v_add_f32_e32 v87, v93, v99
	s_set_vgpr_msb 1                        ;  msbs: dst=0 src0=1 src1=0 src2=0
	v_dual_mul_f32 v93, v27 /*v283*/, v163 :: v_dual_fma_f32 v99, v16 /*v272*/, v152, -v119
	s_set_vgpr_msb 0                        ;  msbs: dst=0 src0=0 src1=0 src2=0
	v_add_f32_e32 v87, v87, v110
	s_set_vgpr_msb 1                        ;  msbs: dst=0 src0=1 src1=0 src2=0
	s_delay_alu instid0(VALU_DEP_2)
	v_dual_mul_f32 v110, v29 /*v285*/, v165 :: v_dual_fma_f32 v93, v26 /*v282*/, v162, -v93
	v_fmac_f32_e32 v149, v29 /*v285*/, v164
	s_set_vgpr_msb 0                        ;  msbs: dst=0 src0=0 src1=0 src2=0
	v_add_f32_e32 v87, v87, v99
	s_set_vgpr_msb 1                        ;  msbs: dst=0 src0=1 src1=0 src2=0
	v_fma_f32 v99, v20 /*v276*/, v156, -v116
	v_fma_f32 v110, v28 /*v284*/, v164, -v110
	s_set_vgpr_msb 0                        ;  msbs: dst=0 src0=0 src1=0 src2=0
	v_add_f32_e32 v85, v85, v149
	s_wait_loadcnt 0x3
	v_dual_mov_b32 v116, v197 :: v_dual_add_f32 v87, v87, v112
	s_set_vgpr_msb 1                        ;  msbs: dst=0 src0=1 src1=0 src2=0
	v_dual_fma_f32 v112, v22 /*v278*/, v158, -v114 :: v_dual_fma_f32 v114, v24 /*v280*/, v160, -v120
	s_set_vgpr_msb 0                        ;  msbs: dst=0 src0=0 src1=0 src2=0
	s_delay_alu instid0(VALU_DEP_2) | instskip(SKIP_3) | instid1(VALU_DEP_2)
	v_dual_add_f32 v85, v85, v210 :: v_dual_add_f32 v87, v87, v99
	s_set_vgpr_msb 1                        ;  msbs: dst=0 src0=1 src1=0 src2=0
	v_mul_f32_e32 v99, v35 /*v291*/, v171
	s_set_vgpr_msb 0                        ;  msbs: dst=0 src0=0 src1=0 src2=0
	v_dual_add_f32 v85, v85, v103 :: v_dual_ashrrev_i32 v103, 31, v102
	v_add_f32_e32 v87, v87, v112
	s_set_vgpr_msb 1                        ;  msbs: dst=0 src0=1 src1=0 src2=0
	v_fma_f32 v99, v34 /*v290*/, v170, -v99
	s_set_vgpr_msb 0                        ;  msbs: dst=0 src0=0 src1=0 src2=0
	v_mov_b32_e32 v112, v193
	v_dual_add_f32 v85, v85, v111 :: v_dual_add_f32 v87, v87, v114
	s_delay_alu instid0(VALU_DEP_1) | instskip(NEXT) | instid1(VALU_DEP_2)
	v_dual_add_f32 v85, v85, v105 :: v_dual_ashrrev_i32 v105, 31, v104
	v_add_f32_e32 v87, v87, v93
	s_set_vgpr_msb 1                        ;  msbs: dst=0 src0=1 src1=0 src2=0
	v_mul_f32_e32 v93, v41 /*v297*/, v177
	s_set_vgpr_msb 0                        ;  msbs: dst=0 src0=0 src1=0 src2=0
	v_add_f32_e32 v85, v85, v113
	s_set_vgpr_msb 1                        ;  msbs: dst=0 src0=1 src1=0 src2=0
	v_pk_mul_f32 v[112:113], v[52:53] /*v[308:309]*/, v[112:113] op_sel_hi:[1,0]
	s_set_vgpr_msb 0                        ;  msbs: dst=0 src0=0 src1=0 src2=0
	v_add_f32_e32 v87, v87, v110
	s_set_vgpr_msb 1                        ;  msbs: dst=0 src0=1 src1=0 src2=0
	v_fma_f32 v93, v40 /*v296*/, v176, -v93
	s_set_vgpr_msb 0                        ;  msbs: dst=0 src0=0 src1=0 src2=0
	v_pk_mul_f32 v[110:111], v[226:227], v[190:191] op_sel:[1,1] op_sel_hi:[0,1]
	v_dual_add_f32 v85, v85, v106 :: v_dual_add_f32 v87, v87, v95
	s_set_vgpr_msb 1                        ;  msbs: dst=0 src0=1 src1=0 src2=0
	v_mul_f32_e32 v95, v45 /*v301*/, v181
	s_set_vgpr_msb 0                        ;  msbs: dst=0 src0=0 src1=0 src2=0
	v_pk_fma_f32 v[120:121], v[226:227], v[190:191], v[110:111] op_sel_hi:[1,0,1]
	v_add_f32_e32 v85, v85, v115
	v_pk_fma_f32 v[110:111], v[226:227], v[190:191], v[110:111] neg_lo:[0,0,1] neg_hi:[0,0,1]
	v_add_f32_e32 v87, v87, v89
	s_set_vgpr_msb 1                        ;  msbs: dst=0 src0=1 src1=0 src2=0
	v_mul_f32_e32 v89, v47 /*v303*/, v183
	s_set_vgpr_msb 0                        ;  msbs: dst=0 src0=0 src1=0 src2=0
	v_pk_mul_f32 v[114:115], v[238:239], v[194:195] op_sel:[1,1] op_sel_hi:[0,1]
	v_add_f32_e32 v85, v85, v108
	v_dual_mov_b32 v111, v121 :: v_dual_add_f32 v87, v87, v99
	s_set_vgpr_msb 1                        ;  msbs: dst=0 src0=1 src1=0 src2=0
	v_dual_mul_f32 v99, v49 /*v305*/, v185 :: v_dual_fma_f32 v89, v46 /*v302*/, v182, -v89
	s_set_vgpr_msb 0                        ;  msbs: dst=0 src0=0 src1=0 src2=0
	v_add_f32_e32 v85, v85, v117
	v_pk_fma_f32 v[120:121], v[228:229], v[192:193], v[112:113] op_sel_hi:[1,0,1]
	v_add_f32_e32 v87, v87, v97
	v_mul_f32_e32 v97, v223, v187
	v_pk_fma_f32 v[112:113], v[228:229], v[192:193], v[112:113] neg_lo:[0,0,1] neg_hi:[0,0,1]
	v_add_f32_e32 v119, v85, v118
	s_set_vgpr_msb 1                        ;  msbs: dst=0 src0=1 src1=0 src2=0
	v_pk_mul_f32 v[116:117], v[54:55] /*v[310:311]*/, v[116:117] op_sel_hi:[1,0]
	s_set_vgpr_msb 0                        ;  msbs: dst=0 src0=0 src1=0 src2=0
	v_dual_add_f32 v87, v87, v91 :: v_dual_mul_f32 v91, v225, v189
	v_dual_fma_f32 v106, v222, v186, -v97 :: v_dual_mov_b32 v113, v121
	s_delay_alu instid0(VALU_DEP_2)
	v_dual_ashrrev_i32 v85, 31, v84 :: v_dual_add_f32 v87, v87, v93
	s_set_vgpr_msb 1                        ;  msbs: dst=0 src0=1 src1=0 src2=0
	v_fma_f32 v93, v44 /*v300*/, v180, -v95
	s_set_vgpr_msb 0                        ;  msbs: dst=0 src0=0 src1=0 src2=0
	v_dual_fma_f32 v108, v224, v188, -v91 :: v_dual_ashrrev_i32 v91, 31, v90
	v_dual_ashrrev_i32 v95, 31, v94 :: v_dual_add_f32 v87, v87, v101
	v_ashrrev_i32_e32 v97, 31, v96
	s_delay_alu instid0(VALU_DEP_2) | instskip(SKIP_3) | instid1(VALU_DEP_2)
	v_dual_ashrrev_i32 v101, 31, v100 :: v_dual_add_f32 v87, v87, v93
	s_set_vgpr_msb 1                        ;  msbs: dst=0 src0=1 src1=0 src2=0
	v_dual_fma_f32 v93, v48 /*v304*/, v184, -v99 :: v_dual_ashrrev_i32 v99, 31, v98
	s_set_vgpr_msb 0                        ;  msbs: dst=0 src0=0 src1=0 src2=0
	v_dual_add_f32 v87, v87, v89 :: v_dual_ashrrev_i32 v89, 31, v88
	s_delay_alu instid0(VALU_DEP_1) | instskip(SKIP_1) | instid1(VALU_DEP_2)
	v_dual_add_f32 v118, v87, v93 :: v_dual_ashrrev_i32 v87, 31, v86
	v_ashrrev_i32_e32 v93, 31, v92
	v_pk_add_f32 v[106:107], v[118:119], v[106:107]
	s_wait_loadcnt 0x2
	v_pk_mul_f32 v[118:119], v[242:243], v[198:199] op_sel:[1,1] op_sel_hi:[0,1]
	s_delay_alu instid0(VALU_DEP_2) | instskip(SKIP_2) | instid1(VALU_DEP_3)
	v_pk_add_f32 v[106:107], v[106:107], v[108:109]
	v_pk_fma_f32 v[108:109], v[238:239], v[194:195], v[114:115] op_sel_hi:[1,0,1]
	v_mov_b32_e32 v108, v201
	v_pk_add_f32 v[106:107], v[106:107], v[110:111]
	v_pk_fma_f32 v[110:111], v[238:239], v[194:195], v[114:115] neg_lo:[0,0,1] neg_hi:[0,0,1]
	s_delay_alu instid0(VALU_DEP_4)
	v_mov_b32_e32 v111, v109
	v_pk_fma_f32 v[114:115], v[240:241], v[196:197], v[116:117] op_sel_hi:[1,0,1]
	s_set_vgpr_msb 1                        ;  msbs: dst=0 src0=1 src1=0 src2=0
	v_pk_mul_f32 v[108:109], v[56:57] /*v[312:313]*/, v[108:109] op_sel_hi:[1,0]
	s_set_vgpr_msb 0                        ;  msbs: dst=0 src0=0 src1=0 src2=0
	v_pk_add_f32 v[106:107], v[106:107], v[112:113]
	v_pk_fma_f32 v[112:113], v[242:243], v[198:199], v[118:119] op_sel_hi:[1,0,1]
	v_pk_fma_f32 v[116:117], v[240:241], v[196:197], v[116:117] neg_lo:[0,0,1] neg_hi:[0,0,1]
	v_mov_b32_e32 v117, v115
	v_pk_fma_f32 v[114:115], v[242:243], v[198:199], v[118:119] neg_lo:[0,0,1] neg_hi:[0,0,1]
	v_pk_add_f32 v[106:107], v[106:107], v[110:111]
	v_mov_b32_e32 v115, v113
	v_pk_fma_f32 v[112:113], v[244:245], v[200:201], v[108:109] op_sel_hi:[1,0,1]
	s_wait_loadcnt 0x1
	v_pk_mul_f32 v[110:111], v[254:255], v[202:203] op_sel:[1,1] op_sel_hi:[0,1]
	v_mov_b32_e32 v112, v205
	v_pk_add_f32 v[106:107], v[106:107], v[116:117]
	v_pk_fma_f32 v[108:109], v[244:245], v[200:201], v[108:109] neg_lo:[0,0,1] neg_hi:[0,0,1]
	s_delay_alu instid0(VALU_DEP_4) | instskip(SKIP_1) | instid1(VALU_DEP_4)
	v_pk_fma_f32 v[116:117], v[254:255], v[202:203], v[110:111] op_sel_hi:[1,0,1]
	v_mov_b32_e32 v109, v113
	v_pk_add_f32 v[106:107], v[106:107], v[114:115]
	s_set_vgpr_msb 1                        ;  msbs: dst=0 src0=1 src1=0 src2=0
	v_pk_mul_f32 v[112:113], v[58:59] /*v[314:315]*/, v[112:113] op_sel_hi:[1,0]
	s_set_vgpr_msb 0                        ;  msbs: dst=0 src0=0 src1=0 src2=0
	v_pk_fma_f32 v[110:111], v[254:255], v[202:203], v[110:111] neg_lo:[0,0,1] neg_hi:[0,0,1]
	v_mov_b32_e32 v111, v117
	v_pk_add_f32 v[106:107], v[106:107], v[108:109]
	s_set_vgpr_msb 1                        ;  msbs: dst=0 src0=1 src1=0 src2=0
	v_pk_fma_f32 v[108:109], v[0:1] /*v[256:257]*/, v[204:205], v[112:113] op_sel_hi:[1,0,1]
	v_pk_fma_f32 v[112:113], v[0:1] /*v[256:257]*/, v[204:205], v[112:113] neg_lo:[0,0,1] neg_hi:[0,0,1]
	s_set_vgpr_msb 0                        ;  msbs: dst=0 src0=0 src1=0 src2=0
	v_pk_add_f32 v[106:107], v[106:107], v[110:111]
	s_delay_alu instid0(VALU_DEP_3) | instskip(NEXT) | instid1(VALU_DEP_1)
	v_mov_b32_e32 v113, v109
	v_pk_add_f32 v[106:107], v[106:107], v[112:113]
	s_wait_loadcnt 0x0
	s_set_vgpr_msb 1                        ;  msbs: dst=0 src0=1 src1=0 src2=0
	s_delay_alu instid0(VALU_DEP_1)
	v_pk_add_f32 v[106:107], v[50:51] /*v[306:307]*/, v[106:107] neg_lo:[0,1] neg_hi:[0,1]
	scratch_store_b64 off, v[106:107], off offset:8
	s_wait_xcnt 0x0
	v_cmpx_ne_u32_e32 0, v0
	s_set_vgpr_msb 0                        ;  msbs: dst=0 src0=0 src1=0 src2=0
	s_cbranch_execz .LBB51_325
; %bb.324:
	scratch_load_b64 v[106:107], off, off
	v_mov_b64_e32 v[108:109], 0
	scratch_store_b64 off, v[108:109], off
	s_wait_loadcnt 0x0
	ds_store_b64 v1, v[106:107]
.LBB51_325:
	s_wait_xcnt 0x0
	s_or_b32 exec_lo, exec_lo, s0
	s_wait_storecnt_dscnt 0x0
	s_barrier_signal -1
	s_barrier_wait -1
	s_clause 0xf
	scratch_load_b128 v[112:115], off, off offset:8
	scratch_load_b128 v[120:123], off, off offset:24
	;; [unrolled: 1-line block ×16, first 2 shown]
	v_mov_b32_e32 v106, 0
	s_clause 0x4
	scratch_load_b128 v[240:243], off, off offset:264
	scratch_load_b128 v[248:251], off, off offset:280
	s_set_vgpr_msb 64                       ;  msbs: dst=1 src0=0 src1=0 src2=0
	scratch_load_b128 v[0:3] /*v[256:259]*/, off, off offset:296
	scratch_load_b128 v[8:11] /*v[264:267]*/, off, off offset:312
	s_set_vgpr_msb 0                        ;  msbs: dst=0 src0=0 src1=0 src2=0
	ds_load_2addr_b64 v[108:111], v106 offset0:53 offset1:54
	ds_load_2addr_b64 v[116:119], v106 offset0:55 offset1:56
	s_set_vgpr_msb 64                       ;  msbs: dst=1 src0=0 src1=0 src2=0
	s_clause 0x1
	scratch_load_b128 v[16:19] /*v[272:275]*/, off, off offset:328
	scratch_load_b128 v[24:27] /*v[280:283]*/, off, off offset:344
	s_and_b32 vcc_lo, exec_lo, s18
	s_wait_loadcnt_dscnt 0x1501
	s_set_vgpr_msb 0                        ;  msbs: dst=0 src0=0 src1=0 src2=0
	v_dual_mul_f32 v0, v108, v113 :: v_dual_mul_f32 v1, v110, v115
	ds_load_2addr_b64 v[124:127], v106 offset0:57 offset1:58
	ds_load_2addr_b64 v[132:135], v106 offset0:59 offset1:60
	;; [unrolled: 1-line block ×4, first 2 shown]
	v_dual_fmac_f32 v0, v109, v112 :: v_dual_fmac_f32 v1, v111, v114
	ds_load_2addr_b64 v[156:159], v106 offset0:65 offset1:66
	ds_load_2addr_b64 v[164:167], v106 offset0:67 offset1:68
	;; [unrolled: 1-line block ×4, first 2 shown]
	v_add_f32_e32 v0, 0, v0
	ds_load_2addr_b64 v[188:191], v106 offset0:73 offset1:74
	ds_load_2addr_b64 v[196:199], v106 offset0:75 offset1:76
	;; [unrolled: 1-line block ×4, first 2 shown]
	v_add_f32_e32 v0, v0, v1
	s_wait_loadcnt_dscnt 0x140c
	v_mul_f32_e32 v1, v116, v121
	ds_load_2addr_b64 v[220:223], v106 offset0:81 offset1:82
	ds_load_2addr_b64 v[228:231], v106 offset0:83 offset1:84
	;; [unrolled: 1-line block ×4, first 2 shown]
	v_fmac_f32_e32 v1, v117, v120
	ds_load_2addr_b64 v[252:255], v106 offset0:89 offset1:90
	s_set_vgpr_msb 64                       ;  msbs: dst=1 src0=0 src1=0 src2=0
	ds_load_2addr_b64 v[4:7] /*v[260:263]*/, v106 offset0:91 offset1:92
	ds_load_2addr_b64 v[12:15] /*v[268:271]*/, v106 offset0:93 offset1:94
	;; [unrolled: 1-line block ×3, first 2 shown]
	s_set_vgpr_msb 0                        ;  msbs: dst=0 src0=0 src1=0 src2=0
	v_dual_add_f32 v0, v0, v1 :: v_dual_mul_f32 v1, v118, v123
	s_set_vgpr_msb 64                       ;  msbs: dst=1 src0=0 src1=0 src2=0
	s_clause 0x3
	scratch_load_b128 v[28:31] /*v[284:287]*/, off, off offset:360
	scratch_load_b128 v[32:35] /*v[288:291]*/, off, off offset:376
	;; [unrolled: 1-line block ×3, first 2 shown]
	scratch_load_b64 v[44:45] /*v[300:301]*/, off, off offset:408
	s_set_vgpr_msb 0                        ;  msbs: dst=0 src0=0 src1=0 src2=0
	v_mul_f32_e32 v107, v111, v115
	v_fmac_f32_e32 v1, v119, v122
	s_delay_alu instid0(VALU_DEP_1) | instskip(SKIP_2) | instid1(VALU_DEP_1)
	v_dual_fma_f32 v107, v110, v114, -v107 :: v_dual_add_f32 v0, v0, v1
	s_wait_loadcnt_dscnt 0x1713
	v_mul_f32_e32 v1, v124, v129
	v_fmac_f32_e32 v1, v125, v128
	s_wait_loadcnt_dscnt 0x400
	s_set_vgpr_msb 0x45                     ;  msbs: dst=1 src0=1 src1=1 src2=0
	v_dual_mul_f32 v41 /*v297*/, v14 /*v270*/, v19 /*v275*/ :: v_dual_mul_f32 v43 /*v299*/, v20 /*v276*/, v25 /*v281*/
	s_set_vgpr_msb 0                        ;  msbs: dst=0 src0=0 src1=0 src2=0
	v_dual_add_f32 v0, v0, v1 :: v_dual_mul_f32 v1, v126, v131
	s_set_vgpr_msb 0x45                     ;  msbs: dst=1 src0=1 src1=1 src2=0
	s_delay_alu instid0(VALU_DEP_2) | instskip(SKIP_1) | instid1(VALU_DEP_2)
	v_dual_fmac_f32 v41 /*v297*/, v15 /*v271*/, v18 /*v274*/ :: v_dual_fmac_f32 v43 /*v299*/, v21 /*v277*/, v24 /*v280*/
	s_set_vgpr_msb 0                        ;  msbs: dst=0 src0=0 src1=0 src2=0
	v_fmac_f32_e32 v1, v127, v130
	s_delay_alu instid0(VALU_DEP_1) | instskip(SKIP_1) | instid1(VALU_DEP_1)
	v_add_f32_e32 v0, v0, v1
	v_mul_f32_e32 v1, v132, v137
	v_fmac_f32_e32 v1, v133, v136
	s_delay_alu instid0(VALU_DEP_1) | instskip(NEXT) | instid1(VALU_DEP_1)
	v_dual_add_f32 v0, v0, v1 :: v_dual_mul_f32 v1, v134, v139
	v_fmac_f32_e32 v1, v135, v138
	s_delay_alu instid0(VALU_DEP_1) | instskip(SKIP_1) | instid1(VALU_DEP_1)
	v_add_f32_e32 v0, v0, v1
	v_mul_f32_e32 v1, v140, v145
	v_fmac_f32_e32 v1, v141, v144
	s_delay_alu instid0(VALU_DEP_1) | instskip(NEXT) | instid1(VALU_DEP_1)
	v_dual_add_f32 v0, v0, v1 :: v_dual_mul_f32 v1, v142, v147
	;; [unrolled: 7-line block ×15, first 2 shown]
	v_fmac_f32_e32 v1, v247, v250
	s_delay_alu instid0(VALU_DEP_1) | instskip(SKIP_2) | instid1(VALU_DEP_1)
	v_add_f32_e32 v0, v0, v1
	s_set_vgpr_msb 4                        ;  msbs: dst=0 src0=0 src1=1 src2=0
	v_mul_f32_e32 v1, v252, v1 /*v257*/
	v_fmac_f32_e32 v1, v253, v0 /*v256*/
	s_set_vgpr_msb 0                        ;  msbs: dst=0 src0=0 src1=0 src2=0
	s_delay_alu instid0(VALU_DEP_1) | instskip(SKIP_2) | instid1(VALU_DEP_1)
	v_add_f32_e32 v0, v0, v1
	s_set_vgpr_msb 4                        ;  msbs: dst=0 src0=0 src1=1 src2=0
	v_mul_f32_e32 v1, v254, v3 /*v259*/
	v_fmac_f32_e32 v1, v255, v2 /*v258*/
	s_set_vgpr_msb 0                        ;  msbs: dst=0 src0=0 src1=0 src2=0
	s_delay_alu instid0(VALU_DEP_1) | instskip(SKIP_2) | instid1(VALU_DEP_1)
	v_add_f32_e32 v0, v0, v1
	s_set_vgpr_msb 5                        ;  msbs: dst=0 src0=1 src1=1 src2=0
	v_mul_f32_e32 v1, v4 /*v260*/, v9 /*v265*/
	v_fmac_f32_e32 v1, v5 /*v261*/, v8 /*v264*/
	s_set_vgpr_msb 0                        ;  msbs: dst=0 src0=0 src1=0 src2=0
	s_delay_alu instid0(VALU_DEP_1) | instskip(SKIP_2) | instid1(VALU_DEP_1)
	v_add_f32_e32 v0, v0, v1
	s_set_vgpr_msb 5                        ;  msbs: dst=0 src0=1 src1=1 src2=0
	v_mul_f32_e32 v1, v6 /*v262*/, v11 /*v267*/
	v_fmac_f32_e32 v1, v7 /*v263*/, v10 /*v266*/
	;; [unrolled: 6-line block ×3, first 2 shown]
	s_set_vgpr_msb 0                        ;  msbs: dst=0 src0=0 src1=0 src2=0
	s_delay_alu instid0(VALU_DEP_1) | instskip(SKIP_1) | instid1(VALU_DEP_1)
	v_add_f32_e32 v1, v0, v1
	v_mul_f32_e32 v0, v109, v113
	v_fma_f32 v0, v108, v112, -v0
	s_delay_alu instid0(VALU_DEP_1) | instskip(NEXT) | instid1(VALU_DEP_1)
	v_add_f32_e32 v0, 0, v0
	v_dual_add_f32 v0, v0, v107 :: v_dual_mul_f32 v107, v117, v121
	s_delay_alu instid0(VALU_DEP_1) | instskip(NEXT) | instid1(VALU_DEP_1)
	v_fma_f32 v107, v116, v120, -v107
	v_add_f32_e32 v0, v0, v107
	v_mul_f32_e32 v107, v119, v123
	s_set_vgpr_msb 1                        ;  msbs: dst=0 src0=1 src1=0 src2=0
	v_mov_b32_e32 v123, v22 /*v278*/
	s_set_vgpr_msb 0                        ;  msbs: dst=0 src0=0 src1=0 src2=0
	s_delay_alu instid0(VALU_DEP_2)
	v_fma_f32 v107, v118, v122, -v107
	s_set_vgpr_msb 1                        ;  msbs: dst=0 src0=1 src1=0 src2=0
	v_mov_b32_e32 v122, v23 /*v279*/
	s_set_vgpr_msb 0                        ;  msbs: dst=0 src0=0 src1=0 src2=0
	ds_load_2addr_b64 v[108:111], v106 offset0:97 offset1:98
	ds_load_2addr_b64 v[112:115], v106 offset0:99 offset1:100
	;; [unrolled: 1-line block ×3, first 2 shown]
	ds_load_b64 v[120:121], v106 offset:824
	v_dual_add_f32 v0, v0, v107 :: v_dual_mul_f32 v107, v125, v129
	s_delay_alu instid0(VALU_DEP_1) | instskip(SKIP_3) | instid1(VALU_DEP_2)
	v_fma_f32 v107, v124, v128, -v107
	s_set_vgpr_msb 1                        ;  msbs: dst=0 src0=1 src1=0 src2=0
	v_mov_b32_e32 v124, v27 /*v283*/
	s_set_vgpr_msb 0                        ;  msbs: dst=0 src0=0 src1=0 src2=0
	v_add_f32_e32 v0, v0, v107
	v_mul_f32_e32 v107, v127, v131
	s_delay_alu instid0(VALU_DEP_3) | instskip(NEXT) | instid1(VALU_DEP_2)
	v_pk_mul_f32 v[122:123], v[122:123], v[124:125] op_sel_hi:[1,0]
	v_fma_f32 v107, v126, v130, -v107
	s_set_vgpr_msb 5                        ;  msbs: dst=0 src0=1 src1=1 src2=0
	s_delay_alu instid0(VALU_DEP_2) | instskip(SKIP_3) | instid1(VALU_DEP_2)
	v_pk_fma_f32 v[124:125], v[22:23] /*v[278:279]*/, v[26:27] /*v[282:283]*/, v[122:123] neg_lo:[0,0,1] neg_hi:[0,0,1]
	v_pk_fma_f32 v[122:123], v[22:23] /*v[278:279]*/, v[26:27] /*v[282:283]*/, v[122:123] op_sel_hi:[1,0,1]
	s_set_vgpr_msb 0                        ;  msbs: dst=0 src0=0 src1=0 src2=0
	v_dual_add_f32 v0, v0, v107 :: v_dual_mul_f32 v107, v133, v137
	v_mov_b32_e32 v125, v123
	s_wait_loadcnt_dscnt 0x303
	s_set_vgpr_msb 4                        ;  msbs: dst=0 src0=0 src1=1 src2=0
	v_pk_mul_f32 v[122:123], v[108:109], v[28:29] /*v[284:285]*/ op_sel:[1,1] op_sel_hi:[0,1]
	s_set_vgpr_msb 0                        ;  msbs: dst=0 src0=0 src1=0 src2=0
	v_fma_f32 v107, v132, v136, -v107
	s_delay_alu instid0(VALU_DEP_1) | instskip(SKIP_1) | instid1(VALU_DEP_1)
	v_add_f32_e32 v0, v0, v107
	v_mul_f32_e32 v107, v135, v139
	v_fma_f32 v107, v134, v138, -v107
	s_delay_alu instid0(VALU_DEP_1) | instskip(NEXT) | instid1(VALU_DEP_1)
	v_dual_add_f32 v0, v0, v107 :: v_dual_mul_f32 v107, v141, v145
	v_fma_f32 v107, v140, v144, -v107
	s_delay_alu instid0(VALU_DEP_1) | instskip(SKIP_1) | instid1(VALU_DEP_1)
	v_add_f32_e32 v0, v0, v107
	v_mul_f32_e32 v107, v143, v147
	v_fma_f32 v107, v142, v146, -v107
	s_delay_alu instid0(VALU_DEP_1) | instskip(NEXT) | instid1(VALU_DEP_1)
	v_dual_add_f32 v0, v0, v107 :: v_dual_mul_f32 v107, v149, v153
	;; [unrolled: 7-line block ×14, first 2 shown]
	v_fma_f32 v107, v244, v248, -v107
	s_delay_alu instid0(VALU_DEP_1) | instskip(SKIP_1) | instid1(VALU_DEP_1)
	v_add_f32_e32 v0, v0, v107
	v_mul_f32_e32 v107, v247, v251
	v_fma_f32 v107, v246, v250, -v107
	s_delay_alu instid0(VALU_DEP_1) | instskip(SKIP_2) | instid1(VALU_DEP_1)
	v_add_f32_e32 v0, v0, v107
	s_set_vgpr_msb 4                        ;  msbs: dst=0 src0=0 src1=1 src2=0
	v_mul_f32_e32 v107, v253, v1 /*v257*/
	v_fma_f32 v107, v252, v0 /*v256*/, -v107
	s_set_vgpr_msb 0                        ;  msbs: dst=0 src0=0 src1=0 src2=0
	s_delay_alu instid0(VALU_DEP_1) | instskip(SKIP_2) | instid1(VALU_DEP_1)
	v_add_f32_e32 v0, v0, v107
	s_set_vgpr_msb 4                        ;  msbs: dst=0 src0=0 src1=1 src2=0
	v_mul_f32_e32 v107, v255, v3 /*v259*/
	v_fma_f32 v107, v254, v2 /*v258*/, -v107
	s_set_vgpr_msb 0                        ;  msbs: dst=0 src0=0 src1=0 src2=0
	s_delay_alu instid0(VALU_DEP_1) | instskip(SKIP_2) | instid1(VALU_DEP_1)
	v_add_f32_e32 v0, v0, v107
	s_set_vgpr_msb 5                        ;  msbs: dst=0 src0=1 src1=1 src2=0
	v_mul_f32_e32 v107, v5 /*v261*/, v9 /*v265*/
	v_fma_f32 v107, v4 /*v260*/, v8 /*v264*/, -v107
	s_set_vgpr_msb 0                        ;  msbs: dst=0 src0=0 src1=0 src2=0
	s_delay_alu instid0(VALU_DEP_1) | instskip(SKIP_2) | instid1(VALU_DEP_1)
	v_add_f32_e32 v0, v0, v107
	s_set_vgpr_msb 5                        ;  msbs: dst=0 src0=1 src1=1 src2=0
	v_mul_f32_e32 v107, v7 /*v263*/, v11 /*v267*/
	v_fma_f32 v107, v6 /*v262*/, v10 /*v266*/, -v107
	;; [unrolled: 6-line block ×3, first 2 shown]
	s_set_vgpr_msb 0                        ;  msbs: dst=0 src0=0 src1=0 src2=0
	s_delay_alu instid0(VALU_DEP_1) | instskip(SKIP_3) | instid1(VALU_DEP_1)
	v_add_f32_e32 v0, v0, v107
	s_set_vgpr_msb 5                        ;  msbs: dst=0 src0=1 src1=1 src2=0
	v_mul_f32_e32 v107, v15 /*v271*/, v19 /*v275*/
	s_set_vgpr_msb 0x45                     ;  msbs: dst=1 src0=1 src1=1 src2=0
	v_fma_f32 v40 /*v296*/, v14 /*v270*/, v18 /*v274*/, -v107
	s_set_vgpr_msb 5                        ;  msbs: dst=0 src0=1 src1=1 src2=0
	v_mul_f32_e32 v107, v21 /*v277*/, v25 /*v281*/
	s_set_vgpr_msb 0x45                     ;  msbs: dst=1 src0=1 src1=1 src2=0
	s_delay_alu instid0(VALU_DEP_1) | instskip(SKIP_2) | instid1(VALU_DEP_1)
	v_fma_f32 v42 /*v298*/, v20 /*v276*/, v24 /*v280*/, -v107
	s_set_vgpr_msb 4                        ;  msbs: dst=0 src0=0 src1=1 src2=0
	v_pk_add_f32 v[0:1], v[0:1], v[40:41] /*v[296:297]*/
	v_pk_add_f32 v[0:1], v[0:1], v[42:43] /*v[298:299]*/
	s_set_vgpr_msb 0                        ;  msbs: dst=0 src0=0 src1=0 src2=0
	s_delay_alu instid0(VALU_DEP_1)
	v_pk_add_f32 v[0:1], v[0:1], v[124:125]
	s_set_vgpr_msb 4                        ;  msbs: dst=0 src0=0 src1=1 src2=0
	v_pk_fma_f32 v[124:125], v[108:109], v[28:29] /*v[284:285]*/, v[122:123] neg_lo:[0,0,1] neg_hi:[0,0,1]
	v_pk_fma_f32 v[108:109], v[108:109], v[28:29] /*v[284:285]*/, v[122:123] op_sel_hi:[1,0,1]
	v_mov_b32_e32 v108, v111
	s_set_vgpr_msb 1                        ;  msbs: dst=0 src0=1 src1=0 src2=0
	v_mov_b32_e32 v122, v31 /*v287*/
	s_set_vgpr_msb 0                        ;  msbs: dst=0 src0=0 src1=0 src2=0
	v_dual_mov_b32 v125, v109 :: v_dual_mov_b32 v109, v110
	s_delay_alu instid0(VALU_DEP_1) | instskip(NEXT) | instid1(VALU_DEP_2)
	v_pk_add_f32 v[0:1], v[0:1], v[124:125]
	v_pk_mul_f32 v[108:109], v[108:109], v[122:123] op_sel_hi:[1,0]
	s_set_vgpr_msb 4                        ;  msbs: dst=0 src0=0 src1=1 src2=0
	s_delay_alu instid0(VALU_DEP_1) | instskip(SKIP_1) | instid1(VALU_DEP_1)
	v_pk_fma_f32 v[122:123], v[110:111], v[30:31] /*v[286:287]*/, v[108:109] neg_lo:[0,0,1] neg_hi:[0,0,1]
	v_pk_fma_f32 v[108:109], v[110:111], v[30:31] /*v[286:287]*/, v[108:109] op_sel_hi:[1,0,1]
	v_mov_b32_e32 v123, v109
	s_wait_loadcnt_dscnt 0x202
	v_pk_mul_f32 v[108:109], v[112:113], v[32:33] /*v[288:289]*/ op_sel:[1,1] op_sel_hi:[0,1]
	s_set_vgpr_msb 0                        ;  msbs: dst=0 src0=0 src1=0 src2=0
	s_delay_alu instid0(VALU_DEP_2) | instskip(SKIP_1) | instid1(VALU_DEP_2)
	v_pk_add_f32 v[0:1], v[0:1], v[122:123]
	s_set_vgpr_msb 4                        ;  msbs: dst=0 src0=0 src1=1 src2=0
	v_pk_fma_f32 v[110:111], v[112:113], v[32:33] /*v[288:289]*/, v[108:109] neg_lo:[0,0,1] neg_hi:[0,0,1]
	v_pk_fma_f32 v[108:109], v[112:113], v[32:33] /*v[288:289]*/, v[108:109] op_sel_hi:[1,0,1]
	s_delay_alu instid0(VALU_DEP_1) | instskip(SKIP_2) | instid1(VALU_DEP_2)
	v_dual_mov_b32 v108, v115 :: v_dual_mov_b32 v111, v109
	v_mov_b32_e32 v109, v114
	s_set_vgpr_msb 0                        ;  msbs: dst=0 src0=0 src1=0 src2=0
	v_pk_add_f32 v[0:1], v[0:1], v[110:111]
	s_set_vgpr_msb 1                        ;  msbs: dst=0 src0=1 src1=0 src2=0
	v_mov_b32_e32 v110, v35 /*v291*/
	s_set_vgpr_msb 0                        ;  msbs: dst=0 src0=0 src1=0 src2=0
	s_delay_alu instid0(VALU_DEP_1) | instskip(SKIP_1) | instid1(VALU_DEP_1)
	v_pk_mul_f32 v[108:109], v[108:109], v[110:111] op_sel_hi:[1,0]
	s_set_vgpr_msb 4                        ;  msbs: dst=0 src0=0 src1=1 src2=0
	v_pk_fma_f32 v[110:111], v[114:115], v[34:35] /*v[290:291]*/, v[108:109] neg_lo:[0,0,1] neg_hi:[0,0,1]
	v_pk_fma_f32 v[108:109], v[114:115], v[34:35] /*v[290:291]*/, v[108:109] op_sel_hi:[1,0,1]
	s_delay_alu instid0(VALU_DEP_1) | instskip(SKIP_3) | instid1(VALU_DEP_2)
	v_mov_b32_e32 v111, v109
	s_wait_loadcnt_dscnt 0x101
	v_pk_mul_f32 v[108:109], v[116:117], v[36:37] /*v[292:293]*/ op_sel:[1,1] op_sel_hi:[0,1]
	s_set_vgpr_msb 0                        ;  msbs: dst=0 src0=0 src1=0 src2=0
	v_pk_add_f32 v[0:1], v[0:1], v[110:111]
	s_set_vgpr_msb 4                        ;  msbs: dst=0 src0=0 src1=1 src2=0
	s_delay_alu instid0(VALU_DEP_2) | instskip(SKIP_1) | instid1(VALU_DEP_1)
	v_pk_fma_f32 v[110:111], v[116:117], v[36:37] /*v[292:293]*/, v[108:109] neg_lo:[0,0,1] neg_hi:[0,0,1]
	v_pk_fma_f32 v[108:109], v[116:117], v[36:37] /*v[292:293]*/, v[108:109] op_sel_hi:[1,0,1]
	v_dual_mov_b32 v108, v119 :: v_dual_mov_b32 v111, v109
	v_mov_b32_e32 v109, v118
	s_set_vgpr_msb 0                        ;  msbs: dst=0 src0=0 src1=0 src2=0
	s_delay_alu instid0(VALU_DEP_2) | instskip(SKIP_3) | instid1(VALU_DEP_1)
	v_pk_add_f32 v[0:1], v[0:1], v[110:111]
	s_set_vgpr_msb 1                        ;  msbs: dst=0 src0=1 src1=0 src2=0
	v_mov_b32_e32 v110, v39 /*v295*/
	s_set_vgpr_msb 0                        ;  msbs: dst=0 src0=0 src1=0 src2=0
	v_pk_mul_f32 v[108:109], v[108:109], v[110:111] op_sel_hi:[1,0]
	s_set_vgpr_msb 4                        ;  msbs: dst=0 src0=0 src1=1 src2=0
	s_delay_alu instid0(VALU_DEP_1) | instskip(SKIP_1) | instid1(VALU_DEP_1)
	v_pk_fma_f32 v[110:111], v[118:119], v[38:39] /*v[294:295]*/, v[108:109] neg_lo:[0,0,1] neg_hi:[0,0,1]
	v_pk_fma_f32 v[108:109], v[118:119], v[38:39] /*v[294:295]*/, v[108:109] op_sel_hi:[1,0,1]
	v_mov_b32_e32 v111, v109
	s_wait_loadcnt_dscnt 0x0
	v_pk_mul_f32 v[108:109], v[120:121], v[44:45] /*v[300:301]*/ op_sel:[1,1] op_sel_hi:[0,1]
	s_set_vgpr_msb 0                        ;  msbs: dst=0 src0=0 src1=0 src2=0
	s_delay_alu instid0(VALU_DEP_2) | instskip(SKIP_1) | instid1(VALU_DEP_2)
	v_pk_add_f32 v[0:1], v[0:1], v[110:111]
	s_set_vgpr_msb 4                        ;  msbs: dst=0 src0=0 src1=1 src2=0
	v_pk_fma_f32 v[110:111], v[120:121], v[44:45] /*v[300:301]*/, v[108:109] neg_lo:[0,0,1] neg_hi:[0,0,1]
	v_pk_fma_f32 v[108:109], v[120:121], v[44:45] /*v[300:301]*/, v[108:109] op_sel_hi:[1,0,1]
	s_delay_alu instid0(VALU_DEP_1) | instskip(SKIP_4) | instid1(VALU_DEP_1)
	v_mov_b32_e32 v111, v109
	scratch_load_b64 v[108:109], off, off
	s_set_vgpr_msb 0                        ;  msbs: dst=0 src0=0 src1=0 src2=0
	v_pk_add_f32 v[0:1], v[0:1], v[110:111]
	s_wait_loadcnt 0x0
	v_pk_add_f32 v[0:1], v[108:109], v[0:1] neg_lo:[0,1] neg_hi:[0,1]
	scratch_store_b64 off, v[0:1], off
	s_cbranch_vccz .LBB51_428
; %bb.326:
	global_load_b32 v0, v106, s[2:3] offset:200
	s_wait_loadcnt 0x0
	v_cmp_ne_u32_e32 vcc_lo, 51, v0
	s_cbranch_vccz .LBB51_328
; %bb.327:
	v_lshlrev_b32_e32 v0, 3, v0
	s_delay_alu instid0(VALU_DEP_1)
	v_mov_b32_e32 v108, v0
	scratch_load_b64 v[0:1], v108, off offset:-8
	scratch_load_b64 v[106:107], off, off offset:400
	s_wait_loadcnt 0x1
	scratch_store_b64 off, v[0:1], off offset:400
	s_wait_loadcnt 0x0
	scratch_store_b64 v108, v[106:107], off offset:-8
.LBB51_328:
	s_wait_xcnt 0x1
	v_mov_b32_e32 v0, 0
	global_load_b32 v1, v0, s[2:3] offset:196
	s_wait_loadcnt 0x0
	v_cmp_eq_u32_e32 vcc_lo, 50, v1
	s_cbranch_vccnz .LBB51_330
; %bb.329:
	v_lshlrev_b32_e32 v1, 3, v1
	scratch_load_b64 v[106:107], v1, off offset:-8
	scratch_load_b64 v[108:109], off, off offset:392
	s_wait_loadcnt 0x1
	scratch_store_b64 off, v[106:107], off offset:392
	s_wait_loadcnt 0x0
	scratch_store_b64 v1, v[108:109], off offset:-8
.LBB51_330:
	global_load_b32 v0, v0, s[2:3] offset:192
	s_wait_loadcnt 0x0
	v_cmp_eq_u32_e32 vcc_lo, 49, v0
	s_cbranch_vccnz .LBB51_332
; %bb.331:
	s_wait_xcnt 0x0
	v_lshlrev_b32_e32 v0, 3, v0
	s_delay_alu instid0(VALU_DEP_1)
	v_mov_b32_e32 v108, v0
	scratch_load_b64 v[0:1], v108, off offset:-8
	scratch_load_b64 v[106:107], off, off offset:384
	s_wait_loadcnt 0x1
	scratch_store_b64 off, v[0:1], off offset:384
	s_wait_loadcnt 0x0
	scratch_store_b64 v108, v[106:107], off offset:-8
.LBB51_332:
	s_wait_xcnt 0x0
	v_mov_b32_e32 v0, 0
	global_load_b32 v1, v0, s[2:3] offset:188
	s_wait_loadcnt 0x0
	v_cmp_eq_u32_e32 vcc_lo, 48, v1
	s_cbranch_vccnz .LBB51_334
; %bb.333:
	v_lshlrev_b32_e32 v1, 3, v1
	scratch_load_b64 v[106:107], v1, off offset:-8
	scratch_load_b64 v[108:109], off, off offset:376
	s_wait_loadcnt 0x1
	scratch_store_b64 off, v[106:107], off offset:376
	s_wait_loadcnt 0x0
	scratch_store_b64 v1, v[108:109], off offset:-8
.LBB51_334:
	global_load_b32 v0, v0, s[2:3] offset:184
	s_wait_loadcnt 0x0
	v_cmp_eq_u32_e32 vcc_lo, 47, v0
	s_cbranch_vccnz .LBB51_336
; %bb.335:
	s_wait_xcnt 0x0
	v_lshlrev_b32_e32 v0, 3, v0
	s_delay_alu instid0(VALU_DEP_1)
	v_mov_b32_e32 v108, v0
	scratch_load_b64 v[0:1], v108, off offset:-8
	scratch_load_b64 v[106:107], off, off offset:368
	s_wait_loadcnt 0x1
	scratch_store_b64 off, v[0:1], off offset:368
	s_wait_loadcnt 0x0
	scratch_store_b64 v108, v[106:107], off offset:-8
.LBB51_336:
	;; [unrolled: 31-line block ×24, first 2 shown]
	s_wait_xcnt 0x0
	v_mov_b32_e32 v0, 0
	global_load_b32 v1, v0, s[2:3] offset:4
	s_wait_loadcnt 0x0
	v_cmp_eq_u32_e32 vcc_lo, 2, v1
	s_cbranch_vccnz .LBB51_426
; %bb.425:
	v_lshlrev_b32_e32 v1, 3, v1
	scratch_load_b64 v[106:107], v1, off offset:-8
	scratch_load_b64 v[108:109], off, off offset:8
	s_wait_loadcnt 0x1
	scratch_store_b64 off, v[106:107], off offset:8
	s_wait_loadcnt 0x0
	scratch_store_b64 v1, v[108:109], off offset:-8
.LBB51_426:
	global_load_b32 v106, v0, s[2:3]
	scratch_load_b64 v[0:1], off, off
	s_wait_loadcnt 0x1
	v_cmp_eq_u32_e32 vcc_lo, 1, v106
	s_cbranch_vccnz .LBB51_428
; %bb.427:
	v_lshlrev_b32_e32 v106, 3, v106
	s_delay_alu instid0(VALU_DEP_1)
	v_mov_b32_e32 v108, v106
	scratch_load_b64 v[106:107], v108, off offset:-8
	s_wait_loadcnt 0x0
	scratch_store_b64 off, v[106:107], off
	scratch_store_b64 v108, v[0:1], off offset:-8
	scratch_load_b64 v[0:1], off, off
.LBB51_428:
	s_clause 0x19
	scratch_load_b128 v[106:109], off, off offset:8
	scratch_load_b128 v[110:113], off, off offset:24
	;; [unrolled: 1-line block ×25, first 2 shown]
	scratch_load_b64 v[206:207], off, off offset:408
	v_lshl_add_u64 v[4:5], v[4:5], 3, s[4:5]
	v_lshl_add_u64 v[8:9], v[8:9], 3, s[4:5]
	v_lshl_add_u64 v[10:11], v[10:11], 3, s[4:5]
	v_lshl_add_u64 v[12:13], v[12:13], 3, s[4:5]
	v_lshl_add_u64 v[14:15], v[14:15], 3, s[4:5]
	v_lshl_add_u64 v[16:17], v[16:17], 3, s[4:5]
	v_lshl_add_u64 v[18:19], v[18:19], 3, s[4:5]
	v_lshl_add_u64 v[20:21], v[20:21], 3, s[4:5]
	v_lshl_add_u64 v[22:23], v[22:23], 3, s[4:5]
	v_lshl_add_u64 v[24:25], v[24:25], 3, s[4:5]
	v_lshl_add_u64 v[26:27], v[26:27], 3, s[4:5]
	v_lshl_add_u64 v[28:29], v[28:29], 3, s[4:5]
	v_lshl_add_u64 v[30:31], v[30:31], 3, s[4:5]
	v_lshl_add_u64 v[32:33], v[32:33], 3, s[4:5]
	v_lshl_add_u64 v[34:35], v[34:35], 3, s[4:5]
	v_lshl_add_u64 v[36:37], v[36:37], 3, s[4:5]
	v_lshl_add_u64 v[38:39], v[38:39], 3, s[4:5]
	v_lshl_add_u64 v[40:41], v[40:41], 3, s[4:5]
	v_lshl_add_u64 v[42:43], v[42:43], 3, s[4:5]
	v_lshl_add_u64 v[44:45], v[44:45], 3, s[4:5]
	v_lshl_add_u64 v[46:47], v[46:47], 3, s[4:5]
	v_lshl_add_u64 v[48:49], v[48:49], 3, s[4:5]
	v_lshl_add_u64 v[50:51], v[50:51], 3, s[4:5]
	v_lshl_add_u64 v[52:53], v[52:53], 3, s[4:5]
	v_lshl_add_u64 v[54:55], v[54:55], 3, s[4:5]
	v_lshl_add_u64 v[56:57], v[56:57], 3, s[4:5]
	v_lshl_add_u64 v[58:59], v[58:59], 3, s[4:5]
	v_lshl_add_u64 v[60:61], v[60:61], 3, s[4:5]
	v_lshl_add_u64 v[62:63], v[62:63], 3, s[4:5]
	v_lshl_add_u64 v[64:65], v[64:65], 3, s[4:5]
	v_lshl_add_u64 v[66:67], v[66:67], 3, s[4:5]
	v_lshl_add_u64 v[68:69], v[68:69], 3, s[4:5]
	v_lshl_add_u64 v[70:71], v[70:71], 3, s[4:5]
	v_lshl_add_u64 v[72:73], v[72:73], 3, s[4:5]
	v_lshl_add_u64 v[74:75], v[74:75], 3, s[4:5]
	v_lshl_add_u64 v[76:77], v[76:77], 3, s[4:5]
	v_lshl_add_u64 v[78:79], v[78:79], 3, s[4:5]
	v_lshl_add_u64 v[80:81], v[80:81], 3, s[4:5]
	v_lshl_add_u64 v[82:83], v[82:83], 3, s[4:5]
	v_lshl_add_u64 v[84:85], v[84:85], 3, s[4:5]
	v_lshl_add_u64 v[86:87], v[86:87], 3, s[4:5]
	v_lshl_add_u64 v[88:89], v[88:89], 3, s[4:5]
	v_lshl_add_u64 v[90:91], v[90:91], 3, s[4:5]
	v_lshl_add_u64 v[92:93], v[92:93], 3, s[4:5]
	v_lshl_add_u64 v[94:95], v[94:95], 3, s[4:5]
	v_lshl_add_u64 v[96:97], v[96:97], 3, s[4:5]
	v_lshl_add_u64 v[98:99], v[98:99], 3, s[4:5]
	v_lshl_add_u64 v[100:101], v[100:101], 3, s[4:5]
	v_lshl_add_u64 v[102:103], v[102:103], 3, s[4:5]
	v_lshl_add_u64 v[104:105], v[104:105], 3, s[4:5]
	s_wait_loadcnt 0x1a
	global_store_b64 v[2:3], v[0:1], off
	s_wait_loadcnt 0x19
	s_clause 0x1
	global_store_b64 v[6:7], v[106:107], off
	global_store_b64 v[4:5], v[108:109], off
	s_wait_loadcnt 0x18
	s_clause 0x1
	global_store_b64 v[8:9], v[110:111], off
	;; [unrolled: 4-line block ×25, first 2 shown]
	global_store_b64 v[102:103], v[204:205], off
	s_wait_loadcnt 0x0
	global_store_b64 v[104:105], v[206:207], off
	s_sendmsg sendmsg(MSG_DEALLOC_VGPRS)
	s_endpgm
	.section	.rodata,"a",@progbits
	.p2align	6, 0x0
	.amdhsa_kernel _ZN9rocsolver6v33100L18getri_kernel_smallILi52E19rocblas_complex_numIfEPS3_EEvT1_iilPiilS6_bb
		.amdhsa_group_segment_fixed_size 836
		.amdhsa_private_segment_fixed_size 432
		.amdhsa_kernarg_size 60
		.amdhsa_user_sgpr_count 2
		.amdhsa_user_sgpr_dispatch_ptr 0
		.amdhsa_user_sgpr_queue_ptr 0
		.amdhsa_user_sgpr_kernarg_segment_ptr 1
		.amdhsa_user_sgpr_dispatch_id 0
		.amdhsa_user_sgpr_kernarg_preload_length 0
		.amdhsa_user_sgpr_kernarg_preload_offset 0
		.amdhsa_user_sgpr_private_segment_size 0
		.amdhsa_wavefront_size32 1
		.amdhsa_uses_dynamic_stack 0
		.amdhsa_enable_private_segment 1
		.amdhsa_system_sgpr_workgroup_id_x 1
		.amdhsa_system_sgpr_workgroup_id_y 0
		.amdhsa_system_sgpr_workgroup_id_z 0
		.amdhsa_system_sgpr_workgroup_info 0
		.amdhsa_system_vgpr_workitem_id 0
		.amdhsa_next_free_vgpr 318
		.amdhsa_next_free_sgpr 19
		.amdhsa_named_barrier_count 0
		.amdhsa_reserve_vcc 1
		.amdhsa_float_round_mode_32 0
		.amdhsa_float_round_mode_16_64 0
		.amdhsa_float_denorm_mode_32 3
		.amdhsa_float_denorm_mode_16_64 3
		.amdhsa_fp16_overflow 0
		.amdhsa_memory_ordered 1
		.amdhsa_forward_progress 1
		.amdhsa_inst_pref_size 255
		.amdhsa_round_robin_scheduling 0
		.amdhsa_exception_fp_ieee_invalid_op 0
		.amdhsa_exception_fp_denorm_src 0
		.amdhsa_exception_fp_ieee_div_zero 0
		.amdhsa_exception_fp_ieee_overflow 0
		.amdhsa_exception_fp_ieee_underflow 0
		.amdhsa_exception_fp_ieee_inexact 0
		.amdhsa_exception_int_div_zero 0
	.end_amdhsa_kernel
	.section	.text._ZN9rocsolver6v33100L18getri_kernel_smallILi52E19rocblas_complex_numIfEPS3_EEvT1_iilPiilS6_bb,"axG",@progbits,_ZN9rocsolver6v33100L18getri_kernel_smallILi52E19rocblas_complex_numIfEPS3_EEvT1_iilPiilS6_bb,comdat
.Lfunc_end51:
	.size	_ZN9rocsolver6v33100L18getri_kernel_smallILi52E19rocblas_complex_numIfEPS3_EEvT1_iilPiilS6_bb, .Lfunc_end51-_ZN9rocsolver6v33100L18getri_kernel_smallILi52E19rocblas_complex_numIfEPS3_EEvT1_iilPiilS6_bb
                                        ; -- End function
	.set _ZN9rocsolver6v33100L18getri_kernel_smallILi52E19rocblas_complex_numIfEPS3_EEvT1_iilPiilS6_bb.num_vgpr, 318
	.set _ZN9rocsolver6v33100L18getri_kernel_smallILi52E19rocblas_complex_numIfEPS3_EEvT1_iilPiilS6_bb.num_agpr, 0
	.set _ZN9rocsolver6v33100L18getri_kernel_smallILi52E19rocblas_complex_numIfEPS3_EEvT1_iilPiilS6_bb.numbered_sgpr, 19
	.set _ZN9rocsolver6v33100L18getri_kernel_smallILi52E19rocblas_complex_numIfEPS3_EEvT1_iilPiilS6_bb.num_named_barrier, 0
	.set _ZN9rocsolver6v33100L18getri_kernel_smallILi52E19rocblas_complex_numIfEPS3_EEvT1_iilPiilS6_bb.private_seg_size, 432
	.set _ZN9rocsolver6v33100L18getri_kernel_smallILi52E19rocblas_complex_numIfEPS3_EEvT1_iilPiilS6_bb.uses_vcc, 1
	.set _ZN9rocsolver6v33100L18getri_kernel_smallILi52E19rocblas_complex_numIfEPS3_EEvT1_iilPiilS6_bb.uses_flat_scratch, 1
	.set _ZN9rocsolver6v33100L18getri_kernel_smallILi52E19rocblas_complex_numIfEPS3_EEvT1_iilPiilS6_bb.has_dyn_sized_stack, 0
	.set _ZN9rocsolver6v33100L18getri_kernel_smallILi52E19rocblas_complex_numIfEPS3_EEvT1_iilPiilS6_bb.has_recursion, 0
	.set _ZN9rocsolver6v33100L18getri_kernel_smallILi52E19rocblas_complex_numIfEPS3_EEvT1_iilPiilS6_bb.has_indirect_call, 0
	.section	.AMDGPU.csdata,"",@progbits
; Kernel info:
; codeLenInByte = 99888
; TotalNumSgprs: 21
; NumVgprs: 318
; ScratchSize: 432
; MemoryBound: 0
; FloatMode: 240
; IeeeMode: 1
; LDSByteSize: 836 bytes/workgroup (compile time only)
; SGPRBlocks: 0
; VGPRBlocks: 19
; NumSGPRsForWavesPerEU: 21
; NumVGPRsForWavesPerEU: 318
; NamedBarCnt: 0
; Occupancy: 3
; WaveLimiterHint : 1
; COMPUTE_PGM_RSRC2:SCRATCH_EN: 1
; COMPUTE_PGM_RSRC2:USER_SGPR: 2
; COMPUTE_PGM_RSRC2:TRAP_HANDLER: 0
; COMPUTE_PGM_RSRC2:TGID_X_EN: 1
; COMPUTE_PGM_RSRC2:TGID_Y_EN: 0
; COMPUTE_PGM_RSRC2:TGID_Z_EN: 0
; COMPUTE_PGM_RSRC2:TIDIG_COMP_CNT: 0
	.section	.text._ZN9rocsolver6v33100L18getri_kernel_smallILi53E19rocblas_complex_numIfEPS3_EEvT1_iilPiilS6_bb,"axG",@progbits,_ZN9rocsolver6v33100L18getri_kernel_smallILi53E19rocblas_complex_numIfEPS3_EEvT1_iilPiilS6_bb,comdat
	.globl	_ZN9rocsolver6v33100L18getri_kernel_smallILi53E19rocblas_complex_numIfEPS3_EEvT1_iilPiilS6_bb ; -- Begin function _ZN9rocsolver6v33100L18getri_kernel_smallILi53E19rocblas_complex_numIfEPS3_EEvT1_iilPiilS6_bb
	.p2align	8
	.type	_ZN9rocsolver6v33100L18getri_kernel_smallILi53E19rocblas_complex_numIfEPS3_EEvT1_iilPiilS6_bb,@function
_ZN9rocsolver6v33100L18getri_kernel_smallILi53E19rocblas_complex_numIfEPS3_EEvT1_iilPiilS6_bb: ; @_ZN9rocsolver6v33100L18getri_kernel_smallILi53E19rocblas_complex_numIfEPS3_EEvT1_iilPiilS6_bb
; %bb.0:
	s_mov_b32 s2, exec_lo
	v_cmpx_gt_u32_e32 53, v0
	s_cbranch_execz .LBB52_226
; %bb.1:
	s_clause 0x2
	s_load_b32 s2, s[0:1], 0x38
	s_load_b128 s[12:15], s[0:1], 0x10
	s_load_b128 s[4:7], s[0:1], 0x28
	s_getreg_b32 s9, hwreg(HW_REG_IB_STS2, 6, 4)
	s_wait_kmcnt 0x0
	s_bitcmp1_b32 s2, 8
	s_cselect_b32 s18, -1, 0
	s_bfe_u32 s3, ttmp6, 0x4000c
	s_and_b32 s8, ttmp6, 15
	s_add_co_i32 s3, s3, 1
	s_delay_alu instid0(SALU_CYCLE_1) | instskip(NEXT) | instid1(SALU_CYCLE_1)
	s_mul_i32 s3, ttmp9, s3
	s_add_co_i32 s8, s8, s3
	s_cmp_eq_u32 s9, 0
	s_cselect_b32 s16, ttmp9, s8
	s_bfe_u32 s2, s2, 0x10008
	s_ashr_i32 s17, s16, 31
	s_cmp_eq_u32 s2, 0
                                        ; implicit-def: $sgpr2_sgpr3
	s_cbranch_scc1 .LBB52_3
; %bb.2:
	s_load_b32 s2, s[0:1], 0x20
	s_mul_u64 s[4:5], s[4:5], s[16:17]
	s_delay_alu instid0(SALU_CYCLE_1) | instskip(NEXT) | instid1(SALU_CYCLE_1)
	s_lshl_b64 s[4:5], s[4:5], 2
	s_add_nc_u64 s[4:5], s[14:15], s[4:5]
	s_wait_kmcnt 0x0
	s_ashr_i32 s3, s2, 31
	s_delay_alu instid0(SALU_CYCLE_1) | instskip(NEXT) | instid1(SALU_CYCLE_1)
	s_lshl_b64 s[2:3], s[2:3], 2
	s_add_nc_u64 s[2:3], s[4:5], s[2:3]
.LBB52_3:
	s_clause 0x1
	s_load_b128 s[8:11], s[0:1], 0x0
	s_load_b32 s14, s[0:1], 0x38
	s_wait_xcnt 0x0
	s_mul_u64 s[0:1], s[12:13], s[16:17]
	v_mov_b32_e32 v109, 0
	s_lshl_b64 s[0:1], s[0:1], 3
	s_wait_kmcnt 0x0
	v_add3_u32 v4, s11, s11, v0
	s_ashr_i32 s5, s10, 31
	s_mov_b32 s4, s10
	s_add_nc_u64 s[0:1], s[8:9], s[0:1]
	s_lshl_b64 s[4:5], s[4:5], 3
	v_add_nc_u32_e32 v8, s11, v4
	s_add_nc_u64 s[4:5], s[0:1], s[4:5]
	s_ashr_i32 s1, s11, 31
	s_mov_b32 s0, s11
	s_bitcmp0_b32 s14, 0
	v_add_nc_u32_e32 v10, s11, v8
	s_delay_alu instid0(VALU_DEP_1) | instskip(NEXT) | instid1(VALU_DEP_1)
	v_add_nc_u32_e32 v12, s11, v10
	v_add_nc_u32_e32 v14, s11, v12
	s_delay_alu instid0(VALU_DEP_1) | instskip(NEXT) | instid1(VALU_DEP_1)
	v_add_nc_u32_e32 v16, s11, v14
	v_add_nc_u32_e32 v18, s11, v16
	s_delay_alu instid0(VALU_DEP_1) | instskip(NEXT) | instid1(VALU_DEP_1)
	v_add_nc_u32_e32 v20, s11, v18
	v_add_nc_u32_e32 v22, s11, v20
	s_delay_alu instid0(VALU_DEP_1) | instskip(NEXT) | instid1(VALU_DEP_1)
	v_add_nc_u32_e32 v24, s11, v22
	v_add_nc_u32_e32 v26, s11, v24
	s_delay_alu instid0(VALU_DEP_1) | instskip(NEXT) | instid1(VALU_DEP_1)
	v_add_nc_u32_e32 v28, s11, v26
	v_add_nc_u32_e32 v30, s11, v28
	s_delay_alu instid0(VALU_DEP_1) | instskip(NEXT) | instid1(VALU_DEP_1)
	v_add_nc_u32_e32 v32, s11, v30
	v_add_nc_u32_e32 v34, s11, v32
	s_delay_alu instid0(VALU_DEP_1) | instskip(NEXT) | instid1(VALU_DEP_1)
	v_add_nc_u32_e32 v36, s11, v34
	v_add_nc_u32_e32 v38, s11, v36
	s_delay_alu instid0(VALU_DEP_1) | instskip(NEXT) | instid1(VALU_DEP_1)
	v_add_nc_u32_e32 v40, s11, v38
	v_add_nc_u32_e32 v42, s11, v40
	s_delay_alu instid0(VALU_DEP_1) | instskip(NEXT) | instid1(VALU_DEP_1)
	v_add_nc_u32_e32 v44, s11, v42
	v_add_nc_u32_e32 v46, s11, v44
	s_delay_alu instid0(VALU_DEP_1) | instskip(NEXT) | instid1(VALU_DEP_1)
	v_add_nc_u32_e32 v48, s11, v46
	v_add_nc_u32_e32 v50, s11, v48
	s_delay_alu instid0(VALU_DEP_1) | instskip(NEXT) | instid1(VALU_DEP_1)
	v_add_nc_u32_e32 v52, s11, v50
	v_add_nc_u32_e32 v54, s11, v52
	s_delay_alu instid0(VALU_DEP_1) | instskip(NEXT) | instid1(VALU_DEP_1)
	v_add_nc_u32_e32 v56, s11, v54
	v_add_nc_u32_e32 v58, s11, v56
	s_delay_alu instid0(VALU_DEP_1) | instskip(NEXT) | instid1(VALU_DEP_1)
	v_add_nc_u32_e32 v60, s11, v58
	v_add_nc_u32_e32 v62, s11, v60
	s_delay_alu instid0(VALU_DEP_1) | instskip(NEXT) | instid1(VALU_DEP_1)
	v_add_nc_u32_e32 v64, s11, v62
	v_add_nc_u32_e32 v66, s11, v64
	s_delay_alu instid0(VALU_DEP_1) | instskip(NEXT) | instid1(VALU_DEP_1)
	v_add_nc_u32_e32 v68, s11, v66
	v_add_nc_u32_e32 v70, s11, v68
	s_delay_alu instid0(VALU_DEP_1) | instskip(NEXT) | instid1(VALU_DEP_1)
	v_add_nc_u32_e32 v72, s11, v70
	v_add_nc_u32_e32 v74, s11, v72
	s_delay_alu instid0(VALU_DEP_1) | instskip(NEXT) | instid1(VALU_DEP_1)
	v_dual_lshlrev_b32 v108, 3, v0 :: v_dual_add_nc_u32 v76, s11, v74
	v_add_nc_u64_e32 v[2:3], s[4:5], v[108:109]
	s_delay_alu instid0(VALU_DEP_2) | instskip(NEXT) | instid1(VALU_DEP_2)
	v_add_nc_u32_e32 v78, s11, v76
	v_lshl_add_u64 v[6:7], s[0:1], 3, v[2:3]
	s_mov_b32 s1, -1
	s_delay_alu instid0(VALU_DEP_2)
	v_add_nc_u32_e32 v80, s11, v78
	s_clause 0x9
	global_load_b64 v[110:111], v0, s[4:5] scale_offset
	global_load_b64 v[112:113], v[6:7], off
	global_load_b64 v[114:115], v4, s[4:5] scale_offset
	global_load_b64 v[116:117], v8, s[4:5] scale_offset
	;; [unrolled: 1-line block ×8, first 2 shown]
	v_add_nc_u32_e32 v82, s11, v80
	s_clause 0xf
	global_load_b64 v[130:131], v22, s[4:5] scale_offset
	global_load_b64 v[132:133], v24, s[4:5] scale_offset
	;; [unrolled: 1-line block ×16, first 2 shown]
	v_add_nc_u32_e32 v84, s11, v82
	s_clause 0xb
	global_load_b64 v[162:163], v54, s[4:5] scale_offset
	global_load_b64 v[164:165], v56, s[4:5] scale_offset
	;; [unrolled: 1-line block ×12, first 2 shown]
	v_add_nc_u32_e32 v86, s11, v84
	s_delay_alu instid0(VALU_DEP_1)
	v_add_nc_u32_e32 v88, s11, v86
	s_clause 0x3
	global_load_b64 v[186:187], v78, s[4:5] scale_offset
	global_load_b64 v[188:189], v80, s[4:5] scale_offset
	;; [unrolled: 1-line block ×4, first 2 shown]
	v_add_nc_u32_e32 v90, s11, v88
	s_delay_alu instid0(VALU_DEP_1) | instskip(NEXT) | instid1(VALU_DEP_1)
	v_add_nc_u32_e32 v92, s11, v90
	v_add_nc_u32_e32 v94, s11, v92
	s_delay_alu instid0(VALU_DEP_1)
	v_add_nc_u32_e32 v96, s11, v94
	s_clause 0x3
	global_load_b64 v[194:195], v86, s[4:5] scale_offset
	global_load_b64 v[196:197], v88, s[4:5] scale_offset
	;; [unrolled: 1-line block ×4, first 2 shown]
	v_add_nc_u32_e32 v98, s11, v96
	s_delay_alu instid0(VALU_DEP_1) | instskip(NEXT) | instid1(VALU_DEP_1)
	v_add_nc_u32_e32 v100, s11, v98
	v_add_nc_u32_e32 v102, s11, v100
	s_delay_alu instid0(VALU_DEP_1)
	v_add_nc_u32_e32 v104, s11, v102
	s_clause 0x3
	global_load_b64 v[202:203], v94, s[4:5] scale_offset
	global_load_b64 v[204:205], v96, s[4:5] scale_offset
	;; [unrolled: 1-line block ×4, first 2 shown]
	v_add_nc_u32_e32 v106, s11, v104
	s_clause 0x2
	global_load_b64 v[210:211], v102, s[4:5] scale_offset
	global_load_b64 v[212:213], v104, s[4:5] scale_offset
	;; [unrolled: 1-line block ×3, first 2 shown]
	s_wait_loadcnt 0x33
	scratch_store_b128 off, v[110:113], off
	s_wait_loadcnt 0x31
	scratch_store_b128 off, v[114:117], off offset:16
	s_wait_loadcnt 0x2f
	scratch_store_b128 off, v[118:121], off offset:32
	s_wait_loadcnt 0x2d
	scratch_store_b128 off, v[122:125], off offset:48
	s_wait_loadcnt 0x2b
	scratch_store_b128 off, v[126:129], off offset:64
	s_wait_loadcnt 0x29
	scratch_store_b128 off, v[130:133], off offset:80
	s_wait_loadcnt 0x27
	scratch_store_b128 off, v[134:137], off offset:96
	s_wait_loadcnt 0x25
	scratch_store_b128 off, v[138:141], off offset:112
	s_wait_loadcnt 0x23
	scratch_store_b128 off, v[142:145], off offset:128
	s_wait_loadcnt 0x21
	scratch_store_b128 off, v[146:149], off offset:144
	s_wait_loadcnt 0x1f
	scratch_store_b128 off, v[150:153], off offset:160
	s_wait_loadcnt 0x1d
	scratch_store_b128 off, v[154:157], off offset:176
	s_wait_loadcnt 0x1b
	scratch_store_b128 off, v[158:161], off offset:192
	s_wait_loadcnt 0x19
	scratch_store_b128 off, v[162:165], off offset:208
	s_wait_loadcnt 0x17
	scratch_store_b128 off, v[166:169], off offset:224
	s_wait_loadcnt 0x15
	scratch_store_b128 off, v[170:173], off offset:240
	s_wait_loadcnt 0x13
	scratch_store_b128 off, v[174:177], off offset:256
	s_wait_loadcnt 0x11
	scratch_store_b128 off, v[178:181], off offset:272
	s_wait_loadcnt 0xf
	scratch_store_b128 off, v[182:185], off offset:288
	s_wait_loadcnt 0xd
	scratch_store_b128 off, v[186:189], off offset:304
	s_wait_loadcnt 0xb
	scratch_store_b128 off, v[190:193], off offset:320
	s_wait_loadcnt 0x9
	scratch_store_b128 off, v[194:197], off offset:336
	s_wait_loadcnt 0x7
	scratch_store_b128 off, v[198:201], off offset:352
	s_wait_loadcnt 0x5
	scratch_store_b128 off, v[202:205], off offset:368
	s_wait_loadcnt 0x3
	scratch_store_b128 off, v[206:209], off offset:384
	s_wait_loadcnt 0x1
	scratch_store_b128 off, v[210:213], off offset:400
	s_wait_loadcnt 0x0
	scratch_store_b64 off, v[214:215], off offset:416
	s_cbranch_scc1 .LBB52_224
; %bb.4:
	v_cmp_eq_u32_e64 s0, 0, v0
	s_wait_xcnt 0x0
	s_and_saveexec_b32 s1, s0
; %bb.5:
	v_mov_b32_e32 v1, 0
	ds_store_b32 v1, v1 offset:424
; %bb.6:
	s_or_b32 exec_lo, exec_lo, s1
	s_wait_storecnt_dscnt 0x0
	s_barrier_signal -1
	s_barrier_wait -1
	scratch_load_b64 v[110:111], v0, off scale_offset
	s_wait_loadcnt 0x0
	v_cmp_eq_f32_e32 vcc_lo, 0, v110
	v_cmp_eq_f32_e64 s1, 0, v111
	s_and_b32 s1, vcc_lo, s1
	s_delay_alu instid0(SALU_CYCLE_1)
	s_and_saveexec_b32 s8, s1
	s_cbranch_execz .LBB52_10
; %bb.7:
	v_mov_b32_e32 v1, 0
	s_mov_b32 s9, 0
	ds_load_b32 v5, v1 offset:424
	s_wait_dscnt 0x0
	v_readfirstlane_b32 s1, v5
	v_add_nc_u32_e32 v5, 1, v0
	s_cmp_eq_u32 s1, 0
	s_delay_alu instid0(VALU_DEP_1) | instskip(SKIP_1) | instid1(SALU_CYCLE_1)
	v_cmp_gt_i32_e32 vcc_lo, s1, v5
	s_cselect_b32 s10, -1, 0
	s_or_b32 s10, s10, vcc_lo
	s_delay_alu instid0(SALU_CYCLE_1)
	s_and_b32 exec_lo, exec_lo, s10
	s_cbranch_execz .LBB52_10
; %bb.8:
	v_mov_b32_e32 v9, s1
.LBB52_9:                               ; =>This Inner Loop Header: Depth=1
	ds_cmpstore_rtn_b32 v9, v1, v5, v9 offset:424
	s_wait_dscnt 0x0
	v_cmp_ne_u32_e32 vcc_lo, 0, v9
	v_cmp_le_i32_e64 s1, v9, v5
	s_and_b32 s1, vcc_lo, s1
	s_delay_alu instid0(SALU_CYCLE_1) | instskip(NEXT) | instid1(SALU_CYCLE_1)
	s_and_b32 s1, exec_lo, s1
	s_or_b32 s9, s1, s9
	s_delay_alu instid0(SALU_CYCLE_1)
	s_and_not1_b32 exec_lo, exec_lo, s9
	s_cbranch_execnz .LBB52_9
.LBB52_10:
	s_or_b32 exec_lo, exec_lo, s8
	v_mov_b32_e32 v1, 0
	s_barrier_signal -1
	s_barrier_wait -1
	ds_load_b32 v5, v1 offset:424
	s_and_saveexec_b32 s1, s0
	s_cbranch_execz .LBB52_12
; %bb.11:
	s_lshl_b64 s[8:9], s[16:17], 2
	s_delay_alu instid0(SALU_CYCLE_1)
	s_add_nc_u64 s[8:9], s[6:7], s[8:9]
	s_wait_dscnt 0x0
	global_store_b32 v1, v5, s[8:9]
.LBB52_12:
	s_wait_xcnt 0x0
	s_or_b32 exec_lo, exec_lo, s1
	s_wait_dscnt 0x0
	v_cmp_ne_u32_e32 vcc_lo, 0, v5
	s_mov_b32 s1, 0
	s_cbranch_vccnz .LBB52_224
; %bb.13:
	v_lshl_add_u32 v5, v0, 3, 0
                                        ; implicit-def: $vgpr113
                                        ; implicit-def: $vgpr114
	scratch_load_b64 v[110:111], v5, off
	s_wait_loadcnt 0x0
	v_cmp_ngt_f32_e64 s1, |v110|, |v111|
	s_wait_xcnt 0x0
	s_and_saveexec_b32 s8, s1
	s_delay_alu instid0(SALU_CYCLE_1)
	s_xor_b32 s1, exec_lo, s8
	s_cbranch_execz .LBB52_15
; %bb.14:
	v_div_scale_f32 v1, null, v111, v111, v110
	v_div_scale_f32 v13, vcc_lo, v110, v111, v110
	s_delay_alu instid0(VALU_DEP_2) | instskip(SKIP_1) | instid1(TRANS32_DEP_1)
	v_rcp_f32_e32 v9, v1
	v_nop
	v_fma_f32 v11, -v1, v9, 1.0
	s_delay_alu instid0(VALU_DEP_1) | instskip(NEXT) | instid1(VALU_DEP_1)
	v_fmac_f32_e32 v9, v11, v9
	v_mul_f32_e32 v11, v13, v9
	s_delay_alu instid0(VALU_DEP_1) | instskip(NEXT) | instid1(VALU_DEP_1)
	v_fma_f32 v15, -v1, v11, v13
	v_fmac_f32_e32 v11, v15, v9
	s_delay_alu instid0(VALU_DEP_1) | instskip(NEXT) | instid1(VALU_DEP_1)
	v_fma_f32 v1, -v1, v11, v13
	v_div_fmas_f32 v1, v1, v9, v11
	s_delay_alu instid0(VALU_DEP_1) | instskip(NEXT) | instid1(VALU_DEP_1)
	v_div_fixup_f32 v1, v1, v111, v110
	v_fmac_f32_e32 v111, v110, v1
	s_delay_alu instid0(VALU_DEP_1) | instskip(NEXT) | instid1(VALU_DEP_1)
	v_div_scale_f32 v9, null, v111, v111, -1.0
	v_rcp_f32_e32 v11, v9
	v_nop
	s_delay_alu instid0(TRANS32_DEP_1) | instskip(NEXT) | instid1(VALU_DEP_1)
	v_fma_f32 v13, -v9, v11, 1.0
	v_fmac_f32_e32 v11, v13, v11
	v_div_scale_f32 v13, vcc_lo, -1.0, v111, -1.0
	s_delay_alu instid0(VALU_DEP_1) | instskip(NEXT) | instid1(VALU_DEP_1)
	v_mul_f32_e32 v15, v13, v11
	v_fma_f32 v17, -v9, v15, v13
	s_delay_alu instid0(VALU_DEP_1) | instskip(NEXT) | instid1(VALU_DEP_1)
	v_fmac_f32_e32 v15, v17, v11
	v_fma_f32 v9, -v9, v15, v13
	s_delay_alu instid0(VALU_DEP_1) | instskip(NEXT) | instid1(VALU_DEP_1)
	v_div_fmas_f32 v9, v9, v11, v15
	v_div_fixup_f32 v113, v9, v111, -1.0
                                        ; implicit-def: $vgpr110_vgpr111
	s_delay_alu instid0(VALU_DEP_1) | instskip(NEXT) | instid1(VALU_DEP_1)
	v_mul_f32_e32 v114, v1, v113
	v_xor_b32_e32 v112, 0x80000000, v114
.LBB52_15:
	s_and_not1_saveexec_b32 s1, s1
	s_cbranch_execz .LBB52_17
; %bb.16:
	v_div_scale_f32 v1, null, v110, v110, v111
	v_div_scale_f32 v13, vcc_lo, v111, v110, v111
	s_delay_alu instid0(VALU_DEP_2) | instskip(SKIP_1) | instid1(TRANS32_DEP_1)
	v_rcp_f32_e32 v9, v1
	v_nop
	v_fma_f32 v11, -v1, v9, 1.0
	s_delay_alu instid0(VALU_DEP_1) | instskip(NEXT) | instid1(VALU_DEP_1)
	v_fmac_f32_e32 v9, v11, v9
	v_mul_f32_e32 v11, v13, v9
	s_delay_alu instid0(VALU_DEP_1) | instskip(NEXT) | instid1(VALU_DEP_1)
	v_fma_f32 v15, -v1, v11, v13
	v_fmac_f32_e32 v11, v15, v9
	s_delay_alu instid0(VALU_DEP_1) | instskip(NEXT) | instid1(VALU_DEP_1)
	v_fma_f32 v1, -v1, v11, v13
	v_div_fmas_f32 v1, v1, v9, v11
	s_delay_alu instid0(VALU_DEP_1) | instskip(NEXT) | instid1(VALU_DEP_1)
	v_div_fixup_f32 v1, v1, v110, v111
	v_fmac_f32_e32 v110, v111, v1
	s_delay_alu instid0(VALU_DEP_1) | instskip(SKIP_1) | instid1(VALU_DEP_2)
	v_div_scale_f32 v9, null, v110, v110, 1.0
	v_div_scale_f32 v15, vcc_lo, 1.0, v110, 1.0
	v_rcp_f32_e32 v11, v9
	v_nop
	s_delay_alu instid0(TRANS32_DEP_1) | instskip(NEXT) | instid1(VALU_DEP_1)
	v_fma_f32 v13, -v9, v11, 1.0
	v_fmac_f32_e32 v11, v13, v11
	s_delay_alu instid0(VALU_DEP_1) | instskip(NEXT) | instid1(VALU_DEP_1)
	v_mul_f32_e32 v13, v15, v11
	v_fma_f32 v17, -v9, v13, v15
	s_delay_alu instid0(VALU_DEP_1) | instskip(NEXT) | instid1(VALU_DEP_1)
	v_fmac_f32_e32 v13, v17, v11
	v_fma_f32 v9, -v9, v13, v15
	s_delay_alu instid0(VALU_DEP_1) | instskip(NEXT) | instid1(VALU_DEP_1)
	v_div_fmas_f32 v9, v9, v11, v13
	v_div_fixup_f32 v112, v9, v110, 1.0
	s_delay_alu instid0(VALU_DEP_1)
	v_xor_b32_e32 v114, 0x80000000, v112
	v_mul_f32_e64 v113, v1, -v112
.LBB52_17:
	s_or_b32 exec_lo, exec_lo, s1
	scratch_store_b64 v5, v[112:113], off
	scratch_load_b64 v[110:111], off, off offset:8
	v_xor_b32_e32 v115, 0x80000000, v113
	v_add_nc_u32_e32 v1, 0x1b0, v108
	s_wait_loadcnt 0x0
	ds_store_2addr_b64 v108, v[114:115], v[110:111] offset1:54
	s_wait_storecnt_dscnt 0x0
	s_barrier_signal -1
	s_barrier_wait -1
	s_wait_xcnt 0x0
	s_and_saveexec_b32 s1, s0
	s_cbranch_execz .LBB52_19
; %bb.18:
	scratch_load_b64 v[110:111], v5, off
	ds_load_b64 v[112:113], v1
	s_wait_loadcnt_dscnt 0x0
	v_pk_mul_f32 v[116:117], v[112:113], v[110:111] op_sel:[1,1] op_sel_hi:[0,1]
	s_delay_alu instid0(VALU_DEP_1) | instskip(SKIP_2) | instid1(VALU_DEP_3)
	v_pk_fma_f32 v[118:119], v[112:113], v[110:111], v[116:117] op_sel_hi:[1,0,1]
	v_mov_b32_e32 v9, 0
	v_pk_fma_f32 v[110:111], v[112:113], v[110:111], v[116:117] neg_lo:[0,0,1] neg_hi:[0,0,1]
	v_mov_b32_e32 v111, v119
	ds_load_b64 v[114:115], v9 offset:8
	v_pk_add_f32 v[110:111], v[110:111], 0 op_sel_hi:[1,0]
	s_wait_dscnt 0x0
	s_delay_alu instid0(VALU_DEP_1) | instskip(NEXT) | instid1(VALU_DEP_1)
	v_pk_mul_f32 v[112:113], v[110:111], v[114:115] op_sel:[1,1] op_sel_hi:[0,1]
	v_pk_fma_f32 v[116:117], v[110:111], v[114:115], v[112:113] op_sel_hi:[1,0,1]
	v_pk_fma_f32 v[110:111], v[110:111], v[114:115], v[112:113] neg_lo:[0,0,1] neg_hi:[0,0,1]
	s_delay_alu instid0(VALU_DEP_2)
	v_mov_b32_e32 v111, v117
	scratch_store_b64 off, v[110:111], off offset:8
.LBB52_19:
	s_wait_xcnt 0x0
	s_or_b32 exec_lo, exec_lo, s1
	s_wait_storecnt 0x0
	s_barrier_signal -1
	s_barrier_wait -1
	scratch_load_b64 v[110:111], off, off offset:16
	s_mov_b32 s1, exec_lo
	s_wait_loadcnt 0x0
	ds_store_b64 v1, v[110:111]
	s_wait_dscnt 0x0
	s_barrier_signal -1
	s_barrier_wait -1
	v_cmpx_gt_u32_e32 2, v0
	s_cbranch_execz .LBB52_23
; %bb.20:
	scratch_load_b64 v[110:111], v5, off
	ds_load_b64 v[112:113], v1
	s_wait_loadcnt_dscnt 0x0
	v_pk_mul_f32 v[114:115], v[112:113], v[110:111] op_sel:[1,1] op_sel_hi:[0,1]
	s_delay_alu instid0(VALU_DEP_1) | instskip(SKIP_1) | instid1(VALU_DEP_2)
	v_pk_fma_f32 v[116:117], v[112:113], v[110:111], v[114:115] op_sel_hi:[1,0,1]
	v_pk_fma_f32 v[110:111], v[112:113], v[110:111], v[114:115] neg_lo:[0,0,1] neg_hi:[0,0,1]
	v_mov_b32_e32 v111, v117
	s_delay_alu instid0(VALU_DEP_1)
	v_pk_add_f32 v[110:111], v[110:111], 0 op_sel_hi:[1,0]
	s_and_saveexec_b32 s8, s0
	s_cbranch_execz .LBB52_22
; %bb.21:
	scratch_load_b64 v[112:113], off, off offset:8
	v_mov_b32_e32 v5, 0
	ds_load_b64 v[114:115], v5 offset:440
	s_wait_loadcnt_dscnt 0x0
	v_pk_mul_f32 v[116:117], v[114:115], v[112:113] op_sel:[1,1] op_sel_hi:[0,1]
	s_delay_alu instid0(VALU_DEP_1) | instskip(SKIP_1) | instid1(VALU_DEP_2)
	v_pk_fma_f32 v[118:119], v[114:115], v[112:113], v[116:117] op_sel_hi:[1,0,1]
	v_pk_fma_f32 v[112:113], v[114:115], v[112:113], v[116:117] neg_lo:[0,0,1] neg_hi:[0,0,1]
	v_mov_b32_e32 v113, v119
	s_delay_alu instid0(VALU_DEP_1)
	v_pk_add_f32 v[110:111], v[110:111], v[112:113]
.LBB52_22:
	s_or_b32 exec_lo, exec_lo, s8
	v_mov_b32_e32 v5, 0
	ds_load_b64 v[112:113], v5 offset:16
	s_wait_dscnt 0x0
	v_pk_mul_f32 v[114:115], v[110:111], v[112:113] op_sel:[1,1] op_sel_hi:[0,1]
	s_delay_alu instid0(VALU_DEP_1) | instskip(SKIP_1) | instid1(VALU_DEP_2)
	v_pk_fma_f32 v[116:117], v[110:111], v[112:113], v[114:115] op_sel_hi:[1,0,1]
	v_pk_fma_f32 v[110:111], v[110:111], v[112:113], v[114:115] neg_lo:[0,0,1] neg_hi:[0,0,1]
	v_mov_b32_e32 v111, v117
	scratch_store_b64 off, v[110:111], off offset:16
.LBB52_23:
	s_wait_xcnt 0x0
	s_or_b32 exec_lo, exec_lo, s1
	s_wait_storecnt 0x0
	s_barrier_signal -1
	s_barrier_wait -1
	scratch_load_b64 v[110:111], off, off offset:24
	v_add_nc_u32_e32 v5, -1, v0
	s_mov_b32 s0, exec_lo
	s_wait_loadcnt 0x0
	ds_store_b64 v1, v[110:111]
	s_wait_dscnt 0x0
	s_barrier_signal -1
	s_barrier_wait -1
	v_cmpx_gt_u32_e32 3, v0
	s_cbranch_execz .LBB52_27
; %bb.24:
	v_dual_mov_b32 v110, 0 :: v_dual_add_nc_u32 v9, -1, v0
	v_add_nc_u32_e32 v11, 0x1b0, v108
	v_mov_b32_e32 v13, v108
	s_mov_b32 s1, 0
	s_delay_alu instid0(VALU_DEP_3)
	v_mov_b32_e32 v111, v110
.LBB52_25:                              ; =>This Inner Loop Header: Depth=1
	scratch_load_b64 v[112:113], v13, off
	ds_load_b64 v[114:115], v11
	s_wait_xcnt 0x0
	v_dual_add_nc_u32 v11, 8, v11 :: v_dual_add_nc_u32 v13, 8, v13
	s_wait_loadcnt_dscnt 0x0
	v_pk_mul_f32 v[116:117], v[114:115], v[112:113] op_sel:[1,1] op_sel_hi:[0,1]
	s_delay_alu instid0(VALU_DEP_1) | instskip(SKIP_2) | instid1(VALU_DEP_3)
	v_pk_fma_f32 v[118:119], v[114:115], v[112:113], v[116:117] op_sel_hi:[1,0,1]
	v_add_nc_u32_e32 v9, 1, v9
	v_pk_fma_f32 v[112:113], v[114:115], v[112:113], v[116:117] neg_lo:[0,0,1] neg_hi:[0,0,1]
	v_mov_b32_e32 v113, v119
	s_delay_alu instid0(VALU_DEP_3) | instskip(NEXT) | instid1(VALU_DEP_2)
	v_cmp_lt_u32_e32 vcc_lo, 1, v9
	v_pk_add_f32 v[110:111], v[110:111], v[112:113]
	s_or_b32 s1, vcc_lo, s1
	s_delay_alu instid0(SALU_CYCLE_1)
	s_and_not1_b32 exec_lo, exec_lo, s1
	s_cbranch_execnz .LBB52_25
; %bb.26:
	s_or_b32 exec_lo, exec_lo, s1
	v_mov_b32_e32 v9, 0
	ds_load_b64 v[112:113], v9 offset:24
	s_wait_dscnt 0x0
	v_pk_mul_f32 v[114:115], v[110:111], v[112:113] op_sel:[1,1] op_sel_hi:[0,1]
	s_delay_alu instid0(VALU_DEP_1) | instskip(SKIP_1) | instid1(VALU_DEP_2)
	v_pk_fma_f32 v[116:117], v[110:111], v[112:113], v[114:115] op_sel_hi:[1,0,1]
	v_pk_fma_f32 v[110:111], v[110:111], v[112:113], v[114:115] neg_lo:[0,0,1] neg_hi:[0,0,1]
	v_mov_b32_e32 v111, v117
	scratch_store_b64 off, v[110:111], off offset:24
.LBB52_27:
	s_wait_xcnt 0x0
	s_or_b32 exec_lo, exec_lo, s0
	s_wait_storecnt 0x0
	s_barrier_signal -1
	s_barrier_wait -1
	scratch_load_b64 v[110:111], off, off offset:32
	s_mov_b32 s0, exec_lo
	s_wait_loadcnt 0x0
	ds_store_b64 v1, v[110:111]
	s_wait_dscnt 0x0
	s_barrier_signal -1
	s_barrier_wait -1
	v_cmpx_gt_u32_e32 4, v0
	s_cbranch_execz .LBB52_31
; %bb.28:
	v_dual_mov_b32 v110, 0 :: v_dual_add_nc_u32 v9, -1, v0
	v_add_nc_u32_e32 v11, 0x1b0, v108
	v_mov_b32_e32 v13, v108
	s_mov_b32 s1, 0
	s_delay_alu instid0(VALU_DEP_3)
	v_mov_b32_e32 v111, v110
.LBB52_29:                              ; =>This Inner Loop Header: Depth=1
	scratch_load_b64 v[112:113], v13, off
	ds_load_b64 v[114:115], v11
	s_wait_xcnt 0x0
	v_dual_add_nc_u32 v11, 8, v11 :: v_dual_add_nc_u32 v13, 8, v13
	s_wait_loadcnt_dscnt 0x0
	v_pk_mul_f32 v[116:117], v[114:115], v[112:113] op_sel:[1,1] op_sel_hi:[0,1]
	s_delay_alu instid0(VALU_DEP_1) | instskip(SKIP_2) | instid1(VALU_DEP_3)
	v_pk_fma_f32 v[118:119], v[114:115], v[112:113], v[116:117] op_sel_hi:[1,0,1]
	v_add_nc_u32_e32 v9, 1, v9
	v_pk_fma_f32 v[112:113], v[114:115], v[112:113], v[116:117] neg_lo:[0,0,1] neg_hi:[0,0,1]
	v_mov_b32_e32 v113, v119
	s_delay_alu instid0(VALU_DEP_3) | instskip(NEXT) | instid1(VALU_DEP_2)
	v_cmp_lt_u32_e32 vcc_lo, 2, v9
	v_pk_add_f32 v[110:111], v[110:111], v[112:113]
	s_or_b32 s1, vcc_lo, s1
	s_delay_alu instid0(SALU_CYCLE_1)
	s_and_not1_b32 exec_lo, exec_lo, s1
	s_cbranch_execnz .LBB52_29
; %bb.30:
	s_or_b32 exec_lo, exec_lo, s1
	v_mov_b32_e32 v9, 0
	ds_load_b64 v[112:113], v9 offset:32
	s_wait_dscnt 0x0
	v_pk_mul_f32 v[114:115], v[110:111], v[112:113] op_sel:[1,1] op_sel_hi:[0,1]
	s_delay_alu instid0(VALU_DEP_1) | instskip(SKIP_1) | instid1(VALU_DEP_2)
	v_pk_fma_f32 v[116:117], v[110:111], v[112:113], v[114:115] op_sel_hi:[1,0,1]
	v_pk_fma_f32 v[110:111], v[110:111], v[112:113], v[114:115] neg_lo:[0,0,1] neg_hi:[0,0,1]
	v_mov_b32_e32 v111, v117
	scratch_store_b64 off, v[110:111], off offset:32
.LBB52_31:
	s_wait_xcnt 0x0
	s_or_b32 exec_lo, exec_lo, s0
	s_wait_storecnt 0x0
	s_barrier_signal -1
	s_barrier_wait -1
	scratch_load_b64 v[110:111], off, off offset:40
	s_mov_b32 s0, exec_lo
	s_wait_loadcnt 0x0
	ds_store_b64 v1, v[110:111]
	s_wait_dscnt 0x0
	s_barrier_signal -1
	s_barrier_wait -1
	v_cmpx_gt_u32_e32 5, v0
	s_cbranch_execz .LBB52_35
; %bb.32:
	v_dual_mov_b32 v110, 0 :: v_dual_add_nc_u32 v9, -1, v0
	v_add_nc_u32_e32 v11, 0x1b0, v108
	v_mov_b32_e32 v13, v108
	s_mov_b32 s1, 0
	s_delay_alu instid0(VALU_DEP_3)
	v_mov_b32_e32 v111, v110
.LBB52_33:                              ; =>This Inner Loop Header: Depth=1
	scratch_load_b64 v[112:113], v13, off
	ds_load_b64 v[114:115], v11
	s_wait_xcnt 0x0
	v_dual_add_nc_u32 v11, 8, v11 :: v_dual_add_nc_u32 v13, 8, v13
	s_wait_loadcnt_dscnt 0x0
	v_pk_mul_f32 v[116:117], v[114:115], v[112:113] op_sel:[1,1] op_sel_hi:[0,1]
	s_delay_alu instid0(VALU_DEP_1) | instskip(SKIP_2) | instid1(VALU_DEP_3)
	v_pk_fma_f32 v[118:119], v[114:115], v[112:113], v[116:117] op_sel_hi:[1,0,1]
	v_add_nc_u32_e32 v9, 1, v9
	v_pk_fma_f32 v[112:113], v[114:115], v[112:113], v[116:117] neg_lo:[0,0,1] neg_hi:[0,0,1]
	v_mov_b32_e32 v113, v119
	s_delay_alu instid0(VALU_DEP_3) | instskip(NEXT) | instid1(VALU_DEP_2)
	v_cmp_lt_u32_e32 vcc_lo, 3, v9
	v_pk_add_f32 v[110:111], v[110:111], v[112:113]
	s_or_b32 s1, vcc_lo, s1
	s_delay_alu instid0(SALU_CYCLE_1)
	s_and_not1_b32 exec_lo, exec_lo, s1
	s_cbranch_execnz .LBB52_33
; %bb.34:
	s_or_b32 exec_lo, exec_lo, s1
	v_mov_b32_e32 v9, 0
	ds_load_b64 v[112:113], v9 offset:40
	s_wait_dscnt 0x0
	v_pk_mul_f32 v[114:115], v[110:111], v[112:113] op_sel:[1,1] op_sel_hi:[0,1]
	s_delay_alu instid0(VALU_DEP_1) | instskip(SKIP_1) | instid1(VALU_DEP_2)
	v_pk_fma_f32 v[116:117], v[110:111], v[112:113], v[114:115] op_sel_hi:[1,0,1]
	v_pk_fma_f32 v[110:111], v[110:111], v[112:113], v[114:115] neg_lo:[0,0,1] neg_hi:[0,0,1]
	v_mov_b32_e32 v111, v117
	scratch_store_b64 off, v[110:111], off offset:40
.LBB52_35:
	s_wait_xcnt 0x0
	s_or_b32 exec_lo, exec_lo, s0
	s_wait_storecnt 0x0
	s_barrier_signal -1
	s_barrier_wait -1
	scratch_load_b64 v[110:111], off, off offset:48
	s_mov_b32 s0, exec_lo
	s_wait_loadcnt 0x0
	ds_store_b64 v1, v[110:111]
	s_wait_dscnt 0x0
	s_barrier_signal -1
	s_barrier_wait -1
	v_cmpx_gt_u32_e32 6, v0
	s_cbranch_execz .LBB52_39
; %bb.36:
	v_dual_mov_b32 v110, 0 :: v_dual_add_nc_u32 v9, -1, v0
	v_add_nc_u32_e32 v11, 0x1b0, v108
	v_mov_b32_e32 v13, v108
	s_mov_b32 s1, 0
	s_delay_alu instid0(VALU_DEP_3)
	v_mov_b32_e32 v111, v110
.LBB52_37:                              ; =>This Inner Loop Header: Depth=1
	scratch_load_b64 v[112:113], v13, off
	ds_load_b64 v[114:115], v11
	s_wait_xcnt 0x0
	v_dual_add_nc_u32 v11, 8, v11 :: v_dual_add_nc_u32 v13, 8, v13
	s_wait_loadcnt_dscnt 0x0
	v_pk_mul_f32 v[116:117], v[114:115], v[112:113] op_sel:[1,1] op_sel_hi:[0,1]
	s_delay_alu instid0(VALU_DEP_1) | instskip(SKIP_2) | instid1(VALU_DEP_3)
	v_pk_fma_f32 v[118:119], v[114:115], v[112:113], v[116:117] op_sel_hi:[1,0,1]
	v_add_nc_u32_e32 v9, 1, v9
	v_pk_fma_f32 v[112:113], v[114:115], v[112:113], v[116:117] neg_lo:[0,0,1] neg_hi:[0,0,1]
	v_mov_b32_e32 v113, v119
	s_delay_alu instid0(VALU_DEP_3) | instskip(NEXT) | instid1(VALU_DEP_2)
	v_cmp_lt_u32_e32 vcc_lo, 4, v9
	v_pk_add_f32 v[110:111], v[110:111], v[112:113]
	s_or_b32 s1, vcc_lo, s1
	s_delay_alu instid0(SALU_CYCLE_1)
	s_and_not1_b32 exec_lo, exec_lo, s1
	s_cbranch_execnz .LBB52_37
; %bb.38:
	s_or_b32 exec_lo, exec_lo, s1
	v_mov_b32_e32 v9, 0
	ds_load_b64 v[112:113], v9 offset:48
	s_wait_dscnt 0x0
	v_pk_mul_f32 v[114:115], v[110:111], v[112:113] op_sel:[1,1] op_sel_hi:[0,1]
	s_delay_alu instid0(VALU_DEP_1) | instskip(SKIP_1) | instid1(VALU_DEP_2)
	v_pk_fma_f32 v[116:117], v[110:111], v[112:113], v[114:115] op_sel_hi:[1,0,1]
	v_pk_fma_f32 v[110:111], v[110:111], v[112:113], v[114:115] neg_lo:[0,0,1] neg_hi:[0,0,1]
	v_mov_b32_e32 v111, v117
	scratch_store_b64 off, v[110:111], off offset:48
.LBB52_39:
	s_wait_xcnt 0x0
	s_or_b32 exec_lo, exec_lo, s0
	s_wait_storecnt 0x0
	s_barrier_signal -1
	s_barrier_wait -1
	scratch_load_b64 v[110:111], off, off offset:56
	s_mov_b32 s0, exec_lo
	s_wait_loadcnt 0x0
	ds_store_b64 v1, v[110:111]
	s_wait_dscnt 0x0
	s_barrier_signal -1
	s_barrier_wait -1
	v_cmpx_gt_u32_e32 7, v0
	s_cbranch_execz .LBB52_43
; %bb.40:
	v_dual_mov_b32 v110, 0 :: v_dual_add_nc_u32 v9, -1, v0
	v_add_nc_u32_e32 v11, 0x1b0, v108
	v_mov_b32_e32 v13, v108
	s_mov_b32 s1, 0
	s_delay_alu instid0(VALU_DEP_3)
	v_mov_b32_e32 v111, v110
.LBB52_41:                              ; =>This Inner Loop Header: Depth=1
	scratch_load_b64 v[112:113], v13, off
	ds_load_b64 v[114:115], v11
	s_wait_xcnt 0x0
	v_dual_add_nc_u32 v11, 8, v11 :: v_dual_add_nc_u32 v13, 8, v13
	s_wait_loadcnt_dscnt 0x0
	v_pk_mul_f32 v[116:117], v[114:115], v[112:113] op_sel:[1,1] op_sel_hi:[0,1]
	s_delay_alu instid0(VALU_DEP_1) | instskip(SKIP_2) | instid1(VALU_DEP_3)
	v_pk_fma_f32 v[118:119], v[114:115], v[112:113], v[116:117] op_sel_hi:[1,0,1]
	v_add_nc_u32_e32 v9, 1, v9
	v_pk_fma_f32 v[112:113], v[114:115], v[112:113], v[116:117] neg_lo:[0,0,1] neg_hi:[0,0,1]
	v_mov_b32_e32 v113, v119
	s_delay_alu instid0(VALU_DEP_3) | instskip(NEXT) | instid1(VALU_DEP_2)
	v_cmp_lt_u32_e32 vcc_lo, 5, v9
	v_pk_add_f32 v[110:111], v[110:111], v[112:113]
	s_or_b32 s1, vcc_lo, s1
	s_delay_alu instid0(SALU_CYCLE_1)
	s_and_not1_b32 exec_lo, exec_lo, s1
	s_cbranch_execnz .LBB52_41
; %bb.42:
	s_or_b32 exec_lo, exec_lo, s1
	v_mov_b32_e32 v9, 0
	ds_load_b64 v[112:113], v9 offset:56
	s_wait_dscnt 0x0
	v_pk_mul_f32 v[114:115], v[110:111], v[112:113] op_sel:[1,1] op_sel_hi:[0,1]
	s_delay_alu instid0(VALU_DEP_1) | instskip(SKIP_1) | instid1(VALU_DEP_2)
	v_pk_fma_f32 v[116:117], v[110:111], v[112:113], v[114:115] op_sel_hi:[1,0,1]
	v_pk_fma_f32 v[110:111], v[110:111], v[112:113], v[114:115] neg_lo:[0,0,1] neg_hi:[0,0,1]
	v_mov_b32_e32 v111, v117
	scratch_store_b64 off, v[110:111], off offset:56
.LBB52_43:
	s_wait_xcnt 0x0
	s_or_b32 exec_lo, exec_lo, s0
	s_wait_storecnt 0x0
	s_barrier_signal -1
	s_barrier_wait -1
	scratch_load_b64 v[110:111], off, off offset:64
	s_mov_b32 s0, exec_lo
	s_wait_loadcnt 0x0
	ds_store_b64 v1, v[110:111]
	s_wait_dscnt 0x0
	s_barrier_signal -1
	s_barrier_wait -1
	v_cmpx_gt_u32_e32 8, v0
	s_cbranch_execz .LBB52_47
; %bb.44:
	v_dual_mov_b32 v110, 0 :: v_dual_add_nc_u32 v9, -1, v0
	v_add_nc_u32_e32 v11, 0x1b0, v108
	v_mov_b32_e32 v13, v108
	s_mov_b32 s1, 0
	s_delay_alu instid0(VALU_DEP_3)
	v_mov_b32_e32 v111, v110
.LBB52_45:                              ; =>This Inner Loop Header: Depth=1
	scratch_load_b64 v[112:113], v13, off
	ds_load_b64 v[114:115], v11
	s_wait_xcnt 0x0
	v_dual_add_nc_u32 v11, 8, v11 :: v_dual_add_nc_u32 v13, 8, v13
	s_wait_loadcnt_dscnt 0x0
	v_pk_mul_f32 v[116:117], v[114:115], v[112:113] op_sel:[1,1] op_sel_hi:[0,1]
	s_delay_alu instid0(VALU_DEP_1) | instskip(SKIP_2) | instid1(VALU_DEP_3)
	v_pk_fma_f32 v[118:119], v[114:115], v[112:113], v[116:117] op_sel_hi:[1,0,1]
	v_add_nc_u32_e32 v9, 1, v9
	v_pk_fma_f32 v[112:113], v[114:115], v[112:113], v[116:117] neg_lo:[0,0,1] neg_hi:[0,0,1]
	v_mov_b32_e32 v113, v119
	s_delay_alu instid0(VALU_DEP_3) | instskip(NEXT) | instid1(VALU_DEP_2)
	v_cmp_lt_u32_e32 vcc_lo, 6, v9
	v_pk_add_f32 v[110:111], v[110:111], v[112:113]
	s_or_b32 s1, vcc_lo, s1
	s_delay_alu instid0(SALU_CYCLE_1)
	s_and_not1_b32 exec_lo, exec_lo, s1
	s_cbranch_execnz .LBB52_45
; %bb.46:
	s_or_b32 exec_lo, exec_lo, s1
	v_mov_b32_e32 v9, 0
	ds_load_b64 v[112:113], v9 offset:64
	s_wait_dscnt 0x0
	v_pk_mul_f32 v[114:115], v[110:111], v[112:113] op_sel:[1,1] op_sel_hi:[0,1]
	s_delay_alu instid0(VALU_DEP_1) | instskip(SKIP_1) | instid1(VALU_DEP_2)
	v_pk_fma_f32 v[116:117], v[110:111], v[112:113], v[114:115] op_sel_hi:[1,0,1]
	v_pk_fma_f32 v[110:111], v[110:111], v[112:113], v[114:115] neg_lo:[0,0,1] neg_hi:[0,0,1]
	v_mov_b32_e32 v111, v117
	scratch_store_b64 off, v[110:111], off offset:64
.LBB52_47:
	s_wait_xcnt 0x0
	s_or_b32 exec_lo, exec_lo, s0
	s_wait_storecnt 0x0
	s_barrier_signal -1
	s_barrier_wait -1
	scratch_load_b64 v[110:111], off, off offset:72
	s_mov_b32 s0, exec_lo
	s_wait_loadcnt 0x0
	ds_store_b64 v1, v[110:111]
	s_wait_dscnt 0x0
	s_barrier_signal -1
	s_barrier_wait -1
	v_cmpx_gt_u32_e32 9, v0
	s_cbranch_execz .LBB52_51
; %bb.48:
	v_dual_mov_b32 v110, 0 :: v_dual_add_nc_u32 v9, -1, v0
	v_add_nc_u32_e32 v11, 0x1b0, v108
	v_mov_b32_e32 v13, v108
	s_mov_b32 s1, 0
	s_delay_alu instid0(VALU_DEP_3)
	v_mov_b32_e32 v111, v110
.LBB52_49:                              ; =>This Inner Loop Header: Depth=1
	scratch_load_b64 v[112:113], v13, off
	ds_load_b64 v[114:115], v11
	s_wait_xcnt 0x0
	v_dual_add_nc_u32 v11, 8, v11 :: v_dual_add_nc_u32 v13, 8, v13
	s_wait_loadcnt_dscnt 0x0
	v_pk_mul_f32 v[116:117], v[114:115], v[112:113] op_sel:[1,1] op_sel_hi:[0,1]
	s_delay_alu instid0(VALU_DEP_1) | instskip(SKIP_2) | instid1(VALU_DEP_3)
	v_pk_fma_f32 v[118:119], v[114:115], v[112:113], v[116:117] op_sel_hi:[1,0,1]
	v_add_nc_u32_e32 v9, 1, v9
	v_pk_fma_f32 v[112:113], v[114:115], v[112:113], v[116:117] neg_lo:[0,0,1] neg_hi:[0,0,1]
	v_mov_b32_e32 v113, v119
	s_delay_alu instid0(VALU_DEP_3) | instskip(NEXT) | instid1(VALU_DEP_2)
	v_cmp_lt_u32_e32 vcc_lo, 7, v9
	v_pk_add_f32 v[110:111], v[110:111], v[112:113]
	s_or_b32 s1, vcc_lo, s1
	s_delay_alu instid0(SALU_CYCLE_1)
	s_and_not1_b32 exec_lo, exec_lo, s1
	s_cbranch_execnz .LBB52_49
; %bb.50:
	s_or_b32 exec_lo, exec_lo, s1
	v_mov_b32_e32 v9, 0
	ds_load_b64 v[112:113], v9 offset:72
	s_wait_dscnt 0x0
	v_pk_mul_f32 v[114:115], v[110:111], v[112:113] op_sel:[1,1] op_sel_hi:[0,1]
	s_delay_alu instid0(VALU_DEP_1) | instskip(SKIP_1) | instid1(VALU_DEP_2)
	v_pk_fma_f32 v[116:117], v[110:111], v[112:113], v[114:115] op_sel_hi:[1,0,1]
	v_pk_fma_f32 v[110:111], v[110:111], v[112:113], v[114:115] neg_lo:[0,0,1] neg_hi:[0,0,1]
	v_mov_b32_e32 v111, v117
	scratch_store_b64 off, v[110:111], off offset:72
.LBB52_51:
	s_wait_xcnt 0x0
	s_or_b32 exec_lo, exec_lo, s0
	s_wait_storecnt 0x0
	s_barrier_signal -1
	s_barrier_wait -1
	scratch_load_b64 v[110:111], off, off offset:80
	s_mov_b32 s0, exec_lo
	s_wait_loadcnt 0x0
	ds_store_b64 v1, v[110:111]
	s_wait_dscnt 0x0
	s_barrier_signal -1
	s_barrier_wait -1
	v_cmpx_gt_u32_e32 10, v0
	s_cbranch_execz .LBB52_55
; %bb.52:
	v_dual_mov_b32 v110, 0 :: v_dual_add_nc_u32 v9, -1, v0
	v_add_nc_u32_e32 v11, 0x1b0, v108
	v_mov_b32_e32 v13, v108
	s_mov_b32 s1, 0
	s_delay_alu instid0(VALU_DEP_3)
	v_mov_b32_e32 v111, v110
.LBB52_53:                              ; =>This Inner Loop Header: Depth=1
	scratch_load_b64 v[112:113], v13, off
	ds_load_b64 v[114:115], v11
	s_wait_xcnt 0x0
	v_dual_add_nc_u32 v11, 8, v11 :: v_dual_add_nc_u32 v13, 8, v13
	s_wait_loadcnt_dscnt 0x0
	v_pk_mul_f32 v[116:117], v[114:115], v[112:113] op_sel:[1,1] op_sel_hi:[0,1]
	s_delay_alu instid0(VALU_DEP_1) | instskip(SKIP_2) | instid1(VALU_DEP_3)
	v_pk_fma_f32 v[118:119], v[114:115], v[112:113], v[116:117] op_sel_hi:[1,0,1]
	v_add_nc_u32_e32 v9, 1, v9
	v_pk_fma_f32 v[112:113], v[114:115], v[112:113], v[116:117] neg_lo:[0,0,1] neg_hi:[0,0,1]
	v_mov_b32_e32 v113, v119
	s_delay_alu instid0(VALU_DEP_3) | instskip(NEXT) | instid1(VALU_DEP_2)
	v_cmp_lt_u32_e32 vcc_lo, 8, v9
	v_pk_add_f32 v[110:111], v[110:111], v[112:113]
	s_or_b32 s1, vcc_lo, s1
	s_delay_alu instid0(SALU_CYCLE_1)
	s_and_not1_b32 exec_lo, exec_lo, s1
	s_cbranch_execnz .LBB52_53
; %bb.54:
	s_or_b32 exec_lo, exec_lo, s1
	v_mov_b32_e32 v9, 0
	ds_load_b64 v[112:113], v9 offset:80
	s_wait_dscnt 0x0
	v_pk_mul_f32 v[114:115], v[110:111], v[112:113] op_sel:[1,1] op_sel_hi:[0,1]
	s_delay_alu instid0(VALU_DEP_1) | instskip(SKIP_1) | instid1(VALU_DEP_2)
	v_pk_fma_f32 v[116:117], v[110:111], v[112:113], v[114:115] op_sel_hi:[1,0,1]
	v_pk_fma_f32 v[110:111], v[110:111], v[112:113], v[114:115] neg_lo:[0,0,1] neg_hi:[0,0,1]
	v_mov_b32_e32 v111, v117
	scratch_store_b64 off, v[110:111], off offset:80
.LBB52_55:
	s_wait_xcnt 0x0
	s_or_b32 exec_lo, exec_lo, s0
	s_wait_storecnt 0x0
	s_barrier_signal -1
	s_barrier_wait -1
	scratch_load_b64 v[110:111], off, off offset:88
	s_mov_b32 s0, exec_lo
	s_wait_loadcnt 0x0
	ds_store_b64 v1, v[110:111]
	s_wait_dscnt 0x0
	s_barrier_signal -1
	s_barrier_wait -1
	v_cmpx_gt_u32_e32 11, v0
	s_cbranch_execz .LBB52_59
; %bb.56:
	v_dual_mov_b32 v110, 0 :: v_dual_add_nc_u32 v9, -1, v0
	v_add_nc_u32_e32 v11, 0x1b0, v108
	v_mov_b32_e32 v13, v108
	s_mov_b32 s1, 0
	s_delay_alu instid0(VALU_DEP_3)
	v_mov_b32_e32 v111, v110
.LBB52_57:                              ; =>This Inner Loop Header: Depth=1
	scratch_load_b64 v[112:113], v13, off
	ds_load_b64 v[114:115], v11
	s_wait_xcnt 0x0
	v_dual_add_nc_u32 v11, 8, v11 :: v_dual_add_nc_u32 v13, 8, v13
	s_wait_loadcnt_dscnt 0x0
	v_pk_mul_f32 v[116:117], v[114:115], v[112:113] op_sel:[1,1] op_sel_hi:[0,1]
	s_delay_alu instid0(VALU_DEP_1) | instskip(SKIP_2) | instid1(VALU_DEP_3)
	v_pk_fma_f32 v[118:119], v[114:115], v[112:113], v[116:117] op_sel_hi:[1,0,1]
	v_add_nc_u32_e32 v9, 1, v9
	v_pk_fma_f32 v[112:113], v[114:115], v[112:113], v[116:117] neg_lo:[0,0,1] neg_hi:[0,0,1]
	v_mov_b32_e32 v113, v119
	s_delay_alu instid0(VALU_DEP_3) | instskip(NEXT) | instid1(VALU_DEP_2)
	v_cmp_lt_u32_e32 vcc_lo, 9, v9
	v_pk_add_f32 v[110:111], v[110:111], v[112:113]
	s_or_b32 s1, vcc_lo, s1
	s_delay_alu instid0(SALU_CYCLE_1)
	s_and_not1_b32 exec_lo, exec_lo, s1
	s_cbranch_execnz .LBB52_57
; %bb.58:
	s_or_b32 exec_lo, exec_lo, s1
	v_mov_b32_e32 v9, 0
	ds_load_b64 v[112:113], v9 offset:88
	s_wait_dscnt 0x0
	v_pk_mul_f32 v[114:115], v[110:111], v[112:113] op_sel:[1,1] op_sel_hi:[0,1]
	s_delay_alu instid0(VALU_DEP_1) | instskip(SKIP_1) | instid1(VALU_DEP_2)
	v_pk_fma_f32 v[116:117], v[110:111], v[112:113], v[114:115] op_sel_hi:[1,0,1]
	v_pk_fma_f32 v[110:111], v[110:111], v[112:113], v[114:115] neg_lo:[0,0,1] neg_hi:[0,0,1]
	v_mov_b32_e32 v111, v117
	scratch_store_b64 off, v[110:111], off offset:88
.LBB52_59:
	s_wait_xcnt 0x0
	s_or_b32 exec_lo, exec_lo, s0
	s_wait_storecnt 0x0
	s_barrier_signal -1
	s_barrier_wait -1
	scratch_load_b64 v[110:111], off, off offset:96
	s_mov_b32 s0, exec_lo
	s_wait_loadcnt 0x0
	ds_store_b64 v1, v[110:111]
	s_wait_dscnt 0x0
	s_barrier_signal -1
	s_barrier_wait -1
	v_cmpx_gt_u32_e32 12, v0
	s_cbranch_execz .LBB52_63
; %bb.60:
	v_dual_mov_b32 v110, 0 :: v_dual_add_nc_u32 v9, -1, v0
	v_add_nc_u32_e32 v11, 0x1b0, v108
	v_mov_b32_e32 v13, v108
	s_mov_b32 s1, 0
	s_delay_alu instid0(VALU_DEP_3)
	v_mov_b32_e32 v111, v110
.LBB52_61:                              ; =>This Inner Loop Header: Depth=1
	scratch_load_b64 v[112:113], v13, off
	ds_load_b64 v[114:115], v11
	s_wait_xcnt 0x0
	v_dual_add_nc_u32 v11, 8, v11 :: v_dual_add_nc_u32 v13, 8, v13
	s_wait_loadcnt_dscnt 0x0
	v_pk_mul_f32 v[116:117], v[114:115], v[112:113] op_sel:[1,1] op_sel_hi:[0,1]
	s_delay_alu instid0(VALU_DEP_1) | instskip(SKIP_2) | instid1(VALU_DEP_3)
	v_pk_fma_f32 v[118:119], v[114:115], v[112:113], v[116:117] op_sel_hi:[1,0,1]
	v_add_nc_u32_e32 v9, 1, v9
	v_pk_fma_f32 v[112:113], v[114:115], v[112:113], v[116:117] neg_lo:[0,0,1] neg_hi:[0,0,1]
	v_mov_b32_e32 v113, v119
	s_delay_alu instid0(VALU_DEP_3) | instskip(NEXT) | instid1(VALU_DEP_2)
	v_cmp_lt_u32_e32 vcc_lo, 10, v9
	v_pk_add_f32 v[110:111], v[110:111], v[112:113]
	s_or_b32 s1, vcc_lo, s1
	s_delay_alu instid0(SALU_CYCLE_1)
	s_and_not1_b32 exec_lo, exec_lo, s1
	s_cbranch_execnz .LBB52_61
; %bb.62:
	s_or_b32 exec_lo, exec_lo, s1
	v_mov_b32_e32 v9, 0
	ds_load_b64 v[112:113], v9 offset:96
	s_wait_dscnt 0x0
	v_pk_mul_f32 v[114:115], v[110:111], v[112:113] op_sel:[1,1] op_sel_hi:[0,1]
	s_delay_alu instid0(VALU_DEP_1) | instskip(SKIP_1) | instid1(VALU_DEP_2)
	v_pk_fma_f32 v[116:117], v[110:111], v[112:113], v[114:115] op_sel_hi:[1,0,1]
	v_pk_fma_f32 v[110:111], v[110:111], v[112:113], v[114:115] neg_lo:[0,0,1] neg_hi:[0,0,1]
	v_mov_b32_e32 v111, v117
	scratch_store_b64 off, v[110:111], off offset:96
.LBB52_63:
	s_wait_xcnt 0x0
	s_or_b32 exec_lo, exec_lo, s0
	s_wait_storecnt 0x0
	s_barrier_signal -1
	s_barrier_wait -1
	scratch_load_b64 v[110:111], off, off offset:104
	s_mov_b32 s0, exec_lo
	s_wait_loadcnt 0x0
	ds_store_b64 v1, v[110:111]
	s_wait_dscnt 0x0
	s_barrier_signal -1
	s_barrier_wait -1
	v_cmpx_gt_u32_e32 13, v0
	s_cbranch_execz .LBB52_67
; %bb.64:
	v_dual_mov_b32 v110, 0 :: v_dual_add_nc_u32 v9, -1, v0
	v_add_nc_u32_e32 v11, 0x1b0, v108
	v_mov_b32_e32 v13, v108
	s_mov_b32 s1, 0
	s_delay_alu instid0(VALU_DEP_3)
	v_mov_b32_e32 v111, v110
.LBB52_65:                              ; =>This Inner Loop Header: Depth=1
	scratch_load_b64 v[112:113], v13, off
	ds_load_b64 v[114:115], v11
	s_wait_xcnt 0x0
	v_dual_add_nc_u32 v11, 8, v11 :: v_dual_add_nc_u32 v13, 8, v13
	s_wait_loadcnt_dscnt 0x0
	v_pk_mul_f32 v[116:117], v[114:115], v[112:113] op_sel:[1,1] op_sel_hi:[0,1]
	s_delay_alu instid0(VALU_DEP_1) | instskip(SKIP_2) | instid1(VALU_DEP_3)
	v_pk_fma_f32 v[118:119], v[114:115], v[112:113], v[116:117] op_sel_hi:[1,0,1]
	v_add_nc_u32_e32 v9, 1, v9
	v_pk_fma_f32 v[112:113], v[114:115], v[112:113], v[116:117] neg_lo:[0,0,1] neg_hi:[0,0,1]
	v_mov_b32_e32 v113, v119
	s_delay_alu instid0(VALU_DEP_3) | instskip(NEXT) | instid1(VALU_DEP_2)
	v_cmp_lt_u32_e32 vcc_lo, 11, v9
	v_pk_add_f32 v[110:111], v[110:111], v[112:113]
	s_or_b32 s1, vcc_lo, s1
	s_delay_alu instid0(SALU_CYCLE_1)
	s_and_not1_b32 exec_lo, exec_lo, s1
	s_cbranch_execnz .LBB52_65
; %bb.66:
	s_or_b32 exec_lo, exec_lo, s1
	v_mov_b32_e32 v9, 0
	ds_load_b64 v[112:113], v9 offset:104
	s_wait_dscnt 0x0
	v_pk_mul_f32 v[114:115], v[110:111], v[112:113] op_sel:[1,1] op_sel_hi:[0,1]
	s_delay_alu instid0(VALU_DEP_1) | instskip(SKIP_1) | instid1(VALU_DEP_2)
	v_pk_fma_f32 v[116:117], v[110:111], v[112:113], v[114:115] op_sel_hi:[1,0,1]
	v_pk_fma_f32 v[110:111], v[110:111], v[112:113], v[114:115] neg_lo:[0,0,1] neg_hi:[0,0,1]
	v_mov_b32_e32 v111, v117
	scratch_store_b64 off, v[110:111], off offset:104
.LBB52_67:
	s_wait_xcnt 0x0
	s_or_b32 exec_lo, exec_lo, s0
	s_wait_storecnt 0x0
	s_barrier_signal -1
	s_barrier_wait -1
	scratch_load_b64 v[110:111], off, off offset:112
	s_mov_b32 s0, exec_lo
	s_wait_loadcnt 0x0
	ds_store_b64 v1, v[110:111]
	s_wait_dscnt 0x0
	s_barrier_signal -1
	s_barrier_wait -1
	v_cmpx_gt_u32_e32 14, v0
	s_cbranch_execz .LBB52_71
; %bb.68:
	v_dual_mov_b32 v110, 0 :: v_dual_add_nc_u32 v9, -1, v0
	v_add_nc_u32_e32 v11, 0x1b0, v108
	v_mov_b32_e32 v13, v108
	s_mov_b32 s1, 0
	s_delay_alu instid0(VALU_DEP_3)
	v_mov_b32_e32 v111, v110
.LBB52_69:                              ; =>This Inner Loop Header: Depth=1
	scratch_load_b64 v[112:113], v13, off
	ds_load_b64 v[114:115], v11
	s_wait_xcnt 0x0
	v_dual_add_nc_u32 v11, 8, v11 :: v_dual_add_nc_u32 v13, 8, v13
	s_wait_loadcnt_dscnt 0x0
	v_pk_mul_f32 v[116:117], v[114:115], v[112:113] op_sel:[1,1] op_sel_hi:[0,1]
	s_delay_alu instid0(VALU_DEP_1) | instskip(SKIP_2) | instid1(VALU_DEP_3)
	v_pk_fma_f32 v[118:119], v[114:115], v[112:113], v[116:117] op_sel_hi:[1,0,1]
	v_add_nc_u32_e32 v9, 1, v9
	v_pk_fma_f32 v[112:113], v[114:115], v[112:113], v[116:117] neg_lo:[0,0,1] neg_hi:[0,0,1]
	v_mov_b32_e32 v113, v119
	s_delay_alu instid0(VALU_DEP_3) | instskip(NEXT) | instid1(VALU_DEP_2)
	v_cmp_lt_u32_e32 vcc_lo, 12, v9
	v_pk_add_f32 v[110:111], v[110:111], v[112:113]
	s_or_b32 s1, vcc_lo, s1
	s_delay_alu instid0(SALU_CYCLE_1)
	s_and_not1_b32 exec_lo, exec_lo, s1
	s_cbranch_execnz .LBB52_69
; %bb.70:
	s_or_b32 exec_lo, exec_lo, s1
	v_mov_b32_e32 v9, 0
	ds_load_b64 v[112:113], v9 offset:112
	s_wait_dscnt 0x0
	v_pk_mul_f32 v[114:115], v[110:111], v[112:113] op_sel:[1,1] op_sel_hi:[0,1]
	s_delay_alu instid0(VALU_DEP_1) | instskip(SKIP_1) | instid1(VALU_DEP_2)
	v_pk_fma_f32 v[116:117], v[110:111], v[112:113], v[114:115] op_sel_hi:[1,0,1]
	v_pk_fma_f32 v[110:111], v[110:111], v[112:113], v[114:115] neg_lo:[0,0,1] neg_hi:[0,0,1]
	v_mov_b32_e32 v111, v117
	scratch_store_b64 off, v[110:111], off offset:112
.LBB52_71:
	s_wait_xcnt 0x0
	s_or_b32 exec_lo, exec_lo, s0
	s_wait_storecnt 0x0
	s_barrier_signal -1
	s_barrier_wait -1
	scratch_load_b64 v[110:111], off, off offset:120
	s_mov_b32 s0, exec_lo
	s_wait_loadcnt 0x0
	ds_store_b64 v1, v[110:111]
	s_wait_dscnt 0x0
	s_barrier_signal -1
	s_barrier_wait -1
	v_cmpx_gt_u32_e32 15, v0
	s_cbranch_execz .LBB52_75
; %bb.72:
	v_dual_mov_b32 v110, 0 :: v_dual_add_nc_u32 v9, -1, v0
	v_add_nc_u32_e32 v11, 0x1b0, v108
	v_mov_b32_e32 v13, v108
	s_mov_b32 s1, 0
	s_delay_alu instid0(VALU_DEP_3)
	v_mov_b32_e32 v111, v110
.LBB52_73:                              ; =>This Inner Loop Header: Depth=1
	scratch_load_b64 v[112:113], v13, off
	ds_load_b64 v[114:115], v11
	s_wait_xcnt 0x0
	v_dual_add_nc_u32 v11, 8, v11 :: v_dual_add_nc_u32 v13, 8, v13
	s_wait_loadcnt_dscnt 0x0
	v_pk_mul_f32 v[116:117], v[114:115], v[112:113] op_sel:[1,1] op_sel_hi:[0,1]
	s_delay_alu instid0(VALU_DEP_1) | instskip(SKIP_2) | instid1(VALU_DEP_3)
	v_pk_fma_f32 v[118:119], v[114:115], v[112:113], v[116:117] op_sel_hi:[1,0,1]
	v_add_nc_u32_e32 v9, 1, v9
	v_pk_fma_f32 v[112:113], v[114:115], v[112:113], v[116:117] neg_lo:[0,0,1] neg_hi:[0,0,1]
	v_mov_b32_e32 v113, v119
	s_delay_alu instid0(VALU_DEP_3) | instskip(NEXT) | instid1(VALU_DEP_2)
	v_cmp_lt_u32_e32 vcc_lo, 13, v9
	v_pk_add_f32 v[110:111], v[110:111], v[112:113]
	s_or_b32 s1, vcc_lo, s1
	s_delay_alu instid0(SALU_CYCLE_1)
	s_and_not1_b32 exec_lo, exec_lo, s1
	s_cbranch_execnz .LBB52_73
; %bb.74:
	s_or_b32 exec_lo, exec_lo, s1
	v_mov_b32_e32 v9, 0
	ds_load_b64 v[112:113], v9 offset:120
	s_wait_dscnt 0x0
	v_pk_mul_f32 v[114:115], v[110:111], v[112:113] op_sel:[1,1] op_sel_hi:[0,1]
	s_delay_alu instid0(VALU_DEP_1) | instskip(SKIP_1) | instid1(VALU_DEP_2)
	v_pk_fma_f32 v[116:117], v[110:111], v[112:113], v[114:115] op_sel_hi:[1,0,1]
	v_pk_fma_f32 v[110:111], v[110:111], v[112:113], v[114:115] neg_lo:[0,0,1] neg_hi:[0,0,1]
	v_mov_b32_e32 v111, v117
	scratch_store_b64 off, v[110:111], off offset:120
.LBB52_75:
	s_wait_xcnt 0x0
	s_or_b32 exec_lo, exec_lo, s0
	s_wait_storecnt 0x0
	s_barrier_signal -1
	s_barrier_wait -1
	scratch_load_b64 v[110:111], off, off offset:128
	s_mov_b32 s0, exec_lo
	s_wait_loadcnt 0x0
	ds_store_b64 v1, v[110:111]
	s_wait_dscnt 0x0
	s_barrier_signal -1
	s_barrier_wait -1
	v_cmpx_gt_u32_e32 16, v0
	s_cbranch_execz .LBB52_79
; %bb.76:
	v_dual_mov_b32 v110, 0 :: v_dual_add_nc_u32 v9, -1, v0
	v_add_nc_u32_e32 v11, 0x1b0, v108
	v_mov_b32_e32 v13, v108
	s_mov_b32 s1, 0
	s_delay_alu instid0(VALU_DEP_3)
	v_mov_b32_e32 v111, v110
.LBB52_77:                              ; =>This Inner Loop Header: Depth=1
	scratch_load_b64 v[112:113], v13, off
	ds_load_b64 v[114:115], v11
	s_wait_xcnt 0x0
	v_dual_add_nc_u32 v11, 8, v11 :: v_dual_add_nc_u32 v13, 8, v13
	s_wait_loadcnt_dscnt 0x0
	v_pk_mul_f32 v[116:117], v[114:115], v[112:113] op_sel:[1,1] op_sel_hi:[0,1]
	s_delay_alu instid0(VALU_DEP_1) | instskip(SKIP_2) | instid1(VALU_DEP_3)
	v_pk_fma_f32 v[118:119], v[114:115], v[112:113], v[116:117] op_sel_hi:[1,0,1]
	v_add_nc_u32_e32 v9, 1, v9
	v_pk_fma_f32 v[112:113], v[114:115], v[112:113], v[116:117] neg_lo:[0,0,1] neg_hi:[0,0,1]
	v_mov_b32_e32 v113, v119
	s_delay_alu instid0(VALU_DEP_3) | instskip(NEXT) | instid1(VALU_DEP_2)
	v_cmp_lt_u32_e32 vcc_lo, 14, v9
	v_pk_add_f32 v[110:111], v[110:111], v[112:113]
	s_or_b32 s1, vcc_lo, s1
	s_delay_alu instid0(SALU_CYCLE_1)
	s_and_not1_b32 exec_lo, exec_lo, s1
	s_cbranch_execnz .LBB52_77
; %bb.78:
	s_or_b32 exec_lo, exec_lo, s1
	v_mov_b32_e32 v9, 0
	ds_load_b64 v[112:113], v9 offset:128
	s_wait_dscnt 0x0
	v_pk_mul_f32 v[114:115], v[110:111], v[112:113] op_sel:[1,1] op_sel_hi:[0,1]
	s_delay_alu instid0(VALU_DEP_1) | instskip(SKIP_1) | instid1(VALU_DEP_2)
	v_pk_fma_f32 v[116:117], v[110:111], v[112:113], v[114:115] op_sel_hi:[1,0,1]
	v_pk_fma_f32 v[110:111], v[110:111], v[112:113], v[114:115] neg_lo:[0,0,1] neg_hi:[0,0,1]
	v_mov_b32_e32 v111, v117
	scratch_store_b64 off, v[110:111], off offset:128
.LBB52_79:
	s_wait_xcnt 0x0
	s_or_b32 exec_lo, exec_lo, s0
	s_wait_storecnt 0x0
	s_barrier_signal -1
	s_barrier_wait -1
	scratch_load_b64 v[110:111], off, off offset:136
	s_mov_b32 s0, exec_lo
	s_wait_loadcnt 0x0
	ds_store_b64 v1, v[110:111]
	s_wait_dscnt 0x0
	s_barrier_signal -1
	s_barrier_wait -1
	v_cmpx_gt_u32_e32 17, v0
	s_cbranch_execz .LBB52_83
; %bb.80:
	v_dual_mov_b32 v110, 0 :: v_dual_add_nc_u32 v9, -1, v0
	v_add_nc_u32_e32 v11, 0x1b0, v108
	v_mov_b32_e32 v13, v108
	s_mov_b32 s1, 0
	s_delay_alu instid0(VALU_DEP_3)
	v_mov_b32_e32 v111, v110
.LBB52_81:                              ; =>This Inner Loop Header: Depth=1
	scratch_load_b64 v[112:113], v13, off
	ds_load_b64 v[114:115], v11
	s_wait_xcnt 0x0
	v_dual_add_nc_u32 v11, 8, v11 :: v_dual_add_nc_u32 v13, 8, v13
	s_wait_loadcnt_dscnt 0x0
	v_pk_mul_f32 v[116:117], v[114:115], v[112:113] op_sel:[1,1] op_sel_hi:[0,1]
	s_delay_alu instid0(VALU_DEP_1) | instskip(SKIP_2) | instid1(VALU_DEP_3)
	v_pk_fma_f32 v[118:119], v[114:115], v[112:113], v[116:117] op_sel_hi:[1,0,1]
	v_add_nc_u32_e32 v9, 1, v9
	v_pk_fma_f32 v[112:113], v[114:115], v[112:113], v[116:117] neg_lo:[0,0,1] neg_hi:[0,0,1]
	v_mov_b32_e32 v113, v119
	s_delay_alu instid0(VALU_DEP_3) | instskip(NEXT) | instid1(VALU_DEP_2)
	v_cmp_lt_u32_e32 vcc_lo, 15, v9
	v_pk_add_f32 v[110:111], v[110:111], v[112:113]
	s_or_b32 s1, vcc_lo, s1
	s_delay_alu instid0(SALU_CYCLE_1)
	s_and_not1_b32 exec_lo, exec_lo, s1
	s_cbranch_execnz .LBB52_81
; %bb.82:
	s_or_b32 exec_lo, exec_lo, s1
	v_mov_b32_e32 v9, 0
	ds_load_b64 v[112:113], v9 offset:136
	s_wait_dscnt 0x0
	v_pk_mul_f32 v[114:115], v[110:111], v[112:113] op_sel:[1,1] op_sel_hi:[0,1]
	s_delay_alu instid0(VALU_DEP_1) | instskip(SKIP_1) | instid1(VALU_DEP_2)
	v_pk_fma_f32 v[116:117], v[110:111], v[112:113], v[114:115] op_sel_hi:[1,0,1]
	v_pk_fma_f32 v[110:111], v[110:111], v[112:113], v[114:115] neg_lo:[0,0,1] neg_hi:[0,0,1]
	v_mov_b32_e32 v111, v117
	scratch_store_b64 off, v[110:111], off offset:136
.LBB52_83:
	s_wait_xcnt 0x0
	s_or_b32 exec_lo, exec_lo, s0
	s_wait_storecnt 0x0
	s_barrier_signal -1
	s_barrier_wait -1
	scratch_load_b64 v[110:111], off, off offset:144
	s_mov_b32 s0, exec_lo
	s_wait_loadcnt 0x0
	ds_store_b64 v1, v[110:111]
	s_wait_dscnt 0x0
	s_barrier_signal -1
	s_barrier_wait -1
	v_cmpx_gt_u32_e32 18, v0
	s_cbranch_execz .LBB52_87
; %bb.84:
	v_dual_mov_b32 v110, 0 :: v_dual_add_nc_u32 v9, -1, v0
	v_add_nc_u32_e32 v11, 0x1b0, v108
	v_mov_b32_e32 v13, v108
	s_mov_b32 s1, 0
	s_delay_alu instid0(VALU_DEP_3)
	v_mov_b32_e32 v111, v110
.LBB52_85:                              ; =>This Inner Loop Header: Depth=1
	scratch_load_b64 v[112:113], v13, off
	ds_load_b64 v[114:115], v11
	s_wait_xcnt 0x0
	v_dual_add_nc_u32 v11, 8, v11 :: v_dual_add_nc_u32 v13, 8, v13
	s_wait_loadcnt_dscnt 0x0
	v_pk_mul_f32 v[116:117], v[114:115], v[112:113] op_sel:[1,1] op_sel_hi:[0,1]
	s_delay_alu instid0(VALU_DEP_1) | instskip(SKIP_2) | instid1(VALU_DEP_3)
	v_pk_fma_f32 v[118:119], v[114:115], v[112:113], v[116:117] op_sel_hi:[1,0,1]
	v_add_nc_u32_e32 v9, 1, v9
	v_pk_fma_f32 v[112:113], v[114:115], v[112:113], v[116:117] neg_lo:[0,0,1] neg_hi:[0,0,1]
	v_mov_b32_e32 v113, v119
	s_delay_alu instid0(VALU_DEP_3) | instskip(NEXT) | instid1(VALU_DEP_2)
	v_cmp_lt_u32_e32 vcc_lo, 16, v9
	v_pk_add_f32 v[110:111], v[110:111], v[112:113]
	s_or_b32 s1, vcc_lo, s1
	s_delay_alu instid0(SALU_CYCLE_1)
	s_and_not1_b32 exec_lo, exec_lo, s1
	s_cbranch_execnz .LBB52_85
; %bb.86:
	s_or_b32 exec_lo, exec_lo, s1
	v_mov_b32_e32 v9, 0
	ds_load_b64 v[112:113], v9 offset:144
	s_wait_dscnt 0x0
	v_pk_mul_f32 v[114:115], v[110:111], v[112:113] op_sel:[1,1] op_sel_hi:[0,1]
	s_delay_alu instid0(VALU_DEP_1) | instskip(SKIP_1) | instid1(VALU_DEP_2)
	v_pk_fma_f32 v[116:117], v[110:111], v[112:113], v[114:115] op_sel_hi:[1,0,1]
	v_pk_fma_f32 v[110:111], v[110:111], v[112:113], v[114:115] neg_lo:[0,0,1] neg_hi:[0,0,1]
	v_mov_b32_e32 v111, v117
	scratch_store_b64 off, v[110:111], off offset:144
.LBB52_87:
	s_wait_xcnt 0x0
	s_or_b32 exec_lo, exec_lo, s0
	s_wait_storecnt 0x0
	s_barrier_signal -1
	s_barrier_wait -1
	scratch_load_b64 v[110:111], off, off offset:152
	s_mov_b32 s0, exec_lo
	s_wait_loadcnt 0x0
	ds_store_b64 v1, v[110:111]
	s_wait_dscnt 0x0
	s_barrier_signal -1
	s_barrier_wait -1
	v_cmpx_gt_u32_e32 19, v0
	s_cbranch_execz .LBB52_91
; %bb.88:
	v_dual_mov_b32 v110, 0 :: v_dual_add_nc_u32 v9, -1, v0
	v_add_nc_u32_e32 v11, 0x1b0, v108
	v_mov_b32_e32 v13, v108
	s_mov_b32 s1, 0
	s_delay_alu instid0(VALU_DEP_3)
	v_mov_b32_e32 v111, v110
.LBB52_89:                              ; =>This Inner Loop Header: Depth=1
	scratch_load_b64 v[112:113], v13, off
	ds_load_b64 v[114:115], v11
	s_wait_xcnt 0x0
	v_dual_add_nc_u32 v11, 8, v11 :: v_dual_add_nc_u32 v13, 8, v13
	s_wait_loadcnt_dscnt 0x0
	v_pk_mul_f32 v[116:117], v[114:115], v[112:113] op_sel:[1,1] op_sel_hi:[0,1]
	s_delay_alu instid0(VALU_DEP_1) | instskip(SKIP_2) | instid1(VALU_DEP_3)
	v_pk_fma_f32 v[118:119], v[114:115], v[112:113], v[116:117] op_sel_hi:[1,0,1]
	v_add_nc_u32_e32 v9, 1, v9
	v_pk_fma_f32 v[112:113], v[114:115], v[112:113], v[116:117] neg_lo:[0,0,1] neg_hi:[0,0,1]
	v_mov_b32_e32 v113, v119
	s_delay_alu instid0(VALU_DEP_3) | instskip(NEXT) | instid1(VALU_DEP_2)
	v_cmp_lt_u32_e32 vcc_lo, 17, v9
	v_pk_add_f32 v[110:111], v[110:111], v[112:113]
	s_or_b32 s1, vcc_lo, s1
	s_delay_alu instid0(SALU_CYCLE_1)
	s_and_not1_b32 exec_lo, exec_lo, s1
	s_cbranch_execnz .LBB52_89
; %bb.90:
	s_or_b32 exec_lo, exec_lo, s1
	v_mov_b32_e32 v9, 0
	ds_load_b64 v[112:113], v9 offset:152
	s_wait_dscnt 0x0
	v_pk_mul_f32 v[114:115], v[110:111], v[112:113] op_sel:[1,1] op_sel_hi:[0,1]
	s_delay_alu instid0(VALU_DEP_1) | instskip(SKIP_1) | instid1(VALU_DEP_2)
	v_pk_fma_f32 v[116:117], v[110:111], v[112:113], v[114:115] op_sel_hi:[1,0,1]
	v_pk_fma_f32 v[110:111], v[110:111], v[112:113], v[114:115] neg_lo:[0,0,1] neg_hi:[0,0,1]
	v_mov_b32_e32 v111, v117
	scratch_store_b64 off, v[110:111], off offset:152
.LBB52_91:
	s_wait_xcnt 0x0
	s_or_b32 exec_lo, exec_lo, s0
	s_wait_storecnt 0x0
	s_barrier_signal -1
	s_barrier_wait -1
	scratch_load_b64 v[110:111], off, off offset:160
	s_mov_b32 s0, exec_lo
	s_wait_loadcnt 0x0
	ds_store_b64 v1, v[110:111]
	s_wait_dscnt 0x0
	s_barrier_signal -1
	s_barrier_wait -1
	v_cmpx_gt_u32_e32 20, v0
	s_cbranch_execz .LBB52_95
; %bb.92:
	v_dual_mov_b32 v110, 0 :: v_dual_add_nc_u32 v9, -1, v0
	v_add_nc_u32_e32 v11, 0x1b0, v108
	v_mov_b32_e32 v13, v108
	s_mov_b32 s1, 0
	s_delay_alu instid0(VALU_DEP_3)
	v_mov_b32_e32 v111, v110
.LBB52_93:                              ; =>This Inner Loop Header: Depth=1
	scratch_load_b64 v[112:113], v13, off
	ds_load_b64 v[114:115], v11
	s_wait_xcnt 0x0
	v_dual_add_nc_u32 v11, 8, v11 :: v_dual_add_nc_u32 v13, 8, v13
	s_wait_loadcnt_dscnt 0x0
	v_pk_mul_f32 v[116:117], v[114:115], v[112:113] op_sel:[1,1] op_sel_hi:[0,1]
	s_delay_alu instid0(VALU_DEP_1) | instskip(SKIP_2) | instid1(VALU_DEP_3)
	v_pk_fma_f32 v[118:119], v[114:115], v[112:113], v[116:117] op_sel_hi:[1,0,1]
	v_add_nc_u32_e32 v9, 1, v9
	v_pk_fma_f32 v[112:113], v[114:115], v[112:113], v[116:117] neg_lo:[0,0,1] neg_hi:[0,0,1]
	v_mov_b32_e32 v113, v119
	s_delay_alu instid0(VALU_DEP_3) | instskip(NEXT) | instid1(VALU_DEP_2)
	v_cmp_lt_u32_e32 vcc_lo, 18, v9
	v_pk_add_f32 v[110:111], v[110:111], v[112:113]
	s_or_b32 s1, vcc_lo, s1
	s_delay_alu instid0(SALU_CYCLE_1)
	s_and_not1_b32 exec_lo, exec_lo, s1
	s_cbranch_execnz .LBB52_93
; %bb.94:
	s_or_b32 exec_lo, exec_lo, s1
	v_mov_b32_e32 v9, 0
	ds_load_b64 v[112:113], v9 offset:160
	s_wait_dscnt 0x0
	v_pk_mul_f32 v[114:115], v[110:111], v[112:113] op_sel:[1,1] op_sel_hi:[0,1]
	s_delay_alu instid0(VALU_DEP_1) | instskip(SKIP_1) | instid1(VALU_DEP_2)
	v_pk_fma_f32 v[116:117], v[110:111], v[112:113], v[114:115] op_sel_hi:[1,0,1]
	v_pk_fma_f32 v[110:111], v[110:111], v[112:113], v[114:115] neg_lo:[0,0,1] neg_hi:[0,0,1]
	v_mov_b32_e32 v111, v117
	scratch_store_b64 off, v[110:111], off offset:160
.LBB52_95:
	s_wait_xcnt 0x0
	s_or_b32 exec_lo, exec_lo, s0
	s_wait_storecnt 0x0
	s_barrier_signal -1
	s_barrier_wait -1
	scratch_load_b64 v[110:111], off, off offset:168
	s_mov_b32 s0, exec_lo
	s_wait_loadcnt 0x0
	ds_store_b64 v1, v[110:111]
	s_wait_dscnt 0x0
	s_barrier_signal -1
	s_barrier_wait -1
	v_cmpx_gt_u32_e32 21, v0
	s_cbranch_execz .LBB52_99
; %bb.96:
	v_dual_mov_b32 v110, 0 :: v_dual_add_nc_u32 v9, -1, v0
	v_add_nc_u32_e32 v11, 0x1b0, v108
	v_mov_b32_e32 v13, v108
	s_mov_b32 s1, 0
	s_delay_alu instid0(VALU_DEP_3)
	v_mov_b32_e32 v111, v110
.LBB52_97:                              ; =>This Inner Loop Header: Depth=1
	scratch_load_b64 v[112:113], v13, off
	ds_load_b64 v[114:115], v11
	s_wait_xcnt 0x0
	v_dual_add_nc_u32 v11, 8, v11 :: v_dual_add_nc_u32 v13, 8, v13
	s_wait_loadcnt_dscnt 0x0
	v_pk_mul_f32 v[116:117], v[114:115], v[112:113] op_sel:[1,1] op_sel_hi:[0,1]
	s_delay_alu instid0(VALU_DEP_1) | instskip(SKIP_2) | instid1(VALU_DEP_3)
	v_pk_fma_f32 v[118:119], v[114:115], v[112:113], v[116:117] op_sel_hi:[1,0,1]
	v_add_nc_u32_e32 v9, 1, v9
	v_pk_fma_f32 v[112:113], v[114:115], v[112:113], v[116:117] neg_lo:[0,0,1] neg_hi:[0,0,1]
	v_mov_b32_e32 v113, v119
	s_delay_alu instid0(VALU_DEP_3) | instskip(NEXT) | instid1(VALU_DEP_2)
	v_cmp_lt_u32_e32 vcc_lo, 19, v9
	v_pk_add_f32 v[110:111], v[110:111], v[112:113]
	s_or_b32 s1, vcc_lo, s1
	s_delay_alu instid0(SALU_CYCLE_1)
	s_and_not1_b32 exec_lo, exec_lo, s1
	s_cbranch_execnz .LBB52_97
; %bb.98:
	s_or_b32 exec_lo, exec_lo, s1
	v_mov_b32_e32 v9, 0
	ds_load_b64 v[112:113], v9 offset:168
	s_wait_dscnt 0x0
	v_pk_mul_f32 v[114:115], v[110:111], v[112:113] op_sel:[1,1] op_sel_hi:[0,1]
	s_delay_alu instid0(VALU_DEP_1) | instskip(SKIP_1) | instid1(VALU_DEP_2)
	v_pk_fma_f32 v[116:117], v[110:111], v[112:113], v[114:115] op_sel_hi:[1,0,1]
	v_pk_fma_f32 v[110:111], v[110:111], v[112:113], v[114:115] neg_lo:[0,0,1] neg_hi:[0,0,1]
	v_mov_b32_e32 v111, v117
	scratch_store_b64 off, v[110:111], off offset:168
.LBB52_99:
	s_wait_xcnt 0x0
	s_or_b32 exec_lo, exec_lo, s0
	s_wait_storecnt 0x0
	s_barrier_signal -1
	s_barrier_wait -1
	scratch_load_b64 v[110:111], off, off offset:176
	s_mov_b32 s0, exec_lo
	s_wait_loadcnt 0x0
	ds_store_b64 v1, v[110:111]
	s_wait_dscnt 0x0
	s_barrier_signal -1
	s_barrier_wait -1
	v_cmpx_gt_u32_e32 22, v0
	s_cbranch_execz .LBB52_103
; %bb.100:
	v_dual_mov_b32 v110, 0 :: v_dual_add_nc_u32 v9, -1, v0
	v_add_nc_u32_e32 v11, 0x1b0, v108
	v_mov_b32_e32 v13, v108
	s_mov_b32 s1, 0
	s_delay_alu instid0(VALU_DEP_3)
	v_mov_b32_e32 v111, v110
.LBB52_101:                             ; =>This Inner Loop Header: Depth=1
	scratch_load_b64 v[112:113], v13, off
	ds_load_b64 v[114:115], v11
	s_wait_xcnt 0x0
	v_dual_add_nc_u32 v11, 8, v11 :: v_dual_add_nc_u32 v13, 8, v13
	s_wait_loadcnt_dscnt 0x0
	v_pk_mul_f32 v[116:117], v[114:115], v[112:113] op_sel:[1,1] op_sel_hi:[0,1]
	s_delay_alu instid0(VALU_DEP_1) | instskip(SKIP_2) | instid1(VALU_DEP_3)
	v_pk_fma_f32 v[118:119], v[114:115], v[112:113], v[116:117] op_sel_hi:[1,0,1]
	v_add_nc_u32_e32 v9, 1, v9
	v_pk_fma_f32 v[112:113], v[114:115], v[112:113], v[116:117] neg_lo:[0,0,1] neg_hi:[0,0,1]
	v_mov_b32_e32 v113, v119
	s_delay_alu instid0(VALU_DEP_3) | instskip(NEXT) | instid1(VALU_DEP_2)
	v_cmp_lt_u32_e32 vcc_lo, 20, v9
	v_pk_add_f32 v[110:111], v[110:111], v[112:113]
	s_or_b32 s1, vcc_lo, s1
	s_delay_alu instid0(SALU_CYCLE_1)
	s_and_not1_b32 exec_lo, exec_lo, s1
	s_cbranch_execnz .LBB52_101
; %bb.102:
	s_or_b32 exec_lo, exec_lo, s1
	v_mov_b32_e32 v9, 0
	ds_load_b64 v[112:113], v9 offset:176
	s_wait_dscnt 0x0
	v_pk_mul_f32 v[114:115], v[110:111], v[112:113] op_sel:[1,1] op_sel_hi:[0,1]
	s_delay_alu instid0(VALU_DEP_1) | instskip(SKIP_1) | instid1(VALU_DEP_2)
	v_pk_fma_f32 v[116:117], v[110:111], v[112:113], v[114:115] op_sel_hi:[1,0,1]
	v_pk_fma_f32 v[110:111], v[110:111], v[112:113], v[114:115] neg_lo:[0,0,1] neg_hi:[0,0,1]
	v_mov_b32_e32 v111, v117
	scratch_store_b64 off, v[110:111], off offset:176
.LBB52_103:
	s_wait_xcnt 0x0
	s_or_b32 exec_lo, exec_lo, s0
	s_wait_storecnt 0x0
	s_barrier_signal -1
	s_barrier_wait -1
	scratch_load_b64 v[110:111], off, off offset:184
	s_mov_b32 s0, exec_lo
	s_wait_loadcnt 0x0
	ds_store_b64 v1, v[110:111]
	s_wait_dscnt 0x0
	s_barrier_signal -1
	s_barrier_wait -1
	v_cmpx_gt_u32_e32 23, v0
	s_cbranch_execz .LBB52_107
; %bb.104:
	v_dual_mov_b32 v110, 0 :: v_dual_add_nc_u32 v9, -1, v0
	v_add_nc_u32_e32 v11, 0x1b0, v108
	v_mov_b32_e32 v13, v108
	s_mov_b32 s1, 0
	s_delay_alu instid0(VALU_DEP_3)
	v_mov_b32_e32 v111, v110
.LBB52_105:                             ; =>This Inner Loop Header: Depth=1
	scratch_load_b64 v[112:113], v13, off
	ds_load_b64 v[114:115], v11
	s_wait_xcnt 0x0
	v_dual_add_nc_u32 v11, 8, v11 :: v_dual_add_nc_u32 v13, 8, v13
	s_wait_loadcnt_dscnt 0x0
	v_pk_mul_f32 v[116:117], v[114:115], v[112:113] op_sel:[1,1] op_sel_hi:[0,1]
	s_delay_alu instid0(VALU_DEP_1) | instskip(SKIP_2) | instid1(VALU_DEP_3)
	v_pk_fma_f32 v[118:119], v[114:115], v[112:113], v[116:117] op_sel_hi:[1,0,1]
	v_add_nc_u32_e32 v9, 1, v9
	v_pk_fma_f32 v[112:113], v[114:115], v[112:113], v[116:117] neg_lo:[0,0,1] neg_hi:[0,0,1]
	v_mov_b32_e32 v113, v119
	s_delay_alu instid0(VALU_DEP_3) | instskip(NEXT) | instid1(VALU_DEP_2)
	v_cmp_lt_u32_e32 vcc_lo, 21, v9
	v_pk_add_f32 v[110:111], v[110:111], v[112:113]
	s_or_b32 s1, vcc_lo, s1
	s_delay_alu instid0(SALU_CYCLE_1)
	s_and_not1_b32 exec_lo, exec_lo, s1
	s_cbranch_execnz .LBB52_105
; %bb.106:
	s_or_b32 exec_lo, exec_lo, s1
	v_mov_b32_e32 v9, 0
	ds_load_b64 v[112:113], v9 offset:184
	s_wait_dscnt 0x0
	v_pk_mul_f32 v[114:115], v[110:111], v[112:113] op_sel:[1,1] op_sel_hi:[0,1]
	s_delay_alu instid0(VALU_DEP_1) | instskip(SKIP_1) | instid1(VALU_DEP_2)
	v_pk_fma_f32 v[116:117], v[110:111], v[112:113], v[114:115] op_sel_hi:[1,0,1]
	v_pk_fma_f32 v[110:111], v[110:111], v[112:113], v[114:115] neg_lo:[0,0,1] neg_hi:[0,0,1]
	v_mov_b32_e32 v111, v117
	scratch_store_b64 off, v[110:111], off offset:184
.LBB52_107:
	s_wait_xcnt 0x0
	s_or_b32 exec_lo, exec_lo, s0
	s_wait_storecnt 0x0
	s_barrier_signal -1
	s_barrier_wait -1
	scratch_load_b64 v[110:111], off, off offset:192
	;; [unrolled: 52-line block ×30, first 2 shown]
	s_mov_b32 s0, exec_lo
	s_wait_loadcnt 0x0
	ds_store_b64 v1, v[110:111]
	s_wait_dscnt 0x0
	s_barrier_signal -1
	s_barrier_wait -1
	v_cmpx_ne_u32_e32 52, v0
	s_cbranch_execz .LBB52_223
; %bb.220:
	v_dual_mov_b32 v110, 0 :: v_dual_mov_b32 v9, v108
	s_mov_b32 s1, 0
	s_delay_alu instid0(VALU_DEP_1)
	v_mov_b32_e32 v111, v110
.LBB52_221:                             ; =>This Inner Loop Header: Depth=1
	scratch_load_b64 v[108:109], v9, off
	ds_load_b64 v[112:113], v1
	v_add_nc_u32_e32 v1, 8, v1
	s_wait_xcnt 0x0
	v_add_nc_u32_e32 v9, 8, v9
	s_wait_loadcnt_dscnt 0x0
	v_pk_mul_f32 v[114:115], v[112:113], v[108:109] op_sel:[1,1] op_sel_hi:[0,1]
	s_delay_alu instid0(VALU_DEP_1) | instskip(SKIP_2) | instid1(VALU_DEP_3)
	v_pk_fma_f32 v[116:117], v[112:113], v[108:109], v[114:115] op_sel_hi:[1,0,1]
	v_add_nc_u32_e32 v5, 1, v5
	v_pk_fma_f32 v[108:109], v[112:113], v[108:109], v[114:115] neg_lo:[0,0,1] neg_hi:[0,0,1]
	v_mov_b32_e32 v109, v117
	s_delay_alu instid0(VALU_DEP_3) | instskip(NEXT) | instid1(VALU_DEP_2)
	v_cmp_lt_u32_e32 vcc_lo, 50, v5
	v_pk_add_f32 v[110:111], v[110:111], v[108:109]
	s_or_b32 s1, vcc_lo, s1
	s_delay_alu instid0(SALU_CYCLE_1)
	s_and_not1_b32 exec_lo, exec_lo, s1
	s_cbranch_execnz .LBB52_221
; %bb.222:
	s_or_b32 exec_lo, exec_lo, s1
	v_mov_b32_e32 v1, 0
	ds_load_b64 v[108:109], v1 offset:416
	s_wait_dscnt 0x0
	v_pk_mul_f32 v[112:113], v[110:111], v[108:109] op_sel:[1,1] op_sel_hi:[0,1]
	s_delay_alu instid0(VALU_DEP_1) | instskip(SKIP_1) | instid1(VALU_DEP_2)
	v_pk_fma_f32 v[114:115], v[110:111], v[108:109], v[112:113] op_sel_hi:[1,0,1]
	v_pk_fma_f32 v[108:109], v[110:111], v[108:109], v[112:113] neg_lo:[0,0,1] neg_hi:[0,0,1]
	v_mov_b32_e32 v109, v115
	scratch_store_b64 off, v[108:109], off offset:416
.LBB52_223:
	s_wait_xcnt 0x0
	s_or_b32 exec_lo, exec_lo, s0
	s_mov_b32 s1, -1
	s_wait_storecnt 0x0
	s_barrier_signal -1
	s_barrier_wait -1
.LBB52_224:
	s_and_b32 vcc_lo, exec_lo, s1
	s_cbranch_vccz .LBB52_226
; %bb.225:
	v_mov_b32_e32 v1, 0
	s_lshl_b64 s[0:1], s[16:17], 2
	s_delay_alu instid0(SALU_CYCLE_1)
	s_add_nc_u64 s[0:1], s[6:7], s[0:1]
	global_load_b32 v1, v1, s[0:1]
	s_wait_loadcnt 0x0
	v_cmp_ne_u32_e32 vcc_lo, 0, v1
	s_cbranch_vccz .LBB52_227
.LBB52_226:
	s_sendmsg sendmsg(MSG_DEALLOC_VGPRS)
	s_endpgm
.LBB52_227:
	s_wait_xcnt 0x0
	v_lshl_add_u32 v1, v0, 3, 0x1b0
	s_mov_b32 s0, exec_lo
	v_cmpx_eq_u32_e32 52, v0
	s_cbranch_execz .LBB52_229
; %bb.228:
	scratch_load_b64 v[108:109], off, off offset:408
	v_mov_b64_e32 v[110:111], 0
	scratch_store_b64 off, v[110:111], off offset:408
	s_wait_loadcnt 0x0
	ds_store_b64 v1, v[108:109]
.LBB52_229:
	s_wait_xcnt 0x0
	s_or_b32 exec_lo, exec_lo, s0
	s_wait_storecnt_dscnt 0x0
	s_barrier_signal -1
	s_barrier_wait -1
	s_clause 0x1
	scratch_load_b64 v[108:109], off, off offset:416
	scratch_load_b64 v[110:111], off, off offset:408
	v_mov_b32_e32 v5, 0
	s_mov_b32 s0, exec_lo
	ds_load_b64 v[112:113], v5 offset:848
	s_wait_loadcnt_dscnt 0x100
	v_pk_mul_f32 v[114:115], v[112:113], v[108:109] op_sel:[1,1] op_sel_hi:[0,1]
	s_delay_alu instid0(VALU_DEP_1) | instskip(SKIP_1) | instid1(VALU_DEP_2)
	v_pk_fma_f32 v[116:117], v[112:113], v[108:109], v[114:115] op_sel_hi:[1,0,1]
	v_pk_fma_f32 v[108:109], v[112:113], v[108:109], v[114:115] neg_lo:[0,0,1] neg_hi:[0,0,1]
	v_mov_b32_e32 v109, v117
	s_delay_alu instid0(VALU_DEP_1) | instskip(SKIP_1) | instid1(VALU_DEP_1)
	v_pk_add_f32 v[108:109], v[108:109], 0 op_sel_hi:[1,0]
	s_wait_loadcnt 0x0
	v_pk_add_f32 v[108:109], v[110:111], v[108:109] neg_lo:[0,1] neg_hi:[0,1]
	scratch_store_b64 off, v[108:109], off offset:408
	s_wait_xcnt 0x0
	v_cmpx_lt_u32_e32 50, v0
	s_cbranch_execz .LBB52_231
; %bb.230:
	scratch_load_b64 v[108:109], off, off offset:400
	v_mov_b64_e32 v[110:111], 0
	scratch_store_b64 off, v[110:111], off offset:400
	s_wait_loadcnt 0x0
	ds_store_b64 v1, v[108:109]
.LBB52_231:
	s_wait_xcnt 0x0
	s_or_b32 exec_lo, exec_lo, s0
	s_wait_storecnt_dscnt 0x0
	s_barrier_signal -1
	s_barrier_wait -1
	s_clause 0x1
	scratch_load_b128 v[108:111], off, off offset:408
	scratch_load_b64 v[116:117], off, off offset:400
	ds_load_2addr_b64 v[112:115], v5 offset0:105 offset1:106
	s_mov_b32 s0, exec_lo
	s_wait_dscnt 0x0
	v_dual_mov_b32 v118, v115 :: v_dual_mov_b32 v119, v114
	s_wait_loadcnt 0x1
	v_pk_mul_f32 v[120:121], v[112:113], v[108:109] op_sel:[1,1] op_sel_hi:[0,1]
	s_delay_alu instid0(VALU_DEP_1) | instskip(SKIP_2) | instid1(VALU_DEP_3)
	v_pk_fma_f32 v[124:125], v[112:113], v[108:109], v[120:121] op_sel_hi:[1,0,1]
	v_mov_b32_e32 v122, v111
	v_pk_fma_f32 v[108:109], v[112:113], v[108:109], v[120:121] neg_lo:[0,0,1] neg_hi:[0,0,1]
	v_mov_b32_e32 v109, v125
	s_delay_alu instid0(VALU_DEP_3) | instskip(NEXT) | instid1(VALU_DEP_2)
	v_pk_mul_f32 v[118:119], v[118:119], v[122:123] op_sel_hi:[1,0]
	v_pk_add_f32 v[108:109], v[108:109], 0 op_sel_hi:[1,0]
	s_delay_alu instid0(VALU_DEP_2) | instskip(SKIP_1) | instid1(VALU_DEP_2)
	v_pk_fma_f32 v[112:113], v[114:115], v[110:111], v[118:119] op_sel_hi:[1,0,1]
	v_pk_fma_f32 v[110:111], v[114:115], v[110:111], v[118:119] neg_lo:[0,0,1] neg_hi:[0,0,1]
	v_mov_b32_e32 v111, v113
	s_delay_alu instid0(VALU_DEP_1) | instskip(SKIP_1) | instid1(VALU_DEP_1)
	v_pk_add_f32 v[108:109], v[108:109], v[110:111]
	s_wait_loadcnt 0x0
	v_pk_add_f32 v[108:109], v[116:117], v[108:109] neg_lo:[0,1] neg_hi:[0,1]
	scratch_store_b64 off, v[108:109], off offset:400
	s_wait_xcnt 0x0
	v_cmpx_lt_u32_e32 49, v0
	s_cbranch_execz .LBB52_233
; %bb.232:
	scratch_load_b64 v[108:109], off, off offset:392
	v_mov_b64_e32 v[110:111], 0
	scratch_store_b64 off, v[110:111], off offset:392
	s_wait_loadcnt 0x0
	ds_store_b64 v1, v[108:109]
.LBB52_233:
	s_wait_xcnt 0x0
	s_or_b32 exec_lo, exec_lo, s0
	s_wait_storecnt_dscnt 0x0
	s_barrier_signal -1
	s_barrier_wait -1
	s_clause 0x2
	scratch_load_b128 v[108:111], off, off offset:400
	scratch_load_b64 v[116:117], off, off offset:416
	scratch_load_b64 v[118:119], off, off offset:392
	v_mov_b32_e32 v5, 0
	ds_load_b128 v[112:115], v5 offset:832
	ds_load_b64 v[120:121], v5 offset:848
	s_mov_b32 s0, exec_lo
	s_wait_dscnt 0x1
	v_dual_mov_b32 v122, v115 :: v_dual_mov_b32 v123, v114
	s_wait_loadcnt 0x2
	v_mov_b32_e32 v126, v111
	v_pk_mul_f32 v[124:125], v[112:113], v[108:109] op_sel:[1,1] op_sel_hi:[0,1]
	s_delay_alu instid0(VALU_DEP_2) | instskip(NEXT) | instid1(VALU_DEP_2)
	v_pk_mul_f32 v[122:123], v[122:123], v[126:127] op_sel_hi:[1,0]
	v_pk_fma_f32 v[128:129], v[112:113], v[108:109], v[124:125] op_sel_hi:[1,0,1]
	v_pk_fma_f32 v[108:109], v[112:113], v[108:109], v[124:125] neg_lo:[0,0,1] neg_hi:[0,0,1]
	s_wait_loadcnt_dscnt 0x100
	v_pk_mul_f32 v[124:125], v[120:121], v[116:117] op_sel:[1,1] op_sel_hi:[0,1]
	v_pk_fma_f32 v[112:113], v[114:115], v[110:111], v[122:123] op_sel_hi:[1,0,1]
	v_mov_b32_e32 v109, v129
	v_pk_fma_f32 v[110:111], v[114:115], v[110:111], v[122:123] neg_lo:[0,0,1] neg_hi:[0,0,1]
	s_delay_alu instid0(VALU_DEP_4) | instskip(NEXT) | instid1(VALU_DEP_4)
	v_pk_fma_f32 v[114:115], v[120:121], v[116:117], v[124:125] neg_lo:[0,0,1] neg_hi:[0,0,1]
	v_mov_b32_e32 v111, v113
	s_delay_alu instid0(VALU_DEP_4) | instskip(SKIP_1) | instid1(VALU_DEP_2)
	v_pk_add_f32 v[108:109], v[108:109], 0 op_sel_hi:[1,0]
	v_pk_fma_f32 v[112:113], v[120:121], v[116:117], v[124:125] op_sel_hi:[1,0,1]
	v_pk_add_f32 v[108:109], v[108:109], v[110:111]
	s_delay_alu instid0(VALU_DEP_2) | instskip(NEXT) | instid1(VALU_DEP_1)
	v_mov_b32_e32 v115, v113
	v_pk_add_f32 v[108:109], v[108:109], v[114:115]
	s_wait_loadcnt 0x0
	s_delay_alu instid0(VALU_DEP_1)
	v_pk_add_f32 v[108:109], v[118:119], v[108:109] neg_lo:[0,1] neg_hi:[0,1]
	scratch_store_b64 off, v[108:109], off offset:392
	s_wait_xcnt 0x0
	v_cmpx_lt_u32_e32 48, v0
	s_cbranch_execz .LBB52_235
; %bb.234:
	scratch_load_b64 v[108:109], off, off offset:384
	v_mov_b64_e32 v[110:111], 0
	scratch_store_b64 off, v[110:111], off offset:384
	s_wait_loadcnt 0x0
	ds_store_b64 v1, v[108:109]
.LBB52_235:
	s_wait_xcnt 0x0
	s_or_b32 exec_lo, exec_lo, s0
	s_wait_storecnt_dscnt 0x0
	s_barrier_signal -1
	s_barrier_wait -1
	s_clause 0x2
	scratch_load_b128 v[108:111], off, off offset:392
	scratch_load_b128 v[112:115], off, off offset:408
	scratch_load_b64 v[124:125], off, off offset:384
	ds_load_2addr_b64 v[116:119], v5 offset0:103 offset1:104
	ds_load_2addr_b64 v[120:123], v5 offset0:105 offset1:106
	s_mov_b32 s0, exec_lo
	s_wait_dscnt 0x1
	v_dual_mov_b32 v126, v119 :: v_dual_mov_b32 v127, v118
	s_wait_loadcnt_dscnt 0x200
	v_dual_mov_b32 v132, v123 :: v_dual_mov_b32 v130, v111
	v_pk_mul_f32 v[128:129], v[116:117], v[108:109] op_sel:[1,1] op_sel_hi:[0,1]
	s_delay_alu instid0(VALU_DEP_2) | instskip(NEXT) | instid1(VALU_DEP_2)
	v_pk_mul_f32 v[126:127], v[126:127], v[130:131] op_sel_hi:[1,0]
	v_pk_fma_f32 v[134:135], v[116:117], v[108:109], v[128:129] op_sel_hi:[1,0,1]
	v_pk_fma_f32 v[108:109], v[116:117], v[108:109], v[128:129] neg_lo:[0,0,1] neg_hi:[0,0,1]
	v_mov_b32_e32 v133, v122
	s_wait_loadcnt 0x1
	v_pk_mul_f32 v[130:131], v[120:121], v[112:113] op_sel:[1,1] op_sel_hi:[0,1]
	v_pk_fma_f32 v[116:117], v[118:119], v[110:111], v[126:127] op_sel_hi:[1,0,1]
	v_dual_mov_b32 v109, v135 :: v_dual_mov_b32 v116, v115
	v_pk_fma_f32 v[110:111], v[118:119], v[110:111], v[126:127] neg_lo:[0,0,1] neg_hi:[0,0,1]
	s_delay_alu instid0(VALU_DEP_4) | instskip(NEXT) | instid1(VALU_DEP_4)
	v_pk_fma_f32 v[128:129], v[120:121], v[112:113], v[130:131] op_sel_hi:[1,0,1]
	v_mov_b32_e32 v111, v117
	s_delay_alu instid0(VALU_DEP_4) | instskip(SKIP_2) | instid1(VALU_DEP_3)
	v_pk_add_f32 v[108:109], v[108:109], 0 op_sel_hi:[1,0]
	v_pk_mul_f32 v[116:117], v[132:133], v[116:117] op_sel_hi:[1,0]
	v_pk_fma_f32 v[112:113], v[120:121], v[112:113], v[130:131] neg_lo:[0,0,1] neg_hi:[0,0,1]
	v_pk_add_f32 v[108:109], v[108:109], v[110:111]
	s_delay_alu instid0(VALU_DEP_3) | instskip(SKIP_2) | instid1(VALU_DEP_3)
	v_pk_fma_f32 v[110:111], v[122:123], v[114:115], v[116:117] op_sel_hi:[1,0,1]
	v_mov_b32_e32 v113, v129
	v_pk_fma_f32 v[114:115], v[122:123], v[114:115], v[116:117] neg_lo:[0,0,1] neg_hi:[0,0,1]
	v_mov_b32_e32 v115, v111
	s_delay_alu instid0(VALU_DEP_3) | instskip(NEXT) | instid1(VALU_DEP_1)
	v_pk_add_f32 v[108:109], v[108:109], v[112:113]
	v_pk_add_f32 v[108:109], v[108:109], v[114:115]
	s_wait_loadcnt 0x0
	s_delay_alu instid0(VALU_DEP_1)
	v_pk_add_f32 v[108:109], v[124:125], v[108:109] neg_lo:[0,1] neg_hi:[0,1]
	scratch_store_b64 off, v[108:109], off offset:384
	s_wait_xcnt 0x0
	v_cmpx_lt_u32_e32 47, v0
	s_cbranch_execz .LBB52_237
; %bb.236:
	scratch_load_b64 v[108:109], off, off offset:376
	v_mov_b64_e32 v[110:111], 0
	scratch_store_b64 off, v[110:111], off offset:376
	s_wait_loadcnt 0x0
	ds_store_b64 v1, v[108:109]
.LBB52_237:
	s_wait_xcnt 0x0
	s_or_b32 exec_lo, exec_lo, s0
	s_wait_storecnt_dscnt 0x0
	s_barrier_signal -1
	s_barrier_wait -1
	s_clause 0x3
	scratch_load_b128 v[108:111], off, off offset:384
	scratch_load_b128 v[112:115], off, off offset:400
	scratch_load_b64 v[124:125], off, off offset:416
	scratch_load_b64 v[126:127], off, off offset:376
	v_mov_b32_e32 v5, 0
	ds_load_b128 v[116:119], v5 offset:816
	ds_load_b128 v[120:123], v5 offset:832
	s_mov_b32 s0, exec_lo
	s_wait_dscnt 0x1
	v_dual_mov_b32 v128, v119 :: v_dual_mov_b32 v129, v118
	ds_load_b64 v[134:135], v5 offset:848
	s_wait_dscnt 0x1
	v_dual_mov_b32 v136, v123 :: v_dual_mov_b32 v137, v122
	s_wait_loadcnt 0x3
	v_pk_mul_f32 v[130:131], v[116:117], v[108:109] op_sel:[1,1] op_sel_hi:[0,1]
	v_mov_b32_e32 v132, v111
	s_delay_alu instid0(VALU_DEP_2) | instskip(NEXT) | instid1(VALU_DEP_2)
	v_pk_fma_f32 v[138:139], v[116:117], v[108:109], v[130:131] op_sel_hi:[1,0,1]
	v_pk_mul_f32 v[128:129], v[128:129], v[132:133] op_sel_hi:[1,0]
	v_pk_fma_f32 v[108:109], v[116:117], v[108:109], v[130:131] neg_lo:[0,0,1] neg_hi:[0,0,1]
	s_wait_loadcnt 0x2
	v_pk_mul_f32 v[132:133], v[120:121], v[112:113] op_sel:[1,1] op_sel_hi:[0,1]
	v_dual_mov_b32 v138, v115 :: v_dual_mov_b32 v109, v139
	v_pk_fma_f32 v[116:117], v[118:119], v[110:111], v[128:129] op_sel_hi:[1,0,1]
	v_pk_fma_f32 v[110:111], v[118:119], v[110:111], v[128:129] neg_lo:[0,0,1] neg_hi:[0,0,1]
	s_delay_alu instid0(VALU_DEP_4) | instskip(NEXT) | instid1(VALU_DEP_4)
	v_pk_fma_f32 v[130:131], v[120:121], v[112:113], v[132:133] op_sel_hi:[1,0,1]
	v_pk_mul_f32 v[136:137], v[136:137], v[138:139] op_sel_hi:[1,0]
	v_pk_add_f32 v[108:109], v[108:109], 0 op_sel_hi:[1,0]
	v_mov_b32_e32 v111, v117
	v_pk_fma_f32 v[112:113], v[120:121], v[112:113], v[132:133] neg_lo:[0,0,1] neg_hi:[0,0,1]
	v_mov_b32_e32 v113, v131
	v_pk_fma_f32 v[116:117], v[122:123], v[114:115], v[136:137] op_sel_hi:[1,0,1]
	v_pk_fma_f32 v[114:115], v[122:123], v[114:115], v[136:137] neg_lo:[0,0,1] neg_hi:[0,0,1]
	v_pk_add_f32 v[108:109], v[108:109], v[110:111]
	s_wait_loadcnt_dscnt 0x100
	v_pk_mul_f32 v[110:111], v[134:135], v[124:125] op_sel:[1,1] op_sel_hi:[0,1]
	s_delay_alu instid0(VALU_DEP_2) | instskip(NEXT) | instid1(VALU_DEP_2)
	v_pk_add_f32 v[108:109], v[108:109], v[112:113]
	v_pk_fma_f32 v[112:113], v[134:135], v[124:125], v[110:111] op_sel_hi:[1,0,1]
	v_mov_b32_e32 v115, v117
	v_pk_fma_f32 v[110:111], v[134:135], v[124:125], v[110:111] neg_lo:[0,0,1] neg_hi:[0,0,1]
	s_delay_alu instid0(VALU_DEP_3) | instskip(NEXT) | instid1(VALU_DEP_3)
	v_mov_b32_e32 v111, v113
	v_pk_add_f32 v[108:109], v[108:109], v[114:115]
	s_delay_alu instid0(VALU_DEP_1) | instskip(SKIP_1) | instid1(VALU_DEP_1)
	v_pk_add_f32 v[108:109], v[108:109], v[110:111]
	s_wait_loadcnt 0x0
	v_pk_add_f32 v[108:109], v[126:127], v[108:109] neg_lo:[0,1] neg_hi:[0,1]
	scratch_store_b64 off, v[108:109], off offset:376
	s_wait_xcnt 0x0
	v_cmpx_lt_u32_e32 46, v0
	s_cbranch_execz .LBB52_239
; %bb.238:
	scratch_load_b64 v[108:109], off, off offset:368
	v_mov_b64_e32 v[110:111], 0
	scratch_store_b64 off, v[110:111], off offset:368
	s_wait_loadcnt 0x0
	ds_store_b64 v1, v[108:109]
.LBB52_239:
	s_wait_xcnt 0x0
	s_or_b32 exec_lo, exec_lo, s0
	s_wait_storecnt_dscnt 0x0
	s_barrier_signal -1
	s_barrier_wait -1
	s_clause 0x3
	scratch_load_b128 v[108:111], off, off offset:376
	scratch_load_b128 v[112:115], off, off offset:392
	;; [unrolled: 1-line block ×3, first 2 shown]
	scratch_load_b64 v[132:133], off, off offset:368
	ds_load_2addr_b64 v[120:123], v5 offset0:101 offset1:102
	ds_load_2addr_b64 v[124:127], v5 offset0:103 offset1:104
	;; [unrolled: 1-line block ×3, first 2 shown]
	s_mov_b32 s0, exec_lo
	s_wait_dscnt 0x2
	v_dual_mov_b32 v134, v123 :: v_dual_mov_b32 v135, v122
	s_wait_dscnt 0x1
	v_dual_mov_b32 v136, v127 :: v_dual_mov_b32 v137, v126
	;; [unrolled: 2-line block ×3, first 2 shown]
	s_wait_loadcnt 0x3
	v_pk_mul_f32 v[138:139], v[120:121], v[108:109] op_sel:[1,1] op_sel_hi:[0,1]
	v_mov_b32_e32 v140, v111
	s_delay_alu instid0(VALU_DEP_2) | instskip(NEXT) | instid1(VALU_DEP_2)
	v_pk_fma_f32 v[144:145], v[120:121], v[108:109], v[138:139] op_sel_hi:[1,0,1]
	v_pk_mul_f32 v[134:135], v[134:135], v[140:141] op_sel_hi:[1,0]
	v_pk_fma_f32 v[108:109], v[120:121], v[108:109], v[138:139] neg_lo:[0,0,1] neg_hi:[0,0,1]
	s_wait_loadcnt 0x2
	v_pk_mul_f32 v[140:141], v[124:125], v[112:113] op_sel:[1,1] op_sel_hi:[0,1]
	v_mov_b32_e32 v144, v115
	v_pk_fma_f32 v[120:121], v[122:123], v[110:111], v[134:135] op_sel_hi:[1,0,1]
	v_mov_b32_e32 v109, v145
	v_pk_fma_f32 v[110:111], v[122:123], v[110:111], v[134:135] neg_lo:[0,0,1] neg_hi:[0,0,1]
	v_pk_fma_f32 v[138:139], v[124:125], v[112:113], v[140:141] op_sel_hi:[1,0,1]
	v_pk_mul_f32 v[136:137], v[136:137], v[144:145] op_sel_hi:[1,0]
	v_mov_b32_e32 v111, v121
	v_pk_add_f32 v[108:109], v[108:109], 0 op_sel_hi:[1,0]
	v_pk_fma_f32 v[112:113], v[124:125], v[112:113], v[140:141] neg_lo:[0,0,1] neg_hi:[0,0,1]
	s_wait_loadcnt 0x1
	v_pk_mul_f32 v[120:121], v[128:129], v[116:117] op_sel:[1,1] op_sel_hi:[0,1]
	v_mov_b32_e32 v113, v139
	v_pk_fma_f32 v[122:123], v[126:127], v[114:115], v[136:137] op_sel_hi:[1,0,1]
	v_pk_add_f32 v[108:109], v[108:109], v[110:111]
	v_mov_b32_e32 v110, v119
	v_pk_fma_f32 v[114:115], v[126:127], v[114:115], v[136:137] neg_lo:[0,0,1] neg_hi:[0,0,1]
	v_pk_fma_f32 v[124:125], v[128:129], v[116:117], v[120:121] op_sel_hi:[1,0,1]
	v_mov_b32_e32 v115, v123
	v_pk_add_f32 v[108:109], v[108:109], v[112:113]
	v_pk_mul_f32 v[110:111], v[142:143], v[110:111] op_sel_hi:[1,0]
	v_pk_fma_f32 v[112:113], v[128:129], v[116:117], v[120:121] neg_lo:[0,0,1] neg_hi:[0,0,1]
	v_mov_b32_e32 v113, v125
	s_delay_alu instid0(VALU_DEP_4) | instskip(NEXT) | instid1(VALU_DEP_4)
	v_pk_add_f32 v[108:109], v[108:109], v[114:115]
	v_pk_fma_f32 v[114:115], v[130:131], v[118:119], v[110:111] op_sel_hi:[1,0,1]
	v_pk_fma_f32 v[110:111], v[130:131], v[118:119], v[110:111] neg_lo:[0,0,1] neg_hi:[0,0,1]
	s_delay_alu instid0(VALU_DEP_3) | instskip(NEXT) | instid1(VALU_DEP_3)
	v_pk_add_f32 v[108:109], v[108:109], v[112:113]
	v_mov_b32_e32 v111, v115
	s_delay_alu instid0(VALU_DEP_1) | instskip(SKIP_1) | instid1(VALU_DEP_1)
	v_pk_add_f32 v[108:109], v[108:109], v[110:111]
	s_wait_loadcnt 0x0
	v_pk_add_f32 v[108:109], v[132:133], v[108:109] neg_lo:[0,1] neg_hi:[0,1]
	scratch_store_b64 off, v[108:109], off offset:368
	s_wait_xcnt 0x0
	v_cmpx_lt_u32_e32 45, v0
	s_cbranch_execz .LBB52_241
; %bb.240:
	scratch_load_b64 v[108:109], off, off offset:360
	v_mov_b64_e32 v[110:111], 0
	scratch_store_b64 off, v[110:111], off offset:360
	s_wait_loadcnt 0x0
	ds_store_b64 v1, v[108:109]
.LBB52_241:
	s_wait_xcnt 0x0
	s_or_b32 exec_lo, exec_lo, s0
	s_wait_storecnt_dscnt 0x0
	s_barrier_signal -1
	s_barrier_wait -1
	s_clause 0x4
	scratch_load_b128 v[108:111], off, off offset:368
	scratch_load_b128 v[112:115], off, off offset:384
	;; [unrolled: 1-line block ×3, first 2 shown]
	scratch_load_b64 v[132:133], off, off offset:416
	scratch_load_b64 v[134:135], off, off offset:360
	v_mov_b32_e32 v5, 0
	ds_load_b128 v[120:123], v5 offset:800
	ds_load_b128 v[124:127], v5 offset:816
	;; [unrolled: 1-line block ×3, first 2 shown]
	ds_load_b64 v[136:137], v5 offset:848
	s_mov_b32 s0, exec_lo
	s_wait_dscnt 0x3
	v_dual_mov_b32 v138, v123 :: v_dual_mov_b32 v139, v122
	s_wait_dscnt 0x2
	v_dual_mov_b32 v140, v127 :: v_dual_mov_b32 v141, v126
	;; [unrolled: 2-line block ×3, first 2 shown]
	s_wait_loadcnt 0x4
	v_pk_mul_f32 v[142:143], v[120:121], v[108:109] op_sel:[1,1] op_sel_hi:[0,1]
	v_mov_b32_e32 v144, v111
	s_wait_loadcnt 0x3
	v_pk_mul_f32 v[148:149], v[124:125], v[112:113] op_sel:[1,1] op_sel_hi:[0,1]
	s_wait_loadcnt 0x2
	v_pk_mul_f32 v[152:153], v[128:129], v[116:117] op_sel:[1,1] op_sel_hi:[0,1]
	v_pk_fma_f32 v[150:151], v[120:121], v[108:109], v[142:143] op_sel_hi:[1,0,1]
	v_pk_mul_f32 v[138:139], v[138:139], v[144:145] op_sel_hi:[1,0]
	v_pk_fma_f32 v[108:109], v[120:121], v[108:109], v[142:143] neg_lo:[0,0,1] neg_hi:[0,0,1]
	v_mov_b32_e32 v144, v115
	v_pk_fma_f32 v[142:143], v[124:125], v[112:113], v[148:149] op_sel_hi:[1,0,1]
	v_mov_b32_e32 v109, v151
	v_pk_fma_f32 v[120:121], v[122:123], v[110:111], v[138:139] op_sel_hi:[1,0,1]
	v_pk_fma_f32 v[110:111], v[122:123], v[110:111], v[138:139] neg_lo:[0,0,1] neg_hi:[0,0,1]
	v_pk_mul_f32 v[140:141], v[140:141], v[144:145] op_sel_hi:[1,0]
	v_pk_fma_f32 v[112:113], v[124:125], v[112:113], v[148:149] neg_lo:[0,0,1] neg_hi:[0,0,1]
	v_pk_add_f32 v[108:109], v[108:109], 0 op_sel_hi:[1,0]
	v_dual_mov_b32 v111, v121 :: v_dual_mov_b32 v120, v119
	s_delay_alu instid0(VALU_DEP_4) | instskip(SKIP_2) | instid1(VALU_DEP_4)
	v_pk_fma_f32 v[122:123], v[126:127], v[114:115], v[140:141] op_sel_hi:[1,0,1]
	v_mov_b32_e32 v113, v143
	v_pk_fma_f32 v[114:115], v[126:127], v[114:115], v[140:141] neg_lo:[0,0,1] neg_hi:[0,0,1]
	v_pk_add_f32 v[108:109], v[108:109], v[110:111]
	v_pk_fma_f32 v[110:111], v[128:129], v[116:117], v[152:153] op_sel_hi:[1,0,1]
	v_pk_mul_f32 v[120:121], v[146:147], v[120:121] op_sel_hi:[1,0]
	v_mov_b32_e32 v115, v123
	s_delay_alu instid0(VALU_DEP_4)
	v_pk_add_f32 v[108:109], v[108:109], v[112:113]
	v_pk_fma_f32 v[112:113], v[128:129], v[116:117], v[152:153] neg_lo:[0,0,1] neg_hi:[0,0,1]
	v_mov_b32_e32 v113, v111
	v_pk_fma_f32 v[110:111], v[130:131], v[118:119], v[120:121] op_sel_hi:[1,0,1]
	v_pk_fma_f32 v[116:117], v[130:131], v[118:119], v[120:121] neg_lo:[0,0,1] neg_hi:[0,0,1]
	v_pk_add_f32 v[108:109], v[108:109], v[114:115]
	s_wait_loadcnt_dscnt 0x100
	v_pk_mul_f32 v[114:115], v[136:137], v[132:133] op_sel:[1,1] op_sel_hi:[0,1]
	v_mov_b32_e32 v117, v111
	s_delay_alu instid0(VALU_DEP_3) | instskip(NEXT) | instid1(VALU_DEP_3)
	v_pk_add_f32 v[108:109], v[108:109], v[112:113]
	v_pk_fma_f32 v[110:111], v[136:137], v[132:133], v[114:115] op_sel_hi:[1,0,1]
	v_pk_fma_f32 v[112:113], v[136:137], v[132:133], v[114:115] neg_lo:[0,0,1] neg_hi:[0,0,1]
	s_delay_alu instid0(VALU_DEP_3) | instskip(NEXT) | instid1(VALU_DEP_3)
	v_pk_add_f32 v[108:109], v[108:109], v[116:117]
	v_mov_b32_e32 v113, v111
	s_delay_alu instid0(VALU_DEP_1) | instskip(SKIP_1) | instid1(VALU_DEP_1)
	v_pk_add_f32 v[108:109], v[108:109], v[112:113]
	s_wait_loadcnt 0x0
	v_pk_add_f32 v[108:109], v[134:135], v[108:109] neg_lo:[0,1] neg_hi:[0,1]
	scratch_store_b64 off, v[108:109], off offset:360
	s_wait_xcnt 0x0
	v_cmpx_lt_u32_e32 44, v0
	s_cbranch_execz .LBB52_243
; %bb.242:
	scratch_load_b64 v[108:109], off, off offset:352
	v_mov_b64_e32 v[110:111], 0
	scratch_store_b64 off, v[110:111], off offset:352
	s_wait_loadcnt 0x0
	ds_store_b64 v1, v[108:109]
.LBB52_243:
	s_wait_xcnt 0x0
	s_or_b32 exec_lo, exec_lo, s0
	s_wait_storecnt_dscnt 0x0
	s_barrier_signal -1
	s_barrier_wait -1
	s_clause 0x4
	scratch_load_b128 v[108:111], off, off offset:360
	scratch_load_b128 v[112:115], off, off offset:376
	;; [unrolled: 1-line block ×4, first 2 shown]
	scratch_load_b64 v[140:141], off, off offset:352
	ds_load_2addr_b64 v[124:127], v5 offset0:99 offset1:100
	ds_load_2addr_b64 v[128:131], v5 offset0:101 offset1:102
	;; [unrolled: 1-line block ×4, first 2 shown]
	s_mov_b32 s0, exec_lo
	s_wait_dscnt 0x3
	v_dual_mov_b32 v142, v127 :: v_dual_mov_b32 v143, v126
	s_wait_dscnt 0x2
	v_dual_mov_b32 v144, v131 :: v_dual_mov_b32 v145, v130
	;; [unrolled: 2-line block ×3, first 2 shown]
	v_dual_mov_b32 v147, v134 :: v_dual_mov_b32 v152, v139
	s_wait_loadcnt 0x4
	v_mov_b32_e32 v150, v111
	v_pk_mul_f32 v[148:149], v[124:125], v[108:109] op_sel:[1,1] op_sel_hi:[0,1]
	s_wait_loadcnt 0x3
	v_pk_mul_f32 v[154:155], v[128:129], v[112:113] op_sel:[1,1] op_sel_hi:[0,1]
	s_wait_loadcnt 0x2
	v_pk_mul_f32 v[158:159], v[132:133], v[116:117] op_sel:[1,1] op_sel_hi:[0,1]
	v_pk_mul_f32 v[142:143], v[142:143], v[150:151] op_sel_hi:[1,0]
	v_pk_fma_f32 v[156:157], v[124:125], v[108:109], v[148:149] op_sel_hi:[1,0,1]
	v_pk_fma_f32 v[108:109], v[124:125], v[108:109], v[148:149] neg_lo:[0,0,1] neg_hi:[0,0,1]
	v_mov_b32_e32 v150, v115
	v_pk_fma_f32 v[148:149], v[128:129], v[112:113], v[154:155] op_sel_hi:[1,0,1]
	v_pk_fma_f32 v[124:125], v[126:127], v[110:111], v[142:143] op_sel_hi:[1,0,1]
	v_mov_b32_e32 v109, v157
	v_pk_fma_f32 v[110:111], v[126:127], v[110:111], v[142:143] neg_lo:[0,0,1] neg_hi:[0,0,1]
	v_pk_mul_f32 v[144:145], v[144:145], v[150:151] op_sel_hi:[1,0]
	s_delay_alu instid0(VALU_DEP_4) | instskip(NEXT) | instid1(VALU_DEP_4)
	v_dual_mov_b32 v124, v119 :: v_dual_mov_b32 v111, v125
	v_pk_add_f32 v[108:109], v[108:109], 0 op_sel_hi:[1,0]
	v_pk_fma_f32 v[112:113], v[128:129], v[112:113], v[154:155] neg_lo:[0,0,1] neg_hi:[0,0,1]
	v_mov_b32_e32 v113, v149
	v_pk_fma_f32 v[126:127], v[130:131], v[114:115], v[144:145] op_sel_hi:[1,0,1]
	v_pk_mul_f32 v[124:125], v[146:147], v[124:125] op_sel_hi:[1,0]
	v_pk_add_f32 v[108:109], v[108:109], v[110:111]
	v_pk_fma_f32 v[110:111], v[132:133], v[116:117], v[158:159] op_sel_hi:[1,0,1]
	v_pk_fma_f32 v[114:115], v[130:131], v[114:115], v[144:145] neg_lo:[0,0,1] neg_hi:[0,0,1]
	v_mov_b32_e32 v115, v127
	v_pk_fma_f32 v[116:117], v[132:133], v[116:117], v[158:159] neg_lo:[0,0,1] neg_hi:[0,0,1]
	v_pk_add_f32 v[108:109], v[108:109], v[112:113]
	v_mov_b32_e32 v117, v111
	v_pk_fma_f32 v[110:111], v[134:135], v[118:119], v[124:125] op_sel_hi:[1,0,1]
	s_wait_loadcnt 0x1
	v_pk_mul_f32 v[112:113], v[136:137], v[120:121] op_sel:[1,1] op_sel_hi:[0,1]
	v_mov_b32_e32 v110, v123
	v_pk_add_f32 v[108:109], v[108:109], v[114:115]
	v_pk_fma_f32 v[118:119], v[134:135], v[118:119], v[124:125] neg_lo:[0,0,1] neg_hi:[0,0,1]
	v_mov_b32_e32 v119, v111
	v_pk_fma_f32 v[114:115], v[136:137], v[120:121], v[112:113] op_sel_hi:[1,0,1]
	v_pk_mul_f32 v[110:111], v[152:153], v[110:111] op_sel_hi:[1,0]
	v_pk_add_f32 v[108:109], v[108:109], v[116:117]
	v_pk_fma_f32 v[112:113], v[136:137], v[120:121], v[112:113] neg_lo:[0,0,1] neg_hi:[0,0,1]
	s_delay_alu instid0(VALU_DEP_4) | instskip(NEXT) | instid1(VALU_DEP_4)
	v_mov_b32_e32 v113, v115
	v_pk_fma_f32 v[114:115], v[138:139], v[122:123], v[110:111] op_sel_hi:[1,0,1]
	s_delay_alu instid0(VALU_DEP_4) | instskip(SKIP_1) | instid1(VALU_DEP_3)
	v_pk_add_f32 v[108:109], v[108:109], v[118:119]
	v_pk_fma_f32 v[110:111], v[138:139], v[122:123], v[110:111] neg_lo:[0,0,1] neg_hi:[0,0,1]
	v_mov_b32_e32 v111, v115
	s_delay_alu instid0(VALU_DEP_3) | instskip(NEXT) | instid1(VALU_DEP_1)
	v_pk_add_f32 v[108:109], v[108:109], v[112:113]
	v_pk_add_f32 v[108:109], v[108:109], v[110:111]
	s_wait_loadcnt 0x0
	s_delay_alu instid0(VALU_DEP_1)
	v_pk_add_f32 v[108:109], v[140:141], v[108:109] neg_lo:[0,1] neg_hi:[0,1]
	scratch_store_b64 off, v[108:109], off offset:352
	s_wait_xcnt 0x0
	v_cmpx_lt_u32_e32 43, v0
	s_cbranch_execz .LBB52_245
; %bb.244:
	scratch_load_b64 v[108:109], off, off offset:344
	v_mov_b64_e32 v[110:111], 0
	scratch_store_b64 off, v[110:111], off offset:344
	s_wait_loadcnt 0x0
	ds_store_b64 v1, v[108:109]
.LBB52_245:
	s_wait_xcnt 0x0
	s_or_b32 exec_lo, exec_lo, s0
	s_wait_storecnt_dscnt 0x0
	s_barrier_signal -1
	s_barrier_wait -1
	s_clause 0x5
	scratch_load_b128 v[108:111], off, off offset:352
	scratch_load_b128 v[112:115], off, off offset:368
	;; [unrolled: 1-line block ×4, first 2 shown]
	scratch_load_b64 v[140:141], off, off offset:416
	scratch_load_b64 v[142:143], off, off offset:344
	v_mov_b32_e32 v5, 0
	ds_load_b128 v[124:127], v5 offset:784
	ds_load_b128 v[128:131], v5 offset:800
	;; [unrolled: 1-line block ×4, first 2 shown]
	ds_load_b64 v[144:145], v5 offset:848
	s_mov_b32 s0, exec_lo
	s_wait_dscnt 0x4
	v_dual_mov_b32 v146, v127 :: v_dual_mov_b32 v147, v126
	s_wait_dscnt 0x1
	v_dual_mov_b32 v148, v131 :: v_dual_mov_b32 v153, v138
	v_dual_mov_b32 v149, v130 :: v_dual_mov_b32 v150, v135
	;; [unrolled: 1-line block ×3, first 2 shown]
	s_wait_loadcnt 0x5
	v_dual_mov_b32 v154, v111 :: v_dual_mul_f32 v155, v124, v109
	v_mul_f32_e32 v9, v125, v109
	s_wait_loadcnt 0x4
	v_pk_mul_f32 v[156:157], v[128:129], v[112:113] op_sel:[1,1] op_sel_hi:[0,1]
	v_mov_b32_e32 v158, v115
	s_wait_loadcnt 0x3
	v_pk_mul_f32 v[160:161], v[132:133], v[116:117] op_sel:[1,1] op_sel_hi:[0,1]
	v_pk_mul_f32 v[146:147], v[146:147], v[154:155] op_sel_hi:[1,0]
	v_dual_fmac_f32 v155, v125, v108 :: v_dual_fma_f32 v154, v124, v108, -v9
	v_mov_b32_e32 v108, v119
	v_pk_fma_f32 v[162:163], v[128:129], v[112:113], v[156:157] op_sel_hi:[1,0,1]
	s_delay_alu instid0(VALU_DEP_4)
	v_pk_fma_f32 v[124:125], v[126:127], v[110:111], v[146:147] op_sel_hi:[1,0,1]
	v_pk_fma_f32 v[110:111], v[126:127], v[110:111], v[146:147] neg_lo:[0,0,1] neg_hi:[0,0,1]
	v_pk_mul_f32 v[148:149], v[148:149], v[158:159] op_sel_hi:[1,0]
	v_pk_add_f32 v[154:155], v[154:155], 0 op_sel_hi:[1,0]
	v_pk_fma_f32 v[112:113], v[128:129], v[112:113], v[156:157] neg_lo:[0,0,1] neg_hi:[0,0,1]
	v_dual_mov_b32 v111, v125 :: v_dual_mov_b32 v113, v163
	s_delay_alu instid0(VALU_DEP_4) | instskip(SKIP_2) | instid1(VALU_DEP_4)
	v_pk_fma_f32 v[126:127], v[130:131], v[114:115], v[148:149] op_sel_hi:[1,0,1]
	v_pk_fma_f32 v[114:115], v[130:131], v[114:115], v[148:149] neg_lo:[0,0,1] neg_hi:[0,0,1]
	v_pk_fma_f32 v[128:129], v[132:133], v[116:117], v[160:161] op_sel_hi:[1,0,1]
	v_pk_add_f32 v[110:111], v[154:155], v[110:111]
	v_pk_mul_f32 v[108:109], v[150:151], v[108:109] op_sel_hi:[1,0]
	v_mov_b32_e32 v115, v127
	v_pk_fma_f32 v[116:117], v[132:133], v[116:117], v[160:161] neg_lo:[0,0,1] neg_hi:[0,0,1]
	s_wait_loadcnt 0x2
	v_pk_mul_f32 v[124:125], v[136:137], v[120:121] op_sel:[1,1] op_sel_hi:[0,1]
	v_pk_add_f32 v[110:111], v[110:111], v[112:113]
	v_mov_b32_e32 v112, v123
	v_pk_fma_f32 v[126:127], v[134:135], v[118:119], v[108:109] op_sel_hi:[1,0,1]
	v_mov_b32_e32 v117, v129
	v_pk_fma_f32 v[108:109], v[134:135], v[118:119], v[108:109] neg_lo:[0,0,1] neg_hi:[0,0,1]
	v_pk_add_f32 v[110:111], v[110:111], v[114:115]
	v_pk_fma_f32 v[114:115], v[136:137], v[120:121], v[124:125] op_sel_hi:[1,0,1]
	v_pk_mul_f32 v[112:113], v[152:153], v[112:113] op_sel_hi:[1,0]
	v_mov_b32_e32 v109, v127
	s_delay_alu instid0(VALU_DEP_4)
	v_pk_add_f32 v[110:111], v[110:111], v[116:117]
	v_pk_fma_f32 v[116:117], v[136:137], v[120:121], v[124:125] neg_lo:[0,0,1] neg_hi:[0,0,1]
	v_mov_b32_e32 v117, v115
	v_pk_fma_f32 v[114:115], v[138:139], v[122:123], v[112:113] op_sel_hi:[1,0,1]
	v_pk_fma_f32 v[112:113], v[138:139], v[122:123], v[112:113] neg_lo:[0,0,1] neg_hi:[0,0,1]
	v_pk_add_f32 v[108:109], v[110:111], v[108:109]
	s_wait_loadcnt_dscnt 0x100
	v_pk_mul_f32 v[110:111], v[144:145], v[140:141] op_sel:[1,1] op_sel_hi:[0,1]
	v_mov_b32_e32 v113, v115
	s_delay_alu instid0(VALU_DEP_3) | instskip(NEXT) | instid1(VALU_DEP_3)
	v_pk_add_f32 v[108:109], v[108:109], v[116:117]
	v_pk_fma_f32 v[114:115], v[144:145], v[140:141], v[110:111] op_sel_hi:[1,0,1]
	v_pk_fma_f32 v[110:111], v[144:145], v[140:141], v[110:111] neg_lo:[0,0,1] neg_hi:[0,0,1]
	s_delay_alu instid0(VALU_DEP_3) | instskip(NEXT) | instid1(VALU_DEP_3)
	v_pk_add_f32 v[108:109], v[108:109], v[112:113]
	v_mov_b32_e32 v111, v115
	s_delay_alu instid0(VALU_DEP_1) | instskip(SKIP_1) | instid1(VALU_DEP_1)
	v_pk_add_f32 v[108:109], v[108:109], v[110:111]
	s_wait_loadcnt 0x0
	v_pk_add_f32 v[108:109], v[142:143], v[108:109] neg_lo:[0,1] neg_hi:[0,1]
	scratch_store_b64 off, v[108:109], off offset:344
	s_wait_xcnt 0x0
	v_cmpx_lt_u32_e32 42, v0
	s_cbranch_execz .LBB52_247
; %bb.246:
	scratch_load_b64 v[108:109], off, off offset:336
	v_mov_b64_e32 v[110:111], 0
	scratch_store_b64 off, v[110:111], off offset:336
	s_wait_loadcnt 0x0
	ds_store_b64 v1, v[108:109]
.LBB52_247:
	s_wait_xcnt 0x0
	s_or_b32 exec_lo, exec_lo, s0
	s_wait_storecnt_dscnt 0x0
	s_barrier_signal -1
	s_barrier_wait -1
	s_clause 0x5
	scratch_load_b128 v[108:111], off, off offset:344
	scratch_load_b128 v[112:115], off, off offset:360
	;; [unrolled: 1-line block ×5, first 2 shown]
	scratch_load_b64 v[148:149], off, off offset:336
	ds_load_2addr_b64 v[128:131], v5 offset0:99 offset1:100
	ds_load_2addr_b64 v[132:135], v5 offset0:101 offset1:102
	;; [unrolled: 1-line block ×5, first 2 shown]
	s_mov_b32 s0, exec_lo
	s_wait_dscnt 0x4
	v_dual_mov_b32 v150, v131 :: v_dual_mov_b32 v151, v130
	s_wait_dscnt 0x3
	v_dual_mov_b32 v152, v135 :: v_dual_mov_b32 v153, v134
	;; [unrolled: 2-line block ×4, first 2 shown]
	s_wait_loadcnt_dscnt 0x500
	v_dual_mul_f32 v159, v144, v109 :: v_dual_mul_f32 v161, v146, v111
	v_dual_mul_f32 v5, v145, v109 :: v_dual_mul_f32 v9, v147, v111
	s_wait_loadcnt 0x4
	v_pk_mul_f32 v[162:163], v[128:129], v[112:113] op_sel:[1,1] op_sel_hi:[0,1]
	s_wait_loadcnt 0x3
	v_dual_mov_b32 v164, v115 :: v_dual_mov_b32 v168, v119
	v_dual_fmac_f32 v159, v145, v108 :: v_dual_fma_f32 v158, v144, v108, -v5
	v_fma_f32 v160, v146, v110, -v9
	v_pk_fma_f32 v[108:109], v[128:129], v[112:113], v[162:163] op_sel_hi:[1,0,1]
	v_fmac_f32_e32 v161, v147, v110
	v_pk_mul_f32 v[110:111], v[150:151], v[164:165] op_sel_hi:[1,0]
	v_pk_fma_f32 v[112:113], v[128:129], v[112:113], v[162:163] neg_lo:[0,0,1] neg_hi:[0,0,1]
	v_pk_add_f32 v[144:145], v[158:159], 0 op_sel_hi:[1,0]
	v_mov_b32_e32 v113, v109
	v_pk_mul_f32 v[166:167], v[132:133], v[116:117] op_sel:[1,1] op_sel_hi:[0,1]
	v_pk_fma_f32 v[108:109], v[130:131], v[114:115], v[110:111] op_sel_hi:[1,0,1]
	v_pk_fma_f32 v[110:111], v[130:131], v[114:115], v[110:111] neg_lo:[0,0,1] neg_hi:[0,0,1]
	v_pk_mul_f32 v[150:151], v[152:153], v[168:169] op_sel_hi:[1,0]
	s_wait_loadcnt 0x2
	v_pk_mul_f32 v[146:147], v[136:137], v[120:121] op_sel:[1,1] op_sel_hi:[0,1]
	v_pk_fma_f32 v[114:115], v[132:133], v[116:117], v[166:167] neg_lo:[0,0,1] neg_hi:[0,0,1]
	v_mov_b32_e32 v111, v109
	v_pk_add_f32 v[128:129], v[144:145], v[160:161]
	v_pk_fma_f32 v[144:145], v[132:133], v[116:117], v[166:167] op_sel_hi:[1,0,1]
	v_pk_fma_f32 v[116:117], v[134:135], v[118:119], v[150:151] op_sel_hi:[1,0,1]
	v_pk_fma_f32 v[118:119], v[134:135], v[118:119], v[150:151] neg_lo:[0,0,1] neg_hi:[0,0,1]
	s_delay_alu instid0(VALU_DEP_4) | instskip(NEXT) | instid1(VALU_DEP_4)
	v_pk_add_f32 v[108:109], v[128:129], v[112:113]
	v_dual_mov_b32 v112, v123 :: v_dual_mov_b32 v115, v145
	s_delay_alu instid0(VALU_DEP_2) | instskip(SKIP_1) | instid1(VALU_DEP_3)
	v_pk_add_f32 v[108:109], v[108:109], v[110:111]
	v_pk_fma_f32 v[110:111], v[136:137], v[120:121], v[146:147] op_sel_hi:[1,0,1]
	v_pk_mul_f32 v[112:113], v[154:155], v[112:113] op_sel_hi:[1,0]
	v_mov_b32_e32 v119, v117
	v_pk_fma_f32 v[116:117], v[136:137], v[120:121], v[146:147] neg_lo:[0,0,1] neg_hi:[0,0,1]
	v_pk_add_f32 v[108:109], v[108:109], v[114:115]
	v_mov_b32_e32 v117, v111
	v_pk_fma_f32 v[110:111], v[138:139], v[122:123], v[112:113] op_sel_hi:[1,0,1]
	s_wait_loadcnt 0x1
	v_pk_mul_f32 v[114:115], v[140:141], v[124:125] op_sel:[1,1] op_sel_hi:[0,1]
	v_mov_b32_e32 v110, v127
	v_pk_add_f32 v[108:109], v[108:109], v[118:119]
	v_pk_fma_f32 v[112:113], v[138:139], v[122:123], v[112:113] neg_lo:[0,0,1] neg_hi:[0,0,1]
	v_mov_b32_e32 v113, v111
	v_pk_fma_f32 v[118:119], v[140:141], v[124:125], v[114:115] op_sel_hi:[1,0,1]
	v_pk_mul_f32 v[110:111], v[156:157], v[110:111] op_sel_hi:[1,0]
	v_pk_add_f32 v[108:109], v[108:109], v[116:117]
	v_pk_fma_f32 v[114:115], v[140:141], v[124:125], v[114:115] neg_lo:[0,0,1] neg_hi:[0,0,1]
	s_delay_alu instid0(VALU_DEP_2) | instskip(NEXT) | instid1(VALU_DEP_4)
	v_pk_add_f32 v[108:109], v[108:109], v[112:113]
	v_pk_fma_f32 v[112:113], v[142:143], v[126:127], v[110:111] op_sel_hi:[1,0,1]
	v_mov_b32_e32 v115, v119
	v_pk_fma_f32 v[110:111], v[142:143], v[126:127], v[110:111] neg_lo:[0,0,1] neg_hi:[0,0,1]
	s_delay_alu instid0(VALU_DEP_3) | instskip(NEXT) | instid1(VALU_DEP_3)
	v_mov_b32_e32 v111, v113
	v_pk_add_f32 v[108:109], v[108:109], v[114:115]
	s_delay_alu instid0(VALU_DEP_1) | instskip(SKIP_1) | instid1(VALU_DEP_1)
	v_pk_add_f32 v[108:109], v[108:109], v[110:111]
	s_wait_loadcnt 0x0
	v_pk_add_f32 v[108:109], v[148:149], v[108:109] neg_lo:[0,1] neg_hi:[0,1]
	scratch_store_b64 off, v[108:109], off offset:336
	s_wait_xcnt 0x0
	v_cmpx_lt_u32_e32 41, v0
	s_cbranch_execz .LBB52_249
; %bb.248:
	scratch_load_b64 v[108:109], off, off offset:328
	v_mov_b64_e32 v[110:111], 0
	scratch_store_b64 off, v[110:111], off offset:328
	s_wait_loadcnt 0x0
	ds_store_b64 v1, v[108:109]
.LBB52_249:
	s_wait_xcnt 0x0
	s_or_b32 exec_lo, exec_lo, s0
	s_wait_storecnt_dscnt 0x0
	s_barrier_signal -1
	s_barrier_wait -1
	s_clause 0x6
	scratch_load_b128 v[108:111], off, off offset:336
	scratch_load_b128 v[112:115], off, off offset:352
	;; [unrolled: 1-line block ×5, first 2 shown]
	scratch_load_b64 v[148:149], off, off offset:416
	scratch_load_b64 v[150:151], off, off offset:328
	v_mov_b32_e32 v5, 0
	ds_load_b128 v[128:131], v5 offset:784
	ds_load_b128 v[132:135], v5 offset:800
	;; [unrolled: 1-line block ×5, first 2 shown]
	ds_load_b64 v[152:153], v5 offset:848
	s_mov_b32 s0, exec_lo
	s_wait_dscnt 0x5
	v_dual_mov_b32 v154, v131 :: v_dual_mov_b32 v155, v130
	s_wait_dscnt 0x2
	v_dual_mov_b32 v156, v135 :: v_dual_mov_b32 v161, v142
	v_dual_mov_b32 v157, v134 :: v_dual_mov_b32 v158, v139
	;; [unrolled: 1-line block ×3, first 2 shown]
	s_wait_loadcnt_dscnt 0x601
	v_dual_mul_f32 v9, v144, v109 :: v_dual_mul_f32 v11, v145, v109
	v_dual_mul_f32 v13, v147, v111 :: v_dual_mul_f32 v163, v146, v111
	s_wait_loadcnt 0x5
	v_dual_mul_f32 v165, v128, v113 :: v_dual_mul_f32 v15, v129, v113
	s_wait_loadcnt 0x4
	v_dual_mov_b32 v164, v115 :: v_dual_mov_b32 v168, v119
	v_dual_fmac_f32 v9, v145, v108 :: v_dual_fma_f32 v11, v144, v108, -v11
	v_dual_fma_f32 v162, v146, v110, -v13 :: v_dual_fmac_f32 v163, v147, v110
	s_delay_alu instid0(VALU_DEP_3) | instskip(NEXT) | instid1(VALU_DEP_3)
	v_pk_mul_f32 v[108:109], v[154:155], v[164:165] op_sel_hi:[1,0]
	v_dual_add_f32 v111, 0, v9 :: v_dual_add_f32 v110, 0, v11
	s_wait_loadcnt 0x3
	v_mov_b32_e32 v144, v123
	v_pk_mul_f32 v[166:167], v[132:133], v[116:117] op_sel:[1,1] op_sel_hi:[0,1]
	v_dual_fmac_f32 v165, v129, v112 :: v_dual_fma_f32 v164, v128, v112, -v15
	v_pk_fma_f32 v[112:113], v[130:131], v[114:115], v[108:109] op_sel_hi:[1,0,1]
	v_pk_add_f32 v[110:111], v[110:111], v[162:163]
	v_pk_fma_f32 v[108:109], v[130:131], v[114:115], v[108:109] neg_lo:[0,0,1] neg_hi:[0,0,1]
	v_pk_fma_f32 v[128:129], v[132:133], v[116:117], v[166:167] op_sel_hi:[1,0,1]
	v_pk_mul_f32 v[146:147], v[156:157], v[168:169] op_sel_hi:[1,0]
	v_mov_b32_e32 v109, v113
	v_pk_add_f32 v[110:111], v[110:111], v[164:165]
	v_pk_fma_f32 v[114:115], v[132:133], v[116:117], v[166:167] neg_lo:[0,0,1] neg_hi:[0,0,1]
	v_pk_mul_f32 v[170:171], v[136:137], v[120:121] op_sel:[1,1] op_sel_hi:[0,1]
	v_mov_b32_e32 v115, v129
	v_pk_fma_f32 v[116:117], v[134:135], v[118:119], v[146:147] op_sel_hi:[1,0,1]
	v_pk_add_f32 v[108:109], v[110:111], v[108:109]
	v_pk_fma_f32 v[118:119], v[134:135], v[118:119], v[146:147] neg_lo:[0,0,1] neg_hi:[0,0,1]
	v_pk_fma_f32 v[110:111], v[136:137], v[120:121], v[170:171] op_sel_hi:[1,0,1]
	v_pk_mul_f32 v[128:129], v[158:159], v[144:145] op_sel_hi:[1,0]
	s_wait_loadcnt 0x2
	v_dual_mov_b32 v119, v117 :: v_dual_mov_b32 v110, v127
	v_pk_add_f32 v[108:109], v[108:109], v[114:115]
	v_pk_fma_f32 v[114:115], v[136:137], v[120:121], v[170:171] neg_lo:[0,0,1] neg_hi:[0,0,1]
	v_pk_mul_f32 v[112:113], v[140:141], v[124:125] op_sel:[1,1] op_sel_hi:[0,1]
	v_pk_fma_f32 v[116:117], v[138:139], v[122:123], v[128:129] op_sel_hi:[1,0,1]
	v_mov_b32_e32 v115, v111
	v_pk_add_f32 v[108:109], v[108:109], v[118:119]
	v_pk_fma_f32 v[120:121], v[138:139], v[122:123], v[128:129] neg_lo:[0,0,1] neg_hi:[0,0,1]
	v_pk_fma_f32 v[118:119], v[140:141], v[124:125], v[112:113] op_sel_hi:[1,0,1]
	v_pk_mul_f32 v[110:111], v[160:161], v[110:111] op_sel_hi:[1,0]
	v_mov_b32_e32 v121, v117
	v_pk_add_f32 v[108:109], v[108:109], v[114:115]
	v_pk_fma_f32 v[112:113], v[140:141], v[124:125], v[112:113] neg_lo:[0,0,1] neg_hi:[0,0,1]
	s_wait_loadcnt_dscnt 0x100
	v_pk_mul_f32 v[116:117], v[152:153], v[148:149] op_sel:[1,1] op_sel_hi:[0,1]
	v_pk_fma_f32 v[114:115], v[142:143], v[126:127], v[110:111] op_sel_hi:[1,0,1]
	v_mov_b32_e32 v113, v119
	v_pk_add_f32 v[108:109], v[108:109], v[120:121]
	v_pk_fma_f32 v[110:111], v[142:143], v[126:127], v[110:111] neg_lo:[0,0,1] neg_hi:[0,0,1]
	s_delay_alu instid0(VALU_DEP_4) | instskip(SKIP_1) | instid1(VALU_DEP_4)
	v_mov_b32_e32 v111, v115
	v_pk_fma_f32 v[114:115], v[152:153], v[148:149], v[116:117] neg_lo:[0,0,1] neg_hi:[0,0,1]
	v_pk_add_f32 v[108:109], v[108:109], v[112:113]
	v_pk_fma_f32 v[112:113], v[152:153], v[148:149], v[116:117] op_sel_hi:[1,0,1]
	s_delay_alu instid0(VALU_DEP_2) | instskip(NEXT) | instid1(VALU_DEP_2)
	v_pk_add_f32 v[108:109], v[108:109], v[110:111]
	v_mov_b32_e32 v115, v113
	s_delay_alu instid0(VALU_DEP_1) | instskip(SKIP_1) | instid1(VALU_DEP_1)
	v_pk_add_f32 v[108:109], v[108:109], v[114:115]
	s_wait_loadcnt 0x0
	v_pk_add_f32 v[108:109], v[150:151], v[108:109] neg_lo:[0,1] neg_hi:[0,1]
	scratch_store_b64 off, v[108:109], off offset:328
	s_wait_xcnt 0x0
	v_cmpx_lt_u32_e32 40, v0
	s_cbranch_execz .LBB52_251
; %bb.250:
	scratch_load_b64 v[108:109], off, off offset:320
	v_mov_b64_e32 v[110:111], 0
	scratch_store_b64 off, v[110:111], off offset:320
	s_wait_loadcnt 0x0
	ds_store_b64 v1, v[108:109]
.LBB52_251:
	s_wait_xcnt 0x0
	s_or_b32 exec_lo, exec_lo, s0
	s_wait_storecnt_dscnt 0x0
	s_barrier_signal -1
	s_barrier_wait -1
	s_clause 0x6
	scratch_load_b128 v[108:111], off, off offset:328
	scratch_load_b128 v[112:115], off, off offset:344
	;; [unrolled: 1-line block ×6, first 2 shown]
	scratch_load_b64 v[156:157], off, off offset:320
	ds_load_2addr_b64 v[132:135], v5 offset0:99 offset1:100
	ds_load_2addr_b64 v[136:139], v5 offset0:101 offset1:102
	;; [unrolled: 1-line block ×6, first 2 shown]
	s_mov_b32 s0, exec_lo
	s_wait_dscnt 0x5
	v_dual_mov_b32 v158, v135 :: v_dual_mov_b32 v159, v134
	s_wait_dscnt 0x4
	v_dual_mov_b32 v160, v139 :: v_dual_mov_b32 v161, v138
	;; [unrolled: 2-line block ×4, first 2 shown]
	s_wait_loadcnt_dscnt 0x601
	v_dual_mul_f32 v5, v148, v109 :: v_dual_mul_f32 v9, v150, v111
	v_dual_mul_f32 v11, v149, v109 :: v_dual_mul_f32 v13, v151, v111
	s_wait_loadcnt 0x4
	s_delay_alu instid0(VALU_DEP_2)
	v_dual_mov_b32 v172, v119 :: v_dual_fmac_f32 v5, v149, v108
	s_wait_dscnt 0x0
	v_dual_mul_f32 v167, v152, v113 :: v_dual_mul_f32 v169, v154, v115
	v_dual_fma_f32 v11, v148, v108, -v11 :: v_dual_fmac_f32 v9, v151, v110
	v_dual_mul_f32 v15, v153, v113 :: v_dual_mul_f32 v17, v155, v115
	v_dual_fma_f32 v13, v150, v110, -v13 :: v_dual_add_f32 v5, 0, v5
	s_wait_loadcnt 0x3
	s_delay_alu instid0(VALU_DEP_3)
	v_dual_add_f32 v11, 0, v11 :: v_dual_mov_b32 v110, v123
	v_pk_mul_f32 v[170:171], v[132:133], v[116:117] op_sel:[1,1] op_sel_hi:[0,1]
	v_pk_mul_f32 v[108:109], v[136:137], v[120:121] op_sel:[1,1] op_sel_hi:[0,1]
	v_fmac_f32_e32 v167, v153, v112
	v_dual_fma_f32 v166, v152, v112, -v15 :: v_dual_add_f32 v113, v5, v9
	v_add_f32_e32 v112, v11, v13
	v_fmac_f32_e32 v169, v155, v114
	v_fma_f32 v168, v154, v114, -v17
	v_pk_fma_f32 v[114:115], v[132:133], v[116:117], v[170:171] op_sel_hi:[1,0,1]
	v_pk_mul_f32 v[148:149], v[158:159], v[172:173] op_sel_hi:[1,0]
	v_pk_add_f32 v[112:113], v[112:113], v[166:167]
	v_pk_fma_f32 v[116:117], v[132:133], v[116:117], v[170:171] neg_lo:[0,0,1] neg_hi:[0,0,1]
	v_pk_fma_f32 v[132:133], v[136:137], v[120:121], v[108:109] op_sel_hi:[1,0,1]
	v_pk_fma_f32 v[108:109], v[136:137], v[120:121], v[108:109] neg_lo:[0,0,1] neg_hi:[0,0,1]
	v_mov_b32_e32 v117, v115
	v_pk_fma_f32 v[114:115], v[134:135], v[118:119], v[148:149] op_sel_hi:[1,0,1]
	v_pk_fma_f32 v[118:119], v[134:135], v[118:119], v[148:149] neg_lo:[0,0,1] neg_hi:[0,0,1]
	v_mov_b32_e32 v109, v133
	v_pk_add_f32 v[112:113], v[112:113], v[168:169]
	v_pk_mul_f32 v[110:111], v[160:161], v[110:111] op_sel_hi:[1,0]
	s_wait_loadcnt 0x2
	v_dual_mov_b32 v119, v115 :: v_dual_mov_b32 v114, v127
	v_pk_mul_f32 v[150:151], v[140:141], v[124:125] op_sel:[1,1] op_sel_hi:[0,1]
	v_pk_add_f32 v[112:113], v[112:113], v[116:117]
	v_pk_fma_f32 v[116:117], v[138:139], v[122:123], v[110:111] op_sel_hi:[1,0,1]
	v_pk_fma_f32 v[110:111], v[138:139], v[122:123], v[110:111] neg_lo:[0,0,1] neg_hi:[0,0,1]
	v_pk_mul_f32 v[114:115], v[162:163], v[114:115] op_sel_hi:[1,0]
	s_delay_alu instid0(VALU_DEP_4) | instskip(SKIP_3) | instid1(VALU_DEP_4)
	v_pk_add_f32 v[112:113], v[112:113], v[118:119]
	v_pk_fma_f32 v[118:119], v[140:141], v[124:125], v[150:151] op_sel_hi:[1,0,1]
	v_mov_b32_e32 v111, v117
	v_pk_fma_f32 v[116:117], v[140:141], v[124:125], v[150:151] neg_lo:[0,0,1] neg_hi:[0,0,1]
	v_pk_add_f32 v[108:109], v[112:113], v[108:109]
	s_wait_loadcnt 0x1
	v_pk_mul_f32 v[112:113], v[144:145], v[128:129] op_sel:[1,1] op_sel_hi:[0,1]
	v_mov_b32_e32 v117, v119
	v_pk_fma_f32 v[118:119], v[142:143], v[126:127], v[114:115] op_sel_hi:[1,0,1]
	v_pk_fma_f32 v[114:115], v[142:143], v[126:127], v[114:115] neg_lo:[0,0,1] neg_hi:[0,0,1]
	v_pk_add_f32 v[108:109], v[108:109], v[110:111]
	v_mov_b32_e32 v110, v131
	v_pk_fma_f32 v[120:121], v[144:145], v[128:129], v[112:113] op_sel_hi:[1,0,1]
	v_mov_b32_e32 v115, v119
	v_pk_fma_f32 v[112:113], v[144:145], v[128:129], v[112:113] neg_lo:[0,0,1] neg_hi:[0,0,1]
	v_pk_add_f32 v[108:109], v[108:109], v[116:117]
	v_pk_mul_f32 v[110:111], v[164:165], v[110:111] op_sel_hi:[1,0]
	s_delay_alu instid0(VALU_DEP_2) | instskip(NEXT) | instid1(VALU_DEP_2)
	v_pk_add_f32 v[108:109], v[108:109], v[114:115]
	v_pk_fma_f32 v[114:115], v[146:147], v[130:131], v[110:111] op_sel_hi:[1,0,1]
	v_mov_b32_e32 v113, v121
	v_pk_fma_f32 v[110:111], v[146:147], v[130:131], v[110:111] neg_lo:[0,0,1] neg_hi:[0,0,1]
	s_delay_alu instid0(VALU_DEP_3) | instskip(NEXT) | instid1(VALU_DEP_3)
	v_mov_b32_e32 v111, v115
	v_pk_add_f32 v[108:109], v[108:109], v[112:113]
	s_delay_alu instid0(VALU_DEP_1) | instskip(SKIP_1) | instid1(VALU_DEP_1)
	v_pk_add_f32 v[108:109], v[108:109], v[110:111]
	s_wait_loadcnt 0x0
	v_pk_add_f32 v[108:109], v[156:157], v[108:109] neg_lo:[0,1] neg_hi:[0,1]
	scratch_store_b64 off, v[108:109], off offset:320
	s_wait_xcnt 0x0
	v_cmpx_lt_u32_e32 39, v0
	s_cbranch_execz .LBB52_253
; %bb.252:
	scratch_load_b64 v[108:109], off, off offset:312
	v_mov_b64_e32 v[110:111], 0
	scratch_store_b64 off, v[110:111], off offset:312
	s_wait_loadcnt 0x0
	ds_store_b64 v1, v[108:109]
.LBB52_253:
	s_wait_xcnt 0x0
	s_or_b32 exec_lo, exec_lo, s0
	s_wait_storecnt_dscnt 0x0
	s_barrier_signal -1
	s_barrier_wait -1
	s_clause 0x7
	scratch_load_b128 v[108:111], off, off offset:320
	scratch_load_b128 v[112:115], off, off offset:336
	;; [unrolled: 1-line block ×6, first 2 shown]
	scratch_load_b64 v[156:157], off, off offset:416
	scratch_load_b64 v[158:159], off, off offset:312
	v_mov_b32_e32 v5, 0
	ds_load_b128 v[132:135], v5 offset:784
	ds_load_b128 v[136:139], v5 offset:800
	;; [unrolled: 1-line block ×6, first 2 shown]
	ds_load_b64 v[160:161], v5 offset:848
	s_mov_b32 s0, exec_lo
	s_wait_dscnt 0x6
	v_dual_mov_b32 v162, v135 :: v_dual_mov_b32 v163, v134
	s_wait_dscnt 0x3
	v_dual_mov_b32 v164, v139 :: v_dual_mov_b32 v169, v146
	v_dual_mov_b32 v165, v138 :: v_dual_mov_b32 v166, v143
	;; [unrolled: 1-line block ×3, first 2 shown]
	s_wait_loadcnt_dscnt 0x702
	v_dual_mul_f32 v9, v148, v109 :: v_dual_mul_f32 v15, v149, v109
	v_dual_mul_f32 v17, v151, v111 :: v_dual_mul_f32 v11, v150, v111
	s_wait_loadcnt_dscnt 0x601
	s_delay_alu instid0(VALU_DEP_2) | instskip(NEXT) | instid1(VALU_DEP_3)
	v_dual_mul_f32 v13, v152, v113 :: v_dual_fmac_f32 v9, v149, v108
	v_dual_fma_f32 v15, v148, v108, -v15 :: v_dual_mul_f32 v19, v153, v113
	v_mul_f32_e32 v21, v155, v115
	s_wait_loadcnt 0x4
	v_dual_mov_b32 v108, v123 :: v_dual_fma_f32 v17, v150, v110, -v17
	v_dual_fmac_f32 v11, v151, v110 :: v_dual_add_f32 v9, 0, v9
	v_dual_add_f32 v15, 0, v15 :: v_dual_fmac_f32 v13, v153, v112
	v_dual_mul_f32 v171, v154, v115 :: v_dual_mul_f32 v173, v132, v117
	v_dual_mul_f32 v23, v133, v117 :: v_dual_mov_b32 v172, v119
	s_delay_alu instid0(VALU_DEP_4) | instskip(NEXT) | instid1(VALU_DEP_4)
	v_dual_fma_f32 v19, v152, v112, -v19 :: v_dual_add_f32 v9, v9, v11
	v_dual_add_f32 v11, v15, v17 :: v_dual_fma_f32 v170, v154, v114, -v21
	s_delay_alu instid0(VALU_DEP_4) | instskip(NEXT) | instid1(VALU_DEP_4)
	v_fmac_f32_e32 v171, v155, v114
	v_pk_mul_f32 v[112:113], v[162:163], v[172:173] op_sel_hi:[1,0]
	s_delay_alu instid0(VALU_DEP_3)
	v_dual_add_f32 v115, v9, v13 :: v_dual_add_f32 v114, v11, v19
	v_fmac_f32_e32 v173, v133, v116
	v_pk_mul_f32 v[174:175], v[136:137], v[120:121] op_sel:[1,1] op_sel_hi:[0,1]
	s_wait_loadcnt 0x3
	v_dual_mov_b32 v148, v127 :: v_dual_fma_f32 v172, v132, v116, -v23
	v_pk_fma_f32 v[116:117], v[134:135], v[118:119], v[112:113] op_sel_hi:[1,0,1]
	v_pk_add_f32 v[114:115], v[114:115], v[170:171]
	v_pk_fma_f32 v[112:113], v[134:135], v[118:119], v[112:113] neg_lo:[0,0,1] neg_hi:[0,0,1]
	v_pk_fma_f32 v[132:133], v[136:137], v[120:121], v[174:175] op_sel_hi:[1,0,1]
	v_pk_mul_f32 v[108:109], v[164:165], v[108:109] op_sel_hi:[1,0]
	v_mov_b32_e32 v113, v117
	v_pk_add_f32 v[114:115], v[114:115], v[172:173]
	v_pk_fma_f32 v[118:119], v[136:137], v[120:121], v[174:175] neg_lo:[0,0,1] neg_hi:[0,0,1]
	v_pk_mul_f32 v[110:111], v[140:141], v[124:125] op_sel:[1,1] op_sel_hi:[0,1]
	v_mov_b32_e32 v119, v133
	v_pk_fma_f32 v[120:121], v[138:139], v[122:123], v[108:109] op_sel_hi:[1,0,1]
	v_pk_add_f32 v[112:113], v[114:115], v[112:113]
	v_pk_fma_f32 v[108:109], v[138:139], v[122:123], v[108:109] neg_lo:[0,0,1] neg_hi:[0,0,1]
	v_pk_fma_f32 v[114:115], v[140:141], v[124:125], v[110:111] op_sel_hi:[1,0,1]
	v_pk_mul_f32 v[132:133], v[166:167], v[148:149] op_sel_hi:[1,0]
	s_wait_loadcnt 0x2
	v_dual_mov_b32 v109, v121 :: v_dual_mov_b32 v114, v131
	v_pk_add_f32 v[112:113], v[112:113], v[118:119]
	v_pk_fma_f32 v[110:111], v[140:141], v[124:125], v[110:111] neg_lo:[0,0,1] neg_hi:[0,0,1]
	v_pk_mul_f32 v[116:117], v[144:145], v[128:129] op_sel:[1,1] op_sel_hi:[0,1]
	v_pk_fma_f32 v[118:119], v[142:143], v[126:127], v[132:133] op_sel_hi:[1,0,1]
	v_mov_b32_e32 v111, v115
	v_pk_add_f32 v[108:109], v[112:113], v[108:109]
	v_pk_fma_f32 v[120:121], v[142:143], v[126:127], v[132:133] neg_lo:[0,0,1] neg_hi:[0,0,1]
	v_pk_fma_f32 v[112:113], v[144:145], v[128:129], v[116:117] op_sel_hi:[1,0,1]
	v_pk_mul_f32 v[114:115], v[168:169], v[114:115] op_sel_hi:[1,0]
	v_mov_b32_e32 v121, v119
	v_pk_add_f32 v[108:109], v[108:109], v[110:111]
	v_pk_fma_f32 v[110:111], v[144:145], v[128:129], v[116:117] neg_lo:[0,0,1] neg_hi:[0,0,1]
	v_mov_b32_e32 v111, v113
	v_pk_fma_f32 v[112:113], v[146:147], v[130:131], v[114:115] op_sel_hi:[1,0,1]
	s_wait_loadcnt_dscnt 0x100
	v_pk_mul_f32 v[116:117], v[160:161], v[156:157] op_sel:[1,1] op_sel_hi:[0,1]
	v_pk_add_f32 v[108:109], v[108:109], v[120:121]
	v_pk_fma_f32 v[114:115], v[146:147], v[130:131], v[114:115] neg_lo:[0,0,1] neg_hi:[0,0,1]
	v_mov_b32_e32 v115, v113
	s_delay_alu instid0(VALU_DEP_4) | instskip(NEXT) | instid1(VALU_DEP_4)
	v_pk_fma_f32 v[112:113], v[160:161], v[156:157], v[116:117] neg_lo:[0,0,1] neg_hi:[0,0,1]
	v_pk_add_f32 v[108:109], v[108:109], v[110:111]
	v_pk_fma_f32 v[110:111], v[160:161], v[156:157], v[116:117] op_sel_hi:[1,0,1]
	s_delay_alu instid0(VALU_DEP_2) | instskip(NEXT) | instid1(VALU_DEP_2)
	v_pk_add_f32 v[108:109], v[108:109], v[114:115]
	v_mov_b32_e32 v113, v111
	s_delay_alu instid0(VALU_DEP_1) | instskip(SKIP_1) | instid1(VALU_DEP_1)
	v_pk_add_f32 v[108:109], v[108:109], v[112:113]
	s_wait_loadcnt 0x0
	v_pk_add_f32 v[108:109], v[158:159], v[108:109] neg_lo:[0,1] neg_hi:[0,1]
	scratch_store_b64 off, v[108:109], off offset:312
	s_wait_xcnt 0x0
	v_cmpx_lt_u32_e32 38, v0
	s_cbranch_execz .LBB52_255
; %bb.254:
	scratch_load_b64 v[108:109], off, off offset:304
	v_mov_b64_e32 v[110:111], 0
	scratch_store_b64 off, v[110:111], off offset:304
	s_wait_loadcnt 0x0
	ds_store_b64 v1, v[108:109]
.LBB52_255:
	s_wait_xcnt 0x0
	s_or_b32 exec_lo, exec_lo, s0
	s_wait_storecnt_dscnt 0x0
	s_barrier_signal -1
	s_barrier_wait -1
	s_clause 0x7
	scratch_load_b128 v[108:111], off, off offset:312
	scratch_load_b128 v[112:115], off, off offset:328
	;; [unrolled: 1-line block ×7, first 2 shown]
	scratch_load_b64 v[164:165], off, off offset:304
	ds_load_2addr_b64 v[136:139], v5 offset0:99 offset1:100
	ds_load_2addr_b64 v[140:143], v5 offset0:101 offset1:102
	;; [unrolled: 1-line block ×7, first 2 shown]
	s_mov_b32 s0, exec_lo
	s_wait_dscnt 0x6
	v_dual_mov_b32 v166, v139 :: v_dual_mov_b32 v167, v138
	s_wait_dscnt 0x5
	v_dual_mov_b32 v168, v143 :: v_dual_mov_b32 v169, v142
	s_wait_dscnt 0x4
	v_dual_mov_b32 v170, v147 :: v_dual_mov_b32 v171, v146
	s_wait_dscnt 0x3
	v_dual_mov_b32 v172, v151 :: v_dual_mov_b32 v173, v150
	s_wait_loadcnt_dscnt 0x702
	v_dual_mul_f32 v5, v152, v109 :: v_dual_mul_f32 v9, v154, v111
	v_dual_mul_f32 v15, v153, v109 :: v_dual_mul_f32 v17, v155, v111
	s_wait_loadcnt_dscnt 0x601
	v_dual_mul_f32 v11, v156, v113 :: v_dual_mul_f32 v13, v158, v115
	s_delay_alu instid0(VALU_DEP_2) | instskip(SKIP_1) | instid1(VALU_DEP_2)
	v_dual_fmac_f32 v5, v153, v108 :: v_dual_fma_f32 v15, v152, v108, -v15
	v_dual_mul_f32 v19, v157, v113 :: v_dual_mul_f32 v21, v159, v115
	v_dual_fmac_f32 v9, v155, v110 :: v_dual_add_f32 v5, 0, v5
	s_delay_alu instid0(VALU_DEP_3) | instskip(SKIP_2) | instid1(VALU_DEP_3)
	v_dual_fma_f32 v17, v154, v110, -v17 :: v_dual_add_f32 v15, 0, v15
	s_wait_loadcnt 0x4
	v_dual_mov_b32 v110, v123 :: v_dual_fmac_f32 v11, v157, v112
	v_dual_fma_f32 v19, v156, v112, -v19 :: v_dual_add_f32 v5, v5, v9
	s_delay_alu instid0(VALU_DEP_3)
	v_dual_add_f32 v9, v15, v17 :: v_dual_fma_f32 v15, v158, v114, -v21
	s_wait_dscnt 0x0
	v_dual_mul_f32 v175, v160, v117 :: v_dual_mul_f32 v177, v162, v119
	v_dual_mul_f32 v23, v161, v117 :: v_dual_mul_f32 v25, v163, v119
	v_dual_fmac_f32 v13, v159, v114 :: v_dual_add_f32 v5, v5, v11
	s_wait_loadcnt 0x3
	v_dual_add_f32 v9, v9, v19 :: v_dual_mov_b32 v114, v127
	v_pk_mul_f32 v[108:109], v[136:137], v[120:121] op_sel:[1,1] op_sel_hi:[0,1]
	v_dual_fmac_f32 v175, v161, v116 :: v_dual_fmac_f32 v177, v163, v118
	v_dual_fma_f32 v174, v160, v116, -v23 :: v_dual_add_f32 v117, v5, v13
	s_delay_alu instid0(VALU_DEP_4) | instskip(NEXT) | instid1(VALU_DEP_4)
	v_dual_add_f32 v116, v9, v15 :: v_dual_fma_f32 v176, v162, v118, -v25
	v_pk_fma_f32 v[118:119], v[136:137], v[120:121], v[108:109] op_sel_hi:[1,0,1]
	v_pk_mul_f32 v[110:111], v[166:167], v[110:111] op_sel_hi:[1,0]
	v_pk_fma_f32 v[108:109], v[136:137], v[120:121], v[108:109] neg_lo:[0,0,1] neg_hi:[0,0,1]
	s_delay_alu instid0(VALU_DEP_4)
	v_pk_add_f32 v[116:117], v[116:117], v[174:175]
	v_pk_mul_f32 v[112:113], v[140:141], v[124:125] op_sel:[1,1] op_sel_hi:[0,1]
	v_mov_b32_e32 v109, v119
	v_pk_fma_f32 v[118:119], v[138:139], v[122:123], v[110:111] op_sel_hi:[1,0,1]
	v_pk_fma_f32 v[110:111], v[138:139], v[122:123], v[110:111] neg_lo:[0,0,1] neg_hi:[0,0,1]
	v_pk_add_f32 v[116:117], v[116:117], v[176:177]
	v_pk_fma_f32 v[120:121], v[140:141], v[124:125], v[112:113] op_sel_hi:[1,0,1]
	v_pk_mul_f32 v[114:115], v[168:169], v[114:115] op_sel_hi:[1,0]
	v_mov_b32_e32 v111, v119
	s_wait_loadcnt 0x2
	v_pk_mul_f32 v[152:153], v[144:145], v[128:129] op_sel:[1,1] op_sel_hi:[0,1]
	v_pk_add_f32 v[108:109], v[116:117], v[108:109]
	v_mov_b32_e32 v116, v131
	v_pk_fma_f32 v[112:113], v[140:141], v[124:125], v[112:113] neg_lo:[0,0,1] neg_hi:[0,0,1]
	v_mov_b32_e32 v113, v121
	v_pk_fma_f32 v[118:119], v[142:143], v[126:127], v[114:115] op_sel_hi:[1,0,1]
	v_pk_add_f32 v[108:109], v[108:109], v[110:111]
	v_pk_fma_f32 v[110:111], v[144:145], v[128:129], v[152:153] op_sel_hi:[1,0,1]
	v_pk_mul_f32 v[116:117], v[170:171], v[116:117] op_sel_hi:[1,0]
	v_pk_fma_f32 v[114:115], v[142:143], v[126:127], v[114:115] neg_lo:[0,0,1] neg_hi:[0,0,1]
	v_mov_b32_e32 v115, v119
	v_pk_add_f32 v[108:109], v[108:109], v[112:113]
	v_pk_fma_f32 v[118:119], v[144:145], v[128:129], v[152:153] neg_lo:[0,0,1] neg_hi:[0,0,1]
	v_mov_b32_e32 v119, v111
	v_pk_fma_f32 v[110:111], v[146:147], v[130:131], v[116:117] op_sel_hi:[1,0,1]
	s_wait_loadcnt 0x1
	v_pk_mul_f32 v[112:113], v[148:149], v[132:133] op_sel:[1,1] op_sel_hi:[0,1]
	v_pk_add_f32 v[108:109], v[108:109], v[114:115]
	v_mov_b32_e32 v110, v135
	v_pk_fma_f32 v[116:117], v[146:147], v[130:131], v[116:117] neg_lo:[0,0,1] neg_hi:[0,0,1]
	v_mov_b32_e32 v117, v111
	v_pk_fma_f32 v[114:115], v[148:149], v[132:133], v[112:113] op_sel_hi:[1,0,1]
	v_pk_add_f32 v[108:109], v[108:109], v[118:119]
	v_pk_mul_f32 v[110:111], v[172:173], v[110:111] op_sel_hi:[1,0]
	v_pk_fma_f32 v[112:113], v[148:149], v[132:133], v[112:113] neg_lo:[0,0,1] neg_hi:[0,0,1]
	s_delay_alu instid0(VALU_DEP_4) | instskip(NEXT) | instid1(VALU_DEP_4)
	v_mov_b32_e32 v113, v115
	v_pk_add_f32 v[108:109], v[108:109], v[116:117]
	s_delay_alu instid0(VALU_DEP_4) | instskip(SKIP_1) | instid1(VALU_DEP_2)
	v_pk_fma_f32 v[114:115], v[150:151], v[134:135], v[110:111] op_sel_hi:[1,0,1]
	v_pk_fma_f32 v[110:111], v[150:151], v[134:135], v[110:111] neg_lo:[0,0,1] neg_hi:[0,0,1]
	v_mov_b32_e32 v111, v115
	s_delay_alu instid0(VALU_DEP_4) | instskip(NEXT) | instid1(VALU_DEP_1)
	v_pk_add_f32 v[108:109], v[108:109], v[112:113]
	v_pk_add_f32 v[108:109], v[108:109], v[110:111]
	s_wait_loadcnt 0x0
	s_delay_alu instid0(VALU_DEP_1)
	v_pk_add_f32 v[108:109], v[164:165], v[108:109] neg_lo:[0,1] neg_hi:[0,1]
	scratch_store_b64 off, v[108:109], off offset:304
	s_wait_xcnt 0x0
	v_cmpx_lt_u32_e32 37, v0
	s_cbranch_execz .LBB52_257
; %bb.256:
	scratch_load_b64 v[108:109], off, off offset:296
	v_mov_b64_e32 v[110:111], 0
	scratch_store_b64 off, v[110:111], off offset:296
	s_wait_loadcnt 0x0
	ds_store_b64 v1, v[108:109]
.LBB52_257:
	s_wait_xcnt 0x0
	s_or_b32 exec_lo, exec_lo, s0
	s_wait_storecnt_dscnt 0x0
	s_barrier_signal -1
	s_barrier_wait -1
	s_clause 0x8
	scratch_load_b128 v[108:111], off, off offset:304
	scratch_load_b128 v[112:115], off, off offset:320
	;; [unrolled: 1-line block ×7, first 2 shown]
	scratch_load_b64 v[164:165], off, off offset:416
	scratch_load_b64 v[166:167], off, off offset:296
	v_mov_b32_e32 v5, 0
	ds_load_b128 v[136:139], v5 offset:784
	ds_load_b128 v[140:143], v5 offset:800
	;; [unrolled: 1-line block ×7, first 2 shown]
	ds_load_b64 v[168:169], v5 offset:848
	s_mov_b32 s0, exec_lo
	s_wait_dscnt 0x7
	v_dual_mov_b32 v170, v139 :: v_dual_mov_b32 v171, v138
	s_wait_dscnt 0x4
	v_dual_mov_b32 v172, v143 :: v_dual_mov_b32 v177, v150
	v_dual_mov_b32 v173, v142 :: v_dual_mov_b32 v174, v147
	;; [unrolled: 1-line block ×3, first 2 shown]
	s_wait_loadcnt_dscnt 0x803
	v_dual_mul_f32 v9, v152, v109 :: v_dual_mul_f32 v19, v153, v109
	v_dual_mul_f32 v21, v155, v111 :: v_dual_mul_f32 v11, v154, v111
	s_wait_loadcnt_dscnt 0x702
	v_mul_f32_e32 v13, v156, v113
	s_wait_loadcnt 0x5
	v_dual_mul_f32 v31, v137, v121 :: v_dual_fma_f32 v19, v152, v108, -v19
	v_dual_fmac_f32 v9, v153, v108 :: v_dual_mov_b32 v108, v123
	v_dual_mul_f32 v23, v157, v113 :: v_dual_mul_f32 v25, v159, v115
	v_dual_fmac_f32 v11, v155, v110 :: v_dual_fma_f32 v21, v154, v110, -v21
	s_delay_alu instid0(VALU_DEP_3) | instskip(SKIP_3) | instid1(VALU_DEP_3)
	v_dual_add_f32 v9, 0, v9 :: v_dual_add_f32 v19, 0, v19
	s_wait_dscnt 0x1
	v_dual_mul_f32 v15, v158, v115 :: v_dual_mul_f32 v17, v160, v117
	v_dual_fmac_f32 v13, v157, v112 :: v_dual_fma_f32 v23, v156, v112, -v23
	v_dual_add_f32 v9, v9, v11 :: v_dual_add_f32 v11, v19, v21
	v_dual_mul_f32 v27, v161, v117 :: v_dual_mul_f32 v29, v163, v119
	s_wait_loadcnt 0x4
	v_dual_mov_b32 v112, v127 :: v_dual_fma_f32 v19, v158, v114, -v25
	s_delay_alu instid0(VALU_DEP_3) | instskip(SKIP_2) | instid1(VALU_DEP_3)
	v_dual_fmac_f32 v15, v159, v114 :: v_dual_add_f32 v9, v9, v13
	v_dual_add_f32 v11, v11, v23 :: v_dual_fmac_f32 v17, v161, v116
	v_dual_mul_f32 v179, v162, v119 :: v_dual_mul_f32 v181, v136, v121
	v_dual_fma_f32 v13, v160, v116, -v27 :: v_dual_add_f32 v9, v9, v15
	s_delay_alu instid0(VALU_DEP_3) | instskip(NEXT) | instid1(VALU_DEP_3)
	v_dual_add_f32 v11, v11, v19 :: v_dual_fma_f32 v178, v162, v118, -v29
	v_fmac_f32_e32 v179, v163, v118
	v_pk_mul_f32 v[108:109], v[170:171], v[108:109] op_sel_hi:[1,0]
	s_delay_alu instid0(VALU_DEP_4) | instskip(NEXT) | instid1(VALU_DEP_4)
	v_add_f32_e32 v117, v9, v17
	v_dual_add_f32 v116, v11, v13 :: v_dual_fmac_f32 v181, v137, v120
	v_pk_mul_f32 v[110:111], v[140:141], v[124:125] op_sel:[1,1] op_sel_hi:[0,1]
	s_wait_loadcnt 0x3
	v_dual_mov_b32 v118, v131 :: v_dual_fma_f32 v180, v136, v120, -v31
	v_pk_fma_f32 v[120:121], v[138:139], v[122:123], v[108:109] op_sel_hi:[1,0,1]
	v_pk_add_f32 v[116:117], v[116:117], v[178:179]
	v_pk_fma_f32 v[108:109], v[138:139], v[122:123], v[108:109] neg_lo:[0,0,1] neg_hi:[0,0,1]
	v_pk_fma_f32 v[136:137], v[140:141], v[124:125], v[110:111] op_sel_hi:[1,0,1]
	v_pk_mul_f32 v[112:113], v[172:173], v[112:113] op_sel_hi:[1,0]
	v_mov_b32_e32 v109, v121
	v_pk_add_f32 v[116:117], v[116:117], v[180:181]
	v_pk_fma_f32 v[110:111], v[140:141], v[124:125], v[110:111] neg_lo:[0,0,1] neg_hi:[0,0,1]
	v_pk_mul_f32 v[114:115], v[144:145], v[128:129] op_sel:[1,1] op_sel_hi:[0,1]
	v_mov_b32_e32 v111, v137
	v_pk_fma_f32 v[122:123], v[142:143], v[126:127], v[112:113] op_sel_hi:[1,0,1]
	v_pk_add_f32 v[108:109], v[116:117], v[108:109]
	v_pk_fma_f32 v[112:113], v[142:143], v[126:127], v[112:113] neg_lo:[0,0,1] neg_hi:[0,0,1]
	v_pk_fma_f32 v[116:117], v[144:145], v[128:129], v[114:115] op_sel_hi:[1,0,1]
	v_pk_mul_f32 v[118:119], v[174:175], v[118:119] op_sel_hi:[1,0]
	v_mov_b32_e32 v113, v123
	v_pk_add_f32 v[108:109], v[108:109], v[110:111]
	v_pk_fma_f32 v[114:115], v[144:145], v[128:129], v[114:115] neg_lo:[0,0,1] neg_hi:[0,0,1]
	s_wait_loadcnt 0x2
	v_pk_mul_f32 v[120:121], v[148:149], v[132:133] op_sel:[1,1] op_sel_hi:[0,1]
	v_dual_mov_b32 v110, v135 :: v_dual_mov_b32 v115, v117
	v_pk_fma_f32 v[116:117], v[146:147], v[130:131], v[118:119] op_sel_hi:[1,0,1]
	v_pk_add_f32 v[108:109], v[108:109], v[112:113]
	v_pk_fma_f32 v[118:119], v[146:147], v[130:131], v[118:119] neg_lo:[0,0,1] neg_hi:[0,0,1]
	v_pk_fma_f32 v[112:113], v[148:149], v[132:133], v[120:121] op_sel_hi:[1,0,1]
	v_pk_mul_f32 v[110:111], v[176:177], v[110:111] op_sel_hi:[1,0]
	v_mov_b32_e32 v119, v117
	v_pk_add_f32 v[108:109], v[108:109], v[114:115]
	v_pk_fma_f32 v[114:115], v[148:149], v[132:133], v[120:121] neg_lo:[0,0,1] neg_hi:[0,0,1]
	v_mov_b32_e32 v115, v113
	v_pk_fma_f32 v[112:113], v[150:151], v[134:135], v[110:111] op_sel_hi:[1,0,1]
	s_wait_loadcnt_dscnt 0x100
	v_pk_mul_f32 v[116:117], v[168:169], v[164:165] op_sel:[1,1] op_sel_hi:[0,1]
	v_pk_add_f32 v[108:109], v[108:109], v[118:119]
	v_pk_fma_f32 v[110:111], v[150:151], v[134:135], v[110:111] neg_lo:[0,0,1] neg_hi:[0,0,1]
	v_mov_b32_e32 v111, v113
	s_delay_alu instid0(VALU_DEP_4) | instskip(NEXT) | instid1(VALU_DEP_4)
	v_pk_fma_f32 v[112:113], v[168:169], v[164:165], v[116:117] op_sel_hi:[1,0,1]
	v_pk_add_f32 v[108:109], v[108:109], v[114:115]
	v_pk_fma_f32 v[114:115], v[168:169], v[164:165], v[116:117] neg_lo:[0,0,1] neg_hi:[0,0,1]
	s_delay_alu instid0(VALU_DEP_3) | instskip(NEXT) | instid1(VALU_DEP_3)
	v_mov_b32_e32 v115, v113
	v_pk_add_f32 v[108:109], v[108:109], v[110:111]
	s_delay_alu instid0(VALU_DEP_1) | instskip(SKIP_1) | instid1(VALU_DEP_1)
	v_pk_add_f32 v[108:109], v[108:109], v[114:115]
	s_wait_loadcnt 0x0
	v_pk_add_f32 v[108:109], v[166:167], v[108:109] neg_lo:[0,1] neg_hi:[0,1]
	scratch_store_b64 off, v[108:109], off offset:296
	s_wait_xcnt 0x0
	v_cmpx_lt_u32_e32 36, v0
	s_cbranch_execz .LBB52_259
; %bb.258:
	scratch_load_b64 v[108:109], off, off offset:288
	v_mov_b64_e32 v[110:111], 0
	scratch_store_b64 off, v[110:111], off offset:288
	s_wait_loadcnt 0x0
	ds_store_b64 v1, v[108:109]
.LBB52_259:
	s_wait_xcnt 0x0
	s_or_b32 exec_lo, exec_lo, s0
	s_wait_storecnt_dscnt 0x0
	s_barrier_signal -1
	s_barrier_wait -1
	s_clause 0x8
	scratch_load_b128 v[108:111], off, off offset:296
	scratch_load_b128 v[112:115], off, off offset:312
	;; [unrolled: 1-line block ×8, first 2 shown]
	scratch_load_b64 v[172:173], off, off offset:288
	ds_load_2addr_b64 v[140:143], v5 offset0:99 offset1:100
	ds_load_2addr_b64 v[144:147], v5 offset0:101 offset1:102
	;; [unrolled: 1-line block ×8, first 2 shown]
	s_mov_b32 s0, exec_lo
	s_wait_dscnt 0x7
	v_dual_mov_b32 v174, v143 :: v_dual_mov_b32 v175, v142
	s_wait_dscnt 0x6
	v_dual_mov_b32 v176, v147 :: v_dual_mov_b32 v177, v146
	;; [unrolled: 2-line block ×4, first 2 shown]
	s_wait_loadcnt_dscnt 0x803
	v_dual_mul_f32 v5, v156, v109 :: v_dual_mul_f32 v9, v158, v111
	v_dual_mul_f32 v19, v157, v109 :: v_dual_mul_f32 v21, v159, v111
	s_wait_loadcnt_dscnt 0x702
	v_dual_mul_f32 v11, v160, v113 :: v_dual_mul_f32 v13, v162, v115
	s_delay_alu instid0(VALU_DEP_2) | instskip(SKIP_3) | instid1(VALU_DEP_3)
	v_dual_fmac_f32 v5, v157, v108 :: v_dual_fma_f32 v19, v156, v108, -v19
	v_dual_mul_f32 v23, v161, v113 :: v_dual_mul_f32 v25, v163, v115
	s_wait_loadcnt_dscnt 0x500
	v_dual_mul_f32 v31, v169, v121 :: v_dual_fmac_f32 v9, v159, v110
	v_dual_fma_f32 v21, v158, v110, -v21 :: v_dual_add_f32 v5, 0, v5
	v_dual_add_f32 v19, 0, v19 :: v_dual_fmac_f32 v11, v161, v112
	v_dual_mul_f32 v33, v171, v123 :: v_dual_fma_f32 v23, v160, v112, -v23
	s_delay_alu instid0(VALU_DEP_3) | instskip(NEXT) | instid1(VALU_DEP_3)
	v_dual_add_f32 v5, v5, v9 :: v_dual_fmac_f32 v13, v163, v114
	v_dual_add_f32 v9, v19, v21 :: v_dual_fma_f32 v19, v162, v114, -v25
	v_dual_mul_f32 v15, v164, v117 :: v_dual_mul_f32 v17, v166, v119
	v_dual_mul_f32 v27, v165, v117 :: v_dual_mul_f32 v29, v167, v119
	s_wait_loadcnt 0x4
	v_dual_add_f32 v5, v5, v11 :: v_dual_mov_b32 v110, v127
	s_delay_alu instid0(VALU_DEP_2) | instskip(SKIP_2) | instid1(VALU_DEP_4)
	v_dual_add_f32 v9, v9, v23 :: v_dual_fma_f32 v11, v164, v116, -v27
	v_pk_mul_f32 v[108:109], v[140:141], v[124:125] op_sel:[1,1] op_sel_hi:[0,1]
	v_dual_fmac_f32 v15, v165, v116 :: v_dual_fmac_f32 v17, v167, v118
	v_dual_add_f32 v5, v5, v13 :: v_dual_fma_f32 v13, v166, v118, -v29
	s_wait_loadcnt 0x3
	v_dual_add_f32 v9, v9, v19 :: v_dual_mov_b32 v114, v131
	v_dual_mul_f32 v183, v168, v121 :: v_dual_mul_f32 v185, v170, v123
	s_delay_alu instid0(VALU_DEP_3) | instskip(NEXT) | instid1(VALU_DEP_3)
	v_dual_add_f32 v5, v5, v15 :: v_dual_fma_f32 v182, v168, v120, -v31
	v_add_f32_e32 v9, v9, v11
	v_pk_fma_f32 v[118:119], v[140:141], v[124:125], v[108:109] op_sel_hi:[1,0,1]
	v_pk_mul_f32 v[110:111], v[174:175], v[110:111] op_sel_hi:[1,0]
	v_pk_fma_f32 v[108:109], v[140:141], v[124:125], v[108:109] neg_lo:[0,0,1] neg_hi:[0,0,1]
	v_dual_fmac_f32 v183, v169, v120 :: v_dual_fma_f32 v184, v170, v122, -v33
	s_delay_alu instid0(VALU_DEP_4)
	v_dual_add_f32 v117, v5, v17 :: v_dual_mov_b32 v109, v119
	v_fmac_f32_e32 v185, v171, v122
	v_pk_fma_f32 v[118:119], v[142:143], v[126:127], v[110:111] op_sel_hi:[1,0,1]
	v_add_f32_e32 v116, v9, v13
	v_pk_fma_f32 v[110:111], v[142:143], v[126:127], v[110:111] neg_lo:[0,0,1] neg_hi:[0,0,1]
	v_pk_mul_f32 v[112:113], v[144:145], v[128:129] op_sel:[1,1] op_sel_hi:[0,1]
	v_pk_mul_f32 v[114:115], v[176:177], v[114:115] op_sel_hi:[1,0]
	v_mov_b32_e32 v111, v119
	v_pk_add_f32 v[116:117], v[116:117], v[182:183]
	s_wait_loadcnt 0x2
	v_pk_mul_f32 v[120:121], v[148:149], v[132:133] op_sel:[1,1] op_sel_hi:[0,1]
	v_pk_fma_f32 v[122:123], v[144:145], v[128:129], v[112:113] op_sel_hi:[1,0,1]
	v_pk_fma_f32 v[112:113], v[144:145], v[128:129], v[112:113] neg_lo:[0,0,1] neg_hi:[0,0,1]
	v_pk_fma_f32 v[118:119], v[146:147], v[130:131], v[114:115] op_sel_hi:[1,0,1]
	v_pk_add_f32 v[116:117], v[116:117], v[184:185]
	v_pk_fma_f32 v[114:115], v[146:147], v[130:131], v[114:115] neg_lo:[0,0,1] neg_hi:[0,0,1]
	v_mov_b32_e32 v113, v123
	s_delay_alu instid0(VALU_DEP_3) | instskip(SKIP_1) | instid1(VALU_DEP_2)
	v_pk_add_f32 v[108:109], v[116:117], v[108:109]
	v_mov_b32_e32 v116, v135
	v_pk_add_f32 v[108:109], v[108:109], v[110:111]
	v_pk_fma_f32 v[110:111], v[148:149], v[132:133], v[120:121] op_sel_hi:[1,0,1]
	s_delay_alu instid0(VALU_DEP_3)
	v_pk_mul_f32 v[116:117], v[178:179], v[116:117] op_sel_hi:[1,0]
	v_mov_b32_e32 v115, v119
	v_pk_fma_f32 v[118:119], v[148:149], v[132:133], v[120:121] neg_lo:[0,0,1] neg_hi:[0,0,1]
	v_pk_add_f32 v[108:109], v[108:109], v[112:113]
	v_mov_b32_e32 v119, v111
	v_pk_fma_f32 v[110:111], v[150:151], v[134:135], v[116:117] op_sel_hi:[1,0,1]
	s_wait_loadcnt 0x1
	v_pk_mul_f32 v[112:113], v[152:153], v[136:137] op_sel:[1,1] op_sel_hi:[0,1]
	v_mov_b32_e32 v110, v139
	v_pk_add_f32 v[108:109], v[108:109], v[114:115]
	v_pk_fma_f32 v[116:117], v[150:151], v[134:135], v[116:117] neg_lo:[0,0,1] neg_hi:[0,0,1]
	v_mov_b32_e32 v117, v111
	v_pk_fma_f32 v[114:115], v[152:153], v[136:137], v[112:113] op_sel_hi:[1,0,1]
	v_pk_mul_f32 v[110:111], v[180:181], v[110:111] op_sel_hi:[1,0]
	v_pk_add_f32 v[108:109], v[108:109], v[118:119]
	v_pk_fma_f32 v[112:113], v[152:153], v[136:137], v[112:113] neg_lo:[0,0,1] neg_hi:[0,0,1]
	s_delay_alu instid0(VALU_DEP_4) | instskip(NEXT) | instid1(VALU_DEP_4)
	v_mov_b32_e32 v113, v115
	v_pk_fma_f32 v[114:115], v[154:155], v[138:139], v[110:111] op_sel_hi:[1,0,1]
	s_delay_alu instid0(VALU_DEP_4) | instskip(SKIP_1) | instid1(VALU_DEP_3)
	v_pk_add_f32 v[108:109], v[108:109], v[116:117]
	v_pk_fma_f32 v[110:111], v[154:155], v[138:139], v[110:111] neg_lo:[0,0,1] neg_hi:[0,0,1]
	v_mov_b32_e32 v111, v115
	s_delay_alu instid0(VALU_DEP_3) | instskip(NEXT) | instid1(VALU_DEP_1)
	v_pk_add_f32 v[108:109], v[108:109], v[112:113]
	v_pk_add_f32 v[108:109], v[108:109], v[110:111]
	s_wait_loadcnt 0x0
	s_delay_alu instid0(VALU_DEP_1)
	v_pk_add_f32 v[108:109], v[172:173], v[108:109] neg_lo:[0,1] neg_hi:[0,1]
	scratch_store_b64 off, v[108:109], off offset:288
	s_wait_xcnt 0x0
	v_cmpx_lt_u32_e32 35, v0
	s_cbranch_execz .LBB52_261
; %bb.260:
	scratch_load_b64 v[108:109], off, off offset:280
	v_mov_b64_e32 v[110:111], 0
	scratch_store_b64 off, v[110:111], off offset:280
	s_wait_loadcnt 0x0
	ds_store_b64 v1, v[108:109]
.LBB52_261:
	s_wait_xcnt 0x0
	s_or_b32 exec_lo, exec_lo, s0
	s_wait_storecnt_dscnt 0x0
	s_barrier_signal -1
	s_barrier_wait -1
	s_clause 0x9
	scratch_load_b128 v[108:111], off, off offset:288
	scratch_load_b128 v[112:115], off, off offset:304
	;; [unrolled: 1-line block ×8, first 2 shown]
	scratch_load_b64 v[172:173], off, off offset:416
	scratch_load_b64 v[174:175], off, off offset:280
	v_mov_b32_e32 v5, 0
	ds_load_b128 v[140:143], v5 offset:784
	ds_load_b128 v[144:147], v5 offset:800
	;; [unrolled: 1-line block ×8, first 2 shown]
	ds_load_b64 v[176:177], v5 offset:848
	s_mov_b32 s0, exec_lo
	s_wait_dscnt 0x8
	v_dual_mov_b32 v178, v143 :: v_dual_mov_b32 v179, v142
	s_wait_dscnt 0x5
	v_dual_mov_b32 v180, v147 :: v_dual_mov_b32 v185, v154
	v_dual_mov_b32 v181, v146 :: v_dual_mov_b32 v182, v151
	;; [unrolled: 1-line block ×3, first 2 shown]
	s_wait_loadcnt_dscnt 0x904
	v_dual_mul_f32 v9, v156, v109 :: v_dual_mul_f32 v23, v157, v109
	v_dual_mul_f32 v25, v159, v111 :: v_dual_mul_f32 v11, v158, v111
	s_wait_loadcnt_dscnt 0x803
	v_mul_f32_e32 v13, v160, v113
	s_wait_loadcnt_dscnt 0x601
	v_dual_mul_f32 v35, v169, v121 :: v_dual_fma_f32 v23, v156, v108, -v23
	v_dual_fmac_f32 v9, v157, v108 :: v_dual_mul_f32 v37, v171, v123
	v_dual_mul_f32 v27, v161, v113 :: v_dual_mul_f32 v29, v163, v115
	v_dual_fmac_f32 v11, v159, v110 :: v_dual_fma_f32 v25, v158, v110, -v25
	s_delay_alu instid0(VALU_DEP_3)
	v_dual_add_f32 v9, 0, v9 :: v_dual_add_f32 v23, 0, v23
	v_dual_mul_f32 v15, v162, v115 :: v_dual_mul_f32 v17, v164, v117
	s_wait_loadcnt 0x5
	v_dual_mul_f32 v39, v141, v125 :: v_dual_fma_f32 v27, v160, v112, -v27
	v_fmac_f32_e32 v13, v161, v112
	v_dual_add_f32 v9, v9, v11 :: v_dual_mov_b32 v108, v127
	v_add_f32_e32 v11, v23, v25
	v_dual_mul_f32 v31, v165, v117 :: v_dual_mul_f32 v33, v167, v119
	v_dual_fmac_f32 v15, v163, v114 :: v_dual_fma_f32 v23, v162, v114, -v29
	s_delay_alu instid0(VALU_DEP_3) | instskip(SKIP_1) | instid1(VALU_DEP_4)
	v_dual_add_f32 v9, v9, v13 :: v_dual_add_f32 v11, v11, v27
	v_dual_mul_f32 v19, v166, v119 :: v_dual_mul_f32 v21, v168, v121
	v_dual_fmac_f32 v17, v165, v116 :: v_dual_fma_f32 v13, v164, v116, -v31
	s_wait_loadcnt 0x4
	s_delay_alu instid0(VALU_DEP_3) | instskip(SKIP_1) | instid1(VALU_DEP_2)
	v_dual_add_f32 v9, v9, v15 :: v_dual_mov_b32 v112, v131
	v_dual_add_f32 v11, v11, v23 :: v_dual_fma_f32 v15, v166, v118, -v33
	v_dual_fmac_f32 v19, v167, v118 :: v_dual_add_f32 v9, v9, v17
	v_dual_mul_f32 v187, v170, v123 :: v_dual_mul_f32 v189, v140, v125
	s_delay_alu instid0(VALU_DEP_3) | instskip(NEXT) | instid1(VALU_DEP_3)
	v_dual_add_f32 v11, v11, v13 :: v_dual_fmac_f32 v21, v169, v120
	v_dual_fma_f32 v13, v168, v120, -v35 :: v_dual_add_f32 v9, v9, v19
	s_delay_alu instid0(VALU_DEP_3) | instskip(NEXT) | instid1(VALU_DEP_3)
	v_fmac_f32_e32 v187, v171, v122
	v_dual_add_f32 v11, v11, v15 :: v_dual_fma_f32 v186, v170, v122, -v37
	v_pk_mul_f32 v[108:109], v[178:179], v[108:109] op_sel_hi:[1,0]
	s_delay_alu instid0(VALU_DEP_4) | instskip(SKIP_1) | instid1(VALU_DEP_4)
	v_add_f32_e32 v117, v9, v21
	v_pk_mul_f32 v[110:111], v[144:145], v[128:129] op_sel:[1,1] op_sel_hi:[0,1]
	v_dual_add_f32 v116, v11, v13 :: v_dual_fmac_f32 v189, v141, v124
	s_wait_loadcnt 0x3
	v_dual_mov_b32 v118, v135 :: v_dual_fma_f32 v188, v140, v124, -v39
	v_pk_fma_f32 v[120:121], v[142:143], v[126:127], v[108:109] op_sel_hi:[1,0,1]
	s_delay_alu instid0(VALU_DEP_3)
	v_pk_add_f32 v[116:117], v[116:117], v[186:187]
	v_pk_fma_f32 v[108:109], v[142:143], v[126:127], v[108:109] neg_lo:[0,0,1] neg_hi:[0,0,1]
	v_pk_fma_f32 v[122:123], v[144:145], v[128:129], v[110:111] op_sel_hi:[1,0,1]
	v_pk_mul_f32 v[112:113], v[180:181], v[112:113] op_sel_hi:[1,0]
	v_mov_b32_e32 v109, v121
	v_pk_add_f32 v[116:117], v[116:117], v[188:189]
	v_pk_fma_f32 v[110:111], v[144:145], v[128:129], v[110:111] neg_lo:[0,0,1] neg_hi:[0,0,1]
	v_pk_mul_f32 v[114:115], v[148:149], v[132:133] op_sel:[1,1] op_sel_hi:[0,1]
	v_mov_b32_e32 v111, v123
	v_pk_fma_f32 v[122:123], v[146:147], v[130:131], v[112:113] op_sel_hi:[1,0,1]
	v_pk_add_f32 v[108:109], v[116:117], v[108:109]
	v_pk_fma_f32 v[112:113], v[146:147], v[130:131], v[112:113] neg_lo:[0,0,1] neg_hi:[0,0,1]
	v_pk_fma_f32 v[116:117], v[148:149], v[132:133], v[114:115] op_sel_hi:[1,0,1]
	v_pk_mul_f32 v[118:119], v[182:183], v[118:119] op_sel_hi:[1,0]
	v_mov_b32_e32 v113, v123
	v_pk_add_f32 v[108:109], v[108:109], v[110:111]
	v_pk_fma_f32 v[114:115], v[148:149], v[132:133], v[114:115] neg_lo:[0,0,1] neg_hi:[0,0,1]
	s_wait_loadcnt 0x2
	v_pk_mul_f32 v[120:121], v[152:153], v[136:137] op_sel:[1,1] op_sel_hi:[0,1]
	v_dual_mov_b32 v110, v139 :: v_dual_mov_b32 v115, v117
	v_pk_fma_f32 v[116:117], v[150:151], v[134:135], v[118:119] op_sel_hi:[1,0,1]
	v_pk_add_f32 v[108:109], v[108:109], v[112:113]
	v_pk_fma_f32 v[118:119], v[150:151], v[134:135], v[118:119] neg_lo:[0,0,1] neg_hi:[0,0,1]
	v_pk_fma_f32 v[112:113], v[152:153], v[136:137], v[120:121] op_sel_hi:[1,0,1]
	v_pk_mul_f32 v[110:111], v[184:185], v[110:111] op_sel_hi:[1,0]
	v_mov_b32_e32 v119, v117
	v_pk_add_f32 v[108:109], v[108:109], v[114:115]
	v_pk_fma_f32 v[114:115], v[152:153], v[136:137], v[120:121] neg_lo:[0,0,1] neg_hi:[0,0,1]
	v_mov_b32_e32 v115, v113
	v_pk_fma_f32 v[112:113], v[154:155], v[138:139], v[110:111] op_sel_hi:[1,0,1]
	s_wait_loadcnt_dscnt 0x100
	v_pk_mul_f32 v[116:117], v[176:177], v[172:173] op_sel:[1,1] op_sel_hi:[0,1]
	v_pk_add_f32 v[108:109], v[108:109], v[118:119]
	v_pk_fma_f32 v[110:111], v[154:155], v[138:139], v[110:111] neg_lo:[0,0,1] neg_hi:[0,0,1]
	v_mov_b32_e32 v111, v113
	s_delay_alu instid0(VALU_DEP_4) | instskip(NEXT) | instid1(VALU_DEP_4)
	v_pk_fma_f32 v[112:113], v[176:177], v[172:173], v[116:117] op_sel_hi:[1,0,1]
	v_pk_add_f32 v[108:109], v[108:109], v[114:115]
	v_pk_fma_f32 v[114:115], v[176:177], v[172:173], v[116:117] neg_lo:[0,0,1] neg_hi:[0,0,1]
	s_delay_alu instid0(VALU_DEP_3) | instskip(NEXT) | instid1(VALU_DEP_3)
	v_mov_b32_e32 v115, v113
	v_pk_add_f32 v[108:109], v[108:109], v[110:111]
	s_delay_alu instid0(VALU_DEP_1) | instskip(SKIP_1) | instid1(VALU_DEP_1)
	v_pk_add_f32 v[108:109], v[108:109], v[114:115]
	s_wait_loadcnt 0x0
	v_pk_add_f32 v[108:109], v[174:175], v[108:109] neg_lo:[0,1] neg_hi:[0,1]
	scratch_store_b64 off, v[108:109], off offset:280
	s_wait_xcnt 0x0
	v_cmpx_lt_u32_e32 34, v0
	s_cbranch_execz .LBB52_263
; %bb.262:
	scratch_load_b64 v[108:109], off, off offset:272
	v_mov_b64_e32 v[110:111], 0
	scratch_store_b64 off, v[110:111], off offset:272
	s_wait_loadcnt 0x0
	ds_store_b64 v1, v[108:109]
.LBB52_263:
	s_wait_xcnt 0x0
	s_or_b32 exec_lo, exec_lo, s0
	s_wait_storecnt_dscnt 0x0
	s_barrier_signal -1
	s_barrier_wait -1
	s_clause 0x9
	scratch_load_b128 v[108:111], off, off offset:280
	scratch_load_b128 v[112:115], off, off offset:296
	;; [unrolled: 1-line block ×9, first 2 shown]
	scratch_load_b64 v[180:181], off, off offset:272
	ds_load_2addr_b64 v[144:147], v5 offset0:99 offset1:100
	ds_load_2addr_b64 v[148:151], v5 offset0:101 offset1:102
	;; [unrolled: 1-line block ×9, first 2 shown]
	s_mov_b32 s0, exec_lo
	s_wait_dscnt 0x8
	v_dual_mov_b32 v182, v147 :: v_dual_mov_b32 v183, v146
	s_wait_dscnt 0x7
	v_dual_mov_b32 v184, v151 :: v_dual_mov_b32 v185, v150
	;; [unrolled: 2-line block ×4, first 2 shown]
	s_wait_loadcnt_dscnt 0x904
	v_dual_mul_f32 v5, v160, v109 :: v_dual_mul_f32 v9, v162, v111
	v_dual_mul_f32 v23, v161, v109 :: v_dual_mul_f32 v25, v163, v111
	s_wait_loadcnt_dscnt 0x803
	v_dual_mul_f32 v11, v164, v113 :: v_dual_mul_f32 v13, v166, v115
	s_delay_alu instid0(VALU_DEP_2) | instskip(SKIP_3) | instid1(VALU_DEP_3)
	v_dual_fmac_f32 v5, v161, v108 :: v_dual_fma_f32 v23, v160, v108, -v23
	v_dual_mul_f32 v27, v165, v113 :: v_dual_mul_f32 v29, v167, v115
	s_wait_loadcnt_dscnt 0x601
	v_dual_mul_f32 v35, v173, v121 :: v_dual_fmac_f32 v9, v163, v110
	v_dual_fma_f32 v25, v162, v110, -v25 :: v_dual_add_f32 v5, 0, v5
	v_dual_add_f32 v23, 0, v23 :: v_dual_fmac_f32 v11, v165, v112
	v_dual_mul_f32 v37, v175, v123 :: v_dual_fma_f32 v27, v164, v112, -v27
	s_delay_alu instid0(VALU_DEP_3) | instskip(NEXT) | instid1(VALU_DEP_3)
	v_dual_add_f32 v5, v5, v9 :: v_dual_fmac_f32 v13, v167, v114
	v_dual_add_f32 v9, v23, v25 :: v_dual_fma_f32 v25, v166, v114, -v29
	v_dual_mul_f32 v15, v168, v117 :: v_dual_mul_f32 v17, v170, v119
	v_dual_mul_f32 v31, v169, v117 :: v_dual_mul_f32 v33, v171, v119
	s_delay_alu instid0(VALU_DEP_4) | instskip(NEXT) | instid1(VALU_DEP_3)
	v_add_f32_e32 v5, v5, v11
	v_dual_add_f32 v9, v9, v27 :: v_dual_fmac_f32 v17, v171, v118
	s_delay_alu instid0(VALU_DEP_4) | instskip(NEXT) | instid1(VALU_DEP_3)
	v_fmac_f32_e32 v15, v169, v116
	v_dual_fma_f32 v27, v168, v116, -v31 :: v_dual_add_f32 v5, v5, v13
	s_wait_loadcnt 0x4
	s_delay_alu instid0(VALU_DEP_3) | instskip(SKIP_1) | instid1(VALU_DEP_3)
	v_dual_mov_b32 v110, v131 :: v_dual_add_f32 v9, v9, v25
	v_dual_mul_f32 v19, v172, v121 :: v_dual_mul_f32 v21, v174, v123
	v_dual_fma_f32 v13, v170, v118, -v33 :: v_dual_add_f32 v5, v5, v15
	s_delay_alu instid0(VALU_DEP_3)
	v_dual_fma_f32 v15, v172, v120, -v35 :: v_dual_add_f32 v9, v9, v27
	s_wait_dscnt 0x0
	v_dual_mul_f32 v191, v176, v125 :: v_dual_mul_f32 v193, v178, v127
	v_dual_mul_f32 v23, v177, v125 :: v_dual_mul_f32 v11, v179, v127
	v_pk_mul_f32 v[108:109], v[144:145], v[128:129] op_sel:[1,1] op_sel_hi:[0,1]
	s_wait_loadcnt 0x3
	v_dual_fmac_f32 v19, v173, v120 :: v_dual_mov_b32 v114, v135
	v_dual_add_f32 v9, v9, v13 :: v_dual_fmac_f32 v193, v179, v126
	v_dual_fmac_f32 v21, v175, v122 :: v_dual_add_f32 v5, v5, v17
	v_fma_f32 v190, v176, v124, -v23
	v_pk_mul_f32 v[112:113], v[148:149], v[132:133] op_sel:[1,1] op_sel_hi:[0,1]
	v_fma_f32 v13, v174, v122, -v37
	v_pk_fma_f32 v[118:119], v[144:145], v[128:129], v[108:109] op_sel_hi:[1,0,1]
	v_dual_add_f32 v5, v5, v19 :: v_dual_fma_f32 v192, v178, v126, -v11
	v_add_f32_e32 v9, v9, v15
	v_pk_mul_f32 v[110:111], v[182:183], v[110:111] op_sel_hi:[1,0]
	v_pk_fma_f32 v[108:109], v[144:145], v[128:129], v[108:109] neg_lo:[0,0,1] neg_hi:[0,0,1]
	s_delay_alu instid0(VALU_DEP_4)
	v_dual_add_f32 v117, v5, v21 :: v_dual_mov_b32 v109, v119
	v_pk_fma_f32 v[122:123], v[148:149], v[132:133], v[112:113] op_sel_hi:[1,0,1]
	v_add_f32_e32 v116, v9, v13
	v_pk_fma_f32 v[118:119], v[146:147], v[130:131], v[110:111] op_sel_hi:[1,0,1]
	v_fmac_f32_e32 v191, v177, v124
	v_pk_fma_f32 v[110:111], v[146:147], v[130:131], v[110:111] neg_lo:[0,0,1] neg_hi:[0,0,1]
	v_pk_fma_f32 v[112:113], v[148:149], v[132:133], v[112:113] neg_lo:[0,0,1] neg_hi:[0,0,1]
	s_delay_alu instid0(VALU_DEP_4) | instskip(NEXT) | instid1(VALU_DEP_4)
	v_dual_mov_b32 v113, v123 :: v_dual_mov_b32 v111, v119
	v_pk_add_f32 v[116:117], v[116:117], v[190:191]
	v_pk_mul_f32 v[114:115], v[184:185], v[114:115] op_sel_hi:[1,0]
	s_wait_loadcnt 0x2
	v_pk_mul_f32 v[120:121], v[152:153], v[136:137] op_sel:[1,1] op_sel_hi:[0,1]
	s_delay_alu instid0(VALU_DEP_3) | instskip(NEXT) | instid1(VALU_DEP_3)
	v_pk_add_f32 v[116:117], v[116:117], v[192:193]
	v_pk_fma_f32 v[118:119], v[150:151], v[134:135], v[114:115] op_sel_hi:[1,0,1]
	v_pk_fma_f32 v[114:115], v[150:151], v[134:135], v[114:115] neg_lo:[0,0,1] neg_hi:[0,0,1]
	s_delay_alu instid0(VALU_DEP_3) | instskip(SKIP_1) | instid1(VALU_DEP_2)
	v_pk_add_f32 v[108:109], v[116:117], v[108:109]
	v_mov_b32_e32 v116, v139
	v_pk_add_f32 v[108:109], v[108:109], v[110:111]
	v_pk_fma_f32 v[110:111], v[152:153], v[136:137], v[120:121] op_sel_hi:[1,0,1]
	s_delay_alu instid0(VALU_DEP_3)
	v_pk_mul_f32 v[116:117], v[186:187], v[116:117] op_sel_hi:[1,0]
	v_mov_b32_e32 v115, v119
	v_pk_fma_f32 v[118:119], v[152:153], v[136:137], v[120:121] neg_lo:[0,0,1] neg_hi:[0,0,1]
	v_pk_add_f32 v[108:109], v[108:109], v[112:113]
	v_mov_b32_e32 v119, v111
	v_pk_fma_f32 v[110:111], v[154:155], v[138:139], v[116:117] op_sel_hi:[1,0,1]
	s_wait_loadcnt 0x1
	v_pk_mul_f32 v[112:113], v[156:157], v[140:141] op_sel:[1,1] op_sel_hi:[0,1]
	v_mov_b32_e32 v110, v143
	v_pk_add_f32 v[108:109], v[108:109], v[114:115]
	v_pk_fma_f32 v[116:117], v[154:155], v[138:139], v[116:117] neg_lo:[0,0,1] neg_hi:[0,0,1]
	v_mov_b32_e32 v117, v111
	v_pk_fma_f32 v[114:115], v[156:157], v[140:141], v[112:113] op_sel_hi:[1,0,1]
	v_pk_mul_f32 v[110:111], v[188:189], v[110:111] op_sel_hi:[1,0]
	v_pk_add_f32 v[108:109], v[108:109], v[118:119]
	v_pk_fma_f32 v[112:113], v[156:157], v[140:141], v[112:113] neg_lo:[0,0,1] neg_hi:[0,0,1]
	s_delay_alu instid0(VALU_DEP_4) | instskip(NEXT) | instid1(VALU_DEP_4)
	v_mov_b32_e32 v113, v115
	v_pk_fma_f32 v[114:115], v[158:159], v[142:143], v[110:111] op_sel_hi:[1,0,1]
	s_delay_alu instid0(VALU_DEP_4) | instskip(SKIP_1) | instid1(VALU_DEP_3)
	v_pk_add_f32 v[108:109], v[108:109], v[116:117]
	v_pk_fma_f32 v[110:111], v[158:159], v[142:143], v[110:111] neg_lo:[0,0,1] neg_hi:[0,0,1]
	v_mov_b32_e32 v111, v115
	s_delay_alu instid0(VALU_DEP_3) | instskip(NEXT) | instid1(VALU_DEP_1)
	v_pk_add_f32 v[108:109], v[108:109], v[112:113]
	v_pk_add_f32 v[108:109], v[108:109], v[110:111]
	s_wait_loadcnt 0x0
	s_delay_alu instid0(VALU_DEP_1)
	v_pk_add_f32 v[108:109], v[180:181], v[108:109] neg_lo:[0,1] neg_hi:[0,1]
	scratch_store_b64 off, v[108:109], off offset:272
	s_wait_xcnt 0x0
	v_cmpx_lt_u32_e32 33, v0
	s_cbranch_execz .LBB52_265
; %bb.264:
	scratch_load_b64 v[108:109], off, off offset:264
	v_mov_b64_e32 v[110:111], 0
	scratch_store_b64 off, v[110:111], off offset:264
	s_wait_loadcnt 0x0
	ds_store_b64 v1, v[108:109]
.LBB52_265:
	s_wait_xcnt 0x0
	s_or_b32 exec_lo, exec_lo, s0
	s_wait_storecnt_dscnt 0x0
	s_barrier_signal -1
	s_barrier_wait -1
	s_clause 0xa
	scratch_load_b128 v[108:111], off, off offset:272
	scratch_load_b128 v[112:115], off, off offset:288
	;; [unrolled: 1-line block ×9, first 2 shown]
	scratch_load_b64 v[180:181], off, off offset:416
	scratch_load_b64 v[182:183], off, off offset:264
	v_mov_b32_e32 v5, 0
	ds_load_b128 v[144:147], v5 offset:784
	ds_load_b128 v[148:151], v5 offset:800
	;; [unrolled: 1-line block ×9, first 2 shown]
	ds_load_b64 v[184:185], v5 offset:848
	s_mov_b32 s0, exec_lo
	s_wait_dscnt 0x9
	v_dual_mov_b32 v186, v147 :: v_dual_mov_b32 v187, v146
	s_wait_dscnt 0x6
	v_dual_mov_b32 v188, v151 :: v_dual_mov_b32 v193, v158
	v_dual_mov_b32 v189, v150 :: v_dual_mov_b32 v190, v155
	;; [unrolled: 1-line block ×3, first 2 shown]
	s_wait_loadcnt_dscnt 0xa05
	v_dual_mul_f32 v9, v160, v109 :: v_dual_mul_f32 v27, v161, v109
	v_dual_mul_f32 v29, v163, v111 :: v_dual_mul_f32 v11, v162, v111
	s_wait_loadcnt_dscnt 0x904
	v_mul_f32_e32 v13, v164, v113
	s_wait_loadcnt_dscnt 0x702
	v_dual_mul_f32 v39, v173, v121 :: v_dual_fma_f32 v27, v160, v108, -v27
	v_dual_fmac_f32 v9, v161, v108 :: v_dual_mul_f32 v41, v175, v123
	v_dual_mul_f32 v31, v165, v113 :: v_dual_mul_f32 v33, v167, v115
	v_dual_fmac_f32 v11, v163, v110 :: v_dual_fma_f32 v29, v162, v110, -v29
	s_delay_alu instid0(VALU_DEP_3) | instskip(SKIP_4) | instid1(VALU_DEP_3)
	v_dual_add_f32 v9, 0, v9 :: v_dual_add_f32 v27, 0, v27
	v_dual_mul_f32 v15, v166, v115 :: v_dual_mul_f32 v17, v168, v117
	s_wait_loadcnt_dscnt 0x601
	v_dual_mul_f32 v43, v177, v125 :: v_dual_fma_f32 v31, v164, v112, -v31
	v_fmac_f32_e32 v13, v165, v112
	v_dual_add_f32 v9, v9, v11 :: v_dual_fmac_f32 v15, v167, v114
	v_add_f32_e32 v11, v27, v29
	v_dual_mul_f32 v35, v169, v117 :: v_dual_mul_f32 v37, v171, v119
	v_dual_mul_f32 v27, v179, v127 :: v_dual_fma_f32 v29, v166, v114, -v33
	s_delay_alu instid0(VALU_DEP_3) | instskip(SKIP_3) | instid1(VALU_DEP_3)
	v_dual_add_f32 v9, v9, v13 :: v_dual_add_f32 v11, v11, v31
	v_dual_mul_f32 v19, v170, v119 :: v_dual_mul_f32 v21, v172, v121
	s_wait_loadcnt 0x5
	v_dual_mul_f32 v13, v145, v129 :: v_dual_fma_f32 v31, v168, v116, -v35
	v_dual_fmac_f32 v17, v169, v116 :: v_dual_add_f32 v11, v11, v29
	v_dual_add_f32 v9, v9, v15 :: v_dual_mov_b32 v108, v131
	v_dual_fmac_f32 v19, v171, v118 :: v_dual_fma_f32 v15, v170, v118, -v37
	s_delay_alu instid0(VALU_DEP_2) | instskip(SKIP_3) | instid1(VALU_DEP_3)
	v_dual_add_f32 v11, v11, v31 :: v_dual_add_f32 v9, v9, v17
	v_dual_mul_f32 v23, v174, v123 :: v_dual_mul_f32 v25, v176, v125
	v_dual_fmac_f32 v21, v173, v120 :: v_dual_fma_f32 v17, v172, v120, -v39
	s_wait_loadcnt 0x4
	v_dual_add_f32 v9, v9, v19 :: v_dual_mov_b32 v112, v135
	v_dual_add_f32 v11, v11, v15 :: v_dual_fma_f32 v15, v174, v122, -v41
	s_delay_alu instid0(VALU_DEP_2) | instskip(SKIP_1) | instid1(VALU_DEP_3)
	v_dual_fmac_f32 v23, v175, v122 :: v_dual_add_f32 v9, v9, v21
	v_dual_mul_f32 v195, v178, v127 :: v_dual_mul_f32 v197, v144, v129
	v_dual_add_f32 v11, v11, v17 :: v_dual_fmac_f32 v25, v177, v124
	s_delay_alu instid0(VALU_DEP_3) | instskip(NEXT) | instid1(VALU_DEP_3)
	v_dual_fma_f32 v17, v176, v124, -v43 :: v_dual_add_f32 v9, v9, v23
	v_fmac_f32_e32 v195, v179, v126
	s_delay_alu instid0(VALU_DEP_3) | instskip(SKIP_1) | instid1(VALU_DEP_4)
	v_dual_add_f32 v11, v11, v15 :: v_dual_fma_f32 v194, v178, v126, -v27
	v_pk_mul_f32 v[108:109], v[186:187], v[108:109] op_sel_hi:[1,0]
	v_add_f32_e32 v117, v9, v25
	v_pk_mul_f32 v[110:111], v[148:149], v[132:133] op_sel:[1,1] op_sel_hi:[0,1]
	s_delay_alu instid0(VALU_DEP_4) | instskip(SKIP_3) | instid1(VALU_DEP_3)
	v_dual_add_f32 v116, v11, v17 :: v_dual_fmac_f32 v197, v145, v128
	s_wait_loadcnt 0x3
	v_dual_mov_b32 v118, v139 :: v_dual_fma_f32 v196, v144, v128, -v13
	v_pk_fma_f32 v[120:121], v[146:147], v[130:131], v[108:109] op_sel_hi:[1,0,1]
	v_pk_add_f32 v[116:117], v[116:117], v[194:195]
	v_pk_fma_f32 v[108:109], v[146:147], v[130:131], v[108:109] neg_lo:[0,0,1] neg_hi:[0,0,1]
	v_pk_fma_f32 v[122:123], v[148:149], v[132:133], v[110:111] op_sel_hi:[1,0,1]
	v_pk_mul_f32 v[112:113], v[188:189], v[112:113] op_sel_hi:[1,0]
	v_mov_b32_e32 v109, v121
	v_pk_add_f32 v[116:117], v[116:117], v[196:197]
	v_pk_fma_f32 v[110:111], v[148:149], v[132:133], v[110:111] neg_lo:[0,0,1] neg_hi:[0,0,1]
	v_pk_mul_f32 v[114:115], v[152:153], v[136:137] op_sel:[1,1] op_sel_hi:[0,1]
	v_mov_b32_e32 v111, v123
	v_pk_fma_f32 v[122:123], v[150:151], v[134:135], v[112:113] op_sel_hi:[1,0,1]
	v_pk_add_f32 v[108:109], v[116:117], v[108:109]
	v_pk_fma_f32 v[112:113], v[150:151], v[134:135], v[112:113] neg_lo:[0,0,1] neg_hi:[0,0,1]
	v_pk_fma_f32 v[116:117], v[152:153], v[136:137], v[114:115] op_sel_hi:[1,0,1]
	v_pk_mul_f32 v[118:119], v[190:191], v[118:119] op_sel_hi:[1,0]
	v_mov_b32_e32 v113, v123
	v_pk_add_f32 v[108:109], v[108:109], v[110:111]
	v_pk_fma_f32 v[114:115], v[152:153], v[136:137], v[114:115] neg_lo:[0,0,1] neg_hi:[0,0,1]
	s_wait_loadcnt 0x2
	v_pk_mul_f32 v[120:121], v[156:157], v[140:141] op_sel:[1,1] op_sel_hi:[0,1]
	v_dual_mov_b32 v110, v143 :: v_dual_mov_b32 v115, v117
	v_pk_fma_f32 v[116:117], v[154:155], v[138:139], v[118:119] op_sel_hi:[1,0,1]
	v_pk_add_f32 v[108:109], v[108:109], v[112:113]
	v_pk_fma_f32 v[118:119], v[154:155], v[138:139], v[118:119] neg_lo:[0,0,1] neg_hi:[0,0,1]
	v_pk_fma_f32 v[112:113], v[156:157], v[140:141], v[120:121] op_sel_hi:[1,0,1]
	v_pk_mul_f32 v[110:111], v[192:193], v[110:111] op_sel_hi:[1,0]
	v_mov_b32_e32 v119, v117
	v_pk_add_f32 v[108:109], v[108:109], v[114:115]
	v_pk_fma_f32 v[114:115], v[156:157], v[140:141], v[120:121] neg_lo:[0,0,1] neg_hi:[0,0,1]
	v_mov_b32_e32 v115, v113
	v_pk_fma_f32 v[112:113], v[158:159], v[142:143], v[110:111] op_sel_hi:[1,0,1]
	s_wait_loadcnt_dscnt 0x100
	v_pk_mul_f32 v[116:117], v[184:185], v[180:181] op_sel:[1,1] op_sel_hi:[0,1]
	v_pk_add_f32 v[108:109], v[108:109], v[118:119]
	v_pk_fma_f32 v[110:111], v[158:159], v[142:143], v[110:111] neg_lo:[0,0,1] neg_hi:[0,0,1]
	v_mov_b32_e32 v111, v113
	s_delay_alu instid0(VALU_DEP_4) | instskip(NEXT) | instid1(VALU_DEP_4)
	v_pk_fma_f32 v[112:113], v[184:185], v[180:181], v[116:117] op_sel_hi:[1,0,1]
	v_pk_add_f32 v[108:109], v[108:109], v[114:115]
	v_pk_fma_f32 v[114:115], v[184:185], v[180:181], v[116:117] neg_lo:[0,0,1] neg_hi:[0,0,1]
	s_delay_alu instid0(VALU_DEP_3) | instskip(NEXT) | instid1(VALU_DEP_3)
	v_mov_b32_e32 v115, v113
	v_pk_add_f32 v[108:109], v[108:109], v[110:111]
	s_delay_alu instid0(VALU_DEP_1) | instskip(SKIP_1) | instid1(VALU_DEP_1)
	v_pk_add_f32 v[108:109], v[108:109], v[114:115]
	s_wait_loadcnt 0x0
	v_pk_add_f32 v[108:109], v[182:183], v[108:109] neg_lo:[0,1] neg_hi:[0,1]
	scratch_store_b64 off, v[108:109], off offset:264
	s_wait_xcnt 0x0
	v_cmpx_lt_u32_e32 32, v0
	s_cbranch_execz .LBB52_267
; %bb.266:
	scratch_load_b64 v[108:109], off, off offset:256
	v_mov_b64_e32 v[110:111], 0
	scratch_store_b64 off, v[110:111], off offset:256
	s_wait_loadcnt 0x0
	ds_store_b64 v1, v[108:109]
.LBB52_267:
	s_wait_xcnt 0x0
	s_or_b32 exec_lo, exec_lo, s0
	s_wait_storecnt_dscnt 0x0
	s_barrier_signal -1
	s_barrier_wait -1
	s_clause 0xa
	scratch_load_b128 v[108:111], off, off offset:264
	scratch_load_b128 v[112:115], off, off offset:280
	;; [unrolled: 1-line block ×10, first 2 shown]
	scratch_load_b64 v[188:189], off, off offset:256
	ds_load_2addr_b64 v[148:151], v5 offset0:99 offset1:100
	ds_load_2addr_b64 v[152:155], v5 offset0:101 offset1:102
	;; [unrolled: 1-line block ×10, first 2 shown]
	s_mov_b32 s0, exec_lo
	s_wait_dscnt 0x9
	v_dual_mov_b32 v190, v151 :: v_dual_mov_b32 v191, v150
	s_wait_dscnt 0x8
	v_dual_mov_b32 v192, v155 :: v_dual_mov_b32 v193, v154
	;; [unrolled: 2-line block ×4, first 2 shown]
	s_wait_loadcnt_dscnt 0xa05
	v_dual_mul_f32 v5, v164, v109 :: v_dual_mul_f32 v9, v166, v111
	v_dual_mul_f32 v27, v165, v109 :: v_dual_mul_f32 v29, v167, v111
	s_wait_loadcnt_dscnt 0x904
	v_dual_mul_f32 v11, v168, v113 :: v_dual_mul_f32 v13, v170, v115
	s_delay_alu instid0(VALU_DEP_2) | instskip(SKIP_3) | instid1(VALU_DEP_3)
	v_dual_fmac_f32 v5, v165, v108 :: v_dual_fma_f32 v27, v164, v108, -v27
	v_dual_mul_f32 v31, v169, v113 :: v_dual_mul_f32 v33, v171, v115
	s_wait_loadcnt_dscnt 0x702
	v_dual_mul_f32 v39, v177, v121 :: v_dual_fmac_f32 v9, v167, v110
	v_dual_fma_f32 v29, v166, v110, -v29 :: v_dual_add_f32 v5, 0, v5
	v_dual_add_f32 v27, 0, v27 :: v_dual_fmac_f32 v11, v169, v112
	v_dual_mul_f32 v41, v179, v123 :: v_dual_fma_f32 v31, v168, v112, -v31
	s_delay_alu instid0(VALU_DEP_3) | instskip(NEXT) | instid1(VALU_DEP_3)
	v_dual_add_f32 v5, v5, v9 :: v_dual_fmac_f32 v13, v171, v114
	v_dual_add_f32 v9, v27, v29 :: v_dual_fma_f32 v29, v170, v114, -v33
	v_dual_mul_f32 v15, v172, v117 :: v_dual_mul_f32 v17, v174, v119
	v_dual_mul_f32 v35, v173, v117 :: v_dual_mul_f32 v37, v175, v119
	s_delay_alu instid0(VALU_DEP_4) | instskip(NEXT) | instid1(VALU_DEP_3)
	v_add_f32_e32 v5, v5, v11
	v_dual_add_f32 v9, v9, v31 :: v_dual_fmac_f32 v17, v175, v118
	s_delay_alu instid0(VALU_DEP_4) | instskip(NEXT) | instid1(VALU_DEP_3)
	v_fmac_f32_e32 v15, v173, v116
	v_dual_fma_f32 v31, v172, v116, -v35 :: v_dual_add_f32 v5, v5, v13
	s_delay_alu instid0(VALU_DEP_3) | instskip(SKIP_1) | instid1(VALU_DEP_3)
	v_add_f32_e32 v9, v9, v29
	v_dual_mul_f32 v19, v176, v121 :: v_dual_mul_f32 v21, v178, v123
	v_dual_fma_f32 v29, v174, v118, -v37 :: v_dual_add_f32 v5, v5, v15
	s_wait_loadcnt 0x4
	s_delay_alu instid0(VALU_DEP_3)
	v_dual_add_f32 v9, v9, v31 :: v_dual_mov_b32 v110, v135
	s_wait_dscnt 0x1
	v_dual_mul_f32 v23, v180, v125 :: v_dual_mul_f32 v25, v182, v127
	v_dual_mul_f32 v27, v181, v125 :: v_dual_mul_f32 v11, v183, v127
	v_fmac_f32_e32 v19, v177, v120
	v_dual_fma_f32 v31, v176, v120, -v39 :: v_dual_add_f32 v5, v5, v17
	s_delay_alu instid0(VALU_DEP_3) | instskip(SKIP_3) | instid1(VALU_DEP_3)
	v_dual_add_f32 v9, v9, v29 :: v_dual_fma_f32 v11, v182, v126, -v11
	s_wait_dscnt 0x0
	v_dual_mul_f32 v13, v185, v129 :: v_dual_fmac_f32 v21, v179, v122
	v_pk_mul_f32 v[108:109], v[148:149], v[132:133] op_sel:[1,1] op_sel_hi:[0,1]
	v_dual_fma_f32 v17, v178, v122, -v41 :: v_dual_add_f32 v9, v9, v31
	s_delay_alu instid0(VALU_DEP_3)
	v_fma_f32 v198, v184, v128, -v13
	v_dual_fmac_f32 v25, v183, v126 :: v_dual_add_f32 v5, v5, v19
	s_wait_loadcnt 0x3
	v_dual_mov_b32 v114, v139 :: v_dual_mul_f32 v199, v184, v129
	v_dual_mul_f32 v201, v186, v131 :: v_dual_mul_f32 v15, v187, v131
	v_fmac_f32_e32 v23, v181, v124
	v_dual_fma_f32 v19, v180, v124, -v27 :: v_dual_add_f32 v5, v5, v21
	v_pk_fma_f32 v[118:119], v[148:149], v[132:133], v[108:109] op_sel_hi:[1,0,1]
	v_add_f32_e32 v9, v9, v17
	v_pk_mul_f32 v[110:111], v[190:191], v[110:111] op_sel_hi:[1,0]
	v_pk_fma_f32 v[108:109], v[148:149], v[132:133], v[108:109] neg_lo:[0,0,1] neg_hi:[0,0,1]
	v_pk_mul_f32 v[112:113], v[152:153], v[136:137] op_sel:[1,1] op_sel_hi:[0,1]
	v_dual_fmac_f32 v201, v187, v130 :: v_dual_fma_f32 v200, v186, v130, -v15
	v_dual_mov_b32 v109, v119 :: v_dual_add_f32 v9, v9, v19
	v_pk_fma_f32 v[118:119], v[150:151], v[134:135], v[110:111] op_sel_hi:[1,0,1]
	v_add_f32_e32 v5, v5, v23
	v_pk_mul_f32 v[114:115], v[192:193], v[114:115] op_sel_hi:[1,0]
	v_pk_fma_f32 v[110:111], v[150:151], v[134:135], v[110:111] neg_lo:[0,0,1] neg_hi:[0,0,1]
	v_add_f32_e32 v116, v9, v11
	v_pk_fma_f32 v[122:123], v[152:153], v[136:137], v[112:113] op_sel_hi:[1,0,1]
	v_dual_fmac_f32 v199, v185, v128 :: v_dual_mov_b32 v111, v119
	v_pk_fma_f32 v[118:119], v[154:155], v[138:139], v[114:115] op_sel_hi:[1,0,1]
	v_add_f32_e32 v117, v5, v25
	v_pk_fma_f32 v[112:113], v[152:153], v[136:137], v[112:113] neg_lo:[0,0,1] neg_hi:[0,0,1]
	v_pk_fma_f32 v[114:115], v[154:155], v[138:139], v[114:115] neg_lo:[0,0,1] neg_hi:[0,0,1]
	s_delay_alu instid0(VALU_DEP_4) | instskip(NEXT) | instid1(VALU_DEP_4)
	v_dual_mov_b32 v113, v123 :: v_dual_mov_b32 v115, v119
	v_pk_add_f32 v[116:117], v[116:117], v[198:199]
	s_wait_loadcnt 0x2
	v_pk_mul_f32 v[120:121], v[156:157], v[140:141] op_sel:[1,1] op_sel_hi:[0,1]
	s_delay_alu instid0(VALU_DEP_2) | instskip(NEXT) | instid1(VALU_DEP_2)
	v_pk_add_f32 v[116:117], v[116:117], v[200:201]
	v_pk_fma_f32 v[118:119], v[156:157], v[140:141], v[120:121] neg_lo:[0,0,1] neg_hi:[0,0,1]
	s_delay_alu instid0(VALU_DEP_2) | instskip(SKIP_1) | instid1(VALU_DEP_2)
	v_pk_add_f32 v[108:109], v[116:117], v[108:109]
	v_mov_b32_e32 v116, v143
	v_pk_add_f32 v[108:109], v[108:109], v[110:111]
	v_pk_fma_f32 v[110:111], v[156:157], v[140:141], v[120:121] op_sel_hi:[1,0,1]
	s_delay_alu instid0(VALU_DEP_3) | instskip(NEXT) | instid1(VALU_DEP_3)
	v_pk_mul_f32 v[116:117], v[194:195], v[116:117] op_sel_hi:[1,0]
	v_pk_add_f32 v[108:109], v[108:109], v[112:113]
	s_delay_alu instid0(VALU_DEP_3) | instskip(NEXT) | instid1(VALU_DEP_3)
	v_mov_b32_e32 v119, v111
	v_pk_fma_f32 v[110:111], v[158:159], v[142:143], v[116:117] op_sel_hi:[1,0,1]
	s_wait_loadcnt 0x1
	v_pk_mul_f32 v[112:113], v[160:161], v[144:145] op_sel:[1,1] op_sel_hi:[0,1]
	v_mov_b32_e32 v110, v147
	v_pk_add_f32 v[108:109], v[108:109], v[114:115]
	v_pk_fma_f32 v[116:117], v[158:159], v[142:143], v[116:117] neg_lo:[0,0,1] neg_hi:[0,0,1]
	v_mov_b32_e32 v117, v111
	v_pk_fma_f32 v[114:115], v[160:161], v[144:145], v[112:113] op_sel_hi:[1,0,1]
	v_pk_mul_f32 v[110:111], v[196:197], v[110:111] op_sel_hi:[1,0]
	v_pk_add_f32 v[108:109], v[108:109], v[118:119]
	v_pk_fma_f32 v[112:113], v[160:161], v[144:145], v[112:113] neg_lo:[0,0,1] neg_hi:[0,0,1]
	s_delay_alu instid0(VALU_DEP_4) | instskip(NEXT) | instid1(VALU_DEP_4)
	v_mov_b32_e32 v113, v115
	v_pk_fma_f32 v[114:115], v[162:163], v[146:147], v[110:111] op_sel_hi:[1,0,1]
	s_delay_alu instid0(VALU_DEP_4) | instskip(SKIP_1) | instid1(VALU_DEP_3)
	v_pk_add_f32 v[108:109], v[108:109], v[116:117]
	v_pk_fma_f32 v[110:111], v[162:163], v[146:147], v[110:111] neg_lo:[0,0,1] neg_hi:[0,0,1]
	v_mov_b32_e32 v111, v115
	s_delay_alu instid0(VALU_DEP_3) | instskip(NEXT) | instid1(VALU_DEP_1)
	v_pk_add_f32 v[108:109], v[108:109], v[112:113]
	v_pk_add_f32 v[108:109], v[108:109], v[110:111]
	s_wait_loadcnt 0x0
	s_delay_alu instid0(VALU_DEP_1)
	v_pk_add_f32 v[108:109], v[188:189], v[108:109] neg_lo:[0,1] neg_hi:[0,1]
	scratch_store_b64 off, v[108:109], off offset:256
	s_wait_xcnt 0x0
	v_cmpx_lt_u32_e32 31, v0
	s_cbranch_execz .LBB52_269
; %bb.268:
	scratch_load_b64 v[108:109], off, off offset:248
	v_mov_b64_e32 v[110:111], 0
	scratch_store_b64 off, v[110:111], off offset:248
	s_wait_loadcnt 0x0
	ds_store_b64 v1, v[108:109]
.LBB52_269:
	s_wait_xcnt 0x0
	s_or_b32 exec_lo, exec_lo, s0
	s_wait_storecnt_dscnt 0x0
	s_barrier_signal -1
	s_barrier_wait -1
	s_clause 0xb
	scratch_load_b128 v[108:111], off, off offset:256
	scratch_load_b128 v[112:115], off, off offset:272
	;; [unrolled: 1-line block ×10, first 2 shown]
	scratch_load_b64 v[188:189], off, off offset:416
	scratch_load_b64 v[190:191], off, off offset:248
	v_mov_b32_e32 v5, 0
	ds_load_b128 v[148:151], v5 offset:784
	ds_load_b128 v[152:155], v5 offset:800
	ds_load_b128 v[156:159], v5 offset:816
	ds_load_b128 v[160:163], v5 offset:832
	ds_load_b128 v[164:167], v5 offset:688
	ds_load_b128 v[168:171], v5 offset:704
	ds_load_b128 v[172:175], v5 offset:720
	ds_load_b128 v[176:179], v5 offset:736
	ds_load_b128 v[180:183], v5 offset:752
	ds_load_b128 v[184:187], v5 offset:768
	ds_load_b64 v[192:193], v5 offset:848
	s_mov_b32 s0, exec_lo
	s_wait_dscnt 0xa
	v_dual_mov_b32 v194, v151 :: v_dual_mov_b32 v195, v150
	s_wait_dscnt 0x7
	v_dual_mov_b32 v196, v155 :: v_dual_mov_b32 v201, v162
	v_dual_mov_b32 v197, v154 :: v_dual_mov_b32 v198, v159
	;; [unrolled: 1-line block ×3, first 2 shown]
	s_wait_loadcnt_dscnt 0xb06
	v_dual_mul_f32 v9, v164, v109 :: v_dual_mul_f32 v31, v165, v109
	v_dual_mul_f32 v33, v167, v111 :: v_dual_mul_f32 v11, v166, v111
	s_wait_loadcnt_dscnt 0xa05
	v_mul_f32_e32 v13, v168, v113
	s_wait_loadcnt_dscnt 0x803
	v_dual_mul_f32 v43, v177, v121 :: v_dual_fma_f32 v31, v164, v108, -v31
	v_dual_fmac_f32 v9, v165, v108 :: v_dual_mul_f32 v45, v179, v123
	v_dual_mul_f32 v35, v169, v113 :: v_dual_mul_f32 v37, v171, v115
	v_dual_fmac_f32 v11, v167, v110 :: v_dual_fma_f32 v33, v166, v110, -v33
	s_delay_alu instid0(VALU_DEP_3) | instskip(SKIP_4) | instid1(VALU_DEP_3)
	v_dual_add_f32 v9, 0, v9 :: v_dual_add_f32 v31, 0, v31
	v_dual_mul_f32 v15, v170, v115 :: v_dual_mul_f32 v17, v172, v117
	s_wait_loadcnt_dscnt 0x702
	v_dual_mul_f32 v47, v181, v125 :: v_dual_fma_f32 v35, v168, v112, -v35
	v_fmac_f32_e32 v13, v169, v112
	v_dual_add_f32 v9, v9, v11 :: v_dual_fmac_f32 v15, v171, v114
	v_add_f32_e32 v11, v31, v33
	v_dual_mul_f32 v39, v173, v117 :: v_dual_mul_f32 v41, v175, v119
	v_dual_mul_f32 v31, v183, v127 :: v_dual_fma_f32 v33, v170, v114, -v37
	s_delay_alu instid0(VALU_DEP_3) | instskip(SKIP_3) | instid1(VALU_DEP_3)
	v_dual_add_f32 v9, v9, v13 :: v_dual_add_f32 v11, v11, v35
	v_dual_mul_f32 v19, v174, v119 :: v_dual_mul_f32 v21, v176, v121
	s_wait_loadcnt_dscnt 0x601
	v_dual_mul_f32 v13, v185, v129 :: v_dual_fma_f32 v35, v172, v116, -v39
	v_dual_fmac_f32 v17, v173, v116 :: v_dual_add_f32 v11, v11, v33
	s_delay_alu instid0(VALU_DEP_3) | instskip(SKIP_1) | instid1(VALU_DEP_2)
	v_dual_add_f32 v9, v9, v15 :: v_dual_fmac_f32 v19, v175, v118
	v_dual_mul_f32 v15, v187, v131 :: v_dual_fma_f32 v33, v174, v118, -v41
	v_dual_add_f32 v11, v11, v35 :: v_dual_add_f32 v9, v9, v17
	v_dual_mul_f32 v23, v178, v123 :: v_dual_mul_f32 v25, v180, v125
	s_wait_loadcnt 0x5
	v_dual_mul_f32 v17, v149, v133 :: v_dual_fma_f32 v35, v176, v120, -v43
	s_delay_alu instid0(VALU_DEP_3) | instskip(SKIP_2) | instid1(VALU_DEP_2)
	v_dual_fmac_f32 v21, v177, v120 :: v_dual_add_f32 v11, v11, v33
	v_dual_add_f32 v9, v9, v19 :: v_dual_mov_b32 v108, v135
	v_dual_fmac_f32 v23, v179, v122 :: v_dual_fma_f32 v19, v178, v122, -v45
	v_dual_add_f32 v11, v11, v35 :: v_dual_add_f32 v9, v9, v21
	v_dual_mul_f32 v27, v182, v127 :: v_dual_mul_f32 v29, v184, v129
	v_dual_fmac_f32 v25, v181, v124 :: v_dual_fma_f32 v21, v180, v124, -v47
	s_wait_loadcnt 0x4
	s_delay_alu instid0(VALU_DEP_3) | instskip(SKIP_1) | instid1(VALU_DEP_2)
	v_dual_add_f32 v9, v9, v23 :: v_dual_mov_b32 v112, v139
	v_dual_add_f32 v11, v11, v19 :: v_dual_fma_f32 v19, v182, v126, -v31
	v_dual_fmac_f32 v27, v183, v126 :: v_dual_add_f32 v9, v9, v25
	v_dual_mul_f32 v203, v186, v131 :: v_dual_mul_f32 v205, v148, v133
	s_delay_alu instid0(VALU_DEP_3) | instskip(NEXT) | instid1(VALU_DEP_3)
	v_dual_add_f32 v11, v11, v21 :: v_dual_fmac_f32 v29, v185, v128
	v_dual_fma_f32 v13, v184, v128, -v13 :: v_dual_add_f32 v9, v9, v27
	s_delay_alu instid0(VALU_DEP_3) | instskip(NEXT) | instid1(VALU_DEP_3)
	v_fmac_f32_e32 v203, v187, v130
	v_dual_add_f32 v11, v11, v19 :: v_dual_fma_f32 v202, v186, v130, -v15
	v_pk_mul_f32 v[108:109], v[194:195], v[108:109] op_sel_hi:[1,0]
	s_delay_alu instid0(VALU_DEP_4) | instskip(SKIP_1) | instid1(VALU_DEP_4)
	v_add_f32_e32 v117, v9, v29
	v_pk_mul_f32 v[110:111], v[152:153], v[136:137] op_sel:[1,1] op_sel_hi:[0,1]
	v_dual_add_f32 v116, v11, v13 :: v_dual_fmac_f32 v205, v149, v132
	s_wait_loadcnt 0x3
	v_dual_mov_b32 v118, v143 :: v_dual_fma_f32 v204, v148, v132, -v17
	v_pk_fma_f32 v[120:121], v[150:151], v[134:135], v[108:109] op_sel_hi:[1,0,1]
	s_delay_alu instid0(VALU_DEP_3)
	v_pk_add_f32 v[116:117], v[116:117], v[202:203]
	v_pk_fma_f32 v[108:109], v[150:151], v[134:135], v[108:109] neg_lo:[0,0,1] neg_hi:[0,0,1]
	v_pk_fma_f32 v[122:123], v[152:153], v[136:137], v[110:111] op_sel_hi:[1,0,1]
	v_pk_mul_f32 v[112:113], v[196:197], v[112:113] op_sel_hi:[1,0]
	v_mov_b32_e32 v109, v121
	v_pk_add_f32 v[116:117], v[116:117], v[204:205]
	v_pk_fma_f32 v[110:111], v[152:153], v[136:137], v[110:111] neg_lo:[0,0,1] neg_hi:[0,0,1]
	v_pk_mul_f32 v[114:115], v[156:157], v[140:141] op_sel:[1,1] op_sel_hi:[0,1]
	v_mov_b32_e32 v111, v123
	v_pk_fma_f32 v[122:123], v[154:155], v[138:139], v[112:113] op_sel_hi:[1,0,1]
	v_pk_add_f32 v[108:109], v[116:117], v[108:109]
	v_pk_fma_f32 v[112:113], v[154:155], v[138:139], v[112:113] neg_lo:[0,0,1] neg_hi:[0,0,1]
	v_pk_fma_f32 v[116:117], v[156:157], v[140:141], v[114:115] op_sel_hi:[1,0,1]
	v_pk_mul_f32 v[118:119], v[198:199], v[118:119] op_sel_hi:[1,0]
	v_mov_b32_e32 v113, v123
	v_pk_add_f32 v[108:109], v[108:109], v[110:111]
	v_pk_fma_f32 v[114:115], v[156:157], v[140:141], v[114:115] neg_lo:[0,0,1] neg_hi:[0,0,1]
	s_wait_loadcnt 0x2
	v_pk_mul_f32 v[120:121], v[160:161], v[144:145] op_sel:[1,1] op_sel_hi:[0,1]
	v_dual_mov_b32 v110, v147 :: v_dual_mov_b32 v115, v117
	v_pk_fma_f32 v[116:117], v[158:159], v[142:143], v[118:119] op_sel_hi:[1,0,1]
	v_pk_add_f32 v[108:109], v[108:109], v[112:113]
	v_pk_fma_f32 v[118:119], v[158:159], v[142:143], v[118:119] neg_lo:[0,0,1] neg_hi:[0,0,1]
	v_pk_fma_f32 v[112:113], v[160:161], v[144:145], v[120:121] op_sel_hi:[1,0,1]
	v_pk_mul_f32 v[110:111], v[200:201], v[110:111] op_sel_hi:[1,0]
	v_mov_b32_e32 v119, v117
	v_pk_add_f32 v[108:109], v[108:109], v[114:115]
	v_pk_fma_f32 v[114:115], v[160:161], v[144:145], v[120:121] neg_lo:[0,0,1] neg_hi:[0,0,1]
	v_mov_b32_e32 v115, v113
	v_pk_fma_f32 v[112:113], v[162:163], v[146:147], v[110:111] op_sel_hi:[1,0,1]
	s_wait_loadcnt_dscnt 0x100
	v_pk_mul_f32 v[116:117], v[192:193], v[188:189] op_sel:[1,1] op_sel_hi:[0,1]
	v_pk_add_f32 v[108:109], v[108:109], v[118:119]
	v_pk_fma_f32 v[110:111], v[162:163], v[146:147], v[110:111] neg_lo:[0,0,1] neg_hi:[0,0,1]
	v_mov_b32_e32 v111, v113
	s_delay_alu instid0(VALU_DEP_4) | instskip(NEXT) | instid1(VALU_DEP_4)
	v_pk_fma_f32 v[112:113], v[192:193], v[188:189], v[116:117] op_sel_hi:[1,0,1]
	v_pk_add_f32 v[108:109], v[108:109], v[114:115]
	v_pk_fma_f32 v[114:115], v[192:193], v[188:189], v[116:117] neg_lo:[0,0,1] neg_hi:[0,0,1]
	s_delay_alu instid0(VALU_DEP_3) | instskip(NEXT) | instid1(VALU_DEP_3)
	v_mov_b32_e32 v115, v113
	v_pk_add_f32 v[108:109], v[108:109], v[110:111]
	s_delay_alu instid0(VALU_DEP_1) | instskip(SKIP_1) | instid1(VALU_DEP_1)
	v_pk_add_f32 v[108:109], v[108:109], v[114:115]
	s_wait_loadcnt 0x0
	v_pk_add_f32 v[108:109], v[190:191], v[108:109] neg_lo:[0,1] neg_hi:[0,1]
	scratch_store_b64 off, v[108:109], off offset:248
	s_wait_xcnt 0x0
	v_cmpx_lt_u32_e32 30, v0
	s_cbranch_execz .LBB52_271
; %bb.270:
	scratch_load_b64 v[108:109], off, off offset:240
	v_mov_b64_e32 v[110:111], 0
	scratch_store_b64 off, v[110:111], off offset:240
	s_wait_loadcnt 0x0
	ds_store_b64 v1, v[108:109]
.LBB52_271:
	s_wait_xcnt 0x0
	s_or_b32 exec_lo, exec_lo, s0
	s_wait_storecnt_dscnt 0x0
	s_barrier_signal -1
	s_barrier_wait -1
	s_clause 0xb
	scratch_load_b128 v[108:111], off, off offset:248
	scratch_load_b128 v[112:115], off, off offset:264
	;; [unrolled: 1-line block ×11, first 2 shown]
	scratch_load_b64 v[196:197], off, off offset:240
	ds_load_2addr_b64 v[152:155], v5 offset0:99 offset1:100
	ds_load_2addr_b64 v[156:159], v5 offset0:101 offset1:102
	;; [unrolled: 1-line block ×11, first 2 shown]
	s_mov_b32 s0, exec_lo
	s_wait_dscnt 0xa
	v_dual_mov_b32 v198, v155 :: v_dual_mov_b32 v199, v154
	s_wait_dscnt 0x9
	v_dual_mov_b32 v200, v159 :: v_dual_mov_b32 v201, v158
	;; [unrolled: 2-line block ×4, first 2 shown]
	s_wait_loadcnt_dscnt 0xb06
	v_dual_mul_f32 v5, v168, v109 :: v_dual_mul_f32 v9, v170, v111
	v_dual_mul_f32 v31, v169, v109 :: v_dual_mul_f32 v33, v171, v111
	s_wait_loadcnt_dscnt 0xa05
	v_dual_mul_f32 v11, v172, v113 :: v_dual_mul_f32 v13, v174, v115
	s_delay_alu instid0(VALU_DEP_2) | instskip(SKIP_3) | instid1(VALU_DEP_3)
	v_dual_fmac_f32 v5, v169, v108 :: v_dual_fma_f32 v31, v168, v108, -v31
	v_dual_mul_f32 v35, v173, v113 :: v_dual_mul_f32 v37, v175, v115
	s_wait_loadcnt_dscnt 0x803
	v_dual_mul_f32 v43, v181, v121 :: v_dual_fmac_f32 v9, v171, v110
	v_dual_fma_f32 v33, v170, v110, -v33 :: v_dual_add_f32 v5, 0, v5
	v_dual_add_f32 v31, 0, v31 :: v_dual_fmac_f32 v11, v173, v112
	v_dual_mul_f32 v45, v183, v123 :: v_dual_fma_f32 v35, v172, v112, -v35
	s_delay_alu instid0(VALU_DEP_3) | instskip(NEXT) | instid1(VALU_DEP_3)
	v_dual_add_f32 v5, v5, v9 :: v_dual_fmac_f32 v13, v175, v114
	v_dual_add_f32 v9, v31, v33 :: v_dual_fma_f32 v33, v174, v114, -v37
	v_dual_mul_f32 v15, v176, v117 :: v_dual_mul_f32 v17, v178, v119
	v_dual_mul_f32 v39, v177, v117 :: v_dual_mul_f32 v41, v179, v119
	s_delay_alu instid0(VALU_DEP_3) | instskip(NEXT) | instid1(VALU_DEP_3)
	v_add_f32_e32 v9, v9, v35
	v_dual_add_f32 v5, v5, v11 :: v_dual_fmac_f32 v17, v179, v118
	s_wait_loadcnt_dscnt 0x702
	s_delay_alu instid0(VALU_DEP_3) | instskip(NEXT) | instid1(VALU_DEP_3)
	v_dual_fma_f32 v35, v176, v116, -v39 :: v_dual_mul_f32 v31, v185, v125
	v_dual_mul_f32 v11, v187, v127 :: v_dual_add_f32 v9, v9, v33
	v_dual_fmac_f32 v15, v177, v116 :: v_dual_fma_f32 v33, v178, v118, -v41
	v_add_f32_e32 v5, v5, v13
	v_dual_mul_f32 v19, v180, v121 :: v_dual_mul_f32 v21, v182, v123
	s_delay_alu instid0(VALU_DEP_4) | instskip(NEXT) | instid1(VALU_DEP_3)
	v_dual_add_f32 v9, v9, v35 :: v_dual_fma_f32 v31, v184, v124, -v31
	v_dual_add_f32 v5, v5, v15 :: v_dual_fma_f32 v35, v180, v120, -v43
	v_dual_mul_f32 v23, v184, v125 :: v_dual_mul_f32 v25, v186, v127
	s_delay_alu instid0(VALU_DEP_3) | instskip(SKIP_2) | instid1(VALU_DEP_3)
	v_dual_add_f32 v9, v9, v33 :: v_dual_fma_f32 v11, v186, v126, -v11
	s_wait_loadcnt_dscnt 0x601
	v_dual_mul_f32 v27, v188, v129 :: v_dual_mul_f32 v29, v190, v131
	v_dual_fmac_f32 v19, v181, v120 :: v_dual_fmac_f32 v25, v187, v126
	v_dual_fma_f32 v33, v182, v122, -v45 :: v_dual_add_f32 v5, v5, v17
	s_delay_alu instid0(VALU_DEP_3) | instskip(SKIP_3) | instid1(VALU_DEP_2)
	v_dual_add_f32 v9, v9, v35 :: v_dual_fmac_f32 v29, v191, v130
	v_dual_mul_f32 v13, v189, v129 :: v_dual_fmac_f32 v21, v183, v122
	s_wait_loadcnt_dscnt 0x400
	v_dual_mul_f32 v17, v193, v133 :: v_dual_mov_b32 v110, v139
	v_dual_add_f32 v5, v5, v19 :: v_dual_fma_f32 v13, v188, v128, -v13
	s_delay_alu instid0(VALU_DEP_2)
	v_dual_add_f32 v9, v9, v33 :: v_dual_fma_f32 v206, v192, v132, -v17
	v_mul_f32_e32 v15, v191, v131
	v_dual_mul_f32 v19, v195, v135 :: v_dual_fmac_f32 v23, v185, v124
	s_wait_loadcnt 0x3
	v_dual_mov_b32 v114, v143 :: v_dual_add_f32 v5, v5, v21
	v_pk_mul_f32 v[108:109], v[152:153], v[136:137] op_sel:[1,1] op_sel_hi:[0,1]
	s_delay_alu instid0(VALU_DEP_3) | instskip(SKIP_1) | instid1(VALU_DEP_3)
	v_dual_add_f32 v9, v9, v31 :: v_dual_fma_f32 v208, v194, v134, -v19
	v_dual_mul_f32 v207, v192, v133 :: v_dual_mul_f32 v209, v194, v135
	v_pk_fma_f32 v[118:119], v[152:153], v[136:137], v[108:109] op_sel_hi:[1,0,1]
	s_delay_alu instid0(VALU_DEP_3) | instskip(NEXT) | instid1(VALU_DEP_3)
	v_dual_add_f32 v9, v9, v11 :: v_dual_fma_f32 v11, v190, v130, -v15
	v_dual_add_f32 v5, v5, v23 :: v_dual_fmac_f32 v209, v195, v134
	v_pk_mul_f32 v[110:111], v[198:199], v[110:111] op_sel_hi:[1,0]
	v_pk_fma_f32 v[108:109], v[152:153], v[136:137], v[108:109] neg_lo:[0,0,1] neg_hi:[0,0,1]
	v_dual_fmac_f32 v27, v189, v128 :: v_dual_mov_b32 v109, v119
	v_pk_mul_f32 v[112:113], v[156:157], v[140:141] op_sel:[1,1] op_sel_hi:[0,1]
	s_delay_alu instid0(VALU_DEP_4) | instskip(SKIP_4) | instid1(VALU_DEP_4)
	v_pk_fma_f32 v[118:119], v[154:155], v[138:139], v[110:111] op_sel_hi:[1,0,1]
	v_add_f32_e32 v5, v5, v25
	v_pk_mul_f32 v[114:115], v[200:201], v[114:115] op_sel_hi:[1,0]
	v_pk_fma_f32 v[110:111], v[154:155], v[138:139], v[110:111] neg_lo:[0,0,1] neg_hi:[0,0,1]
	v_pk_fma_f32 v[122:123], v[156:157], v[140:141], v[112:113] op_sel_hi:[1,0,1]
	v_dual_mov_b32 v111, v119 :: v_dual_add_f32 v5, v5, v27
	s_delay_alu instid0(VALU_DEP_4)
	v_pk_fma_f32 v[118:119], v[158:159], v[142:143], v[114:115] op_sel_hi:[1,0,1]
	v_add_f32_e32 v9, v9, v13
	v_pk_fma_f32 v[112:113], v[156:157], v[140:141], v[112:113] neg_lo:[0,0,1] neg_hi:[0,0,1]
	v_pk_fma_f32 v[114:115], v[158:159], v[142:143], v[114:115] neg_lo:[0,0,1] neg_hi:[0,0,1]
	v_dual_fmac_f32 v207, v193, v132 :: v_dual_mov_b32 v113, v123
	v_dual_add_f32 v117, v5, v29 :: v_dual_mov_b32 v115, v119
	v_add_f32_e32 v116, v9, v11
	s_wait_loadcnt 0x2
	v_pk_mul_f32 v[120:121], v[160:161], v[144:145] op_sel:[1,1] op_sel_hi:[0,1]
	s_delay_alu instid0(VALU_DEP_2) | instskip(NEXT) | instid1(VALU_DEP_2)
	v_pk_add_f32 v[116:117], v[116:117], v[206:207]
	v_pk_fma_f32 v[118:119], v[160:161], v[144:145], v[120:121] neg_lo:[0,0,1] neg_hi:[0,0,1]
	s_delay_alu instid0(VALU_DEP_2) | instskip(NEXT) | instid1(VALU_DEP_1)
	v_pk_add_f32 v[116:117], v[116:117], v[208:209]
	v_pk_add_f32 v[108:109], v[116:117], v[108:109]
	v_mov_b32_e32 v116, v147
	s_delay_alu instid0(VALU_DEP_2) | instskip(SKIP_1) | instid1(VALU_DEP_3)
	v_pk_add_f32 v[108:109], v[108:109], v[110:111]
	v_pk_fma_f32 v[110:111], v[160:161], v[144:145], v[120:121] op_sel_hi:[1,0,1]
	v_pk_mul_f32 v[116:117], v[202:203], v[116:117] op_sel_hi:[1,0]
	s_delay_alu instid0(VALU_DEP_3) | instskip(NEXT) | instid1(VALU_DEP_3)
	v_pk_add_f32 v[108:109], v[108:109], v[112:113]
	v_mov_b32_e32 v119, v111
	s_delay_alu instid0(VALU_DEP_3)
	v_pk_fma_f32 v[110:111], v[162:163], v[146:147], v[116:117] op_sel_hi:[1,0,1]
	s_wait_loadcnt 0x1
	v_pk_mul_f32 v[112:113], v[164:165], v[148:149] op_sel:[1,1] op_sel_hi:[0,1]
	v_mov_b32_e32 v110, v151
	v_pk_add_f32 v[108:109], v[108:109], v[114:115]
	v_pk_fma_f32 v[116:117], v[162:163], v[146:147], v[116:117] neg_lo:[0,0,1] neg_hi:[0,0,1]
	v_mov_b32_e32 v117, v111
	v_pk_fma_f32 v[114:115], v[164:165], v[148:149], v[112:113] op_sel_hi:[1,0,1]
	v_pk_mul_f32 v[110:111], v[204:205], v[110:111] op_sel_hi:[1,0]
	v_pk_add_f32 v[108:109], v[108:109], v[118:119]
	v_pk_fma_f32 v[112:113], v[164:165], v[148:149], v[112:113] neg_lo:[0,0,1] neg_hi:[0,0,1]
	s_delay_alu instid0(VALU_DEP_4) | instskip(NEXT) | instid1(VALU_DEP_4)
	v_mov_b32_e32 v113, v115
	v_pk_fma_f32 v[114:115], v[166:167], v[150:151], v[110:111] op_sel_hi:[1,0,1]
	s_delay_alu instid0(VALU_DEP_4) | instskip(SKIP_1) | instid1(VALU_DEP_3)
	v_pk_add_f32 v[108:109], v[108:109], v[116:117]
	v_pk_fma_f32 v[110:111], v[166:167], v[150:151], v[110:111] neg_lo:[0,0,1] neg_hi:[0,0,1]
	v_mov_b32_e32 v111, v115
	s_delay_alu instid0(VALU_DEP_3) | instskip(NEXT) | instid1(VALU_DEP_1)
	v_pk_add_f32 v[108:109], v[108:109], v[112:113]
	v_pk_add_f32 v[108:109], v[108:109], v[110:111]
	s_wait_loadcnt 0x0
	s_delay_alu instid0(VALU_DEP_1)
	v_pk_add_f32 v[108:109], v[196:197], v[108:109] neg_lo:[0,1] neg_hi:[0,1]
	scratch_store_b64 off, v[108:109], off offset:240
	s_wait_xcnt 0x0
	v_cmpx_lt_u32_e32 29, v0
	s_cbranch_execz .LBB52_273
; %bb.272:
	scratch_load_b64 v[108:109], off, off offset:232
	v_mov_b64_e32 v[110:111], 0
	scratch_store_b64 off, v[110:111], off offset:232
	s_wait_loadcnt 0x0
	ds_store_b64 v1, v[108:109]
.LBB52_273:
	s_wait_xcnt 0x0
	s_or_b32 exec_lo, exec_lo, s0
	s_wait_storecnt_dscnt 0x0
	s_barrier_signal -1
	s_barrier_wait -1
	s_clause 0xc
	scratch_load_b128 v[108:111], off, off offset:240
	scratch_load_b128 v[112:115], off, off offset:256
	;; [unrolled: 1-line block ×11, first 2 shown]
	scratch_load_b64 v[196:197], off, off offset:416
	scratch_load_b64 v[198:199], off, off offset:232
	v_mov_b32_e32 v5, 0
	ds_load_b128 v[152:155], v5 offset:784
	ds_load_b128 v[156:159], v5 offset:800
	;; [unrolled: 1-line block ×11, first 2 shown]
	ds_load_b64 v[200:201], v5 offset:848
	s_mov_b32 s0, exec_lo
	s_wait_dscnt 0xb
	v_dual_mov_b32 v202, v155 :: v_dual_mov_b32 v203, v154
	s_wait_dscnt 0x8
	v_dual_mov_b32 v204, v159 :: v_dual_mov_b32 v209, v166
	v_dual_mov_b32 v205, v158 :: v_dual_mov_b32 v206, v163
	;; [unrolled: 1-line block ×3, first 2 shown]
	s_wait_loadcnt_dscnt 0xc07
	v_dual_mul_f32 v9, v168, v109 :: v_dual_mul_f32 v35, v169, v109
	v_dual_mul_f32 v37, v171, v111 :: v_dual_mul_f32 v11, v170, v111
	s_wait_loadcnt_dscnt 0xb06
	v_mul_f32_e32 v13, v172, v113
	s_wait_loadcnt_dscnt 0x904
	v_dual_mul_f32 v47, v181, v121 :: v_dual_fma_f32 v35, v168, v108, -v35
	v_dual_fmac_f32 v9, v169, v108 :: v_dual_mul_f32 v49, v183, v123
	v_dual_mul_f32 v39, v173, v113 :: v_dual_mul_f32 v41, v175, v115
	v_dual_fmac_f32 v11, v171, v110 :: v_dual_fma_f32 v37, v170, v110, -v37
	s_delay_alu instid0(VALU_DEP_3) | instskip(SKIP_4) | instid1(VALU_DEP_3)
	v_dual_add_f32 v9, 0, v9 :: v_dual_add_f32 v35, 0, v35
	v_dual_mul_f32 v15, v174, v115 :: v_dual_mul_f32 v17, v176, v117
	s_wait_loadcnt_dscnt 0x803
	v_dual_mul_f32 v51, v185, v125 :: v_dual_fma_f32 v39, v172, v112, -v39
	v_fmac_f32_e32 v13, v173, v112
	v_dual_add_f32 v9, v9, v11 :: v_dual_fmac_f32 v15, v175, v114
	v_add_f32_e32 v11, v35, v37
	v_dual_mul_f32 v43, v177, v117 :: v_dual_mul_f32 v45, v179, v119
	v_dual_mul_f32 v35, v187, v127 :: v_dual_fma_f32 v37, v174, v114, -v41
	s_delay_alu instid0(VALU_DEP_3) | instskip(SKIP_3) | instid1(VALU_DEP_3)
	v_dual_add_f32 v9, v9, v13 :: v_dual_add_f32 v11, v11, v39
	v_dual_mul_f32 v19, v178, v119 :: v_dual_mul_f32 v21, v180, v121
	s_wait_loadcnt_dscnt 0x701
	v_dual_mul_f32 v13, v193, v129 :: v_dual_fma_f32 v39, v176, v116, -v43
	v_dual_fmac_f32 v17, v177, v116 :: v_dual_add_f32 v11, v11, v37
	s_delay_alu instid0(VALU_DEP_3) | instskip(SKIP_1) | instid1(VALU_DEP_2)
	v_dual_add_f32 v9, v9, v15 :: v_dual_fmac_f32 v19, v179, v118
	v_dual_mul_f32 v15, v195, v131 :: v_dual_fma_f32 v37, v178, v118, -v45
	v_dual_add_f32 v11, v11, v39 :: v_dual_add_f32 v9, v9, v17
	v_dual_mul_f32 v23, v182, v123 :: v_dual_mul_f32 v25, v184, v125
	s_wait_loadcnt 0x6
	v_dual_mul_f32 v17, v189, v133 :: v_dual_fma_f32 v39, v180, v120, -v47
	s_delay_alu instid0(VALU_DEP_3) | instskip(NEXT) | instid1(VALU_DEP_3)
	v_dual_fmac_f32 v21, v181, v120 :: v_dual_add_f32 v11, v11, v37
	v_dual_add_f32 v9, v9, v19 :: v_dual_fmac_f32 v23, v183, v122
	v_dual_mul_f32 v19, v191, v135 :: v_dual_fma_f32 v37, v182, v122, -v49
	s_delay_alu instid0(VALU_DEP_2) | instskip(SKIP_3) | instid1(VALU_DEP_3)
	v_dual_add_f32 v11, v11, v39 :: v_dual_add_f32 v9, v9, v21
	v_dual_mul_f32 v27, v186, v127 :: v_dual_mul_f32 v29, v192, v129
	s_wait_loadcnt 0x5
	v_dual_mul_f32 v21, v153, v137 :: v_dual_fma_f32 v39, v184, v124, -v51
	v_dual_fmac_f32 v25, v185, v124 :: v_dual_add_f32 v11, v11, v37
	v_dual_add_f32 v9, v9, v23 :: v_dual_mov_b32 v108, v139
	v_fmac_f32_e32 v27, v187, v126
	s_delay_alu instid0(VALU_DEP_3) | instskip(NEXT) | instid1(VALU_DEP_3)
	v_dual_fma_f32 v23, v186, v126, -v35 :: v_dual_add_f32 v11, v11, v39
	v_dual_add_f32 v9, v9, v25 :: v_dual_mul_f32 v31, v194, v131
	v_dual_mul_f32 v33, v188, v133 :: v_dual_fmac_f32 v29, v193, v128
	s_delay_alu instid0(VALU_DEP_3) | instskip(SKIP_1) | instid1(VALU_DEP_3)
	v_dual_add_f32 v11, v11, v23 :: v_dual_fma_f32 v13, v192, v128, -v13
	s_wait_loadcnt 0x4
	v_dual_add_f32 v9, v9, v27 :: v_dual_mov_b32 v112, v143
	v_fma_f32 v15, v194, v130, -v15
	v_fmac_f32_e32 v31, v195, v130
	v_dual_add_f32 v11, v11, v13 :: v_dual_fmac_f32 v33, v189, v132
	s_delay_alu instid0(VALU_DEP_4) | instskip(SKIP_1) | instid1(VALU_DEP_3)
	v_dual_add_f32 v9, v9, v29 :: v_dual_mul_f32 v211, v190, v135
	v_mul_f32_e32 v213, v152, v137
	v_dual_fma_f32 v13, v188, v132, -v17 :: v_dual_add_f32 v11, v11, v15
	s_delay_alu instid0(VALU_DEP_3) | instskip(NEXT) | instid1(VALU_DEP_4)
	v_dual_fma_f32 v210, v190, v134, -v19 :: v_dual_add_f32 v9, v9, v31
	v_fmac_f32_e32 v211, v191, v134
	v_pk_mul_f32 v[108:109], v[202:203], v[108:109] op_sel_hi:[1,0]
	s_delay_alu instid0(VALU_DEP_4) | instskip(NEXT) | instid1(VALU_DEP_4)
	v_dual_add_f32 v116, v11, v13 :: v_dual_fmac_f32 v213, v153, v136
	v_add_f32_e32 v117, v9, v33
	v_pk_mul_f32 v[110:111], v[156:157], v[140:141] op_sel:[1,1] op_sel_hi:[0,1]
	s_wait_loadcnt 0x3
	v_dual_mov_b32 v118, v147 :: v_dual_fma_f32 v212, v152, v136, -v21
	v_pk_fma_f32 v[120:121], v[154:155], v[138:139], v[108:109] op_sel_hi:[1,0,1]
	v_pk_add_f32 v[116:117], v[116:117], v[210:211]
	v_pk_fma_f32 v[108:109], v[154:155], v[138:139], v[108:109] neg_lo:[0,0,1] neg_hi:[0,0,1]
	v_pk_fma_f32 v[122:123], v[156:157], v[140:141], v[110:111] op_sel_hi:[1,0,1]
	v_pk_mul_f32 v[112:113], v[204:205], v[112:113] op_sel_hi:[1,0]
	v_mov_b32_e32 v109, v121
	v_pk_add_f32 v[116:117], v[116:117], v[212:213]
	v_pk_fma_f32 v[110:111], v[156:157], v[140:141], v[110:111] neg_lo:[0,0,1] neg_hi:[0,0,1]
	v_pk_mul_f32 v[114:115], v[160:161], v[144:145] op_sel:[1,1] op_sel_hi:[0,1]
	v_mov_b32_e32 v111, v123
	v_pk_fma_f32 v[122:123], v[158:159], v[142:143], v[112:113] op_sel_hi:[1,0,1]
	v_pk_add_f32 v[108:109], v[116:117], v[108:109]
	v_pk_fma_f32 v[112:113], v[158:159], v[142:143], v[112:113] neg_lo:[0,0,1] neg_hi:[0,0,1]
	v_pk_fma_f32 v[116:117], v[160:161], v[144:145], v[114:115] op_sel_hi:[1,0,1]
	v_pk_mul_f32 v[118:119], v[206:207], v[118:119] op_sel_hi:[1,0]
	v_mov_b32_e32 v113, v123
	v_pk_add_f32 v[108:109], v[108:109], v[110:111]
	v_pk_fma_f32 v[114:115], v[160:161], v[144:145], v[114:115] neg_lo:[0,0,1] neg_hi:[0,0,1]
	s_wait_loadcnt 0x2
	v_pk_mul_f32 v[120:121], v[164:165], v[148:149] op_sel:[1,1] op_sel_hi:[0,1]
	v_dual_mov_b32 v110, v151 :: v_dual_mov_b32 v115, v117
	v_pk_fma_f32 v[116:117], v[162:163], v[146:147], v[118:119] op_sel_hi:[1,0,1]
	v_pk_add_f32 v[108:109], v[108:109], v[112:113]
	v_pk_fma_f32 v[118:119], v[162:163], v[146:147], v[118:119] neg_lo:[0,0,1] neg_hi:[0,0,1]
	v_pk_fma_f32 v[112:113], v[164:165], v[148:149], v[120:121] op_sel_hi:[1,0,1]
	v_pk_mul_f32 v[110:111], v[208:209], v[110:111] op_sel_hi:[1,0]
	v_mov_b32_e32 v119, v117
	v_pk_add_f32 v[108:109], v[108:109], v[114:115]
	v_pk_fma_f32 v[114:115], v[164:165], v[148:149], v[120:121] neg_lo:[0,0,1] neg_hi:[0,0,1]
	v_mov_b32_e32 v115, v113
	v_pk_fma_f32 v[112:113], v[166:167], v[150:151], v[110:111] op_sel_hi:[1,0,1]
	s_wait_loadcnt_dscnt 0x100
	v_pk_mul_f32 v[116:117], v[200:201], v[196:197] op_sel:[1,1] op_sel_hi:[0,1]
	v_pk_add_f32 v[108:109], v[108:109], v[118:119]
	v_pk_fma_f32 v[110:111], v[166:167], v[150:151], v[110:111] neg_lo:[0,0,1] neg_hi:[0,0,1]
	v_mov_b32_e32 v111, v113
	s_delay_alu instid0(VALU_DEP_4) | instskip(NEXT) | instid1(VALU_DEP_4)
	v_pk_fma_f32 v[112:113], v[200:201], v[196:197], v[116:117] op_sel_hi:[1,0,1]
	v_pk_add_f32 v[108:109], v[108:109], v[114:115]
	v_pk_fma_f32 v[114:115], v[200:201], v[196:197], v[116:117] neg_lo:[0,0,1] neg_hi:[0,0,1]
	s_delay_alu instid0(VALU_DEP_3) | instskip(NEXT) | instid1(VALU_DEP_3)
	v_mov_b32_e32 v115, v113
	v_pk_add_f32 v[108:109], v[108:109], v[110:111]
	s_delay_alu instid0(VALU_DEP_1) | instskip(SKIP_1) | instid1(VALU_DEP_1)
	v_pk_add_f32 v[108:109], v[108:109], v[114:115]
	s_wait_loadcnt 0x0
	v_pk_add_f32 v[108:109], v[198:199], v[108:109] neg_lo:[0,1] neg_hi:[0,1]
	scratch_store_b64 off, v[108:109], off offset:232
	s_wait_xcnt 0x0
	v_cmpx_lt_u32_e32 28, v0
	s_cbranch_execz .LBB52_275
; %bb.274:
	scratch_load_b64 v[108:109], off, off offset:224
	v_mov_b64_e32 v[110:111], 0
	scratch_store_b64 off, v[110:111], off offset:224
	s_wait_loadcnt 0x0
	ds_store_b64 v1, v[108:109]
.LBB52_275:
	s_wait_xcnt 0x0
	s_or_b32 exec_lo, exec_lo, s0
	s_wait_storecnt_dscnt 0x0
	s_barrier_signal -1
	s_barrier_wait -1
	s_clause 0xc
	scratch_load_b128 v[108:111], off, off offset:232
	scratch_load_b128 v[112:115], off, off offset:248
	;; [unrolled: 1-line block ×12, first 2 shown]
	scratch_load_b64 v[204:205], off, off offset:224
	ds_load_2addr_b64 v[156:159], v5 offset0:99 offset1:100
	ds_load_2addr_b64 v[160:163], v5 offset0:101 offset1:102
	;; [unrolled: 1-line block ×12, first 2 shown]
	s_mov_b32 s0, exec_lo
	s_wait_dscnt 0xb
	v_dual_mov_b32 v206, v159 :: v_dual_mov_b32 v207, v158
	s_wait_dscnt 0xa
	v_dual_mov_b32 v208, v163 :: v_dual_mov_b32 v209, v162
	;; [unrolled: 2-line block ×4, first 2 shown]
	s_wait_loadcnt_dscnt 0xc07
	v_dual_mul_f32 v5, v172, v109 :: v_dual_mul_f32 v9, v174, v111
	v_dual_mul_f32 v35, v173, v109 :: v_dual_mul_f32 v37, v175, v111
	s_wait_loadcnt_dscnt 0xb06
	v_dual_mul_f32 v11, v176, v113 :: v_dual_mul_f32 v13, v178, v115
	s_delay_alu instid0(VALU_DEP_2) | instskip(SKIP_3) | instid1(VALU_DEP_3)
	v_dual_fmac_f32 v5, v173, v108 :: v_dual_fma_f32 v35, v172, v108, -v35
	v_dual_mul_f32 v39, v177, v113 :: v_dual_mul_f32 v41, v179, v115
	s_wait_loadcnt_dscnt 0x904
	v_dual_mul_f32 v47, v185, v121 :: v_dual_fmac_f32 v9, v175, v110
	v_dual_fma_f32 v37, v174, v110, -v37 :: v_dual_add_f32 v5, 0, v5
	v_dual_add_f32 v35, 0, v35 :: v_dual_fmac_f32 v11, v177, v112
	v_dual_mul_f32 v49, v187, v123 :: v_dual_fma_f32 v39, v176, v112, -v39
	s_delay_alu instid0(VALU_DEP_3) | instskip(NEXT) | instid1(VALU_DEP_3)
	v_dual_add_f32 v5, v5, v9 :: v_dual_fmac_f32 v13, v179, v114
	v_dual_add_f32 v9, v35, v37 :: v_dual_fma_f32 v37, v178, v114, -v41
	v_dual_mul_f32 v15, v180, v117 :: v_dual_mul_f32 v17, v182, v119
	v_dual_mul_f32 v43, v181, v117 :: v_dual_mul_f32 v45, v183, v119
	s_delay_alu instid0(VALU_DEP_3) | instskip(NEXT) | instid1(VALU_DEP_3)
	v_add_f32_e32 v9, v9, v39
	v_dual_add_f32 v5, v5, v11 :: v_dual_fmac_f32 v17, v183, v118
	s_wait_loadcnt_dscnt 0x803
	s_delay_alu instid0(VALU_DEP_3) | instskip(NEXT) | instid1(VALU_DEP_3)
	v_dual_fma_f32 v39, v180, v116, -v43 :: v_dual_mul_f32 v35, v189, v125
	v_dual_mul_f32 v11, v191, v127 :: v_dual_add_f32 v9, v9, v37
	v_dual_fmac_f32 v15, v181, v116 :: v_dual_fma_f32 v37, v182, v118, -v45
	v_add_f32_e32 v5, v5, v13
	v_dual_mul_f32 v19, v184, v121 :: v_dual_mul_f32 v21, v186, v123
	s_delay_alu instid0(VALU_DEP_4) | instskip(NEXT) | instid1(VALU_DEP_3)
	v_dual_add_f32 v9, v9, v39 :: v_dual_fma_f32 v35, v188, v124, -v35
	v_dual_add_f32 v5, v5, v15 :: v_dual_fma_f32 v39, v184, v120, -v47
	v_dual_mul_f32 v23, v188, v125 :: v_dual_mul_f32 v25, v190, v127
	s_delay_alu instid0(VALU_DEP_3) | instskip(SKIP_2) | instid1(VALU_DEP_3)
	v_dual_add_f32 v9, v9, v37 :: v_dual_fma_f32 v11, v190, v126, -v11
	s_wait_loadcnt_dscnt 0x702
	v_dual_mul_f32 v27, v192, v129 :: v_dual_mul_f32 v29, v194, v131
	v_dual_fmac_f32 v19, v185, v120 :: v_dual_fmac_f32 v25, v191, v126
	v_dual_fma_f32 v37, v186, v122, -v49 :: v_dual_add_f32 v5, v5, v17
	s_delay_alu instid0(VALU_DEP_3)
	v_dual_add_f32 v9, v9, v39 :: v_dual_fmac_f32 v29, v195, v130
	v_dual_mul_f32 v13, v193, v129 :: v_dual_fmac_f32 v21, v187, v122
	s_wait_loadcnt_dscnt 0x601
	v_mul_f32_e32 v17, v197, v133
	v_add_f32_e32 v5, v5, v19
	v_dual_add_f32 v9, v9, v37 :: v_dual_mul_f32 v15, v195, v131
	s_wait_loadcnt 0x4
	v_dual_fmac_f32 v23, v189, v124 :: v_dual_mov_b32 v110, v143
	s_delay_alu instid0(VALU_DEP_3) | instskip(SKIP_4) | instid1(VALU_DEP_3)
	v_dual_fma_f32 v13, v192, v128, -v13 :: v_dual_add_f32 v5, v5, v21
	s_wait_loadcnt 0x3
	v_dual_add_f32 v9, v9, v35 :: v_dual_mov_b32 v114, v147
	v_dual_mul_f32 v19, v199, v135 :: v_dual_mul_f32 v31, v196, v133
	v_mul_f32_e32 v33, v198, v135
	v_dual_add_f32 v9, v9, v11 :: v_dual_fma_f32 v11, v194, v130, -v15
	v_add_f32_e32 v5, v5, v23
	s_wait_dscnt 0x0
	v_mul_f32_e32 v23, v203, v139
	v_pk_mul_f32 v[108:109], v[156:157], v[140:141] op_sel:[1,1] op_sel_hi:[0,1]
	v_dual_mul_f32 v215, v200, v137 :: v_dual_mul_f32 v217, v202, v139
	v_dual_mul_f32 v21, v201, v137 :: v_dual_fmac_f32 v33, v199, v134
	s_delay_alu instid0(VALU_DEP_4) | instskip(NEXT) | instid1(VALU_DEP_3)
	v_dual_fma_f32 v216, v202, v138, -v23 :: v_dual_add_f32 v9, v9, v13
	v_dual_fmac_f32 v27, v193, v128 :: v_dual_fmac_f32 v217, v203, v138
	v_pk_fma_f32 v[118:119], v[156:157], v[140:141], v[108:109] op_sel_hi:[1,0,1]
	v_pk_mul_f32 v[110:111], v[206:207], v[110:111] op_sel_hi:[1,0]
	s_delay_alu instid0(VALU_DEP_4) | instskip(SKIP_3) | instid1(VALU_DEP_3)
	v_dual_add_f32 v9, v9, v11 :: v_dual_fma_f32 v11, v198, v134, -v19
	v_dual_add_f32 v5, v5, v25 :: v_dual_fma_f32 v214, v200, v136, -v21
	v_pk_fma_f32 v[108:109], v[156:157], v[140:141], v[108:109] neg_lo:[0,0,1] neg_hi:[0,0,1]
	v_pk_mul_f32 v[112:113], v[160:161], v[144:145] op_sel:[1,1] op_sel_hi:[0,1]
	v_dual_mov_b32 v109, v119 :: v_dual_add_f32 v5, v5, v27
	v_pk_fma_f32 v[118:119], v[158:159], v[142:143], v[110:111] op_sel_hi:[1,0,1]
	v_pk_mul_f32 v[114:115], v[208:209], v[114:115] op_sel_hi:[1,0]
	v_pk_fma_f32 v[110:111], v[158:159], v[142:143], v[110:111] neg_lo:[0,0,1] neg_hi:[0,0,1]
	v_dual_fmac_f32 v31, v197, v132 :: v_dual_fma_f32 v13, v196, v132, -v17
	v_pk_fma_f32 v[122:123], v[160:161], v[144:145], v[112:113] op_sel_hi:[1,0,1]
	v_dual_add_f32 v5, v5, v29 :: v_dual_mov_b32 v111, v119
	v_pk_fma_f32 v[118:119], v[162:163], v[146:147], v[114:115] op_sel_hi:[1,0,1]
	v_pk_fma_f32 v[112:113], v[160:161], v[144:145], v[112:113] neg_lo:[0,0,1] neg_hi:[0,0,1]
	v_pk_fma_f32 v[114:115], v[162:163], v[146:147], v[114:115] neg_lo:[0,0,1] neg_hi:[0,0,1]
	s_delay_alu instid0(VALU_DEP_4) | instskip(NEXT) | instid1(VALU_DEP_4)
	v_dual_mov_b32 v113, v123 :: v_dual_add_f32 v5, v5, v31
	v_dual_mov_b32 v115, v119 :: v_dual_add_f32 v9, v9, v13
	v_fmac_f32_e32 v215, v201, v136
	s_wait_loadcnt 0x2
	v_pk_mul_f32 v[120:121], v[164:165], v[148:149] op_sel:[1,1] op_sel_hi:[0,1]
	v_add_f32_e32 v117, v5, v33
	v_add_f32_e32 v116, v9, v11
	s_delay_alu instid0(VALU_DEP_3) | instskip(NEXT) | instid1(VALU_DEP_2)
	v_pk_fma_f32 v[118:119], v[164:165], v[148:149], v[120:121] neg_lo:[0,0,1] neg_hi:[0,0,1]
	v_pk_add_f32 v[116:117], v[116:117], v[214:215]
	s_delay_alu instid0(VALU_DEP_1) | instskip(NEXT) | instid1(VALU_DEP_1)
	v_pk_add_f32 v[116:117], v[116:117], v[216:217]
	v_pk_add_f32 v[108:109], v[116:117], v[108:109]
	v_mov_b32_e32 v116, v151
	s_delay_alu instid0(VALU_DEP_2) | instskip(SKIP_1) | instid1(VALU_DEP_3)
	v_pk_add_f32 v[108:109], v[108:109], v[110:111]
	v_pk_fma_f32 v[110:111], v[164:165], v[148:149], v[120:121] op_sel_hi:[1,0,1]
	v_pk_mul_f32 v[116:117], v[210:211], v[116:117] op_sel_hi:[1,0]
	s_delay_alu instid0(VALU_DEP_3) | instskip(NEXT) | instid1(VALU_DEP_3)
	v_pk_add_f32 v[108:109], v[108:109], v[112:113]
	v_mov_b32_e32 v119, v111
	s_delay_alu instid0(VALU_DEP_3)
	v_pk_fma_f32 v[110:111], v[166:167], v[150:151], v[116:117] op_sel_hi:[1,0,1]
	s_wait_loadcnt 0x1
	v_pk_mul_f32 v[112:113], v[168:169], v[152:153] op_sel:[1,1] op_sel_hi:[0,1]
	v_mov_b32_e32 v110, v155
	v_pk_add_f32 v[108:109], v[108:109], v[114:115]
	v_pk_fma_f32 v[116:117], v[166:167], v[150:151], v[116:117] neg_lo:[0,0,1] neg_hi:[0,0,1]
	v_mov_b32_e32 v117, v111
	v_pk_fma_f32 v[114:115], v[168:169], v[152:153], v[112:113] op_sel_hi:[1,0,1]
	v_pk_mul_f32 v[110:111], v[212:213], v[110:111] op_sel_hi:[1,0]
	v_pk_add_f32 v[108:109], v[108:109], v[118:119]
	v_pk_fma_f32 v[112:113], v[168:169], v[152:153], v[112:113] neg_lo:[0,0,1] neg_hi:[0,0,1]
	s_delay_alu instid0(VALU_DEP_4) | instskip(NEXT) | instid1(VALU_DEP_4)
	v_mov_b32_e32 v113, v115
	v_pk_fma_f32 v[114:115], v[170:171], v[154:155], v[110:111] op_sel_hi:[1,0,1]
	s_delay_alu instid0(VALU_DEP_4) | instskip(SKIP_1) | instid1(VALU_DEP_3)
	v_pk_add_f32 v[108:109], v[108:109], v[116:117]
	v_pk_fma_f32 v[110:111], v[170:171], v[154:155], v[110:111] neg_lo:[0,0,1] neg_hi:[0,0,1]
	v_mov_b32_e32 v111, v115
	s_delay_alu instid0(VALU_DEP_3) | instskip(NEXT) | instid1(VALU_DEP_1)
	v_pk_add_f32 v[108:109], v[108:109], v[112:113]
	v_pk_add_f32 v[108:109], v[108:109], v[110:111]
	s_wait_loadcnt 0x0
	s_delay_alu instid0(VALU_DEP_1)
	v_pk_add_f32 v[108:109], v[204:205], v[108:109] neg_lo:[0,1] neg_hi:[0,1]
	scratch_store_b64 off, v[108:109], off offset:224
	s_wait_xcnt 0x0
	v_cmpx_lt_u32_e32 27, v0
	s_cbranch_execz .LBB52_277
; %bb.276:
	scratch_load_b64 v[108:109], off, off offset:216
	v_mov_b64_e32 v[110:111], 0
	scratch_store_b64 off, v[110:111], off offset:216
	s_wait_loadcnt 0x0
	ds_store_b64 v1, v[108:109]
.LBB52_277:
	s_wait_xcnt 0x0
	s_or_b32 exec_lo, exec_lo, s0
	s_wait_storecnt_dscnt 0x0
	s_barrier_signal -1
	s_barrier_wait -1
	s_clause 0xd
	scratch_load_b128 v[108:111], off, off offset:224
	scratch_load_b128 v[112:115], off, off offset:240
	;; [unrolled: 1-line block ×12, first 2 shown]
	scratch_load_b64 v[204:205], off, off offset:416
	scratch_load_b64 v[206:207], off, off offset:216
	v_mov_b32_e32 v5, 0
	ds_load_b128 v[156:159], v5 offset:784
	ds_load_b128 v[160:163], v5 offset:800
	;; [unrolled: 1-line block ×12, first 2 shown]
	ds_load_b64 v[208:209], v5 offset:848
	s_mov_b32 s0, exec_lo
	s_wait_dscnt 0xc
	v_dual_mov_b32 v210, v159 :: v_dual_mov_b32 v211, v158
	s_wait_dscnt 0x9
	v_dual_mov_b32 v212, v163 :: v_dual_mov_b32 v217, v170
	v_dual_mov_b32 v213, v162 :: v_dual_mov_b32 v214, v167
	;; [unrolled: 1-line block ×3, first 2 shown]
	s_wait_loadcnt_dscnt 0xd08
	v_dual_mul_f32 v9, v172, v109 :: v_dual_mul_f32 v39, v173, v109
	v_dual_mul_f32 v41, v175, v111 :: v_dual_mul_f32 v11, v174, v111
	s_wait_loadcnt_dscnt 0xc07
	v_mul_f32_e32 v13, v176, v113
	s_wait_loadcnt_dscnt 0xa05
	v_dual_mul_f32 v51, v185, v121 :: v_dual_fma_f32 v39, v172, v108, -v39
	v_dual_fmac_f32 v9, v173, v108 :: v_dual_mul_f32 v53, v187, v123
	v_dual_mul_f32 v43, v177, v113 :: v_dual_mul_f32 v45, v179, v115
	v_dual_fmac_f32 v11, v175, v110 :: v_dual_fma_f32 v41, v174, v110, -v41
	s_delay_alu instid0(VALU_DEP_3) | instskip(SKIP_4) | instid1(VALU_DEP_3)
	v_dual_add_f32 v9, 0, v9 :: v_dual_add_f32 v39, 0, v39
	v_dual_mul_f32 v15, v178, v115 :: v_dual_mul_f32 v17, v180, v117
	s_wait_loadcnt_dscnt 0x904
	v_dual_mul_f32 v55, v189, v125 :: v_dual_fma_f32 v43, v176, v112, -v43
	v_fmac_f32_e32 v13, v177, v112
	v_dual_add_f32 v9, v9, v11 :: v_dual_fmac_f32 v15, v179, v114
	v_add_f32_e32 v11, v39, v41
	v_dual_mul_f32 v47, v181, v117 :: v_dual_mul_f32 v49, v183, v119
	v_dual_mul_f32 v39, v191, v127 :: v_dual_fma_f32 v41, v178, v114, -v45
	s_delay_alu instid0(VALU_DEP_3) | instskip(SKIP_3) | instid1(VALU_DEP_3)
	v_dual_add_f32 v9, v9, v13 :: v_dual_add_f32 v11, v11, v43
	v_dual_mul_f32 v19, v182, v119 :: v_dual_mul_f32 v21, v184, v121
	s_wait_loadcnt_dscnt 0x803
	v_dual_mul_f32 v13, v193, v129 :: v_dual_fma_f32 v43, v180, v116, -v47
	v_dual_fmac_f32 v17, v181, v116 :: v_dual_add_f32 v11, v11, v41
	s_delay_alu instid0(VALU_DEP_3) | instskip(SKIP_1) | instid1(VALU_DEP_2)
	v_dual_add_f32 v9, v9, v15 :: v_dual_fmac_f32 v19, v183, v118
	v_dual_mul_f32 v15, v195, v131 :: v_dual_fma_f32 v41, v182, v118, -v49
	v_dual_add_f32 v11, v11, v43 :: v_dual_add_f32 v9, v9, v17
	v_dual_mul_f32 v23, v186, v123 :: v_dual_mul_f32 v25, v188, v125
	s_wait_loadcnt_dscnt 0x702
	v_dual_mul_f32 v17, v197, v133 :: v_dual_fma_f32 v43, v184, v120, -v51
	s_delay_alu instid0(VALU_DEP_3) | instskip(NEXT) | instid1(VALU_DEP_3)
	v_dual_fmac_f32 v21, v185, v120 :: v_dual_add_f32 v11, v11, v41
	v_dual_add_f32 v9, v9, v19 :: v_dual_fmac_f32 v23, v187, v122
	v_dual_mul_f32 v19, v199, v135 :: v_dual_fma_f32 v41, v186, v122, -v53
	s_delay_alu instid0(VALU_DEP_2) | instskip(SKIP_3) | instid1(VALU_DEP_3)
	v_dual_add_f32 v11, v11, v43 :: v_dual_add_f32 v9, v9, v21
	v_dual_mul_f32 v27, v190, v127 :: v_dual_mul_f32 v29, v192, v129
	s_wait_loadcnt_dscnt 0x601
	v_dual_mul_f32 v21, v201, v137 :: v_dual_fma_f32 v43, v188, v124, -v55
	v_dual_fmac_f32 v25, v189, v124 :: v_dual_add_f32 v11, v11, v41
	s_delay_alu instid0(VALU_DEP_3) | instskip(SKIP_1) | instid1(VALU_DEP_2)
	v_dual_add_f32 v9, v9, v23 :: v_dual_fmac_f32 v27, v191, v126
	v_dual_mul_f32 v23, v203, v139 :: v_dual_fma_f32 v39, v190, v126, -v39
	v_dual_add_f32 v11, v11, v43 :: v_dual_add_f32 v9, v9, v25
	v_dual_mul_f32 v31, v194, v131 :: v_dual_mul_f32 v33, v196, v133
	s_wait_loadcnt 0x5
	v_dual_mul_f32 v25, v157, v141 :: v_dual_fma_f32 v13, v192, v128, -v13
	s_delay_alu instid0(VALU_DEP_3) | instskip(SKIP_2) | instid1(VALU_DEP_3)
	v_dual_fmac_f32 v29, v193, v128 :: v_dual_add_f32 v11, v11, v39
	v_dual_add_f32 v9, v9, v27 :: v_dual_mov_b32 v108, v143
	v_fmac_f32_e32 v31, v195, v130
	v_dual_fma_f32 v15, v194, v130, -v15 :: v_dual_add_f32 v11, v11, v13
	s_delay_alu instid0(VALU_DEP_3) | instskip(SKIP_1) | instid1(VALU_DEP_3)
	v_dual_add_f32 v9, v9, v29 :: v_dual_mul_f32 v35, v198, v135
	v_dual_mul_f32 v37, v200, v137 :: v_dual_fmac_f32 v33, v197, v132
	v_dual_add_f32 v11, v11, v15 :: v_dual_fma_f32 v13, v196, v132, -v17
	s_wait_loadcnt 0x4
	s_delay_alu instid0(VALU_DEP_3) | instskip(SKIP_3) | instid1(VALU_DEP_4)
	v_dual_add_f32 v9, v9, v31 :: v_dual_mov_b32 v112, v147
	v_fma_f32 v15, v198, v134, -v19
	v_fmac_f32_e32 v35, v199, v134
	v_dual_add_f32 v11, v11, v13 :: v_dual_fmac_f32 v37, v201, v136
	v_dual_add_f32 v9, v9, v33 :: v_dual_mul_f32 v219, v202, v139
	v_mul_f32_e32 v221, v156, v141
	s_delay_alu instid0(VALU_DEP_3) | instskip(NEXT) | instid1(VALU_DEP_3)
	v_dual_fma_f32 v13, v200, v136, -v21 :: v_dual_add_f32 v11, v11, v15
	v_dual_fma_f32 v218, v202, v138, -v23 :: v_dual_add_f32 v9, v9, v35
	s_delay_alu instid0(VALU_DEP_4) | instskip(SKIP_1) | instid1(VALU_DEP_4)
	v_fmac_f32_e32 v219, v203, v138
	v_pk_mul_f32 v[108:109], v[210:211], v[108:109] op_sel_hi:[1,0]
	v_dual_add_f32 v116, v11, v13 :: v_dual_fmac_f32 v221, v157, v140
	s_delay_alu instid0(VALU_DEP_4)
	v_add_f32_e32 v117, v9, v37
	v_pk_mul_f32 v[110:111], v[160:161], v[144:145] op_sel:[1,1] op_sel_hi:[0,1]
	s_wait_loadcnt 0x3
	v_dual_mov_b32 v118, v151 :: v_dual_fma_f32 v220, v156, v140, -v25
	v_pk_fma_f32 v[120:121], v[158:159], v[142:143], v[108:109] op_sel_hi:[1,0,1]
	v_pk_add_f32 v[116:117], v[116:117], v[218:219]
	v_pk_fma_f32 v[108:109], v[158:159], v[142:143], v[108:109] neg_lo:[0,0,1] neg_hi:[0,0,1]
	v_pk_fma_f32 v[122:123], v[160:161], v[144:145], v[110:111] op_sel_hi:[1,0,1]
	v_pk_mul_f32 v[112:113], v[212:213], v[112:113] op_sel_hi:[1,0]
	v_mov_b32_e32 v109, v121
	v_pk_add_f32 v[116:117], v[116:117], v[220:221]
	v_pk_fma_f32 v[110:111], v[160:161], v[144:145], v[110:111] neg_lo:[0,0,1] neg_hi:[0,0,1]
	v_pk_mul_f32 v[114:115], v[164:165], v[148:149] op_sel:[1,1] op_sel_hi:[0,1]
	v_mov_b32_e32 v111, v123
	v_pk_fma_f32 v[122:123], v[162:163], v[146:147], v[112:113] op_sel_hi:[1,0,1]
	v_pk_add_f32 v[108:109], v[116:117], v[108:109]
	v_pk_fma_f32 v[112:113], v[162:163], v[146:147], v[112:113] neg_lo:[0,0,1] neg_hi:[0,0,1]
	v_pk_fma_f32 v[116:117], v[164:165], v[148:149], v[114:115] op_sel_hi:[1,0,1]
	v_pk_mul_f32 v[118:119], v[214:215], v[118:119] op_sel_hi:[1,0]
	v_mov_b32_e32 v113, v123
	v_pk_add_f32 v[108:109], v[108:109], v[110:111]
	v_pk_fma_f32 v[114:115], v[164:165], v[148:149], v[114:115] neg_lo:[0,0,1] neg_hi:[0,0,1]
	s_wait_loadcnt 0x2
	v_pk_mul_f32 v[120:121], v[168:169], v[152:153] op_sel:[1,1] op_sel_hi:[0,1]
	v_dual_mov_b32 v110, v155 :: v_dual_mov_b32 v115, v117
	v_pk_fma_f32 v[116:117], v[166:167], v[150:151], v[118:119] op_sel_hi:[1,0,1]
	v_pk_add_f32 v[108:109], v[108:109], v[112:113]
	v_pk_fma_f32 v[118:119], v[166:167], v[150:151], v[118:119] neg_lo:[0,0,1] neg_hi:[0,0,1]
	v_pk_fma_f32 v[112:113], v[168:169], v[152:153], v[120:121] op_sel_hi:[1,0,1]
	v_pk_mul_f32 v[110:111], v[216:217], v[110:111] op_sel_hi:[1,0]
	v_mov_b32_e32 v119, v117
	v_pk_add_f32 v[108:109], v[108:109], v[114:115]
	v_pk_fma_f32 v[114:115], v[168:169], v[152:153], v[120:121] neg_lo:[0,0,1] neg_hi:[0,0,1]
	v_mov_b32_e32 v115, v113
	v_pk_fma_f32 v[112:113], v[170:171], v[154:155], v[110:111] op_sel_hi:[1,0,1]
	s_wait_loadcnt_dscnt 0x100
	v_pk_mul_f32 v[116:117], v[208:209], v[204:205] op_sel:[1,1] op_sel_hi:[0,1]
	v_pk_add_f32 v[108:109], v[108:109], v[118:119]
	v_pk_fma_f32 v[110:111], v[170:171], v[154:155], v[110:111] neg_lo:[0,0,1] neg_hi:[0,0,1]
	v_mov_b32_e32 v111, v113
	s_delay_alu instid0(VALU_DEP_4) | instskip(NEXT) | instid1(VALU_DEP_4)
	v_pk_fma_f32 v[112:113], v[208:209], v[204:205], v[116:117] op_sel_hi:[1,0,1]
	v_pk_add_f32 v[108:109], v[108:109], v[114:115]
	v_pk_fma_f32 v[114:115], v[208:209], v[204:205], v[116:117] neg_lo:[0,0,1] neg_hi:[0,0,1]
	s_delay_alu instid0(VALU_DEP_3) | instskip(NEXT) | instid1(VALU_DEP_3)
	v_mov_b32_e32 v115, v113
	v_pk_add_f32 v[108:109], v[108:109], v[110:111]
	s_delay_alu instid0(VALU_DEP_1) | instskip(SKIP_1) | instid1(VALU_DEP_1)
	v_pk_add_f32 v[108:109], v[108:109], v[114:115]
	s_wait_loadcnt 0x0
	v_pk_add_f32 v[108:109], v[206:207], v[108:109] neg_lo:[0,1] neg_hi:[0,1]
	scratch_store_b64 off, v[108:109], off offset:216
	s_wait_xcnt 0x0
	v_cmpx_lt_u32_e32 26, v0
	s_cbranch_execz .LBB52_279
; %bb.278:
	scratch_load_b64 v[108:109], off, off offset:208
	v_mov_b64_e32 v[110:111], 0
	scratch_store_b64 off, v[110:111], off offset:208
	s_wait_loadcnt 0x0
	ds_store_b64 v1, v[108:109]
.LBB52_279:
	s_wait_xcnt 0x0
	s_or_b32 exec_lo, exec_lo, s0
	s_wait_storecnt_dscnt 0x0
	s_barrier_signal -1
	s_barrier_wait -1
	s_clause 0xd
	scratch_load_b128 v[108:111], off, off offset:216
	scratch_load_b128 v[112:115], off, off offset:232
	;; [unrolled: 1-line block ×13, first 2 shown]
	scratch_load_b64 v[212:213], off, off offset:208
	ds_load_2addr_b64 v[160:163], v5 offset0:99 offset1:100
	ds_load_2addr_b64 v[164:167], v5 offset0:101 offset1:102
	;; [unrolled: 1-line block ×13, first 2 shown]
	s_mov_b32 s0, exec_lo
	s_wait_dscnt 0xc
	v_dual_mov_b32 v214, v163 :: v_dual_mov_b32 v215, v162
	s_wait_dscnt 0xb
	v_dual_mov_b32 v216, v167 :: v_dual_mov_b32 v217, v166
	;; [unrolled: 2-line block ×4, first 2 shown]
	s_wait_loadcnt_dscnt 0xd08
	v_dual_mul_f32 v5, v176, v109 :: v_dual_mul_f32 v9, v178, v111
	v_dual_mul_f32 v39, v177, v109 :: v_dual_mul_f32 v41, v179, v111
	s_wait_loadcnt_dscnt 0xc07
	v_dual_mul_f32 v11, v180, v113 :: v_dual_mul_f32 v13, v182, v115
	s_delay_alu instid0(VALU_DEP_2) | instskip(SKIP_3) | instid1(VALU_DEP_3)
	v_dual_fmac_f32 v5, v177, v108 :: v_dual_fma_f32 v39, v176, v108, -v39
	v_dual_mul_f32 v43, v181, v113 :: v_dual_mul_f32 v45, v183, v115
	s_wait_loadcnt_dscnt 0xa05
	v_dual_mul_f32 v51, v189, v121 :: v_dual_fmac_f32 v9, v179, v110
	v_dual_fma_f32 v41, v178, v110, -v41 :: v_dual_add_f32 v5, 0, v5
	v_dual_add_f32 v39, 0, v39 :: v_dual_fmac_f32 v11, v181, v112
	v_dual_mul_f32 v53, v191, v123 :: v_dual_fma_f32 v43, v180, v112, -v43
	s_delay_alu instid0(VALU_DEP_3) | instskip(NEXT) | instid1(VALU_DEP_3)
	v_dual_add_f32 v5, v5, v9 :: v_dual_fmac_f32 v13, v183, v114
	v_dual_add_f32 v9, v39, v41 :: v_dual_fma_f32 v41, v182, v114, -v45
	v_dual_mul_f32 v15, v184, v117 :: v_dual_mul_f32 v17, v186, v119
	v_dual_mul_f32 v47, v185, v117 :: v_dual_mul_f32 v49, v187, v119
	s_delay_alu instid0(VALU_DEP_3) | instskip(NEXT) | instid1(VALU_DEP_3)
	v_add_f32_e32 v9, v9, v43
	v_dual_add_f32 v5, v5, v11 :: v_dual_fmac_f32 v17, v187, v118
	s_wait_loadcnt_dscnt 0x903
	s_delay_alu instid0(VALU_DEP_3) | instskip(NEXT) | instid1(VALU_DEP_3)
	v_dual_fma_f32 v43, v184, v116, -v47 :: v_dual_mul_f32 v39, v197, v125
	v_dual_mul_f32 v11, v199, v127 :: v_dual_add_f32 v9, v9, v41
	v_dual_fmac_f32 v15, v185, v116 :: v_dual_fma_f32 v41, v186, v118, -v49
	s_delay_alu instid0(VALU_DEP_3) | instskip(NEXT) | instid1(VALU_DEP_3)
	v_dual_add_f32 v5, v5, v13 :: v_dual_fma_f32 v39, v196, v124, -v39
	v_dual_add_f32 v9, v9, v43 :: v_dual_fma_f32 v43, v188, v120, -v51
	v_dual_mul_f32 v19, v188, v121 :: v_dual_mul_f32 v21, v190, v123
	s_wait_loadcnt_dscnt 0x802
	v_dual_mul_f32 v27, v200, v129 :: v_dual_mul_f32 v29, v202, v131
	s_delay_alu instid0(VALU_DEP_3) | instskip(SKIP_2) | instid1(VALU_DEP_3)
	v_dual_add_f32 v9, v9, v41 :: v_dual_fma_f32 v11, v198, v126, -v11
	v_dual_add_f32 v5, v5, v15 :: v_dual_fma_f32 v41, v190, v122, -v53
	v_dual_mul_f32 v23, v196, v125 :: v_dual_mul_f32 v25, v198, v127
	v_dual_add_f32 v9, v9, v43 :: v_dual_fmac_f32 v29, v203, v130
	v_fmac_f32_e32 v19, v189, v120
	s_delay_alu instid0(VALU_DEP_4)
	v_add_f32_e32 v5, v5, v17
	s_wait_loadcnt_dscnt 0x701
	v_mul_f32_e32 v17, v205, v133
	v_add_f32_e32 v9, v9, v41
	v_dual_mul_f32 v13, v201, v129 :: v_dual_fmac_f32 v21, v191, v122
	v_dual_fmac_f32 v25, v199, v126 :: v_dual_add_f32 v5, v5, v19
	s_wait_loadcnt 0x4
	s_delay_alu instid0(VALU_DEP_3) | instskip(SKIP_1) | instid1(VALU_DEP_3)
	v_dual_add_f32 v9, v9, v39 :: v_dual_mov_b32 v110, v147
	v_dual_mul_f32 v15, v203, v131 :: v_dual_fmac_f32 v23, v197, v124
	v_dual_fma_f32 v13, v200, v128, -v13 :: v_dual_add_f32 v5, v5, v21
	s_delay_alu instid0(VALU_DEP_3) | instskip(SKIP_3) | instid1(VALU_DEP_4)
	v_dual_add_f32 v9, v9, v11 :: v_dual_mul_f32 v31, v204, v133
	v_dual_mul_f32 v33, v206, v135 :: v_dual_mul_f32 v223, v192, v141
	v_mul_f32_e32 v225, v194, v143
	v_dual_mul_f32 v19, v207, v135 :: v_dual_fma_f32 v15, v202, v130, -v15
	v_dual_add_f32 v9, v9, v13 :: v_dual_mul_f32 v13, v195, v143
	s_wait_dscnt 0x0
	v_dual_add_f32 v5, v5, v23 :: v_dual_mul_f32 v35, v208, v137
	v_dual_mul_f32 v37, v210, v139 :: v_dual_mul_f32 v21, v209, v137
	v_fmac_f32_e32 v33, v207, v134
	v_dual_mul_f32 v23, v211, v139 :: v_dual_fmac_f32 v27, v201, v128
	s_delay_alu instid0(VALU_DEP_3)
	v_fmac_f32_e32 v37, v211, v138
	v_fma_f32 v17, v204, v132, -v17
	s_wait_loadcnt 0x3
	v_pk_mul_f32 v[112:113], v[164:165], v[148:149] op_sel:[1,1] op_sel_hi:[0,1]
	v_dual_fmac_f32 v225, v195, v142 :: v_dual_add_f32 v9, v9, v15
	v_dual_fma_f32 v15, v206, v134, -v19 :: v_dual_add_f32 v5, v5, v25
	v_dual_mul_f32 v11, v193, v141 :: v_dual_mov_b32 v114, v151
	v_pk_mul_f32 v[108:109], v[160:161], v[144:145] op_sel:[1,1] op_sel_hi:[0,1]
	v_pk_fma_f32 v[122:123], v[164:165], v[148:149], v[112:113] op_sel_hi:[1,0,1]
	v_dual_add_f32 v9, v9, v17 :: v_dual_fma_f32 v17, v208, v136, -v21
	s_delay_alu instid0(VALU_DEP_4) | instskip(SKIP_2) | instid1(VALU_DEP_3)
	v_dual_add_f32 v5, v5, v27 :: v_dual_fma_f32 v222, v192, v140, -v11
	v_dual_fmac_f32 v31, v205, v132 :: v_dual_fma_f32 v224, v194, v142, -v13
	v_pk_fma_f32 v[118:119], v[160:161], v[144:145], v[108:109] op_sel_hi:[1,0,1]
	v_add_f32_e32 v5, v5, v29
	v_pk_mul_f32 v[110:111], v[214:215], v[110:111] op_sel_hi:[1,0]
	v_pk_fma_f32 v[108:109], v[160:161], v[144:145], v[108:109] neg_lo:[0,0,1] neg_hi:[0,0,1]
	v_pk_mul_f32 v[114:115], v[216:217], v[114:115] op_sel_hi:[1,0]
	s_delay_alu instid0(VALU_DEP_4) | instskip(NEXT) | instid1(VALU_DEP_4)
	v_dual_mov_b32 v109, v119 :: v_dual_add_f32 v5, v5, v31
	v_pk_fma_f32 v[118:119], v[162:163], v[146:147], v[110:111] op_sel_hi:[1,0,1]
	v_pk_fma_f32 v[110:111], v[162:163], v[146:147], v[110:111] neg_lo:[0,0,1] neg_hi:[0,0,1]
	v_pk_fma_f32 v[112:113], v[164:165], v[148:149], v[112:113] neg_lo:[0,0,1] neg_hi:[0,0,1]
	s_delay_alu instid0(VALU_DEP_4) | instskip(NEXT) | instid1(VALU_DEP_4)
	v_dual_mov_b32 v113, v123 :: v_dual_add_f32 v5, v5, v33
	v_dual_add_f32 v9, v9, v15 :: v_dual_mov_b32 v111, v119
	v_pk_fma_f32 v[118:119], v[166:167], v[150:151], v[114:115] op_sel_hi:[1,0,1]
	v_fmac_f32_e32 v35, v209, v136
	v_pk_fma_f32 v[114:115], v[166:167], v[150:151], v[114:115] neg_lo:[0,0,1] neg_hi:[0,0,1]
	s_delay_alu instid0(VALU_DEP_4) | instskip(NEXT) | instid1(VALU_DEP_3)
	v_dual_fma_f32 v15, v210, v138, -v23 :: v_dual_add_f32 v9, v9, v17
	v_dual_mov_b32 v115, v119 :: v_dual_add_f32 v5, v5, v35
	v_fmac_f32_e32 v223, v193, v140
	s_wait_loadcnt 0x2
	v_pk_mul_f32 v[120:121], v[168:169], v[152:153] op_sel:[1,1] op_sel_hi:[0,1]
	v_add_f32_e32 v116, v9, v15
	v_add_f32_e32 v117, v5, v37
	s_delay_alu instid0(VALU_DEP_3) | instskip(NEXT) | instid1(VALU_DEP_2)
	v_pk_fma_f32 v[118:119], v[168:169], v[152:153], v[120:121] neg_lo:[0,0,1] neg_hi:[0,0,1]
	v_pk_add_f32 v[116:117], v[116:117], v[222:223]
	s_delay_alu instid0(VALU_DEP_1) | instskip(NEXT) | instid1(VALU_DEP_1)
	v_pk_add_f32 v[116:117], v[116:117], v[224:225]
	v_pk_add_f32 v[108:109], v[116:117], v[108:109]
	v_mov_b32_e32 v116, v155
	s_delay_alu instid0(VALU_DEP_2) | instskip(SKIP_1) | instid1(VALU_DEP_3)
	v_pk_add_f32 v[108:109], v[108:109], v[110:111]
	v_pk_fma_f32 v[110:111], v[168:169], v[152:153], v[120:121] op_sel_hi:[1,0,1]
	v_pk_mul_f32 v[116:117], v[218:219], v[116:117] op_sel_hi:[1,0]
	s_delay_alu instid0(VALU_DEP_3) | instskip(NEXT) | instid1(VALU_DEP_3)
	v_pk_add_f32 v[108:109], v[108:109], v[112:113]
	v_mov_b32_e32 v119, v111
	s_delay_alu instid0(VALU_DEP_3)
	v_pk_fma_f32 v[110:111], v[170:171], v[154:155], v[116:117] op_sel_hi:[1,0,1]
	s_wait_loadcnt 0x1
	v_pk_mul_f32 v[112:113], v[172:173], v[156:157] op_sel:[1,1] op_sel_hi:[0,1]
	v_mov_b32_e32 v110, v159
	v_pk_add_f32 v[108:109], v[108:109], v[114:115]
	v_pk_fma_f32 v[116:117], v[170:171], v[154:155], v[116:117] neg_lo:[0,0,1] neg_hi:[0,0,1]
	v_mov_b32_e32 v117, v111
	v_pk_fma_f32 v[114:115], v[172:173], v[156:157], v[112:113] op_sel_hi:[1,0,1]
	v_pk_mul_f32 v[110:111], v[220:221], v[110:111] op_sel_hi:[1,0]
	v_pk_add_f32 v[108:109], v[108:109], v[118:119]
	v_pk_fma_f32 v[112:113], v[172:173], v[156:157], v[112:113] neg_lo:[0,0,1] neg_hi:[0,0,1]
	s_delay_alu instid0(VALU_DEP_4) | instskip(NEXT) | instid1(VALU_DEP_4)
	v_mov_b32_e32 v113, v115
	v_pk_fma_f32 v[114:115], v[174:175], v[158:159], v[110:111] op_sel_hi:[1,0,1]
	s_delay_alu instid0(VALU_DEP_4) | instskip(SKIP_1) | instid1(VALU_DEP_3)
	v_pk_add_f32 v[108:109], v[108:109], v[116:117]
	v_pk_fma_f32 v[110:111], v[174:175], v[158:159], v[110:111] neg_lo:[0,0,1] neg_hi:[0,0,1]
	v_mov_b32_e32 v111, v115
	s_delay_alu instid0(VALU_DEP_3) | instskip(NEXT) | instid1(VALU_DEP_1)
	v_pk_add_f32 v[108:109], v[108:109], v[112:113]
	v_pk_add_f32 v[108:109], v[108:109], v[110:111]
	s_wait_loadcnt 0x0
	s_delay_alu instid0(VALU_DEP_1)
	v_pk_add_f32 v[108:109], v[212:213], v[108:109] neg_lo:[0,1] neg_hi:[0,1]
	scratch_store_b64 off, v[108:109], off offset:208
	s_wait_xcnt 0x0
	v_cmpx_lt_u32_e32 25, v0
	s_cbranch_execz .LBB52_281
; %bb.280:
	scratch_load_b64 v[108:109], off, off offset:200
	v_mov_b64_e32 v[110:111], 0
	scratch_store_b64 off, v[110:111], off offset:200
	s_wait_loadcnt 0x0
	ds_store_b64 v1, v[108:109]
.LBB52_281:
	s_wait_xcnt 0x0
	s_or_b32 exec_lo, exec_lo, s0
	s_wait_storecnt_dscnt 0x0
	s_barrier_signal -1
	s_barrier_wait -1
	s_clause 0xe
	scratch_load_b128 v[108:111], off, off offset:208
	scratch_load_b128 v[112:115], off, off offset:224
	;; [unrolled: 1-line block ×13, first 2 shown]
	scratch_load_b64 v[212:213], off, off offset:416
	scratch_load_b64 v[214:215], off, off offset:200
	v_mov_b32_e32 v5, 0
	ds_load_b128 v[160:163], v5 offset:784
	ds_load_b128 v[164:167], v5 offset:800
	;; [unrolled: 1-line block ×13, first 2 shown]
	ds_load_b64 v[216:217], v5 offset:848
	s_mov_b32 s0, exec_lo
	s_wait_dscnt 0xd
	v_dual_mov_b32 v218, v163 :: v_dual_mov_b32 v219, v162
	s_wait_dscnt 0xa
	v_dual_mov_b32 v220, v167 :: v_dual_mov_b32 v225, v174
	v_dual_mov_b32 v221, v166 :: v_dual_mov_b32 v222, v171
	;; [unrolled: 1-line block ×3, first 2 shown]
	s_wait_loadcnt_dscnt 0xe09
	v_dual_mul_f32 v9, v176, v109 :: v_dual_mul_f32 v43, v177, v109
	v_dual_mul_f32 v45, v179, v111 :: v_dual_mul_f32 v11, v178, v111
	s_wait_loadcnt_dscnt 0xd08
	v_mul_f32_e32 v13, v180, v113
	s_wait_loadcnt_dscnt 0xb05
	v_dual_mul_f32 v55, v193, v121 :: v_dual_fma_f32 v43, v176, v108, -v43
	v_dual_fmac_f32 v9, v177, v108 :: v_dual_mul_f32 v57, v195, v123
	v_dual_mul_f32 v47, v181, v113 :: v_dual_mul_f32 v49, v183, v115
	v_dual_fmac_f32 v11, v179, v110 :: v_dual_fma_f32 v45, v178, v110, -v45
	s_delay_alu instid0(VALU_DEP_3) | instskip(SKIP_4) | instid1(VALU_DEP_3)
	v_dual_add_f32 v9, 0, v9 :: v_dual_add_f32 v43, 0, v43
	v_dual_mul_f32 v15, v182, v115 :: v_dual_mul_f32 v17, v184, v117
	s_wait_loadcnt_dscnt 0xa04
	v_dual_mul_f32 v59, v197, v125 :: v_dual_fma_f32 v47, v180, v112, -v47
	v_fmac_f32_e32 v13, v181, v112
	v_dual_add_f32 v9, v9, v11 :: v_dual_fmac_f32 v15, v183, v114
	v_add_f32_e32 v11, v43, v45
	v_dual_mul_f32 v51, v185, v117 :: v_dual_mul_f32 v53, v187, v119
	v_dual_mul_f32 v43, v199, v127 :: v_dual_fma_f32 v45, v182, v114, -v49
	s_delay_alu instid0(VALU_DEP_3) | instskip(SKIP_3) | instid1(VALU_DEP_3)
	v_dual_add_f32 v9, v9, v13 :: v_dual_add_f32 v11, v11, v47
	v_dual_mul_f32 v19, v186, v119 :: v_dual_mul_f32 v21, v192, v121
	s_wait_loadcnt_dscnt 0x903
	v_dual_mul_f32 v13, v201, v129 :: v_dual_fma_f32 v47, v184, v116, -v51
	v_dual_fmac_f32 v17, v185, v116 :: v_dual_add_f32 v11, v11, v45
	s_delay_alu instid0(VALU_DEP_3) | instskip(SKIP_1) | instid1(VALU_DEP_2)
	v_dual_add_f32 v9, v9, v15 :: v_dual_fmac_f32 v19, v187, v118
	v_dual_mul_f32 v15, v203, v131 :: v_dual_fma_f32 v45, v186, v118, -v53
	v_dual_add_f32 v11, v11, v47 :: v_dual_add_f32 v9, v9, v17
	v_dual_mul_f32 v23, v194, v123 :: v_dual_mul_f32 v25, v196, v125
	s_wait_loadcnt_dscnt 0x802
	v_dual_mul_f32 v17, v205, v133 :: v_dual_fma_f32 v47, v192, v120, -v55
	s_delay_alu instid0(VALU_DEP_3) | instskip(NEXT) | instid1(VALU_DEP_3)
	v_dual_fmac_f32 v21, v193, v120 :: v_dual_add_f32 v11, v11, v45
	v_dual_add_f32 v9, v9, v19 :: v_dual_fmac_f32 v23, v195, v122
	v_dual_mul_f32 v19, v207, v135 :: v_dual_fma_f32 v45, v194, v122, -v57
	s_delay_alu instid0(VALU_DEP_2) | instskip(SKIP_3) | instid1(VALU_DEP_3)
	v_dual_add_f32 v11, v11, v47 :: v_dual_add_f32 v9, v9, v21
	v_dual_mul_f32 v27, v198, v127 :: v_dual_mul_f32 v29, v200, v129
	s_wait_loadcnt_dscnt 0x701
	v_dual_mul_f32 v21, v209, v137 :: v_dual_fma_f32 v47, v196, v124, -v59
	v_dual_fmac_f32 v25, v197, v124 :: v_dual_add_f32 v11, v11, v45
	s_delay_alu instid0(VALU_DEP_3) | instskip(SKIP_1) | instid1(VALU_DEP_2)
	v_dual_add_f32 v9, v9, v23 :: v_dual_fmac_f32 v27, v199, v126
	v_dual_mul_f32 v23, v211, v139 :: v_dual_fma_f32 v43, v198, v126, -v43
	v_dual_add_f32 v11, v11, v47 :: v_dual_add_f32 v9, v9, v25
	v_dual_mul_f32 v31, v202, v131 :: v_dual_mul_f32 v33, v204, v133
	s_wait_loadcnt 0x6
	v_dual_mul_f32 v25, v189, v141 :: v_dual_fma_f32 v13, v200, v128, -v13
	s_delay_alu instid0(VALU_DEP_3) | instskip(NEXT) | instid1(VALU_DEP_3)
	v_dual_fmac_f32 v29, v201, v128 :: v_dual_add_f32 v11, v11, v43
	v_dual_add_f32 v9, v9, v27 :: v_dual_fmac_f32 v31, v203, v130
	v_dual_mul_f32 v27, v191, v143 :: v_dual_fma_f32 v15, v202, v130, -v15
	s_delay_alu instid0(VALU_DEP_3) | instskip(NEXT) | instid1(VALU_DEP_3)
	v_dual_add_f32 v11, v11, v13 :: v_dual_fmac_f32 v33, v205, v132
	v_dual_add_f32 v9, v9, v29 :: v_dual_fma_f32 v17, v204, v132, -v17
	v_dual_mul_f32 v35, v206, v135 :: v_dual_mul_f32 v37, v208, v137
	s_wait_loadcnt 0x5
	s_delay_alu instid0(VALU_DEP_3) | instskip(NEXT) | instid1(VALU_DEP_3)
	v_dual_mul_f32 v13, v161, v145 :: v_dual_add_f32 v11, v11, v15
	v_dual_add_f32 v9, v9, v31 :: v_dual_mov_b32 v108, v147
	s_delay_alu instid0(VALU_DEP_3) | instskip(NEXT) | instid1(VALU_DEP_3)
	v_fmac_f32_e32 v35, v207, v134
	v_dual_fma_f32 v15, v206, v134, -v19 :: v_dual_add_f32 v11, v11, v17
	s_delay_alu instid0(VALU_DEP_3) | instskip(SKIP_1) | instid1(VALU_DEP_3)
	v_dual_add_f32 v9, v9, v33 :: v_dual_mul_f32 v39, v210, v139
	v_dual_mul_f32 v41, v188, v141 :: v_dual_fmac_f32 v37, v209, v136
	v_dual_add_f32 v11, v11, v15 :: v_dual_fma_f32 v17, v208, v136, -v21
	s_wait_loadcnt 0x4
	s_delay_alu instid0(VALU_DEP_3) | instskip(SKIP_3) | instid1(VALU_DEP_4)
	v_dual_add_f32 v9, v9, v35 :: v_dual_mov_b32 v112, v151
	v_fma_f32 v15, v210, v138, -v23
	v_fmac_f32_e32 v39, v211, v138
	v_dual_add_f32 v11, v11, v17 :: v_dual_fmac_f32 v41, v189, v140
	v_dual_add_f32 v9, v9, v37 :: v_dual_mul_f32 v227, v190, v143
	v_mul_f32_e32 v229, v160, v145
	s_delay_alu instid0(VALU_DEP_3) | instskip(NEXT) | instid1(VALU_DEP_3)
	v_dual_fma_f32 v17, v188, v140, -v25 :: v_dual_add_f32 v11, v11, v15
	v_dual_fma_f32 v226, v190, v142, -v27 :: v_dual_add_f32 v9, v9, v39
	s_delay_alu instid0(VALU_DEP_4) | instskip(SKIP_1) | instid1(VALU_DEP_4)
	v_fmac_f32_e32 v227, v191, v142
	v_pk_mul_f32 v[108:109], v[218:219], v[108:109] op_sel_hi:[1,0]
	v_dual_add_f32 v116, v11, v17 :: v_dual_fmac_f32 v229, v161, v144
	s_delay_alu instid0(VALU_DEP_4)
	v_add_f32_e32 v117, v9, v41
	v_pk_mul_f32 v[110:111], v[164:165], v[148:149] op_sel:[1,1] op_sel_hi:[0,1]
	s_wait_loadcnt 0x3
	v_dual_mov_b32 v118, v155 :: v_dual_fma_f32 v228, v160, v144, -v13
	v_pk_fma_f32 v[120:121], v[162:163], v[146:147], v[108:109] op_sel_hi:[1,0,1]
	v_pk_add_f32 v[116:117], v[116:117], v[226:227]
	v_pk_fma_f32 v[108:109], v[162:163], v[146:147], v[108:109] neg_lo:[0,0,1] neg_hi:[0,0,1]
	v_pk_fma_f32 v[122:123], v[164:165], v[148:149], v[110:111] op_sel_hi:[1,0,1]
	v_pk_mul_f32 v[112:113], v[220:221], v[112:113] op_sel_hi:[1,0]
	v_mov_b32_e32 v109, v121
	v_pk_add_f32 v[116:117], v[116:117], v[228:229]
	v_pk_fma_f32 v[110:111], v[164:165], v[148:149], v[110:111] neg_lo:[0,0,1] neg_hi:[0,0,1]
	v_pk_mul_f32 v[114:115], v[168:169], v[152:153] op_sel:[1,1] op_sel_hi:[0,1]
	v_mov_b32_e32 v111, v123
	v_pk_fma_f32 v[122:123], v[166:167], v[150:151], v[112:113] op_sel_hi:[1,0,1]
	v_pk_add_f32 v[108:109], v[116:117], v[108:109]
	v_pk_fma_f32 v[112:113], v[166:167], v[150:151], v[112:113] neg_lo:[0,0,1] neg_hi:[0,0,1]
	v_pk_fma_f32 v[116:117], v[168:169], v[152:153], v[114:115] op_sel_hi:[1,0,1]
	v_pk_mul_f32 v[118:119], v[222:223], v[118:119] op_sel_hi:[1,0]
	v_mov_b32_e32 v113, v123
	v_pk_add_f32 v[108:109], v[108:109], v[110:111]
	v_pk_fma_f32 v[114:115], v[168:169], v[152:153], v[114:115] neg_lo:[0,0,1] neg_hi:[0,0,1]
	s_wait_loadcnt 0x2
	v_pk_mul_f32 v[120:121], v[172:173], v[156:157] op_sel:[1,1] op_sel_hi:[0,1]
	v_dual_mov_b32 v110, v159 :: v_dual_mov_b32 v115, v117
	v_pk_fma_f32 v[116:117], v[170:171], v[154:155], v[118:119] op_sel_hi:[1,0,1]
	v_pk_add_f32 v[108:109], v[108:109], v[112:113]
	v_pk_fma_f32 v[118:119], v[170:171], v[154:155], v[118:119] neg_lo:[0,0,1] neg_hi:[0,0,1]
	v_pk_fma_f32 v[112:113], v[172:173], v[156:157], v[120:121] op_sel_hi:[1,0,1]
	v_pk_mul_f32 v[110:111], v[224:225], v[110:111] op_sel_hi:[1,0]
	v_mov_b32_e32 v119, v117
	v_pk_add_f32 v[108:109], v[108:109], v[114:115]
	v_pk_fma_f32 v[114:115], v[172:173], v[156:157], v[120:121] neg_lo:[0,0,1] neg_hi:[0,0,1]
	v_mov_b32_e32 v115, v113
	v_pk_fma_f32 v[112:113], v[174:175], v[158:159], v[110:111] op_sel_hi:[1,0,1]
	s_wait_loadcnt_dscnt 0x100
	v_pk_mul_f32 v[116:117], v[216:217], v[212:213] op_sel:[1,1] op_sel_hi:[0,1]
	v_pk_add_f32 v[108:109], v[108:109], v[118:119]
	v_pk_fma_f32 v[110:111], v[174:175], v[158:159], v[110:111] neg_lo:[0,0,1] neg_hi:[0,0,1]
	v_mov_b32_e32 v111, v113
	s_delay_alu instid0(VALU_DEP_4) | instskip(NEXT) | instid1(VALU_DEP_4)
	v_pk_fma_f32 v[112:113], v[216:217], v[212:213], v[116:117] op_sel_hi:[1,0,1]
	v_pk_add_f32 v[108:109], v[108:109], v[114:115]
	v_pk_fma_f32 v[114:115], v[216:217], v[212:213], v[116:117] neg_lo:[0,0,1] neg_hi:[0,0,1]
	s_delay_alu instid0(VALU_DEP_3) | instskip(NEXT) | instid1(VALU_DEP_3)
	v_mov_b32_e32 v115, v113
	v_pk_add_f32 v[108:109], v[108:109], v[110:111]
	s_delay_alu instid0(VALU_DEP_1) | instskip(SKIP_1) | instid1(VALU_DEP_1)
	v_pk_add_f32 v[108:109], v[108:109], v[114:115]
	s_wait_loadcnt 0x0
	v_pk_add_f32 v[108:109], v[214:215], v[108:109] neg_lo:[0,1] neg_hi:[0,1]
	scratch_store_b64 off, v[108:109], off offset:200
	s_wait_xcnt 0x0
	v_cmpx_lt_u32_e32 24, v0
	s_cbranch_execz .LBB52_283
; %bb.282:
	scratch_load_b64 v[108:109], off, off offset:192
	v_mov_b64_e32 v[110:111], 0
	scratch_store_b64 off, v[110:111], off offset:192
	s_wait_loadcnt 0x0
	ds_store_b64 v1, v[108:109]
.LBB52_283:
	s_wait_xcnt 0x0
	s_or_b32 exec_lo, exec_lo, s0
	s_wait_storecnt_dscnt 0x0
	s_barrier_signal -1
	s_barrier_wait -1
	s_clause 0xe
	scratch_load_b128 v[108:111], off, off offset:200
	scratch_load_b128 v[112:115], off, off offset:216
	;; [unrolled: 1-line block ×14, first 2 shown]
	scratch_load_b64 v[220:221], off, off offset:192
	ds_load_2addr_b64 v[164:167], v5 offset0:99 offset1:100
	ds_load_2addr_b64 v[168:171], v5 offset0:101 offset1:102
	;; [unrolled: 1-line block ×14, first 2 shown]
	s_mov_b32 s0, exec_lo
	s_wait_dscnt 0xd
	v_dual_mov_b32 v222, v167 :: v_dual_mov_b32 v223, v166
	s_wait_dscnt 0xc
	v_dual_mov_b32 v224, v171 :: v_dual_mov_b32 v225, v170
	;; [unrolled: 2-line block ×4, first 2 shown]
	s_wait_loadcnt_dscnt 0xe09
	v_dual_mul_f32 v5, v180, v109 :: v_dual_mul_f32 v9, v182, v111
	v_dual_mul_f32 v43, v181, v109 :: v_dual_mul_f32 v45, v183, v111
	s_wait_loadcnt_dscnt 0xd08
	v_dual_mul_f32 v11, v184, v113 :: v_dual_mul_f32 v13, v186, v115
	s_delay_alu instid0(VALU_DEP_2) | instskip(SKIP_3) | instid1(VALU_DEP_3)
	v_dual_fmac_f32 v5, v181, v108 :: v_dual_fma_f32 v43, v180, v108, -v43
	v_dual_mul_f32 v47, v185, v113 :: v_dual_mul_f32 v49, v187, v115
	s_wait_loadcnt_dscnt 0xb06
	v_dual_mul_f32 v55, v193, v121 :: v_dual_fmac_f32 v9, v183, v110
	v_dual_fma_f32 v45, v182, v110, -v45 :: v_dual_add_f32 v5, 0, v5
	v_dual_add_f32 v43, 0, v43 :: v_dual_fmac_f32 v11, v185, v112
	v_dual_mul_f32 v57, v195, v123 :: v_dual_fma_f32 v47, v184, v112, -v47
	s_delay_alu instid0(VALU_DEP_3) | instskip(NEXT) | instid1(VALU_DEP_3)
	v_dual_add_f32 v5, v5, v9 :: v_dual_fmac_f32 v13, v187, v114
	v_dual_add_f32 v9, v43, v45 :: v_dual_fma_f32 v45, v186, v114, -v49
	v_dual_mul_f32 v15, v188, v117 :: v_dual_mul_f32 v17, v190, v119
	v_dual_mul_f32 v51, v189, v117 :: v_dual_mul_f32 v53, v191, v119
	s_delay_alu instid0(VALU_DEP_3) | instskip(NEXT) | instid1(VALU_DEP_3)
	v_add_f32_e32 v9, v9, v47
	v_dual_add_f32 v5, v5, v11 :: v_dual_fmac_f32 v17, v191, v118
	s_wait_loadcnt_dscnt 0xa05
	s_delay_alu instid0(VALU_DEP_3) | instskip(NEXT) | instid1(VALU_DEP_3)
	v_dual_fma_f32 v47, v188, v116, -v51 :: v_dual_mul_f32 v43, v197, v125
	v_dual_mul_f32 v11, v199, v127 :: v_dual_add_f32 v9, v9, v45
	v_dual_fmac_f32 v15, v189, v116 :: v_dual_fma_f32 v45, v190, v118, -v53
	v_add_f32_e32 v5, v5, v13
	v_dual_mul_f32 v19, v192, v121 :: v_dual_mul_f32 v21, v194, v123
	s_delay_alu instid0(VALU_DEP_4) | instskip(NEXT) | instid1(VALU_DEP_3)
	v_dual_add_f32 v9, v9, v47 :: v_dual_fma_f32 v43, v196, v124, -v43
	v_dual_add_f32 v5, v5, v15 :: v_dual_fma_f32 v47, v192, v120, -v55
	v_dual_mul_f32 v23, v196, v125 :: v_dual_mul_f32 v25, v198, v127
	s_delay_alu instid0(VALU_DEP_3) | instskip(SKIP_2) | instid1(VALU_DEP_3)
	v_dual_add_f32 v9, v9, v45 :: v_dual_fma_f32 v11, v198, v126, -v11
	s_wait_loadcnt_dscnt 0x904
	v_dual_mul_f32 v27, v200, v129 :: v_dual_mul_f32 v29, v202, v131
	v_dual_fmac_f32 v19, v193, v120 :: v_dual_fmac_f32 v25, v199, v126
	v_dual_fma_f32 v45, v194, v122, -v57 :: v_dual_add_f32 v5, v5, v17
	s_delay_alu instid0(VALU_DEP_3)
	v_dual_add_f32 v9, v9, v47 :: v_dual_fmac_f32 v29, v203, v130
	s_wait_loadcnt_dscnt 0x803
	v_dual_mul_f32 v31, v204, v133 :: v_dual_mul_f32 v33, v206, v135
	v_dual_mul_f32 v13, v201, v129 :: v_dual_fmac_f32 v21, v195, v122
	v_mul_f32_e32 v17, v205, v133
	v_add_f32_e32 v5, v5, v19
	v_dual_add_f32 v9, v9, v45 :: v_dual_mul_f32 v15, v203, v131
	s_delay_alu instid0(VALU_DEP_4) | instskip(NEXT) | instid1(VALU_DEP_3)
	v_fma_f32 v13, v200, v128, -v13
	v_dual_fmac_f32 v33, v207, v134 :: v_dual_add_f32 v5, v5, v21
	s_wait_loadcnt_dscnt 0x702
	v_mul_f32_e32 v21, v209, v137
	v_add_f32_e32 v9, v9, v43
	s_wait_loadcnt_dscnt 0x601
	v_dual_fmac_f32 v23, v197, v124 :: v_dual_mul_f32 v39, v212, v141
	s_delay_alu instid0(VALU_DEP_3) | instskip(NEXT) | instid1(VALU_DEP_3)
	v_dual_mul_f32 v41, v214, v143 :: v_dual_fma_f32 v21, v208, v136, -v21
	v_add_f32_e32 v9, v9, v11
	v_dual_mul_f32 v19, v207, v135 :: v_dual_fma_f32 v15, v202, v130, -v15
	v_dual_mul_f32 v35, v208, v137 :: v_dual_mul_f32 v37, v210, v139
	s_delay_alu instid0(VALU_DEP_3) | instskip(SKIP_1) | instid1(VALU_DEP_4)
	v_dual_add_f32 v9, v9, v13 :: v_dual_fmac_f32 v41, v215, v142
	v_mul_f32_e32 v13, v215, v143
	v_dual_add_f32 v5, v5, v23 :: v_dual_fma_f32 v19, v206, v134, -v19
	s_wait_loadcnt_dscnt 0x500
	v_dual_mul_f32 v231, v216, v145 :: v_dual_mul_f32 v233, v218, v147
	v_dual_mul_f32 v23, v211, v139 :: v_dual_fmac_f32 v27, v201, v128
	s_delay_alu instid0(VALU_DEP_3) | instskip(SKIP_1) | instid1(VALU_DEP_4)
	v_dual_add_f32 v5, v5, v25 :: v_dual_fmac_f32 v37, v211, v138
	v_dual_fma_f32 v17, v204, v132, -v17 :: v_dual_add_f32 v9, v9, v15
	v_dual_mul_f32 v15, v217, v145 :: v_dual_fmac_f32 v231, v217, v144
	s_wait_loadcnt 0x4
	v_dual_mul_f32 v11, v213, v141 :: v_dual_mov_b32 v110, v151
	v_dual_fmac_f32 v31, v205, v132 :: v_dual_fma_f32 v13, v214, v142, -v13
	s_delay_alu instid0(VALU_DEP_3) | instskip(SKIP_1) | instid1(VALU_DEP_4)
	v_dual_fma_f32 v230, v216, v144, -v15 :: v_dual_add_f32 v9, v9, v17
	v_mul_f32_e32 v17, v219, v147
	v_dual_add_f32 v5, v5, v27 :: v_dual_fma_f32 v11, v212, v140, -v11
	v_pk_mul_f32 v[108:109], v[164:165], v[148:149] op_sel:[1,1] op_sel_hi:[0,1]
	s_wait_loadcnt 0x3
	v_mov_b32_e32 v114, v155
	v_pk_mul_f32 v[110:111], v[222:223], v[110:111] op_sel_hi:[1,0]
	v_add_f32_e32 v5, v5, v29
	v_pk_mul_f32 v[112:113], v[168:169], v[152:153] op_sel:[1,1] op_sel_hi:[0,1]
	v_pk_fma_f32 v[118:119], v[164:165], v[148:149], v[108:109] op_sel_hi:[1,0,1]
	v_pk_fma_f32 v[108:109], v[164:165], v[148:149], v[108:109] neg_lo:[0,0,1] neg_hi:[0,0,1]
	v_fmac_f32_e32 v35, v209, v136
	v_dual_add_f32 v5, v5, v31 :: v_dual_fmac_f32 v233, v219, v146
	v_dual_fma_f32 v232, v218, v146, -v17 :: v_dual_add_f32 v9, v9, v19
	v_mov_b32_e32 v109, v119
	v_pk_fma_f32 v[118:119], v[166:167], v[150:151], v[110:111] op_sel_hi:[1,0,1]
	s_delay_alu instid0(VALU_DEP_4)
	v_add_f32_e32 v5, v5, v33
	v_pk_mul_f32 v[114:115], v[224:225], v[114:115] op_sel_hi:[1,0]
	v_pk_fma_f32 v[110:111], v[166:167], v[150:151], v[110:111] neg_lo:[0,0,1] neg_hi:[0,0,1]
	v_fma_f32 v19, v210, v138, -v23
	v_pk_fma_f32 v[122:123], v[168:169], v[152:153], v[112:113] op_sel_hi:[1,0,1]
	v_dual_mov_b32 v111, v119 :: v_dual_add_f32 v5, v5, v35
	v_pk_fma_f32 v[118:119], v[170:171], v[154:155], v[114:115] op_sel_hi:[1,0,1]
	v_add_f32_e32 v9, v9, v21
	v_pk_fma_f32 v[112:113], v[168:169], v[152:153], v[112:113] neg_lo:[0,0,1] neg_hi:[0,0,1]
	v_pk_fma_f32 v[114:115], v[170:171], v[154:155], v[114:115] neg_lo:[0,0,1] neg_hi:[0,0,1]
	v_dual_fmac_f32 v39, v213, v140 :: v_dual_mov_b32 v113, v123
	v_dual_add_f32 v5, v5, v37 :: v_dual_mov_b32 v115, v119
	v_add_f32_e32 v9, v9, v19
	s_wait_loadcnt 0x2
	v_pk_mul_f32 v[120:121], v[172:173], v[156:157] op_sel:[1,1] op_sel_hi:[0,1]
	s_delay_alu instid0(VALU_DEP_3) | instskip(NEXT) | instid1(VALU_DEP_3)
	v_add_f32_e32 v5, v5, v39
	v_add_f32_e32 v9, v9, v11
	s_delay_alu instid0(VALU_DEP_3) | instskip(NEXT) | instid1(VALU_DEP_3)
	v_pk_fma_f32 v[118:119], v[172:173], v[156:157], v[120:121] neg_lo:[0,0,1] neg_hi:[0,0,1]
	v_add_f32_e32 v117, v5, v41
	s_delay_alu instid0(VALU_DEP_3) | instskip(NEXT) | instid1(VALU_DEP_1)
	v_add_f32_e32 v116, v9, v13
	v_pk_add_f32 v[116:117], v[116:117], v[230:231]
	s_delay_alu instid0(VALU_DEP_1) | instskip(NEXT) | instid1(VALU_DEP_1)
	v_pk_add_f32 v[116:117], v[116:117], v[232:233]
	v_pk_add_f32 v[108:109], v[116:117], v[108:109]
	v_mov_b32_e32 v116, v159
	s_delay_alu instid0(VALU_DEP_2) | instskip(SKIP_1) | instid1(VALU_DEP_3)
	v_pk_add_f32 v[108:109], v[108:109], v[110:111]
	v_pk_fma_f32 v[110:111], v[172:173], v[156:157], v[120:121] op_sel_hi:[1,0,1]
	v_pk_mul_f32 v[116:117], v[226:227], v[116:117] op_sel_hi:[1,0]
	s_delay_alu instid0(VALU_DEP_3) | instskip(NEXT) | instid1(VALU_DEP_3)
	v_pk_add_f32 v[108:109], v[108:109], v[112:113]
	v_mov_b32_e32 v119, v111
	s_delay_alu instid0(VALU_DEP_3)
	v_pk_fma_f32 v[110:111], v[174:175], v[158:159], v[116:117] op_sel_hi:[1,0,1]
	s_wait_loadcnt 0x1
	v_pk_mul_f32 v[112:113], v[176:177], v[160:161] op_sel:[1,1] op_sel_hi:[0,1]
	v_mov_b32_e32 v110, v163
	v_pk_add_f32 v[108:109], v[108:109], v[114:115]
	v_pk_fma_f32 v[116:117], v[174:175], v[158:159], v[116:117] neg_lo:[0,0,1] neg_hi:[0,0,1]
	v_mov_b32_e32 v117, v111
	v_pk_fma_f32 v[114:115], v[176:177], v[160:161], v[112:113] op_sel_hi:[1,0,1]
	v_pk_mul_f32 v[110:111], v[228:229], v[110:111] op_sel_hi:[1,0]
	v_pk_add_f32 v[108:109], v[108:109], v[118:119]
	v_pk_fma_f32 v[112:113], v[176:177], v[160:161], v[112:113] neg_lo:[0,0,1] neg_hi:[0,0,1]
	s_delay_alu instid0(VALU_DEP_4) | instskip(NEXT) | instid1(VALU_DEP_4)
	v_mov_b32_e32 v113, v115
	v_pk_fma_f32 v[114:115], v[178:179], v[162:163], v[110:111] op_sel_hi:[1,0,1]
	s_delay_alu instid0(VALU_DEP_4) | instskip(SKIP_1) | instid1(VALU_DEP_3)
	v_pk_add_f32 v[108:109], v[108:109], v[116:117]
	v_pk_fma_f32 v[110:111], v[178:179], v[162:163], v[110:111] neg_lo:[0,0,1] neg_hi:[0,0,1]
	v_mov_b32_e32 v111, v115
	s_delay_alu instid0(VALU_DEP_3) | instskip(NEXT) | instid1(VALU_DEP_1)
	v_pk_add_f32 v[108:109], v[108:109], v[112:113]
	v_pk_add_f32 v[108:109], v[108:109], v[110:111]
	s_wait_loadcnt 0x0
	s_delay_alu instid0(VALU_DEP_1)
	v_pk_add_f32 v[108:109], v[220:221], v[108:109] neg_lo:[0,1] neg_hi:[0,1]
	scratch_store_b64 off, v[108:109], off offset:192
	s_wait_xcnt 0x0
	v_cmpx_lt_u32_e32 23, v0
	s_cbranch_execz .LBB52_285
; %bb.284:
	scratch_load_b64 v[108:109], off, off offset:184
	v_mov_b64_e32 v[110:111], 0
	scratch_store_b64 off, v[110:111], off offset:184
	s_wait_loadcnt 0x0
	ds_store_b64 v1, v[108:109]
.LBB52_285:
	s_wait_xcnt 0x0
	s_or_b32 exec_lo, exec_lo, s0
	s_wait_storecnt_dscnt 0x0
	s_barrier_signal -1
	s_barrier_wait -1
	s_clause 0xf
	scratch_load_b128 v[108:111], off, off offset:192
	scratch_load_b128 v[112:115], off, off offset:208
	;; [unrolled: 1-line block ×14, first 2 shown]
	scratch_load_b64 v[220:221], off, off offset:416
	scratch_load_b64 v[222:223], off, off offset:184
	v_mov_b32_e32 v5, 0
	ds_load_b128 v[164:167], v5 offset:784
	ds_load_b128 v[168:171], v5 offset:800
	;; [unrolled: 1-line block ×14, first 2 shown]
	ds_load_b64 v[224:225], v5 offset:848
	s_mov_b32 s0, exec_lo
	s_wait_dscnt 0xe
	v_dual_mov_b32 v226, v167 :: v_dual_mov_b32 v227, v166
	s_wait_dscnt 0xb
	v_dual_mov_b32 v228, v171 :: v_dual_mov_b32 v233, v178
	v_dual_mov_b32 v229, v170 :: v_dual_mov_b32 v230, v175
	;; [unrolled: 1-line block ×3, first 2 shown]
	s_wait_loadcnt_dscnt 0xf0a
	v_dual_mul_f32 v9, v180, v109 :: v_dual_mul_f32 v47, v181, v109
	v_dual_mul_f32 v49, v183, v111 :: v_dual_mul_f32 v11, v182, v111
	s_wait_loadcnt_dscnt 0xe09
	v_mul_f32_e32 v13, v184, v113
	s_wait_loadcnt_dscnt 0xc07
	v_dual_mul_f32 v59, v193, v121 :: v_dual_fma_f32 v47, v180, v108, -v47
	v_dual_fmac_f32 v9, v181, v108 :: v_dual_mul_f32 v61, v195, v123
	v_dual_mul_f32 v51, v185, v113 :: v_dual_mul_f32 v53, v187, v115
	v_dual_fmac_f32 v11, v183, v110 :: v_dual_fma_f32 v49, v182, v110, -v49
	s_delay_alu instid0(VALU_DEP_3) | instskip(SKIP_4) | instid1(VALU_DEP_3)
	v_dual_add_f32 v9, 0, v9 :: v_dual_add_f32 v47, 0, v47
	v_dual_mul_f32 v15, v186, v115 :: v_dual_mul_f32 v17, v188, v117
	s_wait_loadcnt_dscnt 0xb06
	v_dual_mul_f32 v63, v197, v125 :: v_dual_fma_f32 v51, v184, v112, -v51
	v_fmac_f32_e32 v13, v185, v112
	v_dual_add_f32 v9, v9, v11 :: v_dual_fmac_f32 v15, v187, v114
	v_add_f32_e32 v11, v47, v49
	v_dual_mul_f32 v55, v189, v117 :: v_dual_mul_f32 v57, v191, v119
	v_dual_mul_f32 v47, v199, v127 :: v_dual_fma_f32 v49, v186, v114, -v53
	s_delay_alu instid0(VALU_DEP_3) | instskip(SKIP_3) | instid1(VALU_DEP_3)
	v_dual_add_f32 v9, v9, v13 :: v_dual_add_f32 v11, v11, v51
	v_dual_mul_f32 v19, v190, v119 :: v_dual_mul_f32 v21, v192, v121
	s_wait_loadcnt_dscnt 0xa05
	v_dual_mul_f32 v13, v201, v129 :: v_dual_fma_f32 v51, v188, v116, -v55
	v_dual_fmac_f32 v17, v189, v116 :: v_dual_add_f32 v11, v11, v49
	s_delay_alu instid0(VALU_DEP_3) | instskip(SKIP_1) | instid1(VALU_DEP_2)
	v_dual_add_f32 v9, v9, v15 :: v_dual_fmac_f32 v19, v191, v118
	v_dual_mul_f32 v15, v203, v131 :: v_dual_fma_f32 v49, v190, v118, -v57
	v_dual_add_f32 v11, v11, v51 :: v_dual_add_f32 v9, v9, v17
	v_dual_mul_f32 v23, v194, v123 :: v_dual_mul_f32 v25, v196, v125
	s_wait_loadcnt_dscnt 0x904
	v_dual_mul_f32 v17, v205, v133 :: v_dual_fma_f32 v51, v192, v120, -v59
	s_delay_alu instid0(VALU_DEP_3) | instskip(NEXT) | instid1(VALU_DEP_3)
	v_dual_fmac_f32 v21, v193, v120 :: v_dual_add_f32 v11, v11, v49
	v_dual_add_f32 v9, v9, v19 :: v_dual_fmac_f32 v23, v195, v122
	v_dual_mul_f32 v19, v207, v135 :: v_dual_fma_f32 v49, v194, v122, -v61
	s_delay_alu instid0(VALU_DEP_2) | instskip(SKIP_3) | instid1(VALU_DEP_3)
	v_dual_add_f32 v11, v11, v51 :: v_dual_add_f32 v9, v9, v21
	v_dual_mul_f32 v27, v198, v127 :: v_dual_mul_f32 v29, v200, v129
	s_wait_loadcnt_dscnt 0x803
	v_dual_mul_f32 v21, v209, v137 :: v_dual_fma_f32 v51, v196, v124, -v63
	v_dual_fmac_f32 v25, v197, v124 :: v_dual_add_f32 v11, v11, v49
	s_delay_alu instid0(VALU_DEP_3) | instskip(SKIP_1) | instid1(VALU_DEP_2)
	v_dual_add_f32 v9, v9, v23 :: v_dual_fmac_f32 v27, v199, v126
	v_dual_mul_f32 v23, v211, v139 :: v_dual_fma_f32 v47, v198, v126, -v47
	v_dual_add_f32 v11, v11, v51 :: v_dual_add_f32 v9, v9, v25
	v_dual_mul_f32 v31, v202, v131 :: v_dual_mul_f32 v33, v204, v133
	s_wait_loadcnt_dscnt 0x702
	v_dual_mul_f32 v25, v213, v141 :: v_dual_fma_f32 v13, v200, v128, -v13
	s_delay_alu instid0(VALU_DEP_3) | instskip(NEXT) | instid1(VALU_DEP_3)
	v_dual_fmac_f32 v29, v201, v128 :: v_dual_add_f32 v11, v11, v47
	v_dual_add_f32 v9, v9, v27 :: v_dual_fmac_f32 v31, v203, v130
	v_dual_mul_f32 v27, v215, v143 :: v_dual_fma_f32 v15, v202, v130, -v15
	s_delay_alu instid0(VALU_DEP_3) | instskip(NEXT) | instid1(VALU_DEP_3)
	v_dual_add_f32 v11, v11, v13 :: v_dual_fmac_f32 v33, v205, v132
	v_dual_add_f32 v9, v9, v29 :: v_dual_fma_f32 v17, v204, v132, -v17
	v_dual_mul_f32 v35, v206, v135 :: v_dual_mul_f32 v37, v208, v137
	s_wait_loadcnt_dscnt 0x601
	s_delay_alu instid0(VALU_DEP_3) | instskip(NEXT) | instid1(VALU_DEP_2)
	v_dual_mul_f32 v13, v217, v145 :: v_dual_add_f32 v11, v11, v15
	v_dual_add_f32 v9, v9, v31 :: v_dual_fmac_f32 v35, v207, v134
	v_dual_mul_f32 v15, v219, v147 :: v_dual_fma_f32 v19, v206, v134, -v19
	s_delay_alu instid0(VALU_DEP_3) | instskip(NEXT) | instid1(VALU_DEP_3)
	v_dual_add_f32 v11, v11, v17 :: v_dual_fmac_f32 v37, v209, v136
	v_dual_add_f32 v9, v9, v33 :: v_dual_fma_f32 v21, v208, v136, -v21
	v_dual_mul_f32 v39, v210, v139 :: v_dual_mul_f32 v41, v212, v141
	s_wait_loadcnt 0x5
	s_delay_alu instid0(VALU_DEP_3) | instskip(NEXT) | instid1(VALU_DEP_3)
	v_dual_mul_f32 v17, v165, v149 :: v_dual_add_f32 v11, v11, v19
	v_dual_add_f32 v9, v9, v35 :: v_dual_mov_b32 v108, v151
	s_delay_alu instid0(VALU_DEP_3) | instskip(NEXT) | instid1(VALU_DEP_3)
	v_fmac_f32_e32 v39, v211, v138
	v_dual_fma_f32 v19, v210, v138, -v23 :: v_dual_add_f32 v11, v11, v21
	s_delay_alu instid0(VALU_DEP_3) | instskip(SKIP_1) | instid1(VALU_DEP_3)
	v_dual_add_f32 v9, v9, v37 :: v_dual_mul_f32 v43, v214, v143
	v_dual_mul_f32 v45, v216, v145 :: v_dual_fmac_f32 v41, v213, v140
	v_dual_add_f32 v11, v11, v19 :: v_dual_fma_f32 v21, v212, v140, -v25
	s_wait_loadcnt 0x4
	s_delay_alu instid0(VALU_DEP_3) | instskip(SKIP_3) | instid1(VALU_DEP_4)
	v_dual_add_f32 v9, v9, v39 :: v_dual_mov_b32 v112, v155
	v_fma_f32 v19, v214, v142, -v27
	v_fmac_f32_e32 v43, v215, v142
	v_dual_add_f32 v11, v11, v21 :: v_dual_fmac_f32 v45, v217, v144
	v_dual_add_f32 v9, v9, v41 :: v_dual_mul_f32 v235, v218, v147
	v_mul_f32_e32 v237, v164, v149
	s_delay_alu instid0(VALU_DEP_3) | instskip(NEXT) | instid1(VALU_DEP_3)
	v_dual_fma_f32 v13, v216, v144, -v13 :: v_dual_add_f32 v11, v11, v19
	v_dual_fma_f32 v234, v218, v146, -v15 :: v_dual_add_f32 v9, v9, v43
	s_delay_alu instid0(VALU_DEP_4) | instskip(SKIP_1) | instid1(VALU_DEP_4)
	v_fmac_f32_e32 v235, v219, v146
	v_pk_mul_f32 v[108:109], v[226:227], v[108:109] op_sel_hi:[1,0]
	v_dual_add_f32 v116, v11, v13 :: v_dual_fmac_f32 v237, v165, v148
	s_delay_alu instid0(VALU_DEP_4)
	v_add_f32_e32 v117, v9, v45
	v_pk_mul_f32 v[110:111], v[168:169], v[152:153] op_sel:[1,1] op_sel_hi:[0,1]
	s_wait_loadcnt 0x3
	v_dual_mov_b32 v118, v159 :: v_dual_fma_f32 v236, v164, v148, -v17
	v_pk_fma_f32 v[120:121], v[166:167], v[150:151], v[108:109] op_sel_hi:[1,0,1]
	v_pk_add_f32 v[116:117], v[116:117], v[234:235]
	v_pk_fma_f32 v[108:109], v[166:167], v[150:151], v[108:109] neg_lo:[0,0,1] neg_hi:[0,0,1]
	v_pk_fma_f32 v[122:123], v[168:169], v[152:153], v[110:111] op_sel_hi:[1,0,1]
	v_pk_mul_f32 v[112:113], v[228:229], v[112:113] op_sel_hi:[1,0]
	v_mov_b32_e32 v109, v121
	v_pk_add_f32 v[116:117], v[116:117], v[236:237]
	v_pk_fma_f32 v[110:111], v[168:169], v[152:153], v[110:111] neg_lo:[0,0,1] neg_hi:[0,0,1]
	v_pk_mul_f32 v[114:115], v[172:173], v[156:157] op_sel:[1,1] op_sel_hi:[0,1]
	v_mov_b32_e32 v111, v123
	v_pk_fma_f32 v[122:123], v[170:171], v[154:155], v[112:113] op_sel_hi:[1,0,1]
	v_pk_add_f32 v[108:109], v[116:117], v[108:109]
	v_pk_fma_f32 v[112:113], v[170:171], v[154:155], v[112:113] neg_lo:[0,0,1] neg_hi:[0,0,1]
	v_pk_fma_f32 v[116:117], v[172:173], v[156:157], v[114:115] op_sel_hi:[1,0,1]
	v_pk_mul_f32 v[118:119], v[230:231], v[118:119] op_sel_hi:[1,0]
	v_mov_b32_e32 v113, v123
	v_pk_add_f32 v[108:109], v[108:109], v[110:111]
	v_pk_fma_f32 v[114:115], v[172:173], v[156:157], v[114:115] neg_lo:[0,0,1] neg_hi:[0,0,1]
	s_wait_loadcnt 0x2
	v_pk_mul_f32 v[120:121], v[176:177], v[160:161] op_sel:[1,1] op_sel_hi:[0,1]
	v_dual_mov_b32 v110, v163 :: v_dual_mov_b32 v115, v117
	v_pk_fma_f32 v[116:117], v[174:175], v[158:159], v[118:119] op_sel_hi:[1,0,1]
	v_pk_add_f32 v[108:109], v[108:109], v[112:113]
	v_pk_fma_f32 v[118:119], v[174:175], v[158:159], v[118:119] neg_lo:[0,0,1] neg_hi:[0,0,1]
	v_pk_fma_f32 v[112:113], v[176:177], v[160:161], v[120:121] op_sel_hi:[1,0,1]
	v_pk_mul_f32 v[110:111], v[232:233], v[110:111] op_sel_hi:[1,0]
	v_mov_b32_e32 v119, v117
	v_pk_add_f32 v[108:109], v[108:109], v[114:115]
	v_pk_fma_f32 v[114:115], v[176:177], v[160:161], v[120:121] neg_lo:[0,0,1] neg_hi:[0,0,1]
	v_mov_b32_e32 v115, v113
	v_pk_fma_f32 v[112:113], v[178:179], v[162:163], v[110:111] op_sel_hi:[1,0,1]
	s_wait_loadcnt_dscnt 0x100
	v_pk_mul_f32 v[116:117], v[224:225], v[220:221] op_sel:[1,1] op_sel_hi:[0,1]
	v_pk_add_f32 v[108:109], v[108:109], v[118:119]
	v_pk_fma_f32 v[110:111], v[178:179], v[162:163], v[110:111] neg_lo:[0,0,1] neg_hi:[0,0,1]
	v_mov_b32_e32 v111, v113
	s_delay_alu instid0(VALU_DEP_4) | instskip(NEXT) | instid1(VALU_DEP_4)
	v_pk_fma_f32 v[112:113], v[224:225], v[220:221], v[116:117] op_sel_hi:[1,0,1]
	v_pk_add_f32 v[108:109], v[108:109], v[114:115]
	v_pk_fma_f32 v[114:115], v[224:225], v[220:221], v[116:117] neg_lo:[0,0,1] neg_hi:[0,0,1]
	s_delay_alu instid0(VALU_DEP_3) | instskip(NEXT) | instid1(VALU_DEP_3)
	v_mov_b32_e32 v115, v113
	v_pk_add_f32 v[108:109], v[108:109], v[110:111]
	s_delay_alu instid0(VALU_DEP_1) | instskip(SKIP_1) | instid1(VALU_DEP_1)
	v_pk_add_f32 v[108:109], v[108:109], v[114:115]
	s_wait_loadcnt 0x0
	v_pk_add_f32 v[108:109], v[222:223], v[108:109] neg_lo:[0,1] neg_hi:[0,1]
	scratch_store_b64 off, v[108:109], off offset:184
	s_wait_xcnt 0x0
	v_cmpx_lt_u32_e32 22, v0
	s_cbranch_execz .LBB52_287
; %bb.286:
	scratch_load_b64 v[108:109], off, off offset:176
	v_mov_b64_e32 v[110:111], 0
	scratch_store_b64 off, v[110:111], off offset:176
	s_wait_loadcnt 0x0
	ds_store_b64 v1, v[108:109]
.LBB52_287:
	s_wait_xcnt 0x0
	s_or_b32 exec_lo, exec_lo, s0
	s_wait_storecnt_dscnt 0x0
	s_barrier_signal -1
	s_barrier_wait -1
	s_clause 0xf
	scratch_load_b128 v[108:111], off, off offset:184
	scratch_load_b128 v[112:115], off, off offset:200
	;; [unrolled: 1-line block ×15, first 2 shown]
	scratch_load_b64 v[228:229], off, off offset:176
	ds_load_2addr_b64 v[168:171], v5 offset0:99 offset1:100
	ds_load_2addr_b64 v[172:175], v5 offset0:101 offset1:102
	;; [unrolled: 1-line block ×15, first 2 shown]
	s_mov_b32 s0, exec_lo
	s_wait_dscnt 0xe
	v_dual_mov_b32 v230, v171 :: v_dual_mov_b32 v231, v170
	s_wait_dscnt 0xd
	v_dual_mov_b32 v232, v175 :: v_dual_mov_b32 v233, v174
	;; [unrolled: 2-line block ×4, first 2 shown]
	s_wait_loadcnt_dscnt 0xf0a
	v_dual_mul_f32 v5, v184, v109 :: v_dual_mul_f32 v9, v186, v111
	v_dual_mul_f32 v47, v185, v109 :: v_dual_mul_f32 v49, v187, v111
	s_wait_loadcnt_dscnt 0xe09
	v_dual_mul_f32 v11, v188, v113 :: v_dual_mul_f32 v13, v190, v115
	s_delay_alu instid0(VALU_DEP_2) | instskip(SKIP_3) | instid1(VALU_DEP_3)
	v_dual_fmac_f32 v5, v185, v108 :: v_dual_fma_f32 v47, v184, v108, -v47
	v_dual_mul_f32 v51, v189, v113 :: v_dual_mul_f32 v53, v191, v115
	s_wait_loadcnt_dscnt 0xc06
	v_dual_mul_f32 v59, v201, v121 :: v_dual_fmac_f32 v9, v187, v110
	v_dual_fma_f32 v49, v186, v110, -v49 :: v_dual_add_f32 v5, 0, v5
	v_dual_add_f32 v47, 0, v47 :: v_dual_fmac_f32 v11, v189, v112
	v_dual_mul_f32 v61, v203, v123 :: v_dual_fma_f32 v51, v188, v112, -v51
	s_delay_alu instid0(VALU_DEP_3) | instskip(NEXT) | instid1(VALU_DEP_3)
	v_dual_add_f32 v5, v5, v9 :: v_dual_fmac_f32 v13, v191, v114
	v_dual_add_f32 v9, v47, v49 :: v_dual_fma_f32 v49, v190, v114, -v53
	v_dual_mul_f32 v15, v196, v117 :: v_dual_mul_f32 v17, v198, v119
	v_dual_mul_f32 v55, v197, v117 :: v_dual_mul_f32 v57, v199, v119
	s_delay_alu instid0(VALU_DEP_3) | instskip(NEXT) | instid1(VALU_DEP_3)
	v_add_f32_e32 v9, v9, v51
	v_dual_add_f32 v5, v5, v11 :: v_dual_fmac_f32 v17, v199, v118
	s_wait_loadcnt_dscnt 0xb05
	s_delay_alu instid0(VALU_DEP_3) | instskip(NEXT) | instid1(VALU_DEP_3)
	v_dual_fma_f32 v51, v196, v116, -v55 :: v_dual_mul_f32 v47, v205, v125
	v_dual_mul_f32 v11, v207, v127 :: v_dual_add_f32 v9, v9, v49
	v_dual_fmac_f32 v15, v197, v116 :: v_dual_fma_f32 v49, v198, v118, -v57
	v_add_f32_e32 v5, v5, v13
	v_dual_mul_f32 v19, v200, v121 :: v_dual_mul_f32 v21, v202, v123
	s_delay_alu instid0(VALU_DEP_4) | instskip(NEXT) | instid1(VALU_DEP_3)
	v_dual_add_f32 v9, v9, v51 :: v_dual_fma_f32 v47, v204, v124, -v47
	v_dual_add_f32 v5, v5, v15 :: v_dual_fma_f32 v51, v200, v120, -v59
	v_dual_mul_f32 v23, v204, v125 :: v_dual_mul_f32 v25, v206, v127
	s_delay_alu instid0(VALU_DEP_3) | instskip(SKIP_2) | instid1(VALU_DEP_3)
	v_dual_add_f32 v9, v9, v49 :: v_dual_fma_f32 v11, v206, v126, -v11
	s_wait_loadcnt_dscnt 0xa04
	v_dual_mul_f32 v27, v208, v129 :: v_dual_mul_f32 v29, v210, v131
	v_dual_fmac_f32 v19, v201, v120 :: v_dual_fmac_f32 v25, v207, v126
	v_dual_fma_f32 v49, v202, v122, -v61 :: v_dual_add_f32 v5, v5, v17
	s_delay_alu instid0(VALU_DEP_3)
	v_dual_add_f32 v9, v9, v51 :: v_dual_fmac_f32 v29, v211, v130
	s_wait_loadcnt_dscnt 0x903
	v_dual_mul_f32 v31, v212, v133 :: v_dual_mul_f32 v33, v214, v135
	v_dual_mul_f32 v13, v209, v129 :: v_dual_fmac_f32 v21, v203, v122
	v_mul_f32_e32 v17, v213, v133
	v_add_f32_e32 v5, v5, v19
	v_dual_add_f32 v9, v9, v49 :: v_dual_mul_f32 v15, v211, v131
	s_delay_alu instid0(VALU_DEP_4) | instskip(NEXT) | instid1(VALU_DEP_3)
	v_fma_f32 v13, v208, v128, -v13
	v_dual_fmac_f32 v33, v215, v134 :: v_dual_add_f32 v5, v5, v21
	s_wait_loadcnt_dscnt 0x802
	v_mul_f32_e32 v21, v217, v137
	s_wait_loadcnt_dscnt 0x701
	v_dual_add_f32 v9, v9, v47 :: v_dual_mul_f32 v39, v220, v141
	v_dual_mul_f32 v41, v222, v143 :: v_dual_fmac_f32 v23, v205, v124
	s_delay_alu instid0(VALU_DEP_2) | instskip(SKIP_1) | instid1(VALU_DEP_3)
	v_dual_fma_f32 v21, v216, v136, -v21 :: v_dual_add_f32 v9, v9, v11
	v_dual_fma_f32 v15, v210, v130, -v15 :: v_dual_mul_f32 v19, v215, v135
	v_dual_fmac_f32 v41, v223, v142 :: v_dual_mul_f32 v35, v216, v137
	s_delay_alu instid0(VALU_DEP_3) | instskip(SKIP_1) | instid1(VALU_DEP_4)
	v_dual_mul_f32 v37, v218, v139 :: v_dual_add_f32 v9, v9, v13
	v_mul_f32_e32 v13, v223, v143
	v_dual_add_f32 v5, v5, v23 :: v_dual_fma_f32 v19, v214, v134, -v19
	v_dual_mul_f32 v23, v219, v139 :: v_dual_fma_f32 v17, v212, v132, -v17
	s_wait_loadcnt 0x5
	v_dual_add_f32 v9, v9, v15 :: v_dual_mul_f32 v239, v192, v149
	v_dual_mul_f32 v241, v194, v151 :: v_dual_fmac_f32 v27, v209, v128
	v_dual_add_f32 v5, v5, v25 :: v_dual_fmac_f32 v37, v219, v138
	s_delay_alu instid0(VALU_DEP_3)
	v_add_f32_e32 v9, v9, v17
	s_wait_loadcnt 0x4
	v_pk_mul_f32 v[108:109], v[168:169], v[152:153] op_sel:[1,1] op_sel_hi:[0,1]
	s_wait_dscnt 0x0
	v_dual_mul_f32 v11, v221, v141 :: v_dual_mul_f32 v17, v227, v147
	v_dual_fmac_f32 v241, v195, v150 :: v_dual_add_f32 v9, v9, v19
	s_delay_alu instid0(VALU_DEP_3) | instskip(SKIP_2) | instid1(VALU_DEP_4)
	v_pk_fma_f32 v[118:119], v[168:169], v[152:153], v[108:109] op_sel_hi:[1,0,1]
	v_dual_fmac_f32 v31, v213, v132 :: v_dual_fma_f32 v13, v222, v142, -v13
	v_dual_mul_f32 v43, v224, v145 :: v_dual_mul_f32 v45, v226, v147
	v_dual_add_f32 v9, v9, v21 :: v_dual_mul_f32 v21, v195, v151
	v_dual_add_f32 v5, v5, v27 :: v_dual_fma_f32 v11, v220, v140, -v11
	v_dual_mov_b32 v110, v155 :: v_dual_fmac_f32 v35, v217, v136
	s_wait_loadcnt 0x3
	s_delay_alu instid0(VALU_DEP_2) | instskip(SKIP_2) | instid1(VALU_DEP_3)
	v_dual_mov_b32 v114, v159 :: v_dual_add_f32 v5, v5, v29
	v_dual_mul_f32 v19, v193, v149 :: v_dual_fmac_f32 v239, v193, v148
	v_fmac_f32_e32 v45, v227, v146
	v_dual_fma_f32 v23, v218, v138, -v23 :: v_dual_add_f32 v5, v5, v31
	v_pk_mul_f32 v[112:113], v[172:173], v[156:157] op_sel:[1,1] op_sel_hi:[0,1]
	s_delay_alu instid0(VALU_DEP_4) | instskip(SKIP_4) | instid1(VALU_DEP_4)
	v_fma_f32 v238, v192, v148, -v19
	v_pk_mul_f32 v[110:111], v[230:231], v[110:111] op_sel_hi:[1,0]
	v_pk_fma_f32 v[108:109], v[168:169], v[152:153], v[108:109] neg_lo:[0,0,1] neg_hi:[0,0,1]
	v_dual_add_f32 v5, v5, v33 :: v_dual_fma_f32 v240, v194, v150, -v21
	v_mov_b32_e32 v109, v119
	v_pk_fma_f32 v[118:119], v[170:171], v[154:155], v[110:111] op_sel_hi:[1,0,1]
	v_fmac_f32_e32 v39, v221, v140
	s_delay_alu instid0(VALU_DEP_4)
	v_add_f32_e32 v5, v5, v35
	v_pk_fma_f32 v[122:123], v[172:173], v[156:157], v[112:113] op_sel_hi:[1,0,1]
	v_add_f32_e32 v9, v9, v23
	v_pk_mul_f32 v[114:115], v[232:233], v[114:115] op_sel_hi:[1,0]
	v_pk_fma_f32 v[110:111], v[170:171], v[154:155], v[110:111] neg_lo:[0,0,1] neg_hi:[0,0,1]
	v_add_f32_e32 v5, v5, v37
	v_pk_fma_f32 v[112:113], v[172:173], v[156:157], v[112:113] neg_lo:[0,0,1] neg_hi:[0,0,1]
	v_dual_mul_f32 v15, v225, v145 :: v_dual_fmac_f32 v43, v225, v144
	v_dual_mov_b32 v111, v119 :: v_dual_mov_b32 v113, v123
	v_add_f32_e32 v9, v9, v11
	v_pk_fma_f32 v[118:119], v[174:175], v[158:159], v[114:115] op_sel_hi:[1,0,1]
	v_add_f32_e32 v5, v5, v39
	v_pk_fma_f32 v[114:115], v[174:175], v[158:159], v[114:115] neg_lo:[0,0,1] neg_hi:[0,0,1]
	s_delay_alu instid0(VALU_DEP_4) | instskip(NEXT) | instid1(VALU_DEP_3)
	v_dual_fma_f32 v11, v224, v144, -v15 :: v_dual_add_f32 v9, v9, v13
	v_dual_mov_b32 v115, v119 :: v_dual_add_f32 v5, v5, v41
	v_fma_f32 v13, v226, v146, -v17
	s_wait_loadcnt 0x2
	v_pk_mul_f32 v[120:121], v[176:177], v[160:161] op_sel:[1,1] op_sel_hi:[0,1]
	v_add_f32_e32 v9, v9, v11
	v_add_f32_e32 v5, v5, v43
	s_delay_alu instid0(VALU_DEP_3) | instskip(NEXT) | instid1(VALU_DEP_3)
	v_pk_fma_f32 v[118:119], v[176:177], v[160:161], v[120:121] neg_lo:[0,0,1] neg_hi:[0,0,1]
	v_add_f32_e32 v116, v9, v13
	s_delay_alu instid0(VALU_DEP_3) | instskip(NEXT) | instid1(VALU_DEP_1)
	v_add_f32_e32 v117, v5, v45
	v_pk_add_f32 v[116:117], v[116:117], v[238:239]
	s_delay_alu instid0(VALU_DEP_1) | instskip(NEXT) | instid1(VALU_DEP_1)
	v_pk_add_f32 v[116:117], v[116:117], v[240:241]
	v_pk_add_f32 v[108:109], v[116:117], v[108:109]
	v_mov_b32_e32 v116, v163
	s_delay_alu instid0(VALU_DEP_2) | instskip(SKIP_1) | instid1(VALU_DEP_3)
	v_pk_add_f32 v[108:109], v[108:109], v[110:111]
	v_pk_fma_f32 v[110:111], v[176:177], v[160:161], v[120:121] op_sel_hi:[1,0,1]
	v_pk_mul_f32 v[116:117], v[234:235], v[116:117] op_sel_hi:[1,0]
	s_delay_alu instid0(VALU_DEP_3) | instskip(NEXT) | instid1(VALU_DEP_3)
	v_pk_add_f32 v[108:109], v[108:109], v[112:113]
	v_mov_b32_e32 v119, v111
	s_delay_alu instid0(VALU_DEP_3)
	v_pk_fma_f32 v[110:111], v[178:179], v[162:163], v[116:117] op_sel_hi:[1,0,1]
	s_wait_loadcnt 0x1
	v_pk_mul_f32 v[112:113], v[180:181], v[164:165] op_sel:[1,1] op_sel_hi:[0,1]
	v_mov_b32_e32 v110, v167
	v_pk_add_f32 v[108:109], v[108:109], v[114:115]
	v_pk_fma_f32 v[116:117], v[178:179], v[162:163], v[116:117] neg_lo:[0,0,1] neg_hi:[0,0,1]
	v_mov_b32_e32 v117, v111
	v_pk_fma_f32 v[114:115], v[180:181], v[164:165], v[112:113] op_sel_hi:[1,0,1]
	v_pk_mul_f32 v[110:111], v[236:237], v[110:111] op_sel_hi:[1,0]
	v_pk_add_f32 v[108:109], v[108:109], v[118:119]
	v_pk_fma_f32 v[112:113], v[180:181], v[164:165], v[112:113] neg_lo:[0,0,1] neg_hi:[0,0,1]
	s_delay_alu instid0(VALU_DEP_4) | instskip(NEXT) | instid1(VALU_DEP_4)
	v_mov_b32_e32 v113, v115
	v_pk_fma_f32 v[114:115], v[182:183], v[166:167], v[110:111] op_sel_hi:[1,0,1]
	s_delay_alu instid0(VALU_DEP_4) | instskip(SKIP_1) | instid1(VALU_DEP_3)
	v_pk_add_f32 v[108:109], v[108:109], v[116:117]
	v_pk_fma_f32 v[110:111], v[182:183], v[166:167], v[110:111] neg_lo:[0,0,1] neg_hi:[0,0,1]
	v_mov_b32_e32 v111, v115
	s_delay_alu instid0(VALU_DEP_3) | instskip(NEXT) | instid1(VALU_DEP_1)
	v_pk_add_f32 v[108:109], v[108:109], v[112:113]
	v_pk_add_f32 v[108:109], v[108:109], v[110:111]
	s_wait_loadcnt 0x0
	s_delay_alu instid0(VALU_DEP_1)
	v_pk_add_f32 v[108:109], v[228:229], v[108:109] neg_lo:[0,1] neg_hi:[0,1]
	scratch_store_b64 off, v[108:109], off offset:176
	s_wait_xcnt 0x0
	v_cmpx_lt_u32_e32 21, v0
	s_cbranch_execz .LBB52_289
; %bb.288:
	scratch_load_b64 v[108:109], off, off offset:168
	v_mov_b64_e32 v[110:111], 0
	scratch_store_b64 off, v[110:111], off offset:168
	s_wait_loadcnt 0x0
	ds_store_b64 v1, v[108:109]
.LBB52_289:
	s_wait_xcnt 0x0
	s_or_b32 exec_lo, exec_lo, s0
	s_wait_storecnt_dscnt 0x0
	s_barrier_signal -1
	s_barrier_wait -1
	s_clause 0x10
	scratch_load_b128 v[108:111], off, off offset:176
	scratch_load_b128 v[112:115], off, off offset:192
	;; [unrolled: 1-line block ×15, first 2 shown]
	scratch_load_b64 v[228:229], off, off offset:416
	scratch_load_b64 v[230:231], off, off offset:168
	v_mov_b32_e32 v5, 0
	ds_load_b128 v[168:171], v5 offset:784
	ds_load_b128 v[172:175], v5 offset:800
	;; [unrolled: 1-line block ×15, first 2 shown]
	ds_load_b64 v[232:233], v5 offset:848
	s_mov_b32 s0, exec_lo
	s_wait_dscnt 0xf
	v_dual_mov_b32 v234, v171 :: v_dual_mov_b32 v235, v170
	s_wait_dscnt 0xc
	v_dual_mov_b32 v236, v175 :: v_dual_mov_b32 v241, v182
	v_dual_mov_b32 v237, v174 :: v_dual_mov_b32 v238, v179
	;; [unrolled: 1-line block ×3, first 2 shown]
	s_wait_loadcnt_dscnt 0x100b
	v_dual_mul_f32 v9, v184, v109 :: v_dual_mul_f32 v51, v185, v109
	v_dual_mul_f32 v53, v187, v111 :: v_dual_mul_f32 v11, v186, v111
	s_wait_loadcnt_dscnt 0xf09
	v_mul_f32_e32 v13, v192, v113
	s_wait_loadcnt_dscnt 0xd07
	v_dual_mul_f32 v63, v201, v121 :: v_dual_fma_f32 v51, v184, v108, -v51
	v_dual_fmac_f32 v9, v185, v108 :: v_dual_mul_f32 v65, v203, v123
	v_dual_mul_f32 v55, v193, v113 :: v_dual_mul_f32 v57, v195, v115
	v_dual_fmac_f32 v11, v187, v110 :: v_dual_fma_f32 v53, v186, v110, -v53
	s_delay_alu instid0(VALU_DEP_3) | instskip(SKIP_4) | instid1(VALU_DEP_3)
	v_dual_add_f32 v9, 0, v9 :: v_dual_add_f32 v51, 0, v51
	v_dual_mul_f32 v15, v194, v115 :: v_dual_mul_f32 v17, v196, v117
	s_wait_loadcnt_dscnt 0xc06
	v_dual_mul_f32 v67, v205, v125 :: v_dual_fma_f32 v55, v192, v112, -v55
	v_fmac_f32_e32 v13, v193, v112
	v_dual_add_f32 v9, v9, v11 :: v_dual_fmac_f32 v15, v195, v114
	v_add_f32_e32 v11, v51, v53
	v_dual_mul_f32 v59, v197, v117 :: v_dual_mul_f32 v61, v199, v119
	v_dual_mul_f32 v51, v207, v127 :: v_dual_fma_f32 v53, v194, v114, -v57
	s_delay_alu instid0(VALU_DEP_3) | instskip(SKIP_3) | instid1(VALU_DEP_3)
	v_dual_add_f32 v9, v9, v13 :: v_dual_add_f32 v11, v11, v55
	v_dual_mul_f32 v19, v198, v119 :: v_dual_mul_f32 v21, v200, v121
	s_wait_loadcnt_dscnt 0xb05
	v_dual_mul_f32 v13, v209, v129 :: v_dual_fma_f32 v55, v196, v116, -v59
	v_dual_fmac_f32 v17, v197, v116 :: v_dual_add_f32 v11, v11, v53
	s_delay_alu instid0(VALU_DEP_3) | instskip(SKIP_1) | instid1(VALU_DEP_2)
	v_dual_add_f32 v9, v9, v15 :: v_dual_fmac_f32 v19, v199, v118
	v_dual_mul_f32 v15, v211, v131 :: v_dual_fma_f32 v53, v198, v118, -v61
	v_dual_add_f32 v11, v11, v55 :: v_dual_add_f32 v9, v9, v17
	v_dual_mul_f32 v23, v202, v123 :: v_dual_mul_f32 v25, v204, v125
	s_wait_loadcnt_dscnt 0xa04
	v_dual_mul_f32 v17, v213, v133 :: v_dual_fma_f32 v55, v200, v120, -v63
	s_delay_alu instid0(VALU_DEP_3) | instskip(NEXT) | instid1(VALU_DEP_3)
	v_dual_fmac_f32 v21, v201, v120 :: v_dual_add_f32 v11, v11, v53
	v_dual_add_f32 v9, v9, v19 :: v_dual_fmac_f32 v23, v203, v122
	v_dual_mul_f32 v19, v215, v135 :: v_dual_fma_f32 v53, v202, v122, -v65
	s_delay_alu instid0(VALU_DEP_2) | instskip(SKIP_3) | instid1(VALU_DEP_3)
	v_dual_add_f32 v11, v11, v55 :: v_dual_add_f32 v9, v9, v21
	v_dual_mul_f32 v27, v206, v127 :: v_dual_mul_f32 v29, v208, v129
	s_wait_loadcnt_dscnt 0x903
	v_dual_mul_f32 v21, v217, v137 :: v_dual_fma_f32 v55, v204, v124, -v67
	v_dual_fmac_f32 v25, v205, v124 :: v_dual_add_f32 v11, v11, v53
	s_delay_alu instid0(VALU_DEP_3) | instskip(SKIP_1) | instid1(VALU_DEP_2)
	v_dual_add_f32 v9, v9, v23 :: v_dual_fmac_f32 v27, v207, v126
	v_dual_mul_f32 v23, v219, v139 :: v_dual_fma_f32 v51, v206, v126, -v51
	v_dual_add_f32 v11, v11, v55 :: v_dual_add_f32 v9, v9, v25
	v_dual_mul_f32 v31, v210, v131 :: v_dual_mul_f32 v33, v212, v133
	s_wait_loadcnt_dscnt 0x802
	v_dual_mul_f32 v25, v221, v141 :: v_dual_fma_f32 v13, v208, v128, -v13
	s_delay_alu instid0(VALU_DEP_3) | instskip(NEXT) | instid1(VALU_DEP_3)
	v_dual_fmac_f32 v29, v209, v128 :: v_dual_add_f32 v11, v11, v51
	v_dual_add_f32 v9, v9, v27 :: v_dual_fmac_f32 v31, v211, v130
	v_dual_mul_f32 v27, v223, v143 :: v_dual_fma_f32 v15, v210, v130, -v15
	s_delay_alu instid0(VALU_DEP_3) | instskip(NEXT) | instid1(VALU_DEP_3)
	v_dual_add_f32 v11, v11, v13 :: v_dual_fmac_f32 v33, v213, v132
	v_dual_add_f32 v9, v9, v29 :: v_dual_fma_f32 v17, v212, v132, -v17
	v_dual_mul_f32 v35, v214, v135 :: v_dual_mul_f32 v37, v216, v137
	s_wait_loadcnt_dscnt 0x701
	s_delay_alu instid0(VALU_DEP_3) | instskip(NEXT) | instid1(VALU_DEP_2)
	v_dual_mul_f32 v13, v225, v145 :: v_dual_add_f32 v11, v11, v15
	v_dual_add_f32 v9, v9, v31 :: v_dual_fmac_f32 v35, v215, v134
	v_dual_mul_f32 v15, v227, v147 :: v_dual_fma_f32 v19, v214, v134, -v19
	s_delay_alu instid0(VALU_DEP_3) | instskip(NEXT) | instid1(VALU_DEP_3)
	v_dual_add_f32 v11, v11, v17 :: v_dual_fmac_f32 v37, v217, v136
	v_dual_add_f32 v9, v9, v33 :: v_dual_fma_f32 v21, v216, v136, -v21
	v_dual_mul_f32 v39, v218, v139 :: v_dual_mul_f32 v41, v220, v141
	s_wait_loadcnt 0x6
	s_delay_alu instid0(VALU_DEP_3) | instskip(NEXT) | instid1(VALU_DEP_2)
	v_dual_mul_f32 v17, v189, v149 :: v_dual_add_f32 v11, v11, v19
	v_dual_add_f32 v9, v9, v35 :: v_dual_fmac_f32 v39, v219, v138
	v_dual_mul_f32 v19, v191, v151 :: v_dual_fma_f32 v23, v218, v138, -v23
	s_delay_alu instid0(VALU_DEP_3) | instskip(NEXT) | instid1(VALU_DEP_3)
	v_dual_add_f32 v11, v11, v21 :: v_dual_fmac_f32 v41, v221, v140
	v_dual_add_f32 v9, v9, v37 :: v_dual_fma_f32 v25, v220, v140, -v25
	v_dual_mul_f32 v43, v222, v143 :: v_dual_mul_f32 v45, v224, v145
	s_wait_loadcnt 0x5
	s_delay_alu instid0(VALU_DEP_3) | instskip(NEXT) | instid1(VALU_DEP_3)
	v_dual_mul_f32 v21, v169, v153 :: v_dual_add_f32 v11, v11, v23
	v_dual_add_f32 v9, v9, v39 :: v_dual_mov_b32 v108, v155
	s_delay_alu instid0(VALU_DEP_3) | instskip(NEXT) | instid1(VALU_DEP_3)
	v_fmac_f32_e32 v43, v223, v142
	v_dual_fma_f32 v23, v222, v142, -v27 :: v_dual_add_f32 v11, v11, v25
	s_delay_alu instid0(VALU_DEP_3) | instskip(SKIP_1) | instid1(VALU_DEP_3)
	v_dual_add_f32 v9, v9, v41 :: v_dual_mul_f32 v47, v226, v147
	v_dual_mul_f32 v49, v188, v149 :: v_dual_fmac_f32 v45, v225, v144
	v_dual_add_f32 v11, v11, v23 :: v_dual_fma_f32 v13, v224, v144, -v13
	s_wait_loadcnt 0x4
	s_delay_alu instid0(VALU_DEP_3) | instskip(SKIP_3) | instid1(VALU_DEP_4)
	v_dual_add_f32 v9, v9, v43 :: v_dual_mov_b32 v112, v159
	v_fma_f32 v15, v226, v146, -v15
	v_fmac_f32_e32 v47, v227, v146
	v_dual_add_f32 v11, v11, v13 :: v_dual_fmac_f32 v49, v189, v148
	v_dual_add_f32 v9, v9, v45 :: v_dual_mul_f32 v243, v190, v151
	v_mul_f32_e32 v245, v168, v153
	s_delay_alu instid0(VALU_DEP_3) | instskip(NEXT) | instid1(VALU_DEP_3)
	v_dual_fma_f32 v13, v188, v148, -v17 :: v_dual_add_f32 v11, v11, v15
	v_dual_fma_f32 v242, v190, v150, -v19 :: v_dual_add_f32 v9, v9, v47
	s_delay_alu instid0(VALU_DEP_4) | instskip(SKIP_1) | instid1(VALU_DEP_4)
	v_fmac_f32_e32 v243, v191, v150
	v_pk_mul_f32 v[108:109], v[234:235], v[108:109] op_sel_hi:[1,0]
	v_dual_add_f32 v116, v11, v13 :: v_dual_fmac_f32 v245, v169, v152
	s_delay_alu instid0(VALU_DEP_4)
	v_add_f32_e32 v117, v9, v49
	v_pk_mul_f32 v[110:111], v[172:173], v[156:157] op_sel:[1,1] op_sel_hi:[0,1]
	s_wait_loadcnt 0x3
	v_dual_mov_b32 v118, v163 :: v_dual_fma_f32 v244, v168, v152, -v21
	v_pk_fma_f32 v[120:121], v[170:171], v[154:155], v[108:109] op_sel_hi:[1,0,1]
	v_pk_add_f32 v[116:117], v[116:117], v[242:243]
	v_pk_fma_f32 v[108:109], v[170:171], v[154:155], v[108:109] neg_lo:[0,0,1] neg_hi:[0,0,1]
	v_pk_fma_f32 v[122:123], v[172:173], v[156:157], v[110:111] op_sel_hi:[1,0,1]
	v_pk_mul_f32 v[112:113], v[236:237], v[112:113] op_sel_hi:[1,0]
	v_mov_b32_e32 v109, v121
	v_pk_add_f32 v[116:117], v[116:117], v[244:245]
	v_pk_fma_f32 v[110:111], v[172:173], v[156:157], v[110:111] neg_lo:[0,0,1] neg_hi:[0,0,1]
	v_pk_mul_f32 v[114:115], v[176:177], v[160:161] op_sel:[1,1] op_sel_hi:[0,1]
	v_mov_b32_e32 v111, v123
	v_pk_fma_f32 v[122:123], v[174:175], v[158:159], v[112:113] op_sel_hi:[1,0,1]
	v_pk_add_f32 v[108:109], v[116:117], v[108:109]
	v_pk_fma_f32 v[112:113], v[174:175], v[158:159], v[112:113] neg_lo:[0,0,1] neg_hi:[0,0,1]
	v_pk_fma_f32 v[116:117], v[176:177], v[160:161], v[114:115] op_sel_hi:[1,0,1]
	v_pk_mul_f32 v[118:119], v[238:239], v[118:119] op_sel_hi:[1,0]
	v_mov_b32_e32 v113, v123
	v_pk_add_f32 v[108:109], v[108:109], v[110:111]
	v_pk_fma_f32 v[114:115], v[176:177], v[160:161], v[114:115] neg_lo:[0,0,1] neg_hi:[0,0,1]
	s_wait_loadcnt 0x2
	v_pk_mul_f32 v[120:121], v[180:181], v[164:165] op_sel:[1,1] op_sel_hi:[0,1]
	v_dual_mov_b32 v110, v167 :: v_dual_mov_b32 v115, v117
	v_pk_fma_f32 v[116:117], v[178:179], v[162:163], v[118:119] op_sel_hi:[1,0,1]
	v_pk_add_f32 v[108:109], v[108:109], v[112:113]
	v_pk_fma_f32 v[118:119], v[178:179], v[162:163], v[118:119] neg_lo:[0,0,1] neg_hi:[0,0,1]
	v_pk_fma_f32 v[112:113], v[180:181], v[164:165], v[120:121] op_sel_hi:[1,0,1]
	v_pk_mul_f32 v[110:111], v[240:241], v[110:111] op_sel_hi:[1,0]
	v_mov_b32_e32 v119, v117
	v_pk_add_f32 v[108:109], v[108:109], v[114:115]
	v_pk_fma_f32 v[114:115], v[180:181], v[164:165], v[120:121] neg_lo:[0,0,1] neg_hi:[0,0,1]
	v_mov_b32_e32 v115, v113
	v_pk_fma_f32 v[112:113], v[182:183], v[166:167], v[110:111] op_sel_hi:[1,0,1]
	s_wait_loadcnt_dscnt 0x100
	v_pk_mul_f32 v[116:117], v[232:233], v[228:229] op_sel:[1,1] op_sel_hi:[0,1]
	v_pk_add_f32 v[108:109], v[108:109], v[118:119]
	v_pk_fma_f32 v[110:111], v[182:183], v[166:167], v[110:111] neg_lo:[0,0,1] neg_hi:[0,0,1]
	v_mov_b32_e32 v111, v113
	s_delay_alu instid0(VALU_DEP_4) | instskip(NEXT) | instid1(VALU_DEP_4)
	v_pk_fma_f32 v[112:113], v[232:233], v[228:229], v[116:117] op_sel_hi:[1,0,1]
	v_pk_add_f32 v[108:109], v[108:109], v[114:115]
	v_pk_fma_f32 v[114:115], v[232:233], v[228:229], v[116:117] neg_lo:[0,0,1] neg_hi:[0,0,1]
	s_delay_alu instid0(VALU_DEP_3) | instskip(NEXT) | instid1(VALU_DEP_3)
	v_mov_b32_e32 v115, v113
	v_pk_add_f32 v[108:109], v[108:109], v[110:111]
	s_delay_alu instid0(VALU_DEP_1) | instskip(SKIP_1) | instid1(VALU_DEP_1)
	v_pk_add_f32 v[108:109], v[108:109], v[114:115]
	s_wait_loadcnt 0x0
	v_pk_add_f32 v[108:109], v[230:231], v[108:109] neg_lo:[0,1] neg_hi:[0,1]
	scratch_store_b64 off, v[108:109], off offset:168
	s_wait_xcnt 0x0
	v_cmpx_lt_u32_e32 20, v0
	s_cbranch_execz .LBB52_291
; %bb.290:
	scratch_load_b64 v[108:109], off, off offset:160
	v_mov_b64_e32 v[110:111], 0
	scratch_store_b64 off, v[110:111], off offset:160
	s_wait_loadcnt 0x0
	ds_store_b64 v1, v[108:109]
.LBB52_291:
	s_wait_xcnt 0x0
	s_or_b32 exec_lo, exec_lo, s0
	s_wait_storecnt_dscnt 0x0
	s_barrier_signal -1
	s_barrier_wait -1
	s_clause 0x10
	scratch_load_b128 v[108:111], off, off offset:168
	scratch_load_b128 v[112:115], off, off offset:184
	scratch_load_b128 v[116:119], off, off offset:200
	scratch_load_b128 v[120:123], off, off offset:216
	scratch_load_b128 v[124:127], off, off offset:232
	scratch_load_b128 v[128:131], off, off offset:248
	scratch_load_b128 v[132:135], off, off offset:264
	scratch_load_b128 v[136:139], off, off offset:280
	scratch_load_b128 v[140:143], off, off offset:296
	scratch_load_b128 v[144:147], off, off offset:312
	scratch_load_b128 v[148:151], off, off offset:328
	scratch_load_b128 v[152:155], off, off offset:344
	scratch_load_b128 v[156:159], off, off offset:360
	scratch_load_b128 v[160:163], off, off offset:376
	scratch_load_b128 v[164:167], off, off offset:392
	scratch_load_b128 v[168:171], off, off offset:408
	scratch_load_b64 v[236:237], off, off offset:160
	ds_load_2addr_b64 v[172:175], v5 offset0:99 offset1:100
	ds_load_2addr_b64 v[176:179], v5 offset0:101 offset1:102
	;; [unrolled: 1-line block ×16, first 2 shown]
	s_mov_b32 s0, exec_lo
	s_wait_dscnt 0xf
	v_dual_mov_b32 v238, v175 :: v_dual_mov_b32 v239, v174
	s_wait_dscnt 0xe
	v_dual_mov_b32 v240, v179 :: v_dual_mov_b32 v241, v178
	;; [unrolled: 2-line block ×4, first 2 shown]
	s_wait_loadcnt_dscnt 0x100b
	v_dual_mul_f32 v5, v188, v109 :: v_dual_mul_f32 v9, v190, v111
	v_dual_mul_f32 v51, v189, v109 :: v_dual_mul_f32 v53, v191, v111
	s_wait_loadcnt_dscnt 0xf0a
	v_dual_mul_f32 v11, v192, v113 :: v_dual_mul_f32 v13, v194, v115
	s_delay_alu instid0(VALU_DEP_2) | instskip(SKIP_3) | instid1(VALU_DEP_3)
	v_dual_fmac_f32 v5, v189, v108 :: v_dual_fma_f32 v51, v188, v108, -v51
	v_dual_mul_f32 v55, v193, v113 :: v_dual_mul_f32 v57, v195, v115
	s_wait_loadcnt_dscnt 0xd08
	v_dual_mul_f32 v63, v201, v121 :: v_dual_fmac_f32 v9, v191, v110
	v_dual_fma_f32 v53, v190, v110, -v53 :: v_dual_add_f32 v5, 0, v5
	v_dual_add_f32 v51, 0, v51 :: v_dual_fmac_f32 v11, v193, v112
	v_dual_mul_f32 v65, v203, v123 :: v_dual_fma_f32 v55, v192, v112, -v55
	s_delay_alu instid0(VALU_DEP_3) | instskip(NEXT) | instid1(VALU_DEP_3)
	v_dual_add_f32 v5, v5, v9 :: v_dual_fmac_f32 v13, v195, v114
	v_dual_add_f32 v9, v51, v53 :: v_dual_fma_f32 v53, v194, v114, -v57
	v_dual_mul_f32 v15, v196, v117 :: v_dual_mul_f32 v17, v198, v119
	v_dual_mul_f32 v59, v197, v117 :: v_dual_mul_f32 v61, v199, v119
	s_delay_alu instid0(VALU_DEP_3) | instskip(NEXT) | instid1(VALU_DEP_3)
	v_add_f32_e32 v9, v9, v55
	v_dual_add_f32 v5, v5, v11 :: v_dual_fmac_f32 v17, v199, v118
	s_wait_loadcnt_dscnt 0xc07
	s_delay_alu instid0(VALU_DEP_3) | instskip(NEXT) | instid1(VALU_DEP_3)
	v_dual_fma_f32 v55, v196, v116, -v59 :: v_dual_mul_f32 v51, v205, v125
	v_dual_mul_f32 v11, v207, v127 :: v_dual_add_f32 v9, v9, v53
	v_dual_fmac_f32 v15, v197, v116 :: v_dual_fma_f32 v53, v198, v118, -v61
	v_add_f32_e32 v5, v5, v13
	v_dual_mul_f32 v19, v200, v121 :: v_dual_mul_f32 v21, v202, v123
	s_delay_alu instid0(VALU_DEP_4) | instskip(NEXT) | instid1(VALU_DEP_3)
	v_dual_add_f32 v9, v9, v55 :: v_dual_fma_f32 v51, v204, v124, -v51
	v_dual_add_f32 v5, v5, v15 :: v_dual_fma_f32 v55, v200, v120, -v63
	v_dual_mul_f32 v23, v204, v125 :: v_dual_mul_f32 v25, v206, v127
	s_delay_alu instid0(VALU_DEP_3) | instskip(SKIP_2) | instid1(VALU_DEP_3)
	v_dual_add_f32 v9, v9, v53 :: v_dual_fma_f32 v11, v206, v126, -v11
	s_wait_loadcnt_dscnt 0xb06
	v_dual_mul_f32 v27, v208, v129 :: v_dual_mul_f32 v29, v210, v131
	v_dual_fmac_f32 v19, v201, v120 :: v_dual_fmac_f32 v25, v207, v126
	v_dual_fma_f32 v53, v202, v122, -v65 :: v_dual_add_f32 v5, v5, v17
	s_delay_alu instid0(VALU_DEP_3)
	v_dual_add_f32 v9, v9, v55 :: v_dual_fmac_f32 v29, v211, v130
	s_wait_loadcnt_dscnt 0xa05
	v_dual_mul_f32 v31, v212, v133 :: v_dual_mul_f32 v33, v214, v135
	v_dual_mul_f32 v13, v209, v129 :: v_dual_fmac_f32 v21, v203, v122
	v_mul_f32_e32 v17, v213, v133
	v_add_f32_e32 v5, v5, v19
	v_dual_add_f32 v9, v9, v53 :: v_dual_mul_f32 v15, v211, v131
	s_delay_alu instid0(VALU_DEP_4) | instskip(NEXT) | instid1(VALU_DEP_3)
	v_fma_f32 v13, v208, v128, -v13
	v_dual_fmac_f32 v33, v215, v134 :: v_dual_add_f32 v5, v5, v21
	s_wait_loadcnt_dscnt 0x904
	v_mul_f32_e32 v21, v217, v137
	s_wait_loadcnt_dscnt 0x803
	v_dual_add_f32 v9, v9, v51 :: v_dual_mul_f32 v39, v220, v141
	v_dual_mul_f32 v41, v222, v143 :: v_dual_fmac_f32 v23, v205, v124
	s_delay_alu instid0(VALU_DEP_2) | instskip(SKIP_3) | instid1(VALU_DEP_3)
	v_dual_fma_f32 v21, v216, v136, -v21 :: v_dual_add_f32 v9, v9, v11
	s_wait_loadcnt_dscnt 0x702
	v_dual_fma_f32 v15, v210, v130, -v15 :: v_dual_mul_f32 v43, v224, v145
	v_mul_f32_e32 v45, v226, v147
	v_dual_mul_f32 v19, v215, v135 :: v_dual_add_f32 v9, v9, v13
	v_dual_fmac_f32 v41, v223, v142 :: v_dual_mul_f32 v13, v223, v143
	s_delay_alu instid0(VALU_DEP_2) | instskip(SKIP_1) | instid1(VALU_DEP_4)
	v_dual_add_f32 v5, v5, v23 :: v_dual_fma_f32 v19, v214, v134, -v19
	v_dual_mul_f32 v23, v219, v139 :: v_dual_fma_f32 v17, v212, v132, -v17
	v_add_f32_e32 v9, v9, v15
	v_dual_mul_f32 v15, v225, v145 :: v_dual_fmac_f32 v43, v225, v144
	v_dual_mul_f32 v35, v216, v137 :: v_dual_mul_f32 v37, v218, v139
	s_wait_loadcnt_dscnt 0x601
	v_dual_mul_f32 v47, v228, v149 :: v_dual_mul_f32 v49, v230, v151
	s_delay_alu instid0(VALU_DEP_3) | instskip(SKIP_2) | instid1(VALU_DEP_3)
	v_dual_fma_f32 v15, v224, v144, -v15 :: v_dual_add_f32 v9, v9, v17
	v_dual_fmac_f32 v27, v209, v128 :: v_dual_mul_f32 v17, v227, v147
	v_dual_add_f32 v5, v5, v25 :: v_dual_fmac_f32 v37, v219, v138
	v_dual_add_f32 v9, v9, v19 :: v_dual_fmac_f32 v49, v231, v150
	v_dual_mul_f32 v11, v221, v141 :: v_dual_fma_f32 v23, v218, v138, -v23
	v_dual_fmac_f32 v31, v213, v132 :: v_dual_fma_f32 v13, v222, v142, -v13
	s_wait_loadcnt 0x3
	s_delay_alu instid0(VALU_DEP_3) | instskip(SKIP_2) | instid1(VALU_DEP_3)
	v_dual_add_f32 v9, v9, v21 :: v_dual_mov_b32 v114, v163
	v_mul_f32_e32 v21, v231, v151
	v_dual_add_f32 v5, v5, v27 :: v_dual_fma_f32 v11, v220, v140, -v11
	v_add_f32_e32 v9, v9, v23
	v_pk_mul_f32 v[112:113], v[176:177], v[160:161] op_sel:[1,1] op_sel_hi:[0,1]
	v_dual_fmac_f32 v35, v217, v136 :: v_dual_mov_b32 v110, v159
	s_delay_alu instid0(VALU_DEP_4) | instskip(NEXT) | instid1(VALU_DEP_4)
	v_add_f32_e32 v5, v5, v29
	v_add_f32_e32 v9, v9, v11
	s_wait_dscnt 0x0
	v_dual_mul_f32 v11, v235, v155 :: v_dual_mul_f32 v19, v229, v149
	v_fmac_f32_e32 v47, v229, v148
	v_dual_add_f32 v5, v5, v31 :: v_dual_fmac_f32 v45, v227, v146
	v_pk_fma_f32 v[122:123], v[176:177], v[160:161], v[112:113] op_sel_hi:[1,0,1]
	v_add_f32_e32 v9, v9, v13
	v_pk_fma_f32 v[112:113], v[176:177], v[160:161], v[112:113] neg_lo:[0,0,1] neg_hi:[0,0,1]
	s_delay_alu instid0(VALU_DEP_4) | instskip(SKIP_3) | instid1(VALU_DEP_4)
	v_add_f32_e32 v5, v5, v33
	v_dual_mul_f32 v247, v232, v153 :: v_dual_mul_f32 v249, v234, v155
	v_dual_fma_f32 v13, v226, v146, -v17 :: v_dual_mov_b32 v113, v123
	v_dual_add_f32 v9, v9, v15 :: v_dual_fma_f32 v15, v228, v148, -v19
	v_add_f32_e32 v5, v5, v35
	s_delay_alu instid0(VALU_DEP_4) | instskip(SKIP_3) | instid1(VALU_DEP_3)
	v_dual_fmac_f32 v39, v221, v140 :: v_dual_fmac_f32 v249, v235, v154
	v_dual_mul_f32 v23, v233, v153 :: v_dual_fmac_f32 v247, v233, v152
	v_pk_mul_f32 v[108:109], v[172:173], v[156:157] op_sel:[1,1] op_sel_hi:[0,1]
	v_dual_add_f32 v9, v9, v13 :: v_dual_fma_f32 v13, v230, v150, -v21
	v_dual_add_f32 v5, v5, v37 :: v_dual_fma_f32 v246, v232, v152, -v23
	s_delay_alu instid0(VALU_DEP_3) | instskip(SKIP_2) | instid1(VALU_DEP_4)
	v_pk_fma_f32 v[118:119], v[172:173], v[156:157], v[108:109] op_sel_hi:[1,0,1]
	v_pk_mul_f32 v[110:111], v[238:239], v[110:111] op_sel_hi:[1,0]
	v_pk_fma_f32 v[108:109], v[172:173], v[156:157], v[108:109] neg_lo:[0,0,1] neg_hi:[0,0,1]
	v_add_f32_e32 v5, v5, v39
	v_pk_mul_f32 v[114:115], v[240:241], v[114:115] op_sel_hi:[1,0]
	v_mov_b32_e32 v109, v119
	v_pk_fma_f32 v[118:119], v[174:175], v[158:159], v[110:111] op_sel_hi:[1,0,1]
	v_pk_fma_f32 v[110:111], v[174:175], v[158:159], v[110:111] neg_lo:[0,0,1] neg_hi:[0,0,1]
	v_add_f32_e32 v5, v5, v41
	v_dual_add_f32 v9, v9, v15 :: v_dual_fma_f32 v248, v234, v154, -v11
	s_delay_alu instid0(VALU_DEP_4) | instskip(SKIP_1) | instid1(VALU_DEP_4)
	v_mov_b32_e32 v111, v119
	v_pk_fma_f32 v[118:119], v[178:179], v[162:163], v[114:115] op_sel_hi:[1,0,1]
	v_add_f32_e32 v5, v5, v43
	v_pk_fma_f32 v[114:115], v[178:179], v[162:163], v[114:115] neg_lo:[0,0,1] neg_hi:[0,0,1]
	v_add_f32_e32 v116, v9, v13
	s_wait_loadcnt 0x2
	v_pk_mul_f32 v[120:121], v[180:181], v[164:165] op_sel:[1,1] op_sel_hi:[0,1]
	v_dual_mov_b32 v115, v119 :: v_dual_add_f32 v5, v5, v45
	s_delay_alu instid0(VALU_DEP_2) | instskip(NEXT) | instid1(VALU_DEP_2)
	v_pk_fma_f32 v[118:119], v[180:181], v[164:165], v[120:121] neg_lo:[0,0,1] neg_hi:[0,0,1]
	v_add_f32_e32 v5, v5, v47
	s_delay_alu instid0(VALU_DEP_1) | instskip(NEXT) | instid1(VALU_DEP_1)
	v_add_f32_e32 v117, v5, v49
	v_pk_add_f32 v[116:117], v[116:117], v[246:247]
	s_delay_alu instid0(VALU_DEP_1) | instskip(NEXT) | instid1(VALU_DEP_1)
	v_pk_add_f32 v[116:117], v[116:117], v[248:249]
	v_pk_add_f32 v[108:109], v[116:117], v[108:109]
	v_mov_b32_e32 v116, v167
	s_delay_alu instid0(VALU_DEP_2) | instskip(SKIP_1) | instid1(VALU_DEP_3)
	v_pk_add_f32 v[108:109], v[108:109], v[110:111]
	v_pk_fma_f32 v[110:111], v[180:181], v[164:165], v[120:121] op_sel_hi:[1,0,1]
	v_pk_mul_f32 v[116:117], v[242:243], v[116:117] op_sel_hi:[1,0]
	s_delay_alu instid0(VALU_DEP_3) | instskip(NEXT) | instid1(VALU_DEP_3)
	v_pk_add_f32 v[108:109], v[108:109], v[112:113]
	v_mov_b32_e32 v119, v111
	s_delay_alu instid0(VALU_DEP_3)
	v_pk_fma_f32 v[110:111], v[182:183], v[166:167], v[116:117] op_sel_hi:[1,0,1]
	s_wait_loadcnt 0x1
	v_pk_mul_f32 v[112:113], v[184:185], v[168:169] op_sel:[1,1] op_sel_hi:[0,1]
	v_mov_b32_e32 v110, v171
	v_pk_add_f32 v[108:109], v[108:109], v[114:115]
	v_pk_fma_f32 v[116:117], v[182:183], v[166:167], v[116:117] neg_lo:[0,0,1] neg_hi:[0,0,1]
	v_mov_b32_e32 v117, v111
	v_pk_fma_f32 v[114:115], v[184:185], v[168:169], v[112:113] op_sel_hi:[1,0,1]
	v_pk_mul_f32 v[110:111], v[244:245], v[110:111] op_sel_hi:[1,0]
	v_pk_add_f32 v[108:109], v[108:109], v[118:119]
	v_pk_fma_f32 v[112:113], v[184:185], v[168:169], v[112:113] neg_lo:[0,0,1] neg_hi:[0,0,1]
	s_delay_alu instid0(VALU_DEP_4) | instskip(NEXT) | instid1(VALU_DEP_4)
	v_mov_b32_e32 v113, v115
	v_pk_fma_f32 v[114:115], v[186:187], v[170:171], v[110:111] op_sel_hi:[1,0,1]
	s_delay_alu instid0(VALU_DEP_4) | instskip(SKIP_1) | instid1(VALU_DEP_3)
	v_pk_add_f32 v[108:109], v[108:109], v[116:117]
	v_pk_fma_f32 v[110:111], v[186:187], v[170:171], v[110:111] neg_lo:[0,0,1] neg_hi:[0,0,1]
	v_mov_b32_e32 v111, v115
	s_delay_alu instid0(VALU_DEP_3) | instskip(NEXT) | instid1(VALU_DEP_1)
	v_pk_add_f32 v[108:109], v[108:109], v[112:113]
	v_pk_add_f32 v[108:109], v[108:109], v[110:111]
	s_wait_loadcnt 0x0
	s_delay_alu instid0(VALU_DEP_1)
	v_pk_add_f32 v[108:109], v[236:237], v[108:109] neg_lo:[0,1] neg_hi:[0,1]
	scratch_store_b64 off, v[108:109], off offset:160
	s_wait_xcnt 0x0
	v_cmpx_lt_u32_e32 19, v0
	s_cbranch_execz .LBB52_293
; %bb.292:
	scratch_load_b64 v[108:109], off, off offset:152
	v_mov_b64_e32 v[110:111], 0
	scratch_store_b64 off, v[110:111], off offset:152
	s_wait_loadcnt 0x0
	ds_store_b64 v1, v[108:109]
.LBB52_293:
	s_wait_xcnt 0x0
	s_or_b32 exec_lo, exec_lo, s0
	s_wait_storecnt_dscnt 0x0
	s_barrier_signal -1
	s_barrier_wait -1
	s_clause 0x11
	scratch_load_b128 v[108:111], off, off offset:160
	scratch_load_b128 v[112:115], off, off offset:176
	;; [unrolled: 1-line block ×16, first 2 shown]
	scratch_load_b64 v[236:237], off, off offset:416
	scratch_load_b64 v[238:239], off, off offset:152
	v_mov_b32_e32 v5, 0
	ds_load_b128 v[172:175], v5 offset:784
	ds_load_b128 v[176:179], v5 offset:800
	;; [unrolled: 1-line block ×16, first 2 shown]
	ds_load_b64 v[240:241], v5 offset:848
	s_mov_b32 s0, exec_lo
	s_wait_dscnt 0x10
	v_dual_mov_b32 v242, v175 :: v_dual_mov_b32 v243, v174
	s_wait_dscnt 0xd
	v_dual_mov_b32 v244, v179 :: v_dual_mov_b32 v249, v186
	v_dual_mov_b32 v245, v178 :: v_dual_mov_b32 v246, v183
	;; [unrolled: 1-line block ×3, first 2 shown]
	s_wait_loadcnt_dscnt 0x110c
	v_dual_mul_f32 v9, v188, v109 :: v_dual_mul_f32 v55, v189, v109
	v_dual_mul_f32 v57, v191, v111 :: v_dual_mul_f32 v11, v190, v111
	s_wait_loadcnt_dscnt 0x100b
	v_mul_f32_e32 v13, v192, v113
	s_wait_loadcnt_dscnt 0xe09
	v_dual_mul_f32 v67, v201, v121 :: v_dual_fma_f32 v55, v188, v108, -v55
	v_dual_fmac_f32 v9, v189, v108 :: v_dual_mul_f32 v69, v203, v123
	v_dual_mul_f32 v59, v193, v113 :: v_dual_mul_f32 v61, v195, v115
	v_dual_fmac_f32 v11, v191, v110 :: v_dual_fma_f32 v57, v190, v110, -v57
	s_delay_alu instid0(VALU_DEP_3) | instskip(SKIP_4) | instid1(VALU_DEP_3)
	v_dual_add_f32 v9, 0, v9 :: v_dual_add_f32 v55, 0, v55
	v_dual_mul_f32 v15, v194, v115 :: v_dual_mul_f32 v17, v196, v117
	s_wait_loadcnt_dscnt 0xd08
	v_dual_mul_f32 v71, v205, v125 :: v_dual_fma_f32 v59, v192, v112, -v59
	v_fmac_f32_e32 v13, v193, v112
	v_dual_add_f32 v9, v9, v11 :: v_dual_fmac_f32 v15, v195, v114
	v_add_f32_e32 v11, v55, v57
	v_dual_mul_f32 v63, v197, v117 :: v_dual_mul_f32 v65, v199, v119
	v_dual_mul_f32 v55, v207, v127 :: v_dual_fma_f32 v57, v194, v114, -v61
	s_delay_alu instid0(VALU_DEP_3) | instskip(SKIP_3) | instid1(VALU_DEP_3)
	v_dual_add_f32 v9, v9, v13 :: v_dual_add_f32 v11, v11, v59
	v_dual_mul_f32 v19, v198, v119 :: v_dual_mul_f32 v21, v200, v121
	s_wait_loadcnt_dscnt 0xc07
	v_dual_mul_f32 v13, v209, v129 :: v_dual_fma_f32 v59, v196, v116, -v63
	v_dual_fmac_f32 v17, v197, v116 :: v_dual_add_f32 v11, v11, v57
	s_delay_alu instid0(VALU_DEP_3) | instskip(SKIP_1) | instid1(VALU_DEP_2)
	v_dual_add_f32 v9, v9, v15 :: v_dual_fmac_f32 v19, v199, v118
	v_dual_mul_f32 v15, v211, v131 :: v_dual_fma_f32 v57, v198, v118, -v65
	v_dual_add_f32 v11, v11, v59 :: v_dual_add_f32 v9, v9, v17
	v_dual_mul_f32 v23, v202, v123 :: v_dual_mul_f32 v25, v204, v125
	s_wait_loadcnt_dscnt 0xb06
	v_dual_mul_f32 v17, v213, v133 :: v_dual_fma_f32 v59, v200, v120, -v67
	s_delay_alu instid0(VALU_DEP_3) | instskip(NEXT) | instid1(VALU_DEP_3)
	v_dual_fmac_f32 v21, v201, v120 :: v_dual_add_f32 v11, v11, v57
	v_dual_add_f32 v9, v9, v19 :: v_dual_fmac_f32 v23, v203, v122
	v_dual_mul_f32 v19, v215, v135 :: v_dual_fma_f32 v57, v202, v122, -v69
	s_delay_alu instid0(VALU_DEP_2) | instskip(SKIP_3) | instid1(VALU_DEP_3)
	v_dual_add_f32 v11, v11, v59 :: v_dual_add_f32 v9, v9, v21
	v_dual_mul_f32 v27, v206, v127 :: v_dual_mul_f32 v29, v208, v129
	s_wait_loadcnt_dscnt 0xa05
	v_dual_mul_f32 v21, v217, v137 :: v_dual_fma_f32 v59, v204, v124, -v71
	v_dual_fmac_f32 v25, v205, v124 :: v_dual_add_f32 v11, v11, v57
	s_delay_alu instid0(VALU_DEP_3) | instskip(SKIP_1) | instid1(VALU_DEP_2)
	v_dual_add_f32 v9, v9, v23 :: v_dual_fmac_f32 v27, v207, v126
	v_dual_mul_f32 v23, v219, v139 :: v_dual_fma_f32 v55, v206, v126, -v55
	v_dual_add_f32 v11, v11, v59 :: v_dual_add_f32 v9, v9, v25
	v_dual_mul_f32 v31, v210, v131 :: v_dual_mul_f32 v33, v212, v133
	s_wait_loadcnt_dscnt 0x904
	v_dual_mul_f32 v25, v221, v141 :: v_dual_fma_f32 v13, v208, v128, -v13
	s_delay_alu instid0(VALU_DEP_3) | instskip(NEXT) | instid1(VALU_DEP_3)
	v_dual_fmac_f32 v29, v209, v128 :: v_dual_add_f32 v11, v11, v55
	v_dual_add_f32 v9, v9, v27 :: v_dual_fmac_f32 v31, v211, v130
	v_dual_mul_f32 v27, v223, v143 :: v_dual_fma_f32 v15, v210, v130, -v15
	s_delay_alu instid0(VALU_DEP_3) | instskip(NEXT) | instid1(VALU_DEP_3)
	v_dual_add_f32 v11, v11, v13 :: v_dual_fmac_f32 v33, v213, v132
	v_dual_add_f32 v9, v9, v29 :: v_dual_fma_f32 v17, v212, v132, -v17
	v_dual_mul_f32 v35, v214, v135 :: v_dual_mul_f32 v37, v216, v137
	s_wait_loadcnt_dscnt 0x803
	s_delay_alu instid0(VALU_DEP_3) | instskip(NEXT) | instid1(VALU_DEP_2)
	v_dual_mul_f32 v13, v225, v145 :: v_dual_add_f32 v11, v11, v15
	v_dual_add_f32 v9, v9, v31 :: v_dual_fmac_f32 v35, v215, v134
	v_dual_mul_f32 v15, v227, v147 :: v_dual_fma_f32 v19, v214, v134, -v19
	s_delay_alu instid0(VALU_DEP_3) | instskip(NEXT) | instid1(VALU_DEP_3)
	v_dual_add_f32 v11, v11, v17 :: v_dual_fmac_f32 v37, v217, v136
	v_dual_add_f32 v9, v9, v33 :: v_dual_fma_f32 v21, v216, v136, -v21
	v_dual_mul_f32 v39, v218, v139 :: v_dual_mul_f32 v41, v220, v141
	s_wait_loadcnt_dscnt 0x702
	s_delay_alu instid0(VALU_DEP_3) | instskip(NEXT) | instid1(VALU_DEP_2)
	v_dual_mul_f32 v17, v229, v149 :: v_dual_add_f32 v11, v11, v19
	;; [unrolled: 9-line block ×3, first 2 shown]
	v_dual_add_f32 v9, v9, v39 :: v_dual_fmac_f32 v43, v223, v142
	v_dual_mul_f32 v23, v235, v155 :: v_dual_fma_f32 v27, v222, v142, -v27
	s_delay_alu instid0(VALU_DEP_3) | instskip(NEXT) | instid1(VALU_DEP_3)
	v_dual_add_f32 v11, v11, v25 :: v_dual_fmac_f32 v45, v225, v144
	v_dual_add_f32 v9, v9, v41 :: v_dual_fma_f32 v13, v224, v144, -v13
	v_dual_mul_f32 v47, v226, v147 :: v_dual_mul_f32 v49, v228, v149
	s_wait_loadcnt 0x5
	s_delay_alu instid0(VALU_DEP_3) | instskip(NEXT) | instid1(VALU_DEP_3)
	v_dual_mul_f32 v25, v173, v157 :: v_dual_add_f32 v11, v11, v27
	v_dual_add_f32 v9, v9, v43 :: v_dual_mov_b32 v108, v159
	s_delay_alu instid0(VALU_DEP_3) | instskip(NEXT) | instid1(VALU_DEP_3)
	v_fmac_f32_e32 v47, v227, v146
	v_dual_fma_f32 v15, v226, v146, -v15 :: v_dual_add_f32 v11, v11, v13
	s_delay_alu instid0(VALU_DEP_3) | instskip(SKIP_1) | instid1(VALU_DEP_3)
	v_dual_add_f32 v9, v9, v45 :: v_dual_mul_f32 v51, v230, v151
	v_dual_mul_f32 v53, v232, v153 :: v_dual_fmac_f32 v49, v229, v148
	v_dual_add_f32 v11, v11, v15 :: v_dual_fma_f32 v13, v228, v148, -v17
	s_wait_loadcnt 0x4
	s_delay_alu instid0(VALU_DEP_3) | instskip(SKIP_3) | instid1(VALU_DEP_4)
	v_dual_add_f32 v9, v9, v47 :: v_dual_mov_b32 v112, v163
	v_fma_f32 v15, v230, v150, -v19
	v_fmac_f32_e32 v51, v231, v150
	v_dual_add_f32 v11, v11, v13 :: v_dual_fmac_f32 v53, v233, v152
	v_dual_add_f32 v9, v9, v49 :: v_dual_mul_f32 v251, v234, v155
	v_mul_f32_e32 v253, v172, v157
	s_delay_alu instid0(VALU_DEP_3) | instskip(NEXT) | instid1(VALU_DEP_3)
	v_dual_fma_f32 v13, v232, v152, -v21 :: v_dual_add_f32 v11, v11, v15
	v_dual_fma_f32 v250, v234, v154, -v23 :: v_dual_add_f32 v9, v9, v51
	s_delay_alu instid0(VALU_DEP_4) | instskip(SKIP_1) | instid1(VALU_DEP_4)
	v_fmac_f32_e32 v251, v235, v154
	v_pk_mul_f32 v[108:109], v[242:243], v[108:109] op_sel_hi:[1,0]
	v_dual_add_f32 v116, v11, v13 :: v_dual_fmac_f32 v253, v173, v156
	s_delay_alu instid0(VALU_DEP_4)
	v_add_f32_e32 v117, v9, v53
	v_pk_mul_f32 v[110:111], v[176:177], v[160:161] op_sel:[1,1] op_sel_hi:[0,1]
	s_wait_loadcnt 0x3
	v_dual_mov_b32 v118, v167 :: v_dual_fma_f32 v252, v172, v156, -v25
	v_pk_fma_f32 v[120:121], v[174:175], v[158:159], v[108:109] op_sel_hi:[1,0,1]
	v_pk_add_f32 v[116:117], v[116:117], v[250:251]
	v_pk_fma_f32 v[108:109], v[174:175], v[158:159], v[108:109] neg_lo:[0,0,1] neg_hi:[0,0,1]
	v_pk_fma_f32 v[122:123], v[176:177], v[160:161], v[110:111] op_sel_hi:[1,0,1]
	v_pk_mul_f32 v[112:113], v[244:245], v[112:113] op_sel_hi:[1,0]
	v_mov_b32_e32 v109, v121
	v_pk_add_f32 v[116:117], v[116:117], v[252:253]
	v_pk_fma_f32 v[110:111], v[176:177], v[160:161], v[110:111] neg_lo:[0,0,1] neg_hi:[0,0,1]
	v_pk_mul_f32 v[114:115], v[180:181], v[164:165] op_sel:[1,1] op_sel_hi:[0,1]
	v_mov_b32_e32 v111, v123
	v_pk_fma_f32 v[122:123], v[178:179], v[162:163], v[112:113] op_sel_hi:[1,0,1]
	v_pk_add_f32 v[108:109], v[116:117], v[108:109]
	v_pk_fma_f32 v[112:113], v[178:179], v[162:163], v[112:113] neg_lo:[0,0,1] neg_hi:[0,0,1]
	v_pk_fma_f32 v[116:117], v[180:181], v[164:165], v[114:115] op_sel_hi:[1,0,1]
	v_pk_mul_f32 v[118:119], v[246:247], v[118:119] op_sel_hi:[1,0]
	v_mov_b32_e32 v113, v123
	v_pk_add_f32 v[108:109], v[108:109], v[110:111]
	v_pk_fma_f32 v[114:115], v[180:181], v[164:165], v[114:115] neg_lo:[0,0,1] neg_hi:[0,0,1]
	s_wait_loadcnt 0x2
	v_pk_mul_f32 v[120:121], v[184:185], v[168:169] op_sel:[1,1] op_sel_hi:[0,1]
	v_dual_mov_b32 v110, v171 :: v_dual_mov_b32 v115, v117
	v_pk_fma_f32 v[116:117], v[182:183], v[166:167], v[118:119] op_sel_hi:[1,0,1]
	v_pk_add_f32 v[108:109], v[108:109], v[112:113]
	v_pk_fma_f32 v[118:119], v[182:183], v[166:167], v[118:119] neg_lo:[0,0,1] neg_hi:[0,0,1]
	v_pk_fma_f32 v[112:113], v[184:185], v[168:169], v[120:121] op_sel_hi:[1,0,1]
	v_pk_mul_f32 v[110:111], v[248:249], v[110:111] op_sel_hi:[1,0]
	v_mov_b32_e32 v119, v117
	v_pk_add_f32 v[108:109], v[108:109], v[114:115]
	v_pk_fma_f32 v[114:115], v[184:185], v[168:169], v[120:121] neg_lo:[0,0,1] neg_hi:[0,0,1]
	v_mov_b32_e32 v115, v113
	v_pk_fma_f32 v[112:113], v[186:187], v[170:171], v[110:111] op_sel_hi:[1,0,1]
	s_wait_loadcnt_dscnt 0x100
	v_pk_mul_f32 v[116:117], v[240:241], v[236:237] op_sel:[1,1] op_sel_hi:[0,1]
	v_pk_add_f32 v[108:109], v[108:109], v[118:119]
	v_pk_fma_f32 v[110:111], v[186:187], v[170:171], v[110:111] neg_lo:[0,0,1] neg_hi:[0,0,1]
	v_mov_b32_e32 v111, v113
	s_delay_alu instid0(VALU_DEP_4) | instskip(NEXT) | instid1(VALU_DEP_4)
	v_pk_fma_f32 v[112:113], v[240:241], v[236:237], v[116:117] op_sel_hi:[1,0,1]
	v_pk_add_f32 v[108:109], v[108:109], v[114:115]
	v_pk_fma_f32 v[114:115], v[240:241], v[236:237], v[116:117] neg_lo:[0,0,1] neg_hi:[0,0,1]
	s_delay_alu instid0(VALU_DEP_3) | instskip(NEXT) | instid1(VALU_DEP_3)
	v_mov_b32_e32 v115, v113
	v_pk_add_f32 v[108:109], v[108:109], v[110:111]
	s_delay_alu instid0(VALU_DEP_1) | instskip(SKIP_1) | instid1(VALU_DEP_1)
	v_pk_add_f32 v[108:109], v[108:109], v[114:115]
	s_wait_loadcnt 0x0
	v_pk_add_f32 v[108:109], v[238:239], v[108:109] neg_lo:[0,1] neg_hi:[0,1]
	scratch_store_b64 off, v[108:109], off offset:152
	s_wait_xcnt 0x0
	v_cmpx_lt_u32_e32 18, v0
	s_cbranch_execz .LBB52_295
; %bb.294:
	scratch_load_b64 v[108:109], off, off offset:144
	v_mov_b64_e32 v[110:111], 0
	scratch_store_b64 off, v[110:111], off offset:144
	s_wait_loadcnt 0x0
	ds_store_b64 v1, v[108:109]
.LBB52_295:
	s_wait_xcnt 0x0
	s_or_b32 exec_lo, exec_lo, s0
	s_wait_storecnt_dscnt 0x0
	s_barrier_signal -1
	s_barrier_wait -1
	s_clause 0x11
	scratch_load_b128 v[108:111], off, off offset:152
	scratch_load_b128 v[112:115], off, off offset:168
	;; [unrolled: 1-line block ×17, first 2 shown]
	scratch_load_b64 v[244:245], off, off offset:144
	ds_load_2addr_b64 v[176:179], v5 offset0:99 offset1:100
	ds_load_2addr_b64 v[180:183], v5 offset0:101 offset1:102
	;; [unrolled: 1-line block ×17, first 2 shown]
	s_mov_b32 s0, exec_lo
	s_wait_dscnt 0x10
	v_dual_mov_b32 v246, v179 :: v_dual_mov_b32 v247, v178
	s_wait_dscnt 0xf
	v_dual_mov_b32 v248, v183 :: v_dual_mov_b32 v249, v182
	;; [unrolled: 2-line block ×4, first 2 shown]
	s_wait_loadcnt_dscnt 0x110b
	v_dual_mul_f32 v5, v196, v109 :: v_dual_mul_f32 v9, v198, v111
	s_wait_loadcnt_dscnt 0x100a
	v_dual_mul_f32 v55, v197, v109 :: v_dual_mul_f32 v61, v203, v115
	s_wait_loadcnt_dscnt 0xf09
	v_mul_f32_e32 v63, v205, v117
	v_dual_mul_f32 v11, v200, v113 :: v_dual_mul_f32 v13, v202, v115
	s_delay_alu instid0(VALU_DEP_3)
	v_dual_fma_f32 v55, v196, v108, -v55 :: v_dual_mul_f32 v57, v199, v111
	v_fmac_f32_e32 v5, v197, v108
	v_dual_mul_f32 v59, v201, v113 :: v_dual_mul_f32 v65, v207, v119
	s_wait_loadcnt 0x5
	v_mul_f32_e32 v255, v192, v157
	s_wait_dscnt 0x8
	v_dual_mul_f32 v67, v209, v121 :: v_dual_fmac_f32 v9, v199, v110
	v_dual_add_f32 v55, 0, v55 :: v_dual_fma_f32 v57, v198, v110, -v57
	v_dual_add_f32 v5, 0, v5 :: v_dual_mul_f32 v69, v211, v123
	v_fmac_f32_e32 v11, v201, v112
	v_fma_f32 v59, v200, v112, -v59
	v_dual_mul_f32 v15, v204, v117 :: v_dual_mul_f32 v17, v206, v119
	s_delay_alu instid0(VALU_DEP_4) | instskip(SKIP_3) | instid1(VALU_DEP_3)
	v_add_f32_e32 v5, v5, v9
	v_dual_add_f32 v9, v55, v57 :: v_dual_fma_f32 v57, v202, v114, -v61
	s_wait_dscnt 0x7
	v_dual_mul_f32 v55, v213, v125 :: v_dual_fmac_f32 v13, v203, v114
	v_add_f32_e32 v5, v5, v11
	s_delay_alu instid0(VALU_DEP_3) | instskip(SKIP_1) | instid1(VALU_DEP_3)
	v_dual_add_f32 v9, v9, v59 :: v_dual_fmac_f32 v17, v207, v118
	v_dual_mul_f32 v11, v215, v127 :: v_dual_fmac_f32 v15, v205, v116
	v_dual_fma_f32 v59, v204, v116, -v63 :: v_dual_add_f32 v5, v5, v13
	s_delay_alu instid0(VALU_DEP_3) | instskip(SKIP_1) | instid1(VALU_DEP_3)
	v_add_f32_e32 v9, v9, v57
	v_dual_mul_f32 v19, v208, v121 :: v_dual_mul_f32 v21, v210, v123
	v_dual_fma_f32 v57, v206, v118, -v65 :: v_dual_add_f32 v5, v5, v15
	s_wait_dscnt 0x6
	v_mul_f32_e32 v15, v219, v131
	v_add_f32_e32 v9, v9, v59
	v_dual_mul_f32 v13, v217, v129 :: v_dual_fma_f32 v59, v208, v120, -v67
	v_dual_mul_f32 v27, v216, v129 :: v_dual_mul_f32 v29, v218, v131
	s_delay_alu instid0(VALU_DEP_3) | instskip(SKIP_2) | instid1(VALU_DEP_3)
	v_dual_add_f32 v9, v9, v57 :: v_dual_fma_f32 v55, v212, v124, -v55
	v_dual_fma_f32 v57, v210, v122, -v69 :: v_dual_mul_f32 v23, v212, v125
	v_mul_f32_e32 v25, v214, v127
	v_dual_add_f32 v9, v9, v59 :: v_dual_fmac_f32 v29, v219, v130
	v_dual_fmac_f32 v19, v209, v120 :: v_dual_fmac_f32 v21, v211, v122
	v_add_f32_e32 v5, v5, v17
	s_delay_alu instid0(VALU_DEP_3) | instskip(SKIP_2) | instid1(VALU_DEP_3)
	v_dual_add_f32 v9, v9, v57 :: v_dual_fma_f32 v15, v218, v130, -v15
	s_wait_dscnt 0x5
	v_dual_mul_f32 v17, v221, v133 :: v_dual_fma_f32 v11, v214, v126, -v11
	v_dual_fmac_f32 v25, v215, v126 :: v_dual_add_f32 v5, v5, v19
	v_dual_fma_f32 v13, v216, v128, -v13 :: v_dual_mul_f32 v19, v223, v135
	s_wait_dscnt 0x4
	v_dual_add_f32 v9, v9, v55 :: v_dual_mul_f32 v35, v224, v137
	v_dual_mul_f32 v37, v226, v139 :: v_dual_fmac_f32 v23, v213, v124
	s_delay_alu instid0(VALU_DEP_2) | instskip(NEXT) | instid1(VALU_DEP_2)
	v_dual_fma_f32 v19, v222, v134, -v19 :: v_dual_add_f32 v9, v9, v11
	v_dual_add_f32 v5, v5, v21 :: v_dual_fmac_f32 v37, v227, v138
	v_dual_mul_f32 v21, v225, v137 :: v_dual_fma_f32 v17, v220, v132, -v17
	s_delay_alu instid0(VALU_DEP_3) | instskip(SKIP_3) | instid1(VALU_DEP_3)
	v_add_f32_e32 v9, v9, v13
	v_dual_mul_f32 v31, v220, v133 :: v_dual_mul_f32 v33, v222, v135
	s_wait_dscnt 0x3
	v_dual_fmac_f32 v27, v217, v128 :: v_dual_mul_f32 v13, v231, v143
	v_add_f32_e32 v9, v9, v15
	s_wait_dscnt 0x2
	v_mul_f32_e32 v15, v233, v145
	v_dual_add_f32 v5, v5, v23 :: v_dual_fmac_f32 v33, v223, v134
	s_wait_dscnt 0x1
	v_dual_mul_f32 v47, v236, v149 :: v_dual_mul_f32 v49, v238, v151
	s_delay_alu instid0(VALU_DEP_3) | instskip(SKIP_3) | instid1(VALU_DEP_3)
	v_dual_fma_f32 v15, v232, v144, -v15 :: v_dual_add_f32 v9, v9, v17
	v_mul_f32_e32 v17, v235, v147
	v_dual_mul_f32 v23, v227, v139 :: v_dual_add_f32 v5, v5, v25
	v_dual_fma_f32 v21, v224, v136, -v21 :: v_dual_mul_f32 v11, v229, v141
	v_dual_fma_f32 v17, v234, v146, -v17 :: v_dual_add_f32 v9, v9, v19
	v_fmac_f32_e32 v49, v239, v150
	s_delay_alu instid0(VALU_DEP_4) | instskip(NEXT) | instid1(VALU_DEP_3)
	v_dual_fma_f32 v23, v226, v138, -v23 :: v_dual_add_f32 v5, v5, v27
	v_dual_fma_f32 v11, v228, v140, -v11 :: v_dual_add_f32 v9, v9, v21
	s_wait_loadcnt 0x4
	v_dual_mov_b32 v110, v163 :: v_dual_mul_f32 v39, v228, v141
	v_dual_mul_f32 v41, v230, v143 :: v_dual_fmac_f32 v31, v221, v132
	v_dual_add_f32 v5, v5, v29 :: v_dual_fma_f32 v13, v230, v142, -v13
	v_dual_add_f32 v9, v9, v23 :: v_dual_mul_f32 v43, v232, v145
	s_delay_alu instid0(VALU_DEP_3) | instskip(NEXT) | instid1(VALU_DEP_3)
	v_dual_mul_f32 v45, v234, v147 :: v_dual_fmac_f32 v41, v231, v142
	v_add_f32_e32 v5, v5, v31
	s_delay_alu instid0(VALU_DEP_3) | instskip(SKIP_2) | instid1(VALU_DEP_4)
	v_add_f32_e32 v9, v9, v11
	v_fmac_f32_e32 v35, v225, v136
	v_dual_mul_f32 v19, v237, v149 :: v_dual_fmac_f32 v47, v237, v148
	v_dual_fmac_f32 v45, v235, v146 :: v_dual_add_f32 v5, v5, v33
	s_delay_alu instid0(VALU_DEP_4) | instskip(SKIP_3) | instid1(VALU_DEP_3)
	v_add_f32_e32 v9, v9, v13
	s_wait_dscnt 0x0
	v_dual_mul_f32 v51, v240, v153 :: v_dual_mul_f32 v53, v242, v155
	v_dual_mul_f32 v21, v239, v151 :: v_dual_fma_f32 v19, v236, v148, -v19
	v_add_f32_e32 v9, v9, v15
	v_mul_f32_e32 v15, v195, v159
	v_add_f32_e32 v5, v5, v35
	v_dual_fmac_f32 v39, v229, v140 :: v_dual_fmac_f32 v53, v243, v154
	v_dual_mul_f32 v23, v241, v153 :: v_dual_fmac_f32 v51, v241, v152
	v_add_f32_e32 v9, v9, v17
	v_pk_mul_f32 v[108:109], v[176:177], v[160:161] op_sel:[1,1] op_sel_hi:[0,1]
	v_dual_fma_f32 v17, v238, v150, -v21 :: v_dual_add_f32 v5, v5, v37
	v_pk_mul_f32 v[110:111], v[246:247], v[110:111] op_sel_hi:[1,0]
	s_delay_alu instid0(VALU_DEP_4) | instskip(NEXT) | instid1(VALU_DEP_4)
	v_dual_add_f32 v9, v9, v19 :: v_dual_fma_f32 v19, v240, v152, -v23
	v_pk_fma_f32 v[118:119], v[176:177], v[160:161], v[108:109] op_sel_hi:[1,0,1]
	s_wait_loadcnt 0x3
	v_dual_add_f32 v5, v5, v39 :: v_dual_mov_b32 v114, v167
	v_pk_fma_f32 v[108:109], v[176:177], v[160:161], v[108:109] neg_lo:[0,0,1] neg_hi:[0,0,1]
	s_delay_alu instid0(VALU_DEP_3)
	v_dual_fmac_f32 v43, v233, v144 :: v_dual_mov_b32 v109, v119
	v_pk_mul_f32 v[112:113], v[180:181], v[164:165] op_sel:[1,1] op_sel_hi:[0,1]
	v_pk_fma_f32 v[118:119], v[178:179], v[162:163], v[110:111] op_sel_hi:[1,0,1]
	v_add_f32_e32 v5, v5, v41
	v_pk_fma_f32 v[110:111], v[178:179], v[162:163], v[110:111] neg_lo:[0,0,1] neg_hi:[0,0,1]
	v_mul_f32_e32 v11, v243, v155
	v_pk_fma_f32 v[122:123], v[180:181], v[164:165], v[112:113] op_sel_hi:[1,0,1]
	s_delay_alu instid0(VALU_DEP_4) | instskip(SKIP_1) | instid1(VALU_DEP_3)
	v_dual_mov_b32 v111, v119 :: v_dual_add_f32 v5, v5, v43
	v_pk_fma_f32 v[112:113], v[180:181], v[164:165], v[112:113] neg_lo:[0,0,1] neg_hi:[0,0,1]
	v_dual_add_f32 v9, v9, v17 :: v_dual_mov_b32 v113, v123
	v_dual_mul_f32 v13, v193, v157 :: v_dual_fmac_f32 v255, v193, v156
	s_delay_alu instid0(VALU_DEP_4) | instskip(NEXT) | instid1(VALU_DEP_3)
	v_dual_add_f32 v5, v5, v45 :: v_dual_fma_f32 v11, v242, v154, -v11
	v_add_f32_e32 v9, v9, v19
	s_set_vgpr_msb 64                       ;  msbs: dst=1 src0=0 src1=0 src2=0
	v_dual_mul_f32 v1 /*v257*/, v194, v159 :: v_dual_fma_f32 v0 /*v256*/, v194, v158, -v15
	s_set_vgpr_msb 0                        ;  msbs: dst=0 src0=0 src1=0 src2=0
	v_dual_add_f32 v5, v5, v47 :: v_dual_fma_f32 v254, v192, v156, -v13
	v_add_f32_e32 v116, v9, v11
	s_set_vgpr_msb 64                       ;  msbs: dst=1 src0=0 src1=0 src2=0
	v_fmac_f32_e32 v1 /*v257*/, v195, v158
	s_set_vgpr_msb 0                        ;  msbs: dst=0 src0=0 src1=0 src2=0
	v_pk_mul_f32 v[114:115], v[248:249], v[114:115] op_sel_hi:[1,0]
	v_add_f32_e32 v5, v5, v49
	s_wait_loadcnt 0x2
	v_pk_mul_f32 v[120:121], v[184:185], v[168:169] op_sel:[1,1] op_sel_hi:[0,1]
	s_delay_alu instid0(VALU_DEP_3) | instskip(NEXT) | instid1(VALU_DEP_3)
	v_pk_fma_f32 v[118:119], v[182:183], v[166:167], v[114:115] op_sel_hi:[1,0,1]
	v_add_f32_e32 v5, v5, v51
	v_pk_fma_f32 v[114:115], v[182:183], v[166:167], v[114:115] neg_lo:[0,0,1] neg_hi:[0,0,1]
	s_delay_alu instid0(VALU_DEP_2) | instskip(SKIP_1) | instid1(VALU_DEP_2)
	v_dual_mov_b32 v115, v119 :: v_dual_add_f32 v117, v5, v53
	v_pk_fma_f32 v[118:119], v[184:185], v[168:169], v[120:121] neg_lo:[0,0,1] neg_hi:[0,0,1]
	v_pk_add_f32 v[116:117], v[116:117], v[254:255]
	s_set_vgpr_msb 4                        ;  msbs: dst=0 src0=0 src1=1 src2=0
	s_delay_alu instid0(VALU_DEP_1) | instskip(SKIP_1) | instid1(VALU_DEP_1)
	v_pk_add_f32 v[116:117], v[116:117], v[0:1] /*v[256:257]*/
	s_set_vgpr_msb 0                        ;  msbs: dst=0 src0=0 src1=0 src2=0
	v_pk_add_f32 v[108:109], v[116:117], v[108:109]
	v_mov_b32_e32 v116, v171
	s_delay_alu instid0(VALU_DEP_2) | instskip(SKIP_1) | instid1(VALU_DEP_3)
	v_pk_add_f32 v[108:109], v[108:109], v[110:111]
	v_pk_fma_f32 v[110:111], v[184:185], v[168:169], v[120:121] op_sel_hi:[1,0,1]
	v_pk_mul_f32 v[116:117], v[250:251], v[116:117] op_sel_hi:[1,0]
	s_delay_alu instid0(VALU_DEP_3) | instskip(NEXT) | instid1(VALU_DEP_3)
	v_pk_add_f32 v[108:109], v[108:109], v[112:113]
	v_mov_b32_e32 v119, v111
	s_delay_alu instid0(VALU_DEP_3)
	v_pk_fma_f32 v[110:111], v[186:187], v[170:171], v[116:117] op_sel_hi:[1,0,1]
	s_wait_loadcnt 0x1
	v_pk_mul_f32 v[112:113], v[188:189], v[172:173] op_sel:[1,1] op_sel_hi:[0,1]
	v_mov_b32_e32 v110, v175
	v_pk_add_f32 v[108:109], v[108:109], v[114:115]
	v_pk_fma_f32 v[116:117], v[186:187], v[170:171], v[116:117] neg_lo:[0,0,1] neg_hi:[0,0,1]
	v_mov_b32_e32 v117, v111
	v_pk_fma_f32 v[114:115], v[188:189], v[172:173], v[112:113] op_sel_hi:[1,0,1]
	v_pk_mul_f32 v[110:111], v[252:253], v[110:111] op_sel_hi:[1,0]
	v_pk_add_f32 v[108:109], v[108:109], v[118:119]
	v_pk_fma_f32 v[112:113], v[188:189], v[172:173], v[112:113] neg_lo:[0,0,1] neg_hi:[0,0,1]
	s_delay_alu instid0(VALU_DEP_4) | instskip(NEXT) | instid1(VALU_DEP_4)
	v_mov_b32_e32 v113, v115
	v_pk_fma_f32 v[114:115], v[190:191], v[174:175], v[110:111] op_sel_hi:[1,0,1]
	s_delay_alu instid0(VALU_DEP_4) | instskip(SKIP_1) | instid1(VALU_DEP_3)
	v_pk_add_f32 v[108:109], v[108:109], v[116:117]
	v_pk_fma_f32 v[110:111], v[190:191], v[174:175], v[110:111] neg_lo:[0,0,1] neg_hi:[0,0,1]
	v_mov_b32_e32 v111, v115
	s_delay_alu instid0(VALU_DEP_3) | instskip(NEXT) | instid1(VALU_DEP_1)
	v_pk_add_f32 v[108:109], v[108:109], v[112:113]
	v_pk_add_f32 v[108:109], v[108:109], v[110:111]
	s_wait_loadcnt 0x0
	s_delay_alu instid0(VALU_DEP_1)
	v_pk_add_f32 v[108:109], v[244:245], v[108:109] neg_lo:[0,1] neg_hi:[0,1]
	scratch_store_b64 off, v[108:109], off offset:144
	s_wait_xcnt 0x0
	v_cmpx_lt_u32_e32 17, v0
	s_cbranch_execz .LBB52_297
; %bb.296:
	scratch_load_b64 v[108:109], off, off offset:136
	v_mov_b64_e32 v[110:111], 0
	scratch_store_b64 off, v[110:111], off offset:136
	s_wait_loadcnt 0x0
	ds_store_b64 v1, v[108:109]
.LBB52_297:
	s_wait_xcnt 0x0
	s_or_b32 exec_lo, exec_lo, s0
	s_wait_storecnt_dscnt 0x0
	s_barrier_signal -1
	s_barrier_wait -1
	s_clause 0x12
	scratch_load_b128 v[108:111], off, off offset:144
	scratch_load_b128 v[112:115], off, off offset:160
	;; [unrolled: 1-line block ×17, first 2 shown]
	scratch_load_b64 v[244:245], off, off offset:416
	scratch_load_b64 v[246:247], off, off offset:136
	v_mov_b32_e32 v5, 0
	ds_load_b128 v[176:179], v5 offset:784
	ds_load_b128 v[180:183], v5 offset:800
	;; [unrolled: 1-line block ×17, first 2 shown]
	ds_load_b64 v[248:249], v5 offset:848
	s_mov_b32 s0, exec_lo
	s_wait_dscnt 0x11
	v_dual_mov_b32 v250, v179 :: v_dual_mov_b32 v251, v178
	s_wait_dscnt 0xf
	v_dual_mov_b32 v252, v183 :: v_dual_mov_b32 v255, v186
	v_dual_mov_b32 v253, v182 :: v_dual_mov_b32 v254, v187
	s_wait_dscnt 0xd
	s_set_vgpr_msb 64                       ;  msbs: dst=1 src0=0 src1=0 src2=0
	v_dual_mov_b32 v0 /*v256*/, v195 :: v_dual_mov_b32 v1 /*v257*/, v194
	s_wait_loadcnt_dscnt 0x120c
	s_set_vgpr_msb 0                        ;  msbs: dst=0 src0=0 src1=0 src2=0
	v_dual_mul_f32 v9, v196, v109 :: v_dual_mul_f32 v59, v197, v109
	v_dual_mul_f32 v61, v199, v111 :: v_dual_mul_f32 v11, v198, v111
	s_wait_loadcnt_dscnt 0x110b
	v_mul_f32_e32 v13, v200, v113
	s_wait_loadcnt_dscnt 0xf09
	v_dual_mul_f32 v71, v209, v121 :: v_dual_fma_f32 v59, v196, v108, -v59
	v_dual_fmac_f32 v9, v197, v108 :: v_dual_mul_f32 v73, v211, v123
	v_dual_mul_f32 v63, v201, v113 :: v_dual_mul_f32 v65, v203, v115
	v_dual_fmac_f32 v11, v199, v110 :: v_dual_fma_f32 v61, v198, v110, -v61
	s_delay_alu instid0(VALU_DEP_3) | instskip(SKIP_4) | instid1(VALU_DEP_3)
	v_dual_add_f32 v9, 0, v9 :: v_dual_add_f32 v59, 0, v59
	v_dual_mul_f32 v15, v202, v115 :: v_dual_mul_f32 v17, v204, v117
	s_wait_loadcnt_dscnt 0xe08
	v_dual_mul_f32 v75, v213, v125 :: v_dual_fma_f32 v63, v200, v112, -v63
	v_fmac_f32_e32 v13, v201, v112
	v_dual_add_f32 v9, v9, v11 :: v_dual_fmac_f32 v15, v203, v114
	v_add_f32_e32 v11, v59, v61
	v_dual_mul_f32 v67, v205, v117 :: v_dual_mul_f32 v69, v207, v119
	v_dual_mul_f32 v59, v215, v127 :: v_dual_fma_f32 v61, v202, v114, -v65
	s_delay_alu instid0(VALU_DEP_3) | instskip(SKIP_3) | instid1(VALU_DEP_3)
	v_dual_add_f32 v9, v9, v13 :: v_dual_add_f32 v11, v11, v63
	v_dual_mul_f32 v19, v206, v119 :: v_dual_mul_f32 v21, v208, v121
	s_wait_loadcnt_dscnt 0xd07
	v_dual_mul_f32 v13, v217, v129 :: v_dual_fma_f32 v63, v204, v116, -v67
	v_dual_fmac_f32 v17, v205, v116 :: v_dual_add_f32 v11, v11, v61
	s_delay_alu instid0(VALU_DEP_3) | instskip(SKIP_1) | instid1(VALU_DEP_2)
	v_dual_add_f32 v9, v9, v15 :: v_dual_fmac_f32 v19, v207, v118
	v_dual_mul_f32 v15, v219, v131 :: v_dual_fma_f32 v61, v206, v118, -v69
	v_dual_add_f32 v11, v11, v63 :: v_dual_add_f32 v9, v9, v17
	v_dual_mul_f32 v23, v210, v123 :: v_dual_mul_f32 v25, v212, v125
	s_wait_loadcnt_dscnt 0xc06
	v_dual_mul_f32 v17, v221, v133 :: v_dual_fma_f32 v63, v208, v120, -v71
	s_delay_alu instid0(VALU_DEP_3) | instskip(NEXT) | instid1(VALU_DEP_3)
	v_dual_fmac_f32 v21, v209, v120 :: v_dual_add_f32 v11, v11, v61
	v_dual_add_f32 v9, v9, v19 :: v_dual_fmac_f32 v23, v211, v122
	v_dual_mul_f32 v19, v223, v135 :: v_dual_fma_f32 v61, v210, v122, -v73
	s_delay_alu instid0(VALU_DEP_2) | instskip(SKIP_3) | instid1(VALU_DEP_3)
	v_dual_add_f32 v11, v11, v63 :: v_dual_add_f32 v9, v9, v21
	v_dual_mul_f32 v27, v214, v127 :: v_dual_mul_f32 v29, v216, v129
	s_wait_loadcnt_dscnt 0xb05
	v_dual_mul_f32 v21, v225, v137 :: v_dual_fma_f32 v63, v212, v124, -v75
	v_dual_fmac_f32 v25, v213, v124 :: v_dual_add_f32 v11, v11, v61
	s_delay_alu instid0(VALU_DEP_3) | instskip(SKIP_1) | instid1(VALU_DEP_2)
	v_dual_add_f32 v9, v9, v23 :: v_dual_fmac_f32 v27, v215, v126
	v_dual_mul_f32 v23, v227, v139 :: v_dual_fma_f32 v59, v214, v126, -v59
	v_dual_add_f32 v11, v11, v63 :: v_dual_add_f32 v9, v9, v25
	v_dual_mul_f32 v31, v218, v131 :: v_dual_mul_f32 v33, v220, v133
	s_wait_loadcnt_dscnt 0xa04
	v_dual_mul_f32 v25, v229, v141 :: v_dual_fma_f32 v13, v216, v128, -v13
	s_delay_alu instid0(VALU_DEP_3) | instskip(NEXT) | instid1(VALU_DEP_3)
	v_dual_fmac_f32 v29, v217, v128 :: v_dual_add_f32 v11, v11, v59
	v_dual_add_f32 v9, v9, v27 :: v_dual_fmac_f32 v31, v219, v130
	v_dual_mul_f32 v27, v231, v143 :: v_dual_fma_f32 v15, v218, v130, -v15
	s_delay_alu instid0(VALU_DEP_3) | instskip(NEXT) | instid1(VALU_DEP_3)
	v_dual_add_f32 v11, v11, v13 :: v_dual_fmac_f32 v33, v221, v132
	v_dual_add_f32 v9, v9, v29 :: v_dual_fma_f32 v17, v220, v132, -v17
	v_dual_mul_f32 v35, v222, v135 :: v_dual_mul_f32 v37, v224, v137
	s_wait_loadcnt_dscnt 0x903
	s_delay_alu instid0(VALU_DEP_3) | instskip(NEXT) | instid1(VALU_DEP_2)
	v_dual_mul_f32 v13, v233, v145 :: v_dual_add_f32 v11, v11, v15
	v_dual_add_f32 v9, v9, v31 :: v_dual_fmac_f32 v35, v223, v134
	v_dual_mul_f32 v15, v235, v147 :: v_dual_fma_f32 v19, v222, v134, -v19
	s_delay_alu instid0(VALU_DEP_3) | instskip(NEXT) | instid1(VALU_DEP_3)
	v_dual_add_f32 v11, v11, v17 :: v_dual_fmac_f32 v37, v225, v136
	v_dual_add_f32 v9, v9, v33 :: v_dual_fma_f32 v21, v224, v136, -v21
	v_dual_mul_f32 v39, v226, v139 :: v_dual_mul_f32 v41, v228, v141
	s_wait_loadcnt_dscnt 0x802
	s_delay_alu instid0(VALU_DEP_3) | instskip(NEXT) | instid1(VALU_DEP_2)
	v_dual_mul_f32 v17, v237, v149 :: v_dual_add_f32 v11, v11, v19
	;; [unrolled: 9-line block ×3, first 2 shown]
	v_dual_add_f32 v9, v9, v39 :: v_dual_fmac_f32 v43, v231, v142
	v_dual_mul_f32 v23, v243, v155 :: v_dual_fma_f32 v27, v230, v142, -v27
	s_delay_alu instid0(VALU_DEP_3) | instskip(NEXT) | instid1(VALU_DEP_3)
	v_dual_add_f32 v11, v11, v25 :: v_dual_fmac_f32 v45, v233, v144
	v_dual_add_f32 v9, v9, v41 :: v_dual_fma_f32 v13, v232, v144, -v13
	v_dual_mul_f32 v47, v234, v147 :: v_dual_mul_f32 v49, v236, v149
	s_wait_loadcnt 0x6
	s_delay_alu instid0(VALU_DEP_3) | instskip(NEXT) | instid1(VALU_DEP_2)
	v_dual_mul_f32 v25, v189, v157 :: v_dual_add_f32 v11, v11, v27
	v_dual_add_f32 v9, v9, v43 :: v_dual_fmac_f32 v47, v235, v146
	v_dual_mul_f32 v27, v191, v159 :: v_dual_fma_f32 v15, v234, v146, -v15
	s_delay_alu instid0(VALU_DEP_3) | instskip(NEXT) | instid1(VALU_DEP_3)
	v_dual_add_f32 v11, v11, v13 :: v_dual_fmac_f32 v49, v237, v148
	v_dual_add_f32 v9, v9, v45 :: v_dual_fma_f32 v17, v236, v148, -v17
	v_dual_mul_f32 v51, v238, v151 :: v_dual_mul_f32 v53, v240, v153
	s_wait_loadcnt 0x5
	s_delay_alu instid0(VALU_DEP_3) | instskip(NEXT) | instid1(VALU_DEP_3)
	v_dual_mul_f32 v13, v177, v161 :: v_dual_add_f32 v11, v11, v15
	v_dual_add_f32 v9, v9, v47 :: v_dual_mov_b32 v108, v163
	s_delay_alu instid0(VALU_DEP_3) | instskip(NEXT) | instid1(VALU_DEP_3)
	v_fmac_f32_e32 v51, v239, v150
	v_dual_fma_f32 v15, v238, v150, -v19 :: v_dual_add_f32 v11, v11, v17
	s_delay_alu instid0(VALU_DEP_3) | instskip(SKIP_1) | instid1(VALU_DEP_3)
	v_dual_add_f32 v9, v9, v49 :: v_dual_mul_f32 v55, v242, v155
	v_dual_mul_f32 v57, v188, v157 :: v_dual_fmac_f32 v53, v241, v152
	v_dual_add_f32 v11, v11, v15 :: v_dual_fma_f32 v17, v240, v152, -v21
	s_wait_loadcnt 0x4
	s_delay_alu instid0(VALU_DEP_3) | instskip(SKIP_3) | instid1(VALU_DEP_4)
	v_dual_add_f32 v9, v9, v51 :: v_dual_mov_b32 v112, v167
	v_fma_f32 v15, v242, v154, -v23
	v_fmac_f32_e32 v55, v243, v154
	v_dual_add_f32 v11, v11, v17 :: v_dual_fmac_f32 v57, v189, v156
	v_add_f32_e32 v9, v9, v53
	s_set_vgpr_msb 64                       ;  msbs: dst=1 src0=0 src1=0 src2=0
	v_dual_mul_f32 v3 /*v259*/, v190, v159 :: v_dual_mul_f32 v5 /*v261*/, v176, v161
	s_set_vgpr_msb 0                        ;  msbs: dst=0 src0=0 src1=0 src2=0
	v_fma_f32 v17, v188, v156, -v25
	v_pk_mul_f32 v[108:109], v[250:251], v[108:109] op_sel_hi:[1,0]
	v_add_f32_e32 v9, v9, v55
	v_add_f32_e32 v11, v11, v15
	s_set_vgpr_msb 64                       ;  msbs: dst=1 src0=0 src1=0 src2=0
	v_dual_fmac_f32 v3 /*v259*/, v191, v158 :: v_dual_fmac_f32 v5 /*v261*/, v177, v160
	v_dual_fma_f32 v2 /*v258*/, v190, v158, -v27 :: v_dual_fma_f32 v4 /*v260*/, v176, v160, -v13
	s_set_vgpr_msb 0                        ;  msbs: dst=0 src0=0 src1=0 src2=0
	v_add_f32_e32 v117, v9, v57
	v_pk_fma_f32 v[120:121], v[178:179], v[162:163], v[108:109] op_sel_hi:[1,0,1]
	v_add_f32_e32 v116, v11, v17
	v_pk_fma_f32 v[108:109], v[178:179], v[162:163], v[108:109] neg_lo:[0,0,1] neg_hi:[0,0,1]
	v_pk_mul_f32 v[110:111], v[180:181], v[164:165] op_sel:[1,1] op_sel_hi:[0,1]
	v_pk_mul_f32 v[112:113], v[252:253], v[112:113] op_sel_hi:[1,0]
	v_mov_b32_e32 v109, v121
	s_set_vgpr_msb 4                        ;  msbs: dst=0 src0=0 src1=1 src2=0
	v_pk_add_f32 v[116:117], v[116:117], v[2:3] /*v[258:259]*/
	s_wait_loadcnt 0x3
	s_set_vgpr_msb 0                        ;  msbs: dst=0 src0=0 src1=0 src2=0
	v_pk_mul_f32 v[114:115], v[184:185], v[168:169] op_sel:[1,1] op_sel_hi:[0,1]
	v_pk_fma_f32 v[122:123], v[180:181], v[164:165], v[110:111] op_sel_hi:[1,0,1]
	v_pk_fma_f32 v[110:111], v[180:181], v[164:165], v[110:111] neg_lo:[0,0,1] neg_hi:[0,0,1]
	v_mov_b32_e32 v118, v171
	s_set_vgpr_msb 4                        ;  msbs: dst=0 src0=0 src1=1 src2=0
	v_pk_add_f32 v[116:117], v[116:117], v[4:5] /*v[260:261]*/
	s_wait_loadcnt 0x2
	s_set_vgpr_msb 0                        ;  msbs: dst=0 src0=0 src1=0 src2=0
	v_pk_mul_f32 v[120:121], v[192:193], v[172:173] op_sel:[1,1] op_sel_hi:[0,1]
	v_mov_b32_e32 v111, v123
	v_pk_fma_f32 v[122:123], v[182:183], v[166:167], v[112:113] op_sel_hi:[1,0,1]
	v_pk_fma_f32 v[112:113], v[182:183], v[166:167], v[112:113] neg_lo:[0,0,1] neg_hi:[0,0,1]
	v_pk_add_f32 v[108:109], v[116:117], v[108:109]
	v_pk_fma_f32 v[116:117], v[184:185], v[168:169], v[114:115] op_sel_hi:[1,0,1]
	v_pk_mul_f32 v[118:119], v[254:255], v[118:119] op_sel_hi:[1,0]
	v_mov_b32_e32 v113, v123
	v_pk_fma_f32 v[114:115], v[184:185], v[168:169], v[114:115] neg_lo:[0,0,1] neg_hi:[0,0,1]
	v_pk_add_f32 v[108:109], v[108:109], v[110:111]
	v_dual_mov_b32 v110, v175 :: v_dual_mov_b32 v115, v117
	v_pk_fma_f32 v[116:117], v[186:187], v[170:171], v[118:119] op_sel_hi:[1,0,1]
	v_pk_fma_f32 v[118:119], v[186:187], v[170:171], v[118:119] neg_lo:[0,0,1] neg_hi:[0,0,1]
	s_delay_alu instid0(VALU_DEP_4)
	v_pk_add_f32 v[108:109], v[108:109], v[112:113]
	v_pk_fma_f32 v[112:113], v[192:193], v[172:173], v[120:121] op_sel_hi:[1,0,1]
	s_set_vgpr_msb 1                        ;  msbs: dst=0 src0=1 src1=0 src2=0
	v_pk_mul_f32 v[110:111], v[0:1] /*v[256:257]*/, v[110:111] op_sel_hi:[1,0]
	s_set_vgpr_msb 0                        ;  msbs: dst=0 src0=0 src1=0 src2=0
	v_mov_b32_e32 v119, v117
	s_wait_loadcnt_dscnt 0x100
	v_pk_mul_f32 v[116:117], v[248:249], v[244:245] op_sel:[1,1] op_sel_hi:[0,1]
	v_pk_add_f32 v[108:109], v[108:109], v[114:115]
	v_pk_fma_f32 v[114:115], v[192:193], v[172:173], v[120:121] neg_lo:[0,0,1] neg_hi:[0,0,1]
	v_mov_b32_e32 v115, v113
	v_pk_fma_f32 v[112:113], v[194:195], v[174:175], v[110:111] op_sel_hi:[1,0,1]
	v_pk_fma_f32 v[110:111], v[194:195], v[174:175], v[110:111] neg_lo:[0,0,1] neg_hi:[0,0,1]
	v_pk_add_f32 v[108:109], v[108:109], v[118:119]
	s_delay_alu instid0(VALU_DEP_3) | instskip(SKIP_1) | instid1(VALU_DEP_3)
	v_mov_b32_e32 v111, v113
	v_pk_fma_f32 v[112:113], v[248:249], v[244:245], v[116:117] op_sel_hi:[1,0,1]
	v_pk_add_f32 v[108:109], v[108:109], v[114:115]
	v_pk_fma_f32 v[114:115], v[248:249], v[244:245], v[116:117] neg_lo:[0,0,1] neg_hi:[0,0,1]
	s_delay_alu instid0(VALU_DEP_3) | instskip(NEXT) | instid1(VALU_DEP_3)
	v_mov_b32_e32 v115, v113
	v_pk_add_f32 v[108:109], v[108:109], v[110:111]
	s_delay_alu instid0(VALU_DEP_1) | instskip(SKIP_1) | instid1(VALU_DEP_1)
	v_pk_add_f32 v[108:109], v[108:109], v[114:115]
	s_wait_loadcnt 0x0
	v_pk_add_f32 v[108:109], v[246:247], v[108:109] neg_lo:[0,1] neg_hi:[0,1]
	scratch_store_b64 off, v[108:109], off offset:136
	s_wait_xcnt 0x0
	v_cmpx_lt_u32_e32 16, v0
	s_cbranch_execz .LBB52_299
; %bb.298:
	scratch_load_b64 v[108:109], off, off offset:128
	v_mov_b64_e32 v[110:111], 0
	scratch_store_b64 off, v[110:111], off offset:128
	s_wait_loadcnt 0x0
	ds_store_b64 v1, v[108:109]
.LBB52_299:
	s_wait_xcnt 0x0
	s_or_b32 exec_lo, exec_lo, s0
	s_wait_storecnt_dscnt 0x0
	s_barrier_signal -1
	s_barrier_wait -1
	s_clause 0x12
	scratch_load_b128 v[108:111], off, off offset:136
	scratch_load_b128 v[112:115], off, off offset:152
	;; [unrolled: 1-line block ×18, first 2 shown]
	scratch_load_b64 v[252:253], off, off offset:128
	ds_load_2addr_b64 v[180:183], v5 offset0:99 offset1:100
	ds_load_2addr_b64 v[184:187], v5 offset0:101 offset1:102
	;; [unrolled: 1-line block ×18, first 2 shown]
	s_mov_b32 s0, exec_lo
	s_wait_dscnt 0x11
	v_dual_mov_b32 v254, v183 :: v_dual_mov_b32 v255, v182
	s_wait_dscnt 0x10
	s_set_vgpr_msb 64                       ;  msbs: dst=1 src0=0 src1=0 src2=0
	v_dual_mov_b32 v0 /*v256*/, v187 :: v_dual_mov_b32 v1 /*v257*/, v186
	s_wait_dscnt 0xf
	v_dual_mov_b32 v2 /*v258*/, v191 :: v_dual_mov_b32 v3 /*v259*/, v190
	s_wait_dscnt 0xe
	v_dual_mov_b32 v4 /*v260*/, v195 :: v_dual_mov_b32 v5 /*v261*/, v194
	s_wait_loadcnt_dscnt 0x120d
	s_set_vgpr_msb 0                        ;  msbs: dst=0 src0=0 src1=0 src2=0
	v_dual_mul_f32 v5, v196, v109 :: v_dual_mul_f32 v9, v198, v111
	v_dual_mul_f32 v59, v197, v109 :: v_dual_mul_f32 v61, v199, v111
	s_wait_loadcnt_dscnt 0x110c
	v_dual_mul_f32 v11, v200, v113 :: v_dual_mul_f32 v13, v202, v115
	s_delay_alu instid0(VALU_DEP_2) | instskip(SKIP_3) | instid1(VALU_DEP_3)
	v_dual_fmac_f32 v5, v197, v108 :: v_dual_fma_f32 v59, v196, v108, -v59
	v_dual_mul_f32 v63, v201, v113 :: v_dual_mul_f32 v65, v203, v115
	s_wait_loadcnt_dscnt 0xf0a
	v_dual_mul_f32 v71, v209, v121 :: v_dual_fmac_f32 v9, v199, v110
	v_dual_fma_f32 v61, v198, v110, -v61 :: v_dual_add_f32 v5, 0, v5
	v_dual_add_f32 v59, 0, v59 :: v_dual_fmac_f32 v11, v201, v112
	v_dual_mul_f32 v73, v211, v123 :: v_dual_fma_f32 v63, v200, v112, -v63
	s_delay_alu instid0(VALU_DEP_3) | instskip(NEXT) | instid1(VALU_DEP_3)
	v_dual_add_f32 v5, v5, v9 :: v_dual_fmac_f32 v13, v203, v114
	v_dual_add_f32 v9, v59, v61 :: v_dual_fma_f32 v61, v202, v114, -v65
	v_dual_mul_f32 v15, v204, v117 :: v_dual_mul_f32 v17, v206, v119
	v_dual_mul_f32 v67, v205, v117 :: v_dual_mul_f32 v69, v207, v119
	s_delay_alu instid0(VALU_DEP_3) | instskip(NEXT) | instid1(VALU_DEP_3)
	v_add_f32_e32 v9, v9, v63
	v_dual_add_f32 v5, v5, v11 :: v_dual_fmac_f32 v17, v207, v118
	s_wait_loadcnt_dscnt 0xe09
	s_delay_alu instid0(VALU_DEP_3) | instskip(NEXT) | instid1(VALU_DEP_3)
	v_dual_fma_f32 v63, v204, v116, -v67 :: v_dual_mul_f32 v59, v213, v125
	v_dual_mul_f32 v11, v215, v127 :: v_dual_add_f32 v9, v9, v61
	v_dual_fmac_f32 v15, v205, v116 :: v_dual_fma_f32 v61, v206, v118, -v69
	v_add_f32_e32 v5, v5, v13
	v_dual_mul_f32 v19, v208, v121 :: v_dual_mul_f32 v21, v210, v123
	s_delay_alu instid0(VALU_DEP_4) | instskip(NEXT) | instid1(VALU_DEP_3)
	v_dual_add_f32 v9, v9, v63 :: v_dual_fma_f32 v59, v212, v124, -v59
	v_dual_add_f32 v5, v5, v15 :: v_dual_fma_f32 v63, v208, v120, -v71
	v_dual_mul_f32 v23, v212, v125 :: v_dual_mul_f32 v25, v214, v127
	s_delay_alu instid0(VALU_DEP_3) | instskip(SKIP_2) | instid1(VALU_DEP_3)
	v_dual_add_f32 v9, v9, v61 :: v_dual_fma_f32 v11, v214, v126, -v11
	s_wait_loadcnt_dscnt 0xd08
	v_dual_mul_f32 v27, v216, v129 :: v_dual_mul_f32 v29, v218, v131
	v_dual_fmac_f32 v19, v209, v120 :: v_dual_fmac_f32 v25, v215, v126
	v_dual_fma_f32 v61, v210, v122, -v73 :: v_dual_add_f32 v5, v5, v17
	s_delay_alu instid0(VALU_DEP_3)
	v_dual_add_f32 v9, v9, v63 :: v_dual_fmac_f32 v29, v219, v130
	s_wait_loadcnt_dscnt 0xc07
	v_dual_mul_f32 v31, v220, v133 :: v_dual_mul_f32 v33, v222, v135
	v_dual_mul_f32 v13, v217, v129 :: v_dual_fmac_f32 v21, v211, v122
	v_mul_f32_e32 v17, v221, v133
	v_add_f32_e32 v5, v5, v19
	v_dual_add_f32 v9, v9, v61 :: v_dual_mul_f32 v15, v219, v131
	s_delay_alu instid0(VALU_DEP_4) | instskip(NEXT) | instid1(VALU_DEP_3)
	v_fma_f32 v13, v216, v128, -v13
	v_dual_fmac_f32 v33, v223, v134 :: v_dual_add_f32 v5, v5, v21
	s_wait_loadcnt_dscnt 0xb06
	v_mul_f32_e32 v21, v225, v137
	s_wait_loadcnt_dscnt 0xa05
	v_dual_add_f32 v9, v9, v59 :: v_dual_mul_f32 v39, v228, v141
	v_dual_mul_f32 v41, v230, v143 :: v_dual_fmac_f32 v23, v213, v124
	s_delay_alu instid0(VALU_DEP_2) | instskip(SKIP_3) | instid1(VALU_DEP_3)
	v_dual_fma_f32 v21, v224, v136, -v21 :: v_dual_add_f32 v9, v9, v11
	s_wait_loadcnt_dscnt 0x904
	v_dual_fma_f32 v15, v218, v130, -v15 :: v_dual_mul_f32 v43, v232, v145
	v_mul_f32_e32 v45, v234, v147
	v_dual_mul_f32 v19, v223, v135 :: v_dual_add_f32 v9, v9, v13
	v_dual_fmac_f32 v41, v231, v142 :: v_dual_mul_f32 v13, v231, v143
	s_delay_alu instid0(VALU_DEP_2) | instskip(SKIP_1) | instid1(VALU_DEP_4)
	v_dual_add_f32 v5, v5, v23 :: v_dual_fma_f32 v19, v222, v134, -v19
	v_dual_mul_f32 v23, v227, v139 :: v_dual_fma_f32 v17, v220, v132, -v17
	v_add_f32_e32 v9, v9, v15
	v_dual_mul_f32 v15, v233, v145 :: v_dual_fmac_f32 v43, v233, v144
	v_dual_fmac_f32 v27, v217, v128 :: v_dual_mul_f32 v35, v224, v137
	s_delay_alu instid0(VALU_DEP_2) | instskip(NEXT) | instid1(VALU_DEP_4)
	v_dual_mul_f32 v37, v226, v139 :: v_dual_fma_f32 v15, v232, v144, -v15
	v_dual_add_f32 v9, v9, v17 :: v_dual_mul_f32 v17, v235, v147
	s_wait_loadcnt_dscnt 0x803
	v_dual_mul_f32 v47, v236, v149 :: v_dual_mul_f32 v49, v238, v151
	s_delay_alu instid0(VALU_DEP_3) | instskip(NEXT) | instid1(VALU_DEP_3)
	v_dual_add_f32 v5, v5, v25 :: v_dual_fmac_f32 v37, v227, v138
	v_dual_fma_f32 v17, v234, v146, -v17 :: v_dual_add_f32 v9, v9, v19
	s_delay_alu instid0(VALU_DEP_3) | instskip(SKIP_2) | instid1(VALU_DEP_4)
	v_dual_fmac_f32 v49, v239, v150 :: v_dual_mul_f32 v11, v229, v141
	v_fma_f32 v23, v226, v138, -v23
	v_dual_fmac_f32 v31, v221, v132 :: v_dual_fma_f32 v13, v230, v142, -v13
	v_dual_add_f32 v9, v9, v21 :: v_dual_mul_f32 v21, v239, v151
	s_delay_alu instid0(VALU_DEP_4) | instskip(SKIP_1) | instid1(VALU_DEP_3)
	v_dual_add_f32 v5, v5, v27 :: v_dual_fma_f32 v11, v228, v140, -v11
	v_fmac_f32_e32 v35, v225, v136
	v_add_f32_e32 v9, v9, v23
	v_dual_mul_f32 v19, v237, v149 :: v_dual_fmac_f32 v47, v237, v148
	s_delay_alu instid0(VALU_DEP_4) | instskip(NEXT) | instid1(VALU_DEP_3)
	v_dual_add_f32 v5, v5, v29 :: v_dual_fmac_f32 v45, v235, v146
	v_add_f32_e32 v9, v9, v11
	s_wait_loadcnt_dscnt 0x702
	v_mul_f32_e32 v11, v243, v155
	s_wait_loadcnt 0x4
	v_pk_mul_f32 v[108:109], v[180:181], v[164:165] op_sel:[1,1] op_sel_hi:[0,1]
	v_dual_add_f32 v5, v5, v31 :: v_dual_mul_f32 v51, v240, v153
	v_dual_mul_f32 v53, v242, v155 :: v_dual_add_f32 v9, v9, v13
	s_delay_alu instid0(VALU_DEP_2) | instskip(NEXT) | instid1(VALU_DEP_4)
	v_dual_fma_f32 v19, v236, v148, -v19 :: v_dual_add_f32 v5, v5, v33
	v_pk_fma_f32 v[118:119], v[180:181], v[164:165], v[108:109] op_sel_hi:[1,0,1]
	s_delay_alu instid0(VALU_DEP_3) | instskip(NEXT) | instid1(VALU_DEP_4)
	v_dual_fmac_f32 v39, v229, v140 :: v_dual_fmac_f32 v53, v243, v154
	v_add_f32_e32 v9, v9, v15
	s_wait_dscnt 0x1
	v_mul_f32_e32 v15, v247, v159
	v_dual_add_f32 v5, v5, v35 :: v_dual_fma_f32 v21, v238, v150, -v21
	v_dual_mul_f32 v23, v241, v153 :: v_dual_fmac_f32 v51, v241, v152
	v_dual_mul_f32 v55, v244, v157 :: v_dual_mul_f32 v57, v246, v159
	s_delay_alu instid0(VALU_DEP_2) | instskip(SKIP_2) | instid1(VALU_DEP_2)
	v_dual_add_f32 v5, v5, v37 :: v_dual_fma_f32 v23, v240, v152, -v23
	s_wait_loadcnt 0x3
	v_dual_mov_b32 v110, v167 :: v_dual_mov_b32 v114, v171
	v_dual_fmac_f32 v57, v247, v158 :: v_dual_add_f32 v5, v5, v39
	v_pk_fma_f32 v[108:109], v[180:181], v[164:165], v[108:109] neg_lo:[0,0,1] neg_hi:[0,0,1]
	s_delay_alu instid0(VALU_DEP_3) | instskip(SKIP_1) | instid1(VALU_DEP_4)
	v_pk_mul_f32 v[110:111], v[254:255], v[110:111] op_sel_hi:[1,0]
	v_dual_mov_b32 v109, v119 :: v_dual_add_f32 v9, v9, v17
	v_add_f32_e32 v5, v5, v41
	s_set_vgpr_msb 1                        ;  msbs: dst=0 src0=1 src1=0 src2=0
	v_pk_mul_f32 v[114:115], v[0:1] /*v[256:257]*/, v[114:115] op_sel_hi:[1,0]
	s_set_vgpr_msb 0                        ;  msbs: dst=0 src0=0 src1=0 src2=0
	v_pk_fma_f32 v[118:119], v[182:183], v[166:167], v[110:111] op_sel_hi:[1,0,1]
	v_pk_fma_f32 v[110:111], v[182:183], v[166:167], v[110:111] neg_lo:[0,0,1] neg_hi:[0,0,1]
	v_add_f32_e32 v9, v9, v19
	v_add_f32_e32 v5, v5, v43
	v_dual_mul_f32 v13, v245, v157 :: v_dual_fmac_f32 v55, v245, v156
	v_mov_b32_e32 v111, v119
	v_pk_fma_f32 v[118:119], v[186:187], v[170:171], v[114:115] op_sel_hi:[1,0,1]
	s_delay_alu instid0(VALU_DEP_4) | instskip(SKIP_2) | instid1(VALU_DEP_3)
	v_add_f32_e32 v5, v5, v45
	v_pk_fma_f32 v[114:115], v[186:187], v[170:171], v[114:115] neg_lo:[0,0,1] neg_hi:[0,0,1]
	v_dual_add_f32 v9, v9, v21 :: v_dual_fma_f32 v11, v242, v154, -v11
	v_dual_mov_b32 v115, v119 :: v_dual_add_f32 v5, v5, v47
	s_delay_alu instid0(VALU_DEP_2)
	v_dual_fma_f32 v13, v244, v156, -v13 :: v_dual_add_f32 v9, v9, v23
	v_pk_mul_f32 v[112:113], v[184:185], v[168:169] op_sel:[1,1] op_sel_hi:[0,1]
	s_wait_dscnt 0x0
	s_set_vgpr_msb 64                       ;  msbs: dst=1 src0=0 src1=0 src2=0
	v_dual_mul_f32 v7 /*v263*/, v248, v161 :: v_dual_mul_f32 v9 /*v265*/, v250, v163
	s_set_vgpr_msb 0                        ;  msbs: dst=0 src0=0 src1=0 src2=0
	v_add_f32_e32 v5, v5, v49
	v_dual_add_f32 v9, v9, v11 :: v_dual_fma_f32 v11, v246, v158, -v15
	v_pk_fma_f32 v[122:123], v[184:185], v[168:169], v[112:113] op_sel_hi:[1,0,1]
	v_mul_f32_e32 v17, v249, v161
	s_delay_alu instid0(VALU_DEP_4) | instskip(NEXT) | instid1(VALU_DEP_4)
	v_add_f32_e32 v5, v5, v51
	v_add_f32_e32 v9, v9, v13
	v_pk_fma_f32 v[112:113], v[184:185], v[168:169], v[112:113] neg_lo:[0,0,1] neg_hi:[0,0,1]
	v_mul_f32_e32 v19, v251, v163
	s_set_vgpr_msb 64                       ;  msbs: dst=1 src0=0 src1=0 src2=0
	v_dual_fmac_f32 v7 /*v263*/, v249, v160 :: v_dual_fmac_f32 v9 /*v265*/, v251, v162
	s_set_vgpr_msb 0                        ;  msbs: dst=0 src0=0 src1=0 src2=0
	v_add_f32_e32 v5, v5, v53
	v_dual_add_f32 v116, v9, v11 :: v_dual_mov_b32 v113, v123
	s_set_vgpr_msb 64                       ;  msbs: dst=1 src0=0 src1=0 src2=0
	v_dual_fma_f32 v6 /*v262*/, v248, v160, -v17 :: v_dual_fma_f32 v8 /*v264*/, v250, v162, -v19
	s_set_vgpr_msb 0                        ;  msbs: dst=0 src0=0 src1=0 src2=0
	v_add_f32_e32 v5, v5, v55
	s_wait_loadcnt 0x2
	v_pk_mul_f32 v[120:121], v[188:189], v[172:173] op_sel:[1,1] op_sel_hi:[0,1]
	s_delay_alu instid0(VALU_DEP_2) | instskip(NEXT) | instid1(VALU_DEP_2)
	v_add_f32_e32 v117, v5, v57
	v_pk_fma_f32 v[118:119], v[188:189], v[172:173], v[120:121] neg_lo:[0,0,1] neg_hi:[0,0,1]
	s_set_vgpr_msb 4                        ;  msbs: dst=0 src0=0 src1=1 src2=0
	s_delay_alu instid0(VALU_DEP_2) | instskip(NEXT) | instid1(VALU_DEP_1)
	v_pk_add_f32 v[116:117], v[116:117], v[6:7] /*v[262:263]*/
	v_pk_add_f32 v[116:117], v[116:117], v[8:9] /*v[264:265]*/
	s_set_vgpr_msb 0                        ;  msbs: dst=0 src0=0 src1=0 src2=0
	s_delay_alu instid0(VALU_DEP_1) | instskip(SKIP_1) | instid1(VALU_DEP_2)
	v_pk_add_f32 v[108:109], v[116:117], v[108:109]
	v_mov_b32_e32 v116, v175
	v_pk_add_f32 v[108:109], v[108:109], v[110:111]
	v_pk_fma_f32 v[110:111], v[188:189], v[172:173], v[120:121] op_sel_hi:[1,0,1]
	s_set_vgpr_msb 1                        ;  msbs: dst=0 src0=1 src1=0 src2=0
	s_delay_alu instid0(VALU_DEP_3) | instskip(SKIP_3) | instid1(VALU_DEP_3)
	v_pk_mul_f32 v[116:117], v[2:3] /*v[258:259]*/, v[116:117] op_sel_hi:[1,0]
	s_set_vgpr_msb 0                        ;  msbs: dst=0 src0=0 src1=0 src2=0
	v_pk_add_f32 v[108:109], v[108:109], v[112:113]
	v_mov_b32_e32 v119, v111
	v_pk_fma_f32 v[110:111], v[190:191], v[174:175], v[116:117] op_sel_hi:[1,0,1]
	s_wait_loadcnt 0x1
	v_pk_mul_f32 v[112:113], v[192:193], v[176:177] op_sel:[1,1] op_sel_hi:[0,1]
	v_mov_b32_e32 v110, v179
	v_pk_add_f32 v[108:109], v[108:109], v[114:115]
	v_pk_fma_f32 v[116:117], v[190:191], v[174:175], v[116:117] neg_lo:[0,0,1] neg_hi:[0,0,1]
	v_mov_b32_e32 v117, v111
	v_pk_fma_f32 v[114:115], v[192:193], v[176:177], v[112:113] op_sel_hi:[1,0,1]
	s_set_vgpr_msb 1                        ;  msbs: dst=0 src0=1 src1=0 src2=0
	v_pk_mul_f32 v[110:111], v[4:5] /*v[260:261]*/, v[110:111] op_sel_hi:[1,0]
	s_set_vgpr_msb 0                        ;  msbs: dst=0 src0=0 src1=0 src2=0
	v_pk_add_f32 v[108:109], v[108:109], v[118:119]
	v_pk_fma_f32 v[112:113], v[192:193], v[176:177], v[112:113] neg_lo:[0,0,1] neg_hi:[0,0,1]
	v_mov_b32_e32 v113, v115
	v_pk_fma_f32 v[114:115], v[194:195], v[178:179], v[110:111] op_sel_hi:[1,0,1]
	s_delay_alu instid0(VALU_DEP_4) | instskip(SKIP_1) | instid1(VALU_DEP_3)
	v_pk_add_f32 v[108:109], v[108:109], v[116:117]
	v_pk_fma_f32 v[110:111], v[194:195], v[178:179], v[110:111] neg_lo:[0,0,1] neg_hi:[0,0,1]
	v_mov_b32_e32 v111, v115
	s_delay_alu instid0(VALU_DEP_3) | instskip(NEXT) | instid1(VALU_DEP_1)
	v_pk_add_f32 v[108:109], v[108:109], v[112:113]
	v_pk_add_f32 v[108:109], v[108:109], v[110:111]
	s_wait_loadcnt 0x0
	s_delay_alu instid0(VALU_DEP_1)
	v_pk_add_f32 v[108:109], v[252:253], v[108:109] neg_lo:[0,1] neg_hi:[0,1]
	scratch_store_b64 off, v[108:109], off offset:128
	s_wait_xcnt 0x0
	v_cmpx_lt_u32_e32 15, v0
	s_cbranch_execz .LBB52_301
; %bb.300:
	scratch_load_b64 v[108:109], off, off offset:120
	v_mov_b64_e32 v[110:111], 0
	scratch_store_b64 off, v[110:111], off offset:120
	s_wait_loadcnt 0x0
	ds_store_b64 v1, v[108:109]
.LBB52_301:
	s_wait_xcnt 0x0
	s_or_b32 exec_lo, exec_lo, s0
	s_wait_storecnt_dscnt 0x0
	s_barrier_signal -1
	s_barrier_wait -1
	s_clause 0x13
	scratch_load_b128 v[108:111], off, off offset:128
	scratch_load_b128 v[112:115], off, off offset:144
	scratch_load_b128 v[116:119], off, off offset:160
	scratch_load_b128 v[120:123], off, off offset:176
	scratch_load_b128 v[124:127], off, off offset:192
	scratch_load_b128 v[128:131], off, off offset:208
	scratch_load_b128 v[132:135], off, off offset:224
	scratch_load_b128 v[136:139], off, off offset:240
	scratch_load_b128 v[140:143], off, off offset:256
	scratch_load_b128 v[144:147], off, off offset:272
	scratch_load_b128 v[148:151], off, off offset:288
	scratch_load_b128 v[152:155], off, off offset:304
	scratch_load_b128 v[156:159], off, off offset:320
	scratch_load_b128 v[160:163], off, off offset:336
	scratch_load_b128 v[164:167], off, off offset:352
	scratch_load_b128 v[168:171], off, off offset:368
	scratch_load_b128 v[172:175], off, off offset:384
	scratch_load_b128 v[176:179], off, off offset:400
	scratch_load_b64 v[252:253], off, off offset:416
	scratch_load_b64 v[254:255], off, off offset:120
	v_mov_b32_e32 v5, 0
	ds_load_b128 v[180:183], v5 offset:784
	ds_load_b128 v[184:187], v5 offset:800
	;; [unrolled: 1-line block ×18, first 2 shown]
	s_set_vgpr_msb 64                       ;  msbs: dst=1 src0=0 src1=0 src2=0
	ds_load_b64 v[0:1] /*v[256:257]*/, v5 offset:848
	s_mov_b32 s0, exec_lo
	s_wait_dscnt 0x12
	v_dual_mov_b32 v2 /*v258*/, v183 :: v_dual_mov_b32 v3 /*v259*/, v182
	s_wait_dscnt 0x11
	v_dual_mov_b32 v4 /*v260*/, v187 :: v_dual_mov_b32 v5 /*v261*/, v186
	;; [unrolled: 2-line block ×4, first 2 shown]
	s_wait_loadcnt 0x13
	s_set_vgpr_msb 0                        ;  msbs: dst=0 src0=0 src1=0 src2=0
	v_dual_mul_f32 v9, v192, v109 :: v_dual_mul_f32 v63, v193, v109
	v_dual_mul_f32 v65, v195, v111 :: v_dual_mul_f32 v11, v194, v111
	s_wait_loadcnt 0x12
	v_mul_f32_e32 v13, v196, v113
	s_wait_loadcnt_dscnt 0x100b
	v_dual_mul_f32 v75, v209, v121 :: v_dual_fma_f32 v63, v192, v108, -v63
	v_dual_fmac_f32 v9, v193, v108 :: v_dual_mul_f32 v77, v211, v123
	v_dual_mul_f32 v67, v197, v113 :: v_dual_mul_f32 v69, v199, v115
	v_dual_fmac_f32 v11, v195, v110 :: v_dual_fma_f32 v65, v194, v110, -v65
	s_delay_alu instid0(VALU_DEP_3) | instskip(SKIP_4) | instid1(VALU_DEP_3)
	v_dual_add_f32 v9, 0, v9 :: v_dual_add_f32 v63, 0, v63
	v_dual_mul_f32 v15, v198, v115 :: v_dual_mul_f32 v17, v204, v117
	s_wait_loadcnt_dscnt 0xf0a
	v_dual_mul_f32 v79, v213, v125 :: v_dual_fma_f32 v67, v196, v112, -v67
	v_fmac_f32_e32 v13, v197, v112
	v_dual_add_f32 v9, v9, v11 :: v_dual_fmac_f32 v15, v199, v114
	v_add_f32_e32 v11, v63, v65
	v_dual_mul_f32 v71, v205, v117 :: v_dual_mul_f32 v73, v207, v119
	v_dual_mul_f32 v63, v215, v127 :: v_dual_fma_f32 v65, v198, v114, -v69
	s_delay_alu instid0(VALU_DEP_3) | instskip(SKIP_3) | instid1(VALU_DEP_3)
	v_dual_add_f32 v9, v9, v13 :: v_dual_add_f32 v11, v11, v67
	v_dual_mul_f32 v19, v206, v119 :: v_dual_mul_f32 v21, v208, v121
	s_wait_loadcnt_dscnt 0xe09
	v_dual_mul_f32 v13, v217, v129 :: v_dual_fma_f32 v67, v204, v116, -v71
	v_dual_fmac_f32 v17, v205, v116 :: v_dual_add_f32 v11, v11, v65
	s_delay_alu instid0(VALU_DEP_3) | instskip(SKIP_1) | instid1(VALU_DEP_2)
	v_dual_add_f32 v9, v9, v15 :: v_dual_fmac_f32 v19, v207, v118
	v_dual_mul_f32 v15, v219, v131 :: v_dual_fma_f32 v65, v206, v118, -v73
	v_dual_add_f32 v11, v11, v67 :: v_dual_add_f32 v9, v9, v17
	v_dual_mul_f32 v23, v210, v123 :: v_dual_mul_f32 v25, v212, v125
	s_wait_loadcnt_dscnt 0xd08
	v_dual_mul_f32 v17, v221, v133 :: v_dual_fma_f32 v67, v208, v120, -v75
	s_delay_alu instid0(VALU_DEP_3) | instskip(NEXT) | instid1(VALU_DEP_3)
	v_dual_fmac_f32 v21, v209, v120 :: v_dual_add_f32 v11, v11, v65
	v_dual_add_f32 v9, v9, v19 :: v_dual_fmac_f32 v23, v211, v122
	v_dual_mul_f32 v19, v223, v135 :: v_dual_fma_f32 v65, v210, v122, -v77
	s_delay_alu instid0(VALU_DEP_2) | instskip(SKIP_3) | instid1(VALU_DEP_3)
	v_dual_add_f32 v11, v11, v67 :: v_dual_add_f32 v9, v9, v21
	v_dual_mul_f32 v27, v214, v127 :: v_dual_mul_f32 v29, v216, v129
	s_wait_loadcnt_dscnt 0xc07
	v_dual_mul_f32 v21, v225, v137 :: v_dual_fma_f32 v67, v212, v124, -v79
	v_dual_fmac_f32 v25, v213, v124 :: v_dual_add_f32 v11, v11, v65
	s_delay_alu instid0(VALU_DEP_3) | instskip(SKIP_1) | instid1(VALU_DEP_2)
	v_dual_add_f32 v9, v9, v23 :: v_dual_fmac_f32 v27, v215, v126
	v_dual_mul_f32 v23, v227, v139 :: v_dual_fma_f32 v63, v214, v126, -v63
	v_dual_add_f32 v11, v11, v67 :: v_dual_add_f32 v9, v9, v25
	v_dual_mul_f32 v31, v218, v131 :: v_dual_mul_f32 v33, v220, v133
	s_wait_loadcnt_dscnt 0xb06
	v_dual_mul_f32 v25, v229, v141 :: v_dual_fma_f32 v13, v216, v128, -v13
	s_delay_alu instid0(VALU_DEP_3) | instskip(NEXT) | instid1(VALU_DEP_3)
	v_dual_fmac_f32 v29, v217, v128 :: v_dual_add_f32 v11, v11, v63
	v_dual_add_f32 v9, v9, v27 :: v_dual_fmac_f32 v31, v219, v130
	v_dual_mul_f32 v27, v231, v143 :: v_dual_fma_f32 v15, v218, v130, -v15
	s_delay_alu instid0(VALU_DEP_3) | instskip(NEXT) | instid1(VALU_DEP_3)
	v_dual_add_f32 v11, v11, v13 :: v_dual_fmac_f32 v33, v221, v132
	v_dual_add_f32 v9, v9, v29 :: v_dual_fma_f32 v17, v220, v132, -v17
	v_dual_mul_f32 v35, v222, v135 :: v_dual_mul_f32 v37, v224, v137
	s_wait_loadcnt_dscnt 0xa05
	s_delay_alu instid0(VALU_DEP_3) | instskip(NEXT) | instid1(VALU_DEP_2)
	v_dual_mul_f32 v13, v233, v145 :: v_dual_add_f32 v11, v11, v15
	v_dual_add_f32 v9, v9, v31 :: v_dual_fmac_f32 v35, v223, v134
	v_dual_mul_f32 v15, v235, v147 :: v_dual_fma_f32 v19, v222, v134, -v19
	s_delay_alu instid0(VALU_DEP_3) | instskip(NEXT) | instid1(VALU_DEP_3)
	v_dual_add_f32 v11, v11, v17 :: v_dual_fmac_f32 v37, v225, v136
	v_dual_add_f32 v9, v9, v33 :: v_dual_fma_f32 v21, v224, v136, -v21
	v_dual_mul_f32 v39, v226, v139 :: v_dual_mul_f32 v41, v228, v141
	s_wait_loadcnt_dscnt 0x904
	s_delay_alu instid0(VALU_DEP_3) | instskip(NEXT) | instid1(VALU_DEP_2)
	v_dual_mul_f32 v17, v237, v149 :: v_dual_add_f32 v11, v11, v19
	;; [unrolled: 9-line block ×5, first 2 shown]
	v_dual_add_f32 v9, v9, v47 :: v_dual_fmac_f32 v51, v239, v150
	v_dual_mul_f32 v15, v251, v163 :: v_dual_fma_f32 v19, v238, v150, -v19
	s_delay_alu instid0(VALU_DEP_3) | instskip(NEXT) | instid1(VALU_DEP_3)
	v_dual_add_f32 v11, v11, v17 :: v_dual_fmac_f32 v53, v241, v152
	v_dual_add_f32 v9, v9, v49 :: v_dual_fma_f32 v21, v240, v152, -v21
	v_dual_mul_f32 v55, v242, v155 :: v_dual_mul_f32 v57, v244, v157
	s_wait_loadcnt 0x5
	s_delay_alu instid0(VALU_DEP_3) | instskip(NEXT) | instid1(VALU_DEP_3)
	v_dual_mul_f32 v17, v181, v165 :: v_dual_add_f32 v11, v11, v19
	v_dual_add_f32 v9, v9, v51 :: v_dual_mov_b32 v108, v167
	s_delay_alu instid0(VALU_DEP_3) | instskip(NEXT) | instid1(VALU_DEP_3)
	v_fmac_f32_e32 v55, v243, v154
	v_dual_fma_f32 v19, v242, v154, -v23 :: v_dual_add_f32 v11, v11, v21
	s_delay_alu instid0(VALU_DEP_3) | instskip(SKIP_1) | instid1(VALU_DEP_3)
	v_dual_add_f32 v9, v9, v53 :: v_dual_mul_f32 v59, v246, v159
	v_dual_mul_f32 v61, v248, v161 :: v_dual_fmac_f32 v57, v245, v156
	v_dual_add_f32 v11, v11, v19 :: v_dual_fma_f32 v21, v244, v156, -v25
	s_wait_loadcnt 0x4
	s_delay_alu instid0(VALU_DEP_3) | instskip(SKIP_3) | instid1(VALU_DEP_4)
	v_dual_add_f32 v9, v9, v55 :: v_dual_mov_b32 v112, v171
	v_fma_f32 v19, v246, v158, -v27
	v_fmac_f32_e32 v59, v247, v158
	v_dual_add_f32 v11, v11, v21 :: v_dual_fmac_f32 v61, v249, v160
	v_add_f32_e32 v9, v9, v57
	s_set_vgpr_msb 64                       ;  msbs: dst=1 src0=0 src1=0 src2=0
	v_dual_mul_f32 v11 /*v267*/, v250, v163 :: v_dual_mul_f32 v13 /*v269*/, v180, v165
	s_set_vgpr_msb 0                        ;  msbs: dst=0 src0=0 src1=0 src2=0
	v_fma_f32 v13, v248, v160, -v13
	s_set_vgpr_msb 1                        ;  msbs: dst=0 src0=1 src1=0 src2=0
	v_pk_mul_f32 v[108:109], v[2:3] /*v[258:259]*/, v[108:109] op_sel_hi:[1,0]
	s_set_vgpr_msb 0                        ;  msbs: dst=0 src0=0 src1=0 src2=0
	v_add_f32_e32 v9, v9, v59
	v_add_f32_e32 v11, v11, v19
	s_set_vgpr_msb 64                       ;  msbs: dst=1 src0=0 src1=0 src2=0
	v_dual_fmac_f32 v11 /*v267*/, v251, v162 :: v_dual_fmac_f32 v13 /*v269*/, v181, v164
	v_dual_fma_f32 v10 /*v266*/, v250, v162, -v15 :: v_dual_fma_f32 v12 /*v268*/, v180, v164, -v17
	s_set_vgpr_msb 0                        ;  msbs: dst=0 src0=0 src1=0 src2=0
	v_add_f32_e32 v117, v9, v61
	v_pk_fma_f32 v[120:121], v[182:183], v[166:167], v[108:109] op_sel_hi:[1,0,1]
	v_add_f32_e32 v116, v11, v13
	v_pk_fma_f32 v[108:109], v[182:183], v[166:167], v[108:109] neg_lo:[0,0,1] neg_hi:[0,0,1]
	v_pk_mul_f32 v[110:111], v[184:185], v[168:169] op_sel:[1,1] op_sel_hi:[0,1]
	s_set_vgpr_msb 1                        ;  msbs: dst=0 src0=1 src1=0 src2=0
	v_pk_mul_f32 v[112:113], v[4:5] /*v[260:261]*/, v[112:113] op_sel_hi:[1,0]
	s_set_vgpr_msb 4                        ;  msbs: dst=0 src0=0 src1=1 src2=0
	v_mov_b32_e32 v109, v121
	v_pk_add_f32 v[116:117], v[116:117], v[10:11] /*v[266:267]*/
	s_wait_loadcnt 0x3
	s_set_vgpr_msb 0                        ;  msbs: dst=0 src0=0 src1=0 src2=0
	v_pk_mul_f32 v[114:115], v[188:189], v[172:173] op_sel:[1,1] op_sel_hi:[0,1]
	v_pk_fma_f32 v[122:123], v[184:185], v[168:169], v[110:111] op_sel_hi:[1,0,1]
	v_pk_fma_f32 v[110:111], v[184:185], v[168:169], v[110:111] neg_lo:[0,0,1] neg_hi:[0,0,1]
	v_mov_b32_e32 v118, v175
	s_set_vgpr_msb 4                        ;  msbs: dst=0 src0=0 src1=1 src2=0
	v_pk_add_f32 v[116:117], v[116:117], v[12:13] /*v[268:269]*/
	s_wait_loadcnt 0x2
	s_set_vgpr_msb 0                        ;  msbs: dst=0 src0=0 src1=0 src2=0
	v_pk_mul_f32 v[120:121], v[200:201], v[176:177] op_sel:[1,1] op_sel_hi:[0,1]
	v_mov_b32_e32 v111, v123
	v_pk_fma_f32 v[122:123], v[186:187], v[170:171], v[112:113] op_sel_hi:[1,0,1]
	v_pk_fma_f32 v[112:113], v[186:187], v[170:171], v[112:113] neg_lo:[0,0,1] neg_hi:[0,0,1]
	v_pk_add_f32 v[108:109], v[116:117], v[108:109]
	v_pk_fma_f32 v[116:117], v[188:189], v[172:173], v[114:115] op_sel_hi:[1,0,1]
	s_set_vgpr_msb 1                        ;  msbs: dst=0 src0=1 src1=0 src2=0
	v_pk_mul_f32 v[118:119], v[6:7] /*v[262:263]*/, v[118:119] op_sel_hi:[1,0]
	s_set_vgpr_msb 0                        ;  msbs: dst=0 src0=0 src1=0 src2=0
	v_mov_b32_e32 v113, v123
	v_pk_fma_f32 v[114:115], v[188:189], v[172:173], v[114:115] neg_lo:[0,0,1] neg_hi:[0,0,1]
	v_pk_add_f32 v[108:109], v[108:109], v[110:111]
	v_dual_mov_b32 v110, v179 :: v_dual_mov_b32 v115, v117
	v_pk_fma_f32 v[116:117], v[190:191], v[174:175], v[118:119] op_sel_hi:[1,0,1]
	v_pk_fma_f32 v[118:119], v[190:191], v[174:175], v[118:119] neg_lo:[0,0,1] neg_hi:[0,0,1]
	s_delay_alu instid0(VALU_DEP_4)
	v_pk_add_f32 v[108:109], v[108:109], v[112:113]
	v_pk_fma_f32 v[112:113], v[200:201], v[176:177], v[120:121] op_sel_hi:[1,0,1]
	s_set_vgpr_msb 1                        ;  msbs: dst=0 src0=1 src1=0 src2=0
	v_pk_mul_f32 v[110:111], v[8:9] /*v[264:265]*/, v[110:111] op_sel_hi:[1,0]
	s_set_vgpr_msb 0                        ;  msbs: dst=0 src0=0 src1=0 src2=0
	v_mov_b32_e32 v119, v117
	s_wait_loadcnt_dscnt 0x100
	s_set_vgpr_msb 1                        ;  msbs: dst=0 src0=1 src1=0 src2=0
	v_pk_mul_f32 v[116:117], v[0:1] /*v[256:257]*/, v[252:253] op_sel:[1,1] op_sel_hi:[0,1]
	s_set_vgpr_msb 0                        ;  msbs: dst=0 src0=0 src1=0 src2=0
	v_pk_add_f32 v[108:109], v[108:109], v[114:115]
	v_pk_fma_f32 v[114:115], v[200:201], v[176:177], v[120:121] neg_lo:[0,0,1] neg_hi:[0,0,1]
	v_mov_b32_e32 v115, v113
	v_pk_fma_f32 v[112:113], v[202:203], v[178:179], v[110:111] op_sel_hi:[1,0,1]
	v_pk_fma_f32 v[110:111], v[202:203], v[178:179], v[110:111] neg_lo:[0,0,1] neg_hi:[0,0,1]
	v_pk_add_f32 v[108:109], v[108:109], v[118:119]
	s_delay_alu instid0(VALU_DEP_3)
	v_mov_b32_e32 v111, v113
	s_set_vgpr_msb 1                        ;  msbs: dst=0 src0=1 src1=0 src2=0
	v_pk_fma_f32 v[112:113], v[0:1] /*v[256:257]*/, v[252:253], v[116:117] op_sel_hi:[1,0,1]
	s_set_vgpr_msb 0                        ;  msbs: dst=0 src0=0 src1=0 src2=0
	v_pk_add_f32 v[108:109], v[108:109], v[114:115]
	s_set_vgpr_msb 1                        ;  msbs: dst=0 src0=1 src1=0 src2=0
	v_pk_fma_f32 v[114:115], v[0:1] /*v[256:257]*/, v[252:253], v[116:117] neg_lo:[0,0,1] neg_hi:[0,0,1]
	s_set_vgpr_msb 0                        ;  msbs: dst=0 src0=0 src1=0 src2=0
	v_mov_b32_e32 v115, v113
	v_pk_add_f32 v[108:109], v[108:109], v[110:111]
	s_delay_alu instid0(VALU_DEP_1) | instskip(SKIP_1) | instid1(VALU_DEP_1)
	v_pk_add_f32 v[108:109], v[108:109], v[114:115]
	s_wait_loadcnt 0x0
	v_pk_add_f32 v[108:109], v[254:255], v[108:109] neg_lo:[0,1] neg_hi:[0,1]
	scratch_store_b64 off, v[108:109], off offset:120
	s_wait_xcnt 0x0
	v_cmpx_lt_u32_e32 14, v0
	s_cbranch_execz .LBB52_303
; %bb.302:
	scratch_load_b64 v[108:109], off, off offset:112
	v_mov_b64_e32 v[110:111], 0
	scratch_store_b64 off, v[110:111], off offset:112
	s_wait_loadcnt 0x0
	ds_store_b64 v1, v[108:109]
.LBB52_303:
	s_wait_xcnt 0x0
	s_or_b32 exec_lo, exec_lo, s0
	s_wait_storecnt_dscnt 0x0
	s_barrier_signal -1
	s_barrier_wait -1
	s_clause 0x14
	scratch_load_b128 v[108:111], off, off offset:120
	scratch_load_b128 v[112:115], off, off offset:136
	;; [unrolled: 1-line block ×19, first 2 shown]
	s_set_vgpr_msb 64                       ;  msbs: dst=1 src0=0 src1=0 src2=0
	scratch_load_b64 v[4:5] /*v[260:261]*/, off, off offset:112
	s_set_vgpr_msb 0                        ;  msbs: dst=0 src0=0 src1=0 src2=0
	ds_load_2addr_b64 v[184:187], v5 offset0:99 offset1:100
	ds_load_2addr_b64 v[188:191], v5 offset0:101 offset1:102
	;; [unrolled: 1-line block ×18, first 2 shown]
	s_set_vgpr_msb 64                       ;  msbs: dst=1 src0=0 src1=0 src2=0
	ds_load_2addr_b64 v[0:3] /*v[256:259]*/, v5 offset0:95 offset1:96
	s_mov_b32 s0, exec_lo
	s_wait_dscnt 0x12
	v_dual_mov_b32 v6 /*v262*/, v187 :: v_dual_mov_b32 v7 /*v263*/, v186
	s_wait_dscnt 0x11
	v_dual_mov_b32 v8 /*v264*/, v191 :: v_dual_mov_b32 v9 /*v265*/, v190
	;; [unrolled: 2-line block ×4, first 2 shown]
	s_wait_loadcnt_dscnt 0x130d
	s_set_vgpr_msb 0                        ;  msbs: dst=0 src0=0 src1=0 src2=0
	v_dual_mul_f32 v5, v204, v109 :: v_dual_mul_f32 v9, v206, v111
	v_dual_mul_f32 v63, v205, v109 :: v_dual_mul_f32 v65, v207, v111
	s_wait_loadcnt_dscnt 0x120c
	v_dual_mul_f32 v11, v208, v113 :: v_dual_mul_f32 v13, v210, v115
	s_delay_alu instid0(VALU_DEP_2) | instskip(SKIP_3) | instid1(VALU_DEP_3)
	v_dual_fmac_f32 v5, v205, v108 :: v_dual_fma_f32 v63, v204, v108, -v63
	v_dual_mul_f32 v67, v209, v113 :: v_dual_mul_f32 v69, v211, v115
	s_wait_loadcnt_dscnt 0x100a
	v_dual_mul_f32 v75, v217, v121 :: v_dual_fmac_f32 v9, v207, v110
	v_dual_fma_f32 v65, v206, v110, -v65 :: v_dual_add_f32 v5, 0, v5
	v_dual_add_f32 v63, 0, v63 :: v_dual_fmac_f32 v11, v209, v112
	v_dual_mul_f32 v77, v219, v123 :: v_dual_fma_f32 v67, v208, v112, -v67
	s_delay_alu instid0(VALU_DEP_3) | instskip(NEXT) | instid1(VALU_DEP_3)
	v_dual_add_f32 v5, v5, v9 :: v_dual_fmac_f32 v13, v211, v114
	v_dual_add_f32 v9, v63, v65 :: v_dual_fma_f32 v65, v210, v114, -v69
	v_dual_mul_f32 v15, v212, v117 :: v_dual_mul_f32 v17, v214, v119
	v_dual_mul_f32 v71, v213, v117 :: v_dual_mul_f32 v73, v215, v119
	s_delay_alu instid0(VALU_DEP_3) | instskip(NEXT) | instid1(VALU_DEP_3)
	v_add_f32_e32 v9, v9, v67
	v_dual_add_f32 v5, v5, v11 :: v_dual_fmac_f32 v17, v215, v118
	s_wait_loadcnt_dscnt 0xf09
	s_delay_alu instid0(VALU_DEP_3) | instskip(NEXT) | instid1(VALU_DEP_3)
	v_dual_fma_f32 v67, v212, v116, -v71 :: v_dual_mul_f32 v63, v221, v125
	v_dual_mul_f32 v11, v223, v127 :: v_dual_add_f32 v9, v9, v65
	v_dual_fmac_f32 v15, v213, v116 :: v_dual_fma_f32 v65, v214, v118, -v73
	v_add_f32_e32 v5, v5, v13
	v_dual_mul_f32 v19, v216, v121 :: v_dual_mul_f32 v21, v218, v123
	s_delay_alu instid0(VALU_DEP_4) | instskip(NEXT) | instid1(VALU_DEP_3)
	v_dual_add_f32 v9, v9, v67 :: v_dual_fma_f32 v63, v220, v124, -v63
	v_dual_add_f32 v5, v5, v15 :: v_dual_fma_f32 v67, v216, v120, -v75
	v_dual_mul_f32 v23, v220, v125 :: v_dual_mul_f32 v25, v222, v127
	s_delay_alu instid0(VALU_DEP_3) | instskip(SKIP_2) | instid1(VALU_DEP_3)
	v_dual_add_f32 v9, v9, v65 :: v_dual_fma_f32 v11, v222, v126, -v11
	s_wait_loadcnt_dscnt 0xe08
	v_dual_mul_f32 v27, v224, v129 :: v_dual_mul_f32 v29, v226, v131
	v_dual_fmac_f32 v19, v217, v120 :: v_dual_fmac_f32 v25, v223, v126
	v_dual_fma_f32 v65, v218, v122, -v77 :: v_dual_add_f32 v5, v5, v17
	s_delay_alu instid0(VALU_DEP_3)
	v_dual_add_f32 v9, v9, v67 :: v_dual_fmac_f32 v29, v227, v130
	s_wait_loadcnt_dscnt 0xd07
	v_dual_mul_f32 v31, v228, v133 :: v_dual_mul_f32 v33, v230, v135
	v_dual_mul_f32 v13, v225, v129 :: v_dual_fmac_f32 v21, v219, v122
	v_mul_f32_e32 v17, v229, v133
	v_add_f32_e32 v5, v5, v19
	v_dual_add_f32 v9, v9, v65 :: v_dual_mul_f32 v15, v227, v131
	s_delay_alu instid0(VALU_DEP_4) | instskip(NEXT) | instid1(VALU_DEP_3)
	v_fma_f32 v13, v224, v128, -v13
	v_dual_fmac_f32 v33, v231, v134 :: v_dual_add_f32 v5, v5, v21
	s_wait_loadcnt_dscnt 0xc06
	v_mul_f32_e32 v21, v233, v137
	s_wait_loadcnt_dscnt 0xb05
	v_dual_add_f32 v9, v9, v63 :: v_dual_mul_f32 v39, v236, v141
	v_dual_mul_f32 v41, v238, v143 :: v_dual_fmac_f32 v23, v221, v124
	s_delay_alu instid0(VALU_DEP_2) | instskip(SKIP_3) | instid1(VALU_DEP_3)
	v_dual_fma_f32 v21, v232, v136, -v21 :: v_dual_add_f32 v9, v9, v11
	s_wait_loadcnt_dscnt 0xa04
	v_dual_fma_f32 v15, v226, v130, -v15 :: v_dual_mul_f32 v43, v240, v145
	v_mul_f32_e32 v45, v242, v147
	v_dual_mul_f32 v19, v231, v135 :: v_dual_add_f32 v9, v9, v13
	v_dual_fmac_f32 v41, v239, v142 :: v_dual_mul_f32 v13, v239, v143
	s_delay_alu instid0(VALU_DEP_2) | instskip(SKIP_1) | instid1(VALU_DEP_4)
	v_dual_add_f32 v5, v5, v23 :: v_dual_fma_f32 v19, v230, v134, -v19
	v_dual_mul_f32 v23, v235, v139 :: v_dual_fma_f32 v17, v228, v132, -v17
	v_add_f32_e32 v9, v9, v15
	v_dual_mul_f32 v15, v241, v145 :: v_dual_fmac_f32 v43, v241, v144
	v_dual_fmac_f32 v27, v225, v128 :: v_dual_mul_f32 v35, v232, v137
	s_delay_alu instid0(VALU_DEP_2) | instskip(NEXT) | instid1(VALU_DEP_4)
	v_dual_mul_f32 v37, v234, v139 :: v_dual_fma_f32 v15, v240, v144, -v15
	v_dual_add_f32 v9, v9, v17 :: v_dual_mul_f32 v17, v243, v147
	s_wait_loadcnt_dscnt 0x903
	v_dual_mul_f32 v47, v244, v149 :: v_dual_mul_f32 v49, v246, v151
	s_delay_alu instid0(VALU_DEP_3) | instskip(NEXT) | instid1(VALU_DEP_3)
	v_dual_add_f32 v5, v5, v25 :: v_dual_fmac_f32 v37, v235, v138
	v_dual_fma_f32 v17, v242, v146, -v17 :: v_dual_add_f32 v9, v9, v19
	s_delay_alu instid0(VALU_DEP_3) | instskip(SKIP_2) | instid1(VALU_DEP_4)
	v_dual_fmac_f32 v49, v247, v150 :: v_dual_mul_f32 v11, v237, v141
	v_fma_f32 v23, v234, v138, -v23
	v_dual_fmac_f32 v31, v229, v132 :: v_dual_fma_f32 v13, v238, v142, -v13
	v_dual_add_f32 v9, v9, v21 :: v_dual_mul_f32 v21, v247, v151
	s_delay_alu instid0(VALU_DEP_4) | instskip(SKIP_1) | instid1(VALU_DEP_3)
	v_dual_add_f32 v5, v5, v27 :: v_dual_fma_f32 v11, v236, v140, -v11
	v_fmac_f32_e32 v35, v233, v136
	v_add_f32_e32 v9, v9, v23
	v_dual_mul_f32 v19, v245, v149 :: v_dual_fmac_f32 v47, v245, v148
	s_delay_alu instid0(VALU_DEP_4) | instskip(NEXT) | instid1(VALU_DEP_3)
	v_dual_add_f32 v5, v5, v29 :: v_dual_fmac_f32 v45, v243, v146
	v_add_f32_e32 v9, v9, v11
	s_wait_loadcnt_dscnt 0x802
	v_mul_f32_e32 v11, v251, v155
	s_wait_loadcnt 0x4
	v_pk_mul_f32 v[108:109], v[184:185], v[168:169] op_sel:[1,1] op_sel_hi:[0,1]
	v_dual_add_f32 v5, v5, v31 :: v_dual_fma_f32 v19, v244, v148, -v19
	v_dual_add_f32 v9, v9, v13 :: v_dual_mov_b32 v110, v171
	s_delay_alu instid0(VALU_DEP_3) | instskip(NEXT) | instid1(VALU_DEP_3)
	v_pk_fma_f32 v[118:119], v[184:185], v[168:169], v[108:109] op_sel_hi:[1,0,1]
	v_add_f32_e32 v5, v5, v33
	v_pk_fma_f32 v[108:109], v[184:185], v[168:169], v[108:109] neg_lo:[0,0,1] neg_hi:[0,0,1]
	s_delay_alu instid0(VALU_DEP_4)
	v_add_f32_e32 v9, v9, v15
	s_wait_dscnt 0x1
	v_dual_mul_f32 v15, v255, v159 :: v_dual_mul_f32 v51, v248, v153
	v_mul_f32_e32 v53, v250, v155
	v_dual_add_f32 v5, v5, v35 :: v_dual_fma_f32 v21, v246, v150, -v21
	v_dual_fmac_f32 v39, v237, v140 :: v_dual_mov_b32 v109, v119
	v_add_f32_e32 v9, v9, v17
	s_delay_alu instid0(VALU_DEP_3) | instskip(SKIP_2) | instid1(VALU_DEP_4)
	v_dual_add_f32 v5, v5, v37 :: v_dual_fma_f32 v11, v250, v154, -v11
	v_dual_mul_f32 v55, v252, v157 :: v_dual_mul_f32 v57, v254, v159
	v_dual_mul_f32 v23, v249, v153 :: v_dual_fmac_f32 v51, v249, v152
	v_dual_add_f32 v9, v9, v19 :: v_dual_fmac_f32 v53, v251, v154
	s_delay_alu instid0(VALU_DEP_3) | instskip(NEXT) | instid1(VALU_DEP_2)
	v_dual_add_f32 v5, v5, v39 :: v_dual_fmac_f32 v57, v255, v158
	v_dual_fma_f32 v23, v248, v152, -v23 :: v_dual_add_f32 v9, v9, v21
	s_set_vgpr_msb 1                        ;  msbs: dst=0 src0=1 src1=0 src2=0
	v_pk_mul_f32 v[110:111], v[6:7] /*v[262:263]*/, v[110:111] op_sel_hi:[1,0]
	s_set_vgpr_msb 0                        ;  msbs: dst=0 src0=0 src1=0 src2=0
	v_add_f32_e32 v5, v5, v41
	s_wait_loadcnt 0x3
	v_pk_mul_f32 v[112:113], v[188:189], v[172:173] op_sel:[1,1] op_sel_hi:[0,1]
	v_dual_mov_b32 v114, v175 :: v_dual_add_f32 v9, v9, v23
	v_mul_f32_e32 v23, v195, v167
	v_add_f32_e32 v5, v5, v43
	v_pk_fma_f32 v[118:119], v[186:187], v[170:171], v[110:111] op_sel_hi:[1,0,1]
	v_pk_fma_f32 v[110:111], v[186:187], v[170:171], v[110:111] neg_lo:[0,0,1] neg_hi:[0,0,1]
	v_pk_fma_f32 v[122:123], v[188:189], v[172:173], v[112:113] op_sel_hi:[1,0,1]
	v_pk_fma_f32 v[112:113], v[188:189], v[172:173], v[112:113] neg_lo:[0,0,1] neg_hi:[0,0,1]
	s_delay_alu instid0(VALU_DEP_4) | instskip(SKIP_1) | instid1(VALU_DEP_2)
	v_dual_add_f32 v5, v5, v45 :: v_dual_mov_b32 v111, v119
	v_dual_mul_f32 v13, v253, v157 :: v_dual_fmac_f32 v55, v253, v156
	v_dual_mov_b32 v113, v123 :: v_dual_add_f32 v5, v5, v47
	s_delay_alu instid0(VALU_DEP_2)
	v_dual_add_f32 v9, v9, v11 :: v_dual_fma_f32 v13, v252, v156, -v13
	s_wait_dscnt 0x0
	s_set_vgpr_msb 1                        ;  msbs: dst=0 src0=1 src1=0 src2=0
	v_dual_mul_f32 v59, v0 /*v256*/, v161 :: v_dual_mul_f32 v61, v2 /*v258*/, v163
	s_set_vgpr_msb 0                        ;  msbs: dst=0 src0=0 src1=0 src2=0
	v_add_f32_e32 v5, v5, v49
	s_set_vgpr_msb 1                        ;  msbs: dst=0 src0=1 src1=0 src2=0
	v_dual_mul_f32 v17, v1 /*v257*/, v161 :: v_dual_mul_f32 v19, v3 /*v259*/, v163
	s_set_vgpr_msb 0                        ;  msbs: dst=0 src0=0 src1=0 src2=0
	v_dual_fma_f32 v11, v254, v158, -v15 :: v_dual_add_f32 v9, v9, v13
	v_add_f32_e32 v5, v5, v51
	s_set_vgpr_msb 1                        ;  msbs: dst=0 src0=1 src1=0 src2=0
	v_dual_fmac_f32 v59, v1 /*v257*/, v160 :: v_dual_fma_f32 v13, v0 /*v256*/, v160, -v17
	s_set_vgpr_msb 64                       ;  msbs: dst=1 src0=0 src1=0 src2=0
	v_dual_mul_f32 v15 /*v271*/, v192, v165 :: v_dual_mul_f32 v17 /*v273*/, v194, v167
	s_set_vgpr_msb 0                        ;  msbs: dst=0 src0=0 src1=0 src2=0
	v_add_f32_e32 v5, v5, v53
	v_add_f32_e32 v9, v9, v11
	v_mul_f32_e32 v21, v193, v165
	s_set_vgpr_msb 1                        ;  msbs: dst=0 src0=1 src1=0 src2=0
	v_dual_fmac_f32 v61, v3 /*v259*/, v162 :: v_dual_fma_f32 v11, v2 /*v258*/, v162, -v19
	s_set_vgpr_msb 0                        ;  msbs: dst=0 src0=0 src1=0 src2=0
	v_add_f32_e32 v5, v5, v55
	v_add_f32_e32 v9, v9, v13
	s_set_vgpr_msb 64                       ;  msbs: dst=1 src0=0 src1=0 src2=0
	v_dual_fmac_f32 v15 /*v271*/, v193, v164 :: v_dual_fmac_f32 v17 /*v273*/, v195, v166
	v_dual_fma_f32 v14 /*v270*/, v192, v164, -v21 :: v_dual_fma_f32 v16 /*v272*/, v194, v166, -v23
	s_set_vgpr_msb 0                        ;  msbs: dst=0 src0=0 src1=0 src2=0
	v_add_f32_e32 v5, v5, v57
	v_add_f32_e32 v116, v9, v11
	s_set_vgpr_msb 1                        ;  msbs: dst=0 src0=1 src1=0 src2=0
	v_pk_mul_f32 v[114:115], v[8:9] /*v[264:265]*/, v[114:115] op_sel_hi:[1,0]
	s_wait_loadcnt 0x2
	s_set_vgpr_msb 0                        ;  msbs: dst=0 src0=0 src1=0 src2=0
	v_pk_mul_f32 v[120:121], v[196:197], v[176:177] op_sel:[1,1] op_sel_hi:[0,1]
	v_add_f32_e32 v5, v5, v59
	v_pk_fma_f32 v[118:119], v[190:191], v[174:175], v[114:115] op_sel_hi:[1,0,1]
	v_pk_fma_f32 v[114:115], v[190:191], v[174:175], v[114:115] neg_lo:[0,0,1] neg_hi:[0,0,1]
	s_delay_alu instid0(VALU_DEP_2) | instskip(SKIP_2) | instid1(VALU_DEP_2)
	v_dual_add_f32 v117, v5, v61 :: v_dual_mov_b32 v115, v119
	v_pk_fma_f32 v[118:119], v[196:197], v[176:177], v[120:121] neg_lo:[0,0,1] neg_hi:[0,0,1]
	s_set_vgpr_msb 4                        ;  msbs: dst=0 src0=0 src1=1 src2=0
	v_pk_add_f32 v[116:117], v[116:117], v[14:15] /*v[270:271]*/
	s_delay_alu instid0(VALU_DEP_1) | instskip(SKIP_1) | instid1(VALU_DEP_1)
	v_pk_add_f32 v[116:117], v[116:117], v[16:17] /*v[272:273]*/
	s_set_vgpr_msb 0                        ;  msbs: dst=0 src0=0 src1=0 src2=0
	v_pk_add_f32 v[108:109], v[116:117], v[108:109]
	v_mov_b32_e32 v116, v179
	s_delay_alu instid0(VALU_DEP_2) | instskip(SKIP_2) | instid1(VALU_DEP_3)
	v_pk_add_f32 v[108:109], v[108:109], v[110:111]
	v_pk_fma_f32 v[110:111], v[196:197], v[176:177], v[120:121] op_sel_hi:[1,0,1]
	s_set_vgpr_msb 1                        ;  msbs: dst=0 src0=1 src1=0 src2=0
	v_pk_mul_f32 v[116:117], v[10:11] /*v[266:267]*/, v[116:117] op_sel_hi:[1,0]
	s_set_vgpr_msb 0                        ;  msbs: dst=0 src0=0 src1=0 src2=0
	v_pk_add_f32 v[108:109], v[108:109], v[112:113]
	v_mov_b32_e32 v119, v111
	s_delay_alu instid0(VALU_DEP_3)
	v_pk_fma_f32 v[110:111], v[198:199], v[178:179], v[116:117] op_sel_hi:[1,0,1]
	s_wait_loadcnt 0x1
	v_pk_mul_f32 v[112:113], v[200:201], v[180:181] op_sel:[1,1] op_sel_hi:[0,1]
	v_mov_b32_e32 v110, v183
	v_pk_add_f32 v[108:109], v[108:109], v[114:115]
	v_pk_fma_f32 v[116:117], v[198:199], v[178:179], v[116:117] neg_lo:[0,0,1] neg_hi:[0,0,1]
	v_mov_b32_e32 v117, v111
	v_pk_fma_f32 v[114:115], v[200:201], v[180:181], v[112:113] op_sel_hi:[1,0,1]
	s_set_vgpr_msb 1                        ;  msbs: dst=0 src0=1 src1=0 src2=0
	v_pk_mul_f32 v[110:111], v[12:13] /*v[268:269]*/, v[110:111] op_sel_hi:[1,0]
	s_set_vgpr_msb 0                        ;  msbs: dst=0 src0=0 src1=0 src2=0
	v_pk_add_f32 v[108:109], v[108:109], v[118:119]
	v_pk_fma_f32 v[112:113], v[200:201], v[180:181], v[112:113] neg_lo:[0,0,1] neg_hi:[0,0,1]
	v_mov_b32_e32 v113, v115
	v_pk_fma_f32 v[114:115], v[202:203], v[182:183], v[110:111] op_sel_hi:[1,0,1]
	s_delay_alu instid0(VALU_DEP_4) | instskip(SKIP_1) | instid1(VALU_DEP_3)
	v_pk_add_f32 v[108:109], v[108:109], v[116:117]
	v_pk_fma_f32 v[110:111], v[202:203], v[182:183], v[110:111] neg_lo:[0,0,1] neg_hi:[0,0,1]
	v_mov_b32_e32 v111, v115
	s_delay_alu instid0(VALU_DEP_3) | instskip(NEXT) | instid1(VALU_DEP_1)
	v_pk_add_f32 v[108:109], v[108:109], v[112:113]
	v_pk_add_f32 v[108:109], v[108:109], v[110:111]
	s_wait_loadcnt 0x0
	s_set_vgpr_msb 1                        ;  msbs: dst=0 src0=1 src1=0 src2=0
	s_delay_alu instid0(VALU_DEP_1)
	v_pk_add_f32 v[108:109], v[4:5] /*v[260:261]*/, v[108:109] neg_lo:[0,1] neg_hi:[0,1]
	scratch_store_b64 off, v[108:109], off offset:112
	s_wait_xcnt 0x0
	v_cmpx_lt_u32_e32 13, v0
	s_set_vgpr_msb 0                        ;  msbs: dst=0 src0=0 src1=0 src2=0
	s_cbranch_execz .LBB52_305
; %bb.304:
	scratch_load_b64 v[108:109], off, off offset:104
	v_mov_b64_e32 v[110:111], 0
	scratch_store_b64 off, v[110:111], off offset:104
	s_wait_loadcnt 0x0
	ds_store_b64 v1, v[108:109]
.LBB52_305:
	s_wait_xcnt 0x0
	s_or_b32 exec_lo, exec_lo, s0
	s_wait_storecnt_dscnt 0x0
	s_barrier_signal -1
	s_barrier_wait -1
	s_clause 0x15
	scratch_load_b128 v[108:111], off, off offset:112
	scratch_load_b128 v[112:115], off, off offset:128
	;; [unrolled: 1-line block ×19, first 2 shown]
	s_set_vgpr_msb 64                       ;  msbs: dst=1 src0=0 src1=0 src2=0
	scratch_load_b64 v[4:5] /*v[260:261]*/, off, off offset:416
	scratch_load_b64 v[6:7] /*v[262:263]*/, off, off offset:104
	s_set_vgpr_msb 0                        ;  msbs: dst=0 src0=0 src1=0 src2=0
	v_mov_b32_e32 v5, 0
	ds_load_b128 v[184:187], v5 offset:784
	ds_load_b128 v[188:191], v5 offset:768
	;; [unrolled: 1-line block ×18, first 2 shown]
	s_set_vgpr_msb 64                       ;  msbs: dst=1 src0=0 src1=0 src2=0
	ds_load_b128 v[0:3] /*v[256:259]*/, v5 offset:752
	ds_load_b64 v[8:9] /*v[264:265]*/, v5 offset:848
	s_wait_dscnt 0x13
	v_dual_mov_b32 v10 /*v266*/, v187 :: v_dual_mov_b32 v11 /*v267*/, v186
	s_wait_dscnt 0x11
	v_dual_mov_b32 v12 /*v268*/, v195 :: v_dual_mov_b32 v13 /*v269*/, v194
	;; [unrolled: 2-line block ×4, first 2 shown]
	s_mov_b32 s0, exec_lo
	s_wait_loadcnt 0x14
	s_set_vgpr_msb 0                        ;  msbs: dst=0 src0=0 src1=0 src2=0
	v_dual_mul_f32 v9, v200, v109 :: v_dual_mul_f32 v67, v201, v109
	v_dual_mul_f32 v69, v203, v111 :: v_dual_mul_f32 v11, v202, v111
	s_wait_loadcnt 0x13
	v_mul_f32_e32 v13, v204, v113
	s_wait_loadcnt_dscnt 0x110b
	v_dual_mul_f32 v79, v217, v121 :: v_dual_fma_f32 v67, v200, v108, -v67
	v_dual_fmac_f32 v9, v201, v108 :: v_dual_mul_f32 v81, v219, v123
	v_dual_mul_f32 v71, v205, v113 :: v_dual_mul_f32 v73, v207, v115
	v_dual_fmac_f32 v11, v203, v110 :: v_dual_fma_f32 v69, v202, v110, -v69
	s_delay_alu instid0(VALU_DEP_3) | instskip(SKIP_4) | instid1(VALU_DEP_3)
	v_dual_add_f32 v9, 0, v9 :: v_dual_add_f32 v67, 0, v67
	v_dual_mul_f32 v15, v206, v115 :: v_dual_mul_f32 v17, v212, v117
	s_wait_loadcnt_dscnt 0x100a
	v_dual_mul_f32 v83, v221, v125 :: v_dual_fma_f32 v71, v204, v112, -v71
	v_fmac_f32_e32 v13, v205, v112
	v_dual_add_f32 v9, v9, v11 :: v_dual_fmac_f32 v15, v207, v114
	v_add_f32_e32 v11, v67, v69
	v_dual_mul_f32 v75, v213, v117 :: v_dual_mul_f32 v77, v215, v119
	v_dual_mul_f32 v67, v223, v127 :: v_dual_fma_f32 v69, v206, v114, -v73
	s_delay_alu instid0(VALU_DEP_3) | instskip(SKIP_3) | instid1(VALU_DEP_3)
	v_dual_add_f32 v9, v9, v13 :: v_dual_add_f32 v11, v11, v71
	v_dual_mul_f32 v19, v214, v119 :: v_dual_mul_f32 v21, v216, v121
	s_wait_loadcnt_dscnt 0xf09
	v_dual_mul_f32 v13, v225, v129 :: v_dual_fma_f32 v71, v212, v116, -v75
	v_dual_fmac_f32 v17, v213, v116 :: v_dual_add_f32 v11, v11, v69
	s_delay_alu instid0(VALU_DEP_3) | instskip(SKIP_1) | instid1(VALU_DEP_2)
	v_dual_add_f32 v9, v9, v15 :: v_dual_fmac_f32 v19, v215, v118
	v_dual_mul_f32 v15, v227, v131 :: v_dual_fma_f32 v69, v214, v118, -v77
	v_dual_add_f32 v11, v11, v71 :: v_dual_add_f32 v9, v9, v17
	v_dual_mul_f32 v23, v218, v123 :: v_dual_mul_f32 v25, v220, v125
	s_wait_loadcnt_dscnt 0xe08
	v_dual_mul_f32 v17, v229, v133 :: v_dual_fma_f32 v71, v216, v120, -v79
	s_delay_alu instid0(VALU_DEP_3) | instskip(NEXT) | instid1(VALU_DEP_3)
	v_dual_fmac_f32 v21, v217, v120 :: v_dual_add_f32 v11, v11, v69
	v_dual_add_f32 v9, v9, v19 :: v_dual_fmac_f32 v23, v219, v122
	v_dual_mul_f32 v19, v231, v135 :: v_dual_fma_f32 v69, v218, v122, -v81
	s_delay_alu instid0(VALU_DEP_2) | instskip(SKIP_3) | instid1(VALU_DEP_3)
	v_dual_add_f32 v11, v11, v71 :: v_dual_add_f32 v9, v9, v21
	v_dual_mul_f32 v27, v222, v127 :: v_dual_mul_f32 v29, v224, v129
	s_wait_loadcnt_dscnt 0xd07
	v_dual_mul_f32 v21, v233, v137 :: v_dual_fma_f32 v71, v220, v124, -v83
	v_dual_fmac_f32 v25, v221, v124 :: v_dual_add_f32 v11, v11, v69
	s_delay_alu instid0(VALU_DEP_3) | instskip(SKIP_1) | instid1(VALU_DEP_2)
	v_dual_add_f32 v9, v9, v23 :: v_dual_fmac_f32 v27, v223, v126
	v_dual_mul_f32 v23, v235, v139 :: v_dual_fma_f32 v67, v222, v126, -v67
	v_dual_add_f32 v11, v11, v71 :: v_dual_add_f32 v9, v9, v25
	v_dual_mul_f32 v31, v226, v131 :: v_dual_mul_f32 v33, v228, v133
	s_wait_loadcnt_dscnt 0xc06
	v_dual_mul_f32 v25, v237, v141 :: v_dual_fma_f32 v13, v224, v128, -v13
	s_delay_alu instid0(VALU_DEP_3) | instskip(NEXT) | instid1(VALU_DEP_3)
	v_dual_fmac_f32 v29, v225, v128 :: v_dual_add_f32 v11, v11, v67
	v_dual_add_f32 v9, v9, v27 :: v_dual_fmac_f32 v31, v227, v130
	v_dual_mul_f32 v27, v239, v143 :: v_dual_fma_f32 v15, v226, v130, -v15
	s_delay_alu instid0(VALU_DEP_3) | instskip(NEXT) | instid1(VALU_DEP_3)
	v_dual_add_f32 v11, v11, v13 :: v_dual_fmac_f32 v33, v229, v132
	v_dual_add_f32 v9, v9, v29 :: v_dual_fma_f32 v17, v228, v132, -v17
	v_dual_mul_f32 v35, v230, v135 :: v_dual_mul_f32 v37, v232, v137
	s_wait_loadcnt_dscnt 0xb05
	s_delay_alu instid0(VALU_DEP_3) | instskip(NEXT) | instid1(VALU_DEP_2)
	v_dual_mul_f32 v13, v241, v145 :: v_dual_add_f32 v11, v11, v15
	v_dual_add_f32 v9, v9, v31 :: v_dual_fmac_f32 v35, v231, v134
	v_dual_mul_f32 v15, v243, v147 :: v_dual_fma_f32 v19, v230, v134, -v19
	s_delay_alu instid0(VALU_DEP_3) | instskip(NEXT) | instid1(VALU_DEP_3)
	v_dual_add_f32 v11, v11, v17 :: v_dual_fmac_f32 v37, v233, v136
	v_dual_add_f32 v9, v9, v33 :: v_dual_fma_f32 v21, v232, v136, -v21
	v_dual_mul_f32 v39, v234, v139 :: v_dual_mul_f32 v41, v236, v141
	s_wait_loadcnt_dscnt 0xa04
	s_delay_alu instid0(VALU_DEP_3) | instskip(NEXT) | instid1(VALU_DEP_2)
	v_dual_mul_f32 v17, v245, v149 :: v_dual_add_f32 v11, v11, v19
	;; [unrolled: 9-line block ×4, first 2 shown]
	v_dual_add_f32 v9, v9, v43 :: v_dual_fmac_f32 v47, v243, v146
	v_dual_mul_f32 v27, v255, v159 :: v_dual_fma_f32 v15, v242, v146, -v15
	s_delay_alu instid0(VALU_DEP_3) | instskip(NEXT) | instid1(VALU_DEP_3)
	v_dual_add_f32 v11, v11, v13 :: v_dual_fmac_f32 v49, v245, v148
	v_dual_add_f32 v9, v9, v45 :: v_dual_fma_f32 v17, v244, v148, -v17
	v_dual_mul_f32 v51, v246, v151 :: v_dual_mul_f32 v53, v248, v153
	s_delay_alu instid0(VALU_DEP_3) | instskip(NEXT) | instid1(VALU_DEP_2)
	v_dual_add_f32 v11, v11, v15 :: v_dual_fma_f32 v19, v246, v150, -v19
	v_dual_add_f32 v9, v9, v47 :: v_dual_fmac_f32 v51, v247, v150
	v_dual_mul_f32 v55, v250, v155 :: v_dual_mul_f32 v57, v252, v157
	s_delay_alu instid0(VALU_DEP_3) | instskip(NEXT) | instid1(VALU_DEP_3)
	v_dual_add_f32 v11, v11, v17 :: v_dual_fmac_f32 v53, v249, v152
	v_dual_add_f32 v9, v9, v49 :: v_dual_fma_f32 v21, v248, v152, -v21
	s_wait_loadcnt 0x6
	s_delay_alu instid0(VALU_DEP_2) | instskip(SKIP_1) | instid1(VALU_DEP_3)
	v_dual_mul_f32 v17, v189, v165 :: v_dual_add_f32 v11, v11, v19
	v_dual_mul_f32 v19, v191, v167 :: v_dual_fma_f32 v23, v250, v154, -v23
	v_dual_add_f32 v9, v9, v51 :: v_dual_fmac_f32 v55, v251, v154
	s_delay_alu instid0(VALU_DEP_3) | instskip(SKIP_1) | instid1(VALU_DEP_3)
	v_dual_add_f32 v11, v11, v21 :: v_dual_fmac_f32 v57, v253, v156
	v_dual_mul_f32 v59, v254, v159 :: v_dual_mul_f32 v65, v188, v165
	v_dual_add_f32 v9, v9, v53 :: v_dual_fma_f32 v25, v252, v156, -v25
	s_wait_loadcnt 0x5
	s_delay_alu instid0(VALU_DEP_3)
	v_dual_mul_f32 v21, v185, v169 :: v_dual_add_f32 v11, v11, v23
	s_wait_dscnt 0x1
	s_set_vgpr_msb 1                        ;  msbs: dst=0 src0=1 src1=0 src2=0
	v_dual_mul_f32 v61, v0 /*v256*/, v161 :: v_dual_mul_f32 v63, v2 /*v258*/, v163
	s_set_vgpr_msb 0                        ;  msbs: dst=0 src0=0 src1=0 src2=0
	v_dual_add_f32 v9, v9, v55 :: v_dual_mov_b32 v108, v171
	s_set_vgpr_msb 1                        ;  msbs: dst=0 src0=1 src1=0 src2=0
	v_dual_mul_f32 v13, v1 /*v257*/, v161 :: v_dual_mul_f32 v15, v3 /*v259*/, v163
	s_set_vgpr_msb 0                        ;  msbs: dst=0 src0=0 src1=0 src2=0
	s_delay_alu instid0(VALU_DEP_2)
	v_dual_fmac_f32 v59, v255, v158 :: v_dual_add_f32 v9, v9, v57
	v_dual_fma_f32 v23, v254, v158, -v27 :: v_dual_add_f32 v11, v11, v25
	s_set_vgpr_msb 1                        ;  msbs: dst=0 src0=1 src1=0 src2=0
	v_dual_fmac_f32 v61, v1 /*v257*/, v160 :: v_dual_fmac_f32 v63, v3 /*v259*/, v162
	v_dual_fma_f32 v13, v0 /*v256*/, v160, -v13 :: v_dual_fma_f32 v15, v2 /*v258*/, v162, -v15
	s_wait_loadcnt 0x4
	s_set_vgpr_msb 0                        ;  msbs: dst=0 src0=0 src1=0 src2=0
	v_dual_add_f32 v9, v9, v59 :: v_dual_mov_b32 v112, v175
	v_add_f32_e32 v11, v11, v23
	s_set_vgpr_msb 64                       ;  msbs: dst=1 src0=0 src1=0 src2=0
	v_dual_mul_f32 v19 /*v275*/, v190, v167 :: v_dual_mul_f32 v21 /*v277*/, v184, v169
	s_set_vgpr_msb 0                        ;  msbs: dst=0 src0=0 src1=0 src2=0
	v_add_f32_e32 v9, v9, v61
	v_dual_fmac_f32 v65, v189, v164 :: v_dual_add_f32 v11, v11, v13
	v_fma_f32 v13, v188, v164, -v17
	s_set_vgpr_msb 1                        ;  msbs: dst=0 src0=1 src1=0 src2=0
	v_pk_mul_f32 v[108:109], v[10:11] /*v[266:267]*/, v[108:109] op_sel_hi:[1,0]
	s_set_vgpr_msb 0                        ;  msbs: dst=0 src0=0 src1=0 src2=0
	v_add_f32_e32 v9, v9, v63
	s_set_vgpr_msb 64                       ;  msbs: dst=1 src0=0 src1=0 src2=0
	v_dual_fmac_f32 v19 /*v275*/, v191, v166 :: v_dual_fmac_f32 v21 /*v277*/, v185, v168
	s_set_vgpr_msb 0                        ;  msbs: dst=0 src0=0 src1=0 src2=0
	v_add_f32_e32 v11, v11, v15
	s_set_vgpr_msb 64                       ;  msbs: dst=1 src0=0 src1=0 src2=0
	v_dual_fma_f32 v18 /*v274*/, v190, v166, -v19 :: v_dual_fma_f32 v20 /*v276*/, v184, v168, -v21
	s_set_vgpr_msb 0                        ;  msbs: dst=0 src0=0 src1=0 src2=0
	v_add_f32_e32 v117, v9, v65
	v_pk_fma_f32 v[120:121], v[186:187], v[170:171], v[108:109] op_sel_hi:[1,0,1]
	v_add_f32_e32 v116, v11, v13
	v_pk_fma_f32 v[108:109], v[186:187], v[170:171], v[108:109] neg_lo:[0,0,1] neg_hi:[0,0,1]
	v_pk_mul_f32 v[110:111], v[192:193], v[172:173] op_sel:[1,1] op_sel_hi:[0,1]
	s_set_vgpr_msb 1                        ;  msbs: dst=0 src0=1 src1=0 src2=0
	v_pk_mul_f32 v[112:113], v[12:13] /*v[268:269]*/, v[112:113] op_sel_hi:[1,0]
	s_set_vgpr_msb 4                        ;  msbs: dst=0 src0=0 src1=1 src2=0
	v_mov_b32_e32 v109, v121
	v_pk_add_f32 v[116:117], v[116:117], v[18:19] /*v[274:275]*/
	s_wait_loadcnt 0x3
	s_set_vgpr_msb 0                        ;  msbs: dst=0 src0=0 src1=0 src2=0
	v_pk_mul_f32 v[114:115], v[196:197], v[176:177] op_sel:[1,1] op_sel_hi:[0,1]
	v_pk_fma_f32 v[122:123], v[192:193], v[172:173], v[110:111] op_sel_hi:[1,0,1]
	v_pk_fma_f32 v[110:111], v[192:193], v[172:173], v[110:111] neg_lo:[0,0,1] neg_hi:[0,0,1]
	v_mov_b32_e32 v118, v179
	s_set_vgpr_msb 4                        ;  msbs: dst=0 src0=0 src1=1 src2=0
	v_pk_add_f32 v[116:117], v[116:117], v[20:21] /*v[276:277]*/
	s_wait_loadcnt 0x2
	s_set_vgpr_msb 0                        ;  msbs: dst=0 src0=0 src1=0 src2=0
	v_pk_mul_f32 v[120:121], v[208:209], v[180:181] op_sel:[1,1] op_sel_hi:[0,1]
	v_mov_b32_e32 v111, v123
	v_pk_fma_f32 v[122:123], v[194:195], v[174:175], v[112:113] op_sel_hi:[1,0,1]
	v_pk_fma_f32 v[112:113], v[194:195], v[174:175], v[112:113] neg_lo:[0,0,1] neg_hi:[0,0,1]
	v_pk_add_f32 v[108:109], v[116:117], v[108:109]
	v_pk_fma_f32 v[116:117], v[196:197], v[176:177], v[114:115] op_sel_hi:[1,0,1]
	s_set_vgpr_msb 1                        ;  msbs: dst=0 src0=1 src1=0 src2=0
	v_pk_mul_f32 v[118:119], v[14:15] /*v[270:271]*/, v[118:119] op_sel_hi:[1,0]
	s_set_vgpr_msb 0                        ;  msbs: dst=0 src0=0 src1=0 src2=0
	v_mov_b32_e32 v113, v123
	v_pk_fma_f32 v[114:115], v[196:197], v[176:177], v[114:115] neg_lo:[0,0,1] neg_hi:[0,0,1]
	v_pk_add_f32 v[108:109], v[108:109], v[110:111]
	v_dual_mov_b32 v110, v183 :: v_dual_mov_b32 v115, v117
	v_pk_fma_f32 v[116:117], v[198:199], v[178:179], v[118:119] op_sel_hi:[1,0,1]
	v_pk_fma_f32 v[118:119], v[198:199], v[178:179], v[118:119] neg_lo:[0,0,1] neg_hi:[0,0,1]
	s_delay_alu instid0(VALU_DEP_4)
	v_pk_add_f32 v[108:109], v[108:109], v[112:113]
	v_pk_fma_f32 v[112:113], v[208:209], v[180:181], v[120:121] op_sel_hi:[1,0,1]
	s_set_vgpr_msb 1                        ;  msbs: dst=0 src0=1 src1=0 src2=0
	v_pk_mul_f32 v[110:111], v[16:17] /*v[272:273]*/, v[110:111] op_sel_hi:[1,0]
	s_set_vgpr_msb 0                        ;  msbs: dst=0 src0=0 src1=0 src2=0
	v_mov_b32_e32 v119, v117
	s_wait_loadcnt_dscnt 0x100
	s_set_vgpr_msb 5                        ;  msbs: dst=0 src0=1 src1=1 src2=0
	v_pk_mul_f32 v[116:117], v[8:9] /*v[264:265]*/, v[4:5] /*v[260:261]*/ op_sel:[1,1] op_sel_hi:[0,1]
	s_set_vgpr_msb 0                        ;  msbs: dst=0 src0=0 src1=0 src2=0
	v_pk_add_f32 v[108:109], v[108:109], v[114:115]
	v_pk_fma_f32 v[114:115], v[208:209], v[180:181], v[120:121] neg_lo:[0,0,1] neg_hi:[0,0,1]
	v_mov_b32_e32 v115, v113
	v_pk_fma_f32 v[112:113], v[210:211], v[182:183], v[110:111] op_sel_hi:[1,0,1]
	v_pk_fma_f32 v[110:111], v[210:211], v[182:183], v[110:111] neg_lo:[0,0,1] neg_hi:[0,0,1]
	v_pk_add_f32 v[108:109], v[108:109], v[118:119]
	s_delay_alu instid0(VALU_DEP_3)
	v_mov_b32_e32 v111, v113
	s_set_vgpr_msb 5                        ;  msbs: dst=0 src0=1 src1=1 src2=0
	v_pk_fma_f32 v[112:113], v[8:9] /*v[264:265]*/, v[4:5] /*v[260:261]*/, v[116:117] op_sel_hi:[1,0,1]
	s_set_vgpr_msb 0                        ;  msbs: dst=0 src0=0 src1=0 src2=0
	v_pk_add_f32 v[108:109], v[108:109], v[114:115]
	s_set_vgpr_msb 5                        ;  msbs: dst=0 src0=1 src1=1 src2=0
	v_pk_fma_f32 v[114:115], v[8:9] /*v[264:265]*/, v[4:5] /*v[260:261]*/, v[116:117] neg_lo:[0,0,1] neg_hi:[0,0,1]
	s_set_vgpr_msb 0                        ;  msbs: dst=0 src0=0 src1=0 src2=0
	v_mov_b32_e32 v115, v113
	v_pk_add_f32 v[108:109], v[108:109], v[110:111]
	s_delay_alu instid0(VALU_DEP_1) | instskip(SKIP_2) | instid1(VALU_DEP_1)
	v_pk_add_f32 v[108:109], v[108:109], v[114:115]
	s_wait_loadcnt 0x0
	s_set_vgpr_msb 1                        ;  msbs: dst=0 src0=1 src1=0 src2=0
	v_pk_add_f32 v[108:109], v[6:7] /*v[262:263]*/, v[108:109] neg_lo:[0,1] neg_hi:[0,1]
	scratch_store_b64 off, v[108:109], off offset:104
	s_wait_xcnt 0x0
	v_cmpx_lt_u32_e32 12, v0
	s_set_vgpr_msb 0                        ;  msbs: dst=0 src0=0 src1=0 src2=0
	s_cbranch_execz .LBB52_307
; %bb.306:
	scratch_load_b64 v[108:109], off, off offset:96
	v_mov_b64_e32 v[110:111], 0
	scratch_store_b64 off, v[110:111], off offset:96
	s_wait_loadcnt 0x0
	ds_store_b64 v1, v[108:109]
.LBB52_307:
	s_wait_xcnt 0x0
	s_or_b32 exec_lo, exec_lo, s0
	s_wait_storecnt_dscnt 0x0
	s_barrier_signal -1
	s_barrier_wait -1
	s_clause 0xf
	scratch_load_b128 v[112:115], off, off offset:104
	scratch_load_b128 v[120:123], off, off offset:120
	;; [unrolled: 1-line block ×16, first 2 shown]
	ds_load_2addr_b64 v[108:111], v5 offset0:67 offset1:68
	ds_load_2addr_b64 v[116:119], v5 offset0:69 offset1:70
	;; [unrolled: 1-line block ×16, first 2 shown]
	s_clause 0x3
	scratch_load_b128 v[236:239], off, off offset:360
	scratch_load_b128 v[240:243], off, off offset:376
	;; [unrolled: 1-line block ×4, first 2 shown]
	s_mov_b32 s0, exec_lo
	s_wait_loadcnt_dscnt 0x130f
	v_dual_mul_f32 v9, v108, v113 :: v_dual_mul_f32 v11, v110, v115
	s_wait_loadcnt_dscnt 0x100c
	s_delay_alu instid0(VALU_DEP_1) | instskip(NEXT) | instid1(VALU_DEP_2)
	v_dual_mul_f32 v255, v228, v233 :: v_dual_fmac_f32 v9, v109, v112
	v_fmac_f32_e32 v11, v111, v114
	s_delay_alu instid0(VALU_DEP_2) | instskip(NEXT) | instid1(VALU_DEP_1)
	v_dual_fmac_f32 v255, v229, v232 :: v_dual_add_f32 v9, 0, v9
	v_dual_add_f32 v9, v9, v11 :: v_dual_mul_f32 v11, v116, v121
	s_delay_alu instid0(VALU_DEP_1) | instskip(NEXT) | instid1(VALU_DEP_1)
	v_fmac_f32_e32 v11, v117, v120
	v_add_f32_e32 v9, v9, v11
	v_mul_f32_e32 v11, v118, v123
	s_delay_alu instid0(VALU_DEP_1) | instskip(SKIP_1) | instid1(VALU_DEP_1)
	v_fmac_f32_e32 v11, v119, v122
	s_wait_loadcnt_dscnt 0xf0b
	v_dual_add_f32 v9, v9, v11 :: v_dual_mul_f32 v11, v124, v129
	s_delay_alu instid0(VALU_DEP_1) | instskip(NEXT) | instid1(VALU_DEP_1)
	v_fmac_f32_e32 v11, v125, v128
	v_add_f32_e32 v9, v9, v11
	v_mul_f32_e32 v11, v126, v131
	s_delay_alu instid0(VALU_DEP_1) | instskip(SKIP_1) | instid1(VALU_DEP_1)
	v_fmac_f32_e32 v11, v127, v130
	s_wait_loadcnt_dscnt 0xe0a
	;; [unrolled: 8-line block ×12, first 2 shown]
	v_dual_add_f32 v9, v9, v11 :: v_dual_mul_f32 v11, v212, v217
	s_delay_alu instid0(VALU_DEP_1) | instskip(NEXT) | instid1(VALU_DEP_1)
	v_fmac_f32_e32 v11, v213, v216
	v_add_f32_e32 v9, v9, v11
	v_mul_f32_e32 v11, v214, v219
	s_delay_alu instid0(VALU_DEP_1) | instskip(NEXT) | instid1(VALU_DEP_1)
	v_fmac_f32_e32 v11, v215, v218
	v_dual_add_f32 v9, v9, v11 :: v_dual_mul_f32 v11, v220, v225
	s_delay_alu instid0(VALU_DEP_1) | instskip(NEXT) | instid1(VALU_DEP_1)
	v_fmac_f32_e32 v11, v221, v224
	v_add_f32_e32 v9, v9, v11
	v_mul_f32_e32 v11, v222, v227
	s_delay_alu instid0(VALU_DEP_1) | instskip(NEXT) | instid1(VALU_DEP_1)
	v_fmac_f32_e32 v11, v223, v226
	v_add_f32_e32 v253, v9, v11
	v_dual_mul_f32 v9, v109, v113 :: v_dual_mul_f32 v11, v111, v115
	s_delay_alu instid0(VALU_DEP_1) | instskip(NEXT) | instid1(VALU_DEP_1)
	v_dual_fma_f32 v9, v108, v112, -v9 :: v_dual_fma_f32 v11, v110, v114, -v11
	v_add_f32_e32 v9, 0, v9
	s_delay_alu instid0(VALU_DEP_1) | instskip(SKIP_1) | instid1(VALU_DEP_1)
	v_add_f32_e32 v9, v9, v11
	v_mul_f32_e32 v11, v117, v121
	v_fma_f32 v11, v116, v120, -v11
	s_delay_alu instid0(VALU_DEP_1) | instskip(SKIP_1) | instid1(VALU_DEP_1)
	v_add_f32_e32 v9, v9, v11
	v_mul_f32_e32 v11, v119, v123
	v_fma_f32 v11, v118, v122, -v11
	ds_load_2addr_b64 v[108:111], v5 offset0:99 offset1:100
	ds_load_2addr_b64 v[112:115], v5 offset0:101 offset1:102
	;; [unrolled: 1-line block ×4, first 2 shown]
	v_add_f32_e32 v9, v9, v11
	v_mul_f32_e32 v11, v125, v129
	s_delay_alu instid0(VALU_DEP_1) | instskip(NEXT) | instid1(VALU_DEP_1)
	v_fma_f32 v11, v124, v128, -v11
	v_add_f32_e32 v9, v9, v11
	v_mul_f32_e32 v11, v127, v131
	s_delay_alu instid0(VALU_DEP_1) | instskip(SKIP_2) | instid1(VALU_DEP_2)
	v_fma_f32 v11, v126, v130, -v11
	s_wait_loadcnt_dscnt 0x303
	v_pk_mul_f32 v[126:127], v[108:109], v[236:237] op_sel:[1,1] op_sel_hi:[0,1]
	v_add_f32_e32 v9, v9, v11
	v_mul_f32_e32 v11, v133, v137
	s_delay_alu instid0(VALU_DEP_3) | instskip(SKIP_1) | instid1(VALU_DEP_3)
	v_pk_fma_f32 v[128:129], v[108:109], v[236:237], v[126:127] neg_lo:[0,0,1] neg_hi:[0,0,1]
	v_pk_fma_f32 v[108:109], v[108:109], v[236:237], v[126:127] op_sel_hi:[1,0,1]
	v_dual_mov_b32 v126, v239 :: v_dual_fma_f32 v11, v132, v136, -v11
	s_delay_alu instid0(VALU_DEP_2) | instskip(NEXT) | instid1(VALU_DEP_2)
	v_mov_b32_e32 v129, v109
	v_add_f32_e32 v9, v9, v11
	v_mul_f32_e32 v11, v135, v139
	s_delay_alu instid0(VALU_DEP_1) | instskip(NEXT) | instid1(VALU_DEP_1)
	v_fma_f32 v11, v134, v138, -v11
	v_add_f32_e32 v9, v9, v11
	v_mul_f32_e32 v11, v141, v145
	s_delay_alu instid0(VALU_DEP_1) | instskip(NEXT) | instid1(VALU_DEP_1)
	v_fma_f32 v11, v140, v144, -v11
	v_add_f32_e32 v9, v9, v11
	v_mul_f32_e32 v11, v143, v147
	s_delay_alu instid0(VALU_DEP_1) | instskip(NEXT) | instid1(VALU_DEP_1)
	v_fma_f32 v11, v142, v146, -v11
	v_add_f32_e32 v9, v9, v11
	v_mul_f32_e32 v11, v149, v153
	s_delay_alu instid0(VALU_DEP_1) | instskip(NEXT) | instid1(VALU_DEP_1)
	v_fma_f32 v11, v148, v152, -v11
	v_add_f32_e32 v9, v9, v11
	v_mul_f32_e32 v11, v151, v155
	s_delay_alu instid0(VALU_DEP_1) | instskip(NEXT) | instid1(VALU_DEP_1)
	v_fma_f32 v11, v150, v154, -v11
	v_add_f32_e32 v9, v9, v11
	v_mul_f32_e32 v11, v157, v161
	s_delay_alu instid0(VALU_DEP_1) | instskip(NEXT) | instid1(VALU_DEP_1)
	v_fma_f32 v11, v156, v160, -v11
	v_add_f32_e32 v9, v9, v11
	v_mul_f32_e32 v11, v159, v163
	s_delay_alu instid0(VALU_DEP_1) | instskip(NEXT) | instid1(VALU_DEP_1)
	v_fma_f32 v11, v158, v162, -v11
	v_add_f32_e32 v9, v9, v11
	v_mul_f32_e32 v11, v165, v169
	s_delay_alu instid0(VALU_DEP_1) | instskip(NEXT) | instid1(VALU_DEP_1)
	v_fma_f32 v11, v164, v168, -v11
	v_add_f32_e32 v9, v9, v11
	v_mul_f32_e32 v11, v167, v171
	s_delay_alu instid0(VALU_DEP_1) | instskip(NEXT) | instid1(VALU_DEP_1)
	v_fma_f32 v11, v166, v170, -v11
	v_add_f32_e32 v9, v9, v11
	v_mul_f32_e32 v11, v173, v177
	s_delay_alu instid0(VALU_DEP_1) | instskip(NEXT) | instid1(VALU_DEP_1)
	v_fma_f32 v11, v172, v176, -v11
	v_add_f32_e32 v9, v9, v11
	v_mul_f32_e32 v11, v175, v179
	s_delay_alu instid0(VALU_DEP_1) | instskip(NEXT) | instid1(VALU_DEP_1)
	v_fma_f32 v11, v174, v178, -v11
	v_add_f32_e32 v9, v9, v11
	v_mul_f32_e32 v11, v181, v185
	s_delay_alu instid0(VALU_DEP_1) | instskip(NEXT) | instid1(VALU_DEP_1)
	v_fma_f32 v11, v180, v184, -v11
	v_add_f32_e32 v9, v9, v11
	v_mul_f32_e32 v11, v183, v187
	s_delay_alu instid0(VALU_DEP_1) | instskip(NEXT) | instid1(VALU_DEP_1)
	v_fma_f32 v11, v182, v186, -v11
	v_add_f32_e32 v9, v9, v11
	v_mul_f32_e32 v11, v189, v193
	s_delay_alu instid0(VALU_DEP_1) | instskip(NEXT) | instid1(VALU_DEP_1)
	v_fma_f32 v11, v188, v192, -v11
	v_add_f32_e32 v9, v9, v11
	v_mul_f32_e32 v11, v191, v195
	s_delay_alu instid0(VALU_DEP_1) | instskip(NEXT) | instid1(VALU_DEP_1)
	v_fma_f32 v11, v190, v194, -v11
	v_add_f32_e32 v9, v9, v11
	v_mul_f32_e32 v11, v197, v201
	s_delay_alu instid0(VALU_DEP_1) | instskip(NEXT) | instid1(VALU_DEP_1)
	v_fma_f32 v11, v196, v200, -v11
	v_add_f32_e32 v9, v9, v11
	v_mul_f32_e32 v11, v199, v203
	s_delay_alu instid0(VALU_DEP_1) | instskip(NEXT) | instid1(VALU_DEP_1)
	v_fma_f32 v11, v198, v202, -v11
	v_add_f32_e32 v9, v9, v11
	v_mul_f32_e32 v11, v205, v209
	s_delay_alu instid0(VALU_DEP_1) | instskip(NEXT) | instid1(VALU_DEP_1)
	v_fma_f32 v11, v204, v208, -v11
	v_add_f32_e32 v9, v9, v11
	v_mul_f32_e32 v11, v207, v211
	s_delay_alu instid0(VALU_DEP_1) | instskip(NEXT) | instid1(VALU_DEP_1)
	v_fma_f32 v11, v206, v210, -v11
	v_add_f32_e32 v9, v9, v11
	v_mul_f32_e32 v11, v213, v217
	s_delay_alu instid0(VALU_DEP_1) | instskip(NEXT) | instid1(VALU_DEP_1)
	v_fma_f32 v11, v212, v216, -v11
	v_add_f32_e32 v9, v9, v11
	v_mul_f32_e32 v11, v215, v219
	s_delay_alu instid0(VALU_DEP_1) | instskip(NEXT) | instid1(VALU_DEP_1)
	v_fma_f32 v11, v214, v218, -v11
	v_add_f32_e32 v9, v9, v11
	v_mul_f32_e32 v11, v221, v225
	s_delay_alu instid0(VALU_DEP_1) | instskip(NEXT) | instid1(VALU_DEP_1)
	v_fma_f32 v11, v220, v224, -v11
	v_add_f32_e32 v9, v9, v11
	v_mul_f32_e32 v11, v223, v227
	s_delay_alu instid0(VALU_DEP_1) | instskip(NEXT) | instid1(VALU_DEP_1)
	v_fma_f32 v11, v222, v226, -v11
	v_add_f32_e32 v252, v9, v11
	v_mul_f32_e32 v9, v229, v233
	s_delay_alu instid0(VALU_DEP_1) | instskip(SKIP_3) | instid1(VALU_DEP_2)
	v_dual_fma_f32 v254, v228, v232, -v9 :: v_dual_mul_f32 v9, v231, v235
	s_set_vgpr_msb 64                       ;  msbs: dst=1 src0=0 src1=0 src2=0
	v_mul_f32_e32 v1 /*v257*/, v230, v235
	s_set_vgpr_msb 0                        ;  msbs: dst=0 src0=0 src1=0 src2=0
	v_pk_add_f32 v[124:125], v[252:253], v[254:255]
	s_set_vgpr_msb 64                       ;  msbs: dst=1 src0=0 src1=0 src2=0
	v_fma_f32 v0 /*v256*/, v230, v234, -v9
	v_fmac_f32_e32 v1 /*v257*/, v231, v234
	s_set_vgpr_msb 4                        ;  msbs: dst=0 src0=0 src1=1 src2=0
	s_delay_alu instid0(VALU_DEP_1) | instskip(SKIP_1) | instid1(VALU_DEP_1)
	v_pk_add_f32 v[124:125], v[124:125], v[0:1] /*v[256:257]*/
	s_set_vgpr_msb 0                        ;  msbs: dst=0 src0=0 src1=0 src2=0
	v_pk_add_f32 v[108:109], v[124:125], v[128:129]
	v_dual_mov_b32 v124, v111 :: v_dual_mov_b32 v125, v110
	s_delay_alu instid0(VALU_DEP_1) | instskip(NEXT) | instid1(VALU_DEP_1)
	v_pk_mul_f32 v[124:125], v[124:125], v[126:127] op_sel_hi:[1,0]
	v_pk_fma_f32 v[126:127], v[110:111], v[238:239], v[124:125] neg_lo:[0,0,1] neg_hi:[0,0,1]
	v_pk_fma_f32 v[110:111], v[110:111], v[238:239], v[124:125] op_sel_hi:[1,0,1]
	s_delay_alu instid0(VALU_DEP_1) | instskip(SKIP_2) | instid1(VALU_DEP_2)
	v_mov_b32_e32 v127, v111
	s_wait_loadcnt_dscnt 0x202
	v_pk_mul_f32 v[110:111], v[112:113], v[240:241] op_sel:[1,1] op_sel_hi:[0,1]
	v_pk_add_f32 v[108:109], v[108:109], v[126:127]
	s_delay_alu instid0(VALU_DEP_2) | instskip(SKIP_2) | instid1(VALU_DEP_2)
	v_pk_fma_f32 v[124:125], v[112:113], v[240:241], v[110:111] neg_lo:[0,0,1] neg_hi:[0,0,1]
	v_pk_fma_f32 v[110:111], v[112:113], v[240:241], v[110:111] op_sel_hi:[1,0,1]
	v_dual_mov_b32 v110, v115 :: v_dual_mov_b32 v112, v243
	v_dual_mov_b32 v125, v111 :: v_dual_mov_b32 v111, v114
	s_delay_alu instid0(VALU_DEP_1) | instskip(NEXT) | instid1(VALU_DEP_2)
	v_pk_add_f32 v[108:109], v[108:109], v[124:125]
	v_pk_mul_f32 v[110:111], v[110:111], v[112:113] op_sel_hi:[1,0]
	s_delay_alu instid0(VALU_DEP_1) | instskip(SKIP_1) | instid1(VALU_DEP_1)
	v_pk_fma_f32 v[112:113], v[114:115], v[242:243], v[110:111] neg_lo:[0,0,1] neg_hi:[0,0,1]
	v_pk_fma_f32 v[110:111], v[114:115], v[242:243], v[110:111] op_sel_hi:[1,0,1]
	v_mov_b32_e32 v113, v111
	s_wait_loadcnt_dscnt 0x101
	v_pk_mul_f32 v[110:111], v[116:117], v[244:245] op_sel:[1,1] op_sel_hi:[0,1]
	s_delay_alu instid0(VALU_DEP_2) | instskip(NEXT) | instid1(VALU_DEP_2)
	v_pk_add_f32 v[108:109], v[108:109], v[112:113]
	v_pk_fma_f32 v[112:113], v[116:117], v[244:245], v[110:111] neg_lo:[0,0,1] neg_hi:[0,0,1]
	v_pk_fma_f32 v[110:111], v[116:117], v[244:245], v[110:111] op_sel_hi:[1,0,1]
	s_delay_alu instid0(VALU_DEP_1) | instskip(SKIP_1) | instid1(VALU_DEP_2)
	v_dual_mov_b32 v110, v119 :: v_dual_mov_b32 v113, v111
	v_mov_b32_e32 v111, v118
	v_pk_add_f32 v[108:109], v[108:109], v[112:113]
	v_mov_b32_e32 v112, v247
	s_delay_alu instid0(VALU_DEP_1) | instskip(NEXT) | instid1(VALU_DEP_1)
	v_pk_mul_f32 v[110:111], v[110:111], v[112:113] op_sel_hi:[1,0]
	v_pk_fma_f32 v[112:113], v[118:119], v[246:247], v[110:111] neg_lo:[0,0,1] neg_hi:[0,0,1]
	v_pk_fma_f32 v[110:111], v[118:119], v[246:247], v[110:111] op_sel_hi:[1,0,1]
	s_delay_alu instid0(VALU_DEP_1) | instskip(SKIP_2) | instid1(VALU_DEP_2)
	v_mov_b32_e32 v113, v111
	s_wait_loadcnt_dscnt 0x0
	v_pk_mul_f32 v[110:111], v[120:121], v[248:249] op_sel:[1,1] op_sel_hi:[0,1]
	v_pk_add_f32 v[108:109], v[108:109], v[112:113]
	s_delay_alu instid0(VALU_DEP_2) | instskip(SKIP_1) | instid1(VALU_DEP_1)
	v_pk_fma_f32 v[112:113], v[120:121], v[248:249], v[110:111] neg_lo:[0,0,1] neg_hi:[0,0,1]
	v_pk_fma_f32 v[110:111], v[120:121], v[248:249], v[110:111] op_sel_hi:[1,0,1]
	v_dual_mov_b32 v110, v123 :: v_dual_mov_b32 v113, v111
	v_mov_b32_e32 v111, v122
	s_delay_alu instid0(VALU_DEP_2) | instskip(SKIP_1) | instid1(VALU_DEP_1)
	v_pk_add_f32 v[108:109], v[108:109], v[112:113]
	v_mov_b32_e32 v112, v251
	v_pk_mul_f32 v[110:111], v[110:111], v[112:113] op_sel_hi:[1,0]
	s_delay_alu instid0(VALU_DEP_1) | instskip(SKIP_1) | instid1(VALU_DEP_1)
	v_pk_fma_f32 v[112:113], v[122:123], v[250:251], v[110:111] neg_lo:[0,0,1] neg_hi:[0,0,1]
	v_pk_fma_f32 v[110:111], v[122:123], v[250:251], v[110:111] op_sel_hi:[1,0,1]
	v_mov_b32_e32 v113, v111
	scratch_load_b64 v[110:111], off, off offset:96
	v_pk_add_f32 v[108:109], v[108:109], v[112:113]
	s_wait_loadcnt 0x0
	s_delay_alu instid0(VALU_DEP_1)
	v_pk_add_f32 v[108:109], v[110:111], v[108:109] neg_lo:[0,1] neg_hi:[0,1]
	scratch_store_b64 off, v[108:109], off offset:96
	s_wait_xcnt 0x0
	v_cmpx_lt_u32_e32 11, v0
	s_cbranch_execz .LBB52_309
; %bb.308:
	scratch_load_b64 v[108:109], off, off offset:88
	v_mov_b64_e32 v[110:111], 0
	scratch_store_b64 off, v[110:111], off offset:88
	s_wait_loadcnt 0x0
	ds_store_b64 v1, v[108:109]
.LBB52_309:
	s_wait_xcnt 0x0
	s_or_b32 exec_lo, exec_lo, s0
	v_mov_b32_e32 v5, 0
	s_wait_storecnt_dscnt 0x0
	s_barrier_signal -1
	s_barrier_wait -1
	ds_load_b128 v[108:111], v5 offset:528
	ds_load_b128 v[112:115], v5 offset:544
	;; [unrolled: 1-line block ×4, first 2 shown]
	s_clause 0x10
	scratch_load_b128 v[124:127], off, off offset:96
	scratch_load_b128 v[128:131], off, off offset:112
	;; [unrolled: 1-line block ×17, first 2 shown]
	s_mov_b32 s0, exec_lo
	s_wait_loadcnt_dscnt 0x1003
	v_mul_f32_e32 v9, v108, v125
	ds_load_b128 v[220:223], v5 offset:752
	ds_load_b128 v[228:231], v5 offset:768
	;; [unrolled: 1-line block ×4, first 2 shown]
	v_dual_fmac_f32 v9, v109, v124 :: v_dual_mul_f32 v11, v110, v127
	ds_load_b128 v[236:239], v5 offset:784
	ds_load_b128 v[156:159], v5 offset:624
	;; [unrolled: 1-line block ×3, first 2 shown]
	v_dual_add_f32 v9, 0, v9 :: v_dual_fmac_f32 v11, v111, v126
	ds_load_b128 v[172:175], v5 offset:656
	ds_load_b128 v[180:183], v5 offset:672
	;; [unrolled: 1-line block ×4, first 2 shown]
	s_wait_loadcnt_dscnt 0xf0d
	v_dual_add_f32 v9, v9, v11 :: v_dual_mul_f32 v11, v112, v129
	ds_load_b128 v[204:207], v5 offset:720
	ds_load_b128 v[212:215], v5 offset:736
	s_clause 0x4
	scratch_load_b128 v[244:247], off, off offset:368
	scratch_load_b128 v[248:251], off, off offset:384
	scratch_load_b128 v[252:255], off, off offset:400
	s_set_vgpr_msb 64                       ;  msbs: dst=1 src0=0 src1=0 src2=0
	scratch_load_b64 v[6:7] /*v[262:263]*/, off, off offset:416
	s_set_vgpr_msb 0                        ;  msbs: dst=0 src0=0 src1=0 src2=0
	v_fmac_f32_e32 v11, v113, v128
	s_wait_loadcnt_dscnt 0x408
	s_set_vgpr_msb 64                       ;  msbs: dst=1 src0=0 src1=0 src2=0
	v_dual_mul_f32 v3 /*v259*/, v230, v235 :: v_dual_mul_f32 v5 /*v261*/, v236, v241
	s_set_vgpr_msb 0                        ;  msbs: dst=0 src0=0 src1=0 src2=0
	v_add_f32_e32 v9, v9, v11
	v_mul_f32_e32 v11, v114, v131
	s_set_vgpr_msb 64                       ;  msbs: dst=1 src0=0 src1=0 src2=0
	v_dual_fmac_f32 v3 /*v259*/, v231, v234 :: v_dual_fmac_f32 v5 /*v261*/, v237, v240
	s_set_vgpr_msb 0                        ;  msbs: dst=0 src0=0 src1=0 src2=0
	s_delay_alu instid0(VALU_DEP_2) | instskip(NEXT) | instid1(VALU_DEP_1)
	v_fmac_f32_e32 v11, v115, v130
	v_dual_add_f32 v9, v9, v11 :: v_dual_mul_f32 v11, v116, v133
	s_delay_alu instid0(VALU_DEP_1) | instskip(NEXT) | instid1(VALU_DEP_1)
	v_fmac_f32_e32 v11, v117, v132
	v_add_f32_e32 v9, v9, v11
	v_mul_f32_e32 v11, v118, v135
	s_delay_alu instid0(VALU_DEP_1) | instskip(NEXT) | instid1(VALU_DEP_1)
	v_fmac_f32_e32 v11, v119, v134
	v_dual_add_f32 v9, v9, v11 :: v_dual_mul_f32 v11, v120, v137
	s_delay_alu instid0(VALU_DEP_1) | instskip(NEXT) | instid1(VALU_DEP_1)
	v_fmac_f32_e32 v11, v121, v136
	v_add_f32_e32 v9, v9, v11
	v_mul_f32_e32 v11, v122, v139
	s_delay_alu instid0(VALU_DEP_1) | instskip(NEXT) | instid1(VALU_DEP_1)
	;; [unrolled: 7-line block ×3, first 2 shown]
	v_fmac_f32_e32 v11, v143, v146
	v_dual_add_f32 v9, v9, v11 :: v_dual_mul_f32 v11, v148, v153
	s_delay_alu instid0(VALU_DEP_1) | instskip(NEXT) | instid1(VALU_DEP_1)
	v_fmac_f32_e32 v11, v149, v152
	v_add_f32_e32 v9, v9, v11
	v_mul_f32_e32 v11, v150, v155
	s_delay_alu instid0(VALU_DEP_1) | instskip(SKIP_1) | instid1(VALU_DEP_1)
	v_fmac_f32_e32 v11, v151, v154
	s_wait_dscnt 0x7
	v_dual_add_f32 v9, v9, v11 :: v_dual_mul_f32 v11, v156, v161
	s_delay_alu instid0(VALU_DEP_1) | instskip(NEXT) | instid1(VALU_DEP_1)
	v_fmac_f32_e32 v11, v157, v160
	v_add_f32_e32 v9, v9, v11
	v_mul_f32_e32 v11, v158, v163
	s_delay_alu instid0(VALU_DEP_1) | instskip(SKIP_1) | instid1(VALU_DEP_1)
	v_fmac_f32_e32 v11, v159, v162
	s_wait_dscnt 0x6
	;; [unrolled: 8-line block ×8, first 2 shown]
	v_dual_add_f32 v9, v9, v11 :: v_dual_mul_f32 v11, v212, v217
	s_delay_alu instid0(VALU_DEP_1) | instskip(NEXT) | instid1(VALU_DEP_1)
	v_fmac_f32_e32 v11, v213, v216
	v_add_f32_e32 v9, v9, v11
	v_mul_f32_e32 v11, v214, v219
	s_delay_alu instid0(VALU_DEP_1) | instskip(NEXT) | instid1(VALU_DEP_1)
	v_fmac_f32_e32 v11, v215, v218
	v_dual_add_f32 v9, v9, v11 :: v_dual_mul_f32 v11, v220, v225
	s_delay_alu instid0(VALU_DEP_1) | instskip(NEXT) | instid1(VALU_DEP_1)
	v_fmac_f32_e32 v11, v221, v224
	v_add_f32_e32 v9, v9, v11
	v_mul_f32_e32 v11, v222, v227
	s_delay_alu instid0(VALU_DEP_1) | instskip(NEXT) | instid1(VALU_DEP_1)
	v_fmac_f32_e32 v11, v223, v226
	v_dual_add_f32 v9, v9, v11 :: v_dual_mul_f32 v11, v228, v233
	s_delay_alu instid0(VALU_DEP_1) | instskip(SKIP_1) | instid1(VALU_DEP_1)
	v_fmac_f32_e32 v11, v229, v232
	s_set_vgpr_msb 64                       ;  msbs: dst=1 src0=0 src1=0 src2=0
	v_add_f32_e32 v1 /*v257*/, v9, v11
	s_set_vgpr_msb 0                        ;  msbs: dst=0 src0=0 src1=0 src2=0
	v_dual_mul_f32 v9, v109, v125 :: v_dual_mul_f32 v11, v111, v127
	s_delay_alu instid0(VALU_DEP_1) | instskip(NEXT) | instid1(VALU_DEP_2)
	v_dual_mov_b32 v125, v238 :: v_dual_fma_f32 v9, v108, v124, -v9
	v_dual_fma_f32 v11, v110, v126, -v11 :: v_dual_mov_b32 v124, v239
	s_delay_alu instid0(VALU_DEP_2) | instskip(NEXT) | instid1(VALU_DEP_1)
	v_dual_mov_b32 v126, v243 :: v_dual_add_f32 v9, 0, v9
	v_pk_mul_f32 v[124:125], v[124:125], v[126:127] op_sel_hi:[1,0]
	s_delay_alu instid0(VALU_DEP_2) | instskip(SKIP_1) | instid1(VALU_DEP_3)
	v_add_f32_e32 v9, v9, v11
	v_mul_f32_e32 v11, v113, v129
	v_pk_fma_f32 v[126:127], v[238:239], v[242:243], v[124:125] neg_lo:[0,0,1] neg_hi:[0,0,1]
	v_pk_fma_f32 v[124:125], v[238:239], v[242:243], v[124:125] op_sel_hi:[1,0,1]
	s_delay_alu instid0(VALU_DEP_1) | instskip(NEXT) | instid1(VALU_DEP_1)
	v_dual_fma_f32 v11, v112, v128, -v11 :: v_dual_mov_b32 v127, v125
	v_add_f32_e32 v9, v9, v11
	v_mul_f32_e32 v11, v115, v131
	s_delay_alu instid0(VALU_DEP_1) | instskip(NEXT) | instid1(VALU_DEP_1)
	v_fma_f32 v11, v114, v130, -v11
	v_add_f32_e32 v9, v9, v11
	v_mul_f32_e32 v11, v117, v133
	s_delay_alu instid0(VALU_DEP_1) | instskip(NEXT) | instid1(VALU_DEP_1)
	v_fma_f32 v11, v116, v132, -v11
	;; [unrolled: 4-line block ×3, first 2 shown]
	v_add_f32_e32 v9, v9, v11
	v_mul_f32_e32 v11, v121, v137
	s_delay_alu instid0(VALU_DEP_1)
	v_fma_f32 v11, v120, v136, -v11
	ds_load_b128 v[108:111], v5 offset:800
	ds_load_b128 v[112:115], v5 offset:816
	;; [unrolled: 1-line block ×3, first 2 shown]
	ds_load_b64 v[120:121], v5 offset:848
	v_add_f32_e32 v9, v9, v11
	v_mul_f32_e32 v11, v123, v139
	s_delay_alu instid0(VALU_DEP_1) | instskip(NEXT) | instid1(VALU_DEP_1)
	v_fma_f32 v11, v122, v138, -v11
	v_add_f32_e32 v9, v9, v11
	v_mul_f32_e32 v11, v141, v145
	s_wait_loadcnt_dscnt 0x303
	v_pk_mul_f32 v[124:125], v[108:109], v[244:245] op_sel:[1,1] op_sel_hi:[0,1]
	s_delay_alu instid0(VALU_DEP_2) | instskip(NEXT) | instid1(VALU_DEP_1)
	v_fma_f32 v11, v140, v144, -v11
	v_add_f32_e32 v9, v9, v11
	v_mul_f32_e32 v11, v143, v147
	s_delay_alu instid0(VALU_DEP_1) | instskip(NEXT) | instid1(VALU_DEP_1)
	v_fma_f32 v11, v142, v146, -v11
	v_add_f32_e32 v9, v9, v11
	v_mul_f32_e32 v11, v149, v153
	s_delay_alu instid0(VALU_DEP_1) | instskip(NEXT) | instid1(VALU_DEP_1)
	;; [unrolled: 4-line block ×21, first 2 shown]
	v_fma_f32 v11, v222, v226, -v11
	v_add_f32_e32 v9, v9, v11
	v_mul_f32_e32 v11, v229, v233
	s_delay_alu instid0(VALU_DEP_1) | instskip(SKIP_1) | instid1(VALU_DEP_1)
	v_fma_f32 v11, v228, v232, -v11
	s_set_vgpr_msb 64                       ;  msbs: dst=1 src0=0 src1=0 src2=0
	v_add_f32_e32 v0 /*v256*/, v9, v11
	s_set_vgpr_msb 0                        ;  msbs: dst=0 src0=0 src1=0 src2=0
	v_mul_f32_e32 v9, v231, v235
	s_set_vgpr_msb 64                       ;  msbs: dst=1 src0=0 src1=0 src2=0
	s_delay_alu instid0(VALU_DEP_1) | instskip(SKIP_3) | instid1(VALU_DEP_2)
	v_fma_f32 v2 /*v258*/, v230, v234, -v9
	s_set_vgpr_msb 0                        ;  msbs: dst=0 src0=0 src1=0 src2=0
	v_mul_f32_e32 v9, v237, v241
	s_set_vgpr_msb 5                        ;  msbs: dst=0 src0=1 src1=1 src2=0
	v_pk_add_f32 v[122:123], v[0:1] /*v[256:257]*/, v[2:3] /*v[258:259]*/
	s_set_vgpr_msb 64                       ;  msbs: dst=1 src0=0 src1=0 src2=0
	s_delay_alu instid0(VALU_DEP_2) | instskip(SKIP_1) | instid1(VALU_DEP_1)
	v_fma_f32 v4 /*v260*/, v236, v240, -v9
	s_set_vgpr_msb 4                        ;  msbs: dst=0 src0=0 src1=1 src2=0
	v_pk_add_f32 v[122:123], v[122:123], v[4:5] /*v[260:261]*/
	s_set_vgpr_msb 0                        ;  msbs: dst=0 src0=0 src1=0 src2=0
	s_delay_alu instid0(VALU_DEP_1) | instskip(SKIP_2) | instid1(VALU_DEP_1)
	v_pk_add_f32 v[122:123], v[122:123], v[126:127]
	v_pk_fma_f32 v[126:127], v[108:109], v[244:245], v[124:125] neg_lo:[0,0,1] neg_hi:[0,0,1]
	v_pk_fma_f32 v[108:109], v[108:109], v[244:245], v[124:125] op_sel_hi:[1,0,1]
	v_dual_mov_b32 v124, v247 :: v_dual_mov_b32 v127, v109
	s_delay_alu instid0(VALU_DEP_1) | instskip(SKIP_1) | instid1(VALU_DEP_1)
	v_pk_add_f32 v[108:109], v[122:123], v[126:127]
	v_dual_mov_b32 v122, v111 :: v_dual_mov_b32 v123, v110
	v_pk_mul_f32 v[122:123], v[122:123], v[124:125] op_sel_hi:[1,0]
	s_delay_alu instid0(VALU_DEP_1) | instskip(SKIP_1) | instid1(VALU_DEP_1)
	v_pk_fma_f32 v[124:125], v[110:111], v[246:247], v[122:123] neg_lo:[0,0,1] neg_hi:[0,0,1]
	v_pk_fma_f32 v[110:111], v[110:111], v[246:247], v[122:123] op_sel_hi:[1,0,1]
	v_mov_b32_e32 v125, v111
	s_wait_loadcnt_dscnt 0x202
	v_pk_mul_f32 v[110:111], v[112:113], v[248:249] op_sel:[1,1] op_sel_hi:[0,1]
	s_delay_alu instid0(VALU_DEP_2) | instskip(NEXT) | instid1(VALU_DEP_2)
	v_pk_add_f32 v[108:109], v[108:109], v[124:125]
	v_pk_fma_f32 v[122:123], v[112:113], v[248:249], v[110:111] neg_lo:[0,0,1] neg_hi:[0,0,1]
	v_pk_fma_f32 v[110:111], v[112:113], v[248:249], v[110:111] op_sel_hi:[1,0,1]
	v_dual_mov_b32 v110, v115 :: v_dual_mov_b32 v112, v251
	s_delay_alu instid0(VALU_DEP_2) | instskip(NEXT) | instid1(VALU_DEP_1)
	v_dual_mov_b32 v123, v111 :: v_dual_mov_b32 v111, v114
	v_pk_add_f32 v[108:109], v[108:109], v[122:123]
	s_delay_alu instid0(VALU_DEP_2) | instskip(NEXT) | instid1(VALU_DEP_1)
	v_pk_mul_f32 v[110:111], v[110:111], v[112:113] op_sel_hi:[1,0]
	v_pk_fma_f32 v[112:113], v[114:115], v[250:251], v[110:111] neg_lo:[0,0,1] neg_hi:[0,0,1]
	v_pk_fma_f32 v[110:111], v[114:115], v[250:251], v[110:111] op_sel_hi:[1,0,1]
	s_delay_alu instid0(VALU_DEP_1) | instskip(SKIP_2) | instid1(VALU_DEP_2)
	v_mov_b32_e32 v113, v111
	s_wait_loadcnt_dscnt 0x101
	v_pk_mul_f32 v[110:111], v[116:117], v[252:253] op_sel:[1,1] op_sel_hi:[0,1]
	v_pk_add_f32 v[108:109], v[108:109], v[112:113]
	s_delay_alu instid0(VALU_DEP_2) | instskip(SKIP_1) | instid1(VALU_DEP_1)
	v_pk_fma_f32 v[112:113], v[116:117], v[252:253], v[110:111] neg_lo:[0,0,1] neg_hi:[0,0,1]
	v_pk_fma_f32 v[110:111], v[116:117], v[252:253], v[110:111] op_sel_hi:[1,0,1]
	v_dual_mov_b32 v110, v119 :: v_dual_mov_b32 v113, v111
	v_mov_b32_e32 v111, v118
	s_delay_alu instid0(VALU_DEP_2) | instskip(SKIP_1) | instid1(VALU_DEP_1)
	v_pk_add_f32 v[108:109], v[108:109], v[112:113]
	v_mov_b32_e32 v112, v255
	v_pk_mul_f32 v[110:111], v[110:111], v[112:113] op_sel_hi:[1,0]
	s_delay_alu instid0(VALU_DEP_1) | instskip(SKIP_1) | instid1(VALU_DEP_1)
	v_pk_fma_f32 v[112:113], v[118:119], v[254:255], v[110:111] neg_lo:[0,0,1] neg_hi:[0,0,1]
	v_pk_fma_f32 v[110:111], v[118:119], v[254:255], v[110:111] op_sel_hi:[1,0,1]
	v_mov_b32_e32 v113, v111
	s_wait_loadcnt_dscnt 0x0
	s_set_vgpr_msb 4                        ;  msbs: dst=0 src0=0 src1=1 src2=0
	v_pk_mul_f32 v[110:111], v[120:121], v[6:7] /*v[262:263]*/ op_sel:[1,1] op_sel_hi:[0,1]
	s_set_vgpr_msb 0                        ;  msbs: dst=0 src0=0 src1=0 src2=0
	v_pk_add_f32 v[108:109], v[108:109], v[112:113]
	s_set_vgpr_msb 4                        ;  msbs: dst=0 src0=0 src1=1 src2=0
	s_delay_alu instid0(VALU_DEP_2) | instskip(SKIP_1) | instid1(VALU_DEP_1)
	v_pk_fma_f32 v[112:113], v[120:121], v[6:7] /*v[262:263]*/, v[110:111] neg_lo:[0,0,1] neg_hi:[0,0,1]
	v_pk_fma_f32 v[110:111], v[120:121], v[6:7] /*v[262:263]*/, v[110:111] op_sel_hi:[1,0,1]
	v_mov_b32_e32 v113, v111
	scratch_load_b64 v[110:111], off, off offset:88
	s_set_vgpr_msb 0                        ;  msbs: dst=0 src0=0 src1=0 src2=0
	v_pk_add_f32 v[108:109], v[108:109], v[112:113]
	s_wait_loadcnt 0x0
	s_delay_alu instid0(VALU_DEP_1)
	v_pk_add_f32 v[108:109], v[110:111], v[108:109] neg_lo:[0,1] neg_hi:[0,1]
	scratch_store_b64 off, v[108:109], off offset:88
	s_wait_xcnt 0x0
	v_cmpx_lt_u32_e32 10, v0
	s_cbranch_execz .LBB52_311
; %bb.310:
	scratch_load_b64 v[108:109], off, off offset:80
	v_mov_b64_e32 v[110:111], 0
	scratch_store_b64 off, v[110:111], off offset:80
	s_wait_loadcnt 0x0
	ds_store_b64 v1, v[108:109]
.LBB52_311:
	s_wait_xcnt 0x0
	s_or_b32 exec_lo, exec_lo, s0
	s_wait_storecnt_dscnt 0x0
	s_barrier_signal -1
	s_barrier_wait -1
	s_clause 0xf
	scratch_load_b128 v[112:115], off, off offset:88
	scratch_load_b128 v[120:123], off, off offset:104
	;; [unrolled: 1-line block ×16, first 2 shown]
	ds_load_2addr_b64 v[108:111], v5 offset0:65 offset1:66
	ds_load_2addr_b64 v[116:119], v5 offset0:67 offset1:68
	;; [unrolled: 1-line block ×7, first 2 shown]
	scratch_load_b128 v[240:243], off, off offset:344
	ds_load_2addr_b64 v[156:159], v5 offset0:77 offset1:78
	ds_load_2addr_b64 v[164:167], v5 offset0:79 offset1:80
	;; [unrolled: 1-line block ×10, first 2 shown]
	s_clause 0x4
	scratch_load_b128 v[244:247], off, off offset:360
	scratch_load_b128 v[248:251], off, off offset:376
	scratch_load_b128 v[252:255], off, off offset:392
	s_set_vgpr_msb 64                       ;  msbs: dst=1 src0=0 src1=0 src2=0
	scratch_load_b128 v[0:3] /*v[256:259]*/, off, off offset:408
	s_mov_b32 s0, exec_lo
	s_wait_loadcnt_dscnt 0x1410
	s_set_vgpr_msb 0                        ;  msbs: dst=0 src0=0 src1=0 src2=0
	v_dual_mul_f32 v9, v108, v113 :: v_dual_mul_f32 v11, v110, v115
	s_delay_alu instid0(VALU_DEP_1) | instskip(NEXT) | instid1(VALU_DEP_1)
	v_dual_fmac_f32 v9, v109, v112 :: v_dual_fmac_f32 v11, v111, v114
	v_add_f32_e32 v9, 0, v9
	s_wait_loadcnt_dscnt 0x130f
	s_delay_alu instid0(VALU_DEP_1) | instskip(NEXT) | instid1(VALU_DEP_1)
	v_dual_add_f32 v9, v9, v11 :: v_dual_mul_f32 v11, v116, v121
	v_fmac_f32_e32 v11, v117, v120
	s_wait_loadcnt_dscnt 0x40a
	s_set_vgpr_msb 64                       ;  msbs: dst=1 src0=0 src1=0 src2=0
	v_dual_mul_f32 v7 /*v263*/, v236, v241 :: v_dual_mul_f32 v9 /*v265*/, v238, v243
	s_set_vgpr_msb 0                        ;  msbs: dst=0 src0=0 src1=0 src2=0
	v_add_f32_e32 v9, v9, v11
	v_mul_f32_e32 v11, v118, v123
	s_set_vgpr_msb 64                       ;  msbs: dst=1 src0=0 src1=0 src2=0
	v_fmac_f32_e32 v7 /*v263*/, v237, v240
	s_set_vgpr_msb 0                        ;  msbs: dst=0 src0=0 src1=0 src2=0
	s_delay_alu instid0(VALU_DEP_2) | instskip(NEXT) | instid1(VALU_DEP_1)
	v_fmac_f32_e32 v11, v119, v122
	v_dual_add_f32 v9, v9, v11 :: v_dual_mul_f32 v11, v124, v129
	s_delay_alu instid0(VALU_DEP_1) | instskip(NEXT) | instid1(VALU_DEP_1)
	v_fmac_f32_e32 v11, v125, v128
	v_add_f32_e32 v9, v9, v11
	v_mul_f32_e32 v11, v126, v131
	s_delay_alu instid0(VALU_DEP_1) | instskip(NEXT) | instid1(VALU_DEP_1)
	v_fmac_f32_e32 v11, v127, v130
	v_dual_add_f32 v9, v9, v11 :: v_dual_mul_f32 v11, v132, v137
	s_delay_alu instid0(VALU_DEP_1) | instskip(NEXT) | instid1(VALU_DEP_1)
	v_fmac_f32_e32 v11, v133, v136
	v_add_f32_e32 v9, v9, v11
	v_mul_f32_e32 v11, v134, v139
	s_delay_alu instid0(VALU_DEP_1) | instskip(NEXT) | instid1(VALU_DEP_1)
	;; [unrolled: 7-line block ×3, first 2 shown]
	v_fmac_f32_e32 v11, v143, v146
	v_dual_add_f32 v9, v9, v11 :: v_dual_mul_f32 v11, v148, v153
	s_delay_alu instid0(VALU_DEP_1) | instskip(NEXT) | instid1(VALU_DEP_1)
	v_fmac_f32_e32 v11, v149, v152
	v_add_f32_e32 v9, v9, v11
	v_mul_f32_e32 v11, v150, v155
	s_delay_alu instid0(VALU_DEP_1) | instskip(SKIP_1) | instid1(VALU_DEP_1)
	v_fmac_f32_e32 v11, v151, v154
	s_wait_dscnt 0x9
	v_dual_add_f32 v9, v9, v11 :: v_dual_mul_f32 v11, v156, v161
	s_delay_alu instid0(VALU_DEP_1) | instskip(NEXT) | instid1(VALU_DEP_1)
	v_fmac_f32_e32 v11, v157, v160
	v_add_f32_e32 v9, v9, v11
	v_mul_f32_e32 v11, v158, v163
	s_delay_alu instid0(VALU_DEP_1) | instskip(SKIP_1) | instid1(VALU_DEP_1)
	v_fmac_f32_e32 v11, v159, v162
	s_wait_dscnt 0x8
	;; [unrolled: 8-line block ×10, first 2 shown]
	v_dual_add_f32 v9, v9, v11 :: v_dual_mul_f32 v11, v228, v233
	s_delay_alu instid0(VALU_DEP_1) | instskip(NEXT) | instid1(VALU_DEP_1)
	v_fmac_f32_e32 v11, v229, v232
	v_add_f32_e32 v9, v9, v11
	v_mul_f32_e32 v11, v230, v235
	s_delay_alu instid0(VALU_DEP_1) | instskip(SKIP_1) | instid1(VALU_DEP_1)
	v_fmac_f32_e32 v11, v231, v234
	s_set_vgpr_msb 64                       ;  msbs: dst=1 src0=0 src1=0 src2=0
	v_add_f32_e32 v5 /*v261*/, v9, v11
	s_set_vgpr_msb 0                        ;  msbs: dst=0 src0=0 src1=0 src2=0
	v_dual_mul_f32 v9, v109, v113 :: v_dual_mul_f32 v11, v111, v115
	s_delay_alu instid0(VALU_DEP_1) | instskip(NEXT) | instid1(VALU_DEP_1)
	v_dual_fma_f32 v9, v108, v112, -v9 :: v_dual_fma_f32 v11, v110, v114, -v11
	v_add_f32_e32 v9, 0, v9
	s_delay_alu instid0(VALU_DEP_1) | instskip(SKIP_1) | instid1(VALU_DEP_1)
	v_add_f32_e32 v9, v9, v11
	v_mul_f32_e32 v11, v117, v121
	v_fma_f32 v11, v116, v120, -v11
	s_delay_alu instid0(VALU_DEP_1) | instskip(SKIP_1) | instid1(VALU_DEP_1)
	v_add_f32_e32 v9, v9, v11
	v_mul_f32_e32 v11, v119, v123
	v_fma_f32 v11, v118, v122, -v11
	ds_load_2addr_b64 v[108:111], v5 offset0:99 offset1:100
	ds_load_2addr_b64 v[112:115], v5 offset0:101 offset1:102
	;; [unrolled: 1-line block ×4, first 2 shown]
	v_add_f32_e32 v9, v9, v11
	v_mul_f32_e32 v11, v125, v129
	s_delay_alu instid0(VALU_DEP_1) | instskip(NEXT) | instid1(VALU_DEP_1)
	v_fma_f32 v11, v124, v128, -v11
	v_add_f32_e32 v9, v9, v11
	v_mul_f32_e32 v11, v127, v131
	s_delay_alu instid0(VALU_DEP_1) | instskip(SKIP_2) | instid1(VALU_DEP_2)
	v_fma_f32 v11, v126, v130, -v11
	s_wait_loadcnt_dscnt 0x303
	v_pk_mul_f32 v[126:127], v[108:109], v[244:245] op_sel:[1,1] op_sel_hi:[0,1]
	v_add_f32_e32 v9, v9, v11
	v_mul_f32_e32 v11, v133, v137
	s_delay_alu instid0(VALU_DEP_3) | instskip(SKIP_1) | instid1(VALU_DEP_3)
	v_pk_fma_f32 v[128:129], v[108:109], v[244:245], v[126:127] neg_lo:[0,0,1] neg_hi:[0,0,1]
	v_pk_fma_f32 v[108:109], v[108:109], v[244:245], v[126:127] op_sel_hi:[1,0,1]
	v_dual_mov_b32 v126, v247 :: v_dual_fma_f32 v11, v132, v136, -v11
	s_delay_alu instid0(VALU_DEP_2) | instskip(NEXT) | instid1(VALU_DEP_2)
	v_mov_b32_e32 v129, v109
	v_add_f32_e32 v9, v9, v11
	v_mul_f32_e32 v11, v135, v139
	s_delay_alu instid0(VALU_DEP_1) | instskip(NEXT) | instid1(VALU_DEP_1)
	v_fma_f32 v11, v134, v138, -v11
	v_add_f32_e32 v9, v9, v11
	v_mul_f32_e32 v11, v141, v145
	s_delay_alu instid0(VALU_DEP_1) | instskip(NEXT) | instid1(VALU_DEP_1)
	v_fma_f32 v11, v140, v144, -v11
	;; [unrolled: 4-line block ×24, first 2 shown]
	v_add_f32_e32 v9, v9, v11
	v_mul_f32_e32 v11, v231, v235
	s_delay_alu instid0(VALU_DEP_1) | instskip(SKIP_1) | instid1(VALU_DEP_1)
	v_fma_f32 v11, v230, v234, -v11
	s_set_vgpr_msb 64                       ;  msbs: dst=1 src0=0 src1=0 src2=0
	v_dual_fmac_f32 v9 /*v265*/, v239, v242 :: v_dual_add_f32 v4 /*v260*/, v9, v11
	s_set_vgpr_msb 0                        ;  msbs: dst=0 src0=0 src1=0 src2=0
	v_mul_f32_e32 v9, v237, v241
	s_set_vgpr_msb 64                       ;  msbs: dst=1 src0=0 src1=0 src2=0
	s_delay_alu instid0(VALU_DEP_1) | instskip(SKIP_3) | instid1(VALU_DEP_1)
	v_fma_f32 v6 /*v262*/, v236, v240, -v9
	s_set_vgpr_msb 0                        ;  msbs: dst=0 src0=0 src1=0 src2=0
	v_mul_f32_e32 v9, v239, v243
	s_set_vgpr_msb 64                       ;  msbs: dst=1 src0=0 src1=0 src2=0
	v_fma_f32 v8 /*v264*/, v238, v242, -v9
	s_set_vgpr_msb 5                        ;  msbs: dst=0 src0=1 src1=1 src2=0
	v_pk_add_f32 v[124:125], v[4:5] /*v[260:261]*/, v[6:7] /*v[262:263]*/
	s_set_vgpr_msb 4                        ;  msbs: dst=0 src0=0 src1=1 src2=0
	s_delay_alu instid0(VALU_DEP_1) | instskip(SKIP_1) | instid1(VALU_DEP_1)
	v_pk_add_f32 v[124:125], v[124:125], v[8:9] /*v[264:265]*/
	s_set_vgpr_msb 0                        ;  msbs: dst=0 src0=0 src1=0 src2=0
	v_pk_add_f32 v[108:109], v[124:125], v[128:129]
	v_dual_mov_b32 v124, v111 :: v_dual_mov_b32 v125, v110
	s_delay_alu instid0(VALU_DEP_1) | instskip(NEXT) | instid1(VALU_DEP_1)
	v_pk_mul_f32 v[124:125], v[124:125], v[126:127] op_sel_hi:[1,0]
	v_pk_fma_f32 v[126:127], v[110:111], v[246:247], v[124:125] neg_lo:[0,0,1] neg_hi:[0,0,1]
	v_pk_fma_f32 v[110:111], v[110:111], v[246:247], v[124:125] op_sel_hi:[1,0,1]
	s_delay_alu instid0(VALU_DEP_1) | instskip(SKIP_2) | instid1(VALU_DEP_2)
	v_mov_b32_e32 v127, v111
	s_wait_loadcnt_dscnt 0x202
	v_pk_mul_f32 v[110:111], v[112:113], v[248:249] op_sel:[1,1] op_sel_hi:[0,1]
	v_pk_add_f32 v[108:109], v[108:109], v[126:127]
	s_delay_alu instid0(VALU_DEP_2) | instskip(SKIP_2) | instid1(VALU_DEP_2)
	v_pk_fma_f32 v[124:125], v[112:113], v[248:249], v[110:111] neg_lo:[0,0,1] neg_hi:[0,0,1]
	v_pk_fma_f32 v[110:111], v[112:113], v[248:249], v[110:111] op_sel_hi:[1,0,1]
	v_dual_mov_b32 v110, v115 :: v_dual_mov_b32 v112, v251
	v_dual_mov_b32 v125, v111 :: v_dual_mov_b32 v111, v114
	s_delay_alu instid0(VALU_DEP_1) | instskip(NEXT) | instid1(VALU_DEP_2)
	v_pk_add_f32 v[108:109], v[108:109], v[124:125]
	v_pk_mul_f32 v[110:111], v[110:111], v[112:113] op_sel_hi:[1,0]
	s_delay_alu instid0(VALU_DEP_1) | instskip(SKIP_1) | instid1(VALU_DEP_1)
	v_pk_fma_f32 v[112:113], v[114:115], v[250:251], v[110:111] neg_lo:[0,0,1] neg_hi:[0,0,1]
	v_pk_fma_f32 v[110:111], v[114:115], v[250:251], v[110:111] op_sel_hi:[1,0,1]
	v_mov_b32_e32 v113, v111
	s_wait_loadcnt_dscnt 0x101
	v_pk_mul_f32 v[110:111], v[116:117], v[252:253] op_sel:[1,1] op_sel_hi:[0,1]
	s_delay_alu instid0(VALU_DEP_2) | instskip(NEXT) | instid1(VALU_DEP_2)
	v_pk_add_f32 v[108:109], v[108:109], v[112:113]
	v_pk_fma_f32 v[112:113], v[116:117], v[252:253], v[110:111] neg_lo:[0,0,1] neg_hi:[0,0,1]
	v_pk_fma_f32 v[110:111], v[116:117], v[252:253], v[110:111] op_sel_hi:[1,0,1]
	s_delay_alu instid0(VALU_DEP_1) | instskip(SKIP_1) | instid1(VALU_DEP_2)
	v_dual_mov_b32 v110, v119 :: v_dual_mov_b32 v113, v111
	v_mov_b32_e32 v111, v118
	v_pk_add_f32 v[108:109], v[108:109], v[112:113]
	v_mov_b32_e32 v112, v255
	s_delay_alu instid0(VALU_DEP_1) | instskip(NEXT) | instid1(VALU_DEP_1)
	v_pk_mul_f32 v[110:111], v[110:111], v[112:113] op_sel_hi:[1,0]
	v_pk_fma_f32 v[112:113], v[118:119], v[254:255], v[110:111] neg_lo:[0,0,1] neg_hi:[0,0,1]
	v_pk_fma_f32 v[110:111], v[118:119], v[254:255], v[110:111] op_sel_hi:[1,0,1]
	s_delay_alu instid0(VALU_DEP_1)
	v_mov_b32_e32 v113, v111
	s_wait_loadcnt_dscnt 0x0
	s_set_vgpr_msb 4                        ;  msbs: dst=0 src0=0 src1=1 src2=0
	v_pk_mul_f32 v[110:111], v[120:121], v[0:1] /*v[256:257]*/ op_sel:[1,1] op_sel_hi:[0,1]
	s_set_vgpr_msb 0                        ;  msbs: dst=0 src0=0 src1=0 src2=0
	v_pk_add_f32 v[108:109], v[108:109], v[112:113]
	s_set_vgpr_msb 4                        ;  msbs: dst=0 src0=0 src1=1 src2=0
	s_delay_alu instid0(VALU_DEP_2) | instskip(SKIP_1) | instid1(VALU_DEP_1)
	v_pk_fma_f32 v[112:113], v[120:121], v[0:1] /*v[256:257]*/, v[110:111] neg_lo:[0,0,1] neg_hi:[0,0,1]
	v_pk_fma_f32 v[110:111], v[120:121], v[0:1] /*v[256:257]*/, v[110:111] op_sel_hi:[1,0,1]
	v_dual_mov_b32 v110, v123 :: v_dual_mov_b32 v113, v111
	v_mov_b32_e32 v111, v122
	s_set_vgpr_msb 0                        ;  msbs: dst=0 src0=0 src1=0 src2=0
	s_delay_alu instid0(VALU_DEP_2) | instskip(SKIP_3) | instid1(VALU_DEP_1)
	v_pk_add_f32 v[108:109], v[108:109], v[112:113]
	s_set_vgpr_msb 1                        ;  msbs: dst=0 src0=1 src1=0 src2=0
	v_mov_b32_e32 v112, v3 /*v259*/
	s_set_vgpr_msb 0                        ;  msbs: dst=0 src0=0 src1=0 src2=0
	v_pk_mul_f32 v[110:111], v[110:111], v[112:113] op_sel_hi:[1,0]
	s_set_vgpr_msb 4                        ;  msbs: dst=0 src0=0 src1=1 src2=0
	s_delay_alu instid0(VALU_DEP_1) | instskip(SKIP_1) | instid1(VALU_DEP_1)
	v_pk_fma_f32 v[112:113], v[122:123], v[2:3] /*v[258:259]*/, v[110:111] neg_lo:[0,0,1] neg_hi:[0,0,1]
	v_pk_fma_f32 v[110:111], v[122:123], v[2:3] /*v[258:259]*/, v[110:111] op_sel_hi:[1,0,1]
	v_mov_b32_e32 v113, v111
	scratch_load_b64 v[110:111], off, off offset:80
	s_set_vgpr_msb 0                        ;  msbs: dst=0 src0=0 src1=0 src2=0
	v_pk_add_f32 v[108:109], v[108:109], v[112:113]
	s_wait_loadcnt 0x0
	s_delay_alu instid0(VALU_DEP_1)
	v_pk_add_f32 v[108:109], v[110:111], v[108:109] neg_lo:[0,1] neg_hi:[0,1]
	scratch_store_b64 off, v[108:109], off offset:80
	s_wait_xcnt 0x0
	v_cmpx_lt_u32_e32 9, v0
	s_cbranch_execz .LBB52_313
; %bb.312:
	scratch_load_b64 v[108:109], off, off offset:72
	v_mov_b64_e32 v[110:111], 0
	scratch_store_b64 off, v[110:111], off offset:72
	s_wait_loadcnt 0x0
	ds_store_b64 v1, v[108:109]
.LBB52_313:
	s_wait_xcnt 0x0
	s_or_b32 exec_lo, exec_lo, s0
	v_mov_b32_e32 v5, 0
	s_wait_storecnt_dscnt 0x0
	s_barrier_signal -1
	s_barrier_wait -1
	ds_load_b128 v[108:111], v5 offset:512
	ds_load_b128 v[112:115], v5 offset:528
	;; [unrolled: 1-line block ×4, first 2 shown]
	s_clause 0x11
	scratch_load_b128 v[124:127], off, off offset:80
	scratch_load_b128 v[128:131], off, off offset:96
	;; [unrolled: 1-line block ×18, first 2 shown]
	s_mov_b32 s0, exec_lo
	s_wait_loadcnt_dscnt 0x1103
	v_mul_f32_e32 v9, v108, v125
	ds_load_b128 v[236:239], v5 offset:768
	ds_load_b128 v[244:247], v5 offset:784
	;; [unrolled: 1-line block ×4, first 2 shown]
	v_dual_fmac_f32 v9, v109, v124 :: v_dual_mul_f32 v11, v110, v127
	ds_load_b128 v[156:159], v5 offset:608
	ds_load_b128 v[164:167], v5 offset:624
	;; [unrolled: 1-line block ×4, first 2 shown]
	v_dual_add_f32 v9, 0, v9 :: v_dual_fmac_f32 v11, v111, v126
	ds_load_b128 v[188:191], v5 offset:672
	ds_load_b128 v[196:199], v5 offset:688
	;; [unrolled: 1-line block ×4, first 2 shown]
	s_wait_loadcnt_dscnt 0x100e
	v_dual_add_f32 v9, v9, v11 :: v_dual_mul_f32 v11, v112, v129
	ds_load_b128 v[220:223], v5 offset:736
	ds_load_b128 v[228:231], v5 offset:752
	s_clause 0x4
	scratch_load_b128 v[252:255], off, off offset:368
	s_set_vgpr_msb 64                       ;  msbs: dst=1 src0=0 src1=0 src2=0
	scratch_load_b128 v[0:3] /*v[256:259]*/, off, off offset:384
	scratch_load_b128 v[4:7] /*v[260:263]*/, off, off offset:400
	scratch_load_b64 v[14:15] /*v[270:271]*/, off, off offset:416
	s_wait_loadcnt_dscnt 0x40c
	v_dual_mul_f32 v11 /*v267*/, v238, v243 :: v_dual_mul_f32 v13 /*v269*/, v244, v249
	s_set_vgpr_msb 0                        ;  msbs: dst=0 src0=0 src1=0 src2=0
	v_fmac_f32_e32 v11, v113, v128
	s_set_vgpr_msb 64                       ;  msbs: dst=1 src0=0 src1=0 src2=0
	s_delay_alu instid0(VALU_DEP_2) | instskip(SKIP_1) | instid1(VALU_DEP_2)
	v_dual_fmac_f32 v11 /*v267*/, v239, v242 :: v_dual_fmac_f32 v13 /*v269*/, v245, v248
	s_set_vgpr_msb 0                        ;  msbs: dst=0 src0=0 src1=0 src2=0
	v_add_f32_e32 v9, v9, v11
	v_mul_f32_e32 v11, v114, v131
	s_delay_alu instid0(VALU_DEP_1) | instskip(NEXT) | instid1(VALU_DEP_1)
	v_fmac_f32_e32 v11, v115, v130
	v_dual_add_f32 v9, v9, v11 :: v_dual_mul_f32 v11, v116, v133
	s_delay_alu instid0(VALU_DEP_1) | instskip(NEXT) | instid1(VALU_DEP_1)
	v_fmac_f32_e32 v11, v117, v132
	v_add_f32_e32 v9, v9, v11
	v_mul_f32_e32 v11, v118, v135
	s_delay_alu instid0(VALU_DEP_1) | instskip(NEXT) | instid1(VALU_DEP_1)
	v_fmac_f32_e32 v11, v119, v134
	v_dual_add_f32 v9, v9, v11 :: v_dual_mul_f32 v11, v120, v137
	s_delay_alu instid0(VALU_DEP_1) | instskip(NEXT) | instid1(VALU_DEP_1)
	v_fmac_f32_e32 v11, v121, v136
	v_add_f32_e32 v9, v9, v11
	v_mul_f32_e32 v11, v122, v139
	s_delay_alu instid0(VALU_DEP_1) | instskip(SKIP_1) | instid1(VALU_DEP_1)
	v_fmac_f32_e32 v11, v123, v138
	s_wait_dscnt 0xb
	v_dual_add_f32 v9, v9, v11 :: v_dual_mul_f32 v11, v140, v145
	s_delay_alu instid0(VALU_DEP_1) | instskip(NEXT) | instid1(VALU_DEP_1)
	v_fmac_f32_e32 v11, v141, v144
	v_add_f32_e32 v9, v9, v11
	v_mul_f32_e32 v11, v142, v147
	s_delay_alu instid0(VALU_DEP_1) | instskip(SKIP_1) | instid1(VALU_DEP_1)
	v_fmac_f32_e32 v11, v143, v146
	s_wait_dscnt 0xa
	;; [unrolled: 8-line block ×12, first 2 shown]
	v_dual_add_f32 v9, v9, v11 :: v_dual_mul_f32 v11, v228, v233
	s_delay_alu instid0(VALU_DEP_1) | instskip(NEXT) | instid1(VALU_DEP_1)
	v_fmac_f32_e32 v11, v229, v232
	v_add_f32_e32 v9, v9, v11
	v_mul_f32_e32 v11, v230, v235
	s_delay_alu instid0(VALU_DEP_1) | instskip(NEXT) | instid1(VALU_DEP_1)
	v_fmac_f32_e32 v11, v231, v234
	v_dual_add_f32 v9, v9, v11 :: v_dual_mul_f32 v11, v236, v241
	s_delay_alu instid0(VALU_DEP_1) | instskip(SKIP_1) | instid1(VALU_DEP_1)
	v_fmac_f32_e32 v11, v237, v240
	s_set_vgpr_msb 64                       ;  msbs: dst=1 src0=0 src1=0 src2=0
	v_add_f32_e32 v9 /*v265*/, v9, v11
	s_set_vgpr_msb 0                        ;  msbs: dst=0 src0=0 src1=0 src2=0
	v_dual_mul_f32 v9, v109, v125 :: v_dual_mul_f32 v11, v111, v127
	s_delay_alu instid0(VALU_DEP_1) | instskip(NEXT) | instid1(VALU_DEP_2)
	v_dual_mov_b32 v125, v246 :: v_dual_fma_f32 v9, v108, v124, -v9
	v_dual_fma_f32 v11, v110, v126, -v11 :: v_dual_mov_b32 v124, v247
	s_delay_alu instid0(VALU_DEP_2) | instskip(NEXT) | instid1(VALU_DEP_1)
	v_dual_mov_b32 v126, v251 :: v_dual_add_f32 v9, 0, v9
	v_pk_mul_f32 v[124:125], v[124:125], v[126:127] op_sel_hi:[1,0]
	s_delay_alu instid0(VALU_DEP_2) | instskip(SKIP_1) | instid1(VALU_DEP_3)
	v_add_f32_e32 v9, v9, v11
	v_mul_f32_e32 v11, v113, v129
	v_pk_fma_f32 v[126:127], v[246:247], v[250:251], v[124:125] neg_lo:[0,0,1] neg_hi:[0,0,1]
	v_pk_fma_f32 v[124:125], v[246:247], v[250:251], v[124:125] op_sel_hi:[1,0,1]
	s_delay_alu instid0(VALU_DEP_1) | instskip(NEXT) | instid1(VALU_DEP_1)
	v_dual_fma_f32 v11, v112, v128, -v11 :: v_dual_mov_b32 v127, v125
	v_add_f32_e32 v9, v9, v11
	v_mul_f32_e32 v11, v115, v131
	s_delay_alu instid0(VALU_DEP_1) | instskip(NEXT) | instid1(VALU_DEP_1)
	v_fma_f32 v11, v114, v130, -v11
	v_add_f32_e32 v9, v9, v11
	v_mul_f32_e32 v11, v117, v133
	s_delay_alu instid0(VALU_DEP_1) | instskip(NEXT) | instid1(VALU_DEP_1)
	v_fma_f32 v11, v116, v132, -v11
	;; [unrolled: 4-line block ×3, first 2 shown]
	v_add_f32_e32 v9, v9, v11
	v_mul_f32_e32 v11, v121, v137
	s_delay_alu instid0(VALU_DEP_1)
	v_fma_f32 v11, v120, v136, -v11
	ds_load_b128 v[108:111], v5 offset:800
	ds_load_b128 v[112:115], v5 offset:816
	;; [unrolled: 1-line block ×3, first 2 shown]
	ds_load_b64 v[120:121], v5 offset:848
	v_add_f32_e32 v9, v9, v11
	v_mul_f32_e32 v11, v123, v139
	s_delay_alu instid0(VALU_DEP_1) | instskip(NEXT) | instid1(VALU_DEP_1)
	v_fma_f32 v11, v122, v138, -v11
	v_add_f32_e32 v9, v9, v11
	v_mul_f32_e32 v11, v141, v145
	s_wait_loadcnt_dscnt 0x303
	v_pk_mul_f32 v[124:125], v[108:109], v[252:253] op_sel:[1,1] op_sel_hi:[0,1]
	s_delay_alu instid0(VALU_DEP_2) | instskip(NEXT) | instid1(VALU_DEP_1)
	v_fma_f32 v11, v140, v144, -v11
	v_add_f32_e32 v9, v9, v11
	v_mul_f32_e32 v11, v143, v147
	s_delay_alu instid0(VALU_DEP_1) | instskip(NEXT) | instid1(VALU_DEP_1)
	v_fma_f32 v11, v142, v146, -v11
	v_add_f32_e32 v9, v9, v11
	v_mul_f32_e32 v11, v149, v153
	s_delay_alu instid0(VALU_DEP_1) | instskip(NEXT) | instid1(VALU_DEP_1)
	;; [unrolled: 4-line block ×23, first 2 shown]
	v_fma_f32 v11, v230, v234, -v11
	v_add_f32_e32 v9, v9, v11
	v_mul_f32_e32 v11, v237, v241
	s_delay_alu instid0(VALU_DEP_1) | instskip(SKIP_1) | instid1(VALU_DEP_1)
	v_fma_f32 v11, v236, v240, -v11
	s_set_vgpr_msb 64                       ;  msbs: dst=1 src0=0 src1=0 src2=0
	v_add_f32_e32 v8 /*v264*/, v9, v11
	s_set_vgpr_msb 0                        ;  msbs: dst=0 src0=0 src1=0 src2=0
	v_mul_f32_e32 v9, v239, v243
	s_set_vgpr_msb 64                       ;  msbs: dst=1 src0=0 src1=0 src2=0
	s_delay_alu instid0(VALU_DEP_1) | instskip(SKIP_3) | instid1(VALU_DEP_2)
	v_fma_f32 v10 /*v266*/, v238, v242, -v9
	s_set_vgpr_msb 0                        ;  msbs: dst=0 src0=0 src1=0 src2=0
	v_mul_f32_e32 v9, v245, v249
	s_set_vgpr_msb 5                        ;  msbs: dst=0 src0=1 src1=1 src2=0
	v_pk_add_f32 v[122:123], v[8:9] /*v[264:265]*/, v[10:11] /*v[266:267]*/
	s_set_vgpr_msb 64                       ;  msbs: dst=1 src0=0 src1=0 src2=0
	s_delay_alu instid0(VALU_DEP_2) | instskip(SKIP_1) | instid1(VALU_DEP_1)
	v_fma_f32 v12 /*v268*/, v244, v248, -v9
	s_set_vgpr_msb 4                        ;  msbs: dst=0 src0=0 src1=1 src2=0
	v_pk_add_f32 v[122:123], v[122:123], v[12:13] /*v[268:269]*/
	s_set_vgpr_msb 0                        ;  msbs: dst=0 src0=0 src1=0 src2=0
	s_delay_alu instid0(VALU_DEP_1) | instskip(SKIP_2) | instid1(VALU_DEP_1)
	v_pk_add_f32 v[122:123], v[122:123], v[126:127]
	v_pk_fma_f32 v[126:127], v[108:109], v[252:253], v[124:125] neg_lo:[0,0,1] neg_hi:[0,0,1]
	v_pk_fma_f32 v[108:109], v[108:109], v[252:253], v[124:125] op_sel_hi:[1,0,1]
	v_dual_mov_b32 v124, v255 :: v_dual_mov_b32 v127, v109
	s_delay_alu instid0(VALU_DEP_1) | instskip(SKIP_1) | instid1(VALU_DEP_1)
	v_pk_add_f32 v[108:109], v[122:123], v[126:127]
	v_dual_mov_b32 v122, v111 :: v_dual_mov_b32 v123, v110
	v_pk_mul_f32 v[122:123], v[122:123], v[124:125] op_sel_hi:[1,0]
	s_delay_alu instid0(VALU_DEP_1) | instskip(SKIP_1) | instid1(VALU_DEP_1)
	v_pk_fma_f32 v[124:125], v[110:111], v[254:255], v[122:123] neg_lo:[0,0,1] neg_hi:[0,0,1]
	v_pk_fma_f32 v[110:111], v[110:111], v[254:255], v[122:123] op_sel_hi:[1,0,1]
	v_mov_b32_e32 v125, v111
	s_wait_loadcnt_dscnt 0x202
	s_set_vgpr_msb 4                        ;  msbs: dst=0 src0=0 src1=1 src2=0
	v_pk_mul_f32 v[110:111], v[112:113], v[0:1] /*v[256:257]*/ op_sel:[1,1] op_sel_hi:[0,1]
	s_set_vgpr_msb 0                        ;  msbs: dst=0 src0=0 src1=0 src2=0
	v_pk_add_f32 v[108:109], v[108:109], v[124:125]
	s_set_vgpr_msb 4                        ;  msbs: dst=0 src0=0 src1=1 src2=0
	s_delay_alu instid0(VALU_DEP_2)
	v_pk_fma_f32 v[122:123], v[112:113], v[0:1] /*v[256:257]*/, v[110:111] neg_lo:[0,0,1] neg_hi:[0,0,1]
	v_pk_fma_f32 v[110:111], v[112:113], v[0:1] /*v[256:257]*/, v[110:111] op_sel_hi:[1,0,1]
	v_mov_b32_e32 v110, v115
	s_set_vgpr_msb 1                        ;  msbs: dst=0 src0=1 src1=0 src2=0
	v_mov_b32_e32 v112, v3 /*v259*/
	s_set_vgpr_msb 0                        ;  msbs: dst=0 src0=0 src1=0 src2=0
	v_dual_mov_b32 v123, v111 :: v_dual_mov_b32 v111, v114
	s_delay_alu instid0(VALU_DEP_1) | instskip(NEXT) | instid1(VALU_DEP_2)
	v_pk_add_f32 v[108:109], v[108:109], v[122:123]
	v_pk_mul_f32 v[110:111], v[110:111], v[112:113] op_sel_hi:[1,0]
	s_set_vgpr_msb 4                        ;  msbs: dst=0 src0=0 src1=1 src2=0
	s_delay_alu instid0(VALU_DEP_1) | instskip(SKIP_1) | instid1(VALU_DEP_1)
	v_pk_fma_f32 v[112:113], v[114:115], v[2:3] /*v[258:259]*/, v[110:111] neg_lo:[0,0,1] neg_hi:[0,0,1]
	v_pk_fma_f32 v[110:111], v[114:115], v[2:3] /*v[258:259]*/, v[110:111] op_sel_hi:[1,0,1]
	v_mov_b32_e32 v113, v111
	s_wait_loadcnt_dscnt 0x101
	v_pk_mul_f32 v[110:111], v[116:117], v[4:5] /*v[260:261]*/ op_sel:[1,1] op_sel_hi:[0,1]
	s_set_vgpr_msb 0                        ;  msbs: dst=0 src0=0 src1=0 src2=0
	s_delay_alu instid0(VALU_DEP_2) | instskip(SKIP_1) | instid1(VALU_DEP_2)
	v_pk_add_f32 v[108:109], v[108:109], v[112:113]
	s_set_vgpr_msb 4                        ;  msbs: dst=0 src0=0 src1=1 src2=0
	v_pk_fma_f32 v[112:113], v[116:117], v[4:5] /*v[260:261]*/, v[110:111] neg_lo:[0,0,1] neg_hi:[0,0,1]
	v_pk_fma_f32 v[110:111], v[116:117], v[4:5] /*v[260:261]*/, v[110:111] op_sel_hi:[1,0,1]
	s_delay_alu instid0(VALU_DEP_1) | instskip(SKIP_2) | instid1(VALU_DEP_2)
	v_dual_mov_b32 v110, v119 :: v_dual_mov_b32 v113, v111
	v_mov_b32_e32 v111, v118
	s_set_vgpr_msb 0                        ;  msbs: dst=0 src0=0 src1=0 src2=0
	v_pk_add_f32 v[108:109], v[108:109], v[112:113]
	s_set_vgpr_msb 1                        ;  msbs: dst=0 src0=1 src1=0 src2=0
	v_mov_b32_e32 v112, v7 /*v263*/
	s_set_vgpr_msb 0                        ;  msbs: dst=0 src0=0 src1=0 src2=0
	s_delay_alu instid0(VALU_DEP_1) | instskip(SKIP_1) | instid1(VALU_DEP_1)
	v_pk_mul_f32 v[110:111], v[110:111], v[112:113] op_sel_hi:[1,0]
	s_set_vgpr_msb 4                        ;  msbs: dst=0 src0=0 src1=1 src2=0
	v_pk_fma_f32 v[112:113], v[118:119], v[6:7] /*v[262:263]*/, v[110:111] neg_lo:[0,0,1] neg_hi:[0,0,1]
	v_pk_fma_f32 v[110:111], v[118:119], v[6:7] /*v[262:263]*/, v[110:111] op_sel_hi:[1,0,1]
	s_delay_alu instid0(VALU_DEP_1) | instskip(SKIP_3) | instid1(VALU_DEP_2)
	v_mov_b32_e32 v113, v111
	s_wait_loadcnt_dscnt 0x0
	v_pk_mul_f32 v[110:111], v[120:121], v[14:15] /*v[270:271]*/ op_sel:[1,1] op_sel_hi:[0,1]
	s_set_vgpr_msb 0                        ;  msbs: dst=0 src0=0 src1=0 src2=0
	v_pk_add_f32 v[108:109], v[108:109], v[112:113]
	s_set_vgpr_msb 4                        ;  msbs: dst=0 src0=0 src1=1 src2=0
	s_delay_alu instid0(VALU_DEP_2) | instskip(SKIP_1) | instid1(VALU_DEP_1)
	v_pk_fma_f32 v[112:113], v[120:121], v[14:15] /*v[270:271]*/, v[110:111] neg_lo:[0,0,1] neg_hi:[0,0,1]
	v_pk_fma_f32 v[110:111], v[120:121], v[14:15] /*v[270:271]*/, v[110:111] op_sel_hi:[1,0,1]
	v_mov_b32_e32 v113, v111
	scratch_load_b64 v[110:111], off, off offset:72
	s_set_vgpr_msb 0                        ;  msbs: dst=0 src0=0 src1=0 src2=0
	v_pk_add_f32 v[108:109], v[108:109], v[112:113]
	s_wait_loadcnt 0x0
	s_delay_alu instid0(VALU_DEP_1)
	v_pk_add_f32 v[108:109], v[110:111], v[108:109] neg_lo:[0,1] neg_hi:[0,1]
	scratch_store_b64 off, v[108:109], off offset:72
	s_wait_xcnt 0x0
	v_cmpx_lt_u32_e32 8, v0
	s_cbranch_execz .LBB52_315
; %bb.314:
	scratch_load_b64 v[108:109], off, off offset:64
	v_mov_b64_e32 v[110:111], 0
	scratch_store_b64 off, v[110:111], off offset:64
	s_wait_loadcnt 0x0
	ds_store_b64 v1, v[108:109]
.LBB52_315:
	s_wait_xcnt 0x0
	s_or_b32 exec_lo, exec_lo, s0
	s_wait_storecnt_dscnt 0x0
	s_barrier_signal -1
	s_barrier_wait -1
	s_clause 0xf
	scratch_load_b128 v[112:115], off, off offset:72
	scratch_load_b128 v[120:123], off, off offset:88
	;; [unrolled: 1-line block ×16, first 2 shown]
	ds_load_2addr_b64 v[108:111], v5 offset0:63 offset1:64
	ds_load_2addr_b64 v[116:119], v5 offset0:65 offset1:66
	s_clause 0x1
	scratch_load_b128 v[240:243], off, off offset:328
	scratch_load_b128 v[248:251], off, off offset:344
	ds_load_2addr_b64 v[124:127], v5 offset0:67 offset1:68
	ds_load_2addr_b64 v[132:135], v5 offset0:69 offset1:70
	ds_load_2addr_b64 v[140:143], v5 offset0:71 offset1:72
	ds_load_2addr_b64 v[148:151], v5 offset0:73 offset1:74
	ds_load_2addr_b64 v[236:239], v5 offset0:95 offset1:96
	ds_load_2addr_b64 v[244:247], v5 offset0:97 offset1:98
	ds_load_2addr_b64 v[156:159], v5 offset0:75 offset1:76
	ds_load_2addr_b64 v[164:167], v5 offset0:77 offset1:78
	ds_load_2addr_b64 v[172:175], v5 offset0:79 offset1:80
	ds_load_2addr_b64 v[180:183], v5 offset0:81 offset1:82
	ds_load_2addr_b64 v[188:191], v5 offset0:83 offset1:84
	ds_load_2addr_b64 v[196:199], v5 offset0:85 offset1:86
	ds_load_2addr_b64 v[204:207], v5 offset0:87 offset1:88
	ds_load_2addr_b64 v[212:215], v5 offset0:89 offset1:90
	ds_load_2addr_b64 v[220:223], v5 offset0:91 offset1:92
	ds_load_2addr_b64 v[228:231], v5 offset0:93 offset1:94
	s_clause 0x4
	scratch_load_b128 v[252:255], off, off offset:360
	s_set_vgpr_msb 64                       ;  msbs: dst=1 src0=0 src1=0 src2=0
	scratch_load_b128 v[0:3] /*v[256:259]*/, off, off offset:376
	scratch_load_b128 v[4:7] /*v[260:263]*/, off, off offset:392
	;; [unrolled: 1-line block ×3, first 2 shown]
	s_mov_b32 s0, exec_lo
	s_wait_loadcnt_dscnt 0x1511
	s_set_vgpr_msb 0                        ;  msbs: dst=0 src0=0 src1=0 src2=0
	v_dual_mul_f32 v9, v108, v113 :: v_dual_mul_f32 v11, v110, v115
	s_delay_alu instid0(VALU_DEP_1) | instskip(NEXT) | instid1(VALU_DEP_1)
	v_dual_fmac_f32 v9, v109, v112 :: v_dual_fmac_f32 v11, v111, v114
	v_add_f32_e32 v9, 0, v9
	s_wait_loadcnt_dscnt 0x1410
	s_delay_alu instid0(VALU_DEP_1)
	v_dual_add_f32 v9, v9, v11 :: v_dual_mul_f32 v11, v116, v121
	s_wait_loadcnt_dscnt 0x40a
	s_set_vgpr_msb 64                       ;  msbs: dst=1 src0=0 src1=0 src2=0
	v_dual_mul_f32 v15 /*v271*/, v244, v249 :: v_dual_mul_f32 v17 /*v273*/, v246, v251
	s_set_vgpr_msb 0                        ;  msbs: dst=0 src0=0 src1=0 src2=0
	v_fmac_f32_e32 v11, v117, v120
	s_set_vgpr_msb 64                       ;  msbs: dst=1 src0=0 src1=0 src2=0
	s_delay_alu instid0(VALU_DEP_2) | instskip(SKIP_1) | instid1(VALU_DEP_2)
	v_fmac_f32_e32 v15 /*v271*/, v245, v248
	s_set_vgpr_msb 0                        ;  msbs: dst=0 src0=0 src1=0 src2=0
	v_add_f32_e32 v9, v9, v11
	v_mul_f32_e32 v11, v118, v123
	s_delay_alu instid0(VALU_DEP_1) | instskip(NEXT) | instid1(VALU_DEP_1)
	v_fmac_f32_e32 v11, v119, v122
	v_dual_add_f32 v9, v9, v11 :: v_dual_mul_f32 v11, v124, v129
	s_delay_alu instid0(VALU_DEP_1) | instskip(NEXT) | instid1(VALU_DEP_1)
	v_fmac_f32_e32 v11, v125, v128
	v_add_f32_e32 v9, v9, v11
	v_mul_f32_e32 v11, v126, v131
	s_delay_alu instid0(VALU_DEP_1) | instskip(NEXT) | instid1(VALU_DEP_1)
	v_fmac_f32_e32 v11, v127, v130
	v_dual_add_f32 v9, v9, v11 :: v_dual_mul_f32 v11, v132, v137
	s_delay_alu instid0(VALU_DEP_1) | instskip(NEXT) | instid1(VALU_DEP_1)
	v_fmac_f32_e32 v11, v133, v136
	;; [unrolled: 7-line block ×4, first 2 shown]
	v_add_f32_e32 v9, v9, v11
	v_mul_f32_e32 v11, v150, v155
	s_delay_alu instid0(VALU_DEP_1) | instskip(SKIP_1) | instid1(VALU_DEP_1)
	v_fmac_f32_e32 v11, v151, v154
	s_wait_dscnt 0x9
	v_dual_add_f32 v9, v9, v11 :: v_dual_mul_f32 v11, v156, v161
	s_delay_alu instid0(VALU_DEP_1) | instskip(NEXT) | instid1(VALU_DEP_1)
	v_fmac_f32_e32 v11, v157, v160
	v_add_f32_e32 v9, v9, v11
	v_mul_f32_e32 v11, v158, v163
	s_delay_alu instid0(VALU_DEP_1) | instskip(SKIP_1) | instid1(VALU_DEP_1)
	v_fmac_f32_e32 v11, v159, v162
	s_wait_dscnt 0x8
	v_dual_add_f32 v9, v9, v11 :: v_dual_mul_f32 v11, v164, v169
	s_delay_alu instid0(VALU_DEP_1) | instskip(NEXT) | instid1(VALU_DEP_1)
	v_fmac_f32_e32 v11, v165, v168
	;; [unrolled: 8-line block ×10, first 2 shown]
	v_add_f32_e32 v9, v9, v11
	v_mul_f32_e32 v11, v230, v235
	s_delay_alu instid0(VALU_DEP_1) | instskip(NEXT) | instid1(VALU_DEP_1)
	v_fmac_f32_e32 v11, v231, v234
	v_dual_add_f32 v9, v9, v11 :: v_dual_mul_f32 v11, v236, v241
	s_delay_alu instid0(VALU_DEP_1) | instskip(NEXT) | instid1(VALU_DEP_1)
	v_fmac_f32_e32 v11, v237, v240
	v_add_f32_e32 v9, v9, v11
	v_mul_f32_e32 v11, v238, v243
	s_delay_alu instid0(VALU_DEP_1) | instskip(SKIP_1) | instid1(VALU_DEP_1)
	v_fmac_f32_e32 v11, v239, v242
	s_set_vgpr_msb 64                       ;  msbs: dst=1 src0=0 src1=0 src2=0
	v_add_f32_e32 v13 /*v269*/, v9, v11
	s_set_vgpr_msb 0                        ;  msbs: dst=0 src0=0 src1=0 src2=0
	v_dual_mul_f32 v9, v109, v113 :: v_dual_mul_f32 v11, v111, v115
	s_delay_alu instid0(VALU_DEP_1) | instskip(NEXT) | instid1(VALU_DEP_1)
	v_dual_fma_f32 v9, v108, v112, -v9 :: v_dual_fma_f32 v11, v110, v114, -v11
	v_add_f32_e32 v9, 0, v9
	s_delay_alu instid0(VALU_DEP_1) | instskip(SKIP_1) | instid1(VALU_DEP_1)
	v_add_f32_e32 v9, v9, v11
	v_mul_f32_e32 v11, v117, v121
	v_fma_f32 v11, v116, v120, -v11
	s_delay_alu instid0(VALU_DEP_1) | instskip(SKIP_1) | instid1(VALU_DEP_1)
	v_add_f32_e32 v9, v9, v11
	v_mul_f32_e32 v11, v119, v123
	v_fma_f32 v11, v118, v122, -v11
	ds_load_2addr_b64 v[108:111], v5 offset0:99 offset1:100
	ds_load_2addr_b64 v[112:115], v5 offset0:101 offset1:102
	;; [unrolled: 1-line block ×4, first 2 shown]
	v_add_f32_e32 v9, v9, v11
	v_mul_f32_e32 v11, v125, v129
	s_delay_alu instid0(VALU_DEP_1) | instskip(NEXT) | instid1(VALU_DEP_1)
	v_fma_f32 v11, v124, v128, -v11
	v_add_f32_e32 v9, v9, v11
	v_mul_f32_e32 v11, v127, v131
	s_delay_alu instid0(VALU_DEP_1) | instskip(SKIP_2) | instid1(VALU_DEP_2)
	v_fma_f32 v11, v126, v130, -v11
	s_wait_loadcnt_dscnt 0x303
	v_pk_mul_f32 v[126:127], v[108:109], v[252:253] op_sel:[1,1] op_sel_hi:[0,1]
	v_add_f32_e32 v9, v9, v11
	v_mul_f32_e32 v11, v133, v137
	s_delay_alu instid0(VALU_DEP_3) | instskip(SKIP_1) | instid1(VALU_DEP_3)
	v_pk_fma_f32 v[128:129], v[108:109], v[252:253], v[126:127] neg_lo:[0,0,1] neg_hi:[0,0,1]
	v_pk_fma_f32 v[108:109], v[108:109], v[252:253], v[126:127] op_sel_hi:[1,0,1]
	v_dual_mov_b32 v126, v255 :: v_dual_fma_f32 v11, v132, v136, -v11
	s_delay_alu instid0(VALU_DEP_2) | instskip(NEXT) | instid1(VALU_DEP_2)
	v_mov_b32_e32 v129, v109
	v_add_f32_e32 v9, v9, v11
	v_mul_f32_e32 v11, v135, v139
	s_delay_alu instid0(VALU_DEP_1) | instskip(NEXT) | instid1(VALU_DEP_1)
	v_fma_f32 v11, v134, v138, -v11
	v_add_f32_e32 v9, v9, v11
	v_mul_f32_e32 v11, v141, v145
	s_delay_alu instid0(VALU_DEP_1) | instskip(NEXT) | instid1(VALU_DEP_1)
	v_fma_f32 v11, v140, v144, -v11
	;; [unrolled: 4-line block ×26, first 2 shown]
	v_add_f32_e32 v9, v9, v11
	v_mul_f32_e32 v11, v239, v243
	s_delay_alu instid0(VALU_DEP_1) | instskip(SKIP_1) | instid1(VALU_DEP_1)
	v_fma_f32 v11, v238, v242, -v11
	s_set_vgpr_msb 64                       ;  msbs: dst=1 src0=0 src1=0 src2=0
	v_dual_fmac_f32 v17 /*v273*/, v247, v250 :: v_dual_add_f32 v12 /*v268*/, v9, v11
	s_set_vgpr_msb 0                        ;  msbs: dst=0 src0=0 src1=0 src2=0
	v_mul_f32_e32 v9, v245, v249
	s_set_vgpr_msb 64                       ;  msbs: dst=1 src0=0 src1=0 src2=0
	s_delay_alu instid0(VALU_DEP_1) | instskip(SKIP_3) | instid1(VALU_DEP_1)
	v_fma_f32 v14 /*v270*/, v244, v248, -v9
	s_set_vgpr_msb 0                        ;  msbs: dst=0 src0=0 src1=0 src2=0
	v_mul_f32_e32 v9, v247, v251
	s_set_vgpr_msb 64                       ;  msbs: dst=1 src0=0 src1=0 src2=0
	v_fma_f32 v16 /*v272*/, v246, v250, -v9
	s_set_vgpr_msb 5                        ;  msbs: dst=0 src0=1 src1=1 src2=0
	v_pk_add_f32 v[124:125], v[12:13] /*v[268:269]*/, v[14:15] /*v[270:271]*/
	s_set_vgpr_msb 4                        ;  msbs: dst=0 src0=0 src1=1 src2=0
	s_delay_alu instid0(VALU_DEP_1) | instskip(SKIP_1) | instid1(VALU_DEP_1)
	v_pk_add_f32 v[124:125], v[124:125], v[16:17] /*v[272:273]*/
	s_set_vgpr_msb 0                        ;  msbs: dst=0 src0=0 src1=0 src2=0
	v_pk_add_f32 v[108:109], v[124:125], v[128:129]
	v_dual_mov_b32 v124, v111 :: v_dual_mov_b32 v125, v110
	s_delay_alu instid0(VALU_DEP_1) | instskip(NEXT) | instid1(VALU_DEP_1)
	v_pk_mul_f32 v[124:125], v[124:125], v[126:127] op_sel_hi:[1,0]
	v_pk_fma_f32 v[126:127], v[110:111], v[254:255], v[124:125] neg_lo:[0,0,1] neg_hi:[0,0,1]
	v_pk_fma_f32 v[110:111], v[110:111], v[254:255], v[124:125] op_sel_hi:[1,0,1]
	s_delay_alu instid0(VALU_DEP_1)
	v_mov_b32_e32 v127, v111
	s_wait_loadcnt_dscnt 0x202
	s_set_vgpr_msb 4                        ;  msbs: dst=0 src0=0 src1=1 src2=0
	v_pk_mul_f32 v[110:111], v[112:113], v[0:1] /*v[256:257]*/ op_sel:[1,1] op_sel_hi:[0,1]
	s_set_vgpr_msb 0                        ;  msbs: dst=0 src0=0 src1=0 src2=0
	v_pk_add_f32 v[108:109], v[108:109], v[126:127]
	s_set_vgpr_msb 4                        ;  msbs: dst=0 src0=0 src1=1 src2=0
	s_delay_alu instid0(VALU_DEP_2)
	v_pk_fma_f32 v[124:125], v[112:113], v[0:1] /*v[256:257]*/, v[110:111] neg_lo:[0,0,1] neg_hi:[0,0,1]
	v_pk_fma_f32 v[110:111], v[112:113], v[0:1] /*v[256:257]*/, v[110:111] op_sel_hi:[1,0,1]
	v_mov_b32_e32 v110, v115
	s_set_vgpr_msb 1                        ;  msbs: dst=0 src0=1 src1=0 src2=0
	v_mov_b32_e32 v112, v3 /*v259*/
	s_set_vgpr_msb 0                        ;  msbs: dst=0 src0=0 src1=0 src2=0
	v_dual_mov_b32 v125, v111 :: v_dual_mov_b32 v111, v114
	s_delay_alu instid0(VALU_DEP_1) | instskip(NEXT) | instid1(VALU_DEP_2)
	v_pk_add_f32 v[108:109], v[108:109], v[124:125]
	v_pk_mul_f32 v[110:111], v[110:111], v[112:113] op_sel_hi:[1,0]
	s_set_vgpr_msb 4                        ;  msbs: dst=0 src0=0 src1=1 src2=0
	s_delay_alu instid0(VALU_DEP_1) | instskip(SKIP_1) | instid1(VALU_DEP_1)
	v_pk_fma_f32 v[112:113], v[114:115], v[2:3] /*v[258:259]*/, v[110:111] neg_lo:[0,0,1] neg_hi:[0,0,1]
	v_pk_fma_f32 v[110:111], v[114:115], v[2:3] /*v[258:259]*/, v[110:111] op_sel_hi:[1,0,1]
	v_mov_b32_e32 v113, v111
	s_wait_loadcnt_dscnt 0x101
	v_pk_mul_f32 v[110:111], v[116:117], v[4:5] /*v[260:261]*/ op_sel:[1,1] op_sel_hi:[0,1]
	s_set_vgpr_msb 0                        ;  msbs: dst=0 src0=0 src1=0 src2=0
	s_delay_alu instid0(VALU_DEP_2) | instskip(SKIP_1) | instid1(VALU_DEP_2)
	v_pk_add_f32 v[108:109], v[108:109], v[112:113]
	s_set_vgpr_msb 4                        ;  msbs: dst=0 src0=0 src1=1 src2=0
	v_pk_fma_f32 v[112:113], v[116:117], v[4:5] /*v[260:261]*/, v[110:111] neg_lo:[0,0,1] neg_hi:[0,0,1]
	v_pk_fma_f32 v[110:111], v[116:117], v[4:5] /*v[260:261]*/, v[110:111] op_sel_hi:[1,0,1]
	s_delay_alu instid0(VALU_DEP_1) | instskip(SKIP_2) | instid1(VALU_DEP_2)
	v_dual_mov_b32 v110, v119 :: v_dual_mov_b32 v113, v111
	v_mov_b32_e32 v111, v118
	s_set_vgpr_msb 0                        ;  msbs: dst=0 src0=0 src1=0 src2=0
	v_pk_add_f32 v[108:109], v[108:109], v[112:113]
	s_set_vgpr_msb 1                        ;  msbs: dst=0 src0=1 src1=0 src2=0
	v_mov_b32_e32 v112, v7 /*v263*/
	s_set_vgpr_msb 0                        ;  msbs: dst=0 src0=0 src1=0 src2=0
	s_delay_alu instid0(VALU_DEP_1) | instskip(SKIP_1) | instid1(VALU_DEP_1)
	v_pk_mul_f32 v[110:111], v[110:111], v[112:113] op_sel_hi:[1,0]
	s_set_vgpr_msb 4                        ;  msbs: dst=0 src0=0 src1=1 src2=0
	v_pk_fma_f32 v[112:113], v[118:119], v[6:7] /*v[262:263]*/, v[110:111] neg_lo:[0,0,1] neg_hi:[0,0,1]
	v_pk_fma_f32 v[110:111], v[118:119], v[6:7] /*v[262:263]*/, v[110:111] op_sel_hi:[1,0,1]
	s_delay_alu instid0(VALU_DEP_1) | instskip(SKIP_3) | instid1(VALU_DEP_2)
	v_mov_b32_e32 v113, v111
	s_wait_loadcnt_dscnt 0x0
	v_pk_mul_f32 v[110:111], v[120:121], v[8:9] /*v[264:265]*/ op_sel:[1,1] op_sel_hi:[0,1]
	s_set_vgpr_msb 0                        ;  msbs: dst=0 src0=0 src1=0 src2=0
	v_pk_add_f32 v[108:109], v[108:109], v[112:113]
	s_set_vgpr_msb 4                        ;  msbs: dst=0 src0=0 src1=1 src2=0
	s_delay_alu instid0(VALU_DEP_2) | instskip(SKIP_1) | instid1(VALU_DEP_1)
	v_pk_fma_f32 v[112:113], v[120:121], v[8:9] /*v[264:265]*/, v[110:111] neg_lo:[0,0,1] neg_hi:[0,0,1]
	v_pk_fma_f32 v[110:111], v[120:121], v[8:9] /*v[264:265]*/, v[110:111] op_sel_hi:[1,0,1]
	v_dual_mov_b32 v110, v123 :: v_dual_mov_b32 v113, v111
	v_mov_b32_e32 v111, v122
	s_set_vgpr_msb 0                        ;  msbs: dst=0 src0=0 src1=0 src2=0
	s_delay_alu instid0(VALU_DEP_2) | instskip(SKIP_3) | instid1(VALU_DEP_1)
	v_pk_add_f32 v[108:109], v[108:109], v[112:113]
	s_set_vgpr_msb 1                        ;  msbs: dst=0 src0=1 src1=0 src2=0
	v_mov_b32_e32 v112, v11 /*v267*/
	s_set_vgpr_msb 0                        ;  msbs: dst=0 src0=0 src1=0 src2=0
	v_pk_mul_f32 v[110:111], v[110:111], v[112:113] op_sel_hi:[1,0]
	s_set_vgpr_msb 4                        ;  msbs: dst=0 src0=0 src1=1 src2=0
	s_delay_alu instid0(VALU_DEP_1) | instskip(SKIP_1) | instid1(VALU_DEP_1)
	v_pk_fma_f32 v[112:113], v[122:123], v[10:11] /*v[266:267]*/, v[110:111] neg_lo:[0,0,1] neg_hi:[0,0,1]
	v_pk_fma_f32 v[110:111], v[122:123], v[10:11] /*v[266:267]*/, v[110:111] op_sel_hi:[1,0,1]
	v_mov_b32_e32 v113, v111
	scratch_load_b64 v[110:111], off, off offset:64
	s_set_vgpr_msb 0                        ;  msbs: dst=0 src0=0 src1=0 src2=0
	v_pk_add_f32 v[108:109], v[108:109], v[112:113]
	s_wait_loadcnt 0x0
	s_delay_alu instid0(VALU_DEP_1)
	v_pk_add_f32 v[108:109], v[110:111], v[108:109] neg_lo:[0,1] neg_hi:[0,1]
	scratch_store_b64 off, v[108:109], off offset:64
	s_wait_xcnt 0x0
	v_cmpx_lt_u32_e32 7, v0
	s_cbranch_execz .LBB52_317
; %bb.316:
	scratch_load_b64 v[108:109], off, off offset:56
	v_mov_b64_e32 v[110:111], 0
	scratch_store_b64 off, v[110:111], off offset:56
	s_wait_loadcnt 0x0
	ds_store_b64 v1, v[108:109]
.LBB52_317:
	s_wait_xcnt 0x0
	s_or_b32 exec_lo, exec_lo, s0
	v_mov_b32_e32 v5, 0
	s_wait_storecnt_dscnt 0x0
	s_barrier_signal -1
	s_barrier_wait -1
	ds_load_b128 v[108:111], v5 offset:496
	ds_load_b128 v[112:115], v5 offset:512
	ds_load_b128 v[116:119], v5 offset:528
	ds_load_b128 v[120:123], v5 offset:544
	s_clause 0x13
	scratch_load_b128 v[124:127], off, off offset:64
	scratch_load_b128 v[128:131], off, off offset:80
	;; [unrolled: 1-line block ×18, first 2 shown]
	s_set_vgpr_msb 64                       ;  msbs: dst=1 src0=0 src1=0 src2=0
	scratch_load_b128 v[0:3] /*v[256:259]*/, off, off offset:352
	s_mov_b32 s0, exec_lo
	s_wait_loadcnt_dscnt 0x1203
	s_set_vgpr_msb 0                        ;  msbs: dst=0 src0=0 src1=0 src2=0
	v_mul_f32_e32 v9, v108, v125
	ds_load_b128 v[236:239], v5 offset:752
	ds_load_b128 v[244:247], v5 offset:768
	;; [unrolled: 1-line block ×4, first 2 shown]
	v_dual_fmac_f32 v9, v109, v124 :: v_dual_mul_f32 v11, v110, v127
	ds_load_b128 v[252:255], v5 offset:784
	ds_load_b128 v[156:159], v5 offset:592
	ds_load_b128 v[164:167], v5 offset:608
	v_dual_add_f32 v9, 0, v9 :: v_dual_fmac_f32 v11, v111, v126
	ds_load_b128 v[172:175], v5 offset:624
	ds_load_b128 v[180:183], v5 offset:640
	;; [unrolled: 1-line block ×4, first 2 shown]
	s_wait_loadcnt_dscnt 0x110d
	v_dual_add_f32 v9, v9, v11 :: v_dual_mul_f32 v11, v112, v129
	ds_load_b128 v[204:207], v5 offset:688
	ds_load_b128 v[212:215], v5 offset:704
	;; [unrolled: 1-line block ×4, first 2 shown]
	v_fmac_f32_e32 v11, v113, v128
	s_wait_loadcnt_dscnt 0x10d
	s_set_vgpr_msb 64                       ;  msbs: dst=1 src0=0 src1=0 src2=0
	v_mul_f32_e32 v19 /*v275*/, v246, v251
	s_clause 0x3
	scratch_load_b128 v[4:7] /*v[260:263]*/, off, off offset:368
	scratch_load_b128 v[8:11] /*v[264:267]*/, off, off offset:384
	;; [unrolled: 1-line block ×3, first 2 shown]
	scratch_load_b64 v[22:23] /*v[278:279]*/, off, off offset:416
	s_set_vgpr_msb 0                        ;  msbs: dst=0 src0=0 src1=0 src2=0
	v_add_f32_e32 v9, v9, v11
	v_mul_f32_e32 v11, v114, v131
	s_delay_alu instid0(VALU_DEP_1) | instskip(NEXT) | instid1(VALU_DEP_1)
	v_fmac_f32_e32 v11, v115, v130
	v_dual_add_f32 v9, v9, v11 :: v_dual_mul_f32 v11, v116, v133
	s_delay_alu instid0(VALU_DEP_1) | instskip(NEXT) | instid1(VALU_DEP_1)
	v_fmac_f32_e32 v11, v117, v132
	v_add_f32_e32 v9, v9, v11
	v_mul_f32_e32 v11, v118, v135
	s_delay_alu instid0(VALU_DEP_1) | instskip(NEXT) | instid1(VALU_DEP_1)
	v_fmac_f32_e32 v11, v119, v134
	v_dual_add_f32 v9, v9, v11 :: v_dual_mul_f32 v11, v120, v137
	s_delay_alu instid0(VALU_DEP_1) | instskip(NEXT) | instid1(VALU_DEP_1)
	v_fmac_f32_e32 v11, v121, v136
	v_add_f32_e32 v9, v9, v11
	v_mul_f32_e32 v11, v122, v139
	s_delay_alu instid0(VALU_DEP_1) | instskip(SKIP_1) | instid1(VALU_DEP_1)
	v_fmac_f32_e32 v11, v123, v138
	s_wait_dscnt 0xc
	v_dual_add_f32 v9, v9, v11 :: v_dual_mul_f32 v11, v140, v145
	s_delay_alu instid0(VALU_DEP_1) | instskip(NEXT) | instid1(VALU_DEP_1)
	v_fmac_f32_e32 v11, v141, v144
	v_add_f32_e32 v9, v9, v11
	v_mul_f32_e32 v11, v142, v147
	s_delay_alu instid0(VALU_DEP_1) | instskip(SKIP_1) | instid1(VALU_DEP_1)
	v_fmac_f32_e32 v11, v143, v146
	s_wait_dscnt 0xb
	v_dual_add_f32 v9, v9, v11 :: v_dual_mul_f32 v11, v148, v153
	s_delay_alu instid0(VALU_DEP_1) | instskip(NEXT) | instid1(VALU_DEP_1)
	v_fmac_f32_e32 v11, v149, v152
	v_add_f32_e32 v9, v9, v11
	v_mul_f32_e32 v11, v150, v155
	s_delay_alu instid0(VALU_DEP_1) | instskip(SKIP_1) | instid1(VALU_DEP_1)
	v_fmac_f32_e32 v11, v151, v154
	s_wait_dscnt 0x9
	v_dual_add_f32 v9, v9, v11 :: v_dual_mul_f32 v11, v156, v161
	s_delay_alu instid0(VALU_DEP_1) | instskip(NEXT) | instid1(VALU_DEP_1)
	v_fmac_f32_e32 v11, v157, v160
	v_add_f32_e32 v9, v9, v11
	v_mul_f32_e32 v11, v158, v163
	s_delay_alu instid0(VALU_DEP_1) | instskip(SKIP_1) | instid1(VALU_DEP_1)
	v_fmac_f32_e32 v11, v159, v162
	s_wait_dscnt 0x8
	v_dual_add_f32 v9, v9, v11 :: v_dual_mul_f32 v11, v164, v169
	s_delay_alu instid0(VALU_DEP_1) | instskip(NEXT) | instid1(VALU_DEP_1)
	v_fmac_f32_e32 v11, v165, v168
	v_add_f32_e32 v9, v9, v11
	v_mul_f32_e32 v11, v166, v171
	s_delay_alu instid0(VALU_DEP_1) | instskip(SKIP_1) | instid1(VALU_DEP_1)
	v_fmac_f32_e32 v11, v167, v170
	s_wait_dscnt 0x7
	v_dual_add_f32 v9, v9, v11 :: v_dual_mul_f32 v11, v172, v177
	s_delay_alu instid0(VALU_DEP_1) | instskip(NEXT) | instid1(VALU_DEP_1)
	v_fmac_f32_e32 v11, v173, v176
	v_add_f32_e32 v9, v9, v11
	v_mul_f32_e32 v11, v174, v179
	s_delay_alu instid0(VALU_DEP_1) | instskip(SKIP_1) | instid1(VALU_DEP_1)
	v_fmac_f32_e32 v11, v175, v178
	s_wait_dscnt 0x6
	v_dual_add_f32 v9, v9, v11 :: v_dual_mul_f32 v11, v180, v185
	s_delay_alu instid0(VALU_DEP_1) | instskip(NEXT) | instid1(VALU_DEP_1)
	v_fmac_f32_e32 v11, v181, v184
	v_add_f32_e32 v9, v9, v11
	v_mul_f32_e32 v11, v182, v187
	s_delay_alu instid0(VALU_DEP_1) | instskip(SKIP_1) | instid1(VALU_DEP_1)
	v_fmac_f32_e32 v11, v183, v186
	s_wait_dscnt 0x5
	v_dual_add_f32 v9, v9, v11 :: v_dual_mul_f32 v11, v188, v193
	s_delay_alu instid0(VALU_DEP_1) | instskip(NEXT) | instid1(VALU_DEP_1)
	v_fmac_f32_e32 v11, v189, v192
	v_add_f32_e32 v9, v9, v11
	v_mul_f32_e32 v11, v190, v195
	s_delay_alu instid0(VALU_DEP_1) | instskip(SKIP_1) | instid1(VALU_DEP_1)
	v_fmac_f32_e32 v11, v191, v194
	s_wait_dscnt 0x4
	v_dual_add_f32 v9, v9, v11 :: v_dual_mul_f32 v11, v196, v201
	s_delay_alu instid0(VALU_DEP_1) | instskip(NEXT) | instid1(VALU_DEP_1)
	v_fmac_f32_e32 v11, v197, v200
	v_add_f32_e32 v9, v9, v11
	v_mul_f32_e32 v11, v198, v203
	s_delay_alu instid0(VALU_DEP_1) | instskip(SKIP_1) | instid1(VALU_DEP_1)
	v_fmac_f32_e32 v11, v199, v202
	s_wait_dscnt 0x3
	v_dual_add_f32 v9, v9, v11 :: v_dual_mul_f32 v11, v204, v209
	s_delay_alu instid0(VALU_DEP_1) | instskip(NEXT) | instid1(VALU_DEP_1)
	v_fmac_f32_e32 v11, v205, v208
	v_add_f32_e32 v9, v9, v11
	v_mul_f32_e32 v11, v206, v211
	s_delay_alu instid0(VALU_DEP_1) | instskip(SKIP_1) | instid1(VALU_DEP_1)
	v_fmac_f32_e32 v11, v207, v210
	s_wait_dscnt 0x2
	v_dual_add_f32 v9, v9, v11 :: v_dual_mul_f32 v11, v212, v217
	s_delay_alu instid0(VALU_DEP_1) | instskip(NEXT) | instid1(VALU_DEP_1)
	v_fmac_f32_e32 v11, v213, v216
	v_add_f32_e32 v9, v9, v11
	v_mul_f32_e32 v11, v214, v219
	s_delay_alu instid0(VALU_DEP_1) | instskip(SKIP_1) | instid1(VALU_DEP_1)
	v_fmac_f32_e32 v11, v215, v218
	s_wait_dscnt 0x1
	v_dual_add_f32 v9, v9, v11 :: v_dual_mul_f32 v11, v220, v225
	s_delay_alu instid0(VALU_DEP_1) | instskip(NEXT) | instid1(VALU_DEP_1)
	v_fmac_f32_e32 v11, v221, v224
	v_add_f32_e32 v9, v9, v11
	v_mul_f32_e32 v11, v222, v227
	s_delay_alu instid0(VALU_DEP_1) | instskip(SKIP_1) | instid1(VALU_DEP_1)
	v_fmac_f32_e32 v11, v223, v226
	s_wait_dscnt 0x0
	v_dual_add_f32 v9, v9, v11 :: v_dual_mul_f32 v11, v228, v233
	s_delay_alu instid0(VALU_DEP_1) | instskip(NEXT) | instid1(VALU_DEP_1)
	v_fmac_f32_e32 v11, v229, v232
	v_add_f32_e32 v9, v9, v11
	v_mul_f32_e32 v11, v230, v235
	s_delay_alu instid0(VALU_DEP_1) | instskip(NEXT) | instid1(VALU_DEP_1)
	v_fmac_f32_e32 v11, v231, v234
	v_dual_add_f32 v9, v9, v11 :: v_dual_mul_f32 v11, v236, v241
	s_delay_alu instid0(VALU_DEP_1) | instskip(NEXT) | instid1(VALU_DEP_1)
	v_fmac_f32_e32 v11, v237, v240
	v_add_f32_e32 v9, v9, v11
	v_mul_f32_e32 v11, v238, v243
	s_delay_alu instid0(VALU_DEP_1) | instskip(NEXT) | instid1(VALU_DEP_1)
	v_fmac_f32_e32 v11, v239, v242
	v_dual_add_f32 v9, v9, v11 :: v_dual_mul_f32 v11, v244, v249
	s_delay_alu instid0(VALU_DEP_1) | instskip(SKIP_1) | instid1(VALU_DEP_1)
	v_fmac_f32_e32 v11, v245, v248
	s_set_vgpr_msb 64                       ;  msbs: dst=1 src0=0 src1=0 src2=0
	v_add_f32_e32 v17 /*v273*/, v9, v11
	s_set_vgpr_msb 0                        ;  msbs: dst=0 src0=0 src1=0 src2=0
	v_dual_mul_f32 v9, v109, v125 :: v_dual_mul_f32 v11, v111, v127
	s_delay_alu instid0(VALU_DEP_1) | instskip(NEXT) | instid1(VALU_DEP_2)
	v_dual_mov_b32 v125, v254 :: v_dual_fma_f32 v9, v108, v124, -v9
	v_dual_fma_f32 v11, v110, v126, -v11 :: v_dual_mov_b32 v124, v255
	s_wait_loadcnt 0x4
	s_set_vgpr_msb 1                        ;  msbs: dst=0 src0=1 src1=0 src2=0
	s_delay_alu instid0(VALU_DEP_2) | instskip(SKIP_1) | instid1(VALU_DEP_1)
	v_dual_mov_b32 v126, v3 /*v259*/ :: v_dual_add_f32 v9, 0, v9
	s_set_vgpr_msb 0                        ;  msbs: dst=0 src0=0 src1=0 src2=0
	v_pk_mul_f32 v[124:125], v[124:125], v[126:127] op_sel_hi:[1,0]
	s_delay_alu instid0(VALU_DEP_2) | instskip(SKIP_2) | instid1(VALU_DEP_3)
	v_add_f32_e32 v9, v9, v11
	v_mul_f32_e32 v11, v113, v129
	s_set_vgpr_msb 4                        ;  msbs: dst=0 src0=0 src1=1 src2=0
	v_pk_fma_f32 v[126:127], v[254:255], v[2:3] /*v[258:259]*/, v[124:125] neg_lo:[0,0,1] neg_hi:[0,0,1]
	v_pk_fma_f32 v[124:125], v[254:255], v[2:3] /*v[258:259]*/, v[124:125] op_sel_hi:[1,0,1]
	s_set_vgpr_msb 0                        ;  msbs: dst=0 src0=0 src1=0 src2=0
	s_delay_alu instid0(VALU_DEP_1) | instskip(NEXT) | instid1(VALU_DEP_1)
	v_dual_fma_f32 v11, v112, v128, -v11 :: v_dual_mov_b32 v127, v125
	v_add_f32_e32 v9, v9, v11
	v_mul_f32_e32 v11, v115, v131
	s_delay_alu instid0(VALU_DEP_1) | instskip(NEXT) | instid1(VALU_DEP_1)
	v_fma_f32 v11, v114, v130, -v11
	v_add_f32_e32 v9, v9, v11
	v_mul_f32_e32 v11, v117, v133
	s_delay_alu instid0(VALU_DEP_1) | instskip(NEXT) | instid1(VALU_DEP_1)
	v_fma_f32 v11, v116, v132, -v11
	;; [unrolled: 4-line block ×3, first 2 shown]
	v_add_f32_e32 v9, v9, v11
	v_mul_f32_e32 v11, v121, v137
	s_delay_alu instid0(VALU_DEP_1)
	v_fma_f32 v11, v120, v136, -v11
	ds_load_b128 v[108:111], v5 offset:800
	ds_load_b128 v[112:115], v5 offset:816
	;; [unrolled: 1-line block ×3, first 2 shown]
	ds_load_b64 v[120:121], v5 offset:848
	v_add_f32_e32 v9, v9, v11
	v_mul_f32_e32 v11, v123, v139
	s_delay_alu instid0(VALU_DEP_1) | instskip(NEXT) | instid1(VALU_DEP_1)
	v_fma_f32 v11, v122, v138, -v11
	v_add_f32_e32 v9, v9, v11
	v_mul_f32_e32 v11, v141, v145
	s_wait_loadcnt_dscnt 0x303
	s_set_vgpr_msb 4                        ;  msbs: dst=0 src0=0 src1=1 src2=0
	v_pk_mul_f32 v[124:125], v[108:109], v[4:5] /*v[260:261]*/ op_sel:[1,1] op_sel_hi:[0,1]
	s_set_vgpr_msb 0                        ;  msbs: dst=0 src0=0 src1=0 src2=0
	v_fma_f32 v11, v140, v144, -v11
	s_delay_alu instid0(VALU_DEP_1) | instskip(SKIP_1) | instid1(VALU_DEP_1)
	v_add_f32_e32 v9, v9, v11
	v_mul_f32_e32 v11, v143, v147
	v_fma_f32 v11, v142, v146, -v11
	s_delay_alu instid0(VALU_DEP_1) | instskip(SKIP_1) | instid1(VALU_DEP_1)
	v_add_f32_e32 v9, v9, v11
	v_mul_f32_e32 v11, v149, v153
	;; [unrolled: 4-line block ×26, first 2 shown]
	v_fma_f32 v11, v244, v248, -v11
	s_set_vgpr_msb 64                       ;  msbs: dst=1 src0=0 src1=0 src2=0
	s_delay_alu instid0(VALU_DEP_1) | instskip(SKIP_3) | instid1(VALU_DEP_1)
	v_add_f32_e32 v16 /*v272*/, v9, v11
	s_set_vgpr_msb 0                        ;  msbs: dst=0 src0=0 src1=0 src2=0
	v_mul_f32_e32 v9, v247, v251
	s_set_vgpr_msb 64                       ;  msbs: dst=1 src0=0 src1=0 src2=0
	v_fma_f32 v18 /*v274*/, v246, v250, -v9
	v_fmac_f32_e32 v19 /*v275*/, v247, v250
	s_set_vgpr_msb 4                        ;  msbs: dst=0 src0=0 src1=1 src2=0
	v_mul_f32_e32 v9, v253, v1 /*v257*/
	s_set_vgpr_msb 0x44                     ;  msbs: dst=1 src0=0 src1=1 src2=0
	v_mul_f32_e32 v21 /*v277*/, v252, v1 /*v257*/
	s_set_vgpr_msb 5                        ;  msbs: dst=0 src0=1 src1=1 src2=0
	v_pk_add_f32 v[122:123], v[16:17] /*v[272:273]*/, v[18:19] /*v[274:275]*/
	s_set_vgpr_msb 0x44                     ;  msbs: dst=1 src0=0 src1=1 src2=0
	v_fma_f32 v20 /*v276*/, v252, v0 /*v256*/, -v9
	v_fmac_f32_e32 v21 /*v277*/, v253, v0 /*v256*/
	s_set_vgpr_msb 4                        ;  msbs: dst=0 src0=0 src1=1 src2=0
	s_delay_alu instid0(VALU_DEP_1) | instskip(SKIP_1) | instid1(VALU_DEP_1)
	v_pk_add_f32 v[122:123], v[122:123], v[20:21] /*v[276:277]*/
	s_set_vgpr_msb 0                        ;  msbs: dst=0 src0=0 src1=0 src2=0
	v_pk_add_f32 v[122:123], v[122:123], v[126:127]
	s_set_vgpr_msb 4                        ;  msbs: dst=0 src0=0 src1=1 src2=0
	v_pk_fma_f32 v[126:127], v[108:109], v[4:5] /*v[260:261]*/, v[124:125] neg_lo:[0,0,1] neg_hi:[0,0,1]
	v_pk_fma_f32 v[108:109], v[108:109], v[4:5] /*v[260:261]*/, v[124:125] op_sel_hi:[1,0,1]
	s_set_vgpr_msb 1                        ;  msbs: dst=0 src0=1 src1=0 src2=0
	v_mov_b32_e32 v124, v7 /*v263*/
	s_set_vgpr_msb 0                        ;  msbs: dst=0 src0=0 src1=0 src2=0
	s_delay_alu instid0(VALU_DEP_2) | instskip(NEXT) | instid1(VALU_DEP_1)
	v_mov_b32_e32 v127, v109
	v_pk_add_f32 v[108:109], v[122:123], v[126:127]
	v_dual_mov_b32 v122, v111 :: v_dual_mov_b32 v123, v110
	s_delay_alu instid0(VALU_DEP_1) | instskip(SKIP_1) | instid1(VALU_DEP_1)
	v_pk_mul_f32 v[122:123], v[122:123], v[124:125] op_sel_hi:[1,0]
	s_set_vgpr_msb 4                        ;  msbs: dst=0 src0=0 src1=1 src2=0
	v_pk_fma_f32 v[124:125], v[110:111], v[6:7] /*v[262:263]*/, v[122:123] neg_lo:[0,0,1] neg_hi:[0,0,1]
	v_pk_fma_f32 v[110:111], v[110:111], v[6:7] /*v[262:263]*/, v[122:123] op_sel_hi:[1,0,1]
	s_delay_alu instid0(VALU_DEP_1) | instskip(SKIP_3) | instid1(VALU_DEP_2)
	v_mov_b32_e32 v125, v111
	s_wait_loadcnt_dscnt 0x202
	v_pk_mul_f32 v[110:111], v[112:113], v[8:9] /*v[264:265]*/ op_sel:[1,1] op_sel_hi:[0,1]
	s_set_vgpr_msb 0                        ;  msbs: dst=0 src0=0 src1=0 src2=0
	v_pk_add_f32 v[108:109], v[108:109], v[124:125]
	s_set_vgpr_msb 4                        ;  msbs: dst=0 src0=0 src1=1 src2=0
	s_delay_alu instid0(VALU_DEP_2)
	v_pk_fma_f32 v[122:123], v[112:113], v[8:9] /*v[264:265]*/, v[110:111] neg_lo:[0,0,1] neg_hi:[0,0,1]
	v_pk_fma_f32 v[110:111], v[112:113], v[8:9] /*v[264:265]*/, v[110:111] op_sel_hi:[1,0,1]
	v_mov_b32_e32 v110, v115
	s_set_vgpr_msb 1                        ;  msbs: dst=0 src0=1 src1=0 src2=0
	v_mov_b32_e32 v112, v11 /*v267*/
	s_set_vgpr_msb 0                        ;  msbs: dst=0 src0=0 src1=0 src2=0
	v_dual_mov_b32 v123, v111 :: v_dual_mov_b32 v111, v114
	s_delay_alu instid0(VALU_DEP_1) | instskip(NEXT) | instid1(VALU_DEP_2)
	v_pk_add_f32 v[108:109], v[108:109], v[122:123]
	v_pk_mul_f32 v[110:111], v[110:111], v[112:113] op_sel_hi:[1,0]
	s_set_vgpr_msb 4                        ;  msbs: dst=0 src0=0 src1=1 src2=0
	s_delay_alu instid0(VALU_DEP_1) | instskip(SKIP_1) | instid1(VALU_DEP_1)
	v_pk_fma_f32 v[112:113], v[114:115], v[10:11] /*v[266:267]*/, v[110:111] neg_lo:[0,0,1] neg_hi:[0,0,1]
	v_pk_fma_f32 v[110:111], v[114:115], v[10:11] /*v[266:267]*/, v[110:111] op_sel_hi:[1,0,1]
	v_mov_b32_e32 v113, v111
	s_wait_loadcnt_dscnt 0x101
	v_pk_mul_f32 v[110:111], v[116:117], v[12:13] /*v[268:269]*/ op_sel:[1,1] op_sel_hi:[0,1]
	s_set_vgpr_msb 0                        ;  msbs: dst=0 src0=0 src1=0 src2=0
	s_delay_alu instid0(VALU_DEP_2) | instskip(SKIP_1) | instid1(VALU_DEP_2)
	v_pk_add_f32 v[108:109], v[108:109], v[112:113]
	s_set_vgpr_msb 4                        ;  msbs: dst=0 src0=0 src1=1 src2=0
	v_pk_fma_f32 v[112:113], v[116:117], v[12:13] /*v[268:269]*/, v[110:111] neg_lo:[0,0,1] neg_hi:[0,0,1]
	v_pk_fma_f32 v[110:111], v[116:117], v[12:13] /*v[268:269]*/, v[110:111] op_sel_hi:[1,0,1]
	s_delay_alu instid0(VALU_DEP_1) | instskip(SKIP_2) | instid1(VALU_DEP_2)
	v_dual_mov_b32 v110, v119 :: v_dual_mov_b32 v113, v111
	v_mov_b32_e32 v111, v118
	s_set_vgpr_msb 0                        ;  msbs: dst=0 src0=0 src1=0 src2=0
	v_pk_add_f32 v[108:109], v[108:109], v[112:113]
	s_set_vgpr_msb 1                        ;  msbs: dst=0 src0=1 src1=0 src2=0
	v_mov_b32_e32 v112, v15 /*v271*/
	s_set_vgpr_msb 0                        ;  msbs: dst=0 src0=0 src1=0 src2=0
	s_delay_alu instid0(VALU_DEP_1) | instskip(SKIP_1) | instid1(VALU_DEP_1)
	v_pk_mul_f32 v[110:111], v[110:111], v[112:113] op_sel_hi:[1,0]
	s_set_vgpr_msb 4                        ;  msbs: dst=0 src0=0 src1=1 src2=0
	v_pk_fma_f32 v[112:113], v[118:119], v[14:15] /*v[270:271]*/, v[110:111] neg_lo:[0,0,1] neg_hi:[0,0,1]
	v_pk_fma_f32 v[110:111], v[118:119], v[14:15] /*v[270:271]*/, v[110:111] op_sel_hi:[1,0,1]
	s_delay_alu instid0(VALU_DEP_1) | instskip(SKIP_3) | instid1(VALU_DEP_2)
	v_mov_b32_e32 v113, v111
	s_wait_loadcnt_dscnt 0x0
	v_pk_mul_f32 v[110:111], v[120:121], v[22:23] /*v[278:279]*/ op_sel:[1,1] op_sel_hi:[0,1]
	s_set_vgpr_msb 0                        ;  msbs: dst=0 src0=0 src1=0 src2=0
	v_pk_add_f32 v[108:109], v[108:109], v[112:113]
	s_set_vgpr_msb 4                        ;  msbs: dst=0 src0=0 src1=1 src2=0
	s_delay_alu instid0(VALU_DEP_2) | instskip(SKIP_1) | instid1(VALU_DEP_1)
	v_pk_fma_f32 v[112:113], v[120:121], v[22:23] /*v[278:279]*/, v[110:111] neg_lo:[0,0,1] neg_hi:[0,0,1]
	v_pk_fma_f32 v[110:111], v[120:121], v[22:23] /*v[278:279]*/, v[110:111] op_sel_hi:[1,0,1]
	v_mov_b32_e32 v113, v111
	scratch_load_b64 v[110:111], off, off offset:56
	s_set_vgpr_msb 0                        ;  msbs: dst=0 src0=0 src1=0 src2=0
	v_pk_add_f32 v[108:109], v[108:109], v[112:113]
	s_wait_loadcnt 0x0
	s_delay_alu instid0(VALU_DEP_1)
	v_pk_add_f32 v[108:109], v[110:111], v[108:109] neg_lo:[0,1] neg_hi:[0,1]
	scratch_store_b64 off, v[108:109], off offset:56
	s_wait_xcnt 0x0
	v_cmpx_lt_u32_e32 6, v0
	s_cbranch_execz .LBB52_319
; %bb.318:
	scratch_load_b64 v[108:109], off, off offset:48
	v_mov_b64_e32 v[110:111], 0
	scratch_store_b64 off, v[110:111], off offset:48
	s_wait_loadcnt 0x0
	ds_store_b64 v1, v[108:109]
.LBB52_319:
	s_wait_xcnt 0x0
	s_or_b32 exec_lo, exec_lo, s0
	s_wait_storecnt_dscnt 0x0
	s_barrier_signal -1
	s_barrier_wait -1
	s_clause 0xf
	scratch_load_b128 v[112:115], off, off offset:56
	scratch_load_b128 v[120:123], off, off offset:72
	;; [unrolled: 1-line block ×16, first 2 shown]
	ds_load_2addr_b64 v[108:111], v5 offset0:61 offset1:62
	ds_load_2addr_b64 v[116:119], v5 offset0:63 offset1:64
	s_clause 0x1
	scratch_load_b128 v[240:243], off, off offset:312
	scratch_load_b128 v[248:251], off, off offset:328
	ds_load_2addr_b64 v[124:127], v5 offset0:65 offset1:66
	ds_load_2addr_b64 v[132:135], v5 offset0:67 offset1:68
	;; [unrolled: 1-line block ×16, first 2 shown]
	s_set_vgpr_msb 64                       ;  msbs: dst=1 src0=0 src1=0 src2=0
	scratch_load_b128 v[0:3] /*v[256:259]*/, off, off offset:344
	s_set_vgpr_msb 0                        ;  msbs: dst=0 src0=0 src1=0 src2=0
	ds_load_2addr_b64 v[252:255], v5 offset0:97 offset1:98
	s_set_vgpr_msb 64                       ;  msbs: dst=1 src0=0 src1=0 src2=0
	s_clause 0x3
	scratch_load_b128 v[4:7] /*v[260:263]*/, off, off offset:360
	scratch_load_b128 v[8:11] /*v[264:267]*/, off, off offset:376
	;; [unrolled: 1-line block ×4, first 2 shown]
	s_mov_b32 s0, exec_lo
	s_wait_loadcnt_dscnt 0x1612
	s_set_vgpr_msb 0                        ;  msbs: dst=0 src0=0 src1=0 src2=0
	v_dual_mul_f32 v9, v108, v113 :: v_dual_mul_f32 v11, v110, v115
	s_delay_alu instid0(VALU_DEP_1) | instskip(NEXT) | instid1(VALU_DEP_1)
	v_dual_fmac_f32 v9, v109, v112 :: v_dual_fmac_f32 v11, v111, v114
	v_add_f32_e32 v9, 0, v9
	s_wait_loadcnt_dscnt 0x1511
	s_delay_alu instid0(VALU_DEP_1) | instskip(NEXT) | instid1(VALU_DEP_1)
	v_dual_add_f32 v9, v9, v11 :: v_dual_mul_f32 v11, v116, v121
	v_fmac_f32_e32 v11, v117, v120
	s_delay_alu instid0(VALU_DEP_1) | instskip(SKIP_1) | instid1(VALU_DEP_1)
	v_add_f32_e32 v9, v9, v11
	v_mul_f32_e32 v11, v118, v123
	v_fmac_f32_e32 v11, v119, v122
	s_wait_loadcnt_dscnt 0x400
	s_set_vgpr_msb 0x44                     ;  msbs: dst=1 src0=0 src1=1 src2=0
	v_dual_mul_f32 v23 /*v279*/, v252, v1 /*v257*/ :: v_dual_mul_f32 v25 /*v281*/, v254, v3 /*v259*/
	s_set_vgpr_msb 0                        ;  msbs: dst=0 src0=0 src1=0 src2=0
	v_dual_add_f32 v9, v9, v11 :: v_dual_mul_f32 v11, v124, v129
	s_set_vgpr_msb 0x44                     ;  msbs: dst=1 src0=0 src1=1 src2=0
	s_delay_alu instid0(VALU_DEP_2) | instskip(SKIP_1) | instid1(VALU_DEP_2)
	v_dual_fmac_f32 v23 /*v279*/, v253, v0 /*v256*/ :: v_dual_fmac_f32 v25 /*v281*/, v255, v2 /*v258*/
	s_set_vgpr_msb 0                        ;  msbs: dst=0 src0=0 src1=0 src2=0
	v_fmac_f32_e32 v11, v125, v128
	s_delay_alu instid0(VALU_DEP_1) | instskip(SKIP_1) | instid1(VALU_DEP_1)
	v_add_f32_e32 v9, v9, v11
	v_mul_f32_e32 v11, v126, v131
	v_fmac_f32_e32 v11, v127, v130
	s_delay_alu instid0(VALU_DEP_1) | instskip(NEXT) | instid1(VALU_DEP_1)
	v_dual_add_f32 v9, v9, v11 :: v_dual_mul_f32 v11, v132, v137
	v_fmac_f32_e32 v11, v133, v136
	s_delay_alu instid0(VALU_DEP_1) | instskip(SKIP_1) | instid1(VALU_DEP_1)
	v_add_f32_e32 v9, v9, v11
	v_mul_f32_e32 v11, v134, v139
	v_fmac_f32_e32 v11, v135, v138
	s_delay_alu instid0(VALU_DEP_1) | instskip(NEXT) | instid1(VALU_DEP_1)
	v_dual_add_f32 v9, v9, v11 :: v_dual_mul_f32 v11, v140, v145
	;; [unrolled: 7-line block ×15, first 2 shown]
	v_fmac_f32_e32 v11, v245, v248
	s_delay_alu instid0(VALU_DEP_1) | instskip(SKIP_1) | instid1(VALU_DEP_1)
	v_add_f32_e32 v9, v9, v11
	v_mul_f32_e32 v11, v246, v251
	v_fmac_f32_e32 v11, v247, v250
	s_set_vgpr_msb 64                       ;  msbs: dst=1 src0=0 src1=0 src2=0
	s_delay_alu instid0(VALU_DEP_1) | instskip(SKIP_2) | instid1(VALU_DEP_1)
	v_add_f32_e32 v21 /*v277*/, v9, v11
	s_set_vgpr_msb 0                        ;  msbs: dst=0 src0=0 src1=0 src2=0
	v_dual_mul_f32 v9, v109, v113 :: v_dual_mul_f32 v11, v111, v115
	v_dual_fma_f32 v9, v108, v112, -v9 :: v_dual_fma_f32 v11, v110, v114, -v11
	s_delay_alu instid0(VALU_DEP_1) | instskip(NEXT) | instid1(VALU_DEP_1)
	v_add_f32_e32 v9, 0, v9
	v_add_f32_e32 v9, v9, v11
	v_mul_f32_e32 v11, v117, v121
	s_delay_alu instid0(VALU_DEP_1) | instskip(NEXT) | instid1(VALU_DEP_1)
	v_fma_f32 v11, v116, v120, -v11
	v_add_f32_e32 v9, v9, v11
	v_mul_f32_e32 v11, v119, v123
	s_delay_alu instid0(VALU_DEP_1)
	v_fma_f32 v11, v118, v122, -v11
	ds_load_2addr_b64 v[108:111], v5 offset0:99 offset1:100
	ds_load_2addr_b64 v[112:115], v5 offset0:101 offset1:102
	;; [unrolled: 1-line block ×4, first 2 shown]
	v_add_f32_e32 v9, v9, v11
	v_mul_f32_e32 v11, v125, v129
	s_delay_alu instid0(VALU_DEP_1) | instskip(NEXT) | instid1(VALU_DEP_1)
	v_fma_f32 v11, v124, v128, -v11
	v_add_f32_e32 v9, v9, v11
	v_mul_f32_e32 v11, v127, v131
	s_delay_alu instid0(VALU_DEP_1)
	v_fma_f32 v11, v126, v130, -v11
	s_wait_loadcnt_dscnt 0x303
	s_set_vgpr_msb 4                        ;  msbs: dst=0 src0=0 src1=1 src2=0
	v_pk_mul_f32 v[126:127], v[108:109], v[4:5] /*v[260:261]*/ op_sel:[1,1] op_sel_hi:[0,1]
	s_set_vgpr_msb 0                        ;  msbs: dst=0 src0=0 src1=0 src2=0
	v_add_f32_e32 v9, v9, v11
	v_mul_f32_e32 v11, v133, v137
	s_set_vgpr_msb 4                        ;  msbs: dst=0 src0=0 src1=1 src2=0
	v_pk_fma_f32 v[128:129], v[108:109], v[4:5] /*v[260:261]*/, v[126:127] neg_lo:[0,0,1] neg_hi:[0,0,1]
	v_pk_fma_f32 v[108:109], v[108:109], v[4:5] /*v[260:261]*/, v[126:127] op_sel_hi:[1,0,1]
	s_set_vgpr_msb 1                        ;  msbs: dst=0 src0=1 src1=0 src2=0
	v_mov_b32_e32 v126, v7 /*v263*/
	s_set_vgpr_msb 0                        ;  msbs: dst=0 src0=0 src1=0 src2=0
	s_delay_alu instid0(VALU_DEP_2) | instskip(NEXT) | instid1(VALU_DEP_1)
	v_dual_fma_f32 v11, v132, v136, -v11 :: v_dual_mov_b32 v129, v109
	v_add_f32_e32 v9, v9, v11
	v_mul_f32_e32 v11, v135, v139
	s_delay_alu instid0(VALU_DEP_1) | instskip(NEXT) | instid1(VALU_DEP_1)
	v_fma_f32 v11, v134, v138, -v11
	v_add_f32_e32 v9, v9, v11
	v_mul_f32_e32 v11, v141, v145
	s_delay_alu instid0(VALU_DEP_1) | instskip(NEXT) | instid1(VALU_DEP_1)
	v_fma_f32 v11, v140, v144, -v11
	;; [unrolled: 4-line block ×28, first 2 shown]
	v_add_f32_e32 v9, v9, v11
	v_mul_f32_e32 v11, v247, v251
	s_delay_alu instid0(VALU_DEP_1) | instskip(SKIP_1) | instid1(VALU_DEP_1)
	v_fma_f32 v11, v246, v250, -v11
	s_set_vgpr_msb 64                       ;  msbs: dst=1 src0=0 src1=0 src2=0
	v_add_f32_e32 v20 /*v276*/, v9, v11
	s_set_vgpr_msb 4                        ;  msbs: dst=0 src0=0 src1=1 src2=0
	v_mul_f32_e32 v9, v253, v1 /*v257*/
	s_set_vgpr_msb 0x44                     ;  msbs: dst=1 src0=0 src1=1 src2=0
	s_delay_alu instid0(VALU_DEP_1) | instskip(SKIP_3) | instid1(VALU_DEP_1)
	v_fma_f32 v22 /*v278*/, v252, v0 /*v256*/, -v9
	s_set_vgpr_msb 4                        ;  msbs: dst=0 src0=0 src1=1 src2=0
	v_mul_f32_e32 v9, v255, v3 /*v259*/
	s_set_vgpr_msb 0x44                     ;  msbs: dst=1 src0=0 src1=1 src2=0
	v_fma_f32 v24 /*v280*/, v254, v2 /*v258*/, -v9
	s_set_vgpr_msb 5                        ;  msbs: dst=0 src0=1 src1=1 src2=0
	v_pk_add_f32 v[124:125], v[20:21] /*v[276:277]*/, v[22:23] /*v[278:279]*/
	s_set_vgpr_msb 4                        ;  msbs: dst=0 src0=0 src1=1 src2=0
	s_delay_alu instid0(VALU_DEP_1) | instskip(SKIP_1) | instid1(VALU_DEP_1)
	v_pk_add_f32 v[124:125], v[124:125], v[24:25] /*v[280:281]*/
	s_set_vgpr_msb 0                        ;  msbs: dst=0 src0=0 src1=0 src2=0
	v_pk_add_f32 v[108:109], v[124:125], v[128:129]
	v_dual_mov_b32 v124, v111 :: v_dual_mov_b32 v125, v110
	s_delay_alu instid0(VALU_DEP_1) | instskip(SKIP_1) | instid1(VALU_DEP_1)
	v_pk_mul_f32 v[124:125], v[124:125], v[126:127] op_sel_hi:[1,0]
	s_set_vgpr_msb 4                        ;  msbs: dst=0 src0=0 src1=1 src2=0
	v_pk_fma_f32 v[126:127], v[110:111], v[6:7] /*v[262:263]*/, v[124:125] neg_lo:[0,0,1] neg_hi:[0,0,1]
	v_pk_fma_f32 v[110:111], v[110:111], v[6:7] /*v[262:263]*/, v[124:125] op_sel_hi:[1,0,1]
	s_delay_alu instid0(VALU_DEP_1) | instskip(SKIP_3) | instid1(VALU_DEP_2)
	v_mov_b32_e32 v127, v111
	s_wait_loadcnt_dscnt 0x202
	v_pk_mul_f32 v[110:111], v[112:113], v[8:9] /*v[264:265]*/ op_sel:[1,1] op_sel_hi:[0,1]
	s_set_vgpr_msb 0                        ;  msbs: dst=0 src0=0 src1=0 src2=0
	v_pk_add_f32 v[108:109], v[108:109], v[126:127]
	s_set_vgpr_msb 4                        ;  msbs: dst=0 src0=0 src1=1 src2=0
	s_delay_alu instid0(VALU_DEP_2)
	v_pk_fma_f32 v[124:125], v[112:113], v[8:9] /*v[264:265]*/, v[110:111] neg_lo:[0,0,1] neg_hi:[0,0,1]
	v_pk_fma_f32 v[110:111], v[112:113], v[8:9] /*v[264:265]*/, v[110:111] op_sel_hi:[1,0,1]
	v_mov_b32_e32 v110, v115
	s_set_vgpr_msb 1                        ;  msbs: dst=0 src0=1 src1=0 src2=0
	v_mov_b32_e32 v112, v11 /*v267*/
	s_set_vgpr_msb 0                        ;  msbs: dst=0 src0=0 src1=0 src2=0
	v_dual_mov_b32 v125, v111 :: v_dual_mov_b32 v111, v114
	s_delay_alu instid0(VALU_DEP_1) | instskip(NEXT) | instid1(VALU_DEP_2)
	v_pk_add_f32 v[108:109], v[108:109], v[124:125]
	v_pk_mul_f32 v[110:111], v[110:111], v[112:113] op_sel_hi:[1,0]
	s_set_vgpr_msb 4                        ;  msbs: dst=0 src0=0 src1=1 src2=0
	s_delay_alu instid0(VALU_DEP_1) | instskip(SKIP_1) | instid1(VALU_DEP_1)
	v_pk_fma_f32 v[112:113], v[114:115], v[10:11] /*v[266:267]*/, v[110:111] neg_lo:[0,0,1] neg_hi:[0,0,1]
	v_pk_fma_f32 v[110:111], v[114:115], v[10:11] /*v[266:267]*/, v[110:111] op_sel_hi:[1,0,1]
	v_mov_b32_e32 v113, v111
	s_wait_loadcnt_dscnt 0x101
	v_pk_mul_f32 v[110:111], v[116:117], v[12:13] /*v[268:269]*/ op_sel:[1,1] op_sel_hi:[0,1]
	s_set_vgpr_msb 0                        ;  msbs: dst=0 src0=0 src1=0 src2=0
	s_delay_alu instid0(VALU_DEP_2) | instskip(SKIP_1) | instid1(VALU_DEP_2)
	v_pk_add_f32 v[108:109], v[108:109], v[112:113]
	s_set_vgpr_msb 4                        ;  msbs: dst=0 src0=0 src1=1 src2=0
	v_pk_fma_f32 v[112:113], v[116:117], v[12:13] /*v[268:269]*/, v[110:111] neg_lo:[0,0,1] neg_hi:[0,0,1]
	v_pk_fma_f32 v[110:111], v[116:117], v[12:13] /*v[268:269]*/, v[110:111] op_sel_hi:[1,0,1]
	s_delay_alu instid0(VALU_DEP_1) | instskip(SKIP_2) | instid1(VALU_DEP_2)
	v_dual_mov_b32 v110, v119 :: v_dual_mov_b32 v113, v111
	v_mov_b32_e32 v111, v118
	s_set_vgpr_msb 0                        ;  msbs: dst=0 src0=0 src1=0 src2=0
	v_pk_add_f32 v[108:109], v[108:109], v[112:113]
	s_set_vgpr_msb 1                        ;  msbs: dst=0 src0=1 src1=0 src2=0
	v_mov_b32_e32 v112, v15 /*v271*/
	s_set_vgpr_msb 0                        ;  msbs: dst=0 src0=0 src1=0 src2=0
	s_delay_alu instid0(VALU_DEP_1) | instskip(SKIP_1) | instid1(VALU_DEP_1)
	v_pk_mul_f32 v[110:111], v[110:111], v[112:113] op_sel_hi:[1,0]
	s_set_vgpr_msb 4                        ;  msbs: dst=0 src0=0 src1=1 src2=0
	v_pk_fma_f32 v[112:113], v[118:119], v[14:15] /*v[270:271]*/, v[110:111] neg_lo:[0,0,1] neg_hi:[0,0,1]
	v_pk_fma_f32 v[110:111], v[118:119], v[14:15] /*v[270:271]*/, v[110:111] op_sel_hi:[1,0,1]
	s_delay_alu instid0(VALU_DEP_1) | instskip(SKIP_3) | instid1(VALU_DEP_2)
	v_mov_b32_e32 v113, v111
	s_wait_loadcnt_dscnt 0x0
	v_pk_mul_f32 v[110:111], v[120:121], v[16:17] /*v[272:273]*/ op_sel:[1,1] op_sel_hi:[0,1]
	s_set_vgpr_msb 0                        ;  msbs: dst=0 src0=0 src1=0 src2=0
	v_pk_add_f32 v[108:109], v[108:109], v[112:113]
	s_set_vgpr_msb 4                        ;  msbs: dst=0 src0=0 src1=1 src2=0
	s_delay_alu instid0(VALU_DEP_2) | instskip(SKIP_1) | instid1(VALU_DEP_1)
	v_pk_fma_f32 v[112:113], v[120:121], v[16:17] /*v[272:273]*/, v[110:111] neg_lo:[0,0,1] neg_hi:[0,0,1]
	v_pk_fma_f32 v[110:111], v[120:121], v[16:17] /*v[272:273]*/, v[110:111] op_sel_hi:[1,0,1]
	v_dual_mov_b32 v110, v123 :: v_dual_mov_b32 v113, v111
	v_mov_b32_e32 v111, v122
	s_set_vgpr_msb 0                        ;  msbs: dst=0 src0=0 src1=0 src2=0
	s_delay_alu instid0(VALU_DEP_2) | instskip(SKIP_3) | instid1(VALU_DEP_1)
	v_pk_add_f32 v[108:109], v[108:109], v[112:113]
	s_set_vgpr_msb 1                        ;  msbs: dst=0 src0=1 src1=0 src2=0
	v_mov_b32_e32 v112, v19 /*v275*/
	s_set_vgpr_msb 0                        ;  msbs: dst=0 src0=0 src1=0 src2=0
	v_pk_mul_f32 v[110:111], v[110:111], v[112:113] op_sel_hi:[1,0]
	s_set_vgpr_msb 4                        ;  msbs: dst=0 src0=0 src1=1 src2=0
	s_delay_alu instid0(VALU_DEP_1) | instskip(SKIP_1) | instid1(VALU_DEP_1)
	v_pk_fma_f32 v[112:113], v[122:123], v[18:19] /*v[274:275]*/, v[110:111] neg_lo:[0,0,1] neg_hi:[0,0,1]
	v_pk_fma_f32 v[110:111], v[122:123], v[18:19] /*v[274:275]*/, v[110:111] op_sel_hi:[1,0,1]
	v_mov_b32_e32 v113, v111
	scratch_load_b64 v[110:111], off, off offset:48
	s_set_vgpr_msb 0                        ;  msbs: dst=0 src0=0 src1=0 src2=0
	v_pk_add_f32 v[108:109], v[108:109], v[112:113]
	s_wait_loadcnt 0x0
	s_delay_alu instid0(VALU_DEP_1)
	v_pk_add_f32 v[108:109], v[110:111], v[108:109] neg_lo:[0,1] neg_hi:[0,1]
	scratch_store_b64 off, v[108:109], off offset:48
	s_wait_xcnt 0x0
	v_cmpx_lt_u32_e32 5, v0
	s_cbranch_execz .LBB52_321
; %bb.320:
	scratch_load_b64 v[108:109], off, off offset:40
	v_mov_b64_e32 v[110:111], 0
	scratch_store_b64 off, v[110:111], off offset:40
	s_wait_loadcnt 0x0
	ds_store_b64 v1, v[108:109]
.LBB52_321:
	s_wait_xcnt 0x0
	s_or_b32 exec_lo, exec_lo, s0
	v_mov_b32_e32 v5, 0
	s_wait_storecnt_dscnt 0x0
	s_barrier_signal -1
	s_barrier_wait -1
	ds_load_b128 v[108:111], v5 offset:480
	ds_load_b128 v[112:115], v5 offset:496
	;; [unrolled: 1-line block ×4, first 2 shown]
	s_clause 0x14
	scratch_load_b128 v[124:127], off, off offset:48
	scratch_load_b128 v[128:131], off, off offset:64
	;; [unrolled: 1-line block ×18, first 2 shown]
	s_set_vgpr_msb 64                       ;  msbs: dst=1 src0=0 src1=0 src2=0
	scratch_load_b128 v[0:3] /*v[256:259]*/, off, off offset:336
	scratch_load_b128 v[8:11] /*v[264:267]*/, off, off offset:352
	s_mov_b32 s0, exec_lo
	s_wait_loadcnt_dscnt 0x1303
	s_set_vgpr_msb 0                        ;  msbs: dst=0 src0=0 src1=0 src2=0
	v_mul_f32_e32 v9, v108, v125
	ds_load_b128 v[140:143], v5 offset:544
	ds_load_b128 v[148:151], v5 offset:560
	;; [unrolled: 1-line block ×4, first 2 shown]
	v_dual_fmac_f32 v9, v109, v124 :: v_dual_mul_f32 v11, v110, v127
	ds_load_b128 v[172:175], v5 offset:608
	ds_load_b128 v[180:183], v5 offset:624
	;; [unrolled: 1-line block ×4, first 2 shown]
	v_dual_add_f32 v9, 0, v9 :: v_dual_fmac_f32 v11, v111, v126
	ds_load_b128 v[204:207], v5 offset:672
	ds_load_b128 v[212:215], v5 offset:688
	;; [unrolled: 1-line block ×4, first 2 shown]
	s_wait_loadcnt_dscnt 0x120e
	v_dual_add_f32 v9, v9, v11 :: v_dual_mul_f32 v11, v112, v129
	ds_load_b128 v[236:239], v5 offset:736
	ds_load_b128 v[244:247], v5 offset:752
	;; [unrolled: 1-line block ×3, first 2 shown]
	s_set_vgpr_msb 64                       ;  msbs: dst=1 src0=0 src1=0 src2=0
	ds_load_b128 v[4:7] /*v[260:263]*/, v5 offset:784
	s_set_vgpr_msb 0                        ;  msbs: dst=0 src0=0 src1=0 src2=0
	v_fmac_f32_e32 v11, v113, v128
	s_set_vgpr_msb 64                       ;  msbs: dst=1 src0=0 src1=0 src2=0
	s_clause 0x3
	scratch_load_b128 v[12:15] /*v[268:271]*/, off, off offset:368
	scratch_load_b128 v[16:19] /*v[272:275]*/, off, off offset:384
	;; [unrolled: 1-line block ×3, first 2 shown]
	scratch_load_b64 v[30:31] /*v[286:287]*/, off, off offset:416
	s_set_vgpr_msb 0                        ;  msbs: dst=0 src0=0 src1=0 src2=0
	v_add_f32_e32 v9, v9, v11
	v_mul_f32_e32 v11, v114, v131
	s_delay_alu instid0(VALU_DEP_1) | instskip(SKIP_1) | instid1(VALU_DEP_1)
	v_fmac_f32_e32 v11, v115, v130
	s_wait_loadcnt_dscnt 0x1511
	v_dual_add_f32 v9, v9, v11 :: v_dual_mul_f32 v11, v116, v133
	s_delay_alu instid0(VALU_DEP_1) | instskip(NEXT) | instid1(VALU_DEP_1)
	v_fmac_f32_e32 v11, v117, v132
	v_add_f32_e32 v9, v9, v11
	v_mul_f32_e32 v11, v118, v135
	s_delay_alu instid0(VALU_DEP_1) | instskip(SKIP_1) | instid1(VALU_DEP_1)
	v_fmac_f32_e32 v11, v119, v134
	s_wait_loadcnt_dscnt 0x1410
	v_dual_add_f32 v9, v9, v11 :: v_dual_mul_f32 v11, v120, v137
	s_delay_alu instid0(VALU_DEP_1) | instskip(NEXT) | instid1(VALU_DEP_1)
	v_fmac_f32_e32 v11, v121, v136
	;; [unrolled: 8-line block ×16, first 2 shown]
	v_add_f32_e32 v9, v9, v11
	v_mul_f32_e32 v11, v246, v251
	s_delay_alu instid0(VALU_DEP_1) | instskip(NEXT) | instid1(VALU_DEP_1)
	v_fmac_f32_e32 v11, v247, v250
	v_add_f32_e32 v9, v9, v11
	s_wait_loadcnt_dscnt 0x501
	s_set_vgpr_msb 4                        ;  msbs: dst=0 src0=0 src1=1 src2=0
	v_mul_f32_e32 v11, v252, v1 /*v257*/
	s_delay_alu instid0(VALU_DEP_1) | instskip(SKIP_1) | instid1(VALU_DEP_1)
	v_fmac_f32_e32 v11, v253, v0 /*v256*/
	s_set_vgpr_msb 64                       ;  msbs: dst=1 src0=0 src1=0 src2=0
	v_add_f32_e32 v25 /*v281*/, v9, v11
	s_set_vgpr_msb 0                        ;  msbs: dst=0 src0=0 src1=0 src2=0
	v_dual_mul_f32 v9, v109, v125 :: v_dual_mul_f32 v11, v111, v127
	s_wait_dscnt 0x0
	s_set_vgpr_msb 1                        ;  msbs: dst=0 src0=1 src1=0 src2=0
	v_mov_b32_e32 v125, v6 /*v262*/
	s_set_vgpr_msb 0                        ;  msbs: dst=0 src0=0 src1=0 src2=0
	v_dual_fma_f32 v9, v108, v124, -v9 :: v_dual_fma_f32 v11, v110, v126, -v11
	s_wait_loadcnt 0x4
	s_set_vgpr_msb 1                        ;  msbs: dst=0 src0=1 src1=0 src2=0
	v_dual_mov_b32 v126, v11 /*v267*/ :: v_dual_mov_b32 v124, v7 /*v263*/
	s_delay_alu instid0(VALU_DEP_2) | instskip(SKIP_1) | instid1(VALU_DEP_2)
	v_add_f32_e32 v9, 0, v9
	s_set_vgpr_msb 0                        ;  msbs: dst=0 src0=0 src1=0 src2=0
	v_pk_mul_f32 v[124:125], v[124:125], v[126:127] op_sel_hi:[1,0]
	s_delay_alu instid0(VALU_DEP_2) | instskip(SKIP_2) | instid1(VALU_DEP_3)
	v_add_f32_e32 v9, v9, v11
	v_mul_f32_e32 v11, v113, v129
	s_set_vgpr_msb 5                        ;  msbs: dst=0 src0=1 src1=1 src2=0
	v_pk_fma_f32 v[126:127], v[6:7] /*v[262:263]*/, v[10:11] /*v[266:267]*/, v[124:125] neg_lo:[0,0,1] neg_hi:[0,0,1]
	v_pk_fma_f32 v[124:125], v[6:7] /*v[262:263]*/, v[10:11] /*v[266:267]*/, v[124:125] op_sel_hi:[1,0,1]
	s_set_vgpr_msb 0                        ;  msbs: dst=0 src0=0 src1=0 src2=0
	s_delay_alu instid0(VALU_DEP_1) | instskip(NEXT) | instid1(VALU_DEP_1)
	v_dual_fma_f32 v11, v112, v128, -v11 :: v_dual_mov_b32 v127, v125
	v_add_f32_e32 v9, v9, v11
	v_mul_f32_e32 v11, v115, v131
	s_delay_alu instid0(VALU_DEP_1) | instskip(NEXT) | instid1(VALU_DEP_1)
	v_fma_f32 v11, v114, v130, -v11
	v_add_f32_e32 v9, v9, v11
	v_mul_f32_e32 v11, v117, v133
	s_delay_alu instid0(VALU_DEP_1) | instskip(NEXT) | instid1(VALU_DEP_1)
	v_fma_f32 v11, v116, v132, -v11
	;; [unrolled: 4-line block ×3, first 2 shown]
	v_add_f32_e32 v9, v9, v11
	v_mul_f32_e32 v11, v121, v137
	s_delay_alu instid0(VALU_DEP_1)
	v_fma_f32 v11, v120, v136, -v11
	ds_load_b128 v[108:111], v5 offset:800
	ds_load_b128 v[112:115], v5 offset:816
	;; [unrolled: 1-line block ×3, first 2 shown]
	ds_load_b64 v[120:121], v5 offset:848
	v_add_f32_e32 v9, v9, v11
	v_mul_f32_e32 v11, v123, v139
	s_delay_alu instid0(VALU_DEP_1) | instskip(NEXT) | instid1(VALU_DEP_1)
	v_fma_f32 v11, v122, v138, -v11
	v_add_f32_e32 v9, v9, v11
	v_mul_f32_e32 v11, v141, v145
	s_wait_loadcnt_dscnt 0x303
	s_set_vgpr_msb 4                        ;  msbs: dst=0 src0=0 src1=1 src2=0
	v_pk_mul_f32 v[124:125], v[108:109], v[12:13] /*v[268:269]*/ op_sel:[1,1] op_sel_hi:[0,1]
	s_set_vgpr_msb 0                        ;  msbs: dst=0 src0=0 src1=0 src2=0
	v_fma_f32 v11, v140, v144, -v11
	s_delay_alu instid0(VALU_DEP_1) | instskip(SKIP_1) | instid1(VALU_DEP_1)
	v_add_f32_e32 v9, v9, v11
	v_mul_f32_e32 v11, v143, v147
	v_fma_f32 v11, v142, v146, -v11
	s_delay_alu instid0(VALU_DEP_1) | instskip(SKIP_1) | instid1(VALU_DEP_1)
	v_add_f32_e32 v9, v9, v11
	v_mul_f32_e32 v11, v149, v153
	;; [unrolled: 4-line block ×27, first 2 shown]
	v_fma_f32 v11, v246, v250, -v11
	s_delay_alu instid0(VALU_DEP_1) | instskip(SKIP_2) | instid1(VALU_DEP_1)
	v_add_f32_e32 v9, v9, v11
	s_set_vgpr_msb 4                        ;  msbs: dst=0 src0=0 src1=1 src2=0
	v_mul_f32_e32 v11, v253, v1 /*v257*/
	v_fma_f32 v11, v252, v0 /*v256*/, -v11
	s_set_vgpr_msb 64                       ;  msbs: dst=1 src0=0 src1=0 src2=0
	s_delay_alu instid0(VALU_DEP_1) | instskip(SKIP_3) | instid1(VALU_DEP_1)
	v_add_f32_e32 v24 /*v280*/, v9, v11
	s_set_vgpr_msb 4                        ;  msbs: dst=0 src0=0 src1=1 src2=0
	v_mul_f32_e32 v9, v255, v3 /*v259*/
	s_set_vgpr_msb 0x44                     ;  msbs: dst=1 src0=0 src1=1 src2=0
	v_dual_mul_f32 v27 /*v283*/, v254, v3 /*v259*/ :: v_dual_fma_f32 v26 /*v282*/, v254, v2 /*v258*/, -v9
	s_set_vgpr_msb 5                        ;  msbs: dst=0 src0=1 src1=1 src2=0
	v_mul_f32_e32 v9, v5 /*v261*/, v9 /*v265*/
	s_set_vgpr_msb 0x44                     ;  msbs: dst=1 src0=0 src1=1 src2=0
	s_delay_alu instid0(VALU_DEP_2) | instskip(SKIP_1) | instid1(VALU_DEP_2)
	v_fmac_f32_e32 v27 /*v283*/, v255, v2 /*v258*/
	s_set_vgpr_msb 0x45                     ;  msbs: dst=1 src0=1 src1=1 src2=0
	v_dual_mul_f32 v29 /*v285*/, v4 /*v260*/, v9 /*v265*/ :: v_dual_fma_f32 v28 /*v284*/, v4 /*v260*/, v8 /*v264*/, -v9
	s_set_vgpr_msb 5                        ;  msbs: dst=0 src0=1 src1=1 src2=0
	s_delay_alu instid0(VALU_DEP_2) | instskip(SKIP_1) | instid1(VALU_DEP_2)
	v_pk_add_f32 v[122:123], v[24:25] /*v[280:281]*/, v[26:27] /*v[282:283]*/
	s_set_vgpr_msb 0x45                     ;  msbs: dst=1 src0=1 src1=1 src2=0
	v_fmac_f32_e32 v29 /*v285*/, v5 /*v261*/, v8 /*v264*/
	s_set_vgpr_msb 4                        ;  msbs: dst=0 src0=0 src1=1 src2=0
	s_delay_alu instid0(VALU_DEP_1) | instskip(SKIP_1) | instid1(VALU_DEP_1)
	v_pk_add_f32 v[122:123], v[122:123], v[28:29] /*v[284:285]*/
	s_set_vgpr_msb 0                        ;  msbs: dst=0 src0=0 src1=0 src2=0
	v_pk_add_f32 v[122:123], v[122:123], v[126:127]
	s_set_vgpr_msb 4                        ;  msbs: dst=0 src0=0 src1=1 src2=0
	v_pk_fma_f32 v[126:127], v[108:109], v[12:13] /*v[268:269]*/, v[124:125] neg_lo:[0,0,1] neg_hi:[0,0,1]
	v_pk_fma_f32 v[108:109], v[108:109], v[12:13] /*v[268:269]*/, v[124:125] op_sel_hi:[1,0,1]
	s_set_vgpr_msb 1                        ;  msbs: dst=0 src0=1 src1=0 src2=0
	v_mov_b32_e32 v124, v15 /*v271*/
	s_set_vgpr_msb 0                        ;  msbs: dst=0 src0=0 src1=0 src2=0
	s_delay_alu instid0(VALU_DEP_2) | instskip(NEXT) | instid1(VALU_DEP_1)
	v_mov_b32_e32 v127, v109
	v_pk_add_f32 v[108:109], v[122:123], v[126:127]
	v_dual_mov_b32 v122, v111 :: v_dual_mov_b32 v123, v110
	s_delay_alu instid0(VALU_DEP_1) | instskip(SKIP_1) | instid1(VALU_DEP_1)
	v_pk_mul_f32 v[122:123], v[122:123], v[124:125] op_sel_hi:[1,0]
	s_set_vgpr_msb 4                        ;  msbs: dst=0 src0=0 src1=1 src2=0
	v_pk_fma_f32 v[124:125], v[110:111], v[14:15] /*v[270:271]*/, v[122:123] neg_lo:[0,0,1] neg_hi:[0,0,1]
	v_pk_fma_f32 v[110:111], v[110:111], v[14:15] /*v[270:271]*/, v[122:123] op_sel_hi:[1,0,1]
	s_delay_alu instid0(VALU_DEP_1) | instskip(SKIP_3) | instid1(VALU_DEP_2)
	v_mov_b32_e32 v125, v111
	s_wait_loadcnt_dscnt 0x202
	v_pk_mul_f32 v[110:111], v[112:113], v[16:17] /*v[272:273]*/ op_sel:[1,1] op_sel_hi:[0,1]
	s_set_vgpr_msb 0                        ;  msbs: dst=0 src0=0 src1=0 src2=0
	v_pk_add_f32 v[108:109], v[108:109], v[124:125]
	s_set_vgpr_msb 4                        ;  msbs: dst=0 src0=0 src1=1 src2=0
	s_delay_alu instid0(VALU_DEP_2)
	v_pk_fma_f32 v[122:123], v[112:113], v[16:17] /*v[272:273]*/, v[110:111] neg_lo:[0,0,1] neg_hi:[0,0,1]
	v_pk_fma_f32 v[110:111], v[112:113], v[16:17] /*v[272:273]*/, v[110:111] op_sel_hi:[1,0,1]
	v_mov_b32_e32 v110, v115
	s_set_vgpr_msb 1                        ;  msbs: dst=0 src0=1 src1=0 src2=0
	v_mov_b32_e32 v112, v19 /*v275*/
	s_set_vgpr_msb 0                        ;  msbs: dst=0 src0=0 src1=0 src2=0
	v_dual_mov_b32 v123, v111 :: v_dual_mov_b32 v111, v114
	s_delay_alu instid0(VALU_DEP_1) | instskip(NEXT) | instid1(VALU_DEP_2)
	v_pk_add_f32 v[108:109], v[108:109], v[122:123]
	v_pk_mul_f32 v[110:111], v[110:111], v[112:113] op_sel_hi:[1,0]
	s_set_vgpr_msb 4                        ;  msbs: dst=0 src0=0 src1=1 src2=0
	s_delay_alu instid0(VALU_DEP_1) | instskip(SKIP_1) | instid1(VALU_DEP_1)
	v_pk_fma_f32 v[112:113], v[114:115], v[18:19] /*v[274:275]*/, v[110:111] neg_lo:[0,0,1] neg_hi:[0,0,1]
	v_pk_fma_f32 v[110:111], v[114:115], v[18:19] /*v[274:275]*/, v[110:111] op_sel_hi:[1,0,1]
	v_mov_b32_e32 v113, v111
	s_wait_loadcnt_dscnt 0x101
	v_pk_mul_f32 v[110:111], v[116:117], v[20:21] /*v[276:277]*/ op_sel:[1,1] op_sel_hi:[0,1]
	s_set_vgpr_msb 0                        ;  msbs: dst=0 src0=0 src1=0 src2=0
	s_delay_alu instid0(VALU_DEP_2) | instskip(SKIP_1) | instid1(VALU_DEP_2)
	v_pk_add_f32 v[108:109], v[108:109], v[112:113]
	s_set_vgpr_msb 4                        ;  msbs: dst=0 src0=0 src1=1 src2=0
	v_pk_fma_f32 v[112:113], v[116:117], v[20:21] /*v[276:277]*/, v[110:111] neg_lo:[0,0,1] neg_hi:[0,0,1]
	v_pk_fma_f32 v[110:111], v[116:117], v[20:21] /*v[276:277]*/, v[110:111] op_sel_hi:[1,0,1]
	s_delay_alu instid0(VALU_DEP_1) | instskip(SKIP_2) | instid1(VALU_DEP_2)
	v_dual_mov_b32 v110, v119 :: v_dual_mov_b32 v113, v111
	v_mov_b32_e32 v111, v118
	s_set_vgpr_msb 0                        ;  msbs: dst=0 src0=0 src1=0 src2=0
	v_pk_add_f32 v[108:109], v[108:109], v[112:113]
	s_set_vgpr_msb 1                        ;  msbs: dst=0 src0=1 src1=0 src2=0
	v_mov_b32_e32 v112, v23 /*v279*/
	s_set_vgpr_msb 0                        ;  msbs: dst=0 src0=0 src1=0 src2=0
	s_delay_alu instid0(VALU_DEP_1) | instskip(SKIP_1) | instid1(VALU_DEP_1)
	v_pk_mul_f32 v[110:111], v[110:111], v[112:113] op_sel_hi:[1,0]
	s_set_vgpr_msb 4                        ;  msbs: dst=0 src0=0 src1=1 src2=0
	v_pk_fma_f32 v[112:113], v[118:119], v[22:23] /*v[278:279]*/, v[110:111] neg_lo:[0,0,1] neg_hi:[0,0,1]
	v_pk_fma_f32 v[110:111], v[118:119], v[22:23] /*v[278:279]*/, v[110:111] op_sel_hi:[1,0,1]
	s_delay_alu instid0(VALU_DEP_1) | instskip(SKIP_3) | instid1(VALU_DEP_2)
	v_mov_b32_e32 v113, v111
	s_wait_loadcnt_dscnt 0x0
	v_pk_mul_f32 v[110:111], v[120:121], v[30:31] /*v[286:287]*/ op_sel:[1,1] op_sel_hi:[0,1]
	s_set_vgpr_msb 0                        ;  msbs: dst=0 src0=0 src1=0 src2=0
	v_pk_add_f32 v[108:109], v[108:109], v[112:113]
	s_set_vgpr_msb 4                        ;  msbs: dst=0 src0=0 src1=1 src2=0
	s_delay_alu instid0(VALU_DEP_2) | instskip(SKIP_1) | instid1(VALU_DEP_1)
	v_pk_fma_f32 v[112:113], v[120:121], v[30:31] /*v[286:287]*/, v[110:111] neg_lo:[0,0,1] neg_hi:[0,0,1]
	v_pk_fma_f32 v[110:111], v[120:121], v[30:31] /*v[286:287]*/, v[110:111] op_sel_hi:[1,0,1]
	v_mov_b32_e32 v113, v111
	scratch_load_b64 v[110:111], off, off offset:40
	s_set_vgpr_msb 0                        ;  msbs: dst=0 src0=0 src1=0 src2=0
	v_pk_add_f32 v[108:109], v[108:109], v[112:113]
	s_wait_loadcnt 0x0
	s_delay_alu instid0(VALU_DEP_1)
	v_pk_add_f32 v[108:109], v[110:111], v[108:109] neg_lo:[0,1] neg_hi:[0,1]
	scratch_store_b64 off, v[108:109], off offset:40
	s_wait_xcnt 0x0
	v_cmpx_lt_u32_e32 4, v0
	s_cbranch_execz .LBB52_323
; %bb.322:
	scratch_load_b64 v[108:109], off, off offset:32
	v_mov_b64_e32 v[110:111], 0
	scratch_store_b64 off, v[110:111], off offset:32
	s_wait_loadcnt 0x0
	ds_store_b64 v1, v[108:109]
.LBB52_323:
	s_wait_xcnt 0x0
	s_or_b32 exec_lo, exec_lo, s0
	s_wait_storecnt_dscnt 0x0
	s_barrier_signal -1
	s_barrier_wait -1
	s_clause 0x17
	scratch_load_b128 v[108:111], off, off offset:40
	scratch_load_b128 v[112:115], off, off offset:56
	;; [unrolled: 1-line block ×24, first 2 shown]
	ds_load_2addr_b64 v[204:207], v5 offset0:59 offset1:60
	ds_load_2addr_b64 v[208:211], v5 offset0:61 offset1:62
	;; [unrolled: 1-line block ×6, first 2 shown]
	s_set_vgpr_msb 64                       ;  msbs: dst=1 src0=0 src1=0 src2=0
	scratch_load_b64 v[44:45] /*v[300:301]*/, off, off offset:32
	s_set_vgpr_msb 0                        ;  msbs: dst=0 src0=0 src1=0 src2=0
	ds_load_2addr_b64 v[228:231], v5 offset0:67 offset1:68
	ds_load_2addr_b64 v[232:235], v5 offset0:69 offset1:70
	;; [unrolled: 1-line block ×7, first 2 shown]
	s_set_vgpr_msb 64                       ;  msbs: dst=1 src0=0 src1=0 src2=0
	ds_load_2addr_b64 v[0:3] /*v[256:259]*/, v5 offset0:77 offset1:78
	ds_load_2addr_b64 v[4:7] /*v[260:263]*/, v5 offset0:79 offset1:80
	;; [unrolled: 1-line block ×11, first 2 shown]
	s_mov_b32 s0, exec_lo
	s_wait_dscnt 0xf
	v_dual_mov_b32 v50 /*v306*/, v239 :: v_dual_mov_b32 v51 /*v307*/, v238
	s_wait_dscnt 0xe
	v_dual_mov_b32 v52 /*v308*/, v243 :: v_dual_mov_b32 v53 /*v309*/, v242
	v_dual_mov_b32 v46 /*v302*/, v223 :: v_dual_mov_b32 v47 /*v303*/, v222
	;; [unrolled: 1-line block ×3, first 2 shown]
	s_wait_loadcnt 0x18
	s_set_vgpr_msb 0                        ;  msbs: dst=0 src0=0 src1=0 src2=0
	v_dual_mul_f32 v5, v204, v109 :: v_dual_mul_f32 v9, v206, v111
	v_dual_mul_f32 v83, v205, v109 :: v_dual_mul_f32 v85, v207, v111
	s_wait_loadcnt 0x17
	v_dual_mul_f32 v11, v208, v113 :: v_dual_mul_f32 v13, v210, v115
	s_delay_alu instid0(VALU_DEP_2) | instskip(SKIP_3) | instid1(VALU_DEP_3)
	v_dual_fmac_f32 v5, v205, v108 :: v_dual_fma_f32 v83, v204, v108, -v83
	v_dual_mul_f32 v87, v209, v113 :: v_dual_mul_f32 v89, v211, v115
	s_wait_loadcnt 0x15
	v_dual_mul_f32 v95, v217, v121 :: v_dual_fmac_f32 v9, v207, v110
	v_dual_fma_f32 v85, v206, v110, -v85 :: v_dual_add_f32 v5, 0, v5
	v_dual_add_f32 v83, 0, v83 :: v_dual_fmac_f32 v11, v209, v112
	v_dual_mul_f32 v97, v219, v123 :: v_dual_fma_f32 v87, v208, v112, -v87
	s_delay_alu instid0(VALU_DEP_3) | instskip(NEXT) | instid1(VALU_DEP_3)
	v_dual_add_f32 v5, v5, v9 :: v_dual_fmac_f32 v13, v211, v114
	v_dual_add_f32 v9, v83, v85 :: v_dual_fma_f32 v85, v210, v114, -v89
	v_dual_mul_f32 v15, v212, v117 :: v_dual_mul_f32 v17, v214, v119
	v_dual_mul_f32 v91, v213, v117 :: v_dual_mul_f32 v93, v215, v119
	s_delay_alu instid0(VALU_DEP_3) | instskip(NEXT) | instid1(VALU_DEP_3)
	v_add_f32_e32 v9, v9, v87
	v_dual_add_f32 v5, v5, v11 :: v_dual_fmac_f32 v17, v215, v118
	s_wait_loadcnt 0x14
	s_delay_alu instid0(VALU_DEP_3) | instskip(NEXT) | instid1(VALU_DEP_3)
	v_dual_fma_f32 v87, v212, v116, -v91 :: v_dual_mul_f32 v83, v229, v125
	v_dual_mul_f32 v11, v231, v127 :: v_dual_add_f32 v9, v9, v85
	v_dual_fmac_f32 v15, v213, v116 :: v_dual_fma_f32 v85, v214, v118, -v93
	v_add_f32_e32 v5, v5, v13
	v_dual_mul_f32 v19, v216, v121 :: v_dual_mul_f32 v21, v218, v123
	s_delay_alu instid0(VALU_DEP_4) | instskip(NEXT) | instid1(VALU_DEP_3)
	v_dual_add_f32 v9, v9, v87 :: v_dual_fma_f32 v83, v228, v124, -v83
	v_dual_add_f32 v5, v5, v15 :: v_dual_fma_f32 v87, v216, v120, -v95
	v_dual_mul_f32 v23, v228, v125 :: v_dual_mul_f32 v25, v230, v127
	s_delay_alu instid0(VALU_DEP_3) | instskip(SKIP_2) | instid1(VALU_DEP_3)
	v_dual_add_f32 v9, v9, v85 :: v_dual_fma_f32 v11, v230, v126, -v11
	s_wait_loadcnt 0x13
	v_dual_mul_f32 v27, v232, v129 :: v_dual_mul_f32 v29, v234, v131
	v_dual_fmac_f32 v19, v217, v120 :: v_dual_fmac_f32 v25, v231, v126
	v_dual_fma_f32 v85, v218, v122, -v97 :: v_dual_add_f32 v5, v5, v17
	s_delay_alu instid0(VALU_DEP_3)
	v_dual_add_f32 v9, v9, v87 :: v_dual_fmac_f32 v29, v235, v130
	s_wait_loadcnt_dscnt 0x120d
	v_dual_mul_f32 v31, v244, v133 :: v_dual_mul_f32 v33, v246, v135
	v_dual_mul_f32 v13, v233, v129 :: v_dual_fmac_f32 v21, v219, v122
	v_mul_f32_e32 v17, v245, v133
	v_add_f32_e32 v5, v5, v19
	v_dual_add_f32 v9, v9, v85 :: v_dual_mul_f32 v15, v235, v131
	s_delay_alu instid0(VALU_DEP_4) | instskip(NEXT) | instid1(VALU_DEP_3)
	v_fma_f32 v13, v232, v128, -v13
	v_dual_fmac_f32 v33, v247, v134 :: v_dual_add_f32 v5, v5, v21
	s_wait_loadcnt_dscnt 0x110c
	v_mul_f32_e32 v21, v249, v137
	s_wait_loadcnt_dscnt 0x100b
	v_dual_add_f32 v9, v9, v83 :: v_dual_mul_f32 v39, v252, v141
	v_dual_mul_f32 v41, v254, v143 :: v_dual_fmac_f32 v23, v229, v124
	s_delay_alu instid0(VALU_DEP_2) | instskip(NEXT) | instid1(VALU_DEP_3)
	v_dual_fma_f32 v21, v248, v136, -v21 :: v_dual_add_f32 v9, v9, v11
	v_dual_mul_f32 v11, v253, v141 :: v_dual_fmac_f32 v39, v253, v140
	v_dual_mul_f32 v19, v247, v135 :: v_dual_fma_f32 v15, v234, v130, -v15
	v_dual_mul_f32 v35, v248, v137 :: v_dual_mul_f32 v37, v250, v139
	s_delay_alu instid0(VALU_DEP_3) | instskip(SKIP_1) | instid1(VALU_DEP_4)
	v_dual_fma_f32 v11, v252, v140, -v11 :: v_dual_add_f32 v9, v9, v13
	v_mul_f32_e32 v13, v255, v143
	v_dual_add_f32 v5, v5, v23 :: v_dual_fma_f32 v19, v246, v134, -v19
	v_dual_mul_f32 v23, v251, v139 :: v_dual_fmac_f32 v27, v233, v128
	s_delay_alu instid0(VALU_DEP_2) | instskip(SKIP_2) | instid1(VALU_DEP_3)
	v_dual_fmac_f32 v37, v251, v138 :: v_dual_add_f32 v5, v5, v25
	s_wait_loadcnt 0x4
	v_dual_fmac_f32 v31, v245, v132 :: v_dual_mov_b32 v110, v191
	v_fma_f32 v23, v250, v138, -v23
	v_pk_mul_f32 v[108:109], v[220:221], v[188:189] op_sel:[1,1] op_sel_hi:[0,1]
	v_dual_add_f32 v5, v5, v27 :: v_dual_fmac_f32 v41, v255, v142
	v_fma_f32 v17, v244, v132, -v17
	s_wait_loadcnt 0x3
	v_dual_fma_f32 v13, v254, v142, -v13 :: v_dual_mov_b32 v114, v195
	s_delay_alu instid0(VALU_DEP_3)
	v_add_f32_e32 v5, v5, v29
	v_pk_fma_f32 v[118:119], v[220:221], v[188:189], v[108:109] op_sel_hi:[1,0,1]
	v_add_f32_e32 v9, v9, v15
	s_set_vgpr_msb 1                        ;  msbs: dst=0 src0=1 src1=0 src2=0
	v_pk_mul_f32 v[110:111], v[46:47] /*v[302:303]*/, v[110:111] op_sel_hi:[1,0]
	s_set_vgpr_msb 0                        ;  msbs: dst=0 src0=0 src1=0 src2=0
	v_pk_fma_f32 v[108:109], v[220:221], v[188:189], v[108:109] neg_lo:[0,0,1] neg_hi:[0,0,1]
	v_pk_mul_f32 v[112:113], v[224:225], v[192:193] op_sel:[1,1] op_sel_hi:[0,1]
	v_dual_mov_b32 v109, v119 :: v_dual_add_f32 v9, v9, v17
	v_pk_fma_f32 v[118:119], v[222:223], v[190:191], v[110:111] op_sel_hi:[1,0,1]
	v_add_f32_e32 v5, v5, v31
	s_set_vgpr_msb 1                        ;  msbs: dst=0 src0=1 src1=0 src2=0
	v_pk_mul_f32 v[114:115], v[48:49] /*v[304:305]*/, v[114:115] op_sel_hi:[1,0]
	s_set_vgpr_msb 0                        ;  msbs: dst=0 src0=0 src1=0 src2=0
	v_pk_fma_f32 v[110:111], v[222:223], v[190:191], v[110:111] neg_lo:[0,0,1] neg_hi:[0,0,1]
	v_add_f32_e32 v9, v9, v19
	v_pk_fma_f32 v[122:123], v[224:225], v[192:193], v[112:113] op_sel_hi:[1,0,1]
	v_dual_fmac_f32 v35, v249, v136 :: v_dual_mov_b32 v111, v119
	v_pk_fma_f32 v[118:119], v[226:227], v[194:195], v[114:115] op_sel_hi:[1,0,1]
	v_add_f32_e32 v5, v5, v33
	v_pk_fma_f32 v[112:113], v[224:225], v[192:193], v[112:113] neg_lo:[0,0,1] neg_hi:[0,0,1]
	v_pk_fma_f32 v[114:115], v[226:227], v[194:195], v[114:115] neg_lo:[0,0,1] neg_hi:[0,0,1]
	v_dual_add_f32 v9, v9, v21 :: v_dual_mov_b32 v113, v123
	s_delay_alu instid0(VALU_DEP_4)
	v_dual_mov_b32 v115, v119 :: v_dual_add_f32 v5, v5, v35
	s_wait_dscnt 0xa
	s_set_vgpr_msb 1                        ;  msbs: dst=0 src0=1 src1=0 src2=0
	v_dual_mul_f32 v43, v0 /*v256*/, v145 :: v_dual_mul_f32 v45, v2 /*v258*/, v147
	s_set_vgpr_msb 0                        ;  msbs: dst=0 src0=0 src1=0 src2=0
	v_add_f32_e32 v9, v9, v23
	s_set_vgpr_msb 1                        ;  msbs: dst=0 src0=1 src1=0 src2=0
	v_dual_mul_f32 v15, v1 /*v257*/, v145 :: v_dual_mul_f32 v17, v3 /*v259*/, v147
	s_set_vgpr_msb 0                        ;  msbs: dst=0 src0=0 src1=0 src2=0
	v_add_f32_e32 v5, v5, v37
	s_set_vgpr_msb 1                        ;  msbs: dst=0 src0=1 src1=0 src2=0
	v_dual_fmac_f32 v43, v1 /*v257*/, v144 :: v_dual_fmac_f32 v45, v3 /*v259*/, v146
	s_set_vgpr_msb 0                        ;  msbs: dst=0 src0=0 src1=0 src2=0
	v_add_f32_e32 v9, v9, v11
	s_set_vgpr_msb 1                        ;  msbs: dst=0 src0=1 src1=0 src2=0
	v_fma_f32 v15, v0 /*v256*/, v144, -v15
	s_set_vgpr_msb 0                        ;  msbs: dst=0 src0=0 src1=0 src2=0
	v_add_f32_e32 v5, v5, v39
	s_wait_dscnt 0x9
	s_set_vgpr_msb 1                        ;  msbs: dst=0 src0=1 src1=0 src2=0
	v_dual_mul_f32 v47, v4 /*v260*/, v149 :: v_dual_mul_f32 v49, v6 /*v262*/, v151
	s_set_vgpr_msb 0                        ;  msbs: dst=0 src0=0 src1=0 src2=0
	v_add_f32_e32 v9, v9, v13
	s_set_vgpr_msb 1                        ;  msbs: dst=0 src0=1 src1=0 src2=0
	v_dual_mul_f32 v19, v5 /*v261*/, v149 :: v_dual_mul_f32 v21, v7 /*v263*/, v151
	s_set_vgpr_msb 0                        ;  msbs: dst=0 src0=0 src1=0 src2=0
	v_add_f32_e32 v5, v5, v41
	s_wait_dscnt 0x7
	s_set_vgpr_msb 1                        ;  msbs: dst=0 src0=1 src1=0 src2=0
	v_dual_mul_f32 v13, v13 /*v269*/, v157 :: v_dual_fma_f32 v17, v2 /*v258*/, v146, -v17
	s_set_vgpr_msb 0                        ;  msbs: dst=0 src0=0 src1=0 src2=0
	v_add_f32_e32 v9, v9, v15
	s_set_vgpr_msb 1                        ;  msbs: dst=0 src0=1 src1=0 src2=0
	v_mul_f32_e32 v15, v15 /*v271*/, v159
	s_set_vgpr_msb 0                        ;  msbs: dst=0 src0=0 src1=0 src2=0
	v_add_f32_e32 v5, v5, v43
	s_set_vgpr_msb 1                        ;  msbs: dst=0 src0=1 src1=0 src2=0
	v_dual_fmac_f32 v47, v5 /*v261*/, v148 :: v_dual_fmac_f32 v49, v7 /*v263*/, v150
	v_fma_f32 v19, v4 /*v260*/, v148, -v19
	s_set_vgpr_msb 0                        ;  msbs: dst=0 src0=0 src1=0 src2=0
	v_add_f32_e32 v9, v9, v17
	v_add_f32_e32 v5, v5, v45
	s_set_vgpr_msb 1                        ;  msbs: dst=0 src0=1 src1=0 src2=0
	v_dual_mul_f32 v51, v8 /*v264*/, v153 :: v_dual_mul_f32 v53, v10 /*v266*/, v155
	v_dual_mul_f32 v23, v9 /*v265*/, v153 :: v_dual_mul_f32 v11, v11 /*v267*/, v155
	s_wait_dscnt 0x6
	v_dual_mul_f32 v17, v17 /*v273*/, v161 :: v_dual_fma_f32 v21, v6 /*v262*/, v150, -v21
	s_set_vgpr_msb 0                        ;  msbs: dst=0 src0=0 src1=0 src2=0
	v_add_f32_e32 v5, v5, v47
	v_add_f32_e32 v9, v9, v19
	s_set_vgpr_msb 1                        ;  msbs: dst=0 src0=1 src1=0 src2=0
	v_dual_mul_f32 v19, v19 /*v275*/, v163 :: v_dual_fmac_f32 v51, v9 /*v265*/, v152
	v_dual_fmac_f32 v53, v11 /*v267*/, v154 :: v_dual_fma_f32 v23, v8 /*v264*/, v152, -v23
	s_set_vgpr_msb 0                        ;  msbs: dst=0 src0=0 src1=0 src2=0
	v_add_f32_e32 v5, v5, v49
	v_add_f32_e32 v9, v9, v21
	s_set_vgpr_msb 1                        ;  msbs: dst=0 src0=1 src1=0 src2=0
	v_dual_mul_f32 v55, v12 /*v268*/, v157 :: v_dual_mul_f32 v57, v14 /*v270*/, v159
	s_wait_dscnt 0x5
	v_dual_mul_f32 v21, v21 /*v277*/, v165 :: v_dual_fma_f32 v11, v10 /*v266*/, v154, -v11
	s_set_vgpr_msb 0                        ;  msbs: dst=0 src0=0 src1=0 src2=0
	v_add_f32_e32 v5, v5, v51
	v_add_f32_e32 v9, v9, v23
	s_set_vgpr_msb 1                        ;  msbs: dst=0 src0=1 src1=0 src2=0
	v_dual_mul_f32 v23, v23 /*v279*/, v167 :: v_dual_fmac_f32 v55, v13 /*v269*/, v156
	v_fma_f32 v13, v12 /*v268*/, v156, -v13
	s_set_vgpr_msb 0                        ;  msbs: dst=0 src0=0 src1=0 src2=0
	v_add_f32_e32 v5, v5, v53
	v_add_f32_e32 v9, v9, v11
	s_set_vgpr_msb 1                        ;  msbs: dst=0 src0=1 src1=0 src2=0
	v_dual_mul_f32 v59, v16 /*v272*/, v161 :: v_dual_mul_f32 v61, v18 /*v274*/, v163
	s_wait_dscnt 0x4
	v_dual_mul_f32 v11, v25 /*v281*/, v169 :: v_dual_fmac_f32 v57, v15 /*v271*/, v158
	v_fma_f32 v15, v14 /*v270*/, v158, -v15
	s_set_vgpr_msb 0                        ;  msbs: dst=0 src0=0 src1=0 src2=0
	v_add_f32_e32 v5, v5, v55
	v_add_f32_e32 v9, v9, v13
	s_set_vgpr_msb 1                        ;  msbs: dst=0 src0=1 src1=0 src2=0
	v_dual_mul_f32 v13, v27 /*v283*/, v171 :: v_dual_fmac_f32 v59, v17 /*v273*/, v160
	v_fma_f32 v17, v16 /*v272*/, v160, -v17
	s_set_vgpr_msb 0                        ;  msbs: dst=0 src0=0 src1=0 src2=0
	v_add_f32_e32 v5, v5, v57
	v_add_f32_e32 v9, v9, v15
	s_set_vgpr_msb 1                        ;  msbs: dst=0 src0=1 src1=0 src2=0
	v_dual_mul_f32 v63, v20 /*v276*/, v165 :: v_dual_mul_f32 v65, v22 /*v278*/, v167
	s_wait_dscnt 0x3
	v_dual_mul_f32 v15, v29 /*v285*/, v173 :: v_dual_fmac_f32 v61, v19 /*v275*/, v162
	v_fma_f32 v19, v18 /*v274*/, v162, -v19
	;; [unrolled: 14-line block ×3, first 2 shown]
	s_set_vgpr_msb 0                        ;  msbs: dst=0 src0=0 src1=0 src2=0
	v_add_f32_e32 v5, v5, v63
	v_add_f32_e32 v9, v9, v21
	s_set_vgpr_msb 1                        ;  msbs: dst=0 src0=1 src1=0 src2=0
	v_dual_mul_f32 v21, v35 /*v291*/, v179 :: v_dual_fmac_f32 v67, v25 /*v281*/, v168
	v_dual_fmac_f32 v69, v27 /*v283*/, v170 :: v_dual_fma_f32 v11, v24 /*v280*/, v168, -v11
	s_set_vgpr_msb 0                        ;  msbs: dst=0 src0=0 src1=0 src2=0
	v_add_f32_e32 v5, v5, v65
	v_add_f32_e32 v9, v9, v23
	s_set_vgpr_msb 1                        ;  msbs: dst=0 src0=1 src1=0 src2=0
	v_dual_mul_f32 v71, v28 /*v284*/, v173 :: v_dual_mul_f32 v73, v30 /*v286*/, v175
	s_wait_dscnt 0x1
	v_dual_mul_f32 v23, v37 /*v293*/, v181 :: v_dual_fma_f32 v13, v26 /*v282*/, v170, -v13
	s_set_vgpr_msb 0                        ;  msbs: dst=0 src0=0 src1=0 src2=0
	v_add_f32_e32 v5, v5, v67
	v_add_f32_e32 v9, v9, v11
	s_set_vgpr_msb 1                        ;  msbs: dst=0 src0=1 src1=0 src2=0
	v_dual_mul_f32 v11, v39 /*v295*/, v183 :: v_dual_fmac_f32 v71, v29 /*v285*/, v172
	v_dual_fmac_f32 v73, v31 /*v287*/, v174 :: v_dual_fma_f32 v15, v28 /*v284*/, v172, -v15
	s_set_vgpr_msb 0                        ;  msbs: dst=0 src0=0 src1=0 src2=0
	v_add_f32_e32 v5, v5, v69
	v_add_f32_e32 v9, v9, v13
	s_set_vgpr_msb 1                        ;  msbs: dst=0 src0=1 src1=0 src2=0
	v_dual_mul_f32 v75, v32 /*v288*/, v177 :: v_dual_mul_f32 v77, v34 /*v290*/, v179
	s_wait_dscnt 0x0
	v_dual_mul_f32 v13, v41 /*v297*/, v185 :: v_dual_fma_f32 v17, v30 /*v286*/, v174, -v17
	s_set_vgpr_msb 0                        ;  msbs: dst=0 src0=0 src1=0 src2=0
	v_add_f32_e32 v5, v5, v71
	v_add_f32_e32 v9, v9, v15
	s_set_vgpr_msb 1                        ;  msbs: dst=0 src0=1 src1=0 src2=0
	v_dual_mul_f32 v15, v43 /*v299*/, v187 :: v_dual_fmac_f32 v75, v33 /*v289*/, v176
	v_dual_fmac_f32 v77, v35 /*v291*/, v178 :: v_dual_fma_f32 v19, v32 /*v288*/, v176, -v19
	s_set_vgpr_msb 0                        ;  msbs: dst=0 src0=0 src1=0 src2=0
	v_add_f32_e32 v5, v5, v73
	v_add_f32_e32 v9, v9, v17
	s_set_vgpr_msb 1                        ;  msbs: dst=0 src0=1 src1=0 src2=0
	v_dual_mul_f32 v79, v36 /*v292*/, v181 :: v_dual_mul_f32 v81, v38 /*v294*/, v183
	v_fma_f32 v17, v34 /*v290*/, v178, -v21
	s_set_vgpr_msb 0                        ;  msbs: dst=0 src0=0 src1=0 src2=0
	v_add_f32_e32 v5, v5, v75
	v_add_f32_e32 v9, v9, v19
	s_set_vgpr_msb 1                        ;  msbs: dst=0 src0=1 src1=0 src2=0
	v_dual_fmac_f32 v79, v37 /*v293*/, v180 :: v_dual_fmac_f32 v81, v39 /*v295*/, v182
	v_fma_f32 v19, v36 /*v292*/, v180, -v23
	s_set_vgpr_msb 0                        ;  msbs: dst=0 src0=0 src1=0 src2=0
	v_add_f32_e32 v5, v5, v77
	v_add_f32_e32 v9, v9, v17
	s_set_vgpr_msb 0x41                     ;  msbs: dst=1 src0=1 src1=0 src2=0
	v_dual_mul_f32 v55 /*v311*/, v40 /*v296*/, v185 :: v_dual_mul_f32 v57 /*v313*/, v42 /*v298*/, v187
	s_set_vgpr_msb 1                        ;  msbs: dst=0 src0=1 src1=0 src2=0
	v_fma_f32 v11, v38 /*v294*/, v182, -v11
	s_set_vgpr_msb 0                        ;  msbs: dst=0 src0=0 src1=0 src2=0
	v_add_f32_e32 v5, v5, v79
	v_add_f32_e32 v9, v9, v19
	s_set_vgpr_msb 0x41                     ;  msbs: dst=1 src0=1 src1=0 src2=0
	v_dual_fmac_f32 v55 /*v311*/, v41 /*v297*/, v184 :: v_dual_fmac_f32 v57 /*v313*/, v43 /*v299*/, v186
	v_dual_fma_f32 v54 /*v310*/, v40 /*v296*/, v184, -v13 :: v_dual_fma_f32 v56 /*v312*/, v42 /*v298*/, v186, -v15
	s_set_vgpr_msb 0                        ;  msbs: dst=0 src0=0 src1=0 src2=0
	v_add_f32_e32 v117, v5, v81
	v_add_f32_e32 v116, v9, v11
	s_wait_loadcnt 0x2
	v_pk_mul_f32 v[120:121], v[236:237], v[196:197] op_sel:[1,1] op_sel_hi:[0,1]
	s_set_vgpr_msb 4                        ;  msbs: dst=0 src0=0 src1=1 src2=0
	s_delay_alu instid0(VALU_DEP_2) | instskip(SKIP_1) | instid1(VALU_DEP_2)
	v_pk_add_f32 v[116:117], v[116:117], v[54:55] /*v[310:311]*/
	s_set_vgpr_msb 0                        ;  msbs: dst=0 src0=0 src1=0 src2=0
	v_pk_fma_f32 v[118:119], v[236:237], v[196:197], v[120:121] neg_lo:[0,0,1] neg_hi:[0,0,1]
	s_set_vgpr_msb 4                        ;  msbs: dst=0 src0=0 src1=1 src2=0
	s_delay_alu instid0(VALU_DEP_2) | instskip(SKIP_1) | instid1(VALU_DEP_1)
	v_pk_add_f32 v[116:117], v[116:117], v[56:57] /*v[312:313]*/
	s_set_vgpr_msb 0                        ;  msbs: dst=0 src0=0 src1=0 src2=0
	v_pk_add_f32 v[108:109], v[116:117], v[108:109]
	v_mov_b32_e32 v116, v199
	s_delay_alu instid0(VALU_DEP_2) | instskip(SKIP_2) | instid1(VALU_DEP_3)
	v_pk_add_f32 v[108:109], v[108:109], v[110:111]
	v_pk_fma_f32 v[110:111], v[236:237], v[196:197], v[120:121] op_sel_hi:[1,0,1]
	s_set_vgpr_msb 1                        ;  msbs: dst=0 src0=1 src1=0 src2=0
	v_pk_mul_f32 v[116:117], v[50:51] /*v[306:307]*/, v[116:117] op_sel_hi:[1,0]
	s_set_vgpr_msb 0                        ;  msbs: dst=0 src0=0 src1=0 src2=0
	v_pk_add_f32 v[108:109], v[108:109], v[112:113]
	v_mov_b32_e32 v119, v111
	s_delay_alu instid0(VALU_DEP_3)
	v_pk_fma_f32 v[110:111], v[238:239], v[198:199], v[116:117] op_sel_hi:[1,0,1]
	s_wait_loadcnt 0x1
	v_pk_mul_f32 v[112:113], v[240:241], v[200:201] op_sel:[1,1] op_sel_hi:[0,1]
	v_mov_b32_e32 v110, v203
	v_pk_add_f32 v[108:109], v[108:109], v[114:115]
	v_pk_fma_f32 v[116:117], v[238:239], v[198:199], v[116:117] neg_lo:[0,0,1] neg_hi:[0,0,1]
	v_mov_b32_e32 v117, v111
	v_pk_fma_f32 v[114:115], v[240:241], v[200:201], v[112:113] op_sel_hi:[1,0,1]
	s_set_vgpr_msb 1                        ;  msbs: dst=0 src0=1 src1=0 src2=0
	v_pk_mul_f32 v[110:111], v[52:53] /*v[308:309]*/, v[110:111] op_sel_hi:[1,0]
	s_set_vgpr_msb 0                        ;  msbs: dst=0 src0=0 src1=0 src2=0
	v_pk_add_f32 v[108:109], v[108:109], v[118:119]
	v_pk_fma_f32 v[112:113], v[240:241], v[200:201], v[112:113] neg_lo:[0,0,1] neg_hi:[0,0,1]
	v_mov_b32_e32 v113, v115
	v_pk_fma_f32 v[114:115], v[242:243], v[202:203], v[110:111] op_sel_hi:[1,0,1]
	s_delay_alu instid0(VALU_DEP_4) | instskip(SKIP_1) | instid1(VALU_DEP_3)
	v_pk_add_f32 v[108:109], v[108:109], v[116:117]
	v_pk_fma_f32 v[110:111], v[242:243], v[202:203], v[110:111] neg_lo:[0,0,1] neg_hi:[0,0,1]
	v_mov_b32_e32 v111, v115
	s_delay_alu instid0(VALU_DEP_3) | instskip(NEXT) | instid1(VALU_DEP_1)
	v_pk_add_f32 v[108:109], v[108:109], v[112:113]
	v_pk_add_f32 v[108:109], v[108:109], v[110:111]
	s_wait_loadcnt 0x0
	s_set_vgpr_msb 1                        ;  msbs: dst=0 src0=1 src1=0 src2=0
	s_delay_alu instid0(VALU_DEP_1)
	v_pk_add_f32 v[108:109], v[44:45] /*v[300:301]*/, v[108:109] neg_lo:[0,1] neg_hi:[0,1]
	scratch_store_b64 off, v[108:109], off offset:32
	s_wait_xcnt 0x0
	v_cmpx_lt_u32_e32 3, v0
	s_set_vgpr_msb 0                        ;  msbs: dst=0 src0=0 src1=0 src2=0
	s_cbranch_execz .LBB52_325
; %bb.324:
	scratch_load_b64 v[108:109], off, off offset:24
	v_mov_b64_e32 v[110:111], 0
	scratch_store_b64 off, v[110:111], off offset:24
	s_wait_loadcnt 0x0
	ds_store_b64 v1, v[108:109]
.LBB52_325:
	s_wait_xcnt 0x0
	s_or_b32 exec_lo, exec_lo, s0
	s_wait_storecnt_dscnt 0x0
	s_barrier_signal -1
	s_barrier_wait -1
	s_clause 0x1a
	scratch_load_b128 v[108:111], off, off offset:32
	scratch_load_b128 v[112:115], off, off offset:48
	;; [unrolled: 1-line block ×24, first 2 shown]
	s_set_vgpr_msb 64                       ;  msbs: dst=1 src0=0 src1=0 src2=0
	scratch_load_b64 v[44:45] /*v[300:301]*/, off, off offset:416
	scratch_load_b64 v[46:47] /*v[302:303]*/, off, off offset:24
	s_set_vgpr_msb 0                        ;  msbs: dst=0 src0=0 src1=0 src2=0
	v_mov_b32_e32 v5, 0
	ds_load_b128 v[204:207], v5 offset:464
	ds_load_b128 v[208:211], v5 offset:480
	;; [unrolled: 1-line block ×13, first 2 shown]
	s_set_vgpr_msb 64                       ;  msbs: dst=1 src0=0 src1=0 src2=0
	ds_load_b128 v[0:3] /*v[256:259]*/, v5 offset:608
	ds_load_b128 v[4:7] /*v[260:263]*/, v5 offset:624
	;; [unrolled: 1-line block ×11, first 2 shown]
	ds_load_b64 v[48:49] /*v[304:305]*/, v5 offset:848
	s_wait_dscnt 0x14
	v_dual_mov_b32 v50 /*v306*/, v223 :: v_dual_mov_b32 v51 /*v307*/, v222
	s_wait_dscnt 0x11
	v_dual_mov_b32 v52 /*v308*/, v235 :: v_dual_mov_b32 v53 /*v309*/, v234
	;; [unrolled: 2-line block ×4, first 2 shown]
	s_mov_b32 s0, exec_lo
	s_wait_loadcnt 0x19
	s_set_vgpr_msb 0                        ;  msbs: dst=0 src0=0 src1=0 src2=0
	v_dual_mul_f32 v9, v204, v109 :: v_dual_mul_f32 v11, v206, v111
	s_wait_loadcnt 0x18
	v_dual_mul_f32 v13, v208, v113 :: v_dual_mul_f32 v89, v207, v111
	v_mul_f32_e32 v91, v209, v113
	s_delay_alu instid0(VALU_DEP_3) | instskip(SKIP_1) | instid1(VALU_DEP_3)
	v_dual_mul_f32 v87, v205, v109 :: v_dual_fmac_f32 v9, v205, v108
	s_wait_loadcnt 0x16
	v_dual_mul_f32 v101, v219, v123 :: v_dual_fma_f32 v89, v206, v110, -v89
	s_wait_loadcnt_dscnt 0x110c
	s_delay_alu instid0(VALU_DEP_2) | instskip(SKIP_2) | instid1(VALU_DEP_3)
	v_dual_mul_f32 v43, v254, v143 :: v_dual_fma_f32 v87, v204, v108, -v87
	v_dual_fmac_f32 v11, v207, v110 :: v_dual_add_f32 v9, 0, v9
	v_dual_mul_f32 v15, v210, v115 :: v_dual_mul_f32 v17, v212, v117
	v_add_f32_e32 v87, 0, v87
	v_dual_mul_f32 v93, v211, v115 :: v_dual_mul_f32 v95, v213, v117
	v_dual_mul_f32 v103, v225, v125 :: v_dual_fma_f32 v91, v208, v112, -v91
	s_wait_loadcnt_dscnt 0x601
	s_set_vgpr_msb 1                        ;  msbs: dst=0 src0=1 src1=0 src2=0
	v_mul_f32_e32 v85, v40 /*v296*/, v185
	s_set_vgpr_msb 0                        ;  msbs: dst=0 src0=0 src1=0 src2=0
	v_fmac_f32_e32 v13, v209, v112
	v_dual_add_f32 v9, v9, v11 :: v_dual_fmac_f32 v15, v211, v114
	v_add_f32_e32 v11, v87, v89
	v_dual_mul_f32 v87, v227, v127 :: v_dual_fma_f32 v89, v210, v114, -v93
	s_delay_alu instid0(VALU_DEP_3) | instskip(NEXT) | instid1(VALU_DEP_3)
	v_dual_add_f32 v9, v9, v13 :: v_dual_mul_f32 v19, v214, v119
	v_dual_mul_f32 v21, v216, v121 :: v_dual_add_f32 v11, v11, v91
	v_dual_mul_f32 v97, v215, v119 :: v_dual_mul_f32 v99, v217, v121
	v_dual_mul_f32 v13, v229, v129 :: v_dual_fma_f32 v91, v212, v116, -v95
	s_delay_alu instid0(VALU_DEP_3) | instskip(SKIP_1) | instid1(VALU_DEP_4)
	v_dual_fmac_f32 v17, v213, v116 :: v_dual_add_f32 v11, v11, v89
	v_dual_add_f32 v9, v9, v15 :: v_dual_fmac_f32 v19, v215, v118
	v_dual_mul_f32 v15, v231, v131 :: v_dual_fma_f32 v89, v214, v118, -v97
	s_delay_alu instid0(VALU_DEP_2) | instskip(SKIP_2) | instid1(VALU_DEP_3)
	v_dual_add_f32 v11, v11, v91 :: v_dual_add_f32 v9, v9, v17
	v_dual_mul_f32 v23, v218, v123 :: v_dual_mul_f32 v25, v224, v125
	v_dual_mul_f32 v17, v241, v133 :: v_dual_fma_f32 v91, v216, v120, -v99
	v_dual_fmac_f32 v21, v217, v120 :: v_dual_add_f32 v11, v11, v89
	s_delay_alu instid0(VALU_DEP_3) | instskip(SKIP_1) | instid1(VALU_DEP_2)
	v_dual_add_f32 v9, v9, v19 :: v_dual_fmac_f32 v23, v219, v122
	v_dual_mul_f32 v19, v243, v135 :: v_dual_fma_f32 v89, v218, v122, -v101
	v_dual_add_f32 v11, v11, v91 :: v_dual_add_f32 v9, v9, v21
	v_dual_mul_f32 v27, v226, v127 :: v_dual_mul_f32 v29, v228, v129
	v_dual_mul_f32 v21, v245, v137 :: v_dual_fma_f32 v91, v224, v124, -v103
	s_delay_alu instid0(VALU_DEP_3) | instskip(NEXT) | instid1(VALU_DEP_3)
	v_dual_fmac_f32 v25, v225, v124 :: v_dual_add_f32 v11, v11, v89
	v_dual_add_f32 v9, v9, v23 :: v_dual_fmac_f32 v27, v227, v126
	v_dual_mul_f32 v23, v247, v139 :: v_dual_fma_f32 v87, v226, v126, -v87
	s_delay_alu instid0(VALU_DEP_2) | instskip(SKIP_2) | instid1(VALU_DEP_3)
	v_dual_add_f32 v11, v11, v91 :: v_dual_add_f32 v9, v9, v25
	v_dual_mul_f32 v31, v230, v131 :: v_dual_mul_f32 v33, v240, v133
	v_dual_mul_f32 v25, v253, v141 :: v_dual_fma_f32 v13, v228, v128, -v13
	v_dual_fmac_f32 v29, v229, v128 :: v_dual_add_f32 v11, v11, v87
	s_delay_alu instid0(VALU_DEP_3) | instskip(SKIP_1) | instid1(VALU_DEP_3)
	v_dual_add_f32 v9, v9, v27 :: v_dual_fmac_f32 v31, v231, v130
	v_dual_mul_f32 v27, v255, v143 :: v_dual_fma_f32 v15, v230, v130, -v15
	v_dual_add_f32 v11, v11, v13 :: v_dual_fmac_f32 v33, v241, v132
	s_delay_alu instid0(VALU_DEP_3) | instskip(SKIP_1) | instid1(VALU_DEP_3)
	v_dual_add_f32 v9, v9, v29 :: v_dual_fma_f32 v17, v240, v132, -v17
	v_dual_mul_f32 v35, v242, v135 :: v_dual_mul_f32 v37, v244, v137
	v_dual_add_f32 v11, v11, v15 :: v_dual_fma_f32 v19, v242, v134, -v19
	s_delay_alu instid0(VALU_DEP_2) | instskip(SKIP_1) | instid1(VALU_DEP_3)
	v_dual_add_f32 v9, v9, v31 :: v_dual_fmac_f32 v35, v243, v134
	v_dual_mul_f32 v39, v246, v139 :: v_dual_mul_f32 v41, v252, v141
	v_dual_add_f32 v11, v11, v17 :: v_dual_fmac_f32 v37, v245, v136
	s_delay_alu instid0(VALU_DEP_3) | instskip(NEXT) | instid1(VALU_DEP_3)
	v_dual_add_f32 v9, v9, v33 :: v_dual_fma_f32 v21, v244, v136, -v21
	v_fmac_f32_e32 v39, v247, v138
	s_delay_alu instid0(VALU_DEP_3) | instskip(NEXT) | instid1(VALU_DEP_3)
	v_dual_add_f32 v11, v11, v19 :: v_dual_fma_f32 v23, v246, v138, -v23
	v_add_f32_e32 v9, v9, v35
	v_fmac_f32_e32 v41, v253, v140
	s_delay_alu instid0(VALU_DEP_3)
	v_dual_fma_f32 v25, v252, v140, -v25 :: v_dual_add_f32 v11, v11, v21
	s_set_vgpr_msb 1                        ;  msbs: dst=0 src0=1 src1=0 src2=0
	v_dual_mul_f32 v45, v0 /*v256*/, v145 :: v_dual_mul_f32 v47, v2 /*v258*/, v147
	s_set_vgpr_msb 0                        ;  msbs: dst=0 src0=0 src1=0 src2=0
	v_add_f32_e32 v9, v9, v37
	s_set_vgpr_msb 1                        ;  msbs: dst=0 src0=1 src1=0 src2=0
	v_dual_mul_f32 v13, v1 /*v257*/, v145 :: v_dual_mul_f32 v15, v3 /*v259*/, v147
	s_set_vgpr_msb 0                        ;  msbs: dst=0 src0=0 src1=0 src2=0
	v_dual_add_f32 v11, v11, v23 :: v_dual_fma_f32 v27, v254, v142, -v27
	v_dual_add_f32 v9, v9, v39 :: v_dual_fmac_f32 v43, v255, v142
	s_set_vgpr_msb 1                        ;  msbs: dst=0 src0=1 src1=0 src2=0
	v_dual_mul_f32 v49, v4 /*v260*/, v149 :: v_dual_mul_f32 v51, v6 /*v262*/, v151
	s_set_vgpr_msb 0                        ;  msbs: dst=0 src0=0 src1=0 src2=0
	v_add_f32_e32 v11, v11, v25
	v_add_f32_e32 v9, v9, v41
	s_set_vgpr_msb 1                        ;  msbs: dst=0 src0=1 src1=0 src2=0
	v_dual_mul_f32 v25, v13 /*v269*/, v157 :: v_dual_fma_f32 v13, v0 /*v256*/, v144, -v13
	v_fmac_f32_e32 v45, v1 /*v257*/, v144
	s_set_vgpr_msb 0                        ;  msbs: dst=0 src0=0 src1=0 src2=0
	v_add_f32_e32 v11, v11, v27
	v_add_f32_e32 v9, v9, v43
	s_set_vgpr_msb 1                        ;  msbs: dst=0 src0=1 src1=0 src2=0
	v_dual_mul_f32 v17, v5 /*v261*/, v149 :: v_dual_mul_f32 v19, v7 /*v263*/, v151
	v_mul_f32_e32 v27, v15 /*v271*/, v159
	v_fmac_f32_e32 v47, v3 /*v259*/, v146
	v_dual_fma_f32 v15, v2 /*v258*/, v146, -v15 :: v_dual_fmac_f32 v49, v5 /*v261*/, v148
	s_set_vgpr_msb 0                        ;  msbs: dst=0 src0=0 src1=0 src2=0
	v_add_f32_e32 v11, v11, v13
	v_add_f32_e32 v9, v9, v45
	s_set_vgpr_msb 1                        ;  msbs: dst=0 src0=1 src1=0 src2=0
	v_dual_mul_f32 v53, v8 /*v264*/, v153 :: v_dual_mul_f32 v55, v10 /*v266*/, v155
	v_dual_mul_f32 v13, v17 /*v273*/, v161 :: v_dual_fma_f32 v17, v4 /*v260*/, v148, -v17
	s_set_vgpr_msb 0                        ;  msbs: dst=0 src0=0 src1=0 src2=0
	v_add_f32_e32 v11, v11, v15
	v_add_f32_e32 v9, v9, v47
	s_set_vgpr_msb 1                        ;  msbs: dst=0 src0=1 src1=0 src2=0
	v_dual_mul_f32 v21, v9 /*v265*/, v153 :: v_dual_mul_f32 v23, v11 /*v267*/, v155
	v_mul_f32_e32 v15, v19 /*v275*/, v163
	v_fmac_f32_e32 v51, v7 /*v263*/, v150
	v_dual_fma_f32 v19, v6 /*v262*/, v150, -v19 :: v_dual_fmac_f32 v53, v9 /*v265*/, v152
	s_set_vgpr_msb 0                        ;  msbs: dst=0 src0=0 src1=0 src2=0
	v_add_f32_e32 v11, v11, v17
	v_add_f32_e32 v9, v9, v49
	s_set_vgpr_msb 1                        ;  msbs: dst=0 src0=1 src1=0 src2=0
	v_dual_mul_f32 v57, v12 /*v268*/, v157 :: v_dual_mul_f32 v59, v14 /*v270*/, v159
	v_dual_mul_f32 v17, v21 /*v277*/, v165 :: v_dual_fma_f32 v21, v8 /*v264*/, v152, -v21
	s_set_vgpr_msb 0                        ;  msbs: dst=0 src0=0 src1=0 src2=0
	v_add_f32_e32 v11, v11, v19
	v_add_f32_e32 v9, v9, v51
	s_set_vgpr_msb 1                        ;  msbs: dst=0 src0=1 src1=0 src2=0
	v_mul_f32_e32 v19, v23 /*v279*/, v167
	v_fmac_f32_e32 v55, v11 /*v267*/, v154
	v_dual_fma_f32 v23, v10 /*v266*/, v154, -v23 :: v_dual_fmac_f32 v57, v13 /*v269*/, v156
	s_set_vgpr_msb 0                        ;  msbs: dst=0 src0=0 src1=0 src2=0
	v_add_f32_e32 v11, v11, v21
	v_add_f32_e32 v9, v9, v53
	s_set_vgpr_msb 1                        ;  msbs: dst=0 src0=1 src1=0 src2=0
	v_dual_mul_f32 v61, v16 /*v272*/, v161 :: v_dual_mul_f32 v63, v18 /*v274*/, v163
	v_dual_mul_f32 v21, v25 /*v281*/, v169 :: v_dual_fma_f32 v25, v12 /*v268*/, v156, -v25
	s_set_vgpr_msb 0                        ;  msbs: dst=0 src0=0 src1=0 src2=0
	v_add_f32_e32 v11, v11, v23
	v_add_f32_e32 v9, v9, v55
	s_set_vgpr_msb 1                        ;  msbs: dst=0 src0=1 src1=0 src2=0
	;; [unrolled: 13-line block ×6, first 2 shown]
	v_mul_f32_e32 v23, v43 /*v299*/, v187
	v_dual_fmac_f32 v75, v31 /*v287*/, v174 :: v_dual_fmac_f32 v77, v33 /*v289*/, v176
	v_dual_fma_f32 v27, v30 /*v286*/, v174, -v27 :: v_dual_fma_f32 v13, v32 /*v288*/, v176, -v13
	s_set_vgpr_msb 0                        ;  msbs: dst=0 src0=0 src1=0 src2=0
	v_add_f32_e32 v11, v11, v25
	v_add_f32_e32 v9, v9, v73
	s_set_vgpr_msb 1                        ;  msbs: dst=0 src0=1 src1=0 src2=0
	v_dual_mul_f32 v81, v36 /*v292*/, v181 :: v_dual_mul_f32 v83, v38 /*v294*/, v183
	v_fmac_f32_e32 v79, v35 /*v291*/, v178
	s_set_vgpr_msb 0                        ;  msbs: dst=0 src0=0 src1=0 src2=0
	v_add_f32_e32 v11, v11, v27
	v_add_f32_e32 v9, v9, v75
	s_set_vgpr_msb 1                        ;  msbs: dst=0 src0=1 src1=0 src2=0
	v_dual_fma_f32 v15, v34 /*v290*/, v178, -v15 :: v_dual_fmac_f32 v81, v37 /*v293*/, v180
	s_wait_loadcnt 0x5
	s_set_vgpr_msb 0                        ;  msbs: dst=0 src0=0 src1=0 src2=0
	v_dual_mul_f32 v25, v221, v189 :: v_dual_mov_b32 v108, v191
	v_add_f32_e32 v11, v11, v13
	s_set_vgpr_msb 1                        ;  msbs: dst=0 src0=1 src1=0 src2=0
	v_fma_f32 v13, v36 /*v292*/, v180, -v17
	s_set_vgpr_msb 0                        ;  msbs: dst=0 src0=0 src1=0 src2=0
	v_add_f32_e32 v9, v9, v77
	s_set_vgpr_msb 1                        ;  msbs: dst=0 src0=1 src1=0 src2=0
	v_dual_fmac_f32 v83, v39 /*v295*/, v182 :: v_dual_fmac_f32 v85, v41 /*v297*/, v184
	s_set_vgpr_msb 0                        ;  msbs: dst=0 src0=0 src1=0 src2=0
	v_add_f32_e32 v11, v11, v15
	s_set_vgpr_msb 1                        ;  msbs: dst=0 src0=1 src1=0 src2=0
	v_fma_f32 v15, v38 /*v294*/, v182, -v19
	s_wait_loadcnt 0x4
	s_set_vgpr_msb 0                        ;  msbs: dst=0 src0=0 src1=0 src2=0
	v_dual_add_f32 v9, v9, v79 :: v_dual_mov_b32 v112, v195
	s_set_vgpr_msb 0x41                     ;  msbs: dst=1 src0=1 src1=0 src2=0
	v_dual_mul_f32 v59 /*v315*/, v42 /*v298*/, v187 :: v_dual_fma_f32 v58 /*v314*/, v42 /*v298*/, v186, -v23
	s_set_vgpr_msb 1                        ;  msbs: dst=0 src0=1 src1=0 src2=0
	v_pk_mul_f32 v[108:109], v[50:51] /*v[306:307]*/, v[108:109] op_sel_hi:[1,0]
	s_set_vgpr_msb 0                        ;  msbs: dst=0 src0=0 src1=0 src2=0
	v_add_f32_e32 v9, v9, v81
	v_add_f32_e32 v11, v11, v13
	s_set_vgpr_msb 1                        ;  msbs: dst=0 src0=1 src1=0 src2=0
	v_fma_f32 v13, v40 /*v296*/, v184, -v21
	s_set_vgpr_msb 64                       ;  msbs: dst=1 src0=0 src1=0 src2=0
	v_dual_mul_f32 v61 /*v317*/, v220, v189 :: v_dual_fma_f32 v60 /*v316*/, v220, v188, -v25
	s_set_vgpr_msb 0                        ;  msbs: dst=0 src0=0 src1=0 src2=0
	v_add_f32_e32 v9, v9, v83
	v_add_f32_e32 v11, v11, v15
	s_set_vgpr_msb 0x41                     ;  msbs: dst=1 src0=1 src1=0 src2=0
	v_fmac_f32_e32 v59 /*v315*/, v43 /*v299*/, v186
	s_set_vgpr_msb 0                        ;  msbs: dst=0 src0=0 src1=0 src2=0
	v_pk_fma_f32 v[120:121], v[222:223], v[190:191], v[108:109] op_sel_hi:[1,0,1]
	v_pk_fma_f32 v[108:109], v[222:223], v[190:191], v[108:109] neg_lo:[0,0,1] neg_hi:[0,0,1]
	v_add_f32_e32 v117, v9, v85
	v_add_f32_e32 v116, v11, v13
	v_pk_mul_f32 v[110:111], v[232:233], v[192:193] op_sel:[1,1] op_sel_hi:[0,1]
	s_set_vgpr_msb 64                       ;  msbs: dst=1 src0=0 src1=0 src2=0
	v_fmac_f32_e32 v61 /*v317*/, v221, v188
	s_set_vgpr_msb 0                        ;  msbs: dst=0 src0=0 src1=0 src2=0
	v_mov_b32_e32 v109, v121
	s_set_vgpr_msb 1                        ;  msbs: dst=0 src0=1 src1=0 src2=0
	v_pk_mul_f32 v[112:113], v[52:53] /*v[308:309]*/, v[112:113] op_sel_hi:[1,0]
	s_set_vgpr_msb 4                        ;  msbs: dst=0 src0=0 src1=1 src2=0
	v_pk_add_f32 v[116:117], v[116:117], v[58:59] /*v[314:315]*/
	s_set_vgpr_msb 0                        ;  msbs: dst=0 src0=0 src1=0 src2=0
	v_pk_fma_f32 v[122:123], v[232:233], v[192:193], v[110:111] op_sel_hi:[1,0,1]
	v_pk_fma_f32 v[110:111], v[232:233], v[192:193], v[110:111] neg_lo:[0,0,1] neg_hi:[0,0,1]
	s_wait_loadcnt 0x3
	v_pk_mul_f32 v[114:115], v[236:237], v[196:197] op_sel:[1,1] op_sel_hi:[0,1]
	v_mov_b32_e32 v118, v199
	s_set_vgpr_msb 4                        ;  msbs: dst=0 src0=0 src1=1 src2=0
	v_pk_add_f32 v[116:117], v[116:117], v[60:61] /*v[316:317]*/
	v_mov_b32_e32 v111, v123
	s_set_vgpr_msb 0                        ;  msbs: dst=0 src0=0 src1=0 src2=0
	v_pk_fma_f32 v[122:123], v[234:235], v[194:195], v[112:113] op_sel_hi:[1,0,1]
	v_pk_fma_f32 v[112:113], v[234:235], v[194:195], v[112:113] neg_lo:[0,0,1] neg_hi:[0,0,1]
	s_set_vgpr_msb 1                        ;  msbs: dst=0 src0=1 src1=0 src2=0
	v_pk_mul_f32 v[118:119], v[54:55] /*v[310:311]*/, v[118:119] op_sel_hi:[1,0]
	s_set_vgpr_msb 0                        ;  msbs: dst=0 src0=0 src1=0 src2=0
	v_pk_add_f32 v[108:109], v[116:117], v[108:109]
	v_pk_fma_f32 v[116:117], v[236:237], v[196:197], v[114:115] op_sel_hi:[1,0,1]
	v_mov_b32_e32 v113, v123
	v_pk_fma_f32 v[114:115], v[236:237], v[196:197], v[114:115] neg_lo:[0,0,1] neg_hi:[0,0,1]
	s_wait_loadcnt 0x2
	v_pk_mul_f32 v[120:121], v[248:249], v[200:201] op_sel:[1,1] op_sel_hi:[0,1]
	v_pk_add_f32 v[108:109], v[108:109], v[110:111]
	v_dual_mov_b32 v110, v203 :: v_dual_mov_b32 v115, v117
	v_pk_fma_f32 v[116:117], v[238:239], v[198:199], v[118:119] op_sel_hi:[1,0,1]
	v_pk_fma_f32 v[118:119], v[238:239], v[198:199], v[118:119] neg_lo:[0,0,1] neg_hi:[0,0,1]
	s_delay_alu instid0(VALU_DEP_4)
	v_pk_add_f32 v[108:109], v[108:109], v[112:113]
	v_pk_fma_f32 v[112:113], v[248:249], v[200:201], v[120:121] op_sel_hi:[1,0,1]
	s_set_vgpr_msb 1                        ;  msbs: dst=0 src0=1 src1=0 src2=0
	v_pk_mul_f32 v[110:111], v[56:57] /*v[312:313]*/, v[110:111] op_sel_hi:[1,0]
	s_set_vgpr_msb 0                        ;  msbs: dst=0 src0=0 src1=0 src2=0
	v_mov_b32_e32 v119, v117
	s_wait_loadcnt_dscnt 0x100
	s_set_vgpr_msb 5                        ;  msbs: dst=0 src0=1 src1=1 src2=0
	v_pk_mul_f32 v[116:117], v[48:49] /*v[304:305]*/, v[44:45] /*v[300:301]*/ op_sel:[1,1] op_sel_hi:[0,1]
	s_set_vgpr_msb 0                        ;  msbs: dst=0 src0=0 src1=0 src2=0
	v_pk_add_f32 v[108:109], v[108:109], v[114:115]
	v_pk_fma_f32 v[114:115], v[248:249], v[200:201], v[120:121] neg_lo:[0,0,1] neg_hi:[0,0,1]
	v_mov_b32_e32 v115, v113
	v_pk_fma_f32 v[112:113], v[250:251], v[202:203], v[110:111] op_sel_hi:[1,0,1]
	v_pk_fma_f32 v[110:111], v[250:251], v[202:203], v[110:111] neg_lo:[0,0,1] neg_hi:[0,0,1]
	v_pk_add_f32 v[108:109], v[108:109], v[118:119]
	s_delay_alu instid0(VALU_DEP_3)
	v_mov_b32_e32 v111, v113
	s_set_vgpr_msb 5                        ;  msbs: dst=0 src0=1 src1=1 src2=0
	v_pk_fma_f32 v[112:113], v[48:49] /*v[304:305]*/, v[44:45] /*v[300:301]*/, v[116:117] op_sel_hi:[1,0,1]
	s_set_vgpr_msb 0                        ;  msbs: dst=0 src0=0 src1=0 src2=0
	v_pk_add_f32 v[108:109], v[108:109], v[114:115]
	s_set_vgpr_msb 5                        ;  msbs: dst=0 src0=1 src1=1 src2=0
	v_pk_fma_f32 v[114:115], v[48:49] /*v[304:305]*/, v[44:45] /*v[300:301]*/, v[116:117] neg_lo:[0,0,1] neg_hi:[0,0,1]
	s_set_vgpr_msb 0                        ;  msbs: dst=0 src0=0 src1=0 src2=0
	v_mov_b32_e32 v115, v113
	v_pk_add_f32 v[108:109], v[108:109], v[110:111]
	s_delay_alu instid0(VALU_DEP_1) | instskip(SKIP_2) | instid1(VALU_DEP_1)
	v_pk_add_f32 v[108:109], v[108:109], v[114:115]
	s_wait_loadcnt 0x0
	s_set_vgpr_msb 1                        ;  msbs: dst=0 src0=1 src1=0 src2=0
	v_pk_add_f32 v[108:109], v[46:47] /*v[302:303]*/, v[108:109] neg_lo:[0,1] neg_hi:[0,1]
	scratch_store_b64 off, v[108:109], off offset:24
	s_wait_xcnt 0x0
	v_cmpx_lt_u32_e32 2, v0
	s_set_vgpr_msb 0                        ;  msbs: dst=0 src0=0 src1=0 src2=0
	s_cbranch_execz .LBB52_327
; %bb.326:
	scratch_load_b64 v[108:109], off, off offset:16
	v_mov_b64_e32 v[110:111], 0
	scratch_store_b64 off, v[110:111], off offset:16
	s_wait_loadcnt 0x0
	ds_store_b64 v1, v[108:109]
.LBB52_327:
	s_wait_xcnt 0x0
	s_or_b32 exec_lo, exec_lo, s0
	s_wait_storecnt_dscnt 0x0
	s_barrier_signal -1
	s_barrier_wait -1
	s_clause 0x18
	scratch_load_b128 v[108:111], off, off offset:24
	scratch_load_b128 v[112:115], off, off offset:40
	;; [unrolled: 1-line block ×25, first 2 shown]
	ds_load_2addr_b64 v[208:211], v5 offset0:57 offset1:58
	ds_load_2addr_b64 v[212:215], v5 offset0:59 offset1:60
	ds_load_2addr_b64 v[216:219], v5 offset0:61 offset1:62
	ds_load_2addr_b64 v[220:223], v5 offset0:63 offset1:64
	ds_load_2addr_b64 v[224:227], v5 offset0:97 offset1:98
	ds_load_2addr_b64 v[228:231], v5 offset0:99 offset1:100
	ds_load_2addr_b64 v[232:235], v5 offset0:65 offset1:66
	ds_load_2addr_b64 v[236:239], v5 offset0:67 offset1:68
	ds_load_2addr_b64 v[240:243], v5 offset0:101 offset1:102
	ds_load_2addr_b64 v[244:247], v5 offset0:103 offset1:104
	ds_load_2addr_b64 v[248:251], v5 offset0:69 offset1:70
	ds_load_2addr_b64 v[252:255], v5 offset0:71 offset1:72
	s_set_vgpr_msb 64                       ;  msbs: dst=1 src0=0 src1=0 src2=0
	ds_load_2addr_b64 v[0:3] /*v[256:259]*/, v5 offset0:105 offset1:106
	ds_load_2addr_b64 v[4:7] /*v[260:263]*/, v5 offset0:73 offset1:74
	;; [unrolled: 1-line block ×7, first 2 shown]
	scratch_load_b64 v[52:53] /*v[308:309]*/, off, off offset:16
	ds_load_2addr_b64 v[28:31] /*v[284:287]*/, v5 offset0:85 offset1:86
	ds_load_2addr_b64 v[32:35] /*v[288:291]*/, v5 offset0:87 offset1:88
	;; [unrolled: 1-line block ×6, first 2 shown]
	s_mov_b32 s0, exec_lo
	s_wait_dscnt 0x13
	v_dual_mov_b32 v54 /*v310*/, v231 :: v_dual_mov_b32 v55 /*v311*/, v230
	s_wait_dscnt 0x10
	v_dual_mov_b32 v56 /*v312*/, v243 :: v_dual_mov_b32 v57 /*v313*/, v242
	;; [unrolled: 2-line block ×3, first 2 shown]
	s_wait_dscnt 0xc
	s_set_vgpr_msb 0x41                     ;  msbs: dst=1 src0=1 src1=0 src2=0
	v_dual_mov_b32 v60 /*v316*/, v3 /*v259*/ :: v_dual_mov_b32 v61 /*v317*/, v2 /*v258*/
	s_wait_loadcnt 0x19
	s_set_vgpr_msb 0                        ;  msbs: dst=0 src0=0 src1=0 src2=0
	v_dual_mul_f32 v5, v208, v109 :: v_dual_mul_f32 v9, v210, v111
	v_dual_mul_f32 v87, v209, v109 :: v_dual_mul_f32 v89, v211, v111
	s_wait_loadcnt 0x18
	v_dual_mul_f32 v11, v212, v113 :: v_dual_mul_f32 v13, v214, v115
	s_delay_alu instid0(VALU_DEP_2) | instskip(SKIP_3) | instid1(VALU_DEP_3)
	v_dual_fmac_f32 v5, v209, v108 :: v_dual_fma_f32 v87, v208, v108, -v87
	v_dual_mul_f32 v91, v213, v113 :: v_dual_mul_f32 v93, v215, v115
	s_wait_loadcnt 0x16
	v_dual_mul_f32 v99, v221, v121 :: v_dual_fmac_f32 v9, v211, v110
	v_dual_fma_f32 v89, v210, v110, -v89 :: v_dual_add_f32 v5, 0, v5
	v_dual_add_f32 v87, 0, v87 :: v_dual_fmac_f32 v11, v213, v112
	v_dual_mul_f32 v101, v223, v123 :: v_dual_fma_f32 v91, v212, v112, -v91
	s_delay_alu instid0(VALU_DEP_3) | instskip(NEXT) | instid1(VALU_DEP_3)
	v_dual_add_f32 v5, v5, v9 :: v_dual_fmac_f32 v13, v215, v114
	v_dual_add_f32 v9, v87, v89 :: v_dual_fma_f32 v89, v214, v114, -v93
	v_dual_mul_f32 v15, v216, v117 :: v_dual_mul_f32 v17, v218, v119
	v_dual_mul_f32 v95, v217, v117 :: v_dual_mul_f32 v97, v219, v119
	s_delay_alu instid0(VALU_DEP_4) | instskip(NEXT) | instid1(VALU_DEP_3)
	v_add_f32_e32 v5, v5, v11
	v_dual_add_f32 v9, v9, v91 :: v_dual_fmac_f32 v17, v219, v118
	s_delay_alu instid0(VALU_DEP_4) | instskip(NEXT) | instid1(VALU_DEP_3)
	v_fmac_f32_e32 v15, v217, v116
	v_dual_fma_f32 v91, v216, v116, -v95 :: v_dual_add_f32 v5, v5, v13
	s_delay_alu instid0(VALU_DEP_3) | instskip(SKIP_4) | instid1(VALU_DEP_2)
	v_add_f32_e32 v9, v9, v89
	v_dual_mul_f32 v19, v220, v121 :: v_dual_mul_f32 v21, v222, v123
	s_wait_loadcnt 0x15
	v_dual_mul_f32 v87, v233, v125 :: v_dual_mul_f32 v11, v235, v127
	v_dual_fma_f32 v89, v218, v118, -v97 :: v_dual_add_f32 v5, v5, v15
	v_dual_add_f32 v9, v9, v91 :: v_dual_fma_f32 v87, v232, v124, -v87
	v_dual_mul_f32 v23, v232, v125 :: v_dual_mul_f32 v25, v234, v127
	v_fmac_f32_e32 v19, v221, v120
	s_delay_alu instid0(VALU_DEP_3) | instskip(SKIP_4) | instid1(VALU_DEP_2)
	v_dual_add_f32 v9, v9, v89 :: v_dual_fma_f32 v11, v234, v126, -v11
	v_dual_fma_f32 v89, v222, v122, -v101 :: v_dual_add_f32 v5, v5, v17
	s_wait_loadcnt 0x14
	v_dual_mul_f32 v13, v237, v129 :: v_dual_fmac_f32 v21, v223, v122
	v_dual_fma_f32 v91, v220, v120, -v99 :: v_dual_fmac_f32 v25, v235, v126
	v_dual_add_f32 v5, v5, v19 :: v_dual_fma_f32 v13, v236, v128, -v13
	v_dual_mul_f32 v27, v236, v129 :: v_dual_mul_f32 v29, v238, v131
	s_wait_loadcnt 0x13
	v_dual_mul_f32 v31, v248, v133 :: v_dual_mul_f32 v33, v250, v135
	v_mul_f32_e32 v15, v239, v131
	s_delay_alu instid0(VALU_DEP_3) | instskip(SKIP_1) | instid1(VALU_DEP_4)
	v_dual_add_f32 v9, v9, v91 :: v_dual_fmac_f32 v29, v239, v130
	v_dual_mul_f32 v19, v251, v135 :: v_dual_fmac_f32 v23, v233, v124
	v_dual_fmac_f32 v33, v251, v134 :: v_dual_add_f32 v5, v5, v21
	s_delay_alu instid0(VALU_DEP_4) | instskip(SKIP_1) | instid1(VALU_DEP_3)
	v_dual_fma_f32 v15, v238, v130, -v15 :: v_dual_mul_f32 v17, v249, v133
	s_wait_loadcnt 0x12
	v_dual_mul_f32 v21, v253, v137 :: v_dual_fma_f32 v19, v250, v134, -v19
	s_delay_alu instid0(VALU_DEP_3)
	v_add_f32_e32 v5, v5, v23
	v_dual_mul_f32 v23, v255, v139 :: v_dual_add_f32 v9, v9, v89
	v_fma_f32 v17, v248, v132, -v17
	v_dual_mul_f32 v35, v252, v137 :: v_dual_mul_f32 v37, v254, v139
	s_wait_loadcnt 0x4
	v_pk_mul_f32 v[108:109], v[228:229], v[192:193] op_sel:[1,1] op_sel_hi:[0,1]
	v_dual_add_f32 v9, v9, v87 :: v_dual_mov_b32 v110, v195
	s_wait_loadcnt 0x3
	v_pk_mul_f32 v[112:113], v[240:241], v[196:197] op_sel:[1,1] op_sel_hi:[0,1]
	v_fmac_f32_e32 v37, v255, v138
	v_pk_fma_f32 v[118:119], v[228:229], v[192:193], v[108:109] op_sel_hi:[1,0,1]
	v_add_f32_e32 v9, v9, v11
	v_pk_fma_f32 v[108:109], v[228:229], v[192:193], v[108:109] neg_lo:[0,0,1] neg_hi:[0,0,1]
	v_pk_fma_f32 v[122:123], v[240:241], v[196:197], v[112:113] op_sel_hi:[1,0,1]
	v_pk_fma_f32 v[112:113], v[240:241], v[196:197], v[112:113] neg_lo:[0,0,1] neg_hi:[0,0,1]
	s_delay_alu instid0(VALU_DEP_4) | instskip(NEXT) | instid1(VALU_DEP_3)
	v_dual_mov_b32 v109, v119 :: v_dual_add_f32 v9, v9, v13
	v_dual_fma_f32 v21, v252, v136, -v21 :: v_dual_mov_b32 v113, v123
	v_dual_add_f32 v5, v5, v25 :: v_dual_fma_f32 v23, v254, v138, -v23
	s_delay_alu instid0(VALU_DEP_3)
	v_add_f32_e32 v9, v9, v15
	s_wait_dscnt 0xb
	s_set_vgpr_msb 1                        ;  msbs: dst=0 src0=1 src1=0 src2=0
	v_dual_mul_f32 v11, v5 /*v261*/, v141 :: v_dual_mul_f32 v13, v7 /*v263*/, v143
	s_wait_dscnt 0xa
	v_mul_f32_e32 v15, v9 /*v265*/, v145
	s_wait_dscnt 0x7
	v_dual_mul_f32 v55, v20 /*v276*/, v157 :: v_dual_mul_f32 v57, v22 /*v278*/, v159
	s_set_vgpr_msb 0                        ;  msbs: dst=0 src0=0 src1=0 src2=0
	v_add_f32_e32 v9, v9, v17
	s_set_vgpr_msb 1                        ;  msbs: dst=0 src0=1 src1=0 src2=0
	v_dual_fma_f32 v11, v4 /*v260*/, v140, -v11 :: v_dual_fma_f32 v13, v6 /*v262*/, v142, -v13
	v_dual_mul_f32 v17, v11 /*v267*/, v147 :: v_dual_fma_f32 v15, v8 /*v264*/, v144, -v15
	s_set_vgpr_msb 0                        ;  msbs: dst=0 src0=0 src1=0 src2=0
	v_add_f32_e32 v9, v9, v19
	s_set_vgpr_msb 1                        ;  msbs: dst=0 src0=1 src1=0 src2=0
	v_mul_f32_e32 v19, v13 /*v269*/, v149
	s_wait_dscnt 0x6
	v_dual_mul_f32 v59, v24 /*v280*/, v161 :: v_dual_mul_f32 v61, v26 /*v282*/, v163
	v_fma_f32 v17, v10 /*v266*/, v146, -v17
	s_set_vgpr_msb 0                        ;  msbs: dst=0 src0=0 src1=0 src2=0
	v_add_f32_e32 v9, v9, v21
	s_set_vgpr_msb 1                        ;  msbs: dst=0 src0=1 src1=0 src2=0
	v_dual_mul_f32 v21, v15 /*v271*/, v151 :: v_dual_fma_f32 v19, v12 /*v268*/, v148, -v19
	s_wait_dscnt 0x5
	v_dual_mul_f32 v63, v28 /*v284*/, v165 :: v_dual_mul_f32 v65, v30 /*v286*/, v167
	s_set_vgpr_msb 0                        ;  msbs: dst=0 src0=0 src1=0 src2=0
	v_add_f32_e32 v9, v9, v23
	s_set_vgpr_msb 1                        ;  msbs: dst=0 src0=1 src1=0 src2=0
	v_dual_mul_f32 v23, v17 /*v273*/, v153 :: v_dual_fma_f32 v21, v14 /*v270*/, v150, -v21
	s_set_vgpr_msb 0                        ;  msbs: dst=0 src0=0 src1=0 src2=0
	v_fmac_f32_e32 v27, v237, v128
	s_set_vgpr_msb 1                        ;  msbs: dst=0 src0=1 src1=0 src2=0
	v_pk_mul_f32 v[110:111], v[54:55] /*v[310:311]*/, v[110:111] op_sel_hi:[1,0]
	s_set_vgpr_msb 0                        ;  msbs: dst=0 src0=0 src1=0 src2=0
	v_add_f32_e32 v9, v9, v11
	s_set_vgpr_msb 1                        ;  msbs: dst=0 src0=1 src1=0 src2=0
	v_dual_mul_f32 v11, v19 /*v275*/, v155 :: v_dual_fma_f32 v23, v16 /*v272*/, v152, -v23
	s_set_vgpr_msb 0                        ;  msbs: dst=0 src0=0 src1=0 src2=0
	v_fmac_f32_e32 v35, v253, v136
	v_pk_fma_f32 v[118:119], v[230:231], v[194:195], v[110:111] op_sel_hi:[1,0,1]
	v_add_f32_e32 v9, v9, v13
	s_set_vgpr_msb 1                        ;  msbs: dst=0 src0=1 src1=0 src2=0
	v_dual_mul_f32 v13, v21 /*v277*/, v157 :: v_dual_fma_f32 v11, v18 /*v274*/, v154, -v11
	v_dual_fmac_f32 v55, v21 /*v277*/, v156 :: v_dual_fmac_f32 v57, v23 /*v279*/, v158
	s_set_vgpr_msb 0                        ;  msbs: dst=0 src0=0 src1=0 src2=0
	v_add_f32_e32 v9, v9, v15
	s_set_vgpr_msb 1                        ;  msbs: dst=0 src0=1 src1=0 src2=0
	v_dual_mul_f32 v15, v23 /*v279*/, v159 :: v_dual_fma_f32 v13, v20 /*v276*/, v156, -v13
	s_set_vgpr_msb 0                        ;  msbs: dst=0 src0=0 src1=0 src2=0
	v_fmac_f32_e32 v31, v249, v132
	v_pk_fma_f32 v[110:111], v[230:231], v[194:195], v[110:111] neg_lo:[0,0,1] neg_hi:[0,0,1]
	v_add_f32_e32 v9, v9, v17
	s_set_vgpr_msb 1                        ;  msbs: dst=0 src0=1 src1=0 src2=0
	v_dual_mul_f32 v17, v25 /*v281*/, v161 :: v_dual_fma_f32 v15, v22 /*v278*/, v158, -v15
	v_dual_fmac_f32 v59, v25 /*v281*/, v160 :: v_dual_fmac_f32 v61, v27 /*v283*/, v162
	s_set_vgpr_msb 0                        ;  msbs: dst=0 src0=0 src1=0 src2=0
	v_add_f32_e32 v9, v9, v19
	s_set_vgpr_msb 1                        ;  msbs: dst=0 src0=1 src1=0 src2=0
	v_dual_mul_f32 v19, v27 /*v283*/, v163 :: v_dual_fma_f32 v17, v24 /*v280*/, v160, -v17
	s_set_vgpr_msb 0                        ;  msbs: dst=0 src0=0 src1=0 src2=0
	v_mov_b32_e32 v111, v119
	s_set_vgpr_msb 1                        ;  msbs: dst=0 src0=1 src1=0 src2=0
	v_dual_mul_f32 v39, v4 /*v260*/, v141 :: v_dual_mul_f32 v41, v6 /*v262*/, v143
	s_set_vgpr_msb 0                        ;  msbs: dst=0 src0=0 src1=0 src2=0
	v_add_f32_e32 v9, v9, v21
	s_set_vgpr_msb 1                        ;  msbs: dst=0 src0=1 src1=0 src2=0
	v_dual_mul_f32 v21, v29 /*v285*/, v165 :: v_dual_fma_f32 v19, v26 /*v282*/, v162, -v19
	v_dual_fmac_f32 v63, v29 /*v285*/, v164 :: v_dual_fmac_f32 v65, v31 /*v287*/, v166
	s_set_vgpr_msb 0                        ;  msbs: dst=0 src0=0 src1=0 src2=0
	v_add_f32_e32 v9, v9, v23
	s_set_vgpr_msb 1                        ;  msbs: dst=0 src0=1 src1=0 src2=0
	v_dual_mul_f32 v23, v31 /*v287*/, v167 :: v_dual_fma_f32 v21, v28 /*v284*/, v164, -v21
	v_dual_fmac_f32 v39, v5 /*v261*/, v140 :: v_dual_fmac_f32 v41, v7 /*v263*/, v142
	s_set_vgpr_msb 0                        ;  msbs: dst=0 src0=0 src1=0 src2=0
	v_add_f32_e32 v9, v9, v11
	s_wait_dscnt 0x4
	s_set_vgpr_msb 1                        ;  msbs: dst=0 src0=1 src1=0 src2=0
	v_dual_mul_f32 v11, v33 /*v289*/, v169 :: v_dual_fma_f32 v23, v30 /*v286*/, v166, -v23
	v_dual_mul_f32 v43, v8 /*v264*/, v145 :: v_dual_mul_f32 v45, v10 /*v266*/, v147
	s_set_vgpr_msb 0                        ;  msbs: dst=0 src0=0 src1=0 src2=0
	v_add_f32_e32 v9, v9, v13
	s_set_vgpr_msb 1                        ;  msbs: dst=0 src0=1 src1=0 src2=0
	v_dual_mul_f32 v13, v35 /*v291*/, v171 :: v_dual_fma_f32 v11, v32 /*v288*/, v168, -v11
	v_dual_fmac_f32 v43, v9 /*v265*/, v144 :: v_dual_fmac_f32 v45, v11 /*v267*/, v146
	s_set_vgpr_msb 0                        ;  msbs: dst=0 src0=0 src1=0 src2=0
	v_add_f32_e32 v9, v9, v15
	s_wait_dscnt 0x3
	s_set_vgpr_msb 1                        ;  msbs: dst=0 src0=1 src1=0 src2=0
	v_dual_mul_f32 v15, v37 /*v293*/, v173 :: v_dual_fma_f32 v13, v34 /*v290*/, v170, -v13
	v_dual_mul_f32 v47, v12 /*v268*/, v149 :: v_dual_mul_f32 v49, v14 /*v270*/, v151
	;; [unrolled: 11-line block ×3, first 2 shown]
	s_set_vgpr_msb 0                        ;  msbs: dst=0 src0=0 src1=0 src2=0
	v_add_f32_e32 v9, v9, v21
	s_set_vgpr_msb 1                        ;  msbs: dst=0 src0=1 src1=0 src2=0
	v_dual_mul_f32 v21, v43 /*v299*/, v179 :: v_dual_fma_f32 v19, v40 /*v296*/, v176, -v19
	s_set_vgpr_msb 0                        ;  msbs: dst=0 src0=0 src1=0 src2=0
	v_mov_b32_e32 v114, v199
	s_set_vgpr_msb 1                        ;  msbs: dst=0 src0=1 src1=0 src2=0
	v_dual_fmac_f32 v51, v17 /*v273*/, v152 :: v_dual_fmac_f32 v53, v19 /*v275*/, v154
	s_set_vgpr_msb 0                        ;  msbs: dst=0 src0=0 src1=0 src2=0
	v_add_f32_e32 v9, v9, v23
	s_wait_dscnt 0x1
	s_set_vgpr_msb 1                        ;  msbs: dst=0 src0=1 src1=0 src2=0
	v_dual_mul_f32 v23, v45 /*v301*/, v181 :: v_dual_fma_f32 v21, v42 /*v298*/, v178, -v21
	v_pk_mul_f32 v[114:115], v[56:57] /*v[312:313]*/, v[114:115] op_sel_hi:[1,0]
	v_dual_mul_f32 v67, v32 /*v288*/, v169 :: v_dual_mul_f32 v69, v34 /*v290*/, v171
	s_set_vgpr_msb 0                        ;  msbs: dst=0 src0=0 src1=0 src2=0
	v_add_f32_e32 v9, v9, v11
	s_set_vgpr_msb 1                        ;  msbs: dst=0 src0=1 src1=0 src2=0
	v_mul_f32_e32 v11, v47 /*v303*/, v183
	s_set_vgpr_msb 0                        ;  msbs: dst=0 src0=0 src1=0 src2=0
	v_pk_fma_f32 v[118:119], v[242:243], v[198:199], v[114:115] op_sel_hi:[1,0,1]
	v_pk_fma_f32 v[114:115], v[242:243], v[198:199], v[114:115] neg_lo:[0,0,1] neg_hi:[0,0,1]
	s_set_vgpr_msb 1                        ;  msbs: dst=0 src0=1 src1=0 src2=0
	v_dual_fmac_f32 v67, v33 /*v289*/, v168 :: v_dual_fmac_f32 v69, v35 /*v291*/, v170
	s_set_vgpr_msb 0                        ;  msbs: dst=0 src0=0 src1=0 src2=0
	v_add_f32_e32 v9, v9, v13
	s_wait_dscnt 0x0
	s_set_vgpr_msb 1                        ;  msbs: dst=0 src0=1 src1=0 src2=0
	v_mul_f32_e32 v13, v49 /*v305*/, v185
	s_set_vgpr_msb 0                        ;  msbs: dst=0 src0=0 src1=0 src2=0
	v_mov_b32_e32 v115, v119
	s_set_vgpr_msb 1                        ;  msbs: dst=0 src0=1 src1=0 src2=0
	v_dual_mul_f32 v71, v36 /*v292*/, v173 :: v_dual_mul_f32 v73, v38 /*v294*/, v175
	s_set_vgpr_msb 0                        ;  msbs: dst=0 src0=0 src1=0 src2=0
	v_add_f32_e32 v9, v9, v15
	s_set_vgpr_msb 1                        ;  msbs: dst=0 src0=1 src1=0 src2=0
	v_dual_mul_f32 v15, v51 /*v307*/, v187 :: v_dual_mul_f32 v75, v40 /*v296*/, v177
	v_dual_mul_f32 v77, v42 /*v298*/, v179 :: v_dual_fmac_f32 v71, v37 /*v293*/, v172
	v_fmac_f32_e32 v73, v39 /*v295*/, v174
	s_set_vgpr_msb 0                        ;  msbs: dst=0 src0=0 src1=0 src2=0
	v_add_f32_e32 v9, v9, v17
	s_set_vgpr_msb 1                        ;  msbs: dst=0 src0=1 src1=0 src2=0
	v_dual_fmac_f32 v75, v41 /*v297*/, v176 :: v_dual_fmac_f32 v77, v43 /*v299*/, v178
	v_dual_mul_f32 v79, v44 /*v300*/, v181 :: v_dual_mul_f32 v81, v46 /*v302*/, v183
	s_set_vgpr_msb 0                        ;  msbs: dst=0 src0=0 src1=0 src2=0
	v_add_f32_e32 v9, v9, v19
	v_mul_f32_e32 v19, v227, v191
	v_add_f32_e32 v5, v5, v27
	s_set_vgpr_msb 1                        ;  msbs: dst=0 src0=1 src1=0 src2=0
	v_dual_mul_f32 v83, v48 /*v304*/, v185 :: v_dual_mul_f32 v85, v50 /*v306*/, v187
	v_dual_fmac_f32 v79, v45 /*v301*/, v180 :: v_dual_fmac_f32 v81, v47 /*v303*/, v182
	s_set_vgpr_msb 0                        ;  msbs: dst=0 src0=0 src1=0 src2=0
	v_add_f32_e32 v5, v5, v29
	s_set_vgpr_msb 1                        ;  msbs: dst=0 src0=1 src1=0 src2=0
	v_dual_fma_f32 v23, v44 /*v300*/, v180, -v23 :: v_dual_fmac_f32 v85, v51 /*v307*/, v186
	s_set_vgpr_msb 0                        ;  msbs: dst=0 src0=0 src1=0 src2=0
	v_add_f32_e32 v9, v9, v21
	s_set_vgpr_msb 1                        ;  msbs: dst=0 src0=1 src1=0 src2=0
	v_dual_fma_f32 v11, v46 /*v302*/, v182, -v11 :: v_dual_fma_f32 v13, v48 /*v304*/, v184, -v13
	s_set_vgpr_msb 0                        ;  msbs: dst=0 src0=0 src1=0 src2=0
	v_add_f32_e32 v5, v5, v31
	s_set_vgpr_msb 1                        ;  msbs: dst=0 src0=1 src1=0 src2=0
	v_fmac_f32_e32 v83, v49 /*v305*/, v184
	s_set_vgpr_msb 0                        ;  msbs: dst=0 src0=0 src1=0 src2=0
	v_add_f32_e32 v9, v9, v23
	s_set_vgpr_msb 64                       ;  msbs: dst=1 src0=0 src1=0 src2=0
	v_dual_mul_f32 v63 /*v319*/, v224, v189 :: v_dual_mul_f32 v65 /*v321*/, v226, v191
	s_set_vgpr_msb 0                        ;  msbs: dst=0 src0=0 src1=0 src2=0
	v_add_f32_e32 v5, v5, v33
	v_mul_f32_e32 v17, v225, v189
	v_add_f32_e32 v9, v9, v11
	s_set_vgpr_msb 1                        ;  msbs: dst=0 src0=1 src1=0 src2=0
	v_fma_f32 v11, v50 /*v306*/, v186, -v15
	s_set_vgpr_msb 64                       ;  msbs: dst=1 src0=0 src1=0 src2=0
	v_dual_fmac_f32 v63 /*v319*/, v225, v188 :: v_dual_fmac_f32 v65 /*v321*/, v227, v190
	s_set_vgpr_msb 0                        ;  msbs: dst=0 src0=0 src1=0 src2=0
	v_add_f32_e32 v5, v5, v35
	v_add_f32_e32 v9, v9, v13
	s_set_vgpr_msb 64                       ;  msbs: dst=1 src0=0 src1=0 src2=0
	v_dual_fma_f32 v62 /*v318*/, v224, v188, -v17 :: v_dual_fma_f32 v64 /*v320*/, v226, v190, -v19
	s_wait_loadcnt 0x2
	s_set_vgpr_msb 0                        ;  msbs: dst=0 src0=0 src1=0 src2=0
	v_pk_mul_f32 v[120:121], v[244:245], v[200:201] op_sel:[1,1] op_sel_hi:[0,1]
	v_add_f32_e32 v5, v5, v37
	v_add_f32_e32 v116, v9, v11
	s_delay_alu instid0(VALU_DEP_3) | instskip(NEXT) | instid1(VALU_DEP_3)
	v_pk_fma_f32 v[118:119], v[244:245], v[200:201], v[120:121] neg_lo:[0,0,1] neg_hi:[0,0,1]
	v_add_f32_e32 v5, v5, v39
	s_delay_alu instid0(VALU_DEP_1) | instskip(NEXT) | instid1(VALU_DEP_1)
	v_add_f32_e32 v5, v5, v41
	v_add_f32_e32 v5, v5, v43
	s_delay_alu instid0(VALU_DEP_1) | instskip(NEXT) | instid1(VALU_DEP_1)
	v_add_f32_e32 v5, v5, v45
	;; [unrolled: 3-line block ×11, first 2 shown]
	v_add_f32_e32 v5, v5, v83
	s_delay_alu instid0(VALU_DEP_1) | instskip(SKIP_1) | instid1(VALU_DEP_1)
	v_add_f32_e32 v117, v5, v85
	s_set_vgpr_msb 4                        ;  msbs: dst=0 src0=0 src1=1 src2=0
	v_pk_add_f32 v[116:117], v[116:117], v[62:63] /*v[318:319]*/
	s_delay_alu instid0(VALU_DEP_1) | instskip(SKIP_1) | instid1(VALU_DEP_1)
	v_pk_add_f32 v[116:117], v[116:117], v[64:65] /*v[320:321]*/
	s_set_vgpr_msb 0                        ;  msbs: dst=0 src0=0 src1=0 src2=0
	v_pk_add_f32 v[108:109], v[116:117], v[108:109]
	v_mov_b32_e32 v116, v203
	s_delay_alu instid0(VALU_DEP_2) | instskip(SKIP_2) | instid1(VALU_DEP_3)
	v_pk_add_f32 v[108:109], v[108:109], v[110:111]
	v_pk_fma_f32 v[110:111], v[244:245], v[200:201], v[120:121] op_sel_hi:[1,0,1]
	s_set_vgpr_msb 1                        ;  msbs: dst=0 src0=1 src1=0 src2=0
	v_pk_mul_f32 v[116:117], v[58:59] /*v[314:315]*/, v[116:117] op_sel_hi:[1,0]
	s_set_vgpr_msb 0                        ;  msbs: dst=0 src0=0 src1=0 src2=0
	v_pk_add_f32 v[108:109], v[108:109], v[112:113]
	v_mov_b32_e32 v119, v111
	s_delay_alu instid0(VALU_DEP_3)
	v_pk_fma_f32 v[110:111], v[246:247], v[202:203], v[116:117] op_sel_hi:[1,0,1]
	s_wait_loadcnt 0x1
	s_set_vgpr_msb 1                        ;  msbs: dst=0 src0=1 src1=0 src2=0
	v_pk_mul_f32 v[112:113], v[0:1] /*v[256:257]*/, v[204:205] op_sel:[1,1] op_sel_hi:[0,1]
	s_set_vgpr_msb 0                        ;  msbs: dst=0 src0=0 src1=0 src2=0
	v_mov_b32_e32 v110, v207
	v_pk_add_f32 v[108:109], v[108:109], v[114:115]
	v_pk_fma_f32 v[116:117], v[246:247], v[202:203], v[116:117] neg_lo:[0,0,1] neg_hi:[0,0,1]
	v_mov_b32_e32 v117, v111
	s_set_vgpr_msb 1                        ;  msbs: dst=0 src0=1 src1=0 src2=0
	v_pk_fma_f32 v[114:115], v[0:1] /*v[256:257]*/, v[204:205], v[112:113] op_sel_hi:[1,0,1]
	v_pk_mul_f32 v[110:111], v[60:61] /*v[316:317]*/, v[110:111] op_sel_hi:[1,0]
	s_set_vgpr_msb 0                        ;  msbs: dst=0 src0=0 src1=0 src2=0
	v_pk_add_f32 v[108:109], v[108:109], v[118:119]
	s_set_vgpr_msb 1                        ;  msbs: dst=0 src0=1 src1=0 src2=0
	v_pk_fma_f32 v[112:113], v[0:1] /*v[256:257]*/, v[204:205], v[112:113] neg_lo:[0,0,1] neg_hi:[0,0,1]
	s_set_vgpr_msb 0                        ;  msbs: dst=0 src0=0 src1=0 src2=0
	v_mov_b32_e32 v113, v115
	s_set_vgpr_msb 1                        ;  msbs: dst=0 src0=1 src1=0 src2=0
	v_pk_fma_f32 v[114:115], v[2:3] /*v[258:259]*/, v[206:207], v[110:111] op_sel_hi:[1,0,1]
	s_set_vgpr_msb 0                        ;  msbs: dst=0 src0=0 src1=0 src2=0
	v_pk_add_f32 v[108:109], v[108:109], v[116:117]
	s_set_vgpr_msb 1                        ;  msbs: dst=0 src0=1 src1=0 src2=0
	v_pk_fma_f32 v[110:111], v[2:3] /*v[258:259]*/, v[206:207], v[110:111] neg_lo:[0,0,1] neg_hi:[0,0,1]
	s_set_vgpr_msb 0                        ;  msbs: dst=0 src0=0 src1=0 src2=0
	v_mov_b32_e32 v111, v115
	v_pk_add_f32 v[108:109], v[108:109], v[112:113]
	s_delay_alu instid0(VALU_DEP_1) | instskip(SKIP_2) | instid1(VALU_DEP_1)
	v_pk_add_f32 v[108:109], v[108:109], v[110:111]
	s_wait_loadcnt 0x0
	s_set_vgpr_msb 1                        ;  msbs: dst=0 src0=1 src1=0 src2=0
	v_pk_add_f32 v[108:109], v[52:53] /*v[308:309]*/, v[108:109] neg_lo:[0,1] neg_hi:[0,1]
	scratch_store_b64 off, v[108:109], off offset:16
	s_wait_xcnt 0x0
	v_cmpx_lt_u32_e32 1, v0
	s_set_vgpr_msb 0                        ;  msbs: dst=0 src0=0 src1=0 src2=0
	s_cbranch_execz .LBB52_329
; %bb.328:
	scratch_load_b64 v[108:109], off, off offset:8
	v_mov_b64_e32 v[110:111], 0
	scratch_store_b64 off, v[110:111], off offset:8
	s_wait_loadcnt 0x0
	ds_store_b64 v1, v[108:109]
.LBB52_329:
	s_wait_xcnt 0x0
	s_or_b32 exec_lo, exec_lo, s0
	s_wait_storecnt_dscnt 0x0
	s_barrier_signal -1
	s_barrier_wait -1
	s_clause 0x16
	scratch_load_b128 v[110:113], off, off offset:16
	scratch_load_b128 v[114:117], off, off offset:32
	;; [unrolled: 1-line block ×23, first 2 shown]
	v_dual_mov_b32 v108, 0 :: v_dual_ashrrev_i32 v53, 31, v52
	s_clause 0x4
	scratch_load_b128 v[202:205], off, off offset:384
	scratch_load_b128 v[206:209], off, off offset:400
	s_set_vgpr_msb 64                       ;  msbs: dst=1 src0=0 src1=0 src2=0
	scratch_load_b64 v[54:55] /*v[310:311]*/, off, off offset:416
	scratch_load_b64 v[56:57] /*v[312:313]*/, off, off offset:8
	s_set_vgpr_msb 0                        ;  msbs: dst=0 src0=0 src1=0 src2=0
	ds_load_b128 v[210:213], v108 offset:448
	ds_load_b128 v[214:217], v108 offset:464
	ds_load_b128 v[218:221], v108 offset:480
	ds_load_b128 v[222:225], v108 offset:496
	ds_load_b128 v[226:229], v108 offset:768
	ds_load_b128 v[230:233], v108 offset:784
	ds_load_b128 v[234:237], v108 offset:512
	ds_load_b128 v[238:241], v108 offset:528
	ds_load_b128 v[242:245], v108 offset:800
	ds_load_b128 v[246:249], v108 offset:816
	ds_load_b128 v[250:253], v108 offset:544
	ds_load_b128 v[254:257], v108 offset:560
	s_set_vgpr_msb 64                       ;  msbs: dst=1 src0=0 src1=0 src2=0
	ds_load_b128 v[2:5] /*v[258:261]*/, v108 offset:832
	ds_load_b128 v[6:9] /*v[262:265]*/, v108 offset:576
	;; [unrolled: 1-line block ×13, first 2 shown]
	ds_load_b64 v[58:59] /*v[314:315]*/, v108 offset:848
	s_wait_dscnt 0x14
	v_dual_mov_b32 v60 /*v316*/, v233 :: v_dual_mov_b32 v61 /*v317*/, v232
	s_wait_dscnt 0x11
	v_dual_mov_b32 v62 /*v318*/, v245 :: v_dual_mov_b32 v63 /*v319*/, v244
	;; [unrolled: 2-line block ×3, first 2 shown]
	s_wait_dscnt 0xd
	s_set_vgpr_msb 0x41                     ;  msbs: dst=1 src0=1 src1=0 src2=0
	v_dual_mov_b32 v66 /*v322*/, v5 /*v261*/ :: v_dual_mov_b32 v67 /*v323*/, v4 /*v260*/
	s_set_vgpr_msb 0                        ;  msbs: dst=0 src0=0 src1=0 src2=0
	v_dual_ashrrev_i32 v5, 31, v4 :: v_dual_ashrrev_i32 v11, 31, v10
	v_dual_ashrrev_i32 v9, 31, v8 :: v_dual_ashrrev_i32 v15, 31, v14
	;; [unrolled: 1-line block ×19, first 2 shown]
	s_mov_b32 s0, exec_lo
	s_wait_loadcnt 0x1a
	v_dual_mul_f32 v89, v211, v111 :: v_dual_mul_f32 v91, v213, v113
	v_dual_mul_f32 v85, v210, v111 :: v_dual_mul_f32 v87, v212, v113
	s_wait_loadcnt 0x19
	v_dual_mul_f32 v93, v214, v115 :: v_dual_mul_f32 v95, v216, v117
	s_delay_alu instid0(VALU_DEP_3)
	v_dual_fma_f32 v89, v210, v110, -v89 :: v_dual_fma_f32 v91, v212, v112, -v91
	v_dual_mul_f32 v101, v215, v115 :: v_dual_mul_f32 v103, v217, v117
	s_wait_loadcnt 0x17
	v_dual_mul_f32 v109, v222, v123 :: v_dual_mul_f32 v111, v224, v125
	v_dual_mul_f32 v113, v223, v123 :: v_dual_mul_f32 v115, v225, v125
	v_dual_add_f32 v89, 0, v89 :: v_dual_mul_f32 v97, v218, v119
	v_dual_mul_f32 v99, v220, v121 :: v_dual_mul_f32 v105, v219, v119
	s_wait_loadcnt 0x16
	v_dual_mul_f32 v107, v221, v121 :: v_dual_mul_f32 v117, v235, v127
	v_dual_mul_f32 v119, v237, v129 :: v_dual_fma_f32 v101, v214, v114, -v101
	v_dual_fma_f32 v103, v216, v116, -v103 :: v_dual_fmac_f32 v109, v223, v122
	v_dual_fmac_f32 v111, v225, v124 :: v_dual_fma_f32 v113, v222, v122, -v113
	v_fma_f32 v115, v224, v124, -v115
	s_wait_loadcnt_dscnt 0x110b
	s_set_vgpr_msb 1                        ;  msbs: dst=0 src0=1 src1=0 src2=0
	v_mul_f32_e32 v124, v11 /*v267*/, v147
	s_set_vgpr_msb 0                        ;  msbs: dst=0 src0=0 src1=0 src2=0
	v_add_f32_e32 v89, v89, v91
	v_dual_mul_f32 v121, v238, v131 :: v_dual_mul_f32 v123, v240, v133
	v_dual_fmac_f32 v85, v211, v110 :: v_dual_fmac_f32 v87, v213, v112
	s_delay_alu instid0(VALU_DEP_2) | instskip(SKIP_3) | instid1(VALU_DEP_4)
	v_dual_add_f32 v89, v89, v101 :: v_dual_fmac_f32 v121, v239, v130
	v_dual_fmac_f32 v93, v215, v114 :: v_dual_fmac_f32 v95, v217, v116
	v_dual_mul_f32 v114, v239, v131 :: v_dual_mul_f32 v116, v241, v133
	v_dual_fmac_f32 v99, v221, v120 :: v_dual_fma_f32 v105, v218, v118, -v105
	v_add_f32_e32 v89, v89, v103
	v_dual_mul_f32 v110, v234, v127 :: v_dual_mul_f32 v112, v236, v129
	v_dual_mul_f32 v129, v251, v135 :: v_dual_mul_f32 v131, v253, v137
	v_dual_fma_f32 v107, v220, v120, -v107 :: v_dual_add_f32 v85, 0, v85
	s_wait_loadcnt_dscnt 0x100a
	s_set_vgpr_msb 1                        ;  msbs: dst=0 src0=1 src1=0 src2=0
	v_mul_f32_e32 v122, v14 /*v270*/, v151
	s_set_vgpr_msb 0                        ;  msbs: dst=0 src0=0 src1=0 src2=0
	v_dual_add_f32 v89, v89, v105 :: v_dual_mul_f32 v133, v254, v139
	v_fmac_f32_e32 v97, v219, v118
	v_mul_f32_e32 v118, v255, v139
	v_dual_add_f32 v85, v85, v87 :: v_dual_fmac_f32 v110, v235, v126
	s_delay_alu instid0(VALU_DEP_4)
	v_dual_add_f32 v89, v89, v107 :: v_dual_fmac_f32 v133, v255, v138
	s_wait_loadcnt_dscnt 0xf09
	s_set_vgpr_msb 1                        ;  msbs: dst=0 src0=1 src1=0 src2=0
	v_mul_f32_e32 v101, v20 /*v276*/, v157
	s_set_vgpr_msb 0                        ;  msbs: dst=0 src0=0 src1=0 src2=0
	v_add_f32_e32 v85, v85, v93
	s_set_vgpr_msb 1                        ;  msbs: dst=0 src0=1 src1=0 src2=0
	v_mul_f32_e32 v93, v18 /*v274*/, v155
	s_set_vgpr_msb 0                        ;  msbs: dst=0 src0=0 src1=0 src2=0
	v_add_f32_e32 v89, v89, v113
	s_wait_loadcnt_dscnt 0xb05
	s_set_vgpr_msb 1                        ;  msbs: dst=0 src0=1 src1=0 src2=0
	v_dual_mul_f32 v211, v34 /*v290*/, v171 :: v_dual_mul_f32 v107, v21 /*v277*/, v157
	s_set_vgpr_msb 0                        ;  msbs: dst=0 src0=0 src1=0 src2=0
	v_dual_add_f32 v85, v85, v95 :: v_dual_fma_f32 v113, v234, v126, -v117
	v_add_f32_e32 v89, v89, v115
	v_dual_mul_f32 v125, v250, v135 :: v_dual_mul_f32 v127, v252, v137
	s_set_vgpr_msb 1                        ;  msbs: dst=0 src0=1 src1=0 src2=0
	v_dual_fmac_f32 v101, v21 /*v277*/, v156 :: v_dual_fma_f32 v107, v20 /*v276*/, v156, -v107
	s_set_vgpr_msb 0                        ;  msbs: dst=0 src0=0 src1=0 src2=0
	v_dual_add_f32 v89, v89, v113 :: v_dual_fma_f32 v113, v238, v130, -v114
	v_dual_add_f32 v85, v85, v97 :: v_dual_fmac_f32 v125, v251, v134
	v_fmac_f32_e32 v112, v237, v128
	v_fmac_f32_e32 v123, v241, v132
	;; [unrolled: 1-line block ×3, first 2 shown]
	s_delay_alu instid0(VALU_DEP_4)
	v_add_f32_e32 v85, v85, v99
	s_set_vgpr_msb 1                        ;  msbs: dst=0 src0=1 src1=0 src2=0
	v_dual_mul_f32 v99, v19 /*v275*/, v155 :: v_dual_mul_f32 v155, v36 /*v292*/, v173
	v_dual_fmac_f32 v93, v19 /*v275*/, v154 :: v_dual_mul_f32 v135, v0 /*v256*/, v141
	v_mul_f32_e32 v120, v1 /*v257*/, v141
	s_set_vgpr_msb 0                        ;  msbs: dst=0 src0=0 src1=0 src2=0
	v_add_f32_e32 v85, v85, v109
	s_set_vgpr_msb 1                        ;  msbs: dst=0 src0=1 src1=0 src2=0
	v_fma_f32 v99, v18 /*v274*/, v154, -v99
	v_dual_mul_f32 v137, v6 /*v262*/, v143 :: v_dual_mul_f32 v139, v8 /*v264*/, v145
	v_fmac_f32_e32 v135, v1 /*v257*/, v140
	s_set_vgpr_msb 0                        ;  msbs: dst=0 src0=0 src1=0 src2=0
	v_add_f32_e32 v85, v85, v111
	s_set_vgpr_msb 1                        ;  msbs: dst=0 src0=1 src1=0 src2=0
	v_dual_mul_f32 v141, v7 /*v263*/, v143 :: v_dual_mul_f32 v143, v9 /*v265*/, v145
	v_dual_fmac_f32 v137, v7 /*v263*/, v142 :: v_dual_fmac_f32 v139, v9 /*v265*/, v144
	s_set_vgpr_msb 0                        ;  msbs: dst=0 src0=0 src1=0 src2=0
	v_add_f32_e32 v85, v85, v110
	s_set_vgpr_msb 1                        ;  msbs: dst=0 src0=1 src1=0 src2=0
	v_dual_mul_f32 v145, v10 /*v266*/, v147 :: v_dual_mul_f32 v210, v12 /*v268*/, v149
	v_dual_mul_f32 v147, v13 /*v269*/, v149 :: v_dual_mul_f32 v91, v15 /*v271*/, v151
	s_set_vgpr_msb 0                        ;  msbs: dst=0 src0=0 src1=0 src2=0
	v_add_f32_e32 v85, v85, v112
	s_set_vgpr_msb 1                        ;  msbs: dst=0 src0=1 src1=0 src2=0
	v_dual_fmac_f32 v145, v11 /*v267*/, v146 :: v_dual_fmac_f32 v210, v13 /*v269*/, v148
	v_dual_mul_f32 v87, v16 /*v272*/, v153 :: v_dual_mul_f32 v149, v17 /*v273*/, v153
	s_set_vgpr_msb 0                        ;  msbs: dst=0 src0=0 src1=0 src2=0
	v_add_f32_e32 v85, v85, v121
	s_set_vgpr_msb 1                        ;  msbs: dst=0 src0=1 src1=0 src2=0
	v_dual_fmac_f32 v122, v15 /*v271*/, v150 :: v_dual_mul_f32 v151, v22 /*v278*/, v159
	v_dual_mul_f32 v95, v24 /*v280*/, v161 :: v_dual_fmac_f32 v87, v17 /*v273*/, v152
	s_set_vgpr_msb 0                        ;  msbs: dst=0 src0=0 src1=0 src2=0
	v_add_f32_e32 v85, v85, v123
	s_set_vgpr_msb 1                        ;  msbs: dst=0 src0=1 src1=0 src2=0
	v_dual_mul_f32 v103, v26 /*v282*/, v163 :: v_dual_mul_f32 v153, v28 /*v284*/, v165
	v_fmac_f32_e32 v151, v23 /*v279*/, v158
	v_fmac_f32_e32 v95, v25 /*v281*/, v160
	s_set_vgpr_msb 0                        ;  msbs: dst=0 src0=0 src1=0 src2=0
	v_dual_add_f32 v85, v85, v125 :: v_dual_fma_f32 v111, v236, v128, -v119
	s_set_vgpr_msb 1                        ;  msbs: dst=0 src0=1 src1=0 src2=0
	v_dual_fmac_f32 v103, v27 /*v283*/, v162 :: v_dual_mul_f32 v97, v30 /*v286*/, v167
	v_mul_f32_e32 v105, v32 /*v288*/, v169
	s_set_vgpr_msb 0                        ;  msbs: dst=0 src0=0 src1=0 src2=0
	v_add_f32_e32 v85, v85, v127
	s_wait_loadcnt_dscnt 0xa04
	s_set_vgpr_msb 1                        ;  msbs: dst=0 src0=1 src1=0 src2=0
	v_dual_fmac_f32 v153, v29 /*v285*/, v164 :: v_dual_mul_f32 v109, v38 /*v294*/, v175
	v_dual_mul_f32 v157, v40 /*v296*/, v177 :: v_dual_fmac_f32 v97, v31 /*v287*/, v166
	s_set_vgpr_msb 0                        ;  msbs: dst=0 src0=0 src1=0 src2=0
	v_dual_add_f32 v85, v85, v133 :: v_dual_fma_f32 v112, v250, v134, -v129
	s_wait_loadcnt 0x6
	v_mul_f32_e32 v123, v226, v191
	s_wait_dscnt 0x2
	s_set_vgpr_msb 1                        ;  msbs: dst=0 src0=1 src1=0 src2=0
	v_dual_mul_f32 v114, v46 /*v302*/, v183 :: v_dual_fmac_f32 v105, v33 /*v289*/, v168
	s_set_vgpr_msb 0                        ;  msbs: dst=0 src0=0 src1=0 src2=0
	v_add_f32_e32 v85, v85, v135
	s_set_vgpr_msb 1                        ;  msbs: dst=0 src0=1 src1=0 src2=0
	v_dual_fmac_f32 v109, v39 /*v295*/, v174 :: v_dual_mul_f32 v115, v42 /*v298*/, v179
	s_wait_dscnt 0x1
	v_dual_mul_f32 v110, v44 /*v300*/, v181 :: v_dual_mul_f32 v117, v50 /*v306*/, v187
	v_mul_f32_e32 v121, v52 /*v308*/, v189
	s_set_vgpr_msb 0                        ;  msbs: dst=0 src0=0 src1=0 src2=0
	v_add_f32_e32 v85, v85, v137
	s_set_vgpr_msb 1                        ;  msbs: dst=0 src0=1 src1=0 src2=0
	v_dual_fmac_f32 v115, v43 /*v299*/, v178 :: v_dual_fmac_f32 v110, v45 /*v301*/, v180
	v_fmac_f32_e32 v117, v51 /*v307*/, v186
	v_fmac_f32_e32 v121, v53 /*v309*/, v188
	s_set_vgpr_msb 0                        ;  msbs: dst=0 src0=0 src1=0 src2=0
	v_dual_add_f32 v85, v85, v139 :: v_dual_fmac_f32 v123, v227, v190
	s_set_vgpr_msb 1                        ;  msbs: dst=0 src0=1 src1=0 src2=0
	v_dual_fma_f32 v119, v10 /*v266*/, v146, -v124 :: v_dual_fma_f32 v124, v16 /*v272*/, v152, -v149
	v_fma_f32 v91, v14 /*v270*/, v150, -v91
	s_set_vgpr_msb 0                        ;  msbs: dst=0 src0=0 src1=0 src2=0
	v_add_f32_e32 v85, v85, v145
	s_set_vgpr_msb 1                        ;  msbs: dst=0 src0=1 src1=0 src2=0
	v_fmac_f32_e32 v211, v35 /*v291*/, v170
	s_set_vgpr_msb 0                        ;  msbs: dst=0 src0=0 src1=0 src2=0
	s_delay_alu instid0(VALU_DEP_2) | instskip(NEXT) | instid1(VALU_DEP_1)
	v_add_f32_e32 v85, v85, v210
	v_add_f32_e32 v85, v85, v122
	s_delay_alu instid0(VALU_DEP_1) | instskip(NEXT) | instid1(VALU_DEP_1)
	v_add_f32_e32 v85, v85, v87
	v_add_f32_e32 v85, v85, v93
	s_set_vgpr_msb 1                        ;  msbs: dst=0 src0=1 src1=0 src2=0
	v_mul_f32_e32 v93, v35 /*v291*/, v171
	s_set_vgpr_msb 0                        ;  msbs: dst=0 src0=0 src1=0 src2=0
	s_delay_alu instid0(VALU_DEP_2) | instskip(SKIP_1) | instid1(VALU_DEP_2)
	v_add_f32_e32 v85, v85, v101
	s_set_vgpr_msb 1                        ;  msbs: dst=0 src0=1 src1=0 src2=0
	v_dual_mul_f32 v101, v37 /*v293*/, v173 :: v_dual_fma_f32 v93, v34 /*v290*/, v170, -v93
	s_set_vgpr_msb 0                        ;  msbs: dst=0 src0=0 src1=0 src2=0
	v_dual_add_f32 v89, v89, v111 :: v_dual_fma_f32 v111, v240, v132, -v116
	v_add_f32_e32 v85, v85, v151
	s_set_vgpr_msb 1                        ;  msbs: dst=0 src0=1 src1=0 src2=0
	v_dual_fmac_f32 v155, v37 /*v293*/, v172 :: v_dual_mul_f32 v116, v48 /*v304*/, v185
	s_set_vgpr_msb 0                        ;  msbs: dst=0 src0=0 src1=0 src2=0
	v_add_f32_e32 v89, v89, v113
	s_set_vgpr_msb 1                        ;  msbs: dst=0 src0=1 src1=0 src2=0
	v_fma_f32 v113, v0 /*v256*/, v140, -v120
	s_set_vgpr_msb 0                        ;  msbs: dst=0 src0=0 src1=0 src2=0
	v_add_f32_e32 v85, v85, v95
	s_set_vgpr_msb 1                        ;  msbs: dst=0 src0=1 src1=0 src2=0
	v_dual_mul_f32 v95, v41 /*v297*/, v177 :: v_dual_fmac_f32 v157, v41 /*v297*/, v176
	v_fma_f32 v120, v12 /*v268*/, v148, -v147
	v_fmac_f32_e32 v116, v49 /*v305*/, v184
	s_set_vgpr_msb 0                        ;  msbs: dst=0 src0=0 src1=0 src2=0
	v_add_f32_e32 v85, v85, v103
	s_set_vgpr_msb 1                        ;  msbs: dst=0 src0=1 src1=0 src2=0
	v_dual_fma_f32 v95, v40 /*v296*/, v176, -v95 :: v_dual_fmac_f32 v114, v47 /*v303*/, v182
	s_set_vgpr_msb 0                        ;  msbs: dst=0 src0=0 src1=0 src2=0
	s_delay_alu instid0(VALU_DEP_2) | instskip(NEXT) | instid1(VALU_DEP_1)
	v_add_f32_e32 v85, v85, v153
	v_add_f32_e32 v85, v85, v97
	s_set_vgpr_msb 1                        ;  msbs: dst=0 src0=1 src1=0 src2=0
	v_fma_f32 v97, v36 /*v292*/, v172, -v101
	s_set_vgpr_msb 0                        ;  msbs: dst=0 src0=0 src1=0 src2=0
	v_dual_add_f32 v89, v89, v111 :: v_dual_fma_f32 v111, v252, v136, -v131
	s_delay_alu instid0(VALU_DEP_1) | instskip(SKIP_3) | instid1(VALU_DEP_2)
	v_dual_add_f32 v89, v89, v112 :: v_dual_fma_f32 v112, v254, v138, -v118
	s_set_vgpr_msb 1                        ;  msbs: dst=0 src0=1 src1=0 src2=0
	v_fma_f32 v118, v8 /*v264*/, v144, -v143
	s_set_vgpr_msb 0                        ;  msbs: dst=0 src0=0 src1=0 src2=0
	v_dual_add_f32 v89, v89, v111 :: v_dual_mul_f32 v111, v228, v193
	s_delay_alu instid0(VALU_DEP_1)
	v_add_f32_e32 v89, v89, v112
	s_set_vgpr_msb 1                        ;  msbs: dst=0 src0=1 src1=0 src2=0
	v_fma_f32 v112, v6 /*v262*/, v142, -v141
	s_set_vgpr_msb 0                        ;  msbs: dst=0 src0=0 src1=0 src2=0
	v_fmac_f32_e32 v111, v229, v192
	s_wait_loadcnt 0x5
	v_dual_add_f32 v89, v89, v113 :: v_dual_mul_f32 v113, v230, v195
	s_delay_alu instid0(VALU_DEP_1) | instskip(SKIP_3) | instid1(VALU_DEP_2)
	v_add_f32_e32 v89, v89, v112
	s_set_vgpr_msb 1                        ;  msbs: dst=0 src0=1 src1=0 src2=0
	v_mul_f32_e32 v112, v23 /*v279*/, v159
	s_set_vgpr_msb 0                        ;  msbs: dst=0 src0=0 src1=0 src2=0
	v_add_f32_e32 v89, v89, v118
	s_set_vgpr_msb 1                        ;  msbs: dst=0 src0=1 src1=0 src2=0
	v_mul_f32_e32 v118, v25 /*v281*/, v161
	s_set_vgpr_msb 0                        ;  msbs: dst=0 src0=0 src1=0 src2=0
	s_delay_alu instid0(VALU_DEP_2) | instskip(SKIP_3) | instid1(VALU_DEP_2)
	v_add_f32_e32 v89, v89, v119
	s_set_vgpr_msb 1                        ;  msbs: dst=0 src0=1 src1=0 src2=0
	v_mul_f32_e32 v119, v27 /*v283*/, v163
	s_set_vgpr_msb 0                        ;  msbs: dst=0 src0=0 src1=0 src2=0
	v_add_f32_e32 v89, v89, v120
	s_set_vgpr_msb 1                        ;  msbs: dst=0 src0=1 src1=0 src2=0
	v_mul_f32_e32 v120, v29 /*v285*/, v165
	s_set_vgpr_msb 0                        ;  msbs: dst=0 src0=0 src1=0 src2=0
	s_delay_alu instid0(VALU_DEP_2) | instskip(SKIP_3) | instid1(VALU_DEP_2)
	v_add_f32_e32 v89, v89, v91
	s_set_vgpr_msb 1                        ;  msbs: dst=0 src0=1 src1=0 src2=0
	v_mul_f32_e32 v91, v31 /*v287*/, v167
	s_set_vgpr_msb 0                        ;  msbs: dst=0 src0=0 src1=0 src2=0
	v_add_f32_e32 v87, v89, v124
	s_set_vgpr_msb 1                        ;  msbs: dst=0 src0=1 src1=0 src2=0
	v_dual_mul_f32 v89, v33 /*v289*/, v169 :: v_dual_mul_f32 v103, v43 /*v299*/, v179
	v_fma_f32 v91, v30 /*v286*/, v166, -v91
	s_wait_loadcnt 0x3
	s_set_vgpr_msb 0                        ;  msbs: dst=0 src0=0 src1=0 src2=0
	v_dual_mov_b32 v124, v205 :: v_dual_add_f32 v87, v87, v99
	s_set_vgpr_msb 1                        ;  msbs: dst=0 src0=1 src1=0 src2=0
	v_fma_f32 v99, v22 /*v278*/, v158, -v112
	v_dual_fma_f32 v112, v26 /*v282*/, v162, -v119 :: v_dual_fma_f32 v89, v32 /*v288*/, v168, -v89
	v_fma_f32 v101, v42 /*v298*/, v178, -v103
	s_set_vgpr_msb 0                        ;  msbs: dst=0 src0=0 src1=0 src2=0
	v_add_f32_e32 v87, v87, v107
	s_set_vgpr_msb 1                        ;  msbs: dst=0 src0=1 src1=0 src2=0
	v_fma_f32 v107, v24 /*v280*/, v160, -v118
	s_set_vgpr_msb 0                        ;  msbs: dst=0 src0=0 src1=0 src2=0
	v_pk_mul_f32 v[118:119], v[246:247], v[202:203] op_sel:[1,1] op_sel_hi:[0,1]
	v_add_f32_e32 v87, v87, v99
	s_set_vgpr_msb 1                        ;  msbs: dst=0 src0=1 src1=0 src2=0
	v_mul_f32_e32 v99, v39 /*v295*/, v175
	s_set_vgpr_msb 0                        ;  msbs: dst=0 src0=0 src1=0 src2=0
	s_delay_alu instid0(VALU_DEP_2) | instskip(SKIP_1) | instid1(VALU_DEP_2)
	v_add_f32_e32 v87, v87, v107
	s_set_vgpr_msb 1                        ;  msbs: dst=0 src0=1 src1=0 src2=0
	v_dual_fma_f32 v107, v28 /*v284*/, v164, -v120 :: v_dual_fma_f32 v99, v38 /*v294*/, v174, -v99
	s_set_vgpr_msb 0                        ;  msbs: dst=0 src0=0 src1=0 src2=0
	s_delay_alu instid0(VALU_DEP_2) | instskip(NEXT) | instid1(VALU_DEP_1)
	v_dual_add_f32 v87, v87, v112 :: v_dual_mov_b32 v112, v197
	v_add_f32_e32 v87, v87, v107
	s_set_vgpr_msb 1                        ;  msbs: dst=0 src0=1 src1=0 src2=0
	v_mul_f32_e32 v107, v45 /*v301*/, v181
	s_set_vgpr_msb 0                        ;  msbs: dst=0 src0=0 src1=0 src2=0
	s_delay_alu instid0(VALU_DEP_2) | instskip(SKIP_1) | instid1(VALU_DEP_2)
	v_add_f32_e32 v87, v87, v91
	s_set_vgpr_msb 1                        ;  msbs: dst=0 src0=1 src1=0 src2=0
	v_dual_fma_f32 v103, v44 /*v300*/, v180, -v107 :: v_dual_mul_f32 v91, v47 /*v303*/, v183
	s_set_vgpr_msb 0                        ;  msbs: dst=0 src0=0 src1=0 src2=0
	s_delay_alu instid0(VALU_DEP_2) | instskip(SKIP_1) | instid1(VALU_DEP_2)
	v_dual_ashrrev_i32 v107, 31, v106 :: v_dual_add_f32 v87, v87, v89
	s_set_vgpr_msb 1                        ;  msbs: dst=0 src0=1 src1=0 src2=0
	v_dual_mul_f32 v89, v49 /*v305*/, v185 :: v_dual_fma_f32 v91, v46 /*v302*/, v182, -v91
	s_set_vgpr_msb 0                        ;  msbs: dst=0 src0=0 src1=0 src2=0
	s_delay_alu instid0(VALU_DEP_2) | instskip(SKIP_1) | instid1(VALU_DEP_2)
	v_add_f32_e32 v87, v87, v93
	s_set_vgpr_msb 1                        ;  msbs: dst=0 src0=1 src1=0 src2=0
	v_dual_mul_f32 v93, v51 /*v307*/, v187 :: v_dual_fma_f32 v89, v48 /*v304*/, v184, -v89
	s_set_vgpr_msb 0                        ;  msbs: dst=0 src0=0 src1=0 src2=0
	s_delay_alu instid0(VALU_DEP_2) | instskip(SKIP_3) | instid1(VALU_DEP_2)
	v_add_f32_e32 v87, v87, v97
	s_set_vgpr_msb 1                        ;  msbs: dst=0 src0=1 src1=0 src2=0
	v_mul_f32_e32 v97, v53 /*v309*/, v189
	s_set_vgpr_msb 0                        ;  msbs: dst=0 src0=0 src1=0 src2=0
	v_add_f32_e32 v87, v87, v99
	v_mul_f32_e32 v99, v227, v191
	s_delay_alu instid0(VALU_DEP_2) | instskip(NEXT) | instid1(VALU_DEP_1)
	v_dual_add_f32 v87, v87, v95 :: v_dual_mul_f32 v95, v229, v193
	v_add_f32_e32 v87, v87, v101
	v_mul_f32_e32 v101, v231, v195
	s_delay_alu instid0(VALU_DEP_2) | instskip(SKIP_1) | instid1(VALU_DEP_2)
	v_dual_add_f32 v87, v87, v103 :: v_dual_ashrrev_i32 v103, 31, v102
	v_dual_add_f32 v85, v85, v105 :: v_dual_ashrrev_i32 v105, 31, v104
	v_add_f32_e32 v87, v87, v91
	s_set_vgpr_msb 1                        ;  msbs: dst=0 src0=1 src1=0 src2=0
	v_fma_f32 v91, v50 /*v306*/, v186, -v93
	s_set_vgpr_msb 0                        ;  msbs: dst=0 src0=0 src1=0 src2=0
	v_dual_add_f32 v85, v85, v211 :: v_dual_ashrrev_i32 v93, 31, v92
	v_add_f32_e32 v87, v87, v89
	s_set_vgpr_msb 1                        ;  msbs: dst=0 src0=1 src1=0 src2=0
	v_fma_f32 v89, v52 /*v308*/, v188, -v97
	s_set_vgpr_msb 0                        ;  msbs: dst=0 src0=0 src1=0 src2=0
	v_dual_add_f32 v85, v85, v155 :: v_dual_ashrrev_i32 v97, 31, v96
	v_dual_add_f32 v87, v87, v91 :: v_dual_fma_f32 v91, v226, v190, -v99
	s_delay_alu instid0(VALU_DEP_2) | instskip(NEXT) | instid1(VALU_DEP_2)
	v_dual_add_f32 v85, v85, v109 :: v_dual_ashrrev_i32 v99, 31, v98
	v_dual_add_f32 v87, v87, v89 :: v_dual_ashrrev_i32 v89, 31, v88
	s_delay_alu instid0(VALU_DEP_1) | instskip(NEXT) | instid1(VALU_DEP_1)
	v_dual_add_f32 v85, v85, v157 :: v_dual_add_f32 v122, v87, v91
	v_dual_ashrrev_i32 v87, 31, v86 :: v_dual_add_f32 v85, v85, v115
	v_ashrrev_i32_e32 v91, 31, v90
	s_delay_alu instid0(VALU_DEP_2) | instskip(SKIP_1) | instid1(VALU_DEP_2)
	v_dual_add_f32 v85, v85, v110 :: v_dual_fma_f32 v110, v228, v192, -v95
	v_ashrrev_i32_e32 v95, 31, v94
	v_add_f32_e32 v85, v85, v114
	v_pk_mul_f32 v[114:115], v[242:243], v[198:199] op_sel:[1,1] op_sel_hi:[0,1]
	s_delay_alu instid0(VALU_DEP_2) | instskip(SKIP_1) | instid1(VALU_DEP_2)
	v_add_f32_e32 v85, v85, v116
	v_mov_b32_e32 v116, v201
	v_add_f32_e32 v85, v85, v117
	s_delay_alu instid0(VALU_DEP_1)
	v_add_f32_e32 v85, v85, v121
	s_set_vgpr_msb 1                        ;  msbs: dst=0 src0=1 src1=0 src2=0
	v_pk_mul_f32 v[120:121], v[60:61] /*v[316:317]*/, v[112:113] op_sel_hi:[1,0]
	s_set_vgpr_msb 0                        ;  msbs: dst=0 src0=0 src1=0 src2=0
	v_fmac_f32_e32 v113, v231, v194
	v_dual_fma_f32 v112, v230, v194, -v101 :: v_dual_ashrrev_i32 v101, 31, v100
	v_add_f32_e32 v123, v85, v123
	v_pk_fma_f32 v[126:127], v[232:233], v[196:197], v[120:121] op_sel_hi:[1,0,1]
	v_pk_fma_f32 v[120:121], v[232:233], v[196:197], v[120:121] neg_lo:[0,0,1] neg_hi:[0,0,1]
	v_ashrrev_i32_e32 v85, 31, v84
	s_set_vgpr_msb 1                        ;  msbs: dst=0 src0=1 src1=0 src2=0
	v_pk_mul_f32 v[116:117], v[62:63] /*v[318:319]*/, v[116:117] op_sel_hi:[1,0]
	s_set_vgpr_msb 0                        ;  msbs: dst=0 src0=0 src1=0 src2=0
	v_pk_add_f32 v[110:111], v[122:123], v[110:111]
	v_pk_fma_f32 v[122:123], v[242:243], v[198:199], v[114:115] op_sel_hi:[1,0,1]
	v_mov_b32_e32 v121, v127
	v_pk_fma_f32 v[114:115], v[242:243], v[198:199], v[114:115] neg_lo:[0,0,1] neg_hi:[0,0,1]
	s_delay_alu instid0(VALU_DEP_4) | instskip(NEXT) | instid1(VALU_DEP_4)
	v_pk_add_f32 v[110:111], v[110:111], v[112:113]
	v_mov_b32_e32 v115, v123
	v_pk_fma_f32 v[122:123], v[244:245], v[200:201], v[116:117] op_sel_hi:[1,0,1]
	v_pk_fma_f32 v[116:117], v[244:245], v[200:201], v[116:117] neg_lo:[0,0,1] neg_hi:[0,0,1]
	s_wait_loadcnt 0x2
	s_set_vgpr_msb 1                        ;  msbs: dst=0 src0=1 src1=0 src2=0
	v_pk_mul_f32 v[112:113], v[2:3] /*v[258:259]*/, v[206:207] op_sel:[1,1] op_sel_hi:[0,1]
	s_set_vgpr_msb 0                        ;  msbs: dst=0 src0=0 src1=0 src2=0
	v_pk_add_f32 v[110:111], v[110:111], v[120:121]
	v_pk_fma_f32 v[120:121], v[246:247], v[202:203], v[118:119] op_sel_hi:[1,0,1]
	v_mov_b32_e32 v117, v123
	v_pk_fma_f32 v[118:119], v[246:247], v[202:203], v[118:119] neg_lo:[0,0,1] neg_hi:[0,0,1]
	s_delay_alu instid0(VALU_DEP_4)
	v_pk_add_f32 v[110:111], v[110:111], v[114:115]
	v_mov_b32_e32 v114, v209
	s_set_vgpr_msb 1                        ;  msbs: dst=0 src0=1 src1=0 src2=0
	v_pk_mul_f32 v[124:125], v[64:65] /*v[320:321]*/, v[124:125] op_sel_hi:[1,0]
	s_set_vgpr_msb 0                        ;  msbs: dst=0 src0=0 src1=0 src2=0
	v_mov_b32_e32 v119, v121
	v_pk_add_f32 v[110:111], v[110:111], v[116:117]
	s_set_vgpr_msb 1                        ;  msbs: dst=0 src0=1 src1=0 src2=0
	v_pk_fma_f32 v[116:117], v[2:3] /*v[258:259]*/, v[206:207], v[112:113] op_sel_hi:[1,0,1]
	s_set_vgpr_msb 0                        ;  msbs: dst=0 src0=0 src1=0 src2=0
	v_pk_fma_f32 v[120:121], v[248:249], v[204:205], v[124:125] op_sel_hi:[1,0,1]
	v_pk_fma_f32 v[122:123], v[248:249], v[204:205], v[124:125] neg_lo:[0,0,1] neg_hi:[0,0,1]
	s_set_vgpr_msb 1                        ;  msbs: dst=0 src0=1 src1=0 src2=0
	v_pk_mul_f32 v[114:115], v[66:67] /*v[322:323]*/, v[114:115] op_sel_hi:[1,0]
	v_pk_fma_f32 v[112:113], v[2:3] /*v[258:259]*/, v[206:207], v[112:113] neg_lo:[0,0,1] neg_hi:[0,0,1]
	s_set_vgpr_msb 0                        ;  msbs: dst=0 src0=0 src1=0 src2=0
	v_dual_mov_b32 v113, v117 :: v_dual_mov_b32 v123, v121
	v_pk_add_f32 v[110:111], v[110:111], v[118:119]
	s_set_vgpr_msb 1                        ;  msbs: dst=0 src0=1 src1=0 src2=0
	v_pk_fma_f32 v[116:117], v[4:5] /*v[260:261]*/, v[208:209], v[114:115] op_sel_hi:[1,0,1]
	s_wait_loadcnt_dscnt 0x100
	s_set_vgpr_msb 5                        ;  msbs: dst=0 src0=1 src1=1 src2=0
	v_pk_mul_f32 v[118:119], v[58:59] /*v[314:315]*/, v[54:55] /*v[310:311]*/ op_sel:[1,1] op_sel_hi:[0,1]
	s_set_vgpr_msb 1                        ;  msbs: dst=0 src0=1 src1=0 src2=0
	v_pk_fma_f32 v[114:115], v[4:5] /*v[260:261]*/, v[208:209], v[114:115] neg_lo:[0,0,1] neg_hi:[0,0,1]
	s_set_vgpr_msb 0                        ;  msbs: dst=0 src0=0 src1=0 src2=0
	v_pk_add_f32 v[110:111], v[110:111], v[122:123]
	v_mov_b32_e32 v115, v117
	s_set_vgpr_msb 5                        ;  msbs: dst=0 src0=1 src1=1 src2=0
	v_pk_fma_f32 v[116:117], v[58:59] /*v[314:315]*/, v[54:55] /*v[310:311]*/, v[118:119] neg_lo:[0,0,1] neg_hi:[0,0,1]
	s_set_vgpr_msb 0                        ;  msbs: dst=0 src0=0 src1=0 src2=0
	v_pk_add_f32 v[110:111], v[110:111], v[112:113]
	s_set_vgpr_msb 5                        ;  msbs: dst=0 src0=1 src1=1 src2=0
	v_pk_fma_f32 v[112:113], v[58:59] /*v[314:315]*/, v[54:55] /*v[310:311]*/, v[118:119] op_sel_hi:[1,0,1]
	s_set_vgpr_msb 0                        ;  msbs: dst=0 src0=0 src1=0 src2=0
	s_delay_alu instid0(VALU_DEP_2) | instskip(NEXT) | instid1(VALU_DEP_2)
	v_pk_add_f32 v[110:111], v[110:111], v[114:115]
	v_mov_b32_e32 v117, v113
	s_delay_alu instid0(VALU_DEP_1) | instskip(SKIP_2) | instid1(VALU_DEP_1)
	v_pk_add_f32 v[110:111], v[110:111], v[116:117]
	s_wait_loadcnt 0x0
	s_set_vgpr_msb 1                        ;  msbs: dst=0 src0=1 src1=0 src2=0
	v_pk_add_f32 v[110:111], v[56:57] /*v[312:313]*/, v[110:111] neg_lo:[0,1] neg_hi:[0,1]
	scratch_store_b64 off, v[110:111], off offset:8
	s_wait_xcnt 0x0
	v_cmpx_ne_u32_e32 0, v0
	s_set_vgpr_msb 0                        ;  msbs: dst=0 src0=0 src1=0 src2=0
	s_cbranch_execz .LBB52_331
; %bb.330:
	scratch_load_b64 v[110:111], off, off
	v_mov_b64_e32 v[112:113], 0
	scratch_store_b64 off, v[112:113], off
	s_wait_loadcnt 0x0
	ds_store_b64 v1, v[110:111]
.LBB52_331:
	s_wait_xcnt 0x0
	s_or_b32 exec_lo, exec_lo, s0
	s_wait_storecnt_dscnt 0x0
	s_barrier_signal -1
	s_barrier_wait -1
	s_clause 0xf
	scratch_load_b128 v[114:117], off, off offset:8
	scratch_load_b128 v[122:125], off, off offset:24
	;; [unrolled: 1-line block ×16, first 2 shown]
	ds_load_2addr_b64 v[110:113], v108 offset0:55 offset1:56
	ds_load_2addr_b64 v[118:121], v108 offset0:57 offset1:58
	s_clause 0x1
	scratch_load_b128 v[242:245], off, off offset:264
	scratch_load_b128 v[250:253], off, off offset:280
	ds_load_2addr_b64 v[126:129], v108 offset0:59 offset1:60
	ds_load_2addr_b64 v[134:137], v108 offset0:61 offset1:62
	s_set_vgpr_msb 64                       ;  msbs: dst=1 src0=0 src1=0 src2=0
	s_clause 0x1
	scratch_load_b128 v[2:5] /*v[258:261]*/, off, off offset:296
	scratch_load_b128 v[10:13] /*v[266:269]*/, off, off offset:312
	s_set_vgpr_msb 0                        ;  msbs: dst=0 src0=0 src1=0 src2=0
	ds_load_2addr_b64 v[142:145], v108 offset0:63 offset1:64
	ds_load_2addr_b64 v[150:153], v108 offset0:65 offset1:66
	s_set_vgpr_msb 64                       ;  msbs: dst=1 src0=0 src1=0 src2=0
	s_clause 0x1
	scratch_load_b128 v[18:21] /*v[274:277]*/, off, off offset:328
	scratch_load_b128 v[26:29] /*v[282:285]*/, off, off offset:344
	s_set_vgpr_msb 0                        ;  msbs: dst=0 src0=0 src1=0 src2=0
	ds_load_2addr_b64 v[158:161], v108 offset0:67 offset1:68
	ds_load_2addr_b64 v[166:169], v108 offset0:69 offset1:70
	;; [unrolled: 1-line block ×13, first 2 shown]
	s_set_vgpr_msb 64                       ;  msbs: dst=1 src0=0 src1=0 src2=0
	ds_load_2addr_b64 v[6:9] /*v[262:265]*/, v108 offset0:93 offset1:94
	ds_load_2addr_b64 v[14:17] /*v[270:273]*/, v108 offset0:95 offset1:96
	;; [unrolled: 1-line block ×3, first 2 shown]
	s_clause 0x3
	scratch_load_b128 v[30:33] /*v[286:289]*/, off, off offset:360
	scratch_load_b128 v[34:37] /*v[290:293]*/, off, off offset:376
	;; [unrolled: 1-line block ×4, first 2 shown]
	s_and_b32 vcc_lo, exec_lo, s18
	s_wait_loadcnt_dscnt 0x1915
	s_set_vgpr_msb 0                        ;  msbs: dst=0 src0=0 src1=0 src2=0
	v_dual_mul_f32 v0, v110, v115 :: v_dual_mul_f32 v1, v112, v117
	s_delay_alu instid0(VALU_DEP_1) | instskip(NEXT) | instid1(VALU_DEP_2)
	v_dual_mul_f32 v109, v113, v117 :: v_dual_fmac_f32 v0, v111, v114
	v_fmac_f32_e32 v1, v113, v116
	s_delay_alu instid0(VALU_DEP_2) | instskip(NEXT) | instid1(VALU_DEP_3)
	v_fma_f32 v109, v112, v116, -v109
	v_add_f32_e32 v0, 0, v0
	s_wait_loadcnt_dscnt 0x1814
	s_delay_alu instid0(VALU_DEP_1) | instskip(NEXT) | instid1(VALU_DEP_1)
	v_dual_add_f32 v0, v0, v1 :: v_dual_mul_f32 v1, v118, v123
	v_fmac_f32_e32 v1, v119, v122
	s_delay_alu instid0(VALU_DEP_1)
	v_add_f32_e32 v0, v0, v1
	v_mul_f32_e32 v1, v120, v125
	s_wait_loadcnt_dscnt 0x400
	s_set_vgpr_msb 0x45                     ;  msbs: dst=1 src0=1 src1=1 src2=0
	v_dual_mul_f32 v47 /*v303*/, v22 /*v278*/, v27 /*v283*/ :: v_dual_mul_f32 v49 /*v305*/, v24 /*v280*/, v29 /*v285*/
	s_set_vgpr_msb 0                        ;  msbs: dst=0 src0=0 src1=0 src2=0
	v_fmac_f32_e32 v1, v121, v124
	s_set_vgpr_msb 0x45                     ;  msbs: dst=1 src0=1 src1=1 src2=0
	s_delay_alu instid0(VALU_DEP_2) | instskip(SKIP_1) | instid1(VALU_DEP_2)
	v_dual_fmac_f32 v47 /*v303*/, v23 /*v279*/, v26 /*v282*/ :: v_dual_fmac_f32 v49 /*v305*/, v25 /*v281*/, v28 /*v284*/
	s_set_vgpr_msb 0                        ;  msbs: dst=0 src0=0 src1=0 src2=0
	v_dual_add_f32 v0, v0, v1 :: v_dual_mul_f32 v1, v126, v131
	s_delay_alu instid0(VALU_DEP_1) | instskip(NEXT) | instid1(VALU_DEP_1)
	v_fmac_f32_e32 v1, v127, v130
	v_add_f32_e32 v0, v0, v1
	v_mul_f32_e32 v1, v128, v133
	s_delay_alu instid0(VALU_DEP_1) | instskip(NEXT) | instid1(VALU_DEP_1)
	v_fmac_f32_e32 v1, v129, v132
	v_dual_add_f32 v0, v0, v1 :: v_dual_mul_f32 v1, v134, v139
	s_delay_alu instid0(VALU_DEP_1) | instskip(NEXT) | instid1(VALU_DEP_1)
	v_fmac_f32_e32 v1, v135, v138
	v_add_f32_e32 v0, v0, v1
	v_mul_f32_e32 v1, v136, v141
	s_delay_alu instid0(VALU_DEP_1) | instskip(NEXT) | instid1(VALU_DEP_1)
	v_fmac_f32_e32 v1, v137, v140
	;; [unrolled: 7-line block ×16, first 2 shown]
	v_add_f32_e32 v0, v0, v1
	s_set_vgpr_msb 4                        ;  msbs: dst=0 src0=0 src1=1 src2=0
	v_mul_f32_e32 v1, v254, v3 /*v259*/
	s_delay_alu instid0(VALU_DEP_1) | instskip(SKIP_1) | instid1(VALU_DEP_1)
	v_fmac_f32_e32 v1, v255, v2 /*v258*/
	s_set_vgpr_msb 0                        ;  msbs: dst=0 src0=0 src1=0 src2=0
	v_add_f32_e32 v0, v0, v1
	s_set_vgpr_msb 5                        ;  msbs: dst=0 src0=1 src1=1 src2=0
	v_mul_f32_e32 v1, v0 /*v256*/, v5 /*v261*/
	s_delay_alu instid0(VALU_DEP_1) | instskip(SKIP_1) | instid1(VALU_DEP_1)
	v_fmac_f32_e32 v1, v1 /*v257*/, v4 /*v260*/
	s_set_vgpr_msb 0                        ;  msbs: dst=0 src0=0 src1=0 src2=0
	v_add_f32_e32 v0, v0, v1
	s_set_vgpr_msb 5                        ;  msbs: dst=0 src0=1 src1=1 src2=0
	v_mul_f32_e32 v1, v6 /*v262*/, v11 /*v267*/
	s_delay_alu instid0(VALU_DEP_1) | instskip(SKIP_1) | instid1(VALU_DEP_1)
	v_fmac_f32_e32 v1, v7 /*v263*/, v10 /*v266*/
	;; [unrolled: 6-line block ×5, first 2 shown]
	s_set_vgpr_msb 0                        ;  msbs: dst=0 src0=0 src1=0 src2=0
	v_dual_add_f32 v1, v0, v1 :: v_dual_mul_f32 v0, v111, v115
	s_delay_alu instid0(VALU_DEP_1) | instskip(NEXT) | instid1(VALU_DEP_1)
	v_fma_f32 v0, v110, v114, -v0
	v_add_f32_e32 v0, 0, v0
	s_delay_alu instid0(VALU_DEP_1) | instskip(NEXT) | instid1(VALU_DEP_1)
	v_dual_add_f32 v0, v0, v109 :: v_dual_mul_f32 v109, v119, v123
	v_fma_f32 v109, v118, v122, -v109
	s_delay_alu instid0(VALU_DEP_1) | instskip(SKIP_1) | instid1(VALU_DEP_1)
	v_add_f32_e32 v0, v0, v109
	v_mul_f32_e32 v109, v121, v125
	v_fma_f32 v109, v120, v124, -v109
	ds_load_2addr_b64 v[110:113], v108 offset0:99 offset1:100
	ds_load_2addr_b64 v[114:117], v108 offset0:101 offset1:102
	;; [unrolled: 1-line block ×4, first 2 shown]
	v_dual_add_f32 v0, v0, v109 :: v_dual_mul_f32 v109, v127, v131
	s_delay_alu instid0(VALU_DEP_1) | instskip(NEXT) | instid1(VALU_DEP_1)
	v_fma_f32 v109, v126, v130, -v109
	v_add_f32_e32 v0, v0, v109
	v_mul_f32_e32 v109, v129, v133
	s_delay_alu instid0(VALU_DEP_1) | instskip(NEXT) | instid1(VALU_DEP_1)
	v_fma_f32 v109, v128, v132, -v109
	v_dual_add_f32 v0, v0, v109 :: v_dual_mul_f32 v109, v135, v139
	s_delay_alu instid0(VALU_DEP_1) | instskip(NEXT) | instid1(VALU_DEP_1)
	v_fma_f32 v109, v134, v138, -v109
	v_add_f32_e32 v0, v0, v109
	v_mul_f32_e32 v109, v137, v141
	s_delay_alu instid0(VALU_DEP_1) | instskip(NEXT) | instid1(VALU_DEP_1)
	v_fma_f32 v109, v136, v140, -v109
	;; [unrolled: 7-line block ×16, first 2 shown]
	v_add_f32_e32 v0, v0, v109
	s_set_vgpr_msb 4                        ;  msbs: dst=0 src0=0 src1=1 src2=0
	v_mul_f32_e32 v109, v255, v3 /*v259*/
	s_delay_alu instid0(VALU_DEP_1) | instskip(SKIP_1) | instid1(VALU_DEP_1)
	v_fma_f32 v109, v254, v2 /*v258*/, -v109
	s_set_vgpr_msb 0                        ;  msbs: dst=0 src0=0 src1=0 src2=0
	v_add_f32_e32 v0, v0, v109
	s_set_vgpr_msb 5                        ;  msbs: dst=0 src0=1 src1=1 src2=0
	v_mul_f32_e32 v109, v1 /*v257*/, v5 /*v261*/
	s_delay_alu instid0(VALU_DEP_1) | instskip(SKIP_1) | instid1(VALU_DEP_1)
	v_fma_f32 v109, v0 /*v256*/, v4 /*v260*/, -v109
	s_set_vgpr_msb 0                        ;  msbs: dst=0 src0=0 src1=0 src2=0
	v_add_f32_e32 v0, v0, v109
	s_set_vgpr_msb 5                        ;  msbs: dst=0 src0=1 src1=1 src2=0
	v_mul_f32_e32 v109, v7 /*v263*/, v11 /*v267*/
	s_delay_alu instid0(VALU_DEP_1) | instskip(SKIP_1) | instid1(VALU_DEP_1)
	v_fma_f32 v109, v6 /*v262*/, v10 /*v266*/, -v109
	;; [unrolled: 6-line block ×5, first 2 shown]
	s_set_vgpr_msb 0                        ;  msbs: dst=0 src0=0 src1=0 src2=0
	v_add_f32_e32 v0, v0, v109
	s_set_vgpr_msb 5                        ;  msbs: dst=0 src0=1 src1=1 src2=0
	v_mul_f32_e32 v109, v23 /*v279*/, v27 /*v283*/
	s_set_vgpr_msb 0x45                     ;  msbs: dst=1 src0=1 src1=1 src2=0
	s_delay_alu instid0(VALU_DEP_1) | instskip(SKIP_3) | instid1(VALU_DEP_1)
	v_fma_f32 v46 /*v302*/, v22 /*v278*/, v26 /*v282*/, -v109
	s_set_vgpr_msb 5                        ;  msbs: dst=0 src0=1 src1=1 src2=0
	v_mul_f32_e32 v109, v25 /*v281*/, v29 /*v285*/
	s_set_vgpr_msb 0x45                     ;  msbs: dst=1 src0=1 src1=1 src2=0
	v_fma_f32 v48 /*v304*/, v24 /*v280*/, v28 /*v284*/, -v109
	s_wait_loadcnt_dscnt 0x303
	s_set_vgpr_msb 4                        ;  msbs: dst=0 src0=0 src1=1 src2=0
	v_pk_mul_f32 v[108:109], v[110:111], v[30:31] /*v[286:287]*/ op_sel:[1,1] op_sel_hi:[0,1]
	v_pk_add_f32 v[0:1], v[0:1], v[46:47] /*v[302:303]*/
	s_delay_alu instid0(VALU_DEP_2)
	v_pk_fma_f32 v[126:127], v[110:111], v[30:31] /*v[286:287]*/, v[108:109] neg_lo:[0,0,1] neg_hi:[0,0,1]
	v_pk_fma_f32 v[108:109], v[110:111], v[30:31] /*v[286:287]*/, v[108:109] op_sel_hi:[1,0,1]
	v_mov_b32_e32 v108, v113
	s_set_vgpr_msb 1                        ;  msbs: dst=0 src0=1 src1=0 src2=0
	v_mov_b32_e32 v110, v33 /*v289*/
	s_set_vgpr_msb 4                        ;  msbs: dst=0 src0=0 src1=1 src2=0
	v_pk_add_f32 v[0:1], v[0:1], v[48:49] /*v[304:305]*/
	v_dual_mov_b32 v127, v109 :: v_dual_mov_b32 v109, v112
	s_set_vgpr_msb 0                        ;  msbs: dst=0 src0=0 src1=0 src2=0
	s_delay_alu instid0(VALU_DEP_1) | instskip(NEXT) | instid1(VALU_DEP_2)
	v_pk_add_f32 v[0:1], v[0:1], v[126:127]
	v_pk_mul_f32 v[108:109], v[108:109], v[110:111] op_sel_hi:[1,0]
	s_set_vgpr_msb 4                        ;  msbs: dst=0 src0=0 src1=1 src2=0
	s_delay_alu instid0(VALU_DEP_1) | instskip(SKIP_1) | instid1(VALU_DEP_1)
	v_pk_fma_f32 v[110:111], v[112:113], v[32:33] /*v[288:289]*/, v[108:109] neg_lo:[0,0,1] neg_hi:[0,0,1]
	v_pk_fma_f32 v[108:109], v[112:113], v[32:33] /*v[288:289]*/, v[108:109] op_sel_hi:[1,0,1]
	v_mov_b32_e32 v111, v109
	s_wait_loadcnt_dscnt 0x202
	v_pk_mul_f32 v[108:109], v[114:115], v[34:35] /*v[290:291]*/ op_sel:[1,1] op_sel_hi:[0,1]
	s_set_vgpr_msb 0                        ;  msbs: dst=0 src0=0 src1=0 src2=0
	s_delay_alu instid0(VALU_DEP_2) | instskip(SKIP_1) | instid1(VALU_DEP_2)
	v_pk_add_f32 v[0:1], v[0:1], v[110:111]
	s_set_vgpr_msb 4                        ;  msbs: dst=0 src0=0 src1=1 src2=0
	v_pk_fma_f32 v[110:111], v[114:115], v[34:35] /*v[290:291]*/, v[108:109] neg_lo:[0,0,1] neg_hi:[0,0,1]
	v_pk_fma_f32 v[108:109], v[114:115], v[34:35] /*v[290:291]*/, v[108:109] op_sel_hi:[1,0,1]
	s_delay_alu instid0(VALU_DEP_1) | instskip(SKIP_2) | instid1(VALU_DEP_2)
	v_dual_mov_b32 v108, v117 :: v_dual_mov_b32 v111, v109
	v_mov_b32_e32 v109, v116
	s_set_vgpr_msb 0                        ;  msbs: dst=0 src0=0 src1=0 src2=0
	v_pk_add_f32 v[0:1], v[0:1], v[110:111]
	s_set_vgpr_msb 1                        ;  msbs: dst=0 src0=1 src1=0 src2=0
	v_mov_b32_e32 v110, v37 /*v293*/
	s_set_vgpr_msb 0                        ;  msbs: dst=0 src0=0 src1=0 src2=0
	s_delay_alu instid0(VALU_DEP_1) | instskip(SKIP_1) | instid1(VALU_DEP_1)
	v_pk_mul_f32 v[108:109], v[108:109], v[110:111] op_sel_hi:[1,0]
	s_set_vgpr_msb 4                        ;  msbs: dst=0 src0=0 src1=1 src2=0
	v_pk_fma_f32 v[110:111], v[116:117], v[36:37] /*v[292:293]*/, v[108:109] neg_lo:[0,0,1] neg_hi:[0,0,1]
	v_pk_fma_f32 v[108:109], v[116:117], v[36:37] /*v[292:293]*/, v[108:109] op_sel_hi:[1,0,1]
	s_delay_alu instid0(VALU_DEP_1) | instskip(SKIP_3) | instid1(VALU_DEP_2)
	v_mov_b32_e32 v111, v109
	s_wait_loadcnt_dscnt 0x101
	v_pk_mul_f32 v[108:109], v[118:119], v[38:39] /*v[294:295]*/ op_sel:[1,1] op_sel_hi:[0,1]
	s_set_vgpr_msb 0                        ;  msbs: dst=0 src0=0 src1=0 src2=0
	v_pk_add_f32 v[0:1], v[0:1], v[110:111]
	s_set_vgpr_msb 4                        ;  msbs: dst=0 src0=0 src1=1 src2=0
	s_delay_alu instid0(VALU_DEP_2) | instskip(SKIP_1) | instid1(VALU_DEP_1)
	v_pk_fma_f32 v[110:111], v[118:119], v[38:39] /*v[294:295]*/, v[108:109] neg_lo:[0,0,1] neg_hi:[0,0,1]
	v_pk_fma_f32 v[108:109], v[118:119], v[38:39] /*v[294:295]*/, v[108:109] op_sel_hi:[1,0,1]
	v_dual_mov_b32 v108, v121 :: v_dual_mov_b32 v111, v109
	v_mov_b32_e32 v109, v120
	s_set_vgpr_msb 0                        ;  msbs: dst=0 src0=0 src1=0 src2=0
	s_delay_alu instid0(VALU_DEP_2) | instskip(SKIP_3) | instid1(VALU_DEP_1)
	v_pk_add_f32 v[0:1], v[0:1], v[110:111]
	s_set_vgpr_msb 1                        ;  msbs: dst=0 src0=1 src1=0 src2=0
	v_mov_b32_e32 v110, v41 /*v297*/
	s_set_vgpr_msb 0                        ;  msbs: dst=0 src0=0 src1=0 src2=0
	v_pk_mul_f32 v[108:109], v[108:109], v[110:111] op_sel_hi:[1,0]
	s_set_vgpr_msb 4                        ;  msbs: dst=0 src0=0 src1=1 src2=0
	s_delay_alu instid0(VALU_DEP_1) | instskip(SKIP_1) | instid1(VALU_DEP_1)
	v_pk_fma_f32 v[110:111], v[120:121], v[40:41] /*v[296:297]*/, v[108:109] neg_lo:[0,0,1] neg_hi:[0,0,1]
	v_pk_fma_f32 v[108:109], v[120:121], v[40:41] /*v[296:297]*/, v[108:109] op_sel_hi:[1,0,1]
	v_mov_b32_e32 v111, v109
	s_wait_loadcnt_dscnt 0x0
	v_pk_mul_f32 v[108:109], v[122:123], v[42:43] /*v[298:299]*/ op_sel:[1,1] op_sel_hi:[0,1]
	s_set_vgpr_msb 0                        ;  msbs: dst=0 src0=0 src1=0 src2=0
	s_delay_alu instid0(VALU_DEP_2) | instskip(SKIP_1) | instid1(VALU_DEP_2)
	v_pk_add_f32 v[0:1], v[0:1], v[110:111]
	s_set_vgpr_msb 4                        ;  msbs: dst=0 src0=0 src1=1 src2=0
	v_pk_fma_f32 v[110:111], v[122:123], v[42:43] /*v[298:299]*/, v[108:109] neg_lo:[0,0,1] neg_hi:[0,0,1]
	v_pk_fma_f32 v[108:109], v[122:123], v[42:43] /*v[298:299]*/, v[108:109] op_sel_hi:[1,0,1]
	s_delay_alu instid0(VALU_DEP_1) | instskip(SKIP_2) | instid1(VALU_DEP_2)
	v_dual_mov_b32 v108, v125 :: v_dual_mov_b32 v111, v109
	v_mov_b32_e32 v109, v124
	s_set_vgpr_msb 0                        ;  msbs: dst=0 src0=0 src1=0 src2=0
	v_pk_add_f32 v[0:1], v[0:1], v[110:111]
	s_set_vgpr_msb 1                        ;  msbs: dst=0 src0=1 src1=0 src2=0
	v_mov_b32_e32 v110, v45 /*v301*/
	s_set_vgpr_msb 0                        ;  msbs: dst=0 src0=0 src1=0 src2=0
	s_delay_alu instid0(VALU_DEP_1) | instskip(SKIP_1) | instid1(VALU_DEP_1)
	v_pk_mul_f32 v[108:109], v[108:109], v[110:111] op_sel_hi:[1,0]
	s_set_vgpr_msb 4                        ;  msbs: dst=0 src0=0 src1=1 src2=0
	v_pk_fma_f32 v[110:111], v[124:125], v[44:45] /*v[300:301]*/, v[108:109] neg_lo:[0,0,1] neg_hi:[0,0,1]
	v_pk_fma_f32 v[108:109], v[124:125], v[44:45] /*v[300:301]*/, v[108:109] op_sel_hi:[1,0,1]
	s_delay_alu instid0(VALU_DEP_1) | instskip(SKIP_4) | instid1(VALU_DEP_1)
	v_mov_b32_e32 v111, v109
	scratch_load_b64 v[108:109], off, off
	s_set_vgpr_msb 0                        ;  msbs: dst=0 src0=0 src1=0 src2=0
	v_pk_add_f32 v[0:1], v[0:1], v[110:111]
	s_wait_loadcnt 0x0
	v_pk_add_f32 v[0:1], v[108:109], v[0:1] neg_lo:[0,1] neg_hi:[0,1]
	scratch_store_b64 off, v[0:1], off
	s_cbranch_vccz .LBB52_436
; %bb.332:
	s_wait_xcnt 0x0
	v_mov_b32_e32 v0, 0
	global_load_b32 v1, v0, s[2:3] offset:204
	s_wait_loadcnt 0x0
	v_cmp_ne_u32_e32 vcc_lo, 52, v1
	s_cbranch_vccz .LBB52_334
; %bb.333:
	v_lshlrev_b32_e32 v1, 3, v1
	scratch_load_b64 v[108:109], v1, off offset:-8
	scratch_load_b64 v[110:111], off, off offset:408
	s_wait_loadcnt 0x1
	scratch_store_b64 off, v[108:109], off offset:408
	s_wait_loadcnt 0x0
	scratch_store_b64 v1, v[110:111], off offset:-8
.LBB52_334:
	global_load_b32 v0, v0, s[2:3] offset:200
	s_wait_loadcnt 0x0
	v_cmp_eq_u32_e32 vcc_lo, 51, v0
	s_cbranch_vccnz .LBB52_336
; %bb.335:
	s_wait_xcnt 0x0
	v_lshlrev_b32_e32 v0, 3, v0
	s_delay_alu instid0(VALU_DEP_1)
	v_mov_b32_e32 v110, v0
	scratch_load_b64 v[0:1], v110, off offset:-8
	scratch_load_b64 v[108:109], off, off offset:400
	s_wait_loadcnt 0x1
	scratch_store_b64 off, v[0:1], off offset:400
	s_wait_loadcnt 0x0
	scratch_store_b64 v110, v[108:109], off offset:-8
.LBB52_336:
	s_wait_xcnt 0x0
	v_mov_b32_e32 v0, 0
	global_load_b32 v1, v0, s[2:3] offset:196
	s_wait_loadcnt 0x0
	v_cmp_eq_u32_e32 vcc_lo, 50, v1
	s_cbranch_vccnz .LBB52_338
; %bb.337:
	v_lshlrev_b32_e32 v1, 3, v1
	scratch_load_b64 v[108:109], v1, off offset:-8
	scratch_load_b64 v[110:111], off, off offset:392
	s_wait_loadcnt 0x1
	scratch_store_b64 off, v[108:109], off offset:392
	s_wait_loadcnt 0x0
	scratch_store_b64 v1, v[110:111], off offset:-8
.LBB52_338:
	global_load_b32 v0, v0, s[2:3] offset:192
	s_wait_loadcnt 0x0
	v_cmp_eq_u32_e32 vcc_lo, 49, v0
	s_cbranch_vccnz .LBB52_340
; %bb.339:
	s_wait_xcnt 0x0
	v_lshlrev_b32_e32 v0, 3, v0
	s_delay_alu instid0(VALU_DEP_1)
	v_mov_b32_e32 v110, v0
	scratch_load_b64 v[0:1], v110, off offset:-8
	scratch_load_b64 v[108:109], off, off offset:384
	s_wait_loadcnt 0x1
	scratch_store_b64 off, v[0:1], off offset:384
	s_wait_loadcnt 0x0
	scratch_store_b64 v110, v[108:109], off offset:-8
.LBB52_340:
	s_wait_xcnt 0x0
	v_mov_b32_e32 v0, 0
	global_load_b32 v1, v0, s[2:3] offset:188
	s_wait_loadcnt 0x0
	v_cmp_eq_u32_e32 vcc_lo, 48, v1
	s_cbranch_vccnz .LBB52_342
; %bb.341:
	v_lshlrev_b32_e32 v1, 3, v1
	scratch_load_b64 v[108:109], v1, off offset:-8
	scratch_load_b64 v[110:111], off, off offset:376
	s_wait_loadcnt 0x1
	scratch_store_b64 off, v[108:109], off offset:376
	s_wait_loadcnt 0x0
	scratch_store_b64 v1, v[110:111], off offset:-8
.LBB52_342:
	;; [unrolled: 31-line block ×25, first 2 shown]
	global_load_b32 v108, v0, s[2:3]
	scratch_load_b64 v[0:1], off, off
	s_wait_loadcnt 0x1
	v_cmp_eq_u32_e32 vcc_lo, 1, v108
	s_cbranch_vccnz .LBB52_436
; %bb.435:
	v_lshlrev_b32_e32 v108, 3, v108
	s_delay_alu instid0(VALU_DEP_1)
	v_mov_b32_e32 v110, v108
	scratch_load_b64 v[108:109], v110, off offset:-8
	s_wait_loadcnt 0x0
	scratch_store_b64 off, v[108:109], off
	scratch_store_b64 v110, v[0:1], off offset:-8
	scratch_load_b64 v[0:1], off, off
.LBB52_436:
	v_lshl_add_u64 v[108:109], v[4:5], 3, s[4:5]
	v_lshl_add_u64 v[110:111], v[8:9], 3, s[4:5]
	;; [unrolled: 1-line block ×4, first 2 shown]
	s_clause 0x19
	scratch_load_b128 v[104:107], off, off offset:8
	scratch_load_b128 v[112:115], off, off offset:24
	;; [unrolled: 1-line block ×26, first 2 shown]
	v_lshl_add_u64 v[10:11], v[10:11], 3, s[4:5]
	v_lshl_add_u64 v[12:13], v[12:13], 3, s[4:5]
	v_lshl_add_u64 v[14:15], v[14:15], 3, s[4:5]
	v_lshl_add_u64 v[16:17], v[16:17], 3, s[4:5]
	v_lshl_add_u64 v[18:19], v[18:19], 3, s[4:5]
	v_lshl_add_u64 v[20:21], v[20:21], 3, s[4:5]
	v_lshl_add_u64 v[22:23], v[22:23], 3, s[4:5]
	v_lshl_add_u64 v[24:25], v[24:25], 3, s[4:5]
	v_lshl_add_u64 v[26:27], v[26:27], 3, s[4:5]
	v_lshl_add_u64 v[28:29], v[28:29], 3, s[4:5]
	v_lshl_add_u64 v[30:31], v[30:31], 3, s[4:5]
	v_lshl_add_u64 v[32:33], v[32:33], 3, s[4:5]
	v_lshl_add_u64 v[34:35], v[34:35], 3, s[4:5]
	v_lshl_add_u64 v[36:37], v[36:37], 3, s[4:5]
	v_lshl_add_u64 v[38:39], v[38:39], 3, s[4:5]
	v_lshl_add_u64 v[40:41], v[40:41], 3, s[4:5]
	v_lshl_add_u64 v[42:43], v[42:43], 3, s[4:5]
	v_lshl_add_u64 v[44:45], v[44:45], 3, s[4:5]
	v_lshl_add_u64 v[46:47], v[46:47], 3, s[4:5]
	v_lshl_add_u64 v[48:49], v[48:49], 3, s[4:5]
	v_lshl_add_u64 v[50:51], v[50:51], 3, s[4:5]
	v_lshl_add_u64 v[52:53], v[52:53], 3, s[4:5]
	v_lshl_add_u64 v[54:55], v[54:55], 3, s[4:5]
	v_lshl_add_u64 v[56:57], v[56:57], 3, s[4:5]
	v_lshl_add_u64 v[58:59], v[58:59], 3, s[4:5]
	v_lshl_add_u64 v[60:61], v[60:61], 3, s[4:5]
	v_lshl_add_u64 v[62:63], v[62:63], 3, s[4:5]
	v_lshl_add_u64 v[64:65], v[64:65], 3, s[4:5]
	v_lshl_add_u64 v[66:67], v[66:67], 3, s[4:5]
	v_lshl_add_u64 v[68:69], v[68:69], 3, s[4:5]
	v_lshl_add_u64 v[70:71], v[70:71], 3, s[4:5]
	v_lshl_add_u64 v[72:73], v[72:73], 3, s[4:5]
	v_lshl_add_u64 v[74:75], v[74:75], 3, s[4:5]
	v_lshl_add_u64 v[76:77], v[76:77], 3, s[4:5]
	v_lshl_add_u64 v[78:79], v[78:79], 3, s[4:5]
	v_lshl_add_u64 v[80:81], v[80:81], 3, s[4:5]
	v_lshl_add_u64 v[82:83], v[82:83], 3, s[4:5]
	v_lshl_add_u64 v[84:85], v[84:85], 3, s[4:5]
	v_lshl_add_u64 v[86:87], v[86:87], 3, s[4:5]
	v_lshl_add_u64 v[88:89], v[88:89], 3, s[4:5]
	v_lshl_add_u64 v[90:91], v[90:91], 3, s[4:5]
	v_lshl_add_u64 v[92:93], v[92:93], 3, s[4:5]
	v_lshl_add_u64 v[94:95], v[94:95], 3, s[4:5]
	v_lshl_add_u64 v[96:97], v[96:97], 3, s[4:5]
	v_lshl_add_u64 v[98:99], v[98:99], 3, s[4:5]
	v_lshl_add_u64 v[100:101], v[100:101], 3, s[4:5]
	v_lshl_add_u64 v[102:103], v[102:103], 3, s[4:5]
	s_wait_loadcnt 0x1a
	global_store_b64 v[2:3], v[0:1], off
	s_wait_loadcnt 0x19
	s_clause 0x1
	global_store_b64 v[6:7], v[104:105], off
	global_store_b64 v[108:109], v[106:107], off
	s_wait_loadcnt 0x18
	s_clause 0x1
	global_store_b64 v[110:111], v[112:113], off
	;; [unrolled: 4-line block ×26, first 2 shown]
	global_store_b64 v[8:9], v[210:211], off
	s_sendmsg sendmsg(MSG_DEALLOC_VGPRS)
	s_endpgm
	.section	.rodata,"a",@progbits
	.p2align	6, 0x0
	.amdhsa_kernel _ZN9rocsolver6v33100L18getri_kernel_smallILi53E19rocblas_complex_numIfEPS3_EEvT1_iilPiilS6_bb
		.amdhsa_group_segment_fixed_size 856
		.amdhsa_private_segment_fixed_size 432
		.amdhsa_kernarg_size 60
		.amdhsa_user_sgpr_count 2
		.amdhsa_user_sgpr_dispatch_ptr 0
		.amdhsa_user_sgpr_queue_ptr 0
		.amdhsa_user_sgpr_kernarg_segment_ptr 1
		.amdhsa_user_sgpr_dispatch_id 0
		.amdhsa_user_sgpr_kernarg_preload_length 0
		.amdhsa_user_sgpr_kernarg_preload_offset 0
		.amdhsa_user_sgpr_private_segment_size 0
		.amdhsa_wavefront_size32 1
		.amdhsa_uses_dynamic_stack 0
		.amdhsa_enable_private_segment 1
		.amdhsa_system_sgpr_workgroup_id_x 1
		.amdhsa_system_sgpr_workgroup_id_y 0
		.amdhsa_system_sgpr_workgroup_id_z 0
		.amdhsa_system_sgpr_workgroup_info 0
		.amdhsa_system_vgpr_workitem_id 0
		.amdhsa_next_free_vgpr 324
		.amdhsa_next_free_sgpr 19
		.amdhsa_named_barrier_count 0
		.amdhsa_reserve_vcc 1
		.amdhsa_float_round_mode_32 0
		.amdhsa_float_round_mode_16_64 0
		.amdhsa_float_denorm_mode_32 3
		.amdhsa_float_denorm_mode_16_64 3
		.amdhsa_fp16_overflow 0
		.amdhsa_memory_ordered 1
		.amdhsa_forward_progress 1
		.amdhsa_inst_pref_size 255
		.amdhsa_round_robin_scheduling 0
		.amdhsa_exception_fp_ieee_invalid_op 0
		.amdhsa_exception_fp_denorm_src 0
		.amdhsa_exception_fp_ieee_div_zero 0
		.amdhsa_exception_fp_ieee_overflow 0
		.amdhsa_exception_fp_ieee_underflow 0
		.amdhsa_exception_fp_ieee_inexact 0
		.amdhsa_exception_int_div_zero 0
	.end_amdhsa_kernel
	.section	.text._ZN9rocsolver6v33100L18getri_kernel_smallILi53E19rocblas_complex_numIfEPS3_EEvT1_iilPiilS6_bb,"axG",@progbits,_ZN9rocsolver6v33100L18getri_kernel_smallILi53E19rocblas_complex_numIfEPS3_EEvT1_iilPiilS6_bb,comdat
.Lfunc_end52:
	.size	_ZN9rocsolver6v33100L18getri_kernel_smallILi53E19rocblas_complex_numIfEPS3_EEvT1_iilPiilS6_bb, .Lfunc_end52-_ZN9rocsolver6v33100L18getri_kernel_smallILi53E19rocblas_complex_numIfEPS3_EEvT1_iilPiilS6_bb
                                        ; -- End function
	.set _ZN9rocsolver6v33100L18getri_kernel_smallILi53E19rocblas_complex_numIfEPS3_EEvT1_iilPiilS6_bb.num_vgpr, 324
	.set _ZN9rocsolver6v33100L18getri_kernel_smallILi53E19rocblas_complex_numIfEPS3_EEvT1_iilPiilS6_bb.num_agpr, 0
	.set _ZN9rocsolver6v33100L18getri_kernel_smallILi53E19rocblas_complex_numIfEPS3_EEvT1_iilPiilS6_bb.numbered_sgpr, 19
	.set _ZN9rocsolver6v33100L18getri_kernel_smallILi53E19rocblas_complex_numIfEPS3_EEvT1_iilPiilS6_bb.num_named_barrier, 0
	.set _ZN9rocsolver6v33100L18getri_kernel_smallILi53E19rocblas_complex_numIfEPS3_EEvT1_iilPiilS6_bb.private_seg_size, 432
	.set _ZN9rocsolver6v33100L18getri_kernel_smallILi53E19rocblas_complex_numIfEPS3_EEvT1_iilPiilS6_bb.uses_vcc, 1
	.set _ZN9rocsolver6v33100L18getri_kernel_smallILi53E19rocblas_complex_numIfEPS3_EEvT1_iilPiilS6_bb.uses_flat_scratch, 1
	.set _ZN9rocsolver6v33100L18getri_kernel_smallILi53E19rocblas_complex_numIfEPS3_EEvT1_iilPiilS6_bb.has_dyn_sized_stack, 0
	.set _ZN9rocsolver6v33100L18getri_kernel_smallILi53E19rocblas_complex_numIfEPS3_EEvT1_iilPiilS6_bb.has_recursion, 0
	.set _ZN9rocsolver6v33100L18getri_kernel_smallILi53E19rocblas_complex_numIfEPS3_EEvT1_iilPiilS6_bb.has_indirect_call, 0
	.section	.AMDGPU.csdata,"",@progbits
; Kernel info:
; codeLenInByte = 103792
; TotalNumSgprs: 21
; NumVgprs: 324
; ScratchSize: 432
; MemoryBound: 0
; FloatMode: 240
; IeeeMode: 1
; LDSByteSize: 856 bytes/workgroup (compile time only)
; SGPRBlocks: 0
; VGPRBlocks: 20
; NumSGPRsForWavesPerEU: 21
; NumVGPRsForWavesPerEU: 324
; NamedBarCnt: 0
; Occupancy: 3
; WaveLimiterHint : 1
; COMPUTE_PGM_RSRC2:SCRATCH_EN: 1
; COMPUTE_PGM_RSRC2:USER_SGPR: 2
; COMPUTE_PGM_RSRC2:TRAP_HANDLER: 0
; COMPUTE_PGM_RSRC2:TGID_X_EN: 1
; COMPUTE_PGM_RSRC2:TGID_Y_EN: 0
; COMPUTE_PGM_RSRC2:TGID_Z_EN: 0
; COMPUTE_PGM_RSRC2:TIDIG_COMP_CNT: 0
	.section	.text._ZN9rocsolver6v33100L18getri_kernel_smallILi54E19rocblas_complex_numIfEPS3_EEvT1_iilPiilS6_bb,"axG",@progbits,_ZN9rocsolver6v33100L18getri_kernel_smallILi54E19rocblas_complex_numIfEPS3_EEvT1_iilPiilS6_bb,comdat
	.globl	_ZN9rocsolver6v33100L18getri_kernel_smallILi54E19rocblas_complex_numIfEPS3_EEvT1_iilPiilS6_bb ; -- Begin function _ZN9rocsolver6v33100L18getri_kernel_smallILi54E19rocblas_complex_numIfEPS3_EEvT1_iilPiilS6_bb
	.p2align	8
	.type	_ZN9rocsolver6v33100L18getri_kernel_smallILi54E19rocblas_complex_numIfEPS3_EEvT1_iilPiilS6_bb,@function
_ZN9rocsolver6v33100L18getri_kernel_smallILi54E19rocblas_complex_numIfEPS3_EEvT1_iilPiilS6_bb: ; @_ZN9rocsolver6v33100L18getri_kernel_smallILi54E19rocblas_complex_numIfEPS3_EEvT1_iilPiilS6_bb
; %bb.0:
	s_mov_b32 s2, exec_lo
	v_cmpx_gt_u32_e32 54, v0
	s_cbranch_execz .LBB53_230
; %bb.1:
	s_clause 0x2
	s_load_b32 s2, s[0:1], 0x38
	s_load_b128 s[12:15], s[0:1], 0x10
	s_load_b128 s[4:7], s[0:1], 0x28
	s_getreg_b32 s9, hwreg(HW_REG_IB_STS2, 6, 4)
	s_wait_kmcnt 0x0
	s_bitcmp1_b32 s2, 8
	s_cselect_b32 s18, -1, 0
	s_bfe_u32 s3, ttmp6, 0x4000c
	s_and_b32 s8, ttmp6, 15
	s_add_co_i32 s3, s3, 1
	s_delay_alu instid0(SALU_CYCLE_1) | instskip(NEXT) | instid1(SALU_CYCLE_1)
	s_mul_i32 s3, ttmp9, s3
	s_add_co_i32 s8, s8, s3
	s_cmp_eq_u32 s9, 0
	s_cselect_b32 s16, ttmp9, s8
	s_bfe_u32 s2, s2, 0x10008
	s_ashr_i32 s17, s16, 31
	s_cmp_eq_u32 s2, 0
                                        ; implicit-def: $sgpr2_sgpr3
	s_cbranch_scc1 .LBB53_3
; %bb.2:
	s_load_b32 s2, s[0:1], 0x20
	s_mul_u64 s[4:5], s[4:5], s[16:17]
	s_delay_alu instid0(SALU_CYCLE_1) | instskip(NEXT) | instid1(SALU_CYCLE_1)
	s_lshl_b64 s[4:5], s[4:5], 2
	s_add_nc_u64 s[4:5], s[14:15], s[4:5]
	s_wait_kmcnt 0x0
	s_ashr_i32 s3, s2, 31
	s_delay_alu instid0(SALU_CYCLE_1) | instskip(NEXT) | instid1(SALU_CYCLE_1)
	s_lshl_b64 s[2:3], s[2:3], 2
	s_add_nc_u64 s[2:3], s[4:5], s[2:3]
.LBB53_3:
	s_clause 0x1
	s_load_b128 s[8:11], s[0:1], 0x0
	s_load_b32 s14, s[0:1], 0x38
	s_wait_xcnt 0x0
	s_mul_u64 s[0:1], s[12:13], s[16:17]
	v_lshlrev_b32_e32 v110, 3, v0
	s_lshl_b64 s[0:1], s[0:1], 3
	v_mov_b32_e32 v111, 0
	s_wait_kmcnt 0x0
	v_add3_u32 v6, s11, s11, v0
	s_ashr_i32 s5, s10, 31
	s_mov_b32 s4, s10
	s_add_nc_u64 s[0:1], s[8:9], s[0:1]
	s_lshl_b64 s[4:5], s[4:5], 3
	v_add_nc_u32_e32 v8, s11, v6
	s_add_nc_u64 s[4:5], s[0:1], s[4:5]
	s_ashr_i32 s1, s11, 31
	s_mov_b32 s0, s11
	s_bitcmp0_b32 s14, 0
	v_add_nc_u32_e32 v10, s11, v8
	v_add_nc_u64_e32 v[2:3], s[4:5], v[110:111]
	s_delay_alu instid0(VALU_DEP_2) | instskip(NEXT) | instid1(VALU_DEP_2)
	v_add_nc_u32_e32 v12, s11, v10
	v_lshl_add_u64 v[4:5], s[0:1], 3, v[2:3]
	s_mov_b32 s1, -1
	s_delay_alu instid0(VALU_DEP_2) | instskip(SKIP_4) | instid1(VALU_DEP_1)
	v_add_nc_u32_e32 v14, s11, v12
	s_clause 0x1
	global_load_b64 v[112:113], v0, s[4:5] scale_offset
	global_load_b64 v[114:115], v[4:5], off
	v_add_nc_u32_e32 v16, s11, v14
	v_add_nc_u32_e32 v18, s11, v16
	s_clause 0x3
	global_load_b64 v[116:117], v6, s[4:5] scale_offset
	global_load_b64 v[118:119], v8, s[4:5] scale_offset
	;; [unrolled: 1-line block ×4, first 2 shown]
	v_add_nc_u32_e32 v20, s11, v18
	s_delay_alu instid0(VALU_DEP_1) | instskip(NEXT) | instid1(VALU_DEP_1)
	v_add_nc_u32_e32 v22, s11, v20
	v_add_nc_u32_e32 v24, s11, v22
	s_delay_alu instid0(VALU_DEP_1)
	v_add_nc_u32_e32 v26, s11, v24
	s_clause 0x3
	global_load_b64 v[124:125], v14, s[4:5] scale_offset
	global_load_b64 v[126:127], v16, s[4:5] scale_offset
	;; [unrolled: 1-line block ×4, first 2 shown]
	v_add_nc_u32_e32 v28, s11, v26
	s_delay_alu instid0(VALU_DEP_1)
	v_add_nc_u32_e32 v30, s11, v28
	s_clause 0x3
	global_load_b64 v[132:133], v22, s[4:5] scale_offset
	global_load_b64 v[134:135], v24, s[4:5] scale_offset
	;; [unrolled: 1-line block ×4, first 2 shown]
	v_add_nc_u32_e32 v32, s11, v30
	s_delay_alu instid0(VALU_DEP_1) | instskip(NEXT) | instid1(VALU_DEP_1)
	v_add_nc_u32_e32 v34, s11, v32
	v_add_nc_u32_e32 v36, s11, v34
	s_delay_alu instid0(VALU_DEP_1) | instskip(NEXT) | instid1(VALU_DEP_1)
	v_add_nc_u32_e32 v38, s11, v36
	v_add_nc_u32_e32 v40, s11, v38
	s_delay_alu instid0(VALU_DEP_1)
	v_add_nc_u32_e32 v42, s11, v40
	s_clause 0x3
	global_load_b64 v[140:141], v30, s[4:5] scale_offset
	global_load_b64 v[142:143], v32, s[4:5] scale_offset
	global_load_b64 v[144:145], v34, s[4:5] scale_offset
	global_load_b64 v[146:147], v36, s[4:5] scale_offset
	v_add_nc_u32_e32 v44, s11, v42
	s_delay_alu instid0(VALU_DEP_1) | instskip(NEXT) | instid1(VALU_DEP_1)
	v_add_nc_u32_e32 v46, s11, v44
	v_add_nc_u32_e32 v48, s11, v46
	s_delay_alu instid0(VALU_DEP_1)
	v_add_nc_u32_e32 v50, s11, v48
	s_clause 0x3
	global_load_b64 v[148:149], v38, s[4:5] scale_offset
	global_load_b64 v[150:151], v40, s[4:5] scale_offset
	;; [unrolled: 1-line block ×4, first 2 shown]
	v_add_nc_u32_e32 v52, s11, v50
	s_delay_alu instid0(VALU_DEP_1)
	v_add_nc_u32_e32 v54, s11, v52
	s_clause 0x3
	global_load_b64 v[156:157], v46, s[4:5] scale_offset
	global_load_b64 v[158:159], v48, s[4:5] scale_offset
	;; [unrolled: 1-line block ×4, first 2 shown]
	v_add_nc_u32_e32 v56, s11, v54
	s_delay_alu instid0(VALU_DEP_1) | instskip(NEXT) | instid1(VALU_DEP_1)
	v_add_nc_u32_e32 v58, s11, v56
	v_add_nc_u32_e32 v60, s11, v58
	s_delay_alu instid0(VALU_DEP_1) | instskip(NEXT) | instid1(VALU_DEP_1)
	v_add_nc_u32_e32 v62, s11, v60
	v_add_nc_u32_e32 v64, s11, v62
	s_delay_alu instid0(VALU_DEP_1)
	v_add_nc_u32_e32 v66, s11, v64
	s_clause 0x3
	global_load_b64 v[164:165], v54, s[4:5] scale_offset
	global_load_b64 v[166:167], v56, s[4:5] scale_offset
	;; [unrolled: 1-line block ×4, first 2 shown]
	v_add_nc_u32_e32 v68, s11, v66
	s_clause 0x3
	global_load_b64 v[172:173], v62, s[4:5] scale_offset
	global_load_b64 v[174:175], v64, s[4:5] scale_offset
	;; [unrolled: 1-line block ×4, first 2 shown]
	v_add_nc_u32_e32 v70, s11, v68
	s_delay_alu instid0(VALU_DEP_1) | instskip(NEXT) | instid1(VALU_DEP_1)
	v_add_nc_u32_e32 v72, s11, v70
	v_add_nc_u32_e32 v74, s11, v72
	s_delay_alu instid0(VALU_DEP_1) | instskip(NEXT) | instid1(VALU_DEP_1)
	v_add_nc_u32_e32 v76, s11, v74
	;; [unrolled: 3-line block ×3, first 2 shown]
	v_add_nc_u32_e32 v82, s11, v80
	s_clause 0x3
	global_load_b64 v[180:181], v70, s[4:5] scale_offset
	global_load_b64 v[182:183], v72, s[4:5] scale_offset
	;; [unrolled: 1-line block ×4, first 2 shown]
	v_add_nc_u32_e32 v84, s11, v82
	s_delay_alu instid0(VALU_DEP_1) | instskip(NEXT) | instid1(VALU_DEP_1)
	v_add_nc_u32_e32 v86, s11, v84
	v_add_nc_u32_e32 v88, s11, v86
	s_delay_alu instid0(VALU_DEP_1)
	v_add_nc_u32_e32 v90, s11, v88
	s_clause 0x3
	global_load_b64 v[188:189], v78, s[4:5] scale_offset
	global_load_b64 v[190:191], v80, s[4:5] scale_offset
	;; [unrolled: 1-line block ×4, first 2 shown]
	v_add_nc_u32_e32 v92, s11, v90
	s_delay_alu instid0(VALU_DEP_1)
	v_add_nc_u32_e32 v94, s11, v92
	s_clause 0x3
	global_load_b64 v[196:197], v86, s[4:5] scale_offset
	global_load_b64 v[198:199], v88, s[4:5] scale_offset
	;; [unrolled: 1-line block ×4, first 2 shown]
	v_add_nc_u32_e32 v96, s11, v94
	s_delay_alu instid0(VALU_DEP_1) | instskip(NEXT) | instid1(VALU_DEP_1)
	v_add_nc_u32_e32 v98, s11, v96
	v_add_nc_u32_e32 v100, s11, v98
	s_delay_alu instid0(VALU_DEP_1) | instskip(NEXT) | instid1(VALU_DEP_1)
	v_add_nc_u32_e32 v102, s11, v100
	v_add_nc_u32_e32 v104, s11, v102
	s_delay_alu instid0(VALU_DEP_1)
	v_add_nc_u32_e32 v106, s11, v104
	s_clause 0x3
	global_load_b64 v[204:205], v94, s[4:5] scale_offset
	global_load_b64 v[206:207], v96, s[4:5] scale_offset
	global_load_b64 v[208:209], v98, s[4:5] scale_offset
	global_load_b64 v[210:211], v100, s[4:5] scale_offset
	v_add_nc_u32_e32 v108, s11, v106
	s_clause 0x3
	global_load_b64 v[212:213], v102, s[4:5] scale_offset
	global_load_b64 v[214:215], v104, s[4:5] scale_offset
	;; [unrolled: 1-line block ×4, first 2 shown]
	s_wait_loadcnt 0x34
	scratch_store_b128 off, v[112:115], off
	s_wait_loadcnt 0x32
	scratch_store_b128 off, v[116:119], off offset:16
	s_wait_loadcnt 0x30
	scratch_store_b128 off, v[120:123], off offset:32
	;; [unrolled: 2-line block ×26, first 2 shown]
	s_cbranch_scc1 .LBB53_228
; %bb.4:
	v_cmp_eq_u32_e64 s0, 0, v0
	s_wait_xcnt 0x0
	s_and_saveexec_b32 s1, s0
; %bb.5:
	v_mov_b32_e32 v1, 0
	ds_store_b32 v1, v1 offset:864
; %bb.6:
	s_or_b32 exec_lo, exec_lo, s1
	s_wait_storecnt_dscnt 0x0
	s_barrier_signal -1
	s_barrier_wait -1
	scratch_load_b64 v[112:113], v0, off scale_offset
	s_wait_loadcnt 0x0
	v_cmp_eq_f32_e32 vcc_lo, 0, v112
	v_cmp_eq_f32_e64 s1, 0, v113
	s_and_b32 s1, vcc_lo, s1
	s_delay_alu instid0(SALU_CYCLE_1)
	s_and_saveexec_b32 s8, s1
	s_cbranch_execz .LBB53_10
; %bb.7:
	v_mov_b32_e32 v1, 0
	s_mov_b32 s9, 0
	ds_load_b32 v7, v1 offset:864
	s_wait_dscnt 0x0
	v_readfirstlane_b32 s1, v7
	v_add_nc_u32_e32 v7, 1, v0
	s_cmp_eq_u32 s1, 0
	s_delay_alu instid0(VALU_DEP_1) | instskip(SKIP_1) | instid1(SALU_CYCLE_1)
	v_cmp_gt_i32_e32 vcc_lo, s1, v7
	s_cselect_b32 s10, -1, 0
	s_or_b32 s10, s10, vcc_lo
	s_delay_alu instid0(SALU_CYCLE_1)
	s_and_b32 exec_lo, exec_lo, s10
	s_cbranch_execz .LBB53_10
; %bb.8:
	v_mov_b32_e32 v9, s1
.LBB53_9:                               ; =>This Inner Loop Header: Depth=1
	ds_cmpstore_rtn_b32 v9, v1, v7, v9 offset:864
	s_wait_dscnt 0x0
	v_cmp_ne_u32_e32 vcc_lo, 0, v9
	v_cmp_le_i32_e64 s1, v9, v7
	s_and_b32 s1, vcc_lo, s1
	s_delay_alu instid0(SALU_CYCLE_1) | instskip(NEXT) | instid1(SALU_CYCLE_1)
	s_and_b32 s1, exec_lo, s1
	s_or_b32 s9, s1, s9
	s_delay_alu instid0(SALU_CYCLE_1)
	s_and_not1_b32 exec_lo, exec_lo, s9
	s_cbranch_execnz .LBB53_9
.LBB53_10:
	s_or_b32 exec_lo, exec_lo, s8
	v_mov_b32_e32 v1, 0
	s_barrier_signal -1
	s_barrier_wait -1
	ds_load_b32 v7, v1 offset:864
	s_and_saveexec_b32 s1, s0
	s_cbranch_execz .LBB53_12
; %bb.11:
	s_lshl_b64 s[8:9], s[16:17], 2
	s_delay_alu instid0(SALU_CYCLE_1)
	s_add_nc_u64 s[8:9], s[6:7], s[8:9]
	s_wait_dscnt 0x0
	global_store_b32 v1, v7, s[8:9]
.LBB53_12:
	s_wait_xcnt 0x0
	s_or_b32 exec_lo, exec_lo, s1
	s_wait_dscnt 0x0
	v_cmp_ne_u32_e32 vcc_lo, 0, v7
	s_mov_b32 s1, 0
	s_cbranch_vccnz .LBB53_228
; %bb.13:
	v_lshl_add_u32 v7, v0, 3, 0
                                        ; implicit-def: $vgpr115
                                        ; implicit-def: $vgpr116
	scratch_load_b64 v[112:113], v7, off
	s_wait_loadcnt 0x0
	v_cmp_ngt_f32_e64 s1, |v112|, |v113|
	s_wait_xcnt 0x0
	s_and_saveexec_b32 s8, s1
	s_delay_alu instid0(SALU_CYCLE_1)
	s_xor_b32 s1, exec_lo, s8
	s_cbranch_execz .LBB53_15
; %bb.14:
	v_div_scale_f32 v1, null, v113, v113, v112
	v_div_scale_f32 v13, vcc_lo, v112, v113, v112
	s_delay_alu instid0(VALU_DEP_2) | instskip(SKIP_1) | instid1(TRANS32_DEP_1)
	v_rcp_f32_e32 v9, v1
	v_nop
	v_fma_f32 v11, -v1, v9, 1.0
	s_delay_alu instid0(VALU_DEP_1) | instskip(NEXT) | instid1(VALU_DEP_1)
	v_fmac_f32_e32 v9, v11, v9
	v_mul_f32_e32 v11, v13, v9
	s_delay_alu instid0(VALU_DEP_1) | instskip(NEXT) | instid1(VALU_DEP_1)
	v_fma_f32 v15, -v1, v11, v13
	v_fmac_f32_e32 v11, v15, v9
	s_delay_alu instid0(VALU_DEP_1) | instskip(NEXT) | instid1(VALU_DEP_1)
	v_fma_f32 v1, -v1, v11, v13
	v_div_fmas_f32 v1, v1, v9, v11
	s_delay_alu instid0(VALU_DEP_1) | instskip(NEXT) | instid1(VALU_DEP_1)
	v_div_fixup_f32 v1, v1, v113, v112
	v_fmac_f32_e32 v113, v112, v1
	s_delay_alu instid0(VALU_DEP_1) | instskip(NEXT) | instid1(VALU_DEP_1)
	v_div_scale_f32 v9, null, v113, v113, -1.0
	v_rcp_f32_e32 v11, v9
	v_nop
	s_delay_alu instid0(TRANS32_DEP_1) | instskip(NEXT) | instid1(VALU_DEP_1)
	v_fma_f32 v13, -v9, v11, 1.0
	v_fmac_f32_e32 v11, v13, v11
	v_div_scale_f32 v13, vcc_lo, -1.0, v113, -1.0
	s_delay_alu instid0(VALU_DEP_1) | instskip(NEXT) | instid1(VALU_DEP_1)
	v_mul_f32_e32 v15, v13, v11
	v_fma_f32 v17, -v9, v15, v13
	s_delay_alu instid0(VALU_DEP_1) | instskip(NEXT) | instid1(VALU_DEP_1)
	v_fmac_f32_e32 v15, v17, v11
	v_fma_f32 v9, -v9, v15, v13
	s_delay_alu instid0(VALU_DEP_1) | instskip(NEXT) | instid1(VALU_DEP_1)
	v_div_fmas_f32 v9, v9, v11, v15
	v_div_fixup_f32 v115, v9, v113, -1.0
                                        ; implicit-def: $vgpr112_vgpr113
	s_delay_alu instid0(VALU_DEP_1) | instskip(NEXT) | instid1(VALU_DEP_1)
	v_mul_f32_e32 v116, v1, v115
	v_xor_b32_e32 v114, 0x80000000, v116
.LBB53_15:
	s_and_not1_saveexec_b32 s1, s1
	s_cbranch_execz .LBB53_17
; %bb.16:
	v_div_scale_f32 v1, null, v112, v112, v113
	v_div_scale_f32 v13, vcc_lo, v113, v112, v113
	s_delay_alu instid0(VALU_DEP_2) | instskip(SKIP_1) | instid1(TRANS32_DEP_1)
	v_rcp_f32_e32 v9, v1
	v_nop
	v_fma_f32 v11, -v1, v9, 1.0
	s_delay_alu instid0(VALU_DEP_1) | instskip(NEXT) | instid1(VALU_DEP_1)
	v_fmac_f32_e32 v9, v11, v9
	v_mul_f32_e32 v11, v13, v9
	s_delay_alu instid0(VALU_DEP_1) | instskip(NEXT) | instid1(VALU_DEP_1)
	v_fma_f32 v15, -v1, v11, v13
	v_fmac_f32_e32 v11, v15, v9
	s_delay_alu instid0(VALU_DEP_1) | instskip(NEXT) | instid1(VALU_DEP_1)
	v_fma_f32 v1, -v1, v11, v13
	v_div_fmas_f32 v1, v1, v9, v11
	s_delay_alu instid0(VALU_DEP_1) | instskip(NEXT) | instid1(VALU_DEP_1)
	v_div_fixup_f32 v1, v1, v112, v113
	v_fmac_f32_e32 v112, v113, v1
	s_delay_alu instid0(VALU_DEP_1) | instskip(SKIP_1) | instid1(VALU_DEP_2)
	v_div_scale_f32 v9, null, v112, v112, 1.0
	v_div_scale_f32 v15, vcc_lo, 1.0, v112, 1.0
	v_rcp_f32_e32 v11, v9
	v_nop
	s_delay_alu instid0(TRANS32_DEP_1) | instskip(NEXT) | instid1(VALU_DEP_1)
	v_fma_f32 v13, -v9, v11, 1.0
	v_fmac_f32_e32 v11, v13, v11
	s_delay_alu instid0(VALU_DEP_1) | instskip(NEXT) | instid1(VALU_DEP_1)
	v_mul_f32_e32 v13, v15, v11
	v_fma_f32 v17, -v9, v13, v15
	s_delay_alu instid0(VALU_DEP_1) | instskip(NEXT) | instid1(VALU_DEP_1)
	v_fmac_f32_e32 v13, v17, v11
	v_fma_f32 v9, -v9, v13, v15
	s_delay_alu instid0(VALU_DEP_1) | instskip(NEXT) | instid1(VALU_DEP_1)
	v_div_fmas_f32 v9, v9, v11, v13
	v_div_fixup_f32 v114, v9, v112, 1.0
	s_delay_alu instid0(VALU_DEP_1)
	v_xor_b32_e32 v116, 0x80000000, v114
	v_mul_f32_e64 v115, v1, -v114
.LBB53_17:
	s_or_b32 exec_lo, exec_lo, s1
	scratch_store_b64 v7, v[114:115], off
	scratch_load_b64 v[112:113], off, off offset:8
	v_xor_b32_e32 v117, 0x80000000, v115
	v_add_nc_u32_e32 v1, 0x1b0, v110
	s_wait_loadcnt 0x0
	ds_store_2addr_b64 v110, v[116:117], v[112:113] offset1:54
	s_wait_storecnt_dscnt 0x0
	s_barrier_signal -1
	s_barrier_wait -1
	s_wait_xcnt 0x0
	s_and_saveexec_b32 s1, s0
	s_cbranch_execz .LBB53_19
; %bb.18:
	scratch_load_b64 v[112:113], v7, off
	ds_load_b64 v[114:115], v1
	s_wait_loadcnt_dscnt 0x0
	v_pk_mul_f32 v[118:119], v[114:115], v[112:113] op_sel:[1,1] op_sel_hi:[0,1]
	s_delay_alu instid0(VALU_DEP_1) | instskip(SKIP_2) | instid1(VALU_DEP_3)
	v_pk_fma_f32 v[120:121], v[114:115], v[112:113], v[118:119] op_sel_hi:[1,0,1]
	v_mov_b32_e32 v9, 0
	v_pk_fma_f32 v[112:113], v[114:115], v[112:113], v[118:119] neg_lo:[0,0,1] neg_hi:[0,0,1]
	v_mov_b32_e32 v113, v121
	ds_load_b64 v[116:117], v9 offset:8
	v_pk_add_f32 v[112:113], v[112:113], 0 op_sel_hi:[1,0]
	s_wait_dscnt 0x0
	s_delay_alu instid0(VALU_DEP_1) | instskip(NEXT) | instid1(VALU_DEP_1)
	v_pk_mul_f32 v[114:115], v[112:113], v[116:117] op_sel:[1,1] op_sel_hi:[0,1]
	v_pk_fma_f32 v[118:119], v[112:113], v[116:117], v[114:115] op_sel_hi:[1,0,1]
	v_pk_fma_f32 v[112:113], v[112:113], v[116:117], v[114:115] neg_lo:[0,0,1] neg_hi:[0,0,1]
	s_delay_alu instid0(VALU_DEP_2)
	v_mov_b32_e32 v113, v119
	scratch_store_b64 off, v[112:113], off offset:8
.LBB53_19:
	s_wait_xcnt 0x0
	s_or_b32 exec_lo, exec_lo, s1
	s_wait_storecnt 0x0
	s_barrier_signal -1
	s_barrier_wait -1
	scratch_load_b64 v[112:113], off, off offset:16
	s_mov_b32 s1, exec_lo
	s_wait_loadcnt 0x0
	ds_store_b64 v1, v[112:113]
	s_wait_dscnt 0x0
	s_barrier_signal -1
	s_barrier_wait -1
	v_cmpx_gt_u32_e32 2, v0
	s_cbranch_execz .LBB53_23
; %bb.20:
	scratch_load_b64 v[112:113], v7, off
	ds_load_b64 v[114:115], v1
	s_wait_loadcnt_dscnt 0x0
	v_pk_mul_f32 v[116:117], v[114:115], v[112:113] op_sel:[1,1] op_sel_hi:[0,1]
	s_delay_alu instid0(VALU_DEP_1) | instskip(SKIP_1) | instid1(VALU_DEP_2)
	v_pk_fma_f32 v[118:119], v[114:115], v[112:113], v[116:117] op_sel_hi:[1,0,1]
	v_pk_fma_f32 v[112:113], v[114:115], v[112:113], v[116:117] neg_lo:[0,0,1] neg_hi:[0,0,1]
	v_mov_b32_e32 v113, v119
	s_delay_alu instid0(VALU_DEP_1)
	v_pk_add_f32 v[112:113], v[112:113], 0 op_sel_hi:[1,0]
	s_and_saveexec_b32 s8, s0
	s_cbranch_execz .LBB53_22
; %bb.21:
	scratch_load_b64 v[114:115], off, off offset:8
	v_mov_b32_e32 v7, 0
	ds_load_b64 v[116:117], v7 offset:440
	s_wait_loadcnt_dscnt 0x0
	v_pk_mul_f32 v[118:119], v[116:117], v[114:115] op_sel:[1,1] op_sel_hi:[0,1]
	s_delay_alu instid0(VALU_DEP_1) | instskip(SKIP_1) | instid1(VALU_DEP_2)
	v_pk_fma_f32 v[120:121], v[116:117], v[114:115], v[118:119] op_sel_hi:[1,0,1]
	v_pk_fma_f32 v[114:115], v[116:117], v[114:115], v[118:119] neg_lo:[0,0,1] neg_hi:[0,0,1]
	v_mov_b32_e32 v115, v121
	s_delay_alu instid0(VALU_DEP_1)
	v_pk_add_f32 v[112:113], v[112:113], v[114:115]
.LBB53_22:
	s_or_b32 exec_lo, exec_lo, s8
	v_mov_b32_e32 v7, 0
	ds_load_b64 v[114:115], v7 offset:16
	s_wait_dscnt 0x0
	v_pk_mul_f32 v[116:117], v[112:113], v[114:115] op_sel:[1,1] op_sel_hi:[0,1]
	s_delay_alu instid0(VALU_DEP_1) | instskip(SKIP_1) | instid1(VALU_DEP_2)
	v_pk_fma_f32 v[118:119], v[112:113], v[114:115], v[116:117] op_sel_hi:[1,0,1]
	v_pk_fma_f32 v[112:113], v[112:113], v[114:115], v[116:117] neg_lo:[0,0,1] neg_hi:[0,0,1]
	v_mov_b32_e32 v113, v119
	scratch_store_b64 off, v[112:113], off offset:16
.LBB53_23:
	s_wait_xcnt 0x0
	s_or_b32 exec_lo, exec_lo, s1
	s_wait_storecnt 0x0
	s_barrier_signal -1
	s_barrier_wait -1
	scratch_load_b64 v[112:113], off, off offset:24
	v_add_nc_u32_e32 v7, -1, v0
	s_mov_b32 s0, exec_lo
	s_wait_loadcnt 0x0
	ds_store_b64 v1, v[112:113]
	s_wait_dscnt 0x0
	s_barrier_signal -1
	s_barrier_wait -1
	v_cmpx_gt_u32_e32 3, v0
	s_cbranch_execz .LBB53_27
; %bb.24:
	v_dual_mov_b32 v112, 0 :: v_dual_add_nc_u32 v9, -1, v0
	v_add_nc_u32_e32 v11, 0x1b0, v110
	v_mov_b32_e32 v13, v110
	s_mov_b32 s1, 0
	s_delay_alu instid0(VALU_DEP_3)
	v_mov_b32_e32 v113, v112
.LBB53_25:                              ; =>This Inner Loop Header: Depth=1
	scratch_load_b64 v[114:115], v13, off
	ds_load_b64 v[116:117], v11
	s_wait_xcnt 0x0
	v_dual_add_nc_u32 v11, 8, v11 :: v_dual_add_nc_u32 v13, 8, v13
	s_wait_loadcnt_dscnt 0x0
	v_pk_mul_f32 v[118:119], v[116:117], v[114:115] op_sel:[1,1] op_sel_hi:[0,1]
	s_delay_alu instid0(VALU_DEP_1) | instskip(SKIP_2) | instid1(VALU_DEP_3)
	v_pk_fma_f32 v[120:121], v[116:117], v[114:115], v[118:119] op_sel_hi:[1,0,1]
	v_add_nc_u32_e32 v9, 1, v9
	v_pk_fma_f32 v[114:115], v[116:117], v[114:115], v[118:119] neg_lo:[0,0,1] neg_hi:[0,0,1]
	v_mov_b32_e32 v115, v121
	s_delay_alu instid0(VALU_DEP_3) | instskip(NEXT) | instid1(VALU_DEP_2)
	v_cmp_lt_u32_e32 vcc_lo, 1, v9
	v_pk_add_f32 v[112:113], v[112:113], v[114:115]
	s_or_b32 s1, vcc_lo, s1
	s_delay_alu instid0(SALU_CYCLE_1)
	s_and_not1_b32 exec_lo, exec_lo, s1
	s_cbranch_execnz .LBB53_25
; %bb.26:
	s_or_b32 exec_lo, exec_lo, s1
	v_mov_b32_e32 v9, 0
	ds_load_b64 v[114:115], v9 offset:24
	s_wait_dscnt 0x0
	v_pk_mul_f32 v[116:117], v[112:113], v[114:115] op_sel:[1,1] op_sel_hi:[0,1]
	s_delay_alu instid0(VALU_DEP_1) | instskip(SKIP_1) | instid1(VALU_DEP_2)
	v_pk_fma_f32 v[118:119], v[112:113], v[114:115], v[116:117] op_sel_hi:[1,0,1]
	v_pk_fma_f32 v[112:113], v[112:113], v[114:115], v[116:117] neg_lo:[0,0,1] neg_hi:[0,0,1]
	v_mov_b32_e32 v113, v119
	scratch_store_b64 off, v[112:113], off offset:24
.LBB53_27:
	s_wait_xcnt 0x0
	s_or_b32 exec_lo, exec_lo, s0
	s_wait_storecnt 0x0
	s_barrier_signal -1
	s_barrier_wait -1
	scratch_load_b64 v[112:113], off, off offset:32
	s_mov_b32 s0, exec_lo
	s_wait_loadcnt 0x0
	ds_store_b64 v1, v[112:113]
	s_wait_dscnt 0x0
	s_barrier_signal -1
	s_barrier_wait -1
	v_cmpx_gt_u32_e32 4, v0
	s_cbranch_execz .LBB53_31
; %bb.28:
	v_dual_mov_b32 v112, 0 :: v_dual_add_nc_u32 v9, -1, v0
	v_add_nc_u32_e32 v11, 0x1b0, v110
	v_mov_b32_e32 v13, v110
	s_mov_b32 s1, 0
	s_delay_alu instid0(VALU_DEP_3)
	v_mov_b32_e32 v113, v112
.LBB53_29:                              ; =>This Inner Loop Header: Depth=1
	scratch_load_b64 v[114:115], v13, off
	ds_load_b64 v[116:117], v11
	s_wait_xcnt 0x0
	v_dual_add_nc_u32 v11, 8, v11 :: v_dual_add_nc_u32 v13, 8, v13
	s_wait_loadcnt_dscnt 0x0
	v_pk_mul_f32 v[118:119], v[116:117], v[114:115] op_sel:[1,1] op_sel_hi:[0,1]
	s_delay_alu instid0(VALU_DEP_1) | instskip(SKIP_2) | instid1(VALU_DEP_3)
	v_pk_fma_f32 v[120:121], v[116:117], v[114:115], v[118:119] op_sel_hi:[1,0,1]
	v_add_nc_u32_e32 v9, 1, v9
	v_pk_fma_f32 v[114:115], v[116:117], v[114:115], v[118:119] neg_lo:[0,0,1] neg_hi:[0,0,1]
	v_mov_b32_e32 v115, v121
	s_delay_alu instid0(VALU_DEP_3) | instskip(NEXT) | instid1(VALU_DEP_2)
	v_cmp_lt_u32_e32 vcc_lo, 2, v9
	v_pk_add_f32 v[112:113], v[112:113], v[114:115]
	s_or_b32 s1, vcc_lo, s1
	s_delay_alu instid0(SALU_CYCLE_1)
	s_and_not1_b32 exec_lo, exec_lo, s1
	s_cbranch_execnz .LBB53_29
; %bb.30:
	s_or_b32 exec_lo, exec_lo, s1
	v_mov_b32_e32 v9, 0
	ds_load_b64 v[114:115], v9 offset:32
	s_wait_dscnt 0x0
	v_pk_mul_f32 v[116:117], v[112:113], v[114:115] op_sel:[1,1] op_sel_hi:[0,1]
	s_delay_alu instid0(VALU_DEP_1) | instskip(SKIP_1) | instid1(VALU_DEP_2)
	v_pk_fma_f32 v[118:119], v[112:113], v[114:115], v[116:117] op_sel_hi:[1,0,1]
	v_pk_fma_f32 v[112:113], v[112:113], v[114:115], v[116:117] neg_lo:[0,0,1] neg_hi:[0,0,1]
	v_mov_b32_e32 v113, v119
	scratch_store_b64 off, v[112:113], off offset:32
.LBB53_31:
	s_wait_xcnt 0x0
	s_or_b32 exec_lo, exec_lo, s0
	s_wait_storecnt 0x0
	s_barrier_signal -1
	s_barrier_wait -1
	scratch_load_b64 v[112:113], off, off offset:40
	s_mov_b32 s0, exec_lo
	s_wait_loadcnt 0x0
	ds_store_b64 v1, v[112:113]
	s_wait_dscnt 0x0
	s_barrier_signal -1
	s_barrier_wait -1
	v_cmpx_gt_u32_e32 5, v0
	s_cbranch_execz .LBB53_35
; %bb.32:
	v_dual_mov_b32 v112, 0 :: v_dual_add_nc_u32 v9, -1, v0
	v_add_nc_u32_e32 v11, 0x1b0, v110
	v_mov_b32_e32 v13, v110
	s_mov_b32 s1, 0
	s_delay_alu instid0(VALU_DEP_3)
	v_mov_b32_e32 v113, v112
.LBB53_33:                              ; =>This Inner Loop Header: Depth=1
	scratch_load_b64 v[114:115], v13, off
	ds_load_b64 v[116:117], v11
	s_wait_xcnt 0x0
	v_dual_add_nc_u32 v11, 8, v11 :: v_dual_add_nc_u32 v13, 8, v13
	s_wait_loadcnt_dscnt 0x0
	v_pk_mul_f32 v[118:119], v[116:117], v[114:115] op_sel:[1,1] op_sel_hi:[0,1]
	s_delay_alu instid0(VALU_DEP_1) | instskip(SKIP_2) | instid1(VALU_DEP_3)
	v_pk_fma_f32 v[120:121], v[116:117], v[114:115], v[118:119] op_sel_hi:[1,0,1]
	v_add_nc_u32_e32 v9, 1, v9
	v_pk_fma_f32 v[114:115], v[116:117], v[114:115], v[118:119] neg_lo:[0,0,1] neg_hi:[0,0,1]
	v_mov_b32_e32 v115, v121
	s_delay_alu instid0(VALU_DEP_3) | instskip(NEXT) | instid1(VALU_DEP_2)
	v_cmp_lt_u32_e32 vcc_lo, 3, v9
	v_pk_add_f32 v[112:113], v[112:113], v[114:115]
	s_or_b32 s1, vcc_lo, s1
	s_delay_alu instid0(SALU_CYCLE_1)
	s_and_not1_b32 exec_lo, exec_lo, s1
	s_cbranch_execnz .LBB53_33
; %bb.34:
	s_or_b32 exec_lo, exec_lo, s1
	v_mov_b32_e32 v9, 0
	ds_load_b64 v[114:115], v9 offset:40
	s_wait_dscnt 0x0
	v_pk_mul_f32 v[116:117], v[112:113], v[114:115] op_sel:[1,1] op_sel_hi:[0,1]
	s_delay_alu instid0(VALU_DEP_1) | instskip(SKIP_1) | instid1(VALU_DEP_2)
	v_pk_fma_f32 v[118:119], v[112:113], v[114:115], v[116:117] op_sel_hi:[1,0,1]
	v_pk_fma_f32 v[112:113], v[112:113], v[114:115], v[116:117] neg_lo:[0,0,1] neg_hi:[0,0,1]
	v_mov_b32_e32 v113, v119
	scratch_store_b64 off, v[112:113], off offset:40
.LBB53_35:
	s_wait_xcnt 0x0
	s_or_b32 exec_lo, exec_lo, s0
	s_wait_storecnt 0x0
	s_barrier_signal -1
	s_barrier_wait -1
	scratch_load_b64 v[112:113], off, off offset:48
	s_mov_b32 s0, exec_lo
	s_wait_loadcnt 0x0
	ds_store_b64 v1, v[112:113]
	s_wait_dscnt 0x0
	s_barrier_signal -1
	s_barrier_wait -1
	v_cmpx_gt_u32_e32 6, v0
	s_cbranch_execz .LBB53_39
; %bb.36:
	v_dual_mov_b32 v112, 0 :: v_dual_add_nc_u32 v9, -1, v0
	v_add_nc_u32_e32 v11, 0x1b0, v110
	v_mov_b32_e32 v13, v110
	s_mov_b32 s1, 0
	s_delay_alu instid0(VALU_DEP_3)
	v_mov_b32_e32 v113, v112
.LBB53_37:                              ; =>This Inner Loop Header: Depth=1
	scratch_load_b64 v[114:115], v13, off
	ds_load_b64 v[116:117], v11
	s_wait_xcnt 0x0
	v_dual_add_nc_u32 v11, 8, v11 :: v_dual_add_nc_u32 v13, 8, v13
	s_wait_loadcnt_dscnt 0x0
	v_pk_mul_f32 v[118:119], v[116:117], v[114:115] op_sel:[1,1] op_sel_hi:[0,1]
	s_delay_alu instid0(VALU_DEP_1) | instskip(SKIP_2) | instid1(VALU_DEP_3)
	v_pk_fma_f32 v[120:121], v[116:117], v[114:115], v[118:119] op_sel_hi:[1,0,1]
	v_add_nc_u32_e32 v9, 1, v9
	v_pk_fma_f32 v[114:115], v[116:117], v[114:115], v[118:119] neg_lo:[0,0,1] neg_hi:[0,0,1]
	v_mov_b32_e32 v115, v121
	s_delay_alu instid0(VALU_DEP_3) | instskip(NEXT) | instid1(VALU_DEP_2)
	v_cmp_lt_u32_e32 vcc_lo, 4, v9
	v_pk_add_f32 v[112:113], v[112:113], v[114:115]
	s_or_b32 s1, vcc_lo, s1
	s_delay_alu instid0(SALU_CYCLE_1)
	s_and_not1_b32 exec_lo, exec_lo, s1
	s_cbranch_execnz .LBB53_37
; %bb.38:
	s_or_b32 exec_lo, exec_lo, s1
	v_mov_b32_e32 v9, 0
	ds_load_b64 v[114:115], v9 offset:48
	s_wait_dscnt 0x0
	v_pk_mul_f32 v[116:117], v[112:113], v[114:115] op_sel:[1,1] op_sel_hi:[0,1]
	s_delay_alu instid0(VALU_DEP_1) | instskip(SKIP_1) | instid1(VALU_DEP_2)
	v_pk_fma_f32 v[118:119], v[112:113], v[114:115], v[116:117] op_sel_hi:[1,0,1]
	v_pk_fma_f32 v[112:113], v[112:113], v[114:115], v[116:117] neg_lo:[0,0,1] neg_hi:[0,0,1]
	v_mov_b32_e32 v113, v119
	scratch_store_b64 off, v[112:113], off offset:48
.LBB53_39:
	s_wait_xcnt 0x0
	s_or_b32 exec_lo, exec_lo, s0
	s_wait_storecnt 0x0
	s_barrier_signal -1
	s_barrier_wait -1
	scratch_load_b64 v[112:113], off, off offset:56
	s_mov_b32 s0, exec_lo
	s_wait_loadcnt 0x0
	ds_store_b64 v1, v[112:113]
	s_wait_dscnt 0x0
	s_barrier_signal -1
	s_barrier_wait -1
	v_cmpx_gt_u32_e32 7, v0
	s_cbranch_execz .LBB53_43
; %bb.40:
	v_dual_mov_b32 v112, 0 :: v_dual_add_nc_u32 v9, -1, v0
	v_add_nc_u32_e32 v11, 0x1b0, v110
	v_mov_b32_e32 v13, v110
	s_mov_b32 s1, 0
	s_delay_alu instid0(VALU_DEP_3)
	v_mov_b32_e32 v113, v112
.LBB53_41:                              ; =>This Inner Loop Header: Depth=1
	scratch_load_b64 v[114:115], v13, off
	ds_load_b64 v[116:117], v11
	s_wait_xcnt 0x0
	v_dual_add_nc_u32 v11, 8, v11 :: v_dual_add_nc_u32 v13, 8, v13
	s_wait_loadcnt_dscnt 0x0
	v_pk_mul_f32 v[118:119], v[116:117], v[114:115] op_sel:[1,1] op_sel_hi:[0,1]
	s_delay_alu instid0(VALU_DEP_1) | instskip(SKIP_2) | instid1(VALU_DEP_3)
	v_pk_fma_f32 v[120:121], v[116:117], v[114:115], v[118:119] op_sel_hi:[1,0,1]
	v_add_nc_u32_e32 v9, 1, v9
	v_pk_fma_f32 v[114:115], v[116:117], v[114:115], v[118:119] neg_lo:[0,0,1] neg_hi:[0,0,1]
	v_mov_b32_e32 v115, v121
	s_delay_alu instid0(VALU_DEP_3) | instskip(NEXT) | instid1(VALU_DEP_2)
	v_cmp_lt_u32_e32 vcc_lo, 5, v9
	v_pk_add_f32 v[112:113], v[112:113], v[114:115]
	s_or_b32 s1, vcc_lo, s1
	s_delay_alu instid0(SALU_CYCLE_1)
	s_and_not1_b32 exec_lo, exec_lo, s1
	s_cbranch_execnz .LBB53_41
; %bb.42:
	s_or_b32 exec_lo, exec_lo, s1
	v_mov_b32_e32 v9, 0
	ds_load_b64 v[114:115], v9 offset:56
	s_wait_dscnt 0x0
	v_pk_mul_f32 v[116:117], v[112:113], v[114:115] op_sel:[1,1] op_sel_hi:[0,1]
	s_delay_alu instid0(VALU_DEP_1) | instskip(SKIP_1) | instid1(VALU_DEP_2)
	v_pk_fma_f32 v[118:119], v[112:113], v[114:115], v[116:117] op_sel_hi:[1,0,1]
	v_pk_fma_f32 v[112:113], v[112:113], v[114:115], v[116:117] neg_lo:[0,0,1] neg_hi:[0,0,1]
	v_mov_b32_e32 v113, v119
	scratch_store_b64 off, v[112:113], off offset:56
.LBB53_43:
	s_wait_xcnt 0x0
	s_or_b32 exec_lo, exec_lo, s0
	s_wait_storecnt 0x0
	s_barrier_signal -1
	s_barrier_wait -1
	scratch_load_b64 v[112:113], off, off offset:64
	s_mov_b32 s0, exec_lo
	s_wait_loadcnt 0x0
	ds_store_b64 v1, v[112:113]
	s_wait_dscnt 0x0
	s_barrier_signal -1
	s_barrier_wait -1
	v_cmpx_gt_u32_e32 8, v0
	s_cbranch_execz .LBB53_47
; %bb.44:
	v_dual_mov_b32 v112, 0 :: v_dual_add_nc_u32 v9, -1, v0
	v_add_nc_u32_e32 v11, 0x1b0, v110
	v_mov_b32_e32 v13, v110
	s_mov_b32 s1, 0
	s_delay_alu instid0(VALU_DEP_3)
	v_mov_b32_e32 v113, v112
.LBB53_45:                              ; =>This Inner Loop Header: Depth=1
	scratch_load_b64 v[114:115], v13, off
	ds_load_b64 v[116:117], v11
	s_wait_xcnt 0x0
	v_dual_add_nc_u32 v11, 8, v11 :: v_dual_add_nc_u32 v13, 8, v13
	s_wait_loadcnt_dscnt 0x0
	v_pk_mul_f32 v[118:119], v[116:117], v[114:115] op_sel:[1,1] op_sel_hi:[0,1]
	s_delay_alu instid0(VALU_DEP_1) | instskip(SKIP_2) | instid1(VALU_DEP_3)
	v_pk_fma_f32 v[120:121], v[116:117], v[114:115], v[118:119] op_sel_hi:[1,0,1]
	v_add_nc_u32_e32 v9, 1, v9
	v_pk_fma_f32 v[114:115], v[116:117], v[114:115], v[118:119] neg_lo:[0,0,1] neg_hi:[0,0,1]
	v_mov_b32_e32 v115, v121
	s_delay_alu instid0(VALU_DEP_3) | instskip(NEXT) | instid1(VALU_DEP_2)
	v_cmp_lt_u32_e32 vcc_lo, 6, v9
	v_pk_add_f32 v[112:113], v[112:113], v[114:115]
	s_or_b32 s1, vcc_lo, s1
	s_delay_alu instid0(SALU_CYCLE_1)
	s_and_not1_b32 exec_lo, exec_lo, s1
	s_cbranch_execnz .LBB53_45
; %bb.46:
	s_or_b32 exec_lo, exec_lo, s1
	v_mov_b32_e32 v9, 0
	ds_load_b64 v[114:115], v9 offset:64
	s_wait_dscnt 0x0
	v_pk_mul_f32 v[116:117], v[112:113], v[114:115] op_sel:[1,1] op_sel_hi:[0,1]
	s_delay_alu instid0(VALU_DEP_1) | instskip(SKIP_1) | instid1(VALU_DEP_2)
	v_pk_fma_f32 v[118:119], v[112:113], v[114:115], v[116:117] op_sel_hi:[1,0,1]
	v_pk_fma_f32 v[112:113], v[112:113], v[114:115], v[116:117] neg_lo:[0,0,1] neg_hi:[0,0,1]
	v_mov_b32_e32 v113, v119
	scratch_store_b64 off, v[112:113], off offset:64
.LBB53_47:
	s_wait_xcnt 0x0
	s_or_b32 exec_lo, exec_lo, s0
	s_wait_storecnt 0x0
	s_barrier_signal -1
	s_barrier_wait -1
	scratch_load_b64 v[112:113], off, off offset:72
	s_mov_b32 s0, exec_lo
	s_wait_loadcnt 0x0
	ds_store_b64 v1, v[112:113]
	s_wait_dscnt 0x0
	s_barrier_signal -1
	s_barrier_wait -1
	v_cmpx_gt_u32_e32 9, v0
	s_cbranch_execz .LBB53_51
; %bb.48:
	v_dual_mov_b32 v112, 0 :: v_dual_add_nc_u32 v9, -1, v0
	v_add_nc_u32_e32 v11, 0x1b0, v110
	v_mov_b32_e32 v13, v110
	s_mov_b32 s1, 0
	s_delay_alu instid0(VALU_DEP_3)
	v_mov_b32_e32 v113, v112
.LBB53_49:                              ; =>This Inner Loop Header: Depth=1
	scratch_load_b64 v[114:115], v13, off
	ds_load_b64 v[116:117], v11
	s_wait_xcnt 0x0
	v_dual_add_nc_u32 v11, 8, v11 :: v_dual_add_nc_u32 v13, 8, v13
	s_wait_loadcnt_dscnt 0x0
	v_pk_mul_f32 v[118:119], v[116:117], v[114:115] op_sel:[1,1] op_sel_hi:[0,1]
	s_delay_alu instid0(VALU_DEP_1) | instskip(SKIP_2) | instid1(VALU_DEP_3)
	v_pk_fma_f32 v[120:121], v[116:117], v[114:115], v[118:119] op_sel_hi:[1,0,1]
	v_add_nc_u32_e32 v9, 1, v9
	v_pk_fma_f32 v[114:115], v[116:117], v[114:115], v[118:119] neg_lo:[0,0,1] neg_hi:[0,0,1]
	v_mov_b32_e32 v115, v121
	s_delay_alu instid0(VALU_DEP_3) | instskip(NEXT) | instid1(VALU_DEP_2)
	v_cmp_lt_u32_e32 vcc_lo, 7, v9
	v_pk_add_f32 v[112:113], v[112:113], v[114:115]
	s_or_b32 s1, vcc_lo, s1
	s_delay_alu instid0(SALU_CYCLE_1)
	s_and_not1_b32 exec_lo, exec_lo, s1
	s_cbranch_execnz .LBB53_49
; %bb.50:
	s_or_b32 exec_lo, exec_lo, s1
	v_mov_b32_e32 v9, 0
	ds_load_b64 v[114:115], v9 offset:72
	s_wait_dscnt 0x0
	v_pk_mul_f32 v[116:117], v[112:113], v[114:115] op_sel:[1,1] op_sel_hi:[0,1]
	s_delay_alu instid0(VALU_DEP_1) | instskip(SKIP_1) | instid1(VALU_DEP_2)
	v_pk_fma_f32 v[118:119], v[112:113], v[114:115], v[116:117] op_sel_hi:[1,0,1]
	v_pk_fma_f32 v[112:113], v[112:113], v[114:115], v[116:117] neg_lo:[0,0,1] neg_hi:[0,0,1]
	v_mov_b32_e32 v113, v119
	scratch_store_b64 off, v[112:113], off offset:72
.LBB53_51:
	s_wait_xcnt 0x0
	s_or_b32 exec_lo, exec_lo, s0
	s_wait_storecnt 0x0
	s_barrier_signal -1
	s_barrier_wait -1
	scratch_load_b64 v[112:113], off, off offset:80
	s_mov_b32 s0, exec_lo
	s_wait_loadcnt 0x0
	ds_store_b64 v1, v[112:113]
	s_wait_dscnt 0x0
	s_barrier_signal -1
	s_barrier_wait -1
	v_cmpx_gt_u32_e32 10, v0
	s_cbranch_execz .LBB53_55
; %bb.52:
	v_dual_mov_b32 v112, 0 :: v_dual_add_nc_u32 v9, -1, v0
	v_add_nc_u32_e32 v11, 0x1b0, v110
	v_mov_b32_e32 v13, v110
	s_mov_b32 s1, 0
	s_delay_alu instid0(VALU_DEP_3)
	v_mov_b32_e32 v113, v112
.LBB53_53:                              ; =>This Inner Loop Header: Depth=1
	scratch_load_b64 v[114:115], v13, off
	ds_load_b64 v[116:117], v11
	s_wait_xcnt 0x0
	v_dual_add_nc_u32 v11, 8, v11 :: v_dual_add_nc_u32 v13, 8, v13
	s_wait_loadcnt_dscnt 0x0
	v_pk_mul_f32 v[118:119], v[116:117], v[114:115] op_sel:[1,1] op_sel_hi:[0,1]
	s_delay_alu instid0(VALU_DEP_1) | instskip(SKIP_2) | instid1(VALU_DEP_3)
	v_pk_fma_f32 v[120:121], v[116:117], v[114:115], v[118:119] op_sel_hi:[1,0,1]
	v_add_nc_u32_e32 v9, 1, v9
	v_pk_fma_f32 v[114:115], v[116:117], v[114:115], v[118:119] neg_lo:[0,0,1] neg_hi:[0,0,1]
	v_mov_b32_e32 v115, v121
	s_delay_alu instid0(VALU_DEP_3) | instskip(NEXT) | instid1(VALU_DEP_2)
	v_cmp_lt_u32_e32 vcc_lo, 8, v9
	v_pk_add_f32 v[112:113], v[112:113], v[114:115]
	s_or_b32 s1, vcc_lo, s1
	s_delay_alu instid0(SALU_CYCLE_1)
	s_and_not1_b32 exec_lo, exec_lo, s1
	s_cbranch_execnz .LBB53_53
; %bb.54:
	s_or_b32 exec_lo, exec_lo, s1
	v_mov_b32_e32 v9, 0
	ds_load_b64 v[114:115], v9 offset:80
	s_wait_dscnt 0x0
	v_pk_mul_f32 v[116:117], v[112:113], v[114:115] op_sel:[1,1] op_sel_hi:[0,1]
	s_delay_alu instid0(VALU_DEP_1) | instskip(SKIP_1) | instid1(VALU_DEP_2)
	v_pk_fma_f32 v[118:119], v[112:113], v[114:115], v[116:117] op_sel_hi:[1,0,1]
	v_pk_fma_f32 v[112:113], v[112:113], v[114:115], v[116:117] neg_lo:[0,0,1] neg_hi:[0,0,1]
	v_mov_b32_e32 v113, v119
	scratch_store_b64 off, v[112:113], off offset:80
.LBB53_55:
	s_wait_xcnt 0x0
	s_or_b32 exec_lo, exec_lo, s0
	s_wait_storecnt 0x0
	s_barrier_signal -1
	s_barrier_wait -1
	scratch_load_b64 v[112:113], off, off offset:88
	s_mov_b32 s0, exec_lo
	s_wait_loadcnt 0x0
	ds_store_b64 v1, v[112:113]
	s_wait_dscnt 0x0
	s_barrier_signal -1
	s_barrier_wait -1
	v_cmpx_gt_u32_e32 11, v0
	s_cbranch_execz .LBB53_59
; %bb.56:
	v_dual_mov_b32 v112, 0 :: v_dual_add_nc_u32 v9, -1, v0
	v_add_nc_u32_e32 v11, 0x1b0, v110
	v_mov_b32_e32 v13, v110
	s_mov_b32 s1, 0
	s_delay_alu instid0(VALU_DEP_3)
	v_mov_b32_e32 v113, v112
.LBB53_57:                              ; =>This Inner Loop Header: Depth=1
	scratch_load_b64 v[114:115], v13, off
	ds_load_b64 v[116:117], v11
	s_wait_xcnt 0x0
	v_dual_add_nc_u32 v11, 8, v11 :: v_dual_add_nc_u32 v13, 8, v13
	s_wait_loadcnt_dscnt 0x0
	v_pk_mul_f32 v[118:119], v[116:117], v[114:115] op_sel:[1,1] op_sel_hi:[0,1]
	s_delay_alu instid0(VALU_DEP_1) | instskip(SKIP_2) | instid1(VALU_DEP_3)
	v_pk_fma_f32 v[120:121], v[116:117], v[114:115], v[118:119] op_sel_hi:[1,0,1]
	v_add_nc_u32_e32 v9, 1, v9
	v_pk_fma_f32 v[114:115], v[116:117], v[114:115], v[118:119] neg_lo:[0,0,1] neg_hi:[0,0,1]
	v_mov_b32_e32 v115, v121
	s_delay_alu instid0(VALU_DEP_3) | instskip(NEXT) | instid1(VALU_DEP_2)
	v_cmp_lt_u32_e32 vcc_lo, 9, v9
	v_pk_add_f32 v[112:113], v[112:113], v[114:115]
	s_or_b32 s1, vcc_lo, s1
	s_delay_alu instid0(SALU_CYCLE_1)
	s_and_not1_b32 exec_lo, exec_lo, s1
	s_cbranch_execnz .LBB53_57
; %bb.58:
	s_or_b32 exec_lo, exec_lo, s1
	v_mov_b32_e32 v9, 0
	ds_load_b64 v[114:115], v9 offset:88
	s_wait_dscnt 0x0
	v_pk_mul_f32 v[116:117], v[112:113], v[114:115] op_sel:[1,1] op_sel_hi:[0,1]
	s_delay_alu instid0(VALU_DEP_1) | instskip(SKIP_1) | instid1(VALU_DEP_2)
	v_pk_fma_f32 v[118:119], v[112:113], v[114:115], v[116:117] op_sel_hi:[1,0,1]
	v_pk_fma_f32 v[112:113], v[112:113], v[114:115], v[116:117] neg_lo:[0,0,1] neg_hi:[0,0,1]
	v_mov_b32_e32 v113, v119
	scratch_store_b64 off, v[112:113], off offset:88
.LBB53_59:
	s_wait_xcnt 0x0
	s_or_b32 exec_lo, exec_lo, s0
	s_wait_storecnt 0x0
	s_barrier_signal -1
	s_barrier_wait -1
	scratch_load_b64 v[112:113], off, off offset:96
	s_mov_b32 s0, exec_lo
	s_wait_loadcnt 0x0
	ds_store_b64 v1, v[112:113]
	s_wait_dscnt 0x0
	s_barrier_signal -1
	s_barrier_wait -1
	v_cmpx_gt_u32_e32 12, v0
	s_cbranch_execz .LBB53_63
; %bb.60:
	v_dual_mov_b32 v112, 0 :: v_dual_add_nc_u32 v9, -1, v0
	v_add_nc_u32_e32 v11, 0x1b0, v110
	v_mov_b32_e32 v13, v110
	s_mov_b32 s1, 0
	s_delay_alu instid0(VALU_DEP_3)
	v_mov_b32_e32 v113, v112
.LBB53_61:                              ; =>This Inner Loop Header: Depth=1
	scratch_load_b64 v[114:115], v13, off
	ds_load_b64 v[116:117], v11
	s_wait_xcnt 0x0
	v_dual_add_nc_u32 v11, 8, v11 :: v_dual_add_nc_u32 v13, 8, v13
	s_wait_loadcnt_dscnt 0x0
	v_pk_mul_f32 v[118:119], v[116:117], v[114:115] op_sel:[1,1] op_sel_hi:[0,1]
	s_delay_alu instid0(VALU_DEP_1) | instskip(SKIP_2) | instid1(VALU_DEP_3)
	v_pk_fma_f32 v[120:121], v[116:117], v[114:115], v[118:119] op_sel_hi:[1,0,1]
	v_add_nc_u32_e32 v9, 1, v9
	v_pk_fma_f32 v[114:115], v[116:117], v[114:115], v[118:119] neg_lo:[0,0,1] neg_hi:[0,0,1]
	v_mov_b32_e32 v115, v121
	s_delay_alu instid0(VALU_DEP_3) | instskip(NEXT) | instid1(VALU_DEP_2)
	v_cmp_lt_u32_e32 vcc_lo, 10, v9
	v_pk_add_f32 v[112:113], v[112:113], v[114:115]
	s_or_b32 s1, vcc_lo, s1
	s_delay_alu instid0(SALU_CYCLE_1)
	s_and_not1_b32 exec_lo, exec_lo, s1
	s_cbranch_execnz .LBB53_61
; %bb.62:
	s_or_b32 exec_lo, exec_lo, s1
	v_mov_b32_e32 v9, 0
	ds_load_b64 v[114:115], v9 offset:96
	s_wait_dscnt 0x0
	v_pk_mul_f32 v[116:117], v[112:113], v[114:115] op_sel:[1,1] op_sel_hi:[0,1]
	s_delay_alu instid0(VALU_DEP_1) | instskip(SKIP_1) | instid1(VALU_DEP_2)
	v_pk_fma_f32 v[118:119], v[112:113], v[114:115], v[116:117] op_sel_hi:[1,0,1]
	v_pk_fma_f32 v[112:113], v[112:113], v[114:115], v[116:117] neg_lo:[0,0,1] neg_hi:[0,0,1]
	v_mov_b32_e32 v113, v119
	scratch_store_b64 off, v[112:113], off offset:96
.LBB53_63:
	s_wait_xcnt 0x0
	s_or_b32 exec_lo, exec_lo, s0
	s_wait_storecnt 0x0
	s_barrier_signal -1
	s_barrier_wait -1
	scratch_load_b64 v[112:113], off, off offset:104
	s_mov_b32 s0, exec_lo
	s_wait_loadcnt 0x0
	ds_store_b64 v1, v[112:113]
	s_wait_dscnt 0x0
	s_barrier_signal -1
	s_barrier_wait -1
	v_cmpx_gt_u32_e32 13, v0
	s_cbranch_execz .LBB53_67
; %bb.64:
	v_dual_mov_b32 v112, 0 :: v_dual_add_nc_u32 v9, -1, v0
	v_add_nc_u32_e32 v11, 0x1b0, v110
	v_mov_b32_e32 v13, v110
	s_mov_b32 s1, 0
	s_delay_alu instid0(VALU_DEP_3)
	v_mov_b32_e32 v113, v112
.LBB53_65:                              ; =>This Inner Loop Header: Depth=1
	scratch_load_b64 v[114:115], v13, off
	ds_load_b64 v[116:117], v11
	s_wait_xcnt 0x0
	v_dual_add_nc_u32 v11, 8, v11 :: v_dual_add_nc_u32 v13, 8, v13
	s_wait_loadcnt_dscnt 0x0
	v_pk_mul_f32 v[118:119], v[116:117], v[114:115] op_sel:[1,1] op_sel_hi:[0,1]
	s_delay_alu instid0(VALU_DEP_1) | instskip(SKIP_2) | instid1(VALU_DEP_3)
	v_pk_fma_f32 v[120:121], v[116:117], v[114:115], v[118:119] op_sel_hi:[1,0,1]
	v_add_nc_u32_e32 v9, 1, v9
	v_pk_fma_f32 v[114:115], v[116:117], v[114:115], v[118:119] neg_lo:[0,0,1] neg_hi:[0,0,1]
	v_mov_b32_e32 v115, v121
	s_delay_alu instid0(VALU_DEP_3) | instskip(NEXT) | instid1(VALU_DEP_2)
	v_cmp_lt_u32_e32 vcc_lo, 11, v9
	v_pk_add_f32 v[112:113], v[112:113], v[114:115]
	s_or_b32 s1, vcc_lo, s1
	s_delay_alu instid0(SALU_CYCLE_1)
	s_and_not1_b32 exec_lo, exec_lo, s1
	s_cbranch_execnz .LBB53_65
; %bb.66:
	s_or_b32 exec_lo, exec_lo, s1
	v_mov_b32_e32 v9, 0
	ds_load_b64 v[114:115], v9 offset:104
	s_wait_dscnt 0x0
	v_pk_mul_f32 v[116:117], v[112:113], v[114:115] op_sel:[1,1] op_sel_hi:[0,1]
	s_delay_alu instid0(VALU_DEP_1) | instskip(SKIP_1) | instid1(VALU_DEP_2)
	v_pk_fma_f32 v[118:119], v[112:113], v[114:115], v[116:117] op_sel_hi:[1,0,1]
	v_pk_fma_f32 v[112:113], v[112:113], v[114:115], v[116:117] neg_lo:[0,0,1] neg_hi:[0,0,1]
	v_mov_b32_e32 v113, v119
	scratch_store_b64 off, v[112:113], off offset:104
.LBB53_67:
	s_wait_xcnt 0x0
	s_or_b32 exec_lo, exec_lo, s0
	s_wait_storecnt 0x0
	s_barrier_signal -1
	s_barrier_wait -1
	scratch_load_b64 v[112:113], off, off offset:112
	s_mov_b32 s0, exec_lo
	s_wait_loadcnt 0x0
	ds_store_b64 v1, v[112:113]
	s_wait_dscnt 0x0
	s_barrier_signal -1
	s_barrier_wait -1
	v_cmpx_gt_u32_e32 14, v0
	s_cbranch_execz .LBB53_71
; %bb.68:
	v_dual_mov_b32 v112, 0 :: v_dual_add_nc_u32 v9, -1, v0
	v_add_nc_u32_e32 v11, 0x1b0, v110
	v_mov_b32_e32 v13, v110
	s_mov_b32 s1, 0
	s_delay_alu instid0(VALU_DEP_3)
	v_mov_b32_e32 v113, v112
.LBB53_69:                              ; =>This Inner Loop Header: Depth=1
	scratch_load_b64 v[114:115], v13, off
	ds_load_b64 v[116:117], v11
	s_wait_xcnt 0x0
	v_dual_add_nc_u32 v11, 8, v11 :: v_dual_add_nc_u32 v13, 8, v13
	s_wait_loadcnt_dscnt 0x0
	v_pk_mul_f32 v[118:119], v[116:117], v[114:115] op_sel:[1,1] op_sel_hi:[0,1]
	s_delay_alu instid0(VALU_DEP_1) | instskip(SKIP_2) | instid1(VALU_DEP_3)
	v_pk_fma_f32 v[120:121], v[116:117], v[114:115], v[118:119] op_sel_hi:[1,0,1]
	v_add_nc_u32_e32 v9, 1, v9
	v_pk_fma_f32 v[114:115], v[116:117], v[114:115], v[118:119] neg_lo:[0,0,1] neg_hi:[0,0,1]
	v_mov_b32_e32 v115, v121
	s_delay_alu instid0(VALU_DEP_3) | instskip(NEXT) | instid1(VALU_DEP_2)
	v_cmp_lt_u32_e32 vcc_lo, 12, v9
	v_pk_add_f32 v[112:113], v[112:113], v[114:115]
	s_or_b32 s1, vcc_lo, s1
	s_delay_alu instid0(SALU_CYCLE_1)
	s_and_not1_b32 exec_lo, exec_lo, s1
	s_cbranch_execnz .LBB53_69
; %bb.70:
	s_or_b32 exec_lo, exec_lo, s1
	v_mov_b32_e32 v9, 0
	ds_load_b64 v[114:115], v9 offset:112
	s_wait_dscnt 0x0
	v_pk_mul_f32 v[116:117], v[112:113], v[114:115] op_sel:[1,1] op_sel_hi:[0,1]
	s_delay_alu instid0(VALU_DEP_1) | instskip(SKIP_1) | instid1(VALU_DEP_2)
	v_pk_fma_f32 v[118:119], v[112:113], v[114:115], v[116:117] op_sel_hi:[1,0,1]
	v_pk_fma_f32 v[112:113], v[112:113], v[114:115], v[116:117] neg_lo:[0,0,1] neg_hi:[0,0,1]
	v_mov_b32_e32 v113, v119
	scratch_store_b64 off, v[112:113], off offset:112
.LBB53_71:
	s_wait_xcnt 0x0
	s_or_b32 exec_lo, exec_lo, s0
	s_wait_storecnt 0x0
	s_barrier_signal -1
	s_barrier_wait -1
	scratch_load_b64 v[112:113], off, off offset:120
	s_mov_b32 s0, exec_lo
	s_wait_loadcnt 0x0
	ds_store_b64 v1, v[112:113]
	s_wait_dscnt 0x0
	s_barrier_signal -1
	s_barrier_wait -1
	v_cmpx_gt_u32_e32 15, v0
	s_cbranch_execz .LBB53_75
; %bb.72:
	v_dual_mov_b32 v112, 0 :: v_dual_add_nc_u32 v9, -1, v0
	v_add_nc_u32_e32 v11, 0x1b0, v110
	v_mov_b32_e32 v13, v110
	s_mov_b32 s1, 0
	s_delay_alu instid0(VALU_DEP_3)
	v_mov_b32_e32 v113, v112
.LBB53_73:                              ; =>This Inner Loop Header: Depth=1
	scratch_load_b64 v[114:115], v13, off
	ds_load_b64 v[116:117], v11
	s_wait_xcnt 0x0
	v_dual_add_nc_u32 v11, 8, v11 :: v_dual_add_nc_u32 v13, 8, v13
	s_wait_loadcnt_dscnt 0x0
	v_pk_mul_f32 v[118:119], v[116:117], v[114:115] op_sel:[1,1] op_sel_hi:[0,1]
	s_delay_alu instid0(VALU_DEP_1) | instskip(SKIP_2) | instid1(VALU_DEP_3)
	v_pk_fma_f32 v[120:121], v[116:117], v[114:115], v[118:119] op_sel_hi:[1,0,1]
	v_add_nc_u32_e32 v9, 1, v9
	v_pk_fma_f32 v[114:115], v[116:117], v[114:115], v[118:119] neg_lo:[0,0,1] neg_hi:[0,0,1]
	v_mov_b32_e32 v115, v121
	s_delay_alu instid0(VALU_DEP_3) | instskip(NEXT) | instid1(VALU_DEP_2)
	v_cmp_lt_u32_e32 vcc_lo, 13, v9
	v_pk_add_f32 v[112:113], v[112:113], v[114:115]
	s_or_b32 s1, vcc_lo, s1
	s_delay_alu instid0(SALU_CYCLE_1)
	s_and_not1_b32 exec_lo, exec_lo, s1
	s_cbranch_execnz .LBB53_73
; %bb.74:
	s_or_b32 exec_lo, exec_lo, s1
	v_mov_b32_e32 v9, 0
	ds_load_b64 v[114:115], v9 offset:120
	s_wait_dscnt 0x0
	v_pk_mul_f32 v[116:117], v[112:113], v[114:115] op_sel:[1,1] op_sel_hi:[0,1]
	s_delay_alu instid0(VALU_DEP_1) | instskip(SKIP_1) | instid1(VALU_DEP_2)
	v_pk_fma_f32 v[118:119], v[112:113], v[114:115], v[116:117] op_sel_hi:[1,0,1]
	v_pk_fma_f32 v[112:113], v[112:113], v[114:115], v[116:117] neg_lo:[0,0,1] neg_hi:[0,0,1]
	v_mov_b32_e32 v113, v119
	scratch_store_b64 off, v[112:113], off offset:120
.LBB53_75:
	s_wait_xcnt 0x0
	s_or_b32 exec_lo, exec_lo, s0
	s_wait_storecnt 0x0
	s_barrier_signal -1
	s_barrier_wait -1
	scratch_load_b64 v[112:113], off, off offset:128
	s_mov_b32 s0, exec_lo
	s_wait_loadcnt 0x0
	ds_store_b64 v1, v[112:113]
	s_wait_dscnt 0x0
	s_barrier_signal -1
	s_barrier_wait -1
	v_cmpx_gt_u32_e32 16, v0
	s_cbranch_execz .LBB53_79
; %bb.76:
	v_dual_mov_b32 v112, 0 :: v_dual_add_nc_u32 v9, -1, v0
	v_add_nc_u32_e32 v11, 0x1b0, v110
	v_mov_b32_e32 v13, v110
	s_mov_b32 s1, 0
	s_delay_alu instid0(VALU_DEP_3)
	v_mov_b32_e32 v113, v112
.LBB53_77:                              ; =>This Inner Loop Header: Depth=1
	scratch_load_b64 v[114:115], v13, off
	ds_load_b64 v[116:117], v11
	s_wait_xcnt 0x0
	v_dual_add_nc_u32 v11, 8, v11 :: v_dual_add_nc_u32 v13, 8, v13
	s_wait_loadcnt_dscnt 0x0
	v_pk_mul_f32 v[118:119], v[116:117], v[114:115] op_sel:[1,1] op_sel_hi:[0,1]
	s_delay_alu instid0(VALU_DEP_1) | instskip(SKIP_2) | instid1(VALU_DEP_3)
	v_pk_fma_f32 v[120:121], v[116:117], v[114:115], v[118:119] op_sel_hi:[1,0,1]
	v_add_nc_u32_e32 v9, 1, v9
	v_pk_fma_f32 v[114:115], v[116:117], v[114:115], v[118:119] neg_lo:[0,0,1] neg_hi:[0,0,1]
	v_mov_b32_e32 v115, v121
	s_delay_alu instid0(VALU_DEP_3) | instskip(NEXT) | instid1(VALU_DEP_2)
	v_cmp_lt_u32_e32 vcc_lo, 14, v9
	v_pk_add_f32 v[112:113], v[112:113], v[114:115]
	s_or_b32 s1, vcc_lo, s1
	s_delay_alu instid0(SALU_CYCLE_1)
	s_and_not1_b32 exec_lo, exec_lo, s1
	s_cbranch_execnz .LBB53_77
; %bb.78:
	s_or_b32 exec_lo, exec_lo, s1
	v_mov_b32_e32 v9, 0
	ds_load_b64 v[114:115], v9 offset:128
	s_wait_dscnt 0x0
	v_pk_mul_f32 v[116:117], v[112:113], v[114:115] op_sel:[1,1] op_sel_hi:[0,1]
	s_delay_alu instid0(VALU_DEP_1) | instskip(SKIP_1) | instid1(VALU_DEP_2)
	v_pk_fma_f32 v[118:119], v[112:113], v[114:115], v[116:117] op_sel_hi:[1,0,1]
	v_pk_fma_f32 v[112:113], v[112:113], v[114:115], v[116:117] neg_lo:[0,0,1] neg_hi:[0,0,1]
	v_mov_b32_e32 v113, v119
	scratch_store_b64 off, v[112:113], off offset:128
.LBB53_79:
	s_wait_xcnt 0x0
	s_or_b32 exec_lo, exec_lo, s0
	s_wait_storecnt 0x0
	s_barrier_signal -1
	s_barrier_wait -1
	scratch_load_b64 v[112:113], off, off offset:136
	s_mov_b32 s0, exec_lo
	s_wait_loadcnt 0x0
	ds_store_b64 v1, v[112:113]
	s_wait_dscnt 0x0
	s_barrier_signal -1
	s_barrier_wait -1
	v_cmpx_gt_u32_e32 17, v0
	s_cbranch_execz .LBB53_83
; %bb.80:
	v_dual_mov_b32 v112, 0 :: v_dual_add_nc_u32 v9, -1, v0
	v_add_nc_u32_e32 v11, 0x1b0, v110
	v_mov_b32_e32 v13, v110
	s_mov_b32 s1, 0
	s_delay_alu instid0(VALU_DEP_3)
	v_mov_b32_e32 v113, v112
.LBB53_81:                              ; =>This Inner Loop Header: Depth=1
	scratch_load_b64 v[114:115], v13, off
	ds_load_b64 v[116:117], v11
	s_wait_xcnt 0x0
	v_dual_add_nc_u32 v11, 8, v11 :: v_dual_add_nc_u32 v13, 8, v13
	s_wait_loadcnt_dscnt 0x0
	v_pk_mul_f32 v[118:119], v[116:117], v[114:115] op_sel:[1,1] op_sel_hi:[0,1]
	s_delay_alu instid0(VALU_DEP_1) | instskip(SKIP_2) | instid1(VALU_DEP_3)
	v_pk_fma_f32 v[120:121], v[116:117], v[114:115], v[118:119] op_sel_hi:[1,0,1]
	v_add_nc_u32_e32 v9, 1, v9
	v_pk_fma_f32 v[114:115], v[116:117], v[114:115], v[118:119] neg_lo:[0,0,1] neg_hi:[0,0,1]
	v_mov_b32_e32 v115, v121
	s_delay_alu instid0(VALU_DEP_3) | instskip(NEXT) | instid1(VALU_DEP_2)
	v_cmp_lt_u32_e32 vcc_lo, 15, v9
	v_pk_add_f32 v[112:113], v[112:113], v[114:115]
	s_or_b32 s1, vcc_lo, s1
	s_delay_alu instid0(SALU_CYCLE_1)
	s_and_not1_b32 exec_lo, exec_lo, s1
	s_cbranch_execnz .LBB53_81
; %bb.82:
	s_or_b32 exec_lo, exec_lo, s1
	v_mov_b32_e32 v9, 0
	ds_load_b64 v[114:115], v9 offset:136
	s_wait_dscnt 0x0
	v_pk_mul_f32 v[116:117], v[112:113], v[114:115] op_sel:[1,1] op_sel_hi:[0,1]
	s_delay_alu instid0(VALU_DEP_1) | instskip(SKIP_1) | instid1(VALU_DEP_2)
	v_pk_fma_f32 v[118:119], v[112:113], v[114:115], v[116:117] op_sel_hi:[1,0,1]
	v_pk_fma_f32 v[112:113], v[112:113], v[114:115], v[116:117] neg_lo:[0,0,1] neg_hi:[0,0,1]
	v_mov_b32_e32 v113, v119
	scratch_store_b64 off, v[112:113], off offset:136
.LBB53_83:
	s_wait_xcnt 0x0
	s_or_b32 exec_lo, exec_lo, s0
	s_wait_storecnt 0x0
	s_barrier_signal -1
	s_barrier_wait -1
	scratch_load_b64 v[112:113], off, off offset:144
	s_mov_b32 s0, exec_lo
	s_wait_loadcnt 0x0
	ds_store_b64 v1, v[112:113]
	s_wait_dscnt 0x0
	s_barrier_signal -1
	s_barrier_wait -1
	v_cmpx_gt_u32_e32 18, v0
	s_cbranch_execz .LBB53_87
; %bb.84:
	v_dual_mov_b32 v112, 0 :: v_dual_add_nc_u32 v9, -1, v0
	v_add_nc_u32_e32 v11, 0x1b0, v110
	v_mov_b32_e32 v13, v110
	s_mov_b32 s1, 0
	s_delay_alu instid0(VALU_DEP_3)
	v_mov_b32_e32 v113, v112
.LBB53_85:                              ; =>This Inner Loop Header: Depth=1
	scratch_load_b64 v[114:115], v13, off
	ds_load_b64 v[116:117], v11
	s_wait_xcnt 0x0
	v_dual_add_nc_u32 v11, 8, v11 :: v_dual_add_nc_u32 v13, 8, v13
	s_wait_loadcnt_dscnt 0x0
	v_pk_mul_f32 v[118:119], v[116:117], v[114:115] op_sel:[1,1] op_sel_hi:[0,1]
	s_delay_alu instid0(VALU_DEP_1) | instskip(SKIP_2) | instid1(VALU_DEP_3)
	v_pk_fma_f32 v[120:121], v[116:117], v[114:115], v[118:119] op_sel_hi:[1,0,1]
	v_add_nc_u32_e32 v9, 1, v9
	v_pk_fma_f32 v[114:115], v[116:117], v[114:115], v[118:119] neg_lo:[0,0,1] neg_hi:[0,0,1]
	v_mov_b32_e32 v115, v121
	s_delay_alu instid0(VALU_DEP_3) | instskip(NEXT) | instid1(VALU_DEP_2)
	v_cmp_lt_u32_e32 vcc_lo, 16, v9
	v_pk_add_f32 v[112:113], v[112:113], v[114:115]
	s_or_b32 s1, vcc_lo, s1
	s_delay_alu instid0(SALU_CYCLE_1)
	s_and_not1_b32 exec_lo, exec_lo, s1
	s_cbranch_execnz .LBB53_85
; %bb.86:
	s_or_b32 exec_lo, exec_lo, s1
	v_mov_b32_e32 v9, 0
	ds_load_b64 v[114:115], v9 offset:144
	s_wait_dscnt 0x0
	v_pk_mul_f32 v[116:117], v[112:113], v[114:115] op_sel:[1,1] op_sel_hi:[0,1]
	s_delay_alu instid0(VALU_DEP_1) | instskip(SKIP_1) | instid1(VALU_DEP_2)
	v_pk_fma_f32 v[118:119], v[112:113], v[114:115], v[116:117] op_sel_hi:[1,0,1]
	v_pk_fma_f32 v[112:113], v[112:113], v[114:115], v[116:117] neg_lo:[0,0,1] neg_hi:[0,0,1]
	v_mov_b32_e32 v113, v119
	scratch_store_b64 off, v[112:113], off offset:144
.LBB53_87:
	s_wait_xcnt 0x0
	s_or_b32 exec_lo, exec_lo, s0
	s_wait_storecnt 0x0
	s_barrier_signal -1
	s_barrier_wait -1
	scratch_load_b64 v[112:113], off, off offset:152
	s_mov_b32 s0, exec_lo
	s_wait_loadcnt 0x0
	ds_store_b64 v1, v[112:113]
	s_wait_dscnt 0x0
	s_barrier_signal -1
	s_barrier_wait -1
	v_cmpx_gt_u32_e32 19, v0
	s_cbranch_execz .LBB53_91
; %bb.88:
	v_dual_mov_b32 v112, 0 :: v_dual_add_nc_u32 v9, -1, v0
	v_add_nc_u32_e32 v11, 0x1b0, v110
	v_mov_b32_e32 v13, v110
	s_mov_b32 s1, 0
	s_delay_alu instid0(VALU_DEP_3)
	v_mov_b32_e32 v113, v112
.LBB53_89:                              ; =>This Inner Loop Header: Depth=1
	scratch_load_b64 v[114:115], v13, off
	ds_load_b64 v[116:117], v11
	s_wait_xcnt 0x0
	v_dual_add_nc_u32 v11, 8, v11 :: v_dual_add_nc_u32 v13, 8, v13
	s_wait_loadcnt_dscnt 0x0
	v_pk_mul_f32 v[118:119], v[116:117], v[114:115] op_sel:[1,1] op_sel_hi:[0,1]
	s_delay_alu instid0(VALU_DEP_1) | instskip(SKIP_2) | instid1(VALU_DEP_3)
	v_pk_fma_f32 v[120:121], v[116:117], v[114:115], v[118:119] op_sel_hi:[1,0,1]
	v_add_nc_u32_e32 v9, 1, v9
	v_pk_fma_f32 v[114:115], v[116:117], v[114:115], v[118:119] neg_lo:[0,0,1] neg_hi:[0,0,1]
	v_mov_b32_e32 v115, v121
	s_delay_alu instid0(VALU_DEP_3) | instskip(NEXT) | instid1(VALU_DEP_2)
	v_cmp_lt_u32_e32 vcc_lo, 17, v9
	v_pk_add_f32 v[112:113], v[112:113], v[114:115]
	s_or_b32 s1, vcc_lo, s1
	s_delay_alu instid0(SALU_CYCLE_1)
	s_and_not1_b32 exec_lo, exec_lo, s1
	s_cbranch_execnz .LBB53_89
; %bb.90:
	s_or_b32 exec_lo, exec_lo, s1
	v_mov_b32_e32 v9, 0
	ds_load_b64 v[114:115], v9 offset:152
	s_wait_dscnt 0x0
	v_pk_mul_f32 v[116:117], v[112:113], v[114:115] op_sel:[1,1] op_sel_hi:[0,1]
	s_delay_alu instid0(VALU_DEP_1) | instskip(SKIP_1) | instid1(VALU_DEP_2)
	v_pk_fma_f32 v[118:119], v[112:113], v[114:115], v[116:117] op_sel_hi:[1,0,1]
	v_pk_fma_f32 v[112:113], v[112:113], v[114:115], v[116:117] neg_lo:[0,0,1] neg_hi:[0,0,1]
	v_mov_b32_e32 v113, v119
	scratch_store_b64 off, v[112:113], off offset:152
.LBB53_91:
	s_wait_xcnt 0x0
	s_or_b32 exec_lo, exec_lo, s0
	s_wait_storecnt 0x0
	s_barrier_signal -1
	s_barrier_wait -1
	scratch_load_b64 v[112:113], off, off offset:160
	s_mov_b32 s0, exec_lo
	s_wait_loadcnt 0x0
	ds_store_b64 v1, v[112:113]
	s_wait_dscnt 0x0
	s_barrier_signal -1
	s_barrier_wait -1
	v_cmpx_gt_u32_e32 20, v0
	s_cbranch_execz .LBB53_95
; %bb.92:
	v_dual_mov_b32 v112, 0 :: v_dual_add_nc_u32 v9, -1, v0
	v_add_nc_u32_e32 v11, 0x1b0, v110
	v_mov_b32_e32 v13, v110
	s_mov_b32 s1, 0
	s_delay_alu instid0(VALU_DEP_3)
	v_mov_b32_e32 v113, v112
.LBB53_93:                              ; =>This Inner Loop Header: Depth=1
	scratch_load_b64 v[114:115], v13, off
	ds_load_b64 v[116:117], v11
	s_wait_xcnt 0x0
	v_dual_add_nc_u32 v11, 8, v11 :: v_dual_add_nc_u32 v13, 8, v13
	s_wait_loadcnt_dscnt 0x0
	v_pk_mul_f32 v[118:119], v[116:117], v[114:115] op_sel:[1,1] op_sel_hi:[0,1]
	s_delay_alu instid0(VALU_DEP_1) | instskip(SKIP_2) | instid1(VALU_DEP_3)
	v_pk_fma_f32 v[120:121], v[116:117], v[114:115], v[118:119] op_sel_hi:[1,0,1]
	v_add_nc_u32_e32 v9, 1, v9
	v_pk_fma_f32 v[114:115], v[116:117], v[114:115], v[118:119] neg_lo:[0,0,1] neg_hi:[0,0,1]
	v_mov_b32_e32 v115, v121
	s_delay_alu instid0(VALU_DEP_3) | instskip(NEXT) | instid1(VALU_DEP_2)
	v_cmp_lt_u32_e32 vcc_lo, 18, v9
	v_pk_add_f32 v[112:113], v[112:113], v[114:115]
	s_or_b32 s1, vcc_lo, s1
	s_delay_alu instid0(SALU_CYCLE_1)
	s_and_not1_b32 exec_lo, exec_lo, s1
	s_cbranch_execnz .LBB53_93
; %bb.94:
	s_or_b32 exec_lo, exec_lo, s1
	v_mov_b32_e32 v9, 0
	ds_load_b64 v[114:115], v9 offset:160
	s_wait_dscnt 0x0
	v_pk_mul_f32 v[116:117], v[112:113], v[114:115] op_sel:[1,1] op_sel_hi:[0,1]
	s_delay_alu instid0(VALU_DEP_1) | instskip(SKIP_1) | instid1(VALU_DEP_2)
	v_pk_fma_f32 v[118:119], v[112:113], v[114:115], v[116:117] op_sel_hi:[1,0,1]
	v_pk_fma_f32 v[112:113], v[112:113], v[114:115], v[116:117] neg_lo:[0,0,1] neg_hi:[0,0,1]
	v_mov_b32_e32 v113, v119
	scratch_store_b64 off, v[112:113], off offset:160
.LBB53_95:
	s_wait_xcnt 0x0
	s_or_b32 exec_lo, exec_lo, s0
	s_wait_storecnt 0x0
	s_barrier_signal -1
	s_barrier_wait -1
	scratch_load_b64 v[112:113], off, off offset:168
	s_mov_b32 s0, exec_lo
	s_wait_loadcnt 0x0
	ds_store_b64 v1, v[112:113]
	s_wait_dscnt 0x0
	s_barrier_signal -1
	s_barrier_wait -1
	v_cmpx_gt_u32_e32 21, v0
	s_cbranch_execz .LBB53_99
; %bb.96:
	v_dual_mov_b32 v112, 0 :: v_dual_add_nc_u32 v9, -1, v0
	v_add_nc_u32_e32 v11, 0x1b0, v110
	v_mov_b32_e32 v13, v110
	s_mov_b32 s1, 0
	s_delay_alu instid0(VALU_DEP_3)
	v_mov_b32_e32 v113, v112
.LBB53_97:                              ; =>This Inner Loop Header: Depth=1
	scratch_load_b64 v[114:115], v13, off
	ds_load_b64 v[116:117], v11
	s_wait_xcnt 0x0
	v_dual_add_nc_u32 v11, 8, v11 :: v_dual_add_nc_u32 v13, 8, v13
	s_wait_loadcnt_dscnt 0x0
	v_pk_mul_f32 v[118:119], v[116:117], v[114:115] op_sel:[1,1] op_sel_hi:[0,1]
	s_delay_alu instid0(VALU_DEP_1) | instskip(SKIP_2) | instid1(VALU_DEP_3)
	v_pk_fma_f32 v[120:121], v[116:117], v[114:115], v[118:119] op_sel_hi:[1,0,1]
	v_add_nc_u32_e32 v9, 1, v9
	v_pk_fma_f32 v[114:115], v[116:117], v[114:115], v[118:119] neg_lo:[0,0,1] neg_hi:[0,0,1]
	v_mov_b32_e32 v115, v121
	s_delay_alu instid0(VALU_DEP_3) | instskip(NEXT) | instid1(VALU_DEP_2)
	v_cmp_lt_u32_e32 vcc_lo, 19, v9
	v_pk_add_f32 v[112:113], v[112:113], v[114:115]
	s_or_b32 s1, vcc_lo, s1
	s_delay_alu instid0(SALU_CYCLE_1)
	s_and_not1_b32 exec_lo, exec_lo, s1
	s_cbranch_execnz .LBB53_97
; %bb.98:
	s_or_b32 exec_lo, exec_lo, s1
	v_mov_b32_e32 v9, 0
	ds_load_b64 v[114:115], v9 offset:168
	s_wait_dscnt 0x0
	v_pk_mul_f32 v[116:117], v[112:113], v[114:115] op_sel:[1,1] op_sel_hi:[0,1]
	s_delay_alu instid0(VALU_DEP_1) | instskip(SKIP_1) | instid1(VALU_DEP_2)
	v_pk_fma_f32 v[118:119], v[112:113], v[114:115], v[116:117] op_sel_hi:[1,0,1]
	v_pk_fma_f32 v[112:113], v[112:113], v[114:115], v[116:117] neg_lo:[0,0,1] neg_hi:[0,0,1]
	v_mov_b32_e32 v113, v119
	scratch_store_b64 off, v[112:113], off offset:168
.LBB53_99:
	s_wait_xcnt 0x0
	s_or_b32 exec_lo, exec_lo, s0
	s_wait_storecnt 0x0
	s_barrier_signal -1
	s_barrier_wait -1
	scratch_load_b64 v[112:113], off, off offset:176
	s_mov_b32 s0, exec_lo
	s_wait_loadcnt 0x0
	ds_store_b64 v1, v[112:113]
	s_wait_dscnt 0x0
	s_barrier_signal -1
	s_barrier_wait -1
	v_cmpx_gt_u32_e32 22, v0
	s_cbranch_execz .LBB53_103
; %bb.100:
	v_dual_mov_b32 v112, 0 :: v_dual_add_nc_u32 v9, -1, v0
	v_add_nc_u32_e32 v11, 0x1b0, v110
	v_mov_b32_e32 v13, v110
	s_mov_b32 s1, 0
	s_delay_alu instid0(VALU_DEP_3)
	v_mov_b32_e32 v113, v112
.LBB53_101:                             ; =>This Inner Loop Header: Depth=1
	scratch_load_b64 v[114:115], v13, off
	ds_load_b64 v[116:117], v11
	s_wait_xcnt 0x0
	v_dual_add_nc_u32 v11, 8, v11 :: v_dual_add_nc_u32 v13, 8, v13
	s_wait_loadcnt_dscnt 0x0
	v_pk_mul_f32 v[118:119], v[116:117], v[114:115] op_sel:[1,1] op_sel_hi:[0,1]
	s_delay_alu instid0(VALU_DEP_1) | instskip(SKIP_2) | instid1(VALU_DEP_3)
	v_pk_fma_f32 v[120:121], v[116:117], v[114:115], v[118:119] op_sel_hi:[1,0,1]
	v_add_nc_u32_e32 v9, 1, v9
	v_pk_fma_f32 v[114:115], v[116:117], v[114:115], v[118:119] neg_lo:[0,0,1] neg_hi:[0,0,1]
	v_mov_b32_e32 v115, v121
	s_delay_alu instid0(VALU_DEP_3) | instskip(NEXT) | instid1(VALU_DEP_2)
	v_cmp_lt_u32_e32 vcc_lo, 20, v9
	v_pk_add_f32 v[112:113], v[112:113], v[114:115]
	s_or_b32 s1, vcc_lo, s1
	s_delay_alu instid0(SALU_CYCLE_1)
	s_and_not1_b32 exec_lo, exec_lo, s1
	s_cbranch_execnz .LBB53_101
; %bb.102:
	s_or_b32 exec_lo, exec_lo, s1
	v_mov_b32_e32 v9, 0
	ds_load_b64 v[114:115], v9 offset:176
	s_wait_dscnt 0x0
	v_pk_mul_f32 v[116:117], v[112:113], v[114:115] op_sel:[1,1] op_sel_hi:[0,1]
	s_delay_alu instid0(VALU_DEP_1) | instskip(SKIP_1) | instid1(VALU_DEP_2)
	v_pk_fma_f32 v[118:119], v[112:113], v[114:115], v[116:117] op_sel_hi:[1,0,1]
	v_pk_fma_f32 v[112:113], v[112:113], v[114:115], v[116:117] neg_lo:[0,0,1] neg_hi:[0,0,1]
	v_mov_b32_e32 v113, v119
	scratch_store_b64 off, v[112:113], off offset:176
.LBB53_103:
	s_wait_xcnt 0x0
	s_or_b32 exec_lo, exec_lo, s0
	s_wait_storecnt 0x0
	s_barrier_signal -1
	s_barrier_wait -1
	scratch_load_b64 v[112:113], off, off offset:184
	s_mov_b32 s0, exec_lo
	s_wait_loadcnt 0x0
	ds_store_b64 v1, v[112:113]
	s_wait_dscnt 0x0
	s_barrier_signal -1
	s_barrier_wait -1
	v_cmpx_gt_u32_e32 23, v0
	s_cbranch_execz .LBB53_107
; %bb.104:
	v_dual_mov_b32 v112, 0 :: v_dual_add_nc_u32 v9, -1, v0
	v_add_nc_u32_e32 v11, 0x1b0, v110
	v_mov_b32_e32 v13, v110
	s_mov_b32 s1, 0
	s_delay_alu instid0(VALU_DEP_3)
	v_mov_b32_e32 v113, v112
.LBB53_105:                             ; =>This Inner Loop Header: Depth=1
	scratch_load_b64 v[114:115], v13, off
	ds_load_b64 v[116:117], v11
	s_wait_xcnt 0x0
	v_dual_add_nc_u32 v11, 8, v11 :: v_dual_add_nc_u32 v13, 8, v13
	s_wait_loadcnt_dscnt 0x0
	v_pk_mul_f32 v[118:119], v[116:117], v[114:115] op_sel:[1,1] op_sel_hi:[0,1]
	s_delay_alu instid0(VALU_DEP_1) | instskip(SKIP_2) | instid1(VALU_DEP_3)
	v_pk_fma_f32 v[120:121], v[116:117], v[114:115], v[118:119] op_sel_hi:[1,0,1]
	v_add_nc_u32_e32 v9, 1, v9
	v_pk_fma_f32 v[114:115], v[116:117], v[114:115], v[118:119] neg_lo:[0,0,1] neg_hi:[0,0,1]
	v_mov_b32_e32 v115, v121
	s_delay_alu instid0(VALU_DEP_3) | instskip(NEXT) | instid1(VALU_DEP_2)
	v_cmp_lt_u32_e32 vcc_lo, 21, v9
	v_pk_add_f32 v[112:113], v[112:113], v[114:115]
	s_or_b32 s1, vcc_lo, s1
	s_delay_alu instid0(SALU_CYCLE_1)
	s_and_not1_b32 exec_lo, exec_lo, s1
	s_cbranch_execnz .LBB53_105
; %bb.106:
	s_or_b32 exec_lo, exec_lo, s1
	v_mov_b32_e32 v9, 0
	ds_load_b64 v[114:115], v9 offset:184
	s_wait_dscnt 0x0
	v_pk_mul_f32 v[116:117], v[112:113], v[114:115] op_sel:[1,1] op_sel_hi:[0,1]
	s_delay_alu instid0(VALU_DEP_1) | instskip(SKIP_1) | instid1(VALU_DEP_2)
	v_pk_fma_f32 v[118:119], v[112:113], v[114:115], v[116:117] op_sel_hi:[1,0,1]
	v_pk_fma_f32 v[112:113], v[112:113], v[114:115], v[116:117] neg_lo:[0,0,1] neg_hi:[0,0,1]
	v_mov_b32_e32 v113, v119
	scratch_store_b64 off, v[112:113], off offset:184
.LBB53_107:
	s_wait_xcnt 0x0
	s_or_b32 exec_lo, exec_lo, s0
	s_wait_storecnt 0x0
	s_barrier_signal -1
	s_barrier_wait -1
	scratch_load_b64 v[112:113], off, off offset:192
	;; [unrolled: 52-line block ×31, first 2 shown]
	s_mov_b32 s0, exec_lo
	s_wait_loadcnt 0x0
	ds_store_b64 v1, v[112:113]
	s_wait_dscnt 0x0
	s_barrier_signal -1
	s_barrier_wait -1
	v_cmpx_ne_u32_e32 53, v0
	s_cbranch_execz .LBB53_227
; %bb.224:
	v_dual_mov_b32 v112, 0 :: v_dual_mov_b32 v9, v110
	s_mov_b32 s1, 0
	s_delay_alu instid0(VALU_DEP_1)
	v_mov_b32_e32 v113, v112
.LBB53_225:                             ; =>This Inner Loop Header: Depth=1
	scratch_load_b64 v[110:111], v9, off
	ds_load_b64 v[114:115], v1
	v_add_nc_u32_e32 v1, 8, v1
	s_wait_xcnt 0x0
	v_add_nc_u32_e32 v9, 8, v9
	s_wait_loadcnt_dscnt 0x0
	v_pk_mul_f32 v[116:117], v[114:115], v[110:111] op_sel:[1,1] op_sel_hi:[0,1]
	s_delay_alu instid0(VALU_DEP_1) | instskip(SKIP_2) | instid1(VALU_DEP_3)
	v_pk_fma_f32 v[118:119], v[114:115], v[110:111], v[116:117] op_sel_hi:[1,0,1]
	v_add_nc_u32_e32 v7, 1, v7
	v_pk_fma_f32 v[110:111], v[114:115], v[110:111], v[116:117] neg_lo:[0,0,1] neg_hi:[0,0,1]
	v_mov_b32_e32 v111, v119
	s_delay_alu instid0(VALU_DEP_3) | instskip(NEXT) | instid1(VALU_DEP_2)
	v_cmp_lt_u32_e32 vcc_lo, 51, v7
	v_pk_add_f32 v[112:113], v[112:113], v[110:111]
	s_or_b32 s1, vcc_lo, s1
	s_delay_alu instid0(SALU_CYCLE_1)
	s_and_not1_b32 exec_lo, exec_lo, s1
	s_cbranch_execnz .LBB53_225
; %bb.226:
	s_or_b32 exec_lo, exec_lo, s1
	v_mov_b32_e32 v1, 0
	ds_load_b64 v[110:111], v1 offset:424
	s_wait_dscnt 0x0
	v_pk_mul_f32 v[114:115], v[112:113], v[110:111] op_sel:[1,1] op_sel_hi:[0,1]
	s_delay_alu instid0(VALU_DEP_1) | instskip(SKIP_1) | instid1(VALU_DEP_2)
	v_pk_fma_f32 v[116:117], v[112:113], v[110:111], v[114:115] op_sel_hi:[1,0,1]
	v_pk_fma_f32 v[110:111], v[112:113], v[110:111], v[114:115] neg_lo:[0,0,1] neg_hi:[0,0,1]
	v_mov_b32_e32 v111, v117
	scratch_store_b64 off, v[110:111], off offset:424
.LBB53_227:
	s_wait_xcnt 0x0
	s_or_b32 exec_lo, exec_lo, s0
	s_mov_b32 s1, -1
	s_wait_storecnt 0x0
	s_barrier_signal -1
	s_barrier_wait -1
.LBB53_228:
	s_and_b32 vcc_lo, exec_lo, s1
	s_cbranch_vccz .LBB53_230
; %bb.229:
	v_mov_b32_e32 v1, 0
	s_lshl_b64 s[0:1], s[16:17], 2
	s_delay_alu instid0(SALU_CYCLE_1)
	s_add_nc_u64 s[0:1], s[6:7], s[0:1]
	global_load_b32 v1, v1, s[0:1]
	s_wait_loadcnt 0x0
	v_cmp_ne_u32_e32 vcc_lo, 0, v1
	s_cbranch_vccz .LBB53_231
.LBB53_230:
	s_sendmsg sendmsg(MSG_DEALLOC_VGPRS)
	s_endpgm
.LBB53_231:
	s_wait_xcnt 0x0
	v_lshl_add_u32 v1, v0, 3, 0x1b0
	s_mov_b32 s0, exec_lo
	v_cmpx_eq_u32_e32 53, v0
	s_cbranch_execz .LBB53_233
; %bb.232:
	scratch_load_b64 v[110:111], off, off offset:416
	v_mov_b64_e32 v[112:113], 0
	scratch_store_b64 off, v[112:113], off offset:416
	s_wait_loadcnt 0x0
	ds_store_b64 v1, v[110:111]
.LBB53_233:
	s_wait_xcnt 0x0
	s_or_b32 exec_lo, exec_lo, s0
	s_wait_storecnt_dscnt 0x0
	s_barrier_signal -1
	s_barrier_wait -1
	s_clause 0x1
	scratch_load_b64 v[110:111], off, off offset:424
	scratch_load_b64 v[112:113], off, off offset:416
	v_mov_b32_e32 v7, 0
	s_mov_b32 s0, exec_lo
	ds_load_b64 v[114:115], v7 offset:856
	s_wait_loadcnt_dscnt 0x100
	v_pk_mul_f32 v[116:117], v[114:115], v[110:111] op_sel:[1,1] op_sel_hi:[0,1]
	s_delay_alu instid0(VALU_DEP_1) | instskip(SKIP_1) | instid1(VALU_DEP_2)
	v_pk_fma_f32 v[118:119], v[114:115], v[110:111], v[116:117] op_sel_hi:[1,0,1]
	v_pk_fma_f32 v[110:111], v[114:115], v[110:111], v[116:117] neg_lo:[0,0,1] neg_hi:[0,0,1]
	v_mov_b32_e32 v111, v119
	s_delay_alu instid0(VALU_DEP_1) | instskip(SKIP_1) | instid1(VALU_DEP_1)
	v_pk_add_f32 v[110:111], v[110:111], 0 op_sel_hi:[1,0]
	s_wait_loadcnt 0x0
	v_pk_add_f32 v[110:111], v[112:113], v[110:111] neg_lo:[0,1] neg_hi:[0,1]
	scratch_store_b64 off, v[110:111], off offset:416
	s_wait_xcnt 0x0
	v_cmpx_lt_u32_e32 51, v0
	s_cbranch_execz .LBB53_235
; %bb.234:
	scratch_load_b64 v[110:111], off, off offset:408
	v_mov_b64_e32 v[112:113], 0
	scratch_store_b64 off, v[112:113], off offset:408
	s_wait_loadcnt 0x0
	ds_store_b64 v1, v[110:111]
.LBB53_235:
	s_wait_xcnt 0x0
	s_or_b32 exec_lo, exec_lo, s0
	s_wait_storecnt_dscnt 0x0
	s_barrier_signal -1
	s_barrier_wait -1
	s_clause 0x1
	scratch_load_b128 v[110:113], off, off offset:416
	scratch_load_b64 v[118:119], off, off offset:408
	ds_load_b128 v[114:117], v7 offset:848
	s_mov_b32 s0, exec_lo
	s_wait_dscnt 0x0
	v_dual_mov_b32 v120, v117 :: v_dual_mov_b32 v121, v116
	s_wait_loadcnt 0x1
	v_pk_mul_f32 v[122:123], v[114:115], v[110:111] op_sel:[1,1] op_sel_hi:[0,1]
	s_delay_alu instid0(VALU_DEP_1) | instskip(SKIP_2) | instid1(VALU_DEP_3)
	v_pk_fma_f32 v[126:127], v[114:115], v[110:111], v[122:123] op_sel_hi:[1,0,1]
	v_mov_b32_e32 v124, v113
	v_pk_fma_f32 v[110:111], v[114:115], v[110:111], v[122:123] neg_lo:[0,0,1] neg_hi:[0,0,1]
	v_mov_b32_e32 v111, v127
	s_delay_alu instid0(VALU_DEP_3) | instskip(NEXT) | instid1(VALU_DEP_2)
	v_pk_mul_f32 v[120:121], v[120:121], v[124:125] op_sel_hi:[1,0]
	v_pk_add_f32 v[110:111], v[110:111], 0 op_sel_hi:[1,0]
	s_delay_alu instid0(VALU_DEP_2) | instskip(SKIP_1) | instid1(VALU_DEP_2)
	v_pk_fma_f32 v[114:115], v[116:117], v[112:113], v[120:121] op_sel_hi:[1,0,1]
	v_pk_fma_f32 v[112:113], v[116:117], v[112:113], v[120:121] neg_lo:[0,0,1] neg_hi:[0,0,1]
	v_mov_b32_e32 v113, v115
	s_delay_alu instid0(VALU_DEP_1) | instskip(SKIP_1) | instid1(VALU_DEP_1)
	v_pk_add_f32 v[110:111], v[110:111], v[112:113]
	s_wait_loadcnt 0x0
	v_pk_add_f32 v[110:111], v[118:119], v[110:111] neg_lo:[0,1] neg_hi:[0,1]
	scratch_store_b64 off, v[110:111], off offset:408
	s_wait_xcnt 0x0
	v_cmpx_lt_u32_e32 50, v0
	s_cbranch_execz .LBB53_237
; %bb.236:
	scratch_load_b64 v[110:111], off, off offset:400
	v_mov_b64_e32 v[112:113], 0
	scratch_store_b64 off, v[112:113], off offset:400
	s_wait_loadcnt 0x0
	ds_store_b64 v1, v[110:111]
.LBB53_237:
	s_wait_xcnt 0x0
	s_or_b32 exec_lo, exec_lo, s0
	s_wait_storecnt_dscnt 0x0
	s_barrier_signal -1
	s_barrier_wait -1
	s_clause 0x2
	scratch_load_b128 v[110:113], off, off offset:408
	scratch_load_b64 v[118:119], off, off offset:424
	scratch_load_b64 v[120:121], off, off offset:400
	v_mov_b32_e32 v7, 0
	ds_load_2addr_b64 v[114:117], v7 offset0:105 offset1:106
	ds_load_b64 v[122:123], v7 offset:856
	s_mov_b32 s0, exec_lo
	s_wait_dscnt 0x1
	v_dual_mov_b32 v124, v117 :: v_dual_mov_b32 v125, v116
	s_wait_loadcnt 0x2
	v_mov_b32_e32 v128, v113
	v_pk_mul_f32 v[126:127], v[114:115], v[110:111] op_sel:[1,1] op_sel_hi:[0,1]
	s_delay_alu instid0(VALU_DEP_2) | instskip(NEXT) | instid1(VALU_DEP_2)
	v_pk_mul_f32 v[124:125], v[124:125], v[128:129] op_sel_hi:[1,0]
	v_pk_fma_f32 v[130:131], v[114:115], v[110:111], v[126:127] op_sel_hi:[1,0,1]
	v_pk_fma_f32 v[110:111], v[114:115], v[110:111], v[126:127] neg_lo:[0,0,1] neg_hi:[0,0,1]
	s_wait_loadcnt_dscnt 0x100
	v_pk_mul_f32 v[126:127], v[122:123], v[118:119] op_sel:[1,1] op_sel_hi:[0,1]
	v_pk_fma_f32 v[114:115], v[116:117], v[112:113], v[124:125] op_sel_hi:[1,0,1]
	v_mov_b32_e32 v111, v131
	v_pk_fma_f32 v[112:113], v[116:117], v[112:113], v[124:125] neg_lo:[0,0,1] neg_hi:[0,0,1]
	s_delay_alu instid0(VALU_DEP_4) | instskip(NEXT) | instid1(VALU_DEP_4)
	v_pk_fma_f32 v[116:117], v[122:123], v[118:119], v[126:127] neg_lo:[0,0,1] neg_hi:[0,0,1]
	v_mov_b32_e32 v113, v115
	s_delay_alu instid0(VALU_DEP_4) | instskip(SKIP_1) | instid1(VALU_DEP_2)
	v_pk_add_f32 v[110:111], v[110:111], 0 op_sel_hi:[1,0]
	v_pk_fma_f32 v[114:115], v[122:123], v[118:119], v[126:127] op_sel_hi:[1,0,1]
	v_pk_add_f32 v[110:111], v[110:111], v[112:113]
	s_delay_alu instid0(VALU_DEP_2) | instskip(NEXT) | instid1(VALU_DEP_1)
	v_mov_b32_e32 v117, v115
	v_pk_add_f32 v[110:111], v[110:111], v[116:117]
	s_wait_loadcnt 0x0
	s_delay_alu instid0(VALU_DEP_1)
	v_pk_add_f32 v[110:111], v[120:121], v[110:111] neg_lo:[0,1] neg_hi:[0,1]
	scratch_store_b64 off, v[110:111], off offset:400
	s_wait_xcnt 0x0
	v_cmpx_lt_u32_e32 49, v0
	s_cbranch_execz .LBB53_239
; %bb.238:
	scratch_load_b64 v[110:111], off, off offset:392
	v_mov_b64_e32 v[112:113], 0
	scratch_store_b64 off, v[112:113], off offset:392
	s_wait_loadcnt 0x0
	ds_store_b64 v1, v[110:111]
.LBB53_239:
	s_wait_xcnt 0x0
	s_or_b32 exec_lo, exec_lo, s0
	s_wait_storecnt_dscnt 0x0
	s_barrier_signal -1
	s_barrier_wait -1
	s_clause 0x2
	scratch_load_b128 v[110:113], off, off offset:400
	scratch_load_b128 v[114:117], off, off offset:416
	scratch_load_b64 v[126:127], off, off offset:392
	ds_load_b128 v[118:121], v7 offset:832
	ds_load_b128 v[122:125], v7 offset:848
	s_mov_b32 s0, exec_lo
	s_wait_dscnt 0x1
	v_dual_mov_b32 v128, v121 :: v_dual_mov_b32 v129, v120
	s_wait_loadcnt_dscnt 0x200
	v_dual_mov_b32 v134, v125 :: v_dual_mov_b32 v132, v113
	v_pk_mul_f32 v[130:131], v[118:119], v[110:111] op_sel:[1,1] op_sel_hi:[0,1]
	s_delay_alu instid0(VALU_DEP_2) | instskip(NEXT) | instid1(VALU_DEP_2)
	v_pk_mul_f32 v[128:129], v[128:129], v[132:133] op_sel_hi:[1,0]
	v_pk_fma_f32 v[136:137], v[118:119], v[110:111], v[130:131] op_sel_hi:[1,0,1]
	v_pk_fma_f32 v[110:111], v[118:119], v[110:111], v[130:131] neg_lo:[0,0,1] neg_hi:[0,0,1]
	v_mov_b32_e32 v135, v124
	s_wait_loadcnt 0x1
	v_pk_mul_f32 v[132:133], v[122:123], v[114:115] op_sel:[1,1] op_sel_hi:[0,1]
	v_pk_fma_f32 v[118:119], v[120:121], v[112:113], v[128:129] op_sel_hi:[1,0,1]
	v_dual_mov_b32 v111, v137 :: v_dual_mov_b32 v118, v117
	v_pk_fma_f32 v[112:113], v[120:121], v[112:113], v[128:129] neg_lo:[0,0,1] neg_hi:[0,0,1]
	s_delay_alu instid0(VALU_DEP_4) | instskip(NEXT) | instid1(VALU_DEP_4)
	v_pk_fma_f32 v[130:131], v[122:123], v[114:115], v[132:133] op_sel_hi:[1,0,1]
	v_mov_b32_e32 v113, v119
	s_delay_alu instid0(VALU_DEP_4) | instskip(SKIP_2) | instid1(VALU_DEP_3)
	v_pk_add_f32 v[110:111], v[110:111], 0 op_sel_hi:[1,0]
	v_pk_mul_f32 v[118:119], v[134:135], v[118:119] op_sel_hi:[1,0]
	v_pk_fma_f32 v[114:115], v[122:123], v[114:115], v[132:133] neg_lo:[0,0,1] neg_hi:[0,0,1]
	v_pk_add_f32 v[110:111], v[110:111], v[112:113]
	s_delay_alu instid0(VALU_DEP_3) | instskip(SKIP_2) | instid1(VALU_DEP_3)
	v_pk_fma_f32 v[112:113], v[124:125], v[116:117], v[118:119] op_sel_hi:[1,0,1]
	v_mov_b32_e32 v115, v131
	v_pk_fma_f32 v[116:117], v[124:125], v[116:117], v[118:119] neg_lo:[0,0,1] neg_hi:[0,0,1]
	v_mov_b32_e32 v117, v113
	s_delay_alu instid0(VALU_DEP_3) | instskip(NEXT) | instid1(VALU_DEP_1)
	v_pk_add_f32 v[110:111], v[110:111], v[114:115]
	v_pk_add_f32 v[110:111], v[110:111], v[116:117]
	s_wait_loadcnt 0x0
	s_delay_alu instid0(VALU_DEP_1)
	v_pk_add_f32 v[110:111], v[126:127], v[110:111] neg_lo:[0,1] neg_hi:[0,1]
	scratch_store_b64 off, v[110:111], off offset:392
	s_wait_xcnt 0x0
	v_cmpx_lt_u32_e32 48, v0
	s_cbranch_execz .LBB53_241
; %bb.240:
	scratch_load_b64 v[110:111], off, off offset:384
	v_mov_b64_e32 v[112:113], 0
	scratch_store_b64 off, v[112:113], off offset:384
	s_wait_loadcnt 0x0
	ds_store_b64 v1, v[110:111]
.LBB53_241:
	s_wait_xcnt 0x0
	s_or_b32 exec_lo, exec_lo, s0
	s_wait_storecnt_dscnt 0x0
	s_barrier_signal -1
	s_barrier_wait -1
	s_clause 0x3
	scratch_load_b128 v[110:113], off, off offset:392
	scratch_load_b128 v[114:117], off, off offset:408
	scratch_load_b64 v[126:127], off, off offset:424
	scratch_load_b64 v[128:129], off, off offset:384
	v_mov_b32_e32 v7, 0
	ds_load_2addr_b64 v[118:121], v7 offset0:103 offset1:104
	ds_load_2addr_b64 v[122:125], v7 offset0:105 offset1:106
	s_mov_b32 s0, exec_lo
	s_wait_dscnt 0x1
	v_dual_mov_b32 v130, v121 :: v_dual_mov_b32 v131, v120
	ds_load_b64 v[136:137], v7 offset:856
	s_wait_dscnt 0x1
	v_dual_mov_b32 v138, v125 :: v_dual_mov_b32 v139, v124
	s_wait_loadcnt 0x3
	v_pk_mul_f32 v[132:133], v[118:119], v[110:111] op_sel:[1,1] op_sel_hi:[0,1]
	v_mov_b32_e32 v134, v113
	s_delay_alu instid0(VALU_DEP_2) | instskip(NEXT) | instid1(VALU_DEP_2)
	v_pk_fma_f32 v[140:141], v[118:119], v[110:111], v[132:133] op_sel_hi:[1,0,1]
	v_pk_mul_f32 v[130:131], v[130:131], v[134:135] op_sel_hi:[1,0]
	v_pk_fma_f32 v[110:111], v[118:119], v[110:111], v[132:133] neg_lo:[0,0,1] neg_hi:[0,0,1]
	s_wait_loadcnt 0x2
	v_pk_mul_f32 v[134:135], v[122:123], v[114:115] op_sel:[1,1] op_sel_hi:[0,1]
	v_dual_mov_b32 v140, v117 :: v_dual_mov_b32 v111, v141
	v_pk_fma_f32 v[118:119], v[120:121], v[112:113], v[130:131] op_sel_hi:[1,0,1]
	v_pk_fma_f32 v[112:113], v[120:121], v[112:113], v[130:131] neg_lo:[0,0,1] neg_hi:[0,0,1]
	s_delay_alu instid0(VALU_DEP_4) | instskip(NEXT) | instid1(VALU_DEP_4)
	v_pk_fma_f32 v[132:133], v[122:123], v[114:115], v[134:135] op_sel_hi:[1,0,1]
	v_pk_mul_f32 v[138:139], v[138:139], v[140:141] op_sel_hi:[1,0]
	v_pk_add_f32 v[110:111], v[110:111], 0 op_sel_hi:[1,0]
	v_mov_b32_e32 v113, v119
	v_pk_fma_f32 v[114:115], v[122:123], v[114:115], v[134:135] neg_lo:[0,0,1] neg_hi:[0,0,1]
	v_mov_b32_e32 v115, v133
	v_pk_fma_f32 v[118:119], v[124:125], v[116:117], v[138:139] op_sel_hi:[1,0,1]
	v_pk_fma_f32 v[116:117], v[124:125], v[116:117], v[138:139] neg_lo:[0,0,1] neg_hi:[0,0,1]
	v_pk_add_f32 v[110:111], v[110:111], v[112:113]
	s_wait_loadcnt_dscnt 0x100
	v_pk_mul_f32 v[112:113], v[136:137], v[126:127] op_sel:[1,1] op_sel_hi:[0,1]
	s_delay_alu instid0(VALU_DEP_2) | instskip(NEXT) | instid1(VALU_DEP_2)
	v_pk_add_f32 v[110:111], v[110:111], v[114:115]
	v_pk_fma_f32 v[114:115], v[136:137], v[126:127], v[112:113] op_sel_hi:[1,0,1]
	v_mov_b32_e32 v117, v119
	v_pk_fma_f32 v[112:113], v[136:137], v[126:127], v[112:113] neg_lo:[0,0,1] neg_hi:[0,0,1]
	s_delay_alu instid0(VALU_DEP_3) | instskip(NEXT) | instid1(VALU_DEP_3)
	v_mov_b32_e32 v113, v115
	v_pk_add_f32 v[110:111], v[110:111], v[116:117]
	s_delay_alu instid0(VALU_DEP_1) | instskip(SKIP_1) | instid1(VALU_DEP_1)
	v_pk_add_f32 v[110:111], v[110:111], v[112:113]
	s_wait_loadcnt 0x0
	v_pk_add_f32 v[110:111], v[128:129], v[110:111] neg_lo:[0,1] neg_hi:[0,1]
	scratch_store_b64 off, v[110:111], off offset:384
	s_wait_xcnt 0x0
	v_cmpx_lt_u32_e32 47, v0
	s_cbranch_execz .LBB53_243
; %bb.242:
	scratch_load_b64 v[110:111], off, off offset:376
	v_mov_b64_e32 v[112:113], 0
	scratch_store_b64 off, v[112:113], off offset:376
	s_wait_loadcnt 0x0
	ds_store_b64 v1, v[110:111]
.LBB53_243:
	s_wait_xcnt 0x0
	s_or_b32 exec_lo, exec_lo, s0
	s_wait_storecnt_dscnt 0x0
	s_barrier_signal -1
	s_barrier_wait -1
	s_clause 0x3
	scratch_load_b128 v[110:113], off, off offset:384
	scratch_load_b128 v[114:117], off, off offset:400
	;; [unrolled: 1-line block ×3, first 2 shown]
	scratch_load_b64 v[134:135], off, off offset:376
	ds_load_b128 v[122:125], v7 offset:816
	ds_load_b128 v[126:129], v7 offset:832
	;; [unrolled: 1-line block ×3, first 2 shown]
	s_mov_b32 s0, exec_lo
	s_wait_dscnt 0x2
	v_dual_mov_b32 v136, v125 :: v_dual_mov_b32 v137, v124
	s_wait_dscnt 0x1
	v_dual_mov_b32 v138, v129 :: v_dual_mov_b32 v139, v128
	;; [unrolled: 2-line block ×3, first 2 shown]
	s_wait_loadcnt 0x3
	v_pk_mul_f32 v[140:141], v[122:123], v[110:111] op_sel:[1,1] op_sel_hi:[0,1]
	v_mov_b32_e32 v142, v113
	s_delay_alu instid0(VALU_DEP_2) | instskip(NEXT) | instid1(VALU_DEP_2)
	v_pk_fma_f32 v[146:147], v[122:123], v[110:111], v[140:141] op_sel_hi:[1,0,1]
	v_pk_mul_f32 v[136:137], v[136:137], v[142:143] op_sel_hi:[1,0]
	v_pk_fma_f32 v[110:111], v[122:123], v[110:111], v[140:141] neg_lo:[0,0,1] neg_hi:[0,0,1]
	s_wait_loadcnt 0x2
	v_pk_mul_f32 v[142:143], v[126:127], v[114:115] op_sel:[1,1] op_sel_hi:[0,1]
	v_mov_b32_e32 v146, v117
	v_pk_fma_f32 v[122:123], v[124:125], v[112:113], v[136:137] op_sel_hi:[1,0,1]
	v_mov_b32_e32 v111, v147
	v_pk_fma_f32 v[112:113], v[124:125], v[112:113], v[136:137] neg_lo:[0,0,1] neg_hi:[0,0,1]
	v_pk_fma_f32 v[140:141], v[126:127], v[114:115], v[142:143] op_sel_hi:[1,0,1]
	v_pk_mul_f32 v[138:139], v[138:139], v[146:147] op_sel_hi:[1,0]
	v_mov_b32_e32 v113, v123
	v_pk_add_f32 v[110:111], v[110:111], 0 op_sel_hi:[1,0]
	v_pk_fma_f32 v[114:115], v[126:127], v[114:115], v[142:143] neg_lo:[0,0,1] neg_hi:[0,0,1]
	s_wait_loadcnt 0x1
	v_pk_mul_f32 v[122:123], v[130:131], v[118:119] op_sel:[1,1] op_sel_hi:[0,1]
	v_mov_b32_e32 v115, v141
	v_pk_fma_f32 v[124:125], v[128:129], v[116:117], v[138:139] op_sel_hi:[1,0,1]
	v_pk_add_f32 v[110:111], v[110:111], v[112:113]
	v_mov_b32_e32 v112, v121
	v_pk_fma_f32 v[116:117], v[128:129], v[116:117], v[138:139] neg_lo:[0,0,1] neg_hi:[0,0,1]
	v_pk_fma_f32 v[126:127], v[130:131], v[118:119], v[122:123] op_sel_hi:[1,0,1]
	v_mov_b32_e32 v117, v125
	v_pk_add_f32 v[110:111], v[110:111], v[114:115]
	v_pk_mul_f32 v[112:113], v[144:145], v[112:113] op_sel_hi:[1,0]
	v_pk_fma_f32 v[114:115], v[130:131], v[118:119], v[122:123] neg_lo:[0,0,1] neg_hi:[0,0,1]
	v_mov_b32_e32 v115, v127
	s_delay_alu instid0(VALU_DEP_4) | instskip(NEXT) | instid1(VALU_DEP_4)
	v_pk_add_f32 v[110:111], v[110:111], v[116:117]
	v_pk_fma_f32 v[116:117], v[132:133], v[120:121], v[112:113] op_sel_hi:[1,0,1]
	v_pk_fma_f32 v[112:113], v[132:133], v[120:121], v[112:113] neg_lo:[0,0,1] neg_hi:[0,0,1]
	s_delay_alu instid0(VALU_DEP_3) | instskip(NEXT) | instid1(VALU_DEP_3)
	v_pk_add_f32 v[110:111], v[110:111], v[114:115]
	v_mov_b32_e32 v113, v117
	s_delay_alu instid0(VALU_DEP_1) | instskip(SKIP_1) | instid1(VALU_DEP_1)
	v_pk_add_f32 v[110:111], v[110:111], v[112:113]
	s_wait_loadcnt 0x0
	v_pk_add_f32 v[110:111], v[134:135], v[110:111] neg_lo:[0,1] neg_hi:[0,1]
	scratch_store_b64 off, v[110:111], off offset:376
	s_wait_xcnt 0x0
	v_cmpx_lt_u32_e32 46, v0
	s_cbranch_execz .LBB53_245
; %bb.244:
	scratch_load_b64 v[110:111], off, off offset:368
	v_mov_b64_e32 v[112:113], 0
	scratch_store_b64 off, v[112:113], off offset:368
	s_wait_loadcnt 0x0
	ds_store_b64 v1, v[110:111]
.LBB53_245:
	s_wait_xcnt 0x0
	s_or_b32 exec_lo, exec_lo, s0
	s_wait_storecnt_dscnt 0x0
	s_barrier_signal -1
	s_barrier_wait -1
	s_clause 0x4
	scratch_load_b128 v[110:113], off, off offset:376
	scratch_load_b128 v[114:117], off, off offset:392
	;; [unrolled: 1-line block ×3, first 2 shown]
	scratch_load_b64 v[134:135], off, off offset:424
	scratch_load_b64 v[136:137], off, off offset:368
	v_mov_b32_e32 v7, 0
	ds_load_2addr_b64 v[122:125], v7 offset0:101 offset1:102
	ds_load_2addr_b64 v[126:129], v7 offset0:103 offset1:104
	;; [unrolled: 1-line block ×3, first 2 shown]
	ds_load_b64 v[138:139], v7 offset:856
	s_mov_b32 s0, exec_lo
	s_wait_dscnt 0x3
	v_dual_mov_b32 v140, v125 :: v_dual_mov_b32 v141, v124
	s_wait_dscnt 0x2
	v_dual_mov_b32 v142, v129 :: v_dual_mov_b32 v143, v128
	;; [unrolled: 2-line block ×3, first 2 shown]
	s_wait_loadcnt 0x4
	v_pk_mul_f32 v[144:145], v[122:123], v[110:111] op_sel:[1,1] op_sel_hi:[0,1]
	v_mov_b32_e32 v146, v113
	s_wait_loadcnt 0x3
	v_pk_mul_f32 v[150:151], v[126:127], v[114:115] op_sel:[1,1] op_sel_hi:[0,1]
	s_wait_loadcnt 0x2
	v_pk_mul_f32 v[154:155], v[130:131], v[118:119] op_sel:[1,1] op_sel_hi:[0,1]
	v_pk_fma_f32 v[152:153], v[122:123], v[110:111], v[144:145] op_sel_hi:[1,0,1]
	v_pk_mul_f32 v[140:141], v[140:141], v[146:147] op_sel_hi:[1,0]
	v_pk_fma_f32 v[110:111], v[122:123], v[110:111], v[144:145] neg_lo:[0,0,1] neg_hi:[0,0,1]
	v_mov_b32_e32 v146, v117
	v_pk_fma_f32 v[144:145], v[126:127], v[114:115], v[150:151] op_sel_hi:[1,0,1]
	v_mov_b32_e32 v111, v153
	v_pk_fma_f32 v[122:123], v[124:125], v[112:113], v[140:141] op_sel_hi:[1,0,1]
	v_pk_fma_f32 v[112:113], v[124:125], v[112:113], v[140:141] neg_lo:[0,0,1] neg_hi:[0,0,1]
	v_pk_mul_f32 v[142:143], v[142:143], v[146:147] op_sel_hi:[1,0]
	v_pk_fma_f32 v[114:115], v[126:127], v[114:115], v[150:151] neg_lo:[0,0,1] neg_hi:[0,0,1]
	v_pk_add_f32 v[110:111], v[110:111], 0 op_sel_hi:[1,0]
	v_dual_mov_b32 v113, v123 :: v_dual_mov_b32 v122, v121
	s_delay_alu instid0(VALU_DEP_4) | instskip(SKIP_2) | instid1(VALU_DEP_4)
	v_pk_fma_f32 v[124:125], v[128:129], v[116:117], v[142:143] op_sel_hi:[1,0,1]
	v_mov_b32_e32 v115, v145
	v_pk_fma_f32 v[116:117], v[128:129], v[116:117], v[142:143] neg_lo:[0,0,1] neg_hi:[0,0,1]
	v_pk_add_f32 v[110:111], v[110:111], v[112:113]
	v_pk_fma_f32 v[112:113], v[130:131], v[118:119], v[154:155] op_sel_hi:[1,0,1]
	v_pk_mul_f32 v[122:123], v[148:149], v[122:123] op_sel_hi:[1,0]
	v_mov_b32_e32 v117, v125
	s_delay_alu instid0(VALU_DEP_4)
	v_pk_add_f32 v[110:111], v[110:111], v[114:115]
	v_pk_fma_f32 v[114:115], v[130:131], v[118:119], v[154:155] neg_lo:[0,0,1] neg_hi:[0,0,1]
	v_mov_b32_e32 v115, v113
	v_pk_fma_f32 v[112:113], v[132:133], v[120:121], v[122:123] op_sel_hi:[1,0,1]
	v_pk_fma_f32 v[118:119], v[132:133], v[120:121], v[122:123] neg_lo:[0,0,1] neg_hi:[0,0,1]
	v_pk_add_f32 v[110:111], v[110:111], v[116:117]
	s_wait_loadcnt_dscnt 0x100
	v_pk_mul_f32 v[116:117], v[138:139], v[134:135] op_sel:[1,1] op_sel_hi:[0,1]
	v_mov_b32_e32 v119, v113
	s_delay_alu instid0(VALU_DEP_3) | instskip(NEXT) | instid1(VALU_DEP_3)
	v_pk_add_f32 v[110:111], v[110:111], v[114:115]
	v_pk_fma_f32 v[112:113], v[138:139], v[134:135], v[116:117] op_sel_hi:[1,0,1]
	v_pk_fma_f32 v[114:115], v[138:139], v[134:135], v[116:117] neg_lo:[0,0,1] neg_hi:[0,0,1]
	s_delay_alu instid0(VALU_DEP_3) | instskip(NEXT) | instid1(VALU_DEP_3)
	v_pk_add_f32 v[110:111], v[110:111], v[118:119]
	v_mov_b32_e32 v115, v113
	s_delay_alu instid0(VALU_DEP_1) | instskip(SKIP_1) | instid1(VALU_DEP_1)
	v_pk_add_f32 v[110:111], v[110:111], v[114:115]
	s_wait_loadcnt 0x0
	v_pk_add_f32 v[110:111], v[136:137], v[110:111] neg_lo:[0,1] neg_hi:[0,1]
	scratch_store_b64 off, v[110:111], off offset:368
	s_wait_xcnt 0x0
	v_cmpx_lt_u32_e32 45, v0
	s_cbranch_execz .LBB53_247
; %bb.246:
	scratch_load_b64 v[110:111], off, off offset:360
	v_mov_b64_e32 v[112:113], 0
	scratch_store_b64 off, v[112:113], off offset:360
	s_wait_loadcnt 0x0
	ds_store_b64 v1, v[110:111]
.LBB53_247:
	s_wait_xcnt 0x0
	s_or_b32 exec_lo, exec_lo, s0
	s_wait_storecnt_dscnt 0x0
	s_barrier_signal -1
	s_barrier_wait -1
	s_clause 0x4
	scratch_load_b128 v[110:113], off, off offset:368
	scratch_load_b128 v[114:117], off, off offset:384
	;; [unrolled: 1-line block ×4, first 2 shown]
	scratch_load_b64 v[142:143], off, off offset:360
	ds_load_b128 v[126:129], v7 offset:800
	ds_load_b128 v[130:133], v7 offset:816
	;; [unrolled: 1-line block ×4, first 2 shown]
	s_mov_b32 s0, exec_lo
	s_wait_dscnt 0x3
	v_dual_mov_b32 v144, v129 :: v_dual_mov_b32 v145, v128
	s_wait_dscnt 0x2
	v_dual_mov_b32 v146, v133 :: v_dual_mov_b32 v147, v132
	;; [unrolled: 2-line block ×3, first 2 shown]
	v_dual_mov_b32 v149, v136 :: v_dual_mov_b32 v154, v141
	s_wait_loadcnt 0x4
	v_mov_b32_e32 v152, v113
	v_pk_mul_f32 v[150:151], v[126:127], v[110:111] op_sel:[1,1] op_sel_hi:[0,1]
	s_wait_loadcnt 0x3
	v_pk_mul_f32 v[156:157], v[130:131], v[114:115] op_sel:[1,1] op_sel_hi:[0,1]
	s_wait_loadcnt 0x2
	v_pk_mul_f32 v[160:161], v[134:135], v[118:119] op_sel:[1,1] op_sel_hi:[0,1]
	v_pk_mul_f32 v[144:145], v[144:145], v[152:153] op_sel_hi:[1,0]
	v_pk_fma_f32 v[158:159], v[126:127], v[110:111], v[150:151] op_sel_hi:[1,0,1]
	v_pk_fma_f32 v[110:111], v[126:127], v[110:111], v[150:151] neg_lo:[0,0,1] neg_hi:[0,0,1]
	v_mov_b32_e32 v152, v117
	v_pk_fma_f32 v[150:151], v[130:131], v[114:115], v[156:157] op_sel_hi:[1,0,1]
	v_pk_fma_f32 v[126:127], v[128:129], v[112:113], v[144:145] op_sel_hi:[1,0,1]
	v_mov_b32_e32 v111, v159
	v_pk_fma_f32 v[112:113], v[128:129], v[112:113], v[144:145] neg_lo:[0,0,1] neg_hi:[0,0,1]
	v_pk_mul_f32 v[146:147], v[146:147], v[152:153] op_sel_hi:[1,0]
	s_delay_alu instid0(VALU_DEP_4) | instskip(NEXT) | instid1(VALU_DEP_4)
	v_dual_mov_b32 v126, v121 :: v_dual_mov_b32 v113, v127
	v_pk_add_f32 v[110:111], v[110:111], 0 op_sel_hi:[1,0]
	v_pk_fma_f32 v[114:115], v[130:131], v[114:115], v[156:157] neg_lo:[0,0,1] neg_hi:[0,0,1]
	v_mov_b32_e32 v115, v151
	v_pk_fma_f32 v[128:129], v[132:133], v[116:117], v[146:147] op_sel_hi:[1,0,1]
	v_pk_mul_f32 v[126:127], v[148:149], v[126:127] op_sel_hi:[1,0]
	v_pk_add_f32 v[110:111], v[110:111], v[112:113]
	v_pk_fma_f32 v[112:113], v[134:135], v[118:119], v[160:161] op_sel_hi:[1,0,1]
	v_pk_fma_f32 v[116:117], v[132:133], v[116:117], v[146:147] neg_lo:[0,0,1] neg_hi:[0,0,1]
	v_mov_b32_e32 v117, v129
	v_pk_fma_f32 v[118:119], v[134:135], v[118:119], v[160:161] neg_lo:[0,0,1] neg_hi:[0,0,1]
	v_pk_add_f32 v[110:111], v[110:111], v[114:115]
	v_mov_b32_e32 v119, v113
	v_pk_fma_f32 v[112:113], v[136:137], v[120:121], v[126:127] op_sel_hi:[1,0,1]
	s_wait_loadcnt 0x1
	v_pk_mul_f32 v[114:115], v[138:139], v[122:123] op_sel:[1,1] op_sel_hi:[0,1]
	v_mov_b32_e32 v112, v125
	v_pk_add_f32 v[110:111], v[110:111], v[116:117]
	v_pk_fma_f32 v[120:121], v[136:137], v[120:121], v[126:127] neg_lo:[0,0,1] neg_hi:[0,0,1]
	v_mov_b32_e32 v121, v113
	v_pk_fma_f32 v[116:117], v[138:139], v[122:123], v[114:115] op_sel_hi:[1,0,1]
	v_pk_mul_f32 v[112:113], v[154:155], v[112:113] op_sel_hi:[1,0]
	v_pk_add_f32 v[110:111], v[110:111], v[118:119]
	v_pk_fma_f32 v[114:115], v[138:139], v[122:123], v[114:115] neg_lo:[0,0,1] neg_hi:[0,0,1]
	s_delay_alu instid0(VALU_DEP_4) | instskip(NEXT) | instid1(VALU_DEP_4)
	v_mov_b32_e32 v115, v117
	v_pk_fma_f32 v[116:117], v[140:141], v[124:125], v[112:113] op_sel_hi:[1,0,1]
	s_delay_alu instid0(VALU_DEP_4) | instskip(SKIP_1) | instid1(VALU_DEP_3)
	v_pk_add_f32 v[110:111], v[110:111], v[120:121]
	v_pk_fma_f32 v[112:113], v[140:141], v[124:125], v[112:113] neg_lo:[0,0,1] neg_hi:[0,0,1]
	v_mov_b32_e32 v113, v117
	s_delay_alu instid0(VALU_DEP_3) | instskip(NEXT) | instid1(VALU_DEP_1)
	v_pk_add_f32 v[110:111], v[110:111], v[114:115]
	v_pk_add_f32 v[110:111], v[110:111], v[112:113]
	s_wait_loadcnt 0x0
	s_delay_alu instid0(VALU_DEP_1)
	v_pk_add_f32 v[110:111], v[142:143], v[110:111] neg_lo:[0,1] neg_hi:[0,1]
	scratch_store_b64 off, v[110:111], off offset:360
	s_wait_xcnt 0x0
	v_cmpx_lt_u32_e32 44, v0
	s_cbranch_execz .LBB53_249
; %bb.248:
	scratch_load_b64 v[110:111], off, off offset:352
	v_mov_b64_e32 v[112:113], 0
	scratch_store_b64 off, v[112:113], off offset:352
	s_wait_loadcnt 0x0
	ds_store_b64 v1, v[110:111]
.LBB53_249:
	s_wait_xcnt 0x0
	s_or_b32 exec_lo, exec_lo, s0
	s_wait_storecnt_dscnt 0x0
	s_barrier_signal -1
	s_barrier_wait -1
	s_clause 0x5
	scratch_load_b128 v[110:113], off, off offset:360
	scratch_load_b128 v[114:117], off, off offset:376
	;; [unrolled: 1-line block ×4, first 2 shown]
	scratch_load_b64 v[142:143], off, off offset:424
	scratch_load_b64 v[144:145], off, off offset:352
	v_mov_b32_e32 v7, 0
	ds_load_2addr_b64 v[126:129], v7 offset0:99 offset1:100
	ds_load_2addr_b64 v[130:133], v7 offset0:101 offset1:102
	;; [unrolled: 1-line block ×4, first 2 shown]
	ds_load_b64 v[146:147], v7 offset:856
	s_mov_b32 s0, exec_lo
	s_wait_dscnt 0x4
	v_dual_mov_b32 v148, v129 :: v_dual_mov_b32 v149, v128
	s_wait_dscnt 0x1
	v_dual_mov_b32 v150, v133 :: v_dual_mov_b32 v155, v140
	v_dual_mov_b32 v151, v132 :: v_dual_mov_b32 v152, v137
	v_dual_mov_b32 v153, v136 :: v_dual_mov_b32 v154, v141
	s_wait_loadcnt 0x5
	v_dual_mov_b32 v156, v113 :: v_dual_mul_f32 v157, v126, v111
	v_mul_f32_e32 v9, v127, v111
	s_wait_loadcnt 0x4
	v_pk_mul_f32 v[158:159], v[130:131], v[114:115] op_sel:[1,1] op_sel_hi:[0,1]
	v_mov_b32_e32 v160, v117
	s_wait_loadcnt 0x3
	v_pk_mul_f32 v[162:163], v[134:135], v[118:119] op_sel:[1,1] op_sel_hi:[0,1]
	v_pk_mul_f32 v[148:149], v[148:149], v[156:157] op_sel_hi:[1,0]
	v_fmac_f32_e32 v157, v127, v110
	v_dual_fma_f32 v156, v126, v110, -v9 :: v_dual_mov_b32 v110, v121
	v_pk_fma_f32 v[164:165], v[130:131], v[114:115], v[158:159] op_sel_hi:[1,0,1]
	s_delay_alu instid0(VALU_DEP_4)
	v_pk_fma_f32 v[126:127], v[128:129], v[112:113], v[148:149] op_sel_hi:[1,0,1]
	v_pk_fma_f32 v[112:113], v[128:129], v[112:113], v[148:149] neg_lo:[0,0,1] neg_hi:[0,0,1]
	v_pk_mul_f32 v[150:151], v[150:151], v[160:161] op_sel_hi:[1,0]
	v_pk_add_f32 v[156:157], v[156:157], 0 op_sel_hi:[1,0]
	v_pk_fma_f32 v[114:115], v[130:131], v[114:115], v[158:159] neg_lo:[0,0,1] neg_hi:[0,0,1]
	v_dual_mov_b32 v113, v127 :: v_dual_mov_b32 v115, v165
	s_delay_alu instid0(VALU_DEP_4) | instskip(SKIP_2) | instid1(VALU_DEP_4)
	v_pk_fma_f32 v[128:129], v[132:133], v[116:117], v[150:151] op_sel_hi:[1,0,1]
	v_pk_fma_f32 v[116:117], v[132:133], v[116:117], v[150:151] neg_lo:[0,0,1] neg_hi:[0,0,1]
	v_pk_fma_f32 v[130:131], v[134:135], v[118:119], v[162:163] op_sel_hi:[1,0,1]
	v_pk_add_f32 v[112:113], v[156:157], v[112:113]
	v_pk_mul_f32 v[110:111], v[152:153], v[110:111] op_sel_hi:[1,0]
	v_mov_b32_e32 v117, v129
	v_pk_fma_f32 v[118:119], v[134:135], v[118:119], v[162:163] neg_lo:[0,0,1] neg_hi:[0,0,1]
	s_wait_loadcnt 0x2
	v_pk_mul_f32 v[126:127], v[138:139], v[122:123] op_sel:[1,1] op_sel_hi:[0,1]
	v_pk_add_f32 v[112:113], v[112:113], v[114:115]
	v_mov_b32_e32 v114, v125
	v_pk_fma_f32 v[128:129], v[136:137], v[120:121], v[110:111] op_sel_hi:[1,0,1]
	v_mov_b32_e32 v119, v131
	v_pk_fma_f32 v[110:111], v[136:137], v[120:121], v[110:111] neg_lo:[0,0,1] neg_hi:[0,0,1]
	v_pk_add_f32 v[112:113], v[112:113], v[116:117]
	v_pk_fma_f32 v[116:117], v[138:139], v[122:123], v[126:127] op_sel_hi:[1,0,1]
	v_pk_mul_f32 v[114:115], v[154:155], v[114:115] op_sel_hi:[1,0]
	v_mov_b32_e32 v111, v129
	s_delay_alu instid0(VALU_DEP_4)
	v_pk_add_f32 v[112:113], v[112:113], v[118:119]
	v_pk_fma_f32 v[118:119], v[138:139], v[122:123], v[126:127] neg_lo:[0,0,1] neg_hi:[0,0,1]
	v_mov_b32_e32 v119, v117
	v_pk_fma_f32 v[116:117], v[140:141], v[124:125], v[114:115] op_sel_hi:[1,0,1]
	v_pk_fma_f32 v[114:115], v[140:141], v[124:125], v[114:115] neg_lo:[0,0,1] neg_hi:[0,0,1]
	v_pk_add_f32 v[110:111], v[112:113], v[110:111]
	s_wait_loadcnt_dscnt 0x100
	v_pk_mul_f32 v[112:113], v[146:147], v[142:143] op_sel:[1,1] op_sel_hi:[0,1]
	v_mov_b32_e32 v115, v117
	s_delay_alu instid0(VALU_DEP_3) | instskip(NEXT) | instid1(VALU_DEP_3)
	v_pk_add_f32 v[110:111], v[110:111], v[118:119]
	v_pk_fma_f32 v[116:117], v[146:147], v[142:143], v[112:113] op_sel_hi:[1,0,1]
	v_pk_fma_f32 v[112:113], v[146:147], v[142:143], v[112:113] neg_lo:[0,0,1] neg_hi:[0,0,1]
	s_delay_alu instid0(VALU_DEP_3) | instskip(NEXT) | instid1(VALU_DEP_3)
	v_pk_add_f32 v[110:111], v[110:111], v[114:115]
	v_mov_b32_e32 v113, v117
	s_delay_alu instid0(VALU_DEP_1) | instskip(SKIP_1) | instid1(VALU_DEP_1)
	v_pk_add_f32 v[110:111], v[110:111], v[112:113]
	s_wait_loadcnt 0x0
	v_pk_add_f32 v[110:111], v[144:145], v[110:111] neg_lo:[0,1] neg_hi:[0,1]
	scratch_store_b64 off, v[110:111], off offset:352
	s_wait_xcnt 0x0
	v_cmpx_lt_u32_e32 43, v0
	s_cbranch_execz .LBB53_251
; %bb.250:
	scratch_load_b64 v[110:111], off, off offset:344
	v_mov_b64_e32 v[112:113], 0
	scratch_store_b64 off, v[112:113], off offset:344
	s_wait_loadcnt 0x0
	ds_store_b64 v1, v[110:111]
.LBB53_251:
	s_wait_xcnt 0x0
	s_or_b32 exec_lo, exec_lo, s0
	s_wait_storecnt_dscnt 0x0
	s_barrier_signal -1
	s_barrier_wait -1
	s_clause 0x5
	scratch_load_b128 v[110:113], off, off offset:352
	scratch_load_b128 v[114:117], off, off offset:368
	;; [unrolled: 1-line block ×5, first 2 shown]
	scratch_load_b64 v[150:151], off, off offset:344
	ds_load_b128 v[130:133], v7 offset:800
	ds_load_b128 v[134:137], v7 offset:816
	;; [unrolled: 1-line block ×5, first 2 shown]
	s_mov_b32 s0, exec_lo
	s_wait_dscnt 0x4
	v_dual_mov_b32 v152, v133 :: v_dual_mov_b32 v153, v132
	s_wait_dscnt 0x3
	v_dual_mov_b32 v154, v137 :: v_dual_mov_b32 v155, v136
	;; [unrolled: 2-line block ×4, first 2 shown]
	s_wait_loadcnt_dscnt 0x500
	v_dual_mul_f32 v161, v146, v111 :: v_dual_mul_f32 v163, v148, v113
	v_dual_mul_f32 v7, v147, v111 :: v_dual_mul_f32 v9, v149, v113
	s_wait_loadcnt 0x4
	v_pk_mul_f32 v[164:165], v[130:131], v[114:115] op_sel:[1,1] op_sel_hi:[0,1]
	s_wait_loadcnt 0x3
	v_dual_mov_b32 v166, v117 :: v_dual_mov_b32 v170, v121
	v_dual_fmac_f32 v161, v147, v110 :: v_dual_fma_f32 v160, v146, v110, -v7
	v_dual_fmac_f32 v163, v149, v112 :: v_dual_fma_f32 v162, v148, v112, -v9
	v_pk_fma_f32 v[110:111], v[130:131], v[114:115], v[164:165] op_sel_hi:[1,0,1]
	s_delay_alu instid0(VALU_DEP_4) | instskip(NEXT) | instid1(VALU_DEP_4)
	v_pk_mul_f32 v[112:113], v[152:153], v[166:167] op_sel_hi:[1,0]
	v_pk_add_f32 v[146:147], v[160:161], 0 op_sel_hi:[1,0]
	v_pk_fma_f32 v[114:115], v[130:131], v[114:115], v[164:165] neg_lo:[0,0,1] neg_hi:[0,0,1]
	v_pk_mul_f32 v[168:169], v[134:135], v[118:119] op_sel:[1,1] op_sel_hi:[0,1]
	v_mov_b32_e32 v115, v111
	v_pk_fma_f32 v[110:111], v[132:133], v[116:117], v[112:113] op_sel_hi:[1,0,1]
	v_pk_add_f32 v[130:131], v[146:147], v[162:163]
	v_pk_fma_f32 v[112:113], v[132:133], v[116:117], v[112:113] neg_lo:[0,0,1] neg_hi:[0,0,1]
	v_pk_fma_f32 v[146:147], v[134:135], v[118:119], v[168:169] op_sel_hi:[1,0,1]
	v_pk_mul_f32 v[152:153], v[154:155], v[170:171] op_sel_hi:[1,0]
	v_mov_b32_e32 v113, v111
	v_pk_add_f32 v[110:111], v[130:131], v[114:115]
	s_wait_loadcnt 0x2
	v_pk_mul_f32 v[148:149], v[138:139], v[122:123] op_sel:[1,1] op_sel_hi:[0,1]
	v_mov_b32_e32 v114, v125
	v_pk_fma_f32 v[116:117], v[134:135], v[118:119], v[168:169] neg_lo:[0,0,1] neg_hi:[0,0,1]
	v_mov_b32_e32 v117, v147
	v_pk_fma_f32 v[118:119], v[136:137], v[120:121], v[152:153] op_sel_hi:[1,0,1]
	v_pk_add_f32 v[110:111], v[110:111], v[112:113]
	v_pk_fma_f32 v[112:113], v[138:139], v[122:123], v[148:149] op_sel_hi:[1,0,1]
	v_pk_mul_f32 v[114:115], v[156:157], v[114:115] op_sel_hi:[1,0]
	v_pk_fma_f32 v[120:121], v[136:137], v[120:121], v[152:153] neg_lo:[0,0,1] neg_hi:[0,0,1]
	v_mov_b32_e32 v121, v119
	v_pk_add_f32 v[110:111], v[110:111], v[116:117]
	v_pk_fma_f32 v[118:119], v[138:139], v[122:123], v[148:149] neg_lo:[0,0,1] neg_hi:[0,0,1]
	v_mov_b32_e32 v119, v113
	v_pk_fma_f32 v[112:113], v[140:141], v[124:125], v[114:115] op_sel_hi:[1,0,1]
	s_wait_loadcnt 0x1
	v_pk_mul_f32 v[116:117], v[142:143], v[126:127] op_sel:[1,1] op_sel_hi:[0,1]
	v_pk_add_f32 v[110:111], v[110:111], v[120:121]
	v_mov_b32_e32 v112, v129
	v_pk_fma_f32 v[114:115], v[140:141], v[124:125], v[114:115] neg_lo:[0,0,1] neg_hi:[0,0,1]
	v_mov_b32_e32 v115, v113
	v_pk_fma_f32 v[120:121], v[142:143], v[126:127], v[116:117] op_sel_hi:[1,0,1]
	v_pk_add_f32 v[110:111], v[110:111], v[118:119]
	v_pk_mul_f32 v[112:113], v[158:159], v[112:113] op_sel_hi:[1,0]
	v_pk_fma_f32 v[116:117], v[142:143], v[126:127], v[116:117] neg_lo:[0,0,1] neg_hi:[0,0,1]
	s_delay_alu instid0(VALU_DEP_3) | instskip(NEXT) | instid1(VALU_DEP_3)
	v_pk_add_f32 v[110:111], v[110:111], v[114:115]
	v_pk_fma_f32 v[114:115], v[144:145], v[128:129], v[112:113] op_sel_hi:[1,0,1]
	v_mov_b32_e32 v117, v121
	v_pk_fma_f32 v[112:113], v[144:145], v[128:129], v[112:113] neg_lo:[0,0,1] neg_hi:[0,0,1]
	s_delay_alu instid0(VALU_DEP_3) | instskip(NEXT) | instid1(VALU_DEP_3)
	v_mov_b32_e32 v113, v115
	v_pk_add_f32 v[110:111], v[110:111], v[116:117]
	s_delay_alu instid0(VALU_DEP_1) | instskip(SKIP_1) | instid1(VALU_DEP_1)
	v_pk_add_f32 v[110:111], v[110:111], v[112:113]
	s_wait_loadcnt 0x0
	v_pk_add_f32 v[110:111], v[150:151], v[110:111] neg_lo:[0,1] neg_hi:[0,1]
	scratch_store_b64 off, v[110:111], off offset:344
	s_wait_xcnt 0x0
	v_cmpx_lt_u32_e32 42, v0
	s_cbranch_execz .LBB53_253
; %bb.252:
	scratch_load_b64 v[110:111], off, off offset:336
	v_mov_b64_e32 v[112:113], 0
	scratch_store_b64 off, v[112:113], off offset:336
	s_wait_loadcnt 0x0
	ds_store_b64 v1, v[110:111]
.LBB53_253:
	s_wait_xcnt 0x0
	s_or_b32 exec_lo, exec_lo, s0
	s_wait_storecnt_dscnt 0x0
	s_barrier_signal -1
	s_barrier_wait -1
	s_clause 0x6
	scratch_load_b128 v[110:113], off, off offset:344
	scratch_load_b128 v[114:117], off, off offset:360
	scratch_load_b128 v[118:121], off, off offset:376
	scratch_load_b128 v[122:125], off, off offset:392
	scratch_load_b128 v[126:129], off, off offset:408
	scratch_load_b64 v[150:151], off, off offset:424
	scratch_load_b64 v[152:153], off, off offset:336
	v_mov_b32_e32 v7, 0
	ds_load_2addr_b64 v[130:133], v7 offset0:99 offset1:100
	ds_load_2addr_b64 v[134:137], v7 offset0:101 offset1:102
	;; [unrolled: 1-line block ×5, first 2 shown]
	ds_load_b64 v[154:155], v7 offset:856
	s_mov_b32 s0, exec_lo
	s_wait_dscnt 0x5
	v_dual_mov_b32 v156, v133 :: v_dual_mov_b32 v157, v132
	s_wait_dscnt 0x2
	v_dual_mov_b32 v158, v137 :: v_dual_mov_b32 v163, v144
	v_dual_mov_b32 v159, v136 :: v_dual_mov_b32 v160, v141
	;; [unrolled: 1-line block ×3, first 2 shown]
	s_wait_loadcnt_dscnt 0x601
	v_dual_mul_f32 v9, v146, v111 :: v_dual_mul_f32 v11, v147, v111
	v_dual_mul_f32 v13, v149, v113 :: v_dual_mul_f32 v165, v148, v113
	s_wait_loadcnt 0x5
	v_dual_mul_f32 v167, v130, v115 :: v_dual_mul_f32 v15, v131, v115
	s_wait_loadcnt 0x4
	v_dual_mov_b32 v166, v117 :: v_dual_mov_b32 v170, v121
	v_dual_fmac_f32 v9, v147, v110 :: v_dual_fma_f32 v11, v146, v110, -v11
	v_fmac_f32_e32 v165, v149, v112
	v_pk_mul_f32 v[168:169], v[134:135], v[118:119] op_sel:[1,1] op_sel_hi:[0,1]
	s_delay_alu instid0(VALU_DEP_3)
	v_dual_fma_f32 v164, v148, v112, -v13 :: v_dual_add_f32 v113, 0, v9
	v_pk_mul_f32 v[110:111], v[156:157], v[166:167] op_sel_hi:[1,0]
	s_wait_loadcnt 0x3
	v_dual_add_f32 v112, 0, v11 :: v_dual_mov_b32 v146, v125
	v_fmac_f32_e32 v167, v131, v114
	v_fma_f32 v166, v130, v114, -v15
	v_pk_fma_f32 v[114:115], v[132:133], v[116:117], v[110:111] op_sel_hi:[1,0,1]
	s_delay_alu instid0(VALU_DEP_4) | instskip(SKIP_4) | instid1(VALU_DEP_4)
	v_pk_add_f32 v[112:113], v[112:113], v[164:165]
	v_pk_fma_f32 v[130:131], v[134:135], v[118:119], v[168:169] op_sel_hi:[1,0,1]
	v_pk_fma_f32 v[110:111], v[132:133], v[116:117], v[110:111] neg_lo:[0,0,1] neg_hi:[0,0,1]
	v_pk_fma_f32 v[116:117], v[134:135], v[118:119], v[168:169] neg_lo:[0,0,1] neg_hi:[0,0,1]
	v_pk_mul_f32 v[148:149], v[158:159], v[170:171] op_sel_hi:[1,0]
	v_dual_mov_b32 v111, v115 :: v_dual_mov_b32 v117, v131
	v_pk_add_f32 v[112:113], v[112:113], v[166:167]
	v_pk_mul_f32 v[172:173], v[138:139], v[122:123] op_sel:[1,1] op_sel_hi:[0,1]
	s_delay_alu instid0(VALU_DEP_4)
	v_pk_fma_f32 v[118:119], v[136:137], v[120:121], v[148:149] op_sel_hi:[1,0,1]
	v_pk_fma_f32 v[120:121], v[136:137], v[120:121], v[148:149] neg_lo:[0,0,1] neg_hi:[0,0,1]
	v_pk_mul_f32 v[130:131], v[160:161], v[146:147] op_sel_hi:[1,0]
	v_pk_add_f32 v[110:111], v[112:113], v[110:111]
	v_pk_fma_f32 v[112:113], v[138:139], v[122:123], v[172:173] op_sel_hi:[1,0,1]
	s_wait_loadcnt 0x2
	v_dual_mov_b32 v121, v119 :: v_dual_mov_b32 v112, v129
	v_pk_mul_f32 v[114:115], v[142:143], v[126:127] op_sel:[1,1] op_sel_hi:[0,1]
	v_pk_add_f32 v[110:111], v[110:111], v[116:117]
	v_pk_fma_f32 v[116:117], v[138:139], v[122:123], v[172:173] neg_lo:[0,0,1] neg_hi:[0,0,1]
	v_pk_fma_f32 v[118:119], v[140:141], v[124:125], v[130:131] op_sel_hi:[1,0,1]
	v_mov_b32_e32 v117, v113
	v_pk_fma_f32 v[122:123], v[140:141], v[124:125], v[130:131] neg_lo:[0,0,1] neg_hi:[0,0,1]
	v_pk_add_f32 v[110:111], v[110:111], v[120:121]
	v_pk_fma_f32 v[120:121], v[142:143], v[126:127], v[114:115] op_sel_hi:[1,0,1]
	v_pk_mul_f32 v[112:113], v[162:163], v[112:113] op_sel_hi:[1,0]
	v_mov_b32_e32 v123, v119
	v_pk_fma_f32 v[114:115], v[142:143], v[126:127], v[114:115] neg_lo:[0,0,1] neg_hi:[0,0,1]
	v_pk_add_f32 v[110:111], v[110:111], v[116:117]
	s_wait_loadcnt_dscnt 0x100
	v_pk_mul_f32 v[118:119], v[154:155], v[150:151] op_sel:[1,1] op_sel_hi:[0,1]
	v_pk_fma_f32 v[116:117], v[144:145], v[128:129], v[112:113] op_sel_hi:[1,0,1]
	v_mov_b32_e32 v115, v121
	v_pk_fma_f32 v[112:113], v[144:145], v[128:129], v[112:113] neg_lo:[0,0,1] neg_hi:[0,0,1]
	v_pk_add_f32 v[110:111], v[110:111], v[122:123]
	s_delay_alu instid0(VALU_DEP_4) | instskip(SKIP_1) | instid1(VALU_DEP_3)
	v_mov_b32_e32 v113, v117
	v_pk_fma_f32 v[116:117], v[154:155], v[150:151], v[118:119] neg_lo:[0,0,1] neg_hi:[0,0,1]
	v_pk_add_f32 v[110:111], v[110:111], v[114:115]
	v_pk_fma_f32 v[114:115], v[154:155], v[150:151], v[118:119] op_sel_hi:[1,0,1]
	s_delay_alu instid0(VALU_DEP_2) | instskip(NEXT) | instid1(VALU_DEP_2)
	v_pk_add_f32 v[110:111], v[110:111], v[112:113]
	v_mov_b32_e32 v117, v115
	s_delay_alu instid0(VALU_DEP_1) | instskip(SKIP_1) | instid1(VALU_DEP_1)
	v_pk_add_f32 v[110:111], v[110:111], v[116:117]
	s_wait_loadcnt 0x0
	v_pk_add_f32 v[110:111], v[152:153], v[110:111] neg_lo:[0,1] neg_hi:[0,1]
	scratch_store_b64 off, v[110:111], off offset:336
	s_wait_xcnt 0x0
	v_cmpx_lt_u32_e32 41, v0
	s_cbranch_execz .LBB53_255
; %bb.254:
	scratch_load_b64 v[110:111], off, off offset:328
	v_mov_b64_e32 v[112:113], 0
	scratch_store_b64 off, v[112:113], off offset:328
	s_wait_loadcnt 0x0
	ds_store_b64 v1, v[110:111]
.LBB53_255:
	s_wait_xcnt 0x0
	s_or_b32 exec_lo, exec_lo, s0
	s_wait_storecnt_dscnt 0x0
	s_barrier_signal -1
	s_barrier_wait -1
	s_clause 0x6
	scratch_load_b128 v[110:113], off, off offset:336
	scratch_load_b128 v[114:117], off, off offset:352
	;; [unrolled: 1-line block ×6, first 2 shown]
	scratch_load_b64 v[158:159], off, off offset:328
	ds_load_b128 v[134:137], v7 offset:800
	ds_load_b128 v[138:141], v7 offset:816
	;; [unrolled: 1-line block ×6, first 2 shown]
	s_mov_b32 s0, exec_lo
	s_wait_dscnt 0x5
	v_dual_mov_b32 v160, v137 :: v_dual_mov_b32 v161, v136
	s_wait_dscnt 0x4
	v_dual_mov_b32 v162, v141 :: v_dual_mov_b32 v163, v140
	;; [unrolled: 2-line block ×4, first 2 shown]
	s_wait_loadcnt_dscnt 0x601
	v_dual_mul_f32 v7, v150, v111 :: v_dual_mul_f32 v9, v152, v113
	v_dual_mul_f32 v11, v151, v111 :: v_dual_mul_f32 v13, v153, v113
	s_wait_loadcnt 0x4
	s_delay_alu instid0(VALU_DEP_2)
	v_dual_mov_b32 v174, v121 :: v_dual_fmac_f32 v7, v151, v110
	s_wait_dscnt 0x0
	v_dual_mul_f32 v169, v154, v115 :: v_dual_mul_f32 v171, v156, v117
	v_dual_fma_f32 v11, v150, v110, -v11 :: v_dual_fmac_f32 v9, v153, v112
	v_dual_mul_f32 v15, v155, v115 :: v_dual_mul_f32 v17, v157, v117
	v_dual_fma_f32 v13, v152, v112, -v13 :: v_dual_add_f32 v7, 0, v7
	s_wait_loadcnt 0x3
	s_delay_alu instid0(VALU_DEP_3) | instskip(SKIP_3) | instid1(VALU_DEP_4)
	v_dual_add_f32 v11, 0, v11 :: v_dual_mov_b32 v112, v125
	v_pk_mul_f32 v[172:173], v[134:135], v[118:119] op_sel:[1,1] op_sel_hi:[0,1]
	v_dual_fmac_f32 v169, v155, v114 :: v_dual_fma_f32 v168, v154, v114, -v15
	v_dual_add_f32 v115, v7, v9 :: v_dual_fmac_f32 v171, v157, v116
	v_dual_add_f32 v114, v11, v13 :: v_dual_fma_f32 v170, v156, v116, -v17
	s_delay_alu instid0(VALU_DEP_4) | instskip(SKIP_2) | instid1(VALU_DEP_4)
	v_pk_fma_f32 v[116:117], v[134:135], v[118:119], v[172:173] op_sel_hi:[1,0,1]
	v_pk_mul_f32 v[150:151], v[160:161], v[174:175] op_sel_hi:[1,0]
	v_pk_fma_f32 v[118:119], v[134:135], v[118:119], v[172:173] neg_lo:[0,0,1] neg_hi:[0,0,1]
	v_pk_add_f32 v[114:115], v[114:115], v[168:169]
	v_pk_mul_f32 v[110:111], v[138:139], v[122:123] op_sel:[1,1] op_sel_hi:[0,1]
	v_mov_b32_e32 v119, v117
	v_pk_fma_f32 v[116:117], v[136:137], v[120:121], v[150:151] op_sel_hi:[1,0,1]
	v_pk_fma_f32 v[120:121], v[136:137], v[120:121], v[150:151] neg_lo:[0,0,1] neg_hi:[0,0,1]
	v_pk_add_f32 v[114:115], v[114:115], v[170:171]
	v_pk_fma_f32 v[134:135], v[138:139], v[122:123], v[110:111] op_sel_hi:[1,0,1]
	v_pk_mul_f32 v[112:113], v[162:163], v[112:113] op_sel_hi:[1,0]
	v_mov_b32_e32 v121, v117
	v_pk_fma_f32 v[110:111], v[138:139], v[122:123], v[110:111] neg_lo:[0,0,1] neg_hi:[0,0,1]
	v_pk_add_f32 v[114:115], v[114:115], v[118:119]
	s_wait_loadcnt 0x2
	v_pk_mul_f32 v[152:153], v[142:143], v[126:127] op_sel:[1,1] op_sel_hi:[0,1]
	v_dual_mov_b32 v116, v129 :: v_dual_mov_b32 v111, v135
	v_pk_fma_f32 v[118:119], v[140:141], v[124:125], v[112:113] op_sel_hi:[1,0,1]
	v_pk_add_f32 v[114:115], v[114:115], v[120:121]
	v_pk_fma_f32 v[112:113], v[140:141], v[124:125], v[112:113] neg_lo:[0,0,1] neg_hi:[0,0,1]
	v_pk_fma_f32 v[120:121], v[142:143], v[126:127], v[152:153] op_sel_hi:[1,0,1]
	v_pk_mul_f32 v[116:117], v[164:165], v[116:117] op_sel_hi:[1,0]
	v_mov_b32_e32 v113, v119
	v_pk_add_f32 v[110:111], v[114:115], v[110:111]
	v_pk_fma_f32 v[118:119], v[142:143], v[126:127], v[152:153] neg_lo:[0,0,1] neg_hi:[0,0,1]
	s_wait_loadcnt 0x1
	v_pk_mul_f32 v[114:115], v[146:147], v[130:131] op_sel:[1,1] op_sel_hi:[0,1]
	v_mov_b32_e32 v119, v121
	v_pk_fma_f32 v[120:121], v[144:145], v[128:129], v[116:117] op_sel_hi:[1,0,1]
	v_pk_add_f32 v[110:111], v[110:111], v[112:113]
	v_mov_b32_e32 v112, v133
	v_pk_fma_f32 v[116:117], v[144:145], v[128:129], v[116:117] neg_lo:[0,0,1] neg_hi:[0,0,1]
	v_pk_fma_f32 v[122:123], v[146:147], v[130:131], v[114:115] op_sel_hi:[1,0,1]
	v_mov_b32_e32 v117, v121
	v_pk_add_f32 v[110:111], v[110:111], v[118:119]
	v_pk_mul_f32 v[112:113], v[166:167], v[112:113] op_sel_hi:[1,0]
	v_pk_fma_f32 v[114:115], v[146:147], v[130:131], v[114:115] neg_lo:[0,0,1] neg_hi:[0,0,1]
	s_delay_alu instid0(VALU_DEP_3) | instskip(NEXT) | instid1(VALU_DEP_3)
	v_pk_add_f32 v[110:111], v[110:111], v[116:117]
	v_pk_fma_f32 v[116:117], v[148:149], v[132:133], v[112:113] op_sel_hi:[1,0,1]
	v_mov_b32_e32 v115, v123
	v_pk_fma_f32 v[112:113], v[148:149], v[132:133], v[112:113] neg_lo:[0,0,1] neg_hi:[0,0,1]
	s_delay_alu instid0(VALU_DEP_3) | instskip(NEXT) | instid1(VALU_DEP_3)
	v_mov_b32_e32 v113, v117
	v_pk_add_f32 v[110:111], v[110:111], v[114:115]
	s_delay_alu instid0(VALU_DEP_1) | instskip(SKIP_1) | instid1(VALU_DEP_1)
	v_pk_add_f32 v[110:111], v[110:111], v[112:113]
	s_wait_loadcnt 0x0
	v_pk_add_f32 v[110:111], v[158:159], v[110:111] neg_lo:[0,1] neg_hi:[0,1]
	scratch_store_b64 off, v[110:111], off offset:328
	s_wait_xcnt 0x0
	v_cmpx_lt_u32_e32 40, v0
	s_cbranch_execz .LBB53_257
; %bb.256:
	scratch_load_b64 v[110:111], off, off offset:320
	v_mov_b64_e32 v[112:113], 0
	scratch_store_b64 off, v[112:113], off offset:320
	s_wait_loadcnt 0x0
	ds_store_b64 v1, v[110:111]
.LBB53_257:
	s_wait_xcnt 0x0
	s_or_b32 exec_lo, exec_lo, s0
	s_wait_storecnt_dscnt 0x0
	s_barrier_signal -1
	s_barrier_wait -1
	s_clause 0x7
	scratch_load_b128 v[110:113], off, off offset:328
	scratch_load_b128 v[114:117], off, off offset:344
	;; [unrolled: 1-line block ×6, first 2 shown]
	scratch_load_b64 v[158:159], off, off offset:424
	scratch_load_b64 v[160:161], off, off offset:320
	v_mov_b32_e32 v7, 0
	ds_load_2addr_b64 v[134:137], v7 offset0:99 offset1:100
	ds_load_2addr_b64 v[138:141], v7 offset0:101 offset1:102
	;; [unrolled: 1-line block ×6, first 2 shown]
	ds_load_b64 v[162:163], v7 offset:856
	s_mov_b32 s0, exec_lo
	s_wait_dscnt 0x6
	v_dual_mov_b32 v164, v137 :: v_dual_mov_b32 v165, v136
	s_wait_dscnt 0x3
	v_dual_mov_b32 v166, v141 :: v_dual_mov_b32 v171, v148
	v_dual_mov_b32 v167, v140 :: v_dual_mov_b32 v168, v145
	;; [unrolled: 1-line block ×3, first 2 shown]
	s_wait_loadcnt_dscnt 0x702
	v_dual_mul_f32 v9, v150, v111 :: v_dual_mul_f32 v15, v151, v111
	v_dual_mul_f32 v17, v153, v113 :: v_dual_mul_f32 v11, v152, v113
	s_wait_loadcnt_dscnt 0x601
	s_delay_alu instid0(VALU_DEP_2) | instskip(NEXT) | instid1(VALU_DEP_3)
	v_dual_mul_f32 v13, v154, v115 :: v_dual_fmac_f32 v9, v151, v110
	v_dual_fma_f32 v15, v150, v110, -v15 :: v_dual_mul_f32 v19, v155, v115
	v_mul_f32_e32 v21, v157, v117
	s_wait_loadcnt 0x4
	v_dual_mov_b32 v110, v125 :: v_dual_fma_f32 v17, v152, v112, -v17
	v_dual_fmac_f32 v11, v153, v112 :: v_dual_add_f32 v9, 0, v9
	v_dual_add_f32 v15, 0, v15 :: v_dual_fmac_f32 v13, v155, v114
	v_dual_mul_f32 v173, v156, v117 :: v_dual_mul_f32 v175, v134, v119
	v_dual_mul_f32 v23, v135, v119 :: v_dual_mov_b32 v174, v121
	s_delay_alu instid0(VALU_DEP_4) | instskip(NEXT) | instid1(VALU_DEP_3)
	v_dual_fma_f32 v19, v154, v114, -v19 :: v_dual_add_f32 v9, v9, v11
	v_dual_add_f32 v11, v15, v17 :: v_dual_fmac_f32 v173, v157, v116
	v_pk_mul_f32 v[176:177], v[138:139], v[122:123] op_sel:[1,1] op_sel_hi:[0,1]
	s_delay_alu instid0(VALU_DEP_3)
	v_dual_fma_f32 v172, v156, v116, -v21 :: v_dual_add_f32 v117, v9, v13
	v_pk_mul_f32 v[114:115], v[164:165], v[174:175] op_sel_hi:[1,0]
	s_wait_loadcnt 0x3
	v_dual_add_f32 v116, v11, v19 :: v_dual_mov_b32 v150, v129
	v_fmac_f32_e32 v175, v135, v118
	v_fma_f32 v174, v134, v118, -v23
	v_pk_fma_f32 v[118:119], v[136:137], v[120:121], v[114:115] op_sel_hi:[1,0,1]
	s_delay_alu instid0(VALU_DEP_4) | instskip(SKIP_4) | instid1(VALU_DEP_4)
	v_pk_add_f32 v[116:117], v[116:117], v[172:173]
	v_pk_fma_f32 v[134:135], v[138:139], v[122:123], v[176:177] op_sel_hi:[1,0,1]
	v_pk_fma_f32 v[114:115], v[136:137], v[120:121], v[114:115] neg_lo:[0,0,1] neg_hi:[0,0,1]
	v_pk_fma_f32 v[120:121], v[138:139], v[122:123], v[176:177] neg_lo:[0,0,1] neg_hi:[0,0,1]
	v_pk_mul_f32 v[110:111], v[166:167], v[110:111] op_sel_hi:[1,0]
	v_dual_mov_b32 v115, v119 :: v_dual_mov_b32 v121, v135
	v_pk_add_f32 v[116:117], v[116:117], v[174:175]
	v_pk_mul_f32 v[112:113], v[142:143], v[126:127] op_sel:[1,1] op_sel_hi:[0,1]
	s_delay_alu instid0(VALU_DEP_4)
	v_pk_fma_f32 v[122:123], v[140:141], v[124:125], v[110:111] op_sel_hi:[1,0,1]
	v_pk_fma_f32 v[110:111], v[140:141], v[124:125], v[110:111] neg_lo:[0,0,1] neg_hi:[0,0,1]
	v_pk_mul_f32 v[134:135], v[168:169], v[150:151] op_sel_hi:[1,0]
	v_pk_add_f32 v[114:115], v[116:117], v[114:115]
	v_pk_fma_f32 v[116:117], v[142:143], v[126:127], v[112:113] op_sel_hi:[1,0,1]
	s_wait_loadcnt 0x2
	v_dual_mov_b32 v111, v123 :: v_dual_mov_b32 v116, v133
	v_pk_fma_f32 v[112:113], v[142:143], v[126:127], v[112:113] neg_lo:[0,0,1] neg_hi:[0,0,1]
	v_pk_add_f32 v[114:115], v[114:115], v[120:121]
	v_pk_mul_f32 v[118:119], v[146:147], v[130:131] op_sel:[1,1] op_sel_hi:[0,1]
	v_pk_fma_f32 v[120:121], v[144:145], v[128:129], v[134:135] op_sel_hi:[1,0,1]
	v_mov_b32_e32 v113, v117
	v_pk_fma_f32 v[122:123], v[144:145], v[128:129], v[134:135] neg_lo:[0,0,1] neg_hi:[0,0,1]
	v_pk_add_f32 v[110:111], v[114:115], v[110:111]
	v_pk_fma_f32 v[114:115], v[146:147], v[130:131], v[118:119] op_sel_hi:[1,0,1]
	v_pk_mul_f32 v[116:117], v[170:171], v[116:117] op_sel_hi:[1,0]
	v_mov_b32_e32 v123, v121
	s_delay_alu instid0(VALU_DEP_4)
	v_pk_add_f32 v[110:111], v[110:111], v[112:113]
	v_pk_fma_f32 v[112:113], v[146:147], v[130:131], v[118:119] neg_lo:[0,0,1] neg_hi:[0,0,1]
	v_mov_b32_e32 v113, v115
	v_pk_fma_f32 v[114:115], v[148:149], v[132:133], v[116:117] op_sel_hi:[1,0,1]
	s_wait_loadcnt_dscnt 0x100
	v_pk_mul_f32 v[118:119], v[162:163], v[158:159] op_sel:[1,1] op_sel_hi:[0,1]
	v_pk_add_f32 v[110:111], v[110:111], v[122:123]
	v_pk_fma_f32 v[116:117], v[148:149], v[132:133], v[116:117] neg_lo:[0,0,1] neg_hi:[0,0,1]
	v_mov_b32_e32 v117, v115
	s_delay_alu instid0(VALU_DEP_4) | instskip(NEXT) | instid1(VALU_DEP_4)
	v_pk_fma_f32 v[114:115], v[162:163], v[158:159], v[118:119] neg_lo:[0,0,1] neg_hi:[0,0,1]
	v_pk_add_f32 v[110:111], v[110:111], v[112:113]
	v_pk_fma_f32 v[112:113], v[162:163], v[158:159], v[118:119] op_sel_hi:[1,0,1]
	s_delay_alu instid0(VALU_DEP_2) | instskip(NEXT) | instid1(VALU_DEP_2)
	v_pk_add_f32 v[110:111], v[110:111], v[116:117]
	v_mov_b32_e32 v115, v113
	s_delay_alu instid0(VALU_DEP_1) | instskip(SKIP_1) | instid1(VALU_DEP_1)
	v_pk_add_f32 v[110:111], v[110:111], v[114:115]
	s_wait_loadcnt 0x0
	v_pk_add_f32 v[110:111], v[160:161], v[110:111] neg_lo:[0,1] neg_hi:[0,1]
	scratch_store_b64 off, v[110:111], off offset:320
	s_wait_xcnt 0x0
	v_cmpx_lt_u32_e32 39, v0
	s_cbranch_execz .LBB53_259
; %bb.258:
	scratch_load_b64 v[110:111], off, off offset:312
	v_mov_b64_e32 v[112:113], 0
	scratch_store_b64 off, v[112:113], off offset:312
	s_wait_loadcnt 0x0
	ds_store_b64 v1, v[110:111]
.LBB53_259:
	s_wait_xcnt 0x0
	s_or_b32 exec_lo, exec_lo, s0
	s_wait_storecnt_dscnt 0x0
	s_barrier_signal -1
	s_barrier_wait -1
	s_clause 0x7
	scratch_load_b128 v[110:113], off, off offset:320
	scratch_load_b128 v[114:117], off, off offset:336
	;; [unrolled: 1-line block ×7, first 2 shown]
	scratch_load_b64 v[166:167], off, off offset:312
	ds_load_b128 v[138:141], v7 offset:800
	ds_load_b128 v[142:145], v7 offset:816
	ds_load_b128 v[146:149], v7 offset:832
	ds_load_b128 v[150:153], v7 offset:848
	ds_load_b128 v[154:157], v7 offset:752
	ds_load_b128 v[158:161], v7 offset:768
	ds_load_b128 v[162:165], v7 offset:784
	s_mov_b32 s0, exec_lo
	s_wait_dscnt 0x6
	v_dual_mov_b32 v168, v141 :: v_dual_mov_b32 v169, v140
	s_wait_dscnt 0x5
	v_dual_mov_b32 v170, v145 :: v_dual_mov_b32 v171, v144
	;; [unrolled: 2-line block ×4, first 2 shown]
	s_wait_loadcnt_dscnt 0x702
	v_dual_mul_f32 v7, v154, v111 :: v_dual_mul_f32 v9, v156, v113
	v_dual_mul_f32 v15, v155, v111 :: v_dual_mul_f32 v17, v157, v113
	s_wait_loadcnt_dscnt 0x601
	v_dual_mul_f32 v11, v158, v115 :: v_dual_mul_f32 v13, v160, v117
	s_delay_alu instid0(VALU_DEP_3) | instskip(NEXT) | instid1(VALU_DEP_3)
	v_dual_fmac_f32 v7, v155, v110 :: v_dual_fmac_f32 v9, v157, v112
	v_dual_fma_f32 v15, v154, v110, -v15 :: v_dual_fma_f32 v17, v156, v112, -v17
	v_dual_mul_f32 v19, v159, v115 :: v_dual_mul_f32 v21, v161, v117
	s_wait_loadcnt 0x4
	s_delay_alu instid0(VALU_DEP_3) | instskip(NEXT) | instid1(VALU_DEP_3)
	v_dual_add_f32 v7, 0, v7 :: v_dual_mov_b32 v112, v125
	v_dual_add_f32 v15, 0, v15 :: v_dual_fmac_f32 v11, v159, v114
	s_delay_alu instid0(VALU_DEP_2) | instskip(SKIP_2) | instid1(VALU_DEP_3)
	v_dual_fma_f32 v19, v158, v114, -v19 :: v_dual_add_f32 v7, v7, v9
	s_wait_dscnt 0x0
	v_dual_mul_f32 v177, v162, v119 :: v_dual_mul_f32 v179, v164, v121
	v_dual_add_f32 v9, v15, v17 :: v_dual_fmac_f32 v13, v161, v116
	v_dual_mul_f32 v23, v163, v119 :: v_dual_mul_f32 v25, v165, v121
	v_dual_fma_f32 v15, v160, v116, -v21 :: v_dual_add_f32 v7, v7, v11
	s_delay_alu instid0(VALU_DEP_3) | instskip(SKIP_3) | instid1(VALU_DEP_3)
	v_dual_add_f32 v9, v9, v19 :: v_dual_fmac_f32 v177, v163, v118
	v_pk_mul_f32 v[110:111], v[138:139], v[122:123] op_sel:[1,1] op_sel_hi:[0,1]
	s_wait_loadcnt 0x3
	v_dual_mov_b32 v116, v129 :: v_dual_fma_f32 v176, v162, v118, -v23
	v_dual_add_f32 v119, v7, v13 :: v_dual_add_f32 v118, v9, v15
	v_dual_fmac_f32 v179, v165, v120 :: v_dual_fma_f32 v178, v164, v120, -v25
	v_pk_fma_f32 v[120:121], v[138:139], v[122:123], v[110:111] op_sel_hi:[1,0,1]
	v_pk_mul_f32 v[112:113], v[168:169], v[112:113] op_sel_hi:[1,0]
	s_delay_alu instid0(VALU_DEP_4)
	v_pk_add_f32 v[118:119], v[118:119], v[176:177]
	v_pk_fma_f32 v[110:111], v[138:139], v[122:123], v[110:111] neg_lo:[0,0,1] neg_hi:[0,0,1]
	v_pk_mul_f32 v[114:115], v[142:143], v[126:127] op_sel:[1,1] op_sel_hi:[0,1]
	v_mov_b32_e32 v111, v121
	v_pk_fma_f32 v[120:121], v[140:141], v[124:125], v[112:113] op_sel_hi:[1,0,1]
	v_pk_add_f32 v[118:119], v[118:119], v[178:179]
	v_pk_fma_f32 v[112:113], v[140:141], v[124:125], v[112:113] neg_lo:[0,0,1] neg_hi:[0,0,1]
	v_pk_fma_f32 v[122:123], v[142:143], v[126:127], v[114:115] op_sel_hi:[1,0,1]
	v_pk_mul_f32 v[116:117], v[170:171], v[116:117] op_sel_hi:[1,0]
	v_mov_b32_e32 v113, v121
	v_pk_add_f32 v[110:111], v[118:119], v[110:111]
	s_wait_loadcnt 0x2
	v_pk_mul_f32 v[154:155], v[146:147], v[130:131] op_sel:[1,1] op_sel_hi:[0,1]
	v_mov_b32_e32 v118, v133
	v_pk_fma_f32 v[114:115], v[142:143], v[126:127], v[114:115] neg_lo:[0,0,1] neg_hi:[0,0,1]
	v_mov_b32_e32 v115, v123
	v_pk_fma_f32 v[120:121], v[144:145], v[128:129], v[116:117] op_sel_hi:[1,0,1]
	v_pk_add_f32 v[110:111], v[110:111], v[112:113]
	v_pk_fma_f32 v[112:113], v[146:147], v[130:131], v[154:155] op_sel_hi:[1,0,1]
	v_pk_mul_f32 v[118:119], v[172:173], v[118:119] op_sel_hi:[1,0]
	v_pk_fma_f32 v[116:117], v[144:145], v[128:129], v[116:117] neg_lo:[0,0,1] neg_hi:[0,0,1]
	v_mov_b32_e32 v117, v121
	v_pk_add_f32 v[110:111], v[110:111], v[114:115]
	v_pk_fma_f32 v[120:121], v[146:147], v[130:131], v[154:155] neg_lo:[0,0,1] neg_hi:[0,0,1]
	v_mov_b32_e32 v121, v113
	v_pk_fma_f32 v[112:113], v[148:149], v[132:133], v[118:119] op_sel_hi:[1,0,1]
	s_wait_loadcnt 0x1
	v_pk_mul_f32 v[114:115], v[150:151], v[134:135] op_sel:[1,1] op_sel_hi:[0,1]
	v_pk_add_f32 v[110:111], v[110:111], v[116:117]
	v_mov_b32_e32 v112, v137
	v_pk_fma_f32 v[118:119], v[148:149], v[132:133], v[118:119] neg_lo:[0,0,1] neg_hi:[0,0,1]
	v_mov_b32_e32 v119, v113
	v_pk_fma_f32 v[116:117], v[150:151], v[134:135], v[114:115] op_sel_hi:[1,0,1]
	v_pk_add_f32 v[110:111], v[110:111], v[120:121]
	v_pk_mul_f32 v[112:113], v[174:175], v[112:113] op_sel_hi:[1,0]
	v_pk_fma_f32 v[114:115], v[150:151], v[134:135], v[114:115] neg_lo:[0,0,1] neg_hi:[0,0,1]
	s_delay_alu instid0(VALU_DEP_4) | instskip(NEXT) | instid1(VALU_DEP_4)
	v_mov_b32_e32 v115, v117
	v_pk_add_f32 v[110:111], v[110:111], v[118:119]
	s_delay_alu instid0(VALU_DEP_4) | instskip(SKIP_1) | instid1(VALU_DEP_2)
	v_pk_fma_f32 v[116:117], v[152:153], v[136:137], v[112:113] op_sel_hi:[1,0,1]
	v_pk_fma_f32 v[112:113], v[152:153], v[136:137], v[112:113] neg_lo:[0,0,1] neg_hi:[0,0,1]
	v_mov_b32_e32 v113, v117
	s_delay_alu instid0(VALU_DEP_4) | instskip(NEXT) | instid1(VALU_DEP_1)
	v_pk_add_f32 v[110:111], v[110:111], v[114:115]
	v_pk_add_f32 v[110:111], v[110:111], v[112:113]
	s_wait_loadcnt 0x0
	s_delay_alu instid0(VALU_DEP_1)
	v_pk_add_f32 v[110:111], v[166:167], v[110:111] neg_lo:[0,1] neg_hi:[0,1]
	scratch_store_b64 off, v[110:111], off offset:312
	s_wait_xcnt 0x0
	v_cmpx_lt_u32_e32 38, v0
	s_cbranch_execz .LBB53_261
; %bb.260:
	scratch_load_b64 v[110:111], off, off offset:304
	v_mov_b64_e32 v[112:113], 0
	scratch_store_b64 off, v[112:113], off offset:304
	s_wait_loadcnt 0x0
	ds_store_b64 v1, v[110:111]
.LBB53_261:
	s_wait_xcnt 0x0
	s_or_b32 exec_lo, exec_lo, s0
	s_wait_storecnt_dscnt 0x0
	s_barrier_signal -1
	s_barrier_wait -1
	s_clause 0x8
	scratch_load_b128 v[110:113], off, off offset:312
	scratch_load_b128 v[114:117], off, off offset:328
	;; [unrolled: 1-line block ×7, first 2 shown]
	scratch_load_b64 v[166:167], off, off offset:424
	scratch_load_b64 v[168:169], off, off offset:304
	v_mov_b32_e32 v7, 0
	ds_load_2addr_b64 v[138:141], v7 offset0:99 offset1:100
	ds_load_2addr_b64 v[142:145], v7 offset0:101 offset1:102
	;; [unrolled: 1-line block ×7, first 2 shown]
	ds_load_b64 v[170:171], v7 offset:856
	s_mov_b32 s0, exec_lo
	s_wait_dscnt 0x7
	v_dual_mov_b32 v172, v141 :: v_dual_mov_b32 v173, v140
	s_wait_dscnt 0x4
	v_dual_mov_b32 v174, v145 :: v_dual_mov_b32 v179, v152
	v_dual_mov_b32 v175, v144 :: v_dual_mov_b32 v176, v149
	;; [unrolled: 1-line block ×3, first 2 shown]
	s_wait_loadcnt_dscnt 0x803
	v_dual_mul_f32 v9, v154, v111 :: v_dual_mul_f32 v19, v155, v111
	v_dual_mul_f32 v21, v157, v113 :: v_dual_mul_f32 v11, v156, v113
	s_wait_loadcnt_dscnt 0x702
	v_mul_f32_e32 v13, v158, v115
	s_wait_loadcnt 0x5
	v_dual_mul_f32 v31, v139, v123 :: v_dual_fma_f32 v19, v154, v110, -v19
	v_dual_fmac_f32 v9, v155, v110 :: v_dual_mov_b32 v110, v125
	v_dual_mul_f32 v23, v159, v115 :: v_dual_mul_f32 v25, v161, v117
	v_dual_fmac_f32 v11, v157, v112 :: v_dual_fma_f32 v21, v156, v112, -v21
	s_delay_alu instid0(VALU_DEP_3) | instskip(SKIP_3) | instid1(VALU_DEP_3)
	v_dual_add_f32 v9, 0, v9 :: v_dual_add_f32 v19, 0, v19
	s_wait_dscnt 0x1
	v_dual_mul_f32 v15, v160, v117 :: v_dual_mul_f32 v17, v162, v119
	v_dual_fmac_f32 v13, v159, v114 :: v_dual_fma_f32 v23, v158, v114, -v23
	v_dual_add_f32 v9, v9, v11 :: v_dual_add_f32 v11, v19, v21
	v_dual_mul_f32 v27, v163, v119 :: v_dual_mul_f32 v29, v165, v121
	s_wait_loadcnt 0x4
	v_dual_mov_b32 v114, v129 :: v_dual_fma_f32 v19, v160, v116, -v25
	s_delay_alu instid0(VALU_DEP_3) | instskip(SKIP_2) | instid1(VALU_DEP_2)
	v_dual_fmac_f32 v15, v161, v116 :: v_dual_add_f32 v11, v11, v23
	v_dual_add_f32 v9, v9, v13 :: v_dual_fmac_f32 v17, v163, v118
	v_dual_mul_f32 v181, v164, v121 :: v_dual_mul_f32 v183, v138, v123
	v_dual_fma_f32 v13, v162, v118, -v27 :: v_dual_add_f32 v9, v9, v15
	s_delay_alu instid0(VALU_DEP_2) | instskip(SKIP_1) | instid1(VALU_DEP_3)
	v_dual_add_f32 v11, v11, v19 :: v_dual_fmac_f32 v181, v165, v120
	v_pk_mul_f32 v[112:113], v[142:143], v[126:127] op_sel:[1,1] op_sel_hi:[0,1]
	v_dual_fma_f32 v180, v164, v120, -v29 :: v_dual_add_f32 v119, v9, v17
	v_pk_mul_f32 v[110:111], v[172:173], v[110:111] op_sel_hi:[1,0]
	s_wait_loadcnt 0x3
	v_dual_add_f32 v118, v11, v13 :: v_dual_mov_b32 v120, v133
	v_fmac_f32_e32 v183, v139, v122
	v_fma_f32 v182, v138, v122, -v31
	v_pk_fma_f32 v[122:123], v[140:141], v[124:125], v[110:111] op_sel_hi:[1,0,1]
	s_delay_alu instid0(VALU_DEP_4) | instskip(SKIP_4) | instid1(VALU_DEP_4)
	v_pk_add_f32 v[118:119], v[118:119], v[180:181]
	v_pk_fma_f32 v[138:139], v[142:143], v[126:127], v[112:113] op_sel_hi:[1,0,1]
	v_pk_fma_f32 v[110:111], v[140:141], v[124:125], v[110:111] neg_lo:[0,0,1] neg_hi:[0,0,1]
	v_pk_fma_f32 v[112:113], v[142:143], v[126:127], v[112:113] neg_lo:[0,0,1] neg_hi:[0,0,1]
	v_pk_mul_f32 v[114:115], v[174:175], v[114:115] op_sel_hi:[1,0]
	v_dual_mov_b32 v111, v123 :: v_dual_mov_b32 v113, v139
	v_pk_add_f32 v[118:119], v[118:119], v[182:183]
	v_pk_mul_f32 v[116:117], v[146:147], v[130:131] op_sel:[1,1] op_sel_hi:[0,1]
	s_delay_alu instid0(VALU_DEP_4)
	v_pk_fma_f32 v[124:125], v[144:145], v[128:129], v[114:115] op_sel_hi:[1,0,1]
	v_pk_fma_f32 v[114:115], v[144:145], v[128:129], v[114:115] neg_lo:[0,0,1] neg_hi:[0,0,1]
	v_pk_mul_f32 v[120:121], v[176:177], v[120:121] op_sel_hi:[1,0]
	v_pk_add_f32 v[110:111], v[118:119], v[110:111]
	v_pk_fma_f32 v[118:119], v[146:147], v[130:131], v[116:117] op_sel_hi:[1,0,1]
	v_mov_b32_e32 v115, v125
	v_pk_fma_f32 v[116:117], v[146:147], v[130:131], v[116:117] neg_lo:[0,0,1] neg_hi:[0,0,1]
	s_wait_loadcnt 0x2
	v_pk_mul_f32 v[122:123], v[150:151], v[134:135] op_sel:[1,1] op_sel_hi:[0,1]
	v_pk_add_f32 v[110:111], v[110:111], v[112:113]
	v_dual_mov_b32 v112, v137 :: v_dual_mov_b32 v117, v119
	v_pk_fma_f32 v[118:119], v[148:149], v[132:133], v[120:121] op_sel_hi:[1,0,1]
	v_pk_fma_f32 v[120:121], v[148:149], v[132:133], v[120:121] neg_lo:[0,0,1] neg_hi:[0,0,1]
	s_delay_alu instid0(VALU_DEP_4)
	v_pk_add_f32 v[110:111], v[110:111], v[114:115]
	v_pk_fma_f32 v[114:115], v[150:151], v[134:135], v[122:123] op_sel_hi:[1,0,1]
	v_pk_mul_f32 v[112:113], v[178:179], v[112:113] op_sel_hi:[1,0]
	v_mov_b32_e32 v121, v119
	s_wait_loadcnt_dscnt 0x100
	v_pk_mul_f32 v[118:119], v[170:171], v[166:167] op_sel:[1,1] op_sel_hi:[0,1]
	v_pk_add_f32 v[110:111], v[110:111], v[116:117]
	v_pk_fma_f32 v[116:117], v[150:151], v[134:135], v[122:123] neg_lo:[0,0,1] neg_hi:[0,0,1]
	v_mov_b32_e32 v117, v115
	v_pk_fma_f32 v[114:115], v[152:153], v[136:137], v[112:113] op_sel_hi:[1,0,1]
	v_pk_fma_f32 v[112:113], v[152:153], v[136:137], v[112:113] neg_lo:[0,0,1] neg_hi:[0,0,1]
	v_pk_add_f32 v[110:111], v[110:111], v[120:121]
	s_delay_alu instid0(VALU_DEP_3) | instskip(SKIP_1) | instid1(VALU_DEP_3)
	v_mov_b32_e32 v113, v115
	v_pk_fma_f32 v[114:115], v[170:171], v[166:167], v[118:119] op_sel_hi:[1,0,1]
	v_pk_add_f32 v[110:111], v[110:111], v[116:117]
	v_pk_fma_f32 v[116:117], v[170:171], v[166:167], v[118:119] neg_lo:[0,0,1] neg_hi:[0,0,1]
	s_delay_alu instid0(VALU_DEP_3) | instskip(NEXT) | instid1(VALU_DEP_3)
	v_mov_b32_e32 v117, v115
	v_pk_add_f32 v[110:111], v[110:111], v[112:113]
	s_delay_alu instid0(VALU_DEP_1) | instskip(SKIP_1) | instid1(VALU_DEP_1)
	v_pk_add_f32 v[110:111], v[110:111], v[116:117]
	s_wait_loadcnt 0x0
	v_pk_add_f32 v[110:111], v[168:169], v[110:111] neg_lo:[0,1] neg_hi:[0,1]
	scratch_store_b64 off, v[110:111], off offset:304
	s_wait_xcnt 0x0
	v_cmpx_lt_u32_e32 37, v0
	s_cbranch_execz .LBB53_263
; %bb.262:
	scratch_load_b64 v[110:111], off, off offset:296
	v_mov_b64_e32 v[112:113], 0
	scratch_store_b64 off, v[112:113], off offset:296
	s_wait_loadcnt 0x0
	ds_store_b64 v1, v[110:111]
.LBB53_263:
	s_wait_xcnt 0x0
	s_or_b32 exec_lo, exec_lo, s0
	s_wait_storecnt_dscnt 0x0
	s_barrier_signal -1
	s_barrier_wait -1
	s_clause 0x8
	scratch_load_b128 v[110:113], off, off offset:304
	scratch_load_b128 v[114:117], off, off offset:320
	;; [unrolled: 1-line block ×8, first 2 shown]
	scratch_load_b64 v[174:175], off, off offset:296
	ds_load_b128 v[142:145], v7 offset:800
	ds_load_b128 v[146:149], v7 offset:816
	;; [unrolled: 1-line block ×8, first 2 shown]
	s_mov_b32 s0, exec_lo
	s_wait_dscnt 0x7
	v_dual_mov_b32 v176, v145 :: v_dual_mov_b32 v177, v144
	s_wait_dscnt 0x6
	v_dual_mov_b32 v178, v149 :: v_dual_mov_b32 v179, v148
	;; [unrolled: 2-line block ×4, first 2 shown]
	s_wait_loadcnt_dscnt 0x803
	v_dual_mul_f32 v7, v158, v111 :: v_dual_mul_f32 v9, v160, v113
	v_dual_mul_f32 v19, v159, v111 :: v_dual_mul_f32 v21, v161, v113
	s_wait_loadcnt_dscnt 0x702
	v_dual_mul_f32 v11, v162, v115 :: v_dual_mul_f32 v13, v164, v117
	s_delay_alu instid0(VALU_DEP_3) | instskip(SKIP_3) | instid1(VALU_DEP_3)
	v_dual_fmac_f32 v7, v159, v110 :: v_dual_fmac_f32 v9, v161, v112
	s_wait_loadcnt_dscnt 0x500
	v_dual_fma_f32 v19, v158, v110, -v19 :: v_dual_mul_f32 v31, v171, v123
	v_dual_mul_f32 v23, v163, v115 :: v_dual_mul_f32 v25, v165, v117
	v_dual_fma_f32 v21, v160, v112, -v21 :: v_dual_add_f32 v7, 0, v7
	s_delay_alu instid0(VALU_DEP_3) | instskip(SKIP_1) | instid1(VALU_DEP_3)
	v_dual_add_f32 v19, 0, v19 :: v_dual_mul_f32 v33, v173, v125
	v_dual_fmac_f32 v11, v163, v114 :: v_dual_fmac_f32 v13, v165, v116
	v_dual_fma_f32 v23, v162, v114, -v23 :: v_dual_add_f32 v7, v7, v9
	s_delay_alu instid0(VALU_DEP_3) | instskip(SKIP_4) | instid1(VALU_DEP_3)
	v_dual_add_f32 v9, v19, v21 :: v_dual_fma_f32 v19, v164, v116, -v25
	v_dual_mul_f32 v15, v166, v119 :: v_dual_mul_f32 v17, v168, v121
	v_dual_mul_f32 v27, v167, v119 :: v_dual_mul_f32 v29, v169, v121
	s_wait_loadcnt 0x4
	v_dual_add_f32 v7, v7, v11 :: v_dual_mov_b32 v112, v129
	v_dual_add_f32 v9, v9, v23 :: v_dual_fmac_f32 v15, v167, v118
	s_delay_alu instid0(VALU_DEP_2) | instskip(SKIP_1) | instid1(VALU_DEP_3)
	v_dual_fma_f32 v11, v166, v118, -v27 :: v_dual_add_f32 v7, v7, v13
	v_dual_mul_f32 v185, v170, v123 :: v_dual_mul_f32 v187, v172, v125
	v_dual_add_f32 v9, v9, v19 :: v_dual_fma_f32 v13, v168, v120, -v29
	s_delay_alu instid0(VALU_DEP_3) | instskip(SKIP_1) | instid1(VALU_DEP_3)
	v_dual_fmac_f32 v17, v169, v120 :: v_dual_add_f32 v7, v7, v15
	v_pk_mul_f32 v[110:111], v[142:143], v[126:127] op_sel:[1,1] op_sel_hi:[0,1]
	v_dual_add_f32 v9, v9, v11 :: v_dual_fmac_f32 v185, v171, v122
	s_wait_loadcnt 0x3
	v_dual_mov_b32 v116, v133 :: v_dual_fma_f32 v184, v170, v122, -v31
	v_dual_add_f32 v119, v7, v17 :: v_dual_fmac_f32 v187, v173, v124
	s_delay_alu instid0(VALU_DEP_3) | instskip(SKIP_3) | instid1(VALU_DEP_4)
	v_dual_add_f32 v118, v9, v13 :: v_dual_fma_f32 v186, v172, v124, -v33
	v_pk_fma_f32 v[120:121], v[142:143], v[126:127], v[110:111] op_sel_hi:[1,0,1]
	v_pk_mul_f32 v[112:113], v[176:177], v[112:113] op_sel_hi:[1,0]
	v_pk_fma_f32 v[110:111], v[142:143], v[126:127], v[110:111] neg_lo:[0,0,1] neg_hi:[0,0,1]
	v_pk_add_f32 v[118:119], v[118:119], v[184:185]
	v_pk_mul_f32 v[114:115], v[146:147], v[130:131] op_sel:[1,1] op_sel_hi:[0,1]
	v_mov_b32_e32 v111, v121
	v_pk_fma_f32 v[120:121], v[144:145], v[128:129], v[112:113] op_sel_hi:[1,0,1]
	v_pk_fma_f32 v[112:113], v[144:145], v[128:129], v[112:113] neg_lo:[0,0,1] neg_hi:[0,0,1]
	v_pk_add_f32 v[118:119], v[118:119], v[186:187]
	v_pk_fma_f32 v[124:125], v[146:147], v[130:131], v[114:115] op_sel_hi:[1,0,1]
	v_pk_mul_f32 v[116:117], v[178:179], v[116:117] op_sel_hi:[1,0]
	v_mov_b32_e32 v113, v121
	s_wait_loadcnt 0x2
	v_pk_mul_f32 v[122:123], v[150:151], v[134:135] op_sel:[1,1] op_sel_hi:[0,1]
	v_pk_add_f32 v[110:111], v[118:119], v[110:111]
	v_mov_b32_e32 v118, v137
	v_pk_fma_f32 v[114:115], v[146:147], v[130:131], v[114:115] neg_lo:[0,0,1] neg_hi:[0,0,1]
	v_mov_b32_e32 v115, v125
	v_pk_fma_f32 v[120:121], v[148:149], v[132:133], v[116:117] op_sel_hi:[1,0,1]
	v_pk_add_f32 v[110:111], v[110:111], v[112:113]
	v_pk_fma_f32 v[112:113], v[150:151], v[134:135], v[122:123] op_sel_hi:[1,0,1]
	v_pk_mul_f32 v[118:119], v[180:181], v[118:119] op_sel_hi:[1,0]
	v_pk_fma_f32 v[116:117], v[148:149], v[132:133], v[116:117] neg_lo:[0,0,1] neg_hi:[0,0,1]
	v_mov_b32_e32 v117, v121
	v_pk_add_f32 v[110:111], v[110:111], v[114:115]
	v_pk_fma_f32 v[120:121], v[150:151], v[134:135], v[122:123] neg_lo:[0,0,1] neg_hi:[0,0,1]
	v_mov_b32_e32 v121, v113
	v_pk_fma_f32 v[112:113], v[152:153], v[136:137], v[118:119] op_sel_hi:[1,0,1]
	s_wait_loadcnt 0x1
	v_pk_mul_f32 v[114:115], v[154:155], v[138:139] op_sel:[1,1] op_sel_hi:[0,1]
	v_pk_add_f32 v[110:111], v[110:111], v[116:117]
	v_mov_b32_e32 v112, v141
	v_pk_fma_f32 v[118:119], v[152:153], v[136:137], v[118:119] neg_lo:[0,0,1] neg_hi:[0,0,1]
	v_mov_b32_e32 v119, v113
	v_pk_fma_f32 v[116:117], v[154:155], v[138:139], v[114:115] op_sel_hi:[1,0,1]
	v_pk_add_f32 v[110:111], v[110:111], v[120:121]
	v_pk_mul_f32 v[112:113], v[182:183], v[112:113] op_sel_hi:[1,0]
	v_pk_fma_f32 v[114:115], v[154:155], v[138:139], v[114:115] neg_lo:[0,0,1] neg_hi:[0,0,1]
	s_delay_alu instid0(VALU_DEP_4) | instskip(NEXT) | instid1(VALU_DEP_4)
	v_mov_b32_e32 v115, v117
	v_pk_add_f32 v[110:111], v[110:111], v[118:119]
	s_delay_alu instid0(VALU_DEP_4) | instskip(SKIP_1) | instid1(VALU_DEP_2)
	v_pk_fma_f32 v[116:117], v[156:157], v[140:141], v[112:113] op_sel_hi:[1,0,1]
	v_pk_fma_f32 v[112:113], v[156:157], v[140:141], v[112:113] neg_lo:[0,0,1] neg_hi:[0,0,1]
	v_mov_b32_e32 v113, v117
	s_delay_alu instid0(VALU_DEP_4) | instskip(NEXT) | instid1(VALU_DEP_1)
	v_pk_add_f32 v[110:111], v[110:111], v[114:115]
	v_pk_add_f32 v[110:111], v[110:111], v[112:113]
	s_wait_loadcnt 0x0
	s_delay_alu instid0(VALU_DEP_1)
	v_pk_add_f32 v[110:111], v[174:175], v[110:111] neg_lo:[0,1] neg_hi:[0,1]
	scratch_store_b64 off, v[110:111], off offset:296
	s_wait_xcnt 0x0
	v_cmpx_lt_u32_e32 36, v0
	s_cbranch_execz .LBB53_265
; %bb.264:
	scratch_load_b64 v[110:111], off, off offset:288
	v_mov_b64_e32 v[112:113], 0
	scratch_store_b64 off, v[112:113], off offset:288
	s_wait_loadcnt 0x0
	ds_store_b64 v1, v[110:111]
.LBB53_265:
	s_wait_xcnt 0x0
	s_or_b32 exec_lo, exec_lo, s0
	s_wait_storecnt_dscnt 0x0
	s_barrier_signal -1
	s_barrier_wait -1
	s_clause 0x9
	scratch_load_b128 v[110:113], off, off offset:296
	scratch_load_b128 v[114:117], off, off offset:312
	;; [unrolled: 1-line block ×8, first 2 shown]
	scratch_load_b64 v[174:175], off, off offset:424
	scratch_load_b64 v[176:177], off, off offset:288
	v_mov_b32_e32 v7, 0
	ds_load_2addr_b64 v[142:145], v7 offset0:99 offset1:100
	ds_load_2addr_b64 v[146:149], v7 offset0:101 offset1:102
	;; [unrolled: 1-line block ×8, first 2 shown]
	ds_load_b64 v[178:179], v7 offset:856
	s_mov_b32 s0, exec_lo
	s_wait_dscnt 0x8
	v_dual_mov_b32 v180, v145 :: v_dual_mov_b32 v181, v144
	s_wait_dscnt 0x5
	v_dual_mov_b32 v182, v149 :: v_dual_mov_b32 v187, v156
	v_dual_mov_b32 v183, v148 :: v_dual_mov_b32 v184, v153
	;; [unrolled: 1-line block ×3, first 2 shown]
	s_wait_loadcnt_dscnt 0x904
	v_dual_mul_f32 v9, v158, v111 :: v_dual_mul_f32 v23, v159, v111
	v_dual_mul_f32 v25, v161, v113 :: v_dual_mul_f32 v11, v160, v113
	s_wait_loadcnt_dscnt 0x803
	v_mul_f32_e32 v13, v162, v115
	s_wait_loadcnt_dscnt 0x601
	v_dual_mul_f32 v35, v171, v123 :: v_dual_fma_f32 v23, v158, v110, -v23
	v_dual_fmac_f32 v9, v159, v110 :: v_dual_mul_f32 v37, v173, v125
	v_dual_mul_f32 v27, v163, v115 :: v_dual_mul_f32 v29, v165, v117
	v_dual_fmac_f32 v11, v161, v112 :: v_dual_fma_f32 v25, v160, v112, -v25
	s_delay_alu instid0(VALU_DEP_3) | instskip(SKIP_3) | instid1(VALU_DEP_3)
	v_dual_add_f32 v9, 0, v9 :: v_dual_add_f32 v23, 0, v23
	v_dual_mul_f32 v15, v164, v117 :: v_dual_mul_f32 v17, v166, v119
	s_wait_loadcnt 0x5
	v_dual_mul_f32 v39, v143, v127 :: v_dual_fma_f32 v27, v162, v114, -v27
	v_dual_fmac_f32 v13, v163, v114 :: v_dual_add_f32 v9, v9, v11
	v_dual_add_f32 v11, v23, v25 :: v_dual_mov_b32 v110, v129
	v_dual_mul_f32 v31, v167, v119 :: v_dual_mul_f32 v33, v169, v121
	v_dual_fmac_f32 v15, v165, v116 :: v_dual_fma_f32 v23, v164, v116, -v29
	s_delay_alu instid0(VALU_DEP_3) | instskip(SKIP_1) | instid1(VALU_DEP_4)
	v_dual_add_f32 v9, v9, v13 :: v_dual_add_f32 v11, v11, v27
	v_dual_mul_f32 v19, v168, v121 :: v_dual_mul_f32 v21, v170, v123
	v_dual_fmac_f32 v17, v167, v118 :: v_dual_fma_f32 v13, v166, v118, -v31
	s_delay_alu instid0(VALU_DEP_3) | instskip(SKIP_3) | instid1(VALU_DEP_3)
	v_dual_add_f32 v9, v9, v15 :: v_dual_fma_f32 v15, v168, v120, -v33
	s_wait_loadcnt 0x4
	v_dual_add_f32 v11, v11, v23 :: v_dual_mov_b32 v114, v133
	v_fmac_f32_e32 v19, v169, v120
	v_dual_add_f32 v9, v9, v17 :: v_dual_fmac_f32 v21, v171, v122
	s_delay_alu instid0(VALU_DEP_3) | instskip(SKIP_1) | instid1(VALU_DEP_3)
	v_add_f32_e32 v11, v11, v13
	v_dual_mul_f32 v189, v172, v125 :: v_dual_mul_f32 v191, v142, v127
	v_dual_fma_f32 v13, v170, v122, -v35 :: v_dual_add_f32 v9, v9, v19
	s_delay_alu instid0(VALU_DEP_2) | instskip(SKIP_1) | instid1(VALU_DEP_3)
	v_dual_add_f32 v11, v11, v15 :: v_dual_fmac_f32 v189, v173, v124
	v_pk_mul_f32 v[112:113], v[146:147], v[130:131] op_sel:[1,1] op_sel_hi:[0,1]
	v_dual_fma_f32 v188, v172, v124, -v37 :: v_dual_add_f32 v119, v9, v21
	v_pk_mul_f32 v[110:111], v[180:181], v[110:111] op_sel_hi:[1,0]
	s_wait_loadcnt 0x3
	v_dual_add_f32 v118, v11, v13 :: v_dual_mov_b32 v120, v137
	v_pk_fma_f32 v[124:125], v[146:147], v[130:131], v[112:113] op_sel_hi:[1,0,1]
	v_fmac_f32_e32 v191, v143, v126
	v_pk_fma_f32 v[122:123], v[144:145], v[128:129], v[110:111] op_sel_hi:[1,0,1]
	v_fma_f32 v190, v142, v126, -v39
	v_pk_add_f32 v[118:119], v[118:119], v[188:189]
	v_pk_fma_f32 v[110:111], v[144:145], v[128:129], v[110:111] neg_lo:[0,0,1] neg_hi:[0,0,1]
	v_pk_fma_f32 v[112:113], v[146:147], v[130:131], v[112:113] neg_lo:[0,0,1] neg_hi:[0,0,1]
	v_pk_mul_f32 v[114:115], v[182:183], v[114:115] op_sel_hi:[1,0]
	v_dual_mov_b32 v111, v123 :: v_dual_mov_b32 v113, v125
	v_pk_add_f32 v[118:119], v[118:119], v[190:191]
	v_pk_mul_f32 v[116:117], v[150:151], v[134:135] op_sel:[1,1] op_sel_hi:[0,1]
	s_delay_alu instid0(VALU_DEP_4)
	v_pk_fma_f32 v[124:125], v[148:149], v[132:133], v[114:115] op_sel_hi:[1,0,1]
	v_pk_fma_f32 v[114:115], v[148:149], v[132:133], v[114:115] neg_lo:[0,0,1] neg_hi:[0,0,1]
	v_pk_mul_f32 v[120:121], v[184:185], v[120:121] op_sel_hi:[1,0]
	v_pk_add_f32 v[110:111], v[118:119], v[110:111]
	v_pk_fma_f32 v[118:119], v[150:151], v[134:135], v[116:117] op_sel_hi:[1,0,1]
	v_mov_b32_e32 v115, v125
	v_pk_fma_f32 v[116:117], v[150:151], v[134:135], v[116:117] neg_lo:[0,0,1] neg_hi:[0,0,1]
	s_wait_loadcnt 0x2
	v_pk_mul_f32 v[122:123], v[154:155], v[138:139] op_sel:[1,1] op_sel_hi:[0,1]
	v_pk_add_f32 v[110:111], v[110:111], v[112:113]
	v_dual_mov_b32 v112, v141 :: v_dual_mov_b32 v117, v119
	v_pk_fma_f32 v[118:119], v[152:153], v[136:137], v[120:121] op_sel_hi:[1,0,1]
	v_pk_fma_f32 v[120:121], v[152:153], v[136:137], v[120:121] neg_lo:[0,0,1] neg_hi:[0,0,1]
	s_delay_alu instid0(VALU_DEP_4)
	v_pk_add_f32 v[110:111], v[110:111], v[114:115]
	v_pk_fma_f32 v[114:115], v[154:155], v[138:139], v[122:123] op_sel_hi:[1,0,1]
	v_pk_mul_f32 v[112:113], v[186:187], v[112:113] op_sel_hi:[1,0]
	v_mov_b32_e32 v121, v119
	s_wait_loadcnt_dscnt 0x100
	v_pk_mul_f32 v[118:119], v[178:179], v[174:175] op_sel:[1,1] op_sel_hi:[0,1]
	v_pk_add_f32 v[110:111], v[110:111], v[116:117]
	v_pk_fma_f32 v[116:117], v[154:155], v[138:139], v[122:123] neg_lo:[0,0,1] neg_hi:[0,0,1]
	v_mov_b32_e32 v117, v115
	v_pk_fma_f32 v[114:115], v[156:157], v[140:141], v[112:113] op_sel_hi:[1,0,1]
	v_pk_fma_f32 v[112:113], v[156:157], v[140:141], v[112:113] neg_lo:[0,0,1] neg_hi:[0,0,1]
	v_pk_add_f32 v[110:111], v[110:111], v[120:121]
	s_delay_alu instid0(VALU_DEP_3) | instskip(SKIP_1) | instid1(VALU_DEP_3)
	v_mov_b32_e32 v113, v115
	v_pk_fma_f32 v[114:115], v[178:179], v[174:175], v[118:119] op_sel_hi:[1,0,1]
	v_pk_add_f32 v[110:111], v[110:111], v[116:117]
	v_pk_fma_f32 v[116:117], v[178:179], v[174:175], v[118:119] neg_lo:[0,0,1] neg_hi:[0,0,1]
	s_delay_alu instid0(VALU_DEP_3) | instskip(NEXT) | instid1(VALU_DEP_3)
	v_mov_b32_e32 v117, v115
	v_pk_add_f32 v[110:111], v[110:111], v[112:113]
	s_delay_alu instid0(VALU_DEP_1) | instskip(SKIP_1) | instid1(VALU_DEP_1)
	v_pk_add_f32 v[110:111], v[110:111], v[116:117]
	s_wait_loadcnt 0x0
	v_pk_add_f32 v[110:111], v[176:177], v[110:111] neg_lo:[0,1] neg_hi:[0,1]
	scratch_store_b64 off, v[110:111], off offset:288
	s_wait_xcnt 0x0
	v_cmpx_lt_u32_e32 35, v0
	s_cbranch_execz .LBB53_267
; %bb.266:
	scratch_load_b64 v[110:111], off, off offset:280
	v_mov_b64_e32 v[112:113], 0
	scratch_store_b64 off, v[112:113], off offset:280
	s_wait_loadcnt 0x0
	ds_store_b64 v1, v[110:111]
.LBB53_267:
	s_wait_xcnt 0x0
	s_or_b32 exec_lo, exec_lo, s0
	s_wait_storecnt_dscnt 0x0
	s_barrier_signal -1
	s_barrier_wait -1
	s_clause 0x9
	scratch_load_b128 v[110:113], off, off offset:288
	scratch_load_b128 v[114:117], off, off offset:304
	;; [unrolled: 1-line block ×9, first 2 shown]
	scratch_load_b64 v[182:183], off, off offset:280
	ds_load_b128 v[146:149], v7 offset:800
	ds_load_b128 v[150:153], v7 offset:816
	;; [unrolled: 1-line block ×9, first 2 shown]
	s_mov_b32 s0, exec_lo
	s_wait_dscnt 0x8
	v_dual_mov_b32 v184, v149 :: v_dual_mov_b32 v185, v148
	s_wait_dscnt 0x7
	v_dual_mov_b32 v186, v153 :: v_dual_mov_b32 v187, v152
	;; [unrolled: 2-line block ×4, first 2 shown]
	s_wait_loadcnt_dscnt 0x904
	v_dual_mul_f32 v7, v162, v111 :: v_dual_mul_f32 v9, v164, v113
	v_dual_mul_f32 v23, v163, v111 :: v_dual_mul_f32 v25, v165, v113
	s_wait_loadcnt_dscnt 0x803
	v_dual_mul_f32 v11, v166, v115 :: v_dual_mul_f32 v13, v168, v117
	s_delay_alu instid0(VALU_DEP_3) | instskip(SKIP_3) | instid1(VALU_DEP_3)
	v_dual_fmac_f32 v7, v163, v110 :: v_dual_fmac_f32 v9, v165, v112
	s_wait_loadcnt_dscnt 0x601
	v_dual_fma_f32 v23, v162, v110, -v23 :: v_dual_mul_f32 v35, v175, v123
	v_dual_mul_f32 v27, v167, v115 :: v_dual_mul_f32 v29, v169, v117
	v_dual_fma_f32 v25, v164, v112, -v25 :: v_dual_add_f32 v7, 0, v7
	s_delay_alu instid0(VALU_DEP_3) | instskip(SKIP_1) | instid1(VALU_DEP_3)
	v_dual_add_f32 v23, 0, v23 :: v_dual_mul_f32 v37, v177, v125
	v_dual_fmac_f32 v11, v167, v114 :: v_dual_fmac_f32 v13, v169, v116
	v_dual_fma_f32 v27, v166, v114, -v27 :: v_dual_add_f32 v7, v7, v9
	s_delay_alu instid0(VALU_DEP_3) | instskip(SKIP_2) | instid1(VALU_DEP_4)
	v_dual_add_f32 v9, v23, v25 :: v_dual_fma_f32 v25, v168, v116, -v29
	v_dual_mul_f32 v15, v170, v119 :: v_dual_mul_f32 v17, v172, v121
	v_dual_mul_f32 v31, v171, v119 :: v_dual_mul_f32 v33, v173, v121
	v_add_f32_e32 v7, v7, v11
	s_delay_alu instid0(VALU_DEP_3) | instskip(NEXT) | instid1(VALU_DEP_3)
	v_dual_add_f32 v9, v9, v27 :: v_dual_fmac_f32 v15, v171, v118
	v_fma_f32 v27, v170, v118, -v31
	v_dual_mul_f32 v19, v174, v123 :: v_dual_mul_f32 v21, v176, v125
	s_delay_alu instid0(VALU_DEP_4) | instskip(NEXT) | instid1(VALU_DEP_4)
	v_dual_add_f32 v7, v7, v13 :: v_dual_fmac_f32 v17, v173, v120
	v_dual_add_f32 v9, v9, v25 :: v_dual_fma_f32 v13, v172, v120, -v33
	s_wait_loadcnt 0x4
	s_delay_alu instid0(VALU_DEP_2) | instskip(NEXT) | instid1(VALU_DEP_2)
	v_dual_mov_b32 v112, v133 :: v_dual_add_f32 v7, v7, v15
	v_dual_fmac_f32 v19, v175, v122 :: v_dual_add_f32 v9, v9, v27
	v_fma_f32 v15, v174, v122, -v35
	s_wait_dscnt 0x0
	v_dual_mul_f32 v193, v178, v127 :: v_dual_mul_f32 v195, v180, v129
	v_add_f32_e32 v7, v7, v17
	v_dual_add_f32 v9, v9, v13 :: v_dual_fma_f32 v13, v176, v124, -v37
	v_dual_mul_f32 v23, v179, v127 :: v_dual_mul_f32 v11, v181, v129
	s_delay_alu instid0(VALU_DEP_3) | instskip(NEXT) | instid1(VALU_DEP_3)
	v_dual_fmac_f32 v21, v177, v124 :: v_dual_add_f32 v7, v7, v19
	v_dual_add_f32 v9, v9, v15 :: v_dual_fmac_f32 v193, v179, v126
	v_pk_mul_f32 v[110:111], v[146:147], v[130:131] op_sel:[1,1] op_sel_hi:[0,1]
	s_wait_loadcnt 0x3
	v_dual_mov_b32 v116, v137 :: v_dual_fma_f32 v192, v178, v126, -v23
	v_dual_add_f32 v119, v7, v21 :: v_dual_fmac_f32 v195, v181, v128
	v_dual_add_f32 v118, v9, v13 :: v_dual_fma_f32 v194, v180, v128, -v11
	v_pk_fma_f32 v[120:121], v[146:147], v[130:131], v[110:111] op_sel_hi:[1,0,1]
	v_pk_mul_f32 v[112:113], v[184:185], v[112:113] op_sel_hi:[1,0]
	v_pk_fma_f32 v[110:111], v[146:147], v[130:131], v[110:111] neg_lo:[0,0,1] neg_hi:[0,0,1]
	s_delay_alu instid0(VALU_DEP_4)
	v_pk_add_f32 v[118:119], v[118:119], v[192:193]
	v_pk_mul_f32 v[114:115], v[150:151], v[134:135] op_sel:[1,1] op_sel_hi:[0,1]
	v_mov_b32_e32 v111, v121
	v_pk_fma_f32 v[120:121], v[148:149], v[132:133], v[112:113] op_sel_hi:[1,0,1]
	v_pk_fma_f32 v[112:113], v[148:149], v[132:133], v[112:113] neg_lo:[0,0,1] neg_hi:[0,0,1]
	v_pk_add_f32 v[118:119], v[118:119], v[194:195]
	v_pk_fma_f32 v[124:125], v[150:151], v[134:135], v[114:115] op_sel_hi:[1,0,1]
	v_pk_mul_f32 v[116:117], v[186:187], v[116:117] op_sel_hi:[1,0]
	v_mov_b32_e32 v113, v121
	s_wait_loadcnt 0x2
	v_pk_mul_f32 v[122:123], v[154:155], v[138:139] op_sel:[1,1] op_sel_hi:[0,1]
	v_pk_add_f32 v[110:111], v[118:119], v[110:111]
	v_mov_b32_e32 v118, v141
	v_pk_fma_f32 v[114:115], v[150:151], v[134:135], v[114:115] neg_lo:[0,0,1] neg_hi:[0,0,1]
	v_mov_b32_e32 v115, v125
	v_pk_fma_f32 v[120:121], v[152:153], v[136:137], v[116:117] op_sel_hi:[1,0,1]
	v_pk_add_f32 v[110:111], v[110:111], v[112:113]
	v_pk_fma_f32 v[112:113], v[154:155], v[138:139], v[122:123] op_sel_hi:[1,0,1]
	v_pk_mul_f32 v[118:119], v[188:189], v[118:119] op_sel_hi:[1,0]
	v_pk_fma_f32 v[116:117], v[152:153], v[136:137], v[116:117] neg_lo:[0,0,1] neg_hi:[0,0,1]
	v_mov_b32_e32 v117, v121
	v_pk_add_f32 v[110:111], v[110:111], v[114:115]
	v_pk_fma_f32 v[120:121], v[154:155], v[138:139], v[122:123] neg_lo:[0,0,1] neg_hi:[0,0,1]
	v_mov_b32_e32 v121, v113
	v_pk_fma_f32 v[112:113], v[156:157], v[140:141], v[118:119] op_sel_hi:[1,0,1]
	s_wait_loadcnt 0x1
	v_pk_mul_f32 v[114:115], v[158:159], v[142:143] op_sel:[1,1] op_sel_hi:[0,1]
	v_pk_add_f32 v[110:111], v[110:111], v[116:117]
	v_mov_b32_e32 v112, v145
	v_pk_fma_f32 v[118:119], v[156:157], v[140:141], v[118:119] neg_lo:[0,0,1] neg_hi:[0,0,1]
	v_mov_b32_e32 v119, v113
	v_pk_fma_f32 v[116:117], v[158:159], v[142:143], v[114:115] op_sel_hi:[1,0,1]
	v_pk_add_f32 v[110:111], v[110:111], v[120:121]
	v_pk_mul_f32 v[112:113], v[190:191], v[112:113] op_sel_hi:[1,0]
	v_pk_fma_f32 v[114:115], v[158:159], v[142:143], v[114:115] neg_lo:[0,0,1] neg_hi:[0,0,1]
	s_delay_alu instid0(VALU_DEP_4) | instskip(NEXT) | instid1(VALU_DEP_4)
	v_mov_b32_e32 v115, v117
	v_pk_add_f32 v[110:111], v[110:111], v[118:119]
	s_delay_alu instid0(VALU_DEP_4) | instskip(SKIP_1) | instid1(VALU_DEP_2)
	v_pk_fma_f32 v[116:117], v[160:161], v[144:145], v[112:113] op_sel_hi:[1,0,1]
	v_pk_fma_f32 v[112:113], v[160:161], v[144:145], v[112:113] neg_lo:[0,0,1] neg_hi:[0,0,1]
	v_mov_b32_e32 v113, v117
	s_delay_alu instid0(VALU_DEP_4) | instskip(NEXT) | instid1(VALU_DEP_1)
	v_pk_add_f32 v[110:111], v[110:111], v[114:115]
	v_pk_add_f32 v[110:111], v[110:111], v[112:113]
	s_wait_loadcnt 0x0
	s_delay_alu instid0(VALU_DEP_1)
	v_pk_add_f32 v[110:111], v[182:183], v[110:111] neg_lo:[0,1] neg_hi:[0,1]
	scratch_store_b64 off, v[110:111], off offset:280
	s_wait_xcnt 0x0
	v_cmpx_lt_u32_e32 34, v0
	s_cbranch_execz .LBB53_269
; %bb.268:
	scratch_load_b64 v[110:111], off, off offset:272
	v_mov_b64_e32 v[112:113], 0
	scratch_store_b64 off, v[112:113], off offset:272
	s_wait_loadcnt 0x0
	ds_store_b64 v1, v[110:111]
.LBB53_269:
	s_wait_xcnt 0x0
	s_or_b32 exec_lo, exec_lo, s0
	s_wait_storecnt_dscnt 0x0
	s_barrier_signal -1
	s_barrier_wait -1
	s_clause 0xa
	scratch_load_b128 v[110:113], off, off offset:280
	scratch_load_b128 v[114:117], off, off offset:296
	;; [unrolled: 1-line block ×9, first 2 shown]
	scratch_load_b64 v[182:183], off, off offset:424
	scratch_load_b64 v[184:185], off, off offset:272
	v_mov_b32_e32 v7, 0
	ds_load_2addr_b64 v[146:149], v7 offset0:99 offset1:100
	ds_load_2addr_b64 v[150:153], v7 offset0:101 offset1:102
	;; [unrolled: 1-line block ×9, first 2 shown]
	ds_load_b64 v[186:187], v7 offset:856
	s_mov_b32 s0, exec_lo
	s_wait_dscnt 0x9
	v_dual_mov_b32 v188, v149 :: v_dual_mov_b32 v189, v148
	s_wait_dscnt 0x6
	v_dual_mov_b32 v190, v153 :: v_dual_mov_b32 v195, v160
	v_dual_mov_b32 v191, v152 :: v_dual_mov_b32 v192, v157
	;; [unrolled: 1-line block ×3, first 2 shown]
	s_wait_loadcnt_dscnt 0xa05
	v_dual_mul_f32 v9, v162, v111 :: v_dual_mul_f32 v27, v163, v111
	v_dual_mul_f32 v29, v165, v113 :: v_dual_mul_f32 v11, v164, v113
	s_wait_loadcnt_dscnt 0x904
	v_mul_f32_e32 v13, v166, v115
	s_wait_loadcnt_dscnt 0x702
	v_dual_mul_f32 v39, v175, v123 :: v_dual_fma_f32 v27, v162, v110, -v27
	v_dual_fmac_f32 v9, v163, v110 :: v_dual_mul_f32 v41, v177, v125
	v_dual_mul_f32 v31, v167, v115 :: v_dual_mul_f32 v33, v169, v117
	v_dual_fmac_f32 v11, v165, v112 :: v_dual_fma_f32 v29, v164, v112, -v29
	s_delay_alu instid0(VALU_DEP_3) | instskip(SKIP_3) | instid1(VALU_DEP_3)
	v_dual_add_f32 v9, 0, v9 :: v_dual_add_f32 v27, 0, v27
	v_dual_mul_f32 v15, v168, v117 :: v_dual_mul_f32 v17, v170, v119
	s_wait_loadcnt_dscnt 0x601
	v_dual_mul_f32 v43, v179, v127 :: v_dual_fma_f32 v31, v166, v114, -v31
	v_dual_fmac_f32 v13, v167, v114 :: v_dual_add_f32 v9, v9, v11
	s_delay_alu instid0(VALU_DEP_3) | instskip(SKIP_2) | instid1(VALU_DEP_3)
	v_dual_add_f32 v11, v27, v29 :: v_dual_fmac_f32 v15, v169, v116
	v_dual_mul_f32 v35, v171, v119 :: v_dual_mul_f32 v37, v173, v121
	v_dual_mul_f32 v27, v181, v129 :: v_dual_fma_f32 v29, v168, v116, -v33
	v_dual_add_f32 v9, v9, v13 :: v_dual_add_f32 v11, v11, v31
	v_dual_mul_f32 v19, v172, v121 :: v_dual_mul_f32 v21, v174, v123
	s_wait_loadcnt 0x5
	v_dual_mul_f32 v13, v147, v131 :: v_dual_fma_f32 v31, v170, v118, -v35
	s_delay_alu instid0(VALU_DEP_3) | instskip(SKIP_2) | instid1(VALU_DEP_2)
	v_dual_fmac_f32 v17, v171, v118 :: v_dual_add_f32 v9, v9, v15
	v_dual_add_f32 v11, v11, v29 :: v_dual_mov_b32 v110, v133
	v_dual_fmac_f32 v19, v173, v120 :: v_dual_fma_f32 v15, v172, v120, -v37
	v_dual_add_f32 v9, v9, v17 :: v_dual_add_f32 v11, v11, v31
	v_dual_mul_f32 v23, v176, v125 :: v_dual_mul_f32 v25, v178, v127
	v_dual_fmac_f32 v21, v175, v122 :: v_dual_fma_f32 v17, v174, v122, -v39
	s_delay_alu instid0(VALU_DEP_3) | instskip(SKIP_3) | instid1(VALU_DEP_3)
	v_add_f32_e32 v9, v9, v19
	s_wait_loadcnt 0x4
	v_dual_add_f32 v11, v11, v15 :: v_dual_mov_b32 v114, v137
	v_dual_fmac_f32 v23, v177, v124 :: v_dual_fma_f32 v15, v176, v124, -v41
	v_dual_add_f32 v9, v9, v21 :: v_dual_fmac_f32 v25, v179, v126
	s_delay_alu instid0(VALU_DEP_3) | instskip(SKIP_1) | instid1(VALU_DEP_3)
	v_add_f32_e32 v11, v11, v17
	v_dual_mul_f32 v197, v180, v129 :: v_dual_mul_f32 v199, v146, v131
	v_dual_fma_f32 v17, v178, v126, -v43 :: v_dual_add_f32 v9, v9, v23
	s_delay_alu instid0(VALU_DEP_2) | instskip(SKIP_2) | instid1(VALU_DEP_4)
	v_dual_add_f32 v11, v11, v15 :: v_dual_fmac_f32 v197, v181, v128
	v_fma_f32 v196, v180, v128, -v27
	v_pk_mul_f32 v[110:111], v[188:189], v[110:111] op_sel_hi:[1,0]
	v_add_f32_e32 v119, v9, v25
	s_wait_loadcnt 0x3
	v_dual_add_f32 v118, v11, v17 :: v_dual_mov_b32 v120, v141
	v_pk_mul_f32 v[112:113], v[150:151], v[134:135] op_sel:[1,1] op_sel_hi:[0,1]
	v_dual_fmac_f32 v199, v147, v130 :: v_dual_fma_f32 v198, v146, v130, -v13
	v_pk_fma_f32 v[122:123], v[148:149], v[132:133], v[110:111] op_sel_hi:[1,0,1]
	s_delay_alu instid0(VALU_DEP_4)
	v_pk_add_f32 v[118:119], v[118:119], v[196:197]
	v_pk_fma_f32 v[110:111], v[148:149], v[132:133], v[110:111] neg_lo:[0,0,1] neg_hi:[0,0,1]
	v_pk_fma_f32 v[124:125], v[150:151], v[134:135], v[112:113] op_sel_hi:[1,0,1]
	v_pk_mul_f32 v[114:115], v[190:191], v[114:115] op_sel_hi:[1,0]
	v_mov_b32_e32 v111, v123
	v_pk_add_f32 v[118:119], v[118:119], v[198:199]
	v_pk_fma_f32 v[112:113], v[150:151], v[134:135], v[112:113] neg_lo:[0,0,1] neg_hi:[0,0,1]
	v_pk_mul_f32 v[116:117], v[154:155], v[138:139] op_sel:[1,1] op_sel_hi:[0,1]
	v_mov_b32_e32 v113, v125
	v_pk_fma_f32 v[124:125], v[152:153], v[136:137], v[114:115] op_sel_hi:[1,0,1]
	v_pk_add_f32 v[110:111], v[118:119], v[110:111]
	v_pk_fma_f32 v[114:115], v[152:153], v[136:137], v[114:115] neg_lo:[0,0,1] neg_hi:[0,0,1]
	v_pk_fma_f32 v[118:119], v[154:155], v[138:139], v[116:117] op_sel_hi:[1,0,1]
	v_pk_mul_f32 v[120:121], v[192:193], v[120:121] op_sel_hi:[1,0]
	v_mov_b32_e32 v115, v125
	v_pk_add_f32 v[110:111], v[110:111], v[112:113]
	v_pk_fma_f32 v[116:117], v[154:155], v[138:139], v[116:117] neg_lo:[0,0,1] neg_hi:[0,0,1]
	s_wait_loadcnt 0x2
	v_pk_mul_f32 v[122:123], v[158:159], v[142:143] op_sel:[1,1] op_sel_hi:[0,1]
	v_dual_mov_b32 v112, v145 :: v_dual_mov_b32 v117, v119
	v_pk_fma_f32 v[118:119], v[156:157], v[140:141], v[120:121] op_sel_hi:[1,0,1]
	v_pk_add_f32 v[110:111], v[110:111], v[114:115]
	v_pk_fma_f32 v[120:121], v[156:157], v[140:141], v[120:121] neg_lo:[0,0,1] neg_hi:[0,0,1]
	v_pk_fma_f32 v[114:115], v[158:159], v[142:143], v[122:123] op_sel_hi:[1,0,1]
	v_pk_mul_f32 v[112:113], v[194:195], v[112:113] op_sel_hi:[1,0]
	v_mov_b32_e32 v121, v119
	v_pk_add_f32 v[110:111], v[110:111], v[116:117]
	v_pk_fma_f32 v[116:117], v[158:159], v[142:143], v[122:123] neg_lo:[0,0,1] neg_hi:[0,0,1]
	v_mov_b32_e32 v117, v115
	v_pk_fma_f32 v[114:115], v[160:161], v[144:145], v[112:113] op_sel_hi:[1,0,1]
	s_wait_loadcnt_dscnt 0x100
	v_pk_mul_f32 v[118:119], v[186:187], v[182:183] op_sel:[1,1] op_sel_hi:[0,1]
	v_pk_add_f32 v[110:111], v[110:111], v[120:121]
	v_pk_fma_f32 v[112:113], v[160:161], v[144:145], v[112:113] neg_lo:[0,0,1] neg_hi:[0,0,1]
	v_mov_b32_e32 v113, v115
	s_delay_alu instid0(VALU_DEP_4) | instskip(NEXT) | instid1(VALU_DEP_4)
	v_pk_fma_f32 v[114:115], v[186:187], v[182:183], v[118:119] op_sel_hi:[1,0,1]
	v_pk_add_f32 v[110:111], v[110:111], v[116:117]
	v_pk_fma_f32 v[116:117], v[186:187], v[182:183], v[118:119] neg_lo:[0,0,1] neg_hi:[0,0,1]
	s_delay_alu instid0(VALU_DEP_3) | instskip(NEXT) | instid1(VALU_DEP_3)
	v_mov_b32_e32 v117, v115
	v_pk_add_f32 v[110:111], v[110:111], v[112:113]
	s_delay_alu instid0(VALU_DEP_1) | instskip(SKIP_1) | instid1(VALU_DEP_1)
	v_pk_add_f32 v[110:111], v[110:111], v[116:117]
	s_wait_loadcnt 0x0
	v_pk_add_f32 v[110:111], v[184:185], v[110:111] neg_lo:[0,1] neg_hi:[0,1]
	scratch_store_b64 off, v[110:111], off offset:272
	s_wait_xcnt 0x0
	v_cmpx_lt_u32_e32 33, v0
	s_cbranch_execz .LBB53_271
; %bb.270:
	scratch_load_b64 v[110:111], off, off offset:264
	v_mov_b64_e32 v[112:113], 0
	scratch_store_b64 off, v[112:113], off offset:264
	s_wait_loadcnt 0x0
	ds_store_b64 v1, v[110:111]
.LBB53_271:
	s_wait_xcnt 0x0
	s_or_b32 exec_lo, exec_lo, s0
	s_wait_storecnt_dscnt 0x0
	s_barrier_signal -1
	s_barrier_wait -1
	s_clause 0xa
	scratch_load_b128 v[110:113], off, off offset:272
	scratch_load_b128 v[114:117], off, off offset:288
	;; [unrolled: 1-line block ×10, first 2 shown]
	scratch_load_b64 v[190:191], off, off offset:264
	ds_load_b128 v[150:153], v7 offset:800
	ds_load_b128 v[154:157], v7 offset:816
	;; [unrolled: 1-line block ×10, first 2 shown]
	s_mov_b32 s0, exec_lo
	s_wait_dscnt 0x9
	v_dual_mov_b32 v192, v153 :: v_dual_mov_b32 v193, v152
	s_wait_dscnt 0x8
	v_dual_mov_b32 v194, v157 :: v_dual_mov_b32 v195, v156
	;; [unrolled: 2-line block ×4, first 2 shown]
	s_wait_loadcnt_dscnt 0xa05
	v_dual_mul_f32 v7, v166, v111 :: v_dual_mul_f32 v9, v168, v113
	v_dual_mul_f32 v27, v167, v111 :: v_dual_mul_f32 v29, v169, v113
	s_wait_loadcnt_dscnt 0x904
	v_dual_mul_f32 v11, v170, v115 :: v_dual_mul_f32 v13, v172, v117
	s_delay_alu instid0(VALU_DEP_3) | instskip(SKIP_3) | instid1(VALU_DEP_3)
	v_dual_fmac_f32 v7, v167, v110 :: v_dual_fmac_f32 v9, v169, v112
	s_wait_loadcnt_dscnt 0x702
	v_dual_fma_f32 v27, v166, v110, -v27 :: v_dual_mul_f32 v39, v179, v123
	v_dual_mul_f32 v31, v171, v115 :: v_dual_mul_f32 v33, v173, v117
	v_dual_fma_f32 v29, v168, v112, -v29 :: v_dual_add_f32 v7, 0, v7
	s_delay_alu instid0(VALU_DEP_3) | instskip(SKIP_1) | instid1(VALU_DEP_3)
	v_dual_add_f32 v27, 0, v27 :: v_dual_mul_f32 v41, v181, v125
	v_dual_fmac_f32 v11, v171, v114 :: v_dual_fmac_f32 v13, v173, v116
	v_dual_fma_f32 v31, v170, v114, -v31 :: v_dual_add_f32 v7, v7, v9
	s_delay_alu instid0(VALU_DEP_3) | instskip(SKIP_2) | instid1(VALU_DEP_4)
	v_dual_add_f32 v9, v27, v29 :: v_dual_fma_f32 v29, v172, v116, -v33
	v_dual_mul_f32 v15, v174, v119 :: v_dual_mul_f32 v17, v176, v121
	v_dual_mul_f32 v35, v175, v119 :: v_dual_mul_f32 v37, v177, v121
	v_add_f32_e32 v7, v7, v11
	s_delay_alu instid0(VALU_DEP_3) | instskip(NEXT) | instid1(VALU_DEP_3)
	v_dual_add_f32 v9, v9, v31 :: v_dual_fmac_f32 v15, v175, v118
	v_fma_f32 v31, v174, v118, -v35
	v_dual_mul_f32 v19, v178, v123 :: v_dual_mul_f32 v21, v180, v125
	s_delay_alu instid0(VALU_DEP_4) | instskip(SKIP_2) | instid1(VALU_DEP_2)
	v_dual_add_f32 v7, v7, v13 :: v_dual_fmac_f32 v17, v177, v120
	s_wait_loadcnt_dscnt 0x500
	v_dual_add_f32 v9, v9, v29 :: v_dual_mul_f32 v13, v187, v131
	v_dual_fma_f32 v29, v176, v120, -v37 :: v_dual_add_f32 v7, v7, v15
	v_mul_f32_e32 v15, v189, v133
	s_delay_alu instid0(VALU_DEP_3) | instskip(NEXT) | instid1(VALU_DEP_3)
	v_dual_add_f32 v9, v9, v31 :: v_dual_fmac_f32 v19, v179, v122
	v_dual_fma_f32 v31, v178, v122, -v39 :: v_dual_add_f32 v7, v7, v17
	v_fmac_f32_e32 v21, v181, v124
	s_delay_alu instid0(VALU_DEP_3) | instskip(SKIP_4) | instid1(VALU_DEP_3)
	v_dual_add_f32 v9, v9, v29 :: v_dual_fma_f32 v17, v180, v124, -v41
	v_dual_mul_f32 v23, v182, v127 :: v_dual_mul_f32 v25, v184, v129
	v_dual_mul_f32 v27, v183, v127 :: v_dual_mul_f32 v11, v185, v129
	s_wait_loadcnt 0x4
	v_dual_add_f32 v7, v7, v19 :: v_dual_mov_b32 v112, v137
	v_dual_add_f32 v9, v9, v31 :: v_dual_fmac_f32 v23, v183, v126
	s_delay_alu instid0(VALU_DEP_2) | instskip(SKIP_1) | instid1(VALU_DEP_3)
	v_dual_fma_f32 v19, v182, v126, -v27 :: v_dual_add_f32 v7, v7, v21
	v_dual_mul_f32 v201, v186, v131 :: v_dual_mul_f32 v203, v188, v133
	v_dual_add_f32 v9, v9, v17 :: v_dual_fma_f32 v11, v184, v128, -v11
	s_delay_alu instid0(VALU_DEP_3) | instskip(SKIP_1) | instid1(VALU_DEP_3)
	v_dual_fmac_f32 v25, v185, v128 :: v_dual_add_f32 v7, v7, v23
	v_pk_mul_f32 v[110:111], v[150:151], v[134:135] op_sel:[1,1] op_sel_hi:[0,1]
	v_dual_add_f32 v9, v9, v19 :: v_dual_fmac_f32 v201, v187, v130
	s_wait_loadcnt 0x3
	v_dual_mov_b32 v116, v141 :: v_dual_fma_f32 v200, v186, v130, -v13
	s_delay_alu instid0(VALU_DEP_2)
	v_dual_add_f32 v119, v7, v25 :: v_dual_add_f32 v118, v9, v11
	v_fmac_f32_e32 v203, v189, v132
	v_pk_fma_f32 v[120:121], v[150:151], v[134:135], v[110:111] op_sel_hi:[1,0,1]
	v_fma_f32 v202, v188, v132, -v15
	v_pk_mul_f32 v[112:113], v[192:193], v[112:113] op_sel_hi:[1,0]
	v_pk_add_f32 v[118:119], v[118:119], v[200:201]
	v_pk_fma_f32 v[110:111], v[150:151], v[134:135], v[110:111] neg_lo:[0,0,1] neg_hi:[0,0,1]
	v_pk_mul_f32 v[114:115], v[154:155], v[138:139] op_sel:[1,1] op_sel_hi:[0,1]
	v_mov_b32_e32 v111, v121
	v_pk_fma_f32 v[120:121], v[152:153], v[136:137], v[112:113] op_sel_hi:[1,0,1]
	v_pk_add_f32 v[118:119], v[118:119], v[202:203]
	v_pk_fma_f32 v[112:113], v[152:153], v[136:137], v[112:113] neg_lo:[0,0,1] neg_hi:[0,0,1]
	v_pk_fma_f32 v[124:125], v[154:155], v[138:139], v[114:115] op_sel_hi:[1,0,1]
	v_pk_mul_f32 v[116:117], v[194:195], v[116:117] op_sel_hi:[1,0]
	v_mov_b32_e32 v113, v121
	v_pk_add_f32 v[110:111], v[118:119], v[110:111]
	s_wait_loadcnt 0x2
	v_pk_mul_f32 v[122:123], v[158:159], v[142:143] op_sel:[1,1] op_sel_hi:[0,1]
	v_mov_b32_e32 v118, v145
	v_pk_fma_f32 v[114:115], v[154:155], v[138:139], v[114:115] neg_lo:[0,0,1] neg_hi:[0,0,1]
	v_pk_fma_f32 v[120:121], v[156:157], v[140:141], v[116:117] op_sel_hi:[1,0,1]
	v_mov_b32_e32 v115, v125
	v_pk_add_f32 v[110:111], v[110:111], v[112:113]
	v_pk_fma_f32 v[112:113], v[158:159], v[142:143], v[122:123] op_sel_hi:[1,0,1]
	v_pk_mul_f32 v[118:119], v[196:197], v[118:119] op_sel_hi:[1,0]
	v_pk_fma_f32 v[116:117], v[156:157], v[140:141], v[116:117] neg_lo:[0,0,1] neg_hi:[0,0,1]
	v_mov_b32_e32 v117, v121
	v_pk_add_f32 v[110:111], v[110:111], v[114:115]
	v_pk_fma_f32 v[120:121], v[158:159], v[142:143], v[122:123] neg_lo:[0,0,1] neg_hi:[0,0,1]
	v_mov_b32_e32 v121, v113
	v_pk_fma_f32 v[112:113], v[160:161], v[144:145], v[118:119] op_sel_hi:[1,0,1]
	s_wait_loadcnt 0x1
	v_pk_mul_f32 v[114:115], v[162:163], v[146:147] op_sel:[1,1] op_sel_hi:[0,1]
	v_pk_add_f32 v[110:111], v[110:111], v[116:117]
	v_mov_b32_e32 v112, v149
	v_pk_fma_f32 v[118:119], v[160:161], v[144:145], v[118:119] neg_lo:[0,0,1] neg_hi:[0,0,1]
	s_delay_alu instid0(VALU_DEP_4)
	v_pk_fma_f32 v[116:117], v[162:163], v[146:147], v[114:115] op_sel_hi:[1,0,1]
	v_mov_b32_e32 v119, v113
	v_pk_add_f32 v[110:111], v[110:111], v[120:121]
	v_pk_mul_f32 v[112:113], v[198:199], v[112:113] op_sel_hi:[1,0]
	v_pk_fma_f32 v[114:115], v[162:163], v[146:147], v[114:115] neg_lo:[0,0,1] neg_hi:[0,0,1]
	v_mov_b32_e32 v115, v117
	s_delay_alu instid0(VALU_DEP_4) | instskip(NEXT) | instid1(VALU_DEP_4)
	v_pk_add_f32 v[110:111], v[110:111], v[118:119]
	v_pk_fma_f32 v[116:117], v[164:165], v[148:149], v[112:113] op_sel_hi:[1,0,1]
	v_pk_fma_f32 v[112:113], v[164:165], v[148:149], v[112:113] neg_lo:[0,0,1] neg_hi:[0,0,1]
	s_delay_alu instid0(VALU_DEP_3) | instskip(NEXT) | instid1(VALU_DEP_3)
	v_pk_add_f32 v[110:111], v[110:111], v[114:115]
	v_mov_b32_e32 v113, v117
	s_delay_alu instid0(VALU_DEP_1) | instskip(SKIP_1) | instid1(VALU_DEP_1)
	v_pk_add_f32 v[110:111], v[110:111], v[112:113]
	s_wait_loadcnt 0x0
	v_pk_add_f32 v[110:111], v[190:191], v[110:111] neg_lo:[0,1] neg_hi:[0,1]
	scratch_store_b64 off, v[110:111], off offset:264
	s_wait_xcnt 0x0
	v_cmpx_lt_u32_e32 32, v0
	s_cbranch_execz .LBB53_273
; %bb.272:
	scratch_load_b64 v[110:111], off, off offset:256
	v_mov_b64_e32 v[112:113], 0
	scratch_store_b64 off, v[112:113], off offset:256
	s_wait_loadcnt 0x0
	ds_store_b64 v1, v[110:111]
.LBB53_273:
	s_wait_xcnt 0x0
	s_or_b32 exec_lo, exec_lo, s0
	s_wait_storecnt_dscnt 0x0
	s_barrier_signal -1
	s_barrier_wait -1
	s_clause 0xb
	scratch_load_b128 v[110:113], off, off offset:264
	scratch_load_b128 v[114:117], off, off offset:280
	;; [unrolled: 1-line block ×10, first 2 shown]
	scratch_load_b64 v[190:191], off, off offset:424
	scratch_load_b64 v[192:193], off, off offset:256
	v_mov_b32_e32 v7, 0
	ds_load_2addr_b64 v[150:153], v7 offset0:99 offset1:100
	ds_load_2addr_b64 v[154:157], v7 offset0:101 offset1:102
	;; [unrolled: 1-line block ×10, first 2 shown]
	ds_load_b64 v[194:195], v7 offset:856
	s_mov_b32 s0, exec_lo
	s_wait_dscnt 0xa
	v_dual_mov_b32 v196, v153 :: v_dual_mov_b32 v197, v152
	s_wait_dscnt 0x7
	v_dual_mov_b32 v198, v157 :: v_dual_mov_b32 v203, v164
	v_dual_mov_b32 v199, v156 :: v_dual_mov_b32 v200, v161
	;; [unrolled: 1-line block ×3, first 2 shown]
	s_wait_loadcnt_dscnt 0xb06
	v_dual_mul_f32 v9, v166, v111 :: v_dual_mul_f32 v31, v167, v111
	v_dual_mul_f32 v33, v169, v113 :: v_dual_mul_f32 v11, v168, v113
	s_wait_loadcnt_dscnt 0xa05
	v_mul_f32_e32 v13, v170, v115
	s_wait_loadcnt_dscnt 0x803
	v_dual_mul_f32 v43, v179, v123 :: v_dual_fma_f32 v31, v166, v110, -v31
	v_dual_fmac_f32 v9, v167, v110 :: v_dual_mul_f32 v45, v181, v125
	v_dual_mul_f32 v35, v171, v115 :: v_dual_mul_f32 v37, v173, v117
	v_dual_fmac_f32 v11, v169, v112 :: v_dual_fma_f32 v33, v168, v112, -v33
	s_delay_alu instid0(VALU_DEP_3) | instskip(SKIP_3) | instid1(VALU_DEP_3)
	v_dual_add_f32 v9, 0, v9 :: v_dual_add_f32 v31, 0, v31
	v_dual_mul_f32 v15, v172, v117 :: v_dual_mul_f32 v17, v174, v119
	s_wait_loadcnt_dscnt 0x702
	v_dual_mul_f32 v47, v183, v127 :: v_dual_fma_f32 v35, v170, v114, -v35
	v_dual_fmac_f32 v13, v171, v114 :: v_dual_add_f32 v9, v9, v11
	s_delay_alu instid0(VALU_DEP_3) | instskip(SKIP_2) | instid1(VALU_DEP_3)
	v_dual_add_f32 v11, v31, v33 :: v_dual_fmac_f32 v15, v173, v116
	v_dual_mul_f32 v39, v175, v119 :: v_dual_mul_f32 v41, v177, v121
	v_dual_mul_f32 v31, v185, v129 :: v_dual_fma_f32 v33, v172, v116, -v37
	v_dual_add_f32 v9, v9, v13 :: v_dual_add_f32 v11, v11, v35
	v_dual_mul_f32 v19, v176, v121 :: v_dual_mul_f32 v21, v178, v123
	s_wait_loadcnt_dscnt 0x601
	v_dual_mul_f32 v13, v187, v131 :: v_dual_fma_f32 v35, v174, v118, -v39
	s_delay_alu instid0(VALU_DEP_3) | instskip(NEXT) | instid1(VALU_DEP_3)
	v_dual_fmac_f32 v17, v175, v118 :: v_dual_add_f32 v9, v9, v15
	v_dual_add_f32 v11, v11, v33 :: v_dual_fmac_f32 v19, v177, v120
	v_dual_mul_f32 v15, v189, v133 :: v_dual_fma_f32 v33, v176, v120, -v41
	s_delay_alu instid0(VALU_DEP_2) | instskip(SKIP_3) | instid1(VALU_DEP_3)
	v_dual_add_f32 v9, v9, v17 :: v_dual_add_f32 v11, v11, v35
	v_dual_mul_f32 v23, v180, v125 :: v_dual_mul_f32 v25, v182, v127
	s_wait_loadcnt 0x5
	v_dual_mul_f32 v17, v151, v135 :: v_dual_fma_f32 v35, v178, v122, -v43
	v_dual_fmac_f32 v21, v179, v122 :: v_dual_add_f32 v9, v9, v19
	v_dual_add_f32 v11, v11, v33 :: v_dual_mov_b32 v110, v137
	v_dual_fmac_f32 v23, v181, v124 :: v_dual_fma_f32 v19, v180, v124, -v45
	s_delay_alu instid0(VALU_DEP_2) | instskip(SKIP_2) | instid1(VALU_DEP_3)
	v_dual_add_f32 v9, v9, v21 :: v_dual_add_f32 v11, v11, v35
	v_dual_mul_f32 v27, v184, v129 :: v_dual_mul_f32 v29, v186, v131
	v_dual_fmac_f32 v25, v183, v126 :: v_dual_fma_f32 v21, v182, v126, -v47
	v_add_f32_e32 v9, v9, v23
	s_wait_loadcnt 0x4
	v_dual_add_f32 v11, v11, v19 :: v_dual_mov_b32 v114, v141
	v_fmac_f32_e32 v27, v185, v128
	s_delay_alu instid0(VALU_DEP_3) | instskip(SKIP_1) | instid1(VALU_DEP_4)
	v_dual_fma_f32 v19, v184, v128, -v31 :: v_dual_add_f32 v9, v9, v25
	v_fmac_f32_e32 v29, v187, v130
	v_add_f32_e32 v11, v11, v21
	v_dual_mul_f32 v205, v188, v133 :: v_dual_mul_f32 v207, v150, v135
	s_delay_alu instid0(VALU_DEP_4) | instskip(NEXT) | instid1(VALU_DEP_2)
	v_dual_fma_f32 v13, v186, v130, -v13 :: v_dual_add_f32 v9, v9, v27
	v_dual_add_f32 v11, v11, v19 :: v_dual_fmac_f32 v205, v189, v132
	v_fma_f32 v204, v188, v132, -v15
	v_pk_mul_f32 v[110:111], v[196:197], v[110:111] op_sel_hi:[1,0]
	s_delay_alu instid0(VALU_DEP_4)
	v_add_f32_e32 v119, v9, v29
	s_wait_loadcnt 0x3
	v_dual_add_f32 v118, v11, v13 :: v_dual_mov_b32 v120, v145
	v_pk_mul_f32 v[112:113], v[154:155], v[138:139] op_sel:[1,1] op_sel_hi:[0,1]
	v_dual_fmac_f32 v207, v151, v134 :: v_dual_fma_f32 v206, v150, v134, -v17
	v_pk_fma_f32 v[122:123], v[152:153], v[136:137], v[110:111] op_sel_hi:[1,0,1]
	s_delay_alu instid0(VALU_DEP_4)
	v_pk_add_f32 v[118:119], v[118:119], v[204:205]
	v_pk_fma_f32 v[110:111], v[152:153], v[136:137], v[110:111] neg_lo:[0,0,1] neg_hi:[0,0,1]
	v_pk_fma_f32 v[124:125], v[154:155], v[138:139], v[112:113] op_sel_hi:[1,0,1]
	v_pk_mul_f32 v[114:115], v[198:199], v[114:115] op_sel_hi:[1,0]
	v_mov_b32_e32 v111, v123
	v_pk_add_f32 v[118:119], v[118:119], v[206:207]
	v_pk_fma_f32 v[112:113], v[154:155], v[138:139], v[112:113] neg_lo:[0,0,1] neg_hi:[0,0,1]
	v_pk_mul_f32 v[116:117], v[158:159], v[142:143] op_sel:[1,1] op_sel_hi:[0,1]
	v_mov_b32_e32 v113, v125
	v_pk_fma_f32 v[124:125], v[156:157], v[140:141], v[114:115] op_sel_hi:[1,0,1]
	v_pk_add_f32 v[110:111], v[118:119], v[110:111]
	v_pk_fma_f32 v[114:115], v[156:157], v[140:141], v[114:115] neg_lo:[0,0,1] neg_hi:[0,0,1]
	v_pk_fma_f32 v[118:119], v[158:159], v[142:143], v[116:117] op_sel_hi:[1,0,1]
	v_pk_mul_f32 v[120:121], v[200:201], v[120:121] op_sel_hi:[1,0]
	v_mov_b32_e32 v115, v125
	v_pk_add_f32 v[110:111], v[110:111], v[112:113]
	v_pk_fma_f32 v[116:117], v[158:159], v[142:143], v[116:117] neg_lo:[0,0,1] neg_hi:[0,0,1]
	s_wait_loadcnt 0x2
	v_pk_mul_f32 v[122:123], v[162:163], v[146:147] op_sel:[1,1] op_sel_hi:[0,1]
	v_dual_mov_b32 v112, v149 :: v_dual_mov_b32 v117, v119
	v_pk_fma_f32 v[118:119], v[160:161], v[144:145], v[120:121] op_sel_hi:[1,0,1]
	v_pk_add_f32 v[110:111], v[110:111], v[114:115]
	v_pk_fma_f32 v[120:121], v[160:161], v[144:145], v[120:121] neg_lo:[0,0,1] neg_hi:[0,0,1]
	v_pk_fma_f32 v[114:115], v[162:163], v[146:147], v[122:123] op_sel_hi:[1,0,1]
	v_pk_mul_f32 v[112:113], v[202:203], v[112:113] op_sel_hi:[1,0]
	v_mov_b32_e32 v121, v119
	v_pk_add_f32 v[110:111], v[110:111], v[116:117]
	v_pk_fma_f32 v[116:117], v[162:163], v[146:147], v[122:123] neg_lo:[0,0,1] neg_hi:[0,0,1]
	v_mov_b32_e32 v117, v115
	v_pk_fma_f32 v[114:115], v[164:165], v[148:149], v[112:113] op_sel_hi:[1,0,1]
	s_wait_loadcnt_dscnt 0x100
	v_pk_mul_f32 v[118:119], v[194:195], v[190:191] op_sel:[1,1] op_sel_hi:[0,1]
	v_pk_add_f32 v[110:111], v[110:111], v[120:121]
	v_pk_fma_f32 v[112:113], v[164:165], v[148:149], v[112:113] neg_lo:[0,0,1] neg_hi:[0,0,1]
	v_mov_b32_e32 v113, v115
	s_delay_alu instid0(VALU_DEP_4) | instskip(NEXT) | instid1(VALU_DEP_4)
	v_pk_fma_f32 v[114:115], v[194:195], v[190:191], v[118:119] op_sel_hi:[1,0,1]
	v_pk_add_f32 v[110:111], v[110:111], v[116:117]
	v_pk_fma_f32 v[116:117], v[194:195], v[190:191], v[118:119] neg_lo:[0,0,1] neg_hi:[0,0,1]
	s_delay_alu instid0(VALU_DEP_3) | instskip(NEXT) | instid1(VALU_DEP_3)
	v_mov_b32_e32 v117, v115
	v_pk_add_f32 v[110:111], v[110:111], v[112:113]
	s_delay_alu instid0(VALU_DEP_1) | instskip(SKIP_1) | instid1(VALU_DEP_1)
	v_pk_add_f32 v[110:111], v[110:111], v[116:117]
	s_wait_loadcnt 0x0
	v_pk_add_f32 v[110:111], v[192:193], v[110:111] neg_lo:[0,1] neg_hi:[0,1]
	scratch_store_b64 off, v[110:111], off offset:256
	s_wait_xcnt 0x0
	v_cmpx_lt_u32_e32 31, v0
	s_cbranch_execz .LBB53_275
; %bb.274:
	scratch_load_b64 v[110:111], off, off offset:248
	v_mov_b64_e32 v[112:113], 0
	scratch_store_b64 off, v[112:113], off offset:248
	s_wait_loadcnt 0x0
	ds_store_b64 v1, v[110:111]
.LBB53_275:
	s_wait_xcnt 0x0
	s_or_b32 exec_lo, exec_lo, s0
	s_wait_storecnt_dscnt 0x0
	s_barrier_signal -1
	s_barrier_wait -1
	s_clause 0xb
	scratch_load_b128 v[110:113], off, off offset:256
	scratch_load_b128 v[114:117], off, off offset:272
	;; [unrolled: 1-line block ×11, first 2 shown]
	scratch_load_b64 v[198:199], off, off offset:248
	ds_load_b128 v[154:157], v7 offset:800
	ds_load_b128 v[158:161], v7 offset:816
	;; [unrolled: 1-line block ×11, first 2 shown]
	s_mov_b32 s0, exec_lo
	s_wait_dscnt 0xa
	v_dual_mov_b32 v200, v157 :: v_dual_mov_b32 v201, v156
	s_wait_dscnt 0x9
	v_dual_mov_b32 v202, v161 :: v_dual_mov_b32 v203, v160
	;; [unrolled: 2-line block ×4, first 2 shown]
	s_wait_loadcnt_dscnt 0xb06
	v_dual_mul_f32 v7, v170, v111 :: v_dual_mul_f32 v9, v172, v113
	v_dual_mul_f32 v31, v171, v111 :: v_dual_mul_f32 v33, v173, v113
	s_wait_loadcnt_dscnt 0xa05
	v_dual_mul_f32 v11, v174, v115 :: v_dual_mul_f32 v13, v176, v117
	s_delay_alu instid0(VALU_DEP_3) | instskip(SKIP_3) | instid1(VALU_DEP_3)
	v_dual_fmac_f32 v7, v171, v110 :: v_dual_fmac_f32 v9, v173, v112
	s_wait_loadcnt_dscnt 0x803
	v_dual_fma_f32 v31, v170, v110, -v31 :: v_dual_mul_f32 v43, v183, v123
	v_dual_mul_f32 v35, v175, v115 :: v_dual_mul_f32 v37, v177, v117
	v_dual_fma_f32 v33, v172, v112, -v33 :: v_dual_add_f32 v7, 0, v7
	s_delay_alu instid0(VALU_DEP_3) | instskip(SKIP_1) | instid1(VALU_DEP_3)
	v_dual_add_f32 v31, 0, v31 :: v_dual_mul_f32 v45, v185, v125
	v_dual_fmac_f32 v11, v175, v114 :: v_dual_fmac_f32 v13, v177, v116
	v_dual_fma_f32 v35, v174, v114, -v35 :: v_dual_add_f32 v7, v7, v9
	s_delay_alu instid0(VALU_DEP_3) | instskip(SKIP_2) | instid1(VALU_DEP_4)
	v_dual_add_f32 v9, v31, v33 :: v_dual_fma_f32 v33, v176, v116, -v37
	v_dual_mul_f32 v15, v178, v119 :: v_dual_mul_f32 v17, v180, v121
	v_dual_mul_f32 v39, v179, v119 :: v_dual_mul_f32 v41, v181, v121
	v_add_f32_e32 v7, v7, v11
	s_delay_alu instid0(VALU_DEP_3) | instskip(NEXT) | instid1(VALU_DEP_3)
	v_dual_add_f32 v9, v9, v35 :: v_dual_fmac_f32 v15, v179, v118
	v_fma_f32 v35, v178, v118, -v39
	v_dual_mul_f32 v19, v182, v123 :: v_dual_mul_f32 v21, v184, v125
	s_delay_alu instid0(VALU_DEP_4) | instskip(SKIP_2) | instid1(VALU_DEP_2)
	v_dual_add_f32 v7, v7, v13 :: v_dual_fmac_f32 v17, v181, v120
	s_wait_loadcnt_dscnt 0x601
	v_dual_add_f32 v9, v9, v33 :: v_dual_mul_f32 v13, v191, v131
	v_dual_fma_f32 v33, v180, v120, -v41 :: v_dual_add_f32 v7, v7, v15
	v_mul_f32_e32 v15, v193, v133
	s_delay_alu instid0(VALU_DEP_3) | instskip(NEXT) | instid1(VALU_DEP_3)
	v_dual_add_f32 v9, v9, v35 :: v_dual_fmac_f32 v19, v183, v122
	v_dual_fma_f32 v35, v182, v122, -v43 :: v_dual_add_f32 v7, v7, v17
	v_fmac_f32_e32 v21, v185, v124
	s_wait_loadcnt_dscnt 0x500
	s_delay_alu instid0(VALU_DEP_3) | instskip(SKIP_3) | instid1(VALU_DEP_3)
	v_dual_add_f32 v9, v9, v33 :: v_dual_mul_f32 v17, v195, v135
	v_dual_mul_f32 v23, v186, v127 :: v_dual_mul_f32 v25, v188, v129
	v_dual_mul_f32 v31, v187, v127 :: v_dual_mul_f32 v11, v189, v129
	v_dual_fma_f32 v33, v184, v124, -v45 :: v_dual_add_f32 v7, v7, v19
	v_dual_add_f32 v9, v9, v35 :: v_dual_fmac_f32 v23, v187, v126
	s_delay_alu instid0(VALU_DEP_3) | instskip(NEXT) | instid1(VALU_DEP_3)
	v_dual_mul_f32 v19, v197, v137 :: v_dual_fma_f32 v31, v186, v126, -v31
	v_dual_add_f32 v7, v7, v21 :: v_dual_fmac_f32 v25, v189, v128
	s_delay_alu instid0(VALU_DEP_3) | instskip(SKIP_2) | instid1(VALU_DEP_3)
	v_dual_add_f32 v9, v9, v33 :: v_dual_fma_f32 v11, v188, v128, -v11
	v_dual_mul_f32 v27, v190, v131 :: v_dual_mul_f32 v29, v192, v133
	s_wait_loadcnt 0x4
	v_dual_add_f32 v7, v7, v23 :: v_dual_mov_b32 v112, v141
	s_delay_alu instid0(VALU_DEP_2) | instskip(NEXT) | instid1(VALU_DEP_2)
	v_dual_add_f32 v9, v9, v31 :: v_dual_fmac_f32 v27, v191, v130
	v_dual_fma_f32 v13, v190, v130, -v13 :: v_dual_add_f32 v7, v7, v25
	v_dual_mul_f32 v209, v194, v135 :: v_dual_mul_f32 v211, v196, v137
	s_delay_alu instid0(VALU_DEP_3) | instskip(NEXT) | instid1(VALU_DEP_3)
	v_dual_add_f32 v9, v9, v11 :: v_dual_fma_f32 v11, v192, v132, -v15
	v_dual_fmac_f32 v29, v193, v132 :: v_dual_add_f32 v7, v7, v27
	v_pk_mul_f32 v[110:111], v[154:155], v[138:139] op_sel:[1,1] op_sel_hi:[0,1]
	s_delay_alu instid0(VALU_DEP_3) | instskip(SKIP_2) | instid1(VALU_DEP_2)
	v_dual_add_f32 v9, v9, v13 :: v_dual_fmac_f32 v209, v195, v134
	s_wait_loadcnt 0x3
	v_dual_mov_b32 v116, v145 :: v_dual_fma_f32 v208, v194, v134, -v17
	v_dual_add_f32 v119, v7, v29 :: v_dual_add_f32 v118, v9, v11
	v_fmac_f32_e32 v211, v197, v136
	v_pk_fma_f32 v[120:121], v[154:155], v[138:139], v[110:111] op_sel_hi:[1,0,1]
	v_fma_f32 v210, v196, v136, -v19
	v_pk_mul_f32 v[112:113], v[200:201], v[112:113] op_sel_hi:[1,0]
	v_pk_add_f32 v[118:119], v[118:119], v[208:209]
	v_pk_fma_f32 v[110:111], v[154:155], v[138:139], v[110:111] neg_lo:[0,0,1] neg_hi:[0,0,1]
	v_pk_mul_f32 v[114:115], v[158:159], v[142:143] op_sel:[1,1] op_sel_hi:[0,1]
	v_mov_b32_e32 v111, v121
	v_pk_fma_f32 v[120:121], v[156:157], v[140:141], v[112:113] op_sel_hi:[1,0,1]
	v_pk_add_f32 v[118:119], v[118:119], v[210:211]
	v_pk_fma_f32 v[112:113], v[156:157], v[140:141], v[112:113] neg_lo:[0,0,1] neg_hi:[0,0,1]
	v_pk_fma_f32 v[124:125], v[158:159], v[142:143], v[114:115] op_sel_hi:[1,0,1]
	v_pk_mul_f32 v[116:117], v[202:203], v[116:117] op_sel_hi:[1,0]
	v_mov_b32_e32 v113, v121
	v_pk_add_f32 v[110:111], v[118:119], v[110:111]
	s_wait_loadcnt 0x2
	v_pk_mul_f32 v[122:123], v[162:163], v[146:147] op_sel:[1,1] op_sel_hi:[0,1]
	v_mov_b32_e32 v118, v149
	v_pk_fma_f32 v[114:115], v[158:159], v[142:143], v[114:115] neg_lo:[0,0,1] neg_hi:[0,0,1]
	v_pk_fma_f32 v[120:121], v[160:161], v[144:145], v[116:117] op_sel_hi:[1,0,1]
	v_mov_b32_e32 v115, v125
	v_pk_add_f32 v[110:111], v[110:111], v[112:113]
	v_pk_fma_f32 v[112:113], v[162:163], v[146:147], v[122:123] op_sel_hi:[1,0,1]
	v_pk_mul_f32 v[118:119], v[204:205], v[118:119] op_sel_hi:[1,0]
	v_pk_fma_f32 v[116:117], v[160:161], v[144:145], v[116:117] neg_lo:[0,0,1] neg_hi:[0,0,1]
	v_mov_b32_e32 v117, v121
	v_pk_add_f32 v[110:111], v[110:111], v[114:115]
	v_pk_fma_f32 v[120:121], v[162:163], v[146:147], v[122:123] neg_lo:[0,0,1] neg_hi:[0,0,1]
	v_mov_b32_e32 v121, v113
	v_pk_fma_f32 v[112:113], v[164:165], v[148:149], v[118:119] op_sel_hi:[1,0,1]
	s_wait_loadcnt 0x1
	v_pk_mul_f32 v[114:115], v[166:167], v[150:151] op_sel:[1,1] op_sel_hi:[0,1]
	v_pk_add_f32 v[110:111], v[110:111], v[116:117]
	v_mov_b32_e32 v112, v153
	v_pk_fma_f32 v[118:119], v[164:165], v[148:149], v[118:119] neg_lo:[0,0,1] neg_hi:[0,0,1]
	s_delay_alu instid0(VALU_DEP_4)
	v_pk_fma_f32 v[116:117], v[166:167], v[150:151], v[114:115] op_sel_hi:[1,0,1]
	v_mov_b32_e32 v119, v113
	v_pk_add_f32 v[110:111], v[110:111], v[120:121]
	v_pk_mul_f32 v[112:113], v[206:207], v[112:113] op_sel_hi:[1,0]
	v_pk_fma_f32 v[114:115], v[166:167], v[150:151], v[114:115] neg_lo:[0,0,1] neg_hi:[0,0,1]
	v_mov_b32_e32 v115, v117
	s_delay_alu instid0(VALU_DEP_4) | instskip(NEXT) | instid1(VALU_DEP_4)
	v_pk_add_f32 v[110:111], v[110:111], v[118:119]
	v_pk_fma_f32 v[116:117], v[168:169], v[152:153], v[112:113] op_sel_hi:[1,0,1]
	v_pk_fma_f32 v[112:113], v[168:169], v[152:153], v[112:113] neg_lo:[0,0,1] neg_hi:[0,0,1]
	s_delay_alu instid0(VALU_DEP_3) | instskip(NEXT) | instid1(VALU_DEP_3)
	v_pk_add_f32 v[110:111], v[110:111], v[114:115]
	v_mov_b32_e32 v113, v117
	s_delay_alu instid0(VALU_DEP_1) | instskip(SKIP_1) | instid1(VALU_DEP_1)
	v_pk_add_f32 v[110:111], v[110:111], v[112:113]
	s_wait_loadcnt 0x0
	v_pk_add_f32 v[110:111], v[198:199], v[110:111] neg_lo:[0,1] neg_hi:[0,1]
	scratch_store_b64 off, v[110:111], off offset:248
	s_wait_xcnt 0x0
	v_cmpx_lt_u32_e32 30, v0
	s_cbranch_execz .LBB53_277
; %bb.276:
	scratch_load_b64 v[110:111], off, off offset:240
	v_mov_b64_e32 v[112:113], 0
	scratch_store_b64 off, v[112:113], off offset:240
	s_wait_loadcnt 0x0
	ds_store_b64 v1, v[110:111]
.LBB53_277:
	s_wait_xcnt 0x0
	s_or_b32 exec_lo, exec_lo, s0
	s_wait_storecnt_dscnt 0x0
	s_barrier_signal -1
	s_barrier_wait -1
	s_clause 0xc
	scratch_load_b128 v[110:113], off, off offset:248
	scratch_load_b128 v[114:117], off, off offset:264
	;; [unrolled: 1-line block ×11, first 2 shown]
	scratch_load_b64 v[198:199], off, off offset:424
	scratch_load_b64 v[200:201], off, off offset:240
	v_mov_b32_e32 v7, 0
	ds_load_2addr_b64 v[154:157], v7 offset0:99 offset1:100
	ds_load_2addr_b64 v[158:161], v7 offset0:101 offset1:102
	;; [unrolled: 1-line block ×11, first 2 shown]
	ds_load_b64 v[202:203], v7 offset:856
	s_mov_b32 s0, exec_lo
	s_wait_dscnt 0xb
	v_dual_mov_b32 v204, v157 :: v_dual_mov_b32 v205, v156
	s_wait_dscnt 0x8
	v_dual_mov_b32 v206, v161 :: v_dual_mov_b32 v211, v168
	v_dual_mov_b32 v207, v160 :: v_dual_mov_b32 v208, v165
	;; [unrolled: 1-line block ×3, first 2 shown]
	s_wait_loadcnt_dscnt 0xc07
	v_dual_mul_f32 v9, v170, v111 :: v_dual_mul_f32 v35, v171, v111
	v_dual_mul_f32 v37, v173, v113 :: v_dual_mul_f32 v11, v172, v113
	s_wait_loadcnt_dscnt 0xb06
	v_mul_f32_e32 v13, v174, v115
	s_wait_loadcnt_dscnt 0x904
	v_dual_mul_f32 v47, v183, v123 :: v_dual_fma_f32 v35, v170, v110, -v35
	v_dual_fmac_f32 v9, v171, v110 :: v_dual_mul_f32 v49, v185, v125
	v_dual_mul_f32 v39, v175, v115 :: v_dual_mul_f32 v41, v177, v117
	v_dual_fmac_f32 v11, v173, v112 :: v_dual_fma_f32 v37, v172, v112, -v37
	s_delay_alu instid0(VALU_DEP_3) | instskip(SKIP_3) | instid1(VALU_DEP_3)
	v_dual_add_f32 v9, 0, v9 :: v_dual_add_f32 v35, 0, v35
	v_dual_mul_f32 v15, v176, v117 :: v_dual_mul_f32 v17, v178, v119
	s_wait_loadcnt_dscnt 0x803
	v_dual_mul_f32 v51, v187, v127 :: v_dual_fma_f32 v39, v174, v114, -v39
	v_dual_fmac_f32 v13, v175, v114 :: v_dual_add_f32 v9, v9, v11
	s_delay_alu instid0(VALU_DEP_3) | instskip(SKIP_2) | instid1(VALU_DEP_3)
	v_dual_add_f32 v11, v35, v37 :: v_dual_fmac_f32 v15, v177, v116
	v_dual_mul_f32 v43, v179, v119 :: v_dual_mul_f32 v45, v181, v121
	v_dual_mul_f32 v35, v189, v129 :: v_dual_fma_f32 v37, v176, v116, -v41
	v_dual_add_f32 v9, v9, v13 :: v_dual_add_f32 v11, v11, v39
	v_dual_mul_f32 v19, v180, v121 :: v_dual_mul_f32 v21, v182, v123
	s_wait_loadcnt_dscnt 0x701
	v_dual_mul_f32 v13, v195, v131 :: v_dual_fma_f32 v39, v178, v118, -v43
	s_delay_alu instid0(VALU_DEP_3) | instskip(NEXT) | instid1(VALU_DEP_3)
	v_dual_fmac_f32 v17, v179, v118 :: v_dual_add_f32 v9, v9, v15
	v_dual_add_f32 v11, v11, v37 :: v_dual_fmac_f32 v19, v181, v120
	v_dual_mul_f32 v15, v197, v133 :: v_dual_fma_f32 v37, v180, v120, -v45
	s_delay_alu instid0(VALU_DEP_2) | instskip(SKIP_3) | instid1(VALU_DEP_3)
	v_dual_add_f32 v9, v9, v17 :: v_dual_add_f32 v11, v11, v39
	v_dual_mul_f32 v23, v184, v125 :: v_dual_mul_f32 v25, v186, v127
	s_wait_loadcnt 0x6
	v_dual_mul_f32 v17, v191, v135 :: v_dual_fma_f32 v39, v182, v122, -v47
	v_dual_fmac_f32 v21, v183, v122 :: v_dual_add_f32 v9, v9, v19
	s_delay_alu instid0(VALU_DEP_3) | instskip(SKIP_1) | instid1(VALU_DEP_2)
	v_dual_add_f32 v11, v11, v37 :: v_dual_fmac_f32 v23, v185, v124
	v_dual_mul_f32 v19, v193, v137 :: v_dual_fma_f32 v37, v184, v124, -v49
	v_dual_add_f32 v9, v9, v21 :: v_dual_add_f32 v11, v11, v39
	v_dual_mul_f32 v27, v188, v129 :: v_dual_mul_f32 v29, v194, v131
	s_wait_loadcnt 0x5
	v_dual_mul_f32 v21, v155, v139 :: v_dual_fma_f32 v39, v186, v126, -v51
	s_delay_alu instid0(VALU_DEP_3) | instskip(SKIP_2) | instid1(VALU_DEP_3)
	v_dual_fmac_f32 v25, v187, v126 :: v_dual_add_f32 v9, v9, v23
	v_dual_add_f32 v11, v11, v37 :: v_dual_mov_b32 v110, v141
	v_fmac_f32_e32 v27, v189, v128
	v_dual_fma_f32 v23, v188, v128, -v35 :: v_dual_add_f32 v9, v9, v25
	s_delay_alu instid0(VALU_DEP_3) | instskip(SKIP_1) | instid1(VALU_DEP_3)
	v_dual_add_f32 v11, v11, v39 :: v_dual_mul_f32 v31, v196, v133
	v_dual_mul_f32 v33, v190, v135 :: v_dual_fmac_f32 v29, v195, v130
	v_dual_add_f32 v9, v9, v27 :: v_dual_fma_f32 v13, v194, v130, -v13
	s_wait_loadcnt 0x4
	s_delay_alu instid0(VALU_DEP_3) | instskip(SKIP_3) | instid1(VALU_DEP_4)
	v_dual_add_f32 v11, v11, v23 :: v_dual_mov_b32 v114, v145
	v_fma_f32 v15, v196, v132, -v15
	v_fmac_f32_e32 v31, v197, v132
	v_dual_add_f32 v9, v9, v29 :: v_dual_fmac_f32 v33, v191, v134
	v_add_f32_e32 v11, v11, v13
	v_dual_mul_f32 v213, v192, v137 :: v_dual_mul_f32 v215, v154, v139
	s_delay_alu instid0(VALU_DEP_3) | instskip(NEXT) | instid1(VALU_DEP_2)
	v_dual_fma_f32 v13, v190, v134, -v17 :: v_dual_add_f32 v9, v9, v31
	v_dual_add_f32 v11, v11, v15 :: v_dual_fmac_f32 v213, v193, v136
	v_fma_f32 v212, v192, v136, -v19
	v_pk_mul_f32 v[110:111], v[204:205], v[110:111] op_sel_hi:[1,0]
	s_delay_alu instid0(VALU_DEP_4)
	v_add_f32_e32 v119, v9, v33
	s_wait_loadcnt 0x3
	v_dual_add_f32 v118, v11, v13 :: v_dual_mov_b32 v120, v149
	v_pk_mul_f32 v[112:113], v[158:159], v[142:143] op_sel:[1,1] op_sel_hi:[0,1]
	v_dual_fmac_f32 v215, v155, v138 :: v_dual_fma_f32 v214, v154, v138, -v21
	v_pk_fma_f32 v[122:123], v[156:157], v[140:141], v[110:111] op_sel_hi:[1,0,1]
	s_delay_alu instid0(VALU_DEP_4)
	v_pk_add_f32 v[118:119], v[118:119], v[212:213]
	v_pk_fma_f32 v[110:111], v[156:157], v[140:141], v[110:111] neg_lo:[0,0,1] neg_hi:[0,0,1]
	v_pk_fma_f32 v[124:125], v[158:159], v[142:143], v[112:113] op_sel_hi:[1,0,1]
	v_pk_mul_f32 v[114:115], v[206:207], v[114:115] op_sel_hi:[1,0]
	v_mov_b32_e32 v111, v123
	v_pk_add_f32 v[118:119], v[118:119], v[214:215]
	v_pk_fma_f32 v[112:113], v[158:159], v[142:143], v[112:113] neg_lo:[0,0,1] neg_hi:[0,0,1]
	v_pk_mul_f32 v[116:117], v[162:163], v[146:147] op_sel:[1,1] op_sel_hi:[0,1]
	v_mov_b32_e32 v113, v125
	v_pk_fma_f32 v[124:125], v[160:161], v[144:145], v[114:115] op_sel_hi:[1,0,1]
	v_pk_add_f32 v[110:111], v[118:119], v[110:111]
	v_pk_fma_f32 v[114:115], v[160:161], v[144:145], v[114:115] neg_lo:[0,0,1] neg_hi:[0,0,1]
	v_pk_fma_f32 v[118:119], v[162:163], v[146:147], v[116:117] op_sel_hi:[1,0,1]
	v_pk_mul_f32 v[120:121], v[208:209], v[120:121] op_sel_hi:[1,0]
	v_mov_b32_e32 v115, v125
	v_pk_add_f32 v[110:111], v[110:111], v[112:113]
	v_pk_fma_f32 v[116:117], v[162:163], v[146:147], v[116:117] neg_lo:[0,0,1] neg_hi:[0,0,1]
	s_wait_loadcnt 0x2
	v_pk_mul_f32 v[122:123], v[166:167], v[150:151] op_sel:[1,1] op_sel_hi:[0,1]
	v_dual_mov_b32 v112, v153 :: v_dual_mov_b32 v117, v119
	v_pk_fma_f32 v[118:119], v[164:165], v[148:149], v[120:121] op_sel_hi:[1,0,1]
	v_pk_add_f32 v[110:111], v[110:111], v[114:115]
	v_pk_fma_f32 v[120:121], v[164:165], v[148:149], v[120:121] neg_lo:[0,0,1] neg_hi:[0,0,1]
	v_pk_fma_f32 v[114:115], v[166:167], v[150:151], v[122:123] op_sel_hi:[1,0,1]
	v_pk_mul_f32 v[112:113], v[210:211], v[112:113] op_sel_hi:[1,0]
	v_mov_b32_e32 v121, v119
	v_pk_add_f32 v[110:111], v[110:111], v[116:117]
	v_pk_fma_f32 v[116:117], v[166:167], v[150:151], v[122:123] neg_lo:[0,0,1] neg_hi:[0,0,1]
	v_mov_b32_e32 v117, v115
	v_pk_fma_f32 v[114:115], v[168:169], v[152:153], v[112:113] op_sel_hi:[1,0,1]
	s_wait_loadcnt_dscnt 0x100
	v_pk_mul_f32 v[118:119], v[202:203], v[198:199] op_sel:[1,1] op_sel_hi:[0,1]
	v_pk_add_f32 v[110:111], v[110:111], v[120:121]
	v_pk_fma_f32 v[112:113], v[168:169], v[152:153], v[112:113] neg_lo:[0,0,1] neg_hi:[0,0,1]
	v_mov_b32_e32 v113, v115
	s_delay_alu instid0(VALU_DEP_4) | instskip(NEXT) | instid1(VALU_DEP_4)
	v_pk_fma_f32 v[114:115], v[202:203], v[198:199], v[118:119] op_sel_hi:[1,0,1]
	v_pk_add_f32 v[110:111], v[110:111], v[116:117]
	v_pk_fma_f32 v[116:117], v[202:203], v[198:199], v[118:119] neg_lo:[0,0,1] neg_hi:[0,0,1]
	s_delay_alu instid0(VALU_DEP_3) | instskip(NEXT) | instid1(VALU_DEP_3)
	v_mov_b32_e32 v117, v115
	v_pk_add_f32 v[110:111], v[110:111], v[112:113]
	s_delay_alu instid0(VALU_DEP_1) | instskip(SKIP_1) | instid1(VALU_DEP_1)
	v_pk_add_f32 v[110:111], v[110:111], v[116:117]
	s_wait_loadcnt 0x0
	v_pk_add_f32 v[110:111], v[200:201], v[110:111] neg_lo:[0,1] neg_hi:[0,1]
	scratch_store_b64 off, v[110:111], off offset:240
	s_wait_xcnt 0x0
	v_cmpx_lt_u32_e32 29, v0
	s_cbranch_execz .LBB53_279
; %bb.278:
	scratch_load_b64 v[110:111], off, off offset:232
	v_mov_b64_e32 v[112:113], 0
	scratch_store_b64 off, v[112:113], off offset:232
	s_wait_loadcnt 0x0
	ds_store_b64 v1, v[110:111]
.LBB53_279:
	s_wait_xcnt 0x0
	s_or_b32 exec_lo, exec_lo, s0
	s_wait_storecnt_dscnt 0x0
	s_barrier_signal -1
	s_barrier_wait -1
	s_clause 0xc
	scratch_load_b128 v[110:113], off, off offset:240
	scratch_load_b128 v[114:117], off, off offset:256
	scratch_load_b128 v[118:121], off, off offset:272
	scratch_load_b128 v[122:125], off, off offset:288
	scratch_load_b128 v[126:129], off, off offset:304
	scratch_load_b128 v[130:133], off, off offset:320
	scratch_load_b128 v[134:137], off, off offset:336
	scratch_load_b128 v[138:141], off, off offset:352
	scratch_load_b128 v[142:145], off, off offset:368
	scratch_load_b128 v[146:149], off, off offset:384
	scratch_load_b128 v[150:153], off, off offset:400
	scratch_load_b128 v[154:157], off, off offset:416
	scratch_load_b64 v[206:207], off, off offset:232
	ds_load_b128 v[158:161], v7 offset:800
	ds_load_b128 v[162:165], v7 offset:816
	;; [unrolled: 1-line block ×12, first 2 shown]
	s_mov_b32 s0, exec_lo
	s_wait_dscnt 0xb
	v_dual_mov_b32 v208, v161 :: v_dual_mov_b32 v209, v160
	s_wait_dscnt 0xa
	v_dual_mov_b32 v210, v165 :: v_dual_mov_b32 v211, v164
	;; [unrolled: 2-line block ×4, first 2 shown]
	s_wait_loadcnt_dscnt 0xc07
	v_dual_mul_f32 v7, v174, v111 :: v_dual_mul_f32 v9, v176, v113
	v_dual_mul_f32 v35, v175, v111 :: v_dual_mul_f32 v37, v177, v113
	s_wait_loadcnt_dscnt 0xb06
	v_dual_mul_f32 v11, v178, v115 :: v_dual_mul_f32 v13, v180, v117
	s_delay_alu instid0(VALU_DEP_3) | instskip(SKIP_3) | instid1(VALU_DEP_3)
	v_dual_fmac_f32 v7, v175, v110 :: v_dual_fmac_f32 v9, v177, v112
	s_wait_loadcnt_dscnt 0x904
	v_dual_fma_f32 v35, v174, v110, -v35 :: v_dual_mul_f32 v47, v187, v123
	v_dual_mul_f32 v39, v179, v115 :: v_dual_mul_f32 v41, v181, v117
	v_dual_fma_f32 v37, v176, v112, -v37 :: v_dual_add_f32 v7, 0, v7
	s_delay_alu instid0(VALU_DEP_3) | instskip(SKIP_1) | instid1(VALU_DEP_3)
	v_dual_add_f32 v35, 0, v35 :: v_dual_mul_f32 v49, v189, v125
	v_dual_fmac_f32 v11, v179, v114 :: v_dual_fmac_f32 v13, v181, v116
	v_dual_fma_f32 v39, v178, v114, -v39 :: v_dual_add_f32 v7, v7, v9
	s_delay_alu instid0(VALU_DEP_3) | instskip(SKIP_2) | instid1(VALU_DEP_4)
	v_dual_add_f32 v9, v35, v37 :: v_dual_fma_f32 v37, v180, v116, -v41
	v_dual_mul_f32 v15, v182, v119 :: v_dual_mul_f32 v17, v184, v121
	v_dual_mul_f32 v43, v183, v119 :: v_dual_mul_f32 v45, v185, v121
	v_add_f32_e32 v7, v7, v11
	s_delay_alu instid0(VALU_DEP_3) | instskip(NEXT) | instid1(VALU_DEP_3)
	v_dual_add_f32 v9, v9, v39 :: v_dual_fmac_f32 v15, v183, v118
	v_fma_f32 v39, v182, v118, -v43
	v_dual_mul_f32 v19, v186, v123 :: v_dual_mul_f32 v21, v188, v125
	s_delay_alu instid0(VALU_DEP_4) | instskip(SKIP_2) | instid1(VALU_DEP_2)
	v_dual_add_f32 v7, v7, v13 :: v_dual_fmac_f32 v17, v185, v120
	s_wait_loadcnt_dscnt 0x702
	v_dual_add_f32 v9, v9, v37 :: v_dual_mul_f32 v13, v195, v131
	v_dual_fma_f32 v37, v184, v120, -v45 :: v_dual_add_f32 v7, v7, v15
	v_mul_f32_e32 v15, v197, v133
	s_delay_alu instid0(VALU_DEP_3) | instskip(NEXT) | instid1(VALU_DEP_3)
	v_dual_add_f32 v9, v9, v39 :: v_dual_fmac_f32 v19, v187, v122
	v_dual_fma_f32 v39, v186, v122, -v47 :: v_dual_add_f32 v7, v7, v17
	v_fmac_f32_e32 v21, v189, v124
	s_wait_loadcnt_dscnt 0x601
	s_delay_alu instid0(VALU_DEP_3) | instskip(SKIP_3) | instid1(VALU_DEP_3)
	v_dual_add_f32 v9, v9, v37 :: v_dual_mul_f32 v17, v199, v135
	v_dual_mul_f32 v23, v190, v127 :: v_dual_mul_f32 v25, v192, v129
	v_dual_mul_f32 v35, v191, v127 :: v_dual_mul_f32 v11, v193, v129
	v_dual_fma_f32 v37, v188, v124, -v49 :: v_dual_add_f32 v7, v7, v19
	v_dual_add_f32 v9, v9, v39 :: v_dual_fmac_f32 v23, v191, v126
	s_delay_alu instid0(VALU_DEP_3) | instskip(NEXT) | instid1(VALU_DEP_3)
	v_dual_mul_f32 v19, v201, v137 :: v_dual_fma_f32 v35, v190, v126, -v35
	v_dual_add_f32 v7, v7, v21 :: v_dual_fmac_f32 v25, v193, v128
	s_wait_loadcnt_dscnt 0x500
	s_delay_alu instid0(VALU_DEP_3) | instskip(SKIP_1) | instid1(VALU_DEP_3)
	v_dual_add_f32 v9, v9, v37 :: v_dual_mul_f32 v21, v203, v139
	v_dual_mul_f32 v27, v194, v131 :: v_dual_mul_f32 v29, v196, v133
	v_dual_fma_f32 v11, v192, v128, -v11 :: v_dual_add_f32 v7, v7, v23
	s_delay_alu instid0(VALU_DEP_2) | instskip(SKIP_1) | instid1(VALU_DEP_2)
	v_dual_add_f32 v9, v9, v35 :: v_dual_fmac_f32 v27, v195, v130
	v_dual_mul_f32 v23, v205, v141 :: v_dual_fma_f32 v13, v194, v130, -v13
	v_dual_add_f32 v7, v7, v25 :: v_dual_add_f32 v9, v9, v11
	v_dual_mul_f32 v31, v198, v135 :: v_dual_mul_f32 v33, v200, v137
	v_dual_fmac_f32 v29, v197, v132 :: v_dual_fma_f32 v11, v196, v132, -v15
	s_delay_alu instid0(VALU_DEP_3) | instskip(SKIP_1) | instid1(VALU_DEP_3)
	v_dual_add_f32 v7, v7, v27 :: v_dual_add_f32 v9, v9, v13
	s_wait_loadcnt 0x4
	v_dual_mov_b32 v112, v145 :: v_dual_fmac_f32 v31, v199, v134
	s_delay_alu instid0(VALU_DEP_2) | instskip(NEXT) | instid1(VALU_DEP_3)
	v_dual_fma_f32 v13, v198, v134, -v17 :: v_dual_add_f32 v7, v7, v29
	v_dual_add_f32 v9, v9, v11 :: v_dual_fma_f32 v11, v200, v136, -v19
	v_dual_mul_f32 v217, v202, v139 :: v_dual_mul_f32 v219, v204, v141
	s_delay_alu instid0(VALU_DEP_3) | instskip(NEXT) | instid1(VALU_DEP_2)
	v_dual_fmac_f32 v33, v201, v136 :: v_dual_add_f32 v7, v7, v31
	v_dual_add_f32 v9, v9, v13 :: v_dual_fmac_f32 v217, v203, v138
	v_pk_mul_f32 v[110:111], v[158:159], v[142:143] op_sel:[1,1] op_sel_hi:[0,1]
	s_wait_loadcnt 0x3
	v_dual_mov_b32 v116, v149 :: v_dual_fma_f32 v216, v202, v138, -v21
	s_delay_alu instid0(VALU_DEP_3)
	v_dual_add_f32 v119, v7, v33 :: v_dual_add_f32 v118, v9, v11
	v_fmac_f32_e32 v219, v205, v140
	v_pk_fma_f32 v[120:121], v[158:159], v[142:143], v[110:111] op_sel_hi:[1,0,1]
	v_fma_f32 v218, v204, v140, -v23
	v_pk_mul_f32 v[112:113], v[208:209], v[112:113] op_sel_hi:[1,0]
	v_pk_add_f32 v[118:119], v[118:119], v[216:217]
	v_pk_fma_f32 v[110:111], v[158:159], v[142:143], v[110:111] neg_lo:[0,0,1] neg_hi:[0,0,1]
	v_pk_mul_f32 v[114:115], v[162:163], v[146:147] op_sel:[1,1] op_sel_hi:[0,1]
	v_mov_b32_e32 v111, v121
	v_pk_fma_f32 v[120:121], v[160:161], v[144:145], v[112:113] op_sel_hi:[1,0,1]
	v_pk_add_f32 v[118:119], v[118:119], v[218:219]
	v_pk_fma_f32 v[112:113], v[160:161], v[144:145], v[112:113] neg_lo:[0,0,1] neg_hi:[0,0,1]
	v_pk_fma_f32 v[124:125], v[162:163], v[146:147], v[114:115] op_sel_hi:[1,0,1]
	v_pk_mul_f32 v[116:117], v[210:211], v[116:117] op_sel_hi:[1,0]
	v_mov_b32_e32 v113, v121
	v_pk_add_f32 v[110:111], v[118:119], v[110:111]
	s_wait_loadcnt 0x2
	v_pk_mul_f32 v[122:123], v[166:167], v[150:151] op_sel:[1,1] op_sel_hi:[0,1]
	v_mov_b32_e32 v118, v153
	v_pk_fma_f32 v[114:115], v[162:163], v[146:147], v[114:115] neg_lo:[0,0,1] neg_hi:[0,0,1]
	v_pk_fma_f32 v[120:121], v[164:165], v[148:149], v[116:117] op_sel_hi:[1,0,1]
	v_mov_b32_e32 v115, v125
	v_pk_add_f32 v[110:111], v[110:111], v[112:113]
	v_pk_fma_f32 v[112:113], v[166:167], v[150:151], v[122:123] op_sel_hi:[1,0,1]
	v_pk_mul_f32 v[118:119], v[212:213], v[118:119] op_sel_hi:[1,0]
	v_pk_fma_f32 v[116:117], v[164:165], v[148:149], v[116:117] neg_lo:[0,0,1] neg_hi:[0,0,1]
	v_mov_b32_e32 v117, v121
	v_pk_add_f32 v[110:111], v[110:111], v[114:115]
	v_pk_fma_f32 v[120:121], v[166:167], v[150:151], v[122:123] neg_lo:[0,0,1] neg_hi:[0,0,1]
	v_mov_b32_e32 v121, v113
	v_pk_fma_f32 v[112:113], v[168:169], v[152:153], v[118:119] op_sel_hi:[1,0,1]
	s_wait_loadcnt 0x1
	v_pk_mul_f32 v[114:115], v[170:171], v[154:155] op_sel:[1,1] op_sel_hi:[0,1]
	v_pk_add_f32 v[110:111], v[110:111], v[116:117]
	v_mov_b32_e32 v112, v157
	v_pk_fma_f32 v[118:119], v[168:169], v[152:153], v[118:119] neg_lo:[0,0,1] neg_hi:[0,0,1]
	s_delay_alu instid0(VALU_DEP_4)
	v_pk_fma_f32 v[116:117], v[170:171], v[154:155], v[114:115] op_sel_hi:[1,0,1]
	v_mov_b32_e32 v119, v113
	v_pk_add_f32 v[110:111], v[110:111], v[120:121]
	v_pk_mul_f32 v[112:113], v[214:215], v[112:113] op_sel_hi:[1,0]
	v_pk_fma_f32 v[114:115], v[170:171], v[154:155], v[114:115] neg_lo:[0,0,1] neg_hi:[0,0,1]
	v_mov_b32_e32 v115, v117
	s_delay_alu instid0(VALU_DEP_4) | instskip(NEXT) | instid1(VALU_DEP_4)
	v_pk_add_f32 v[110:111], v[110:111], v[118:119]
	v_pk_fma_f32 v[116:117], v[172:173], v[156:157], v[112:113] op_sel_hi:[1,0,1]
	v_pk_fma_f32 v[112:113], v[172:173], v[156:157], v[112:113] neg_lo:[0,0,1] neg_hi:[0,0,1]
	s_delay_alu instid0(VALU_DEP_3) | instskip(NEXT) | instid1(VALU_DEP_3)
	v_pk_add_f32 v[110:111], v[110:111], v[114:115]
	v_mov_b32_e32 v113, v117
	s_delay_alu instid0(VALU_DEP_1) | instskip(SKIP_1) | instid1(VALU_DEP_1)
	v_pk_add_f32 v[110:111], v[110:111], v[112:113]
	s_wait_loadcnt 0x0
	v_pk_add_f32 v[110:111], v[206:207], v[110:111] neg_lo:[0,1] neg_hi:[0,1]
	scratch_store_b64 off, v[110:111], off offset:232
	s_wait_xcnt 0x0
	v_cmpx_lt_u32_e32 28, v0
	s_cbranch_execz .LBB53_281
; %bb.280:
	scratch_load_b64 v[110:111], off, off offset:224
	v_mov_b64_e32 v[112:113], 0
	scratch_store_b64 off, v[112:113], off offset:224
	s_wait_loadcnt 0x0
	ds_store_b64 v1, v[110:111]
.LBB53_281:
	s_wait_xcnt 0x0
	s_or_b32 exec_lo, exec_lo, s0
	s_wait_storecnt_dscnt 0x0
	s_barrier_signal -1
	s_barrier_wait -1
	s_clause 0xd
	scratch_load_b128 v[110:113], off, off offset:232
	scratch_load_b128 v[114:117], off, off offset:248
	;; [unrolled: 1-line block ×12, first 2 shown]
	scratch_load_b64 v[206:207], off, off offset:424
	scratch_load_b64 v[208:209], off, off offset:224
	v_mov_b32_e32 v7, 0
	ds_load_2addr_b64 v[158:161], v7 offset0:99 offset1:100
	ds_load_2addr_b64 v[162:165], v7 offset0:101 offset1:102
	;; [unrolled: 1-line block ×12, first 2 shown]
	ds_load_b64 v[210:211], v7 offset:856
	s_mov_b32 s0, exec_lo
	s_wait_dscnt 0xc
	v_dual_mov_b32 v212, v161 :: v_dual_mov_b32 v213, v160
	s_wait_dscnt 0x9
	v_dual_mov_b32 v214, v165 :: v_dual_mov_b32 v219, v172
	v_dual_mov_b32 v215, v164 :: v_dual_mov_b32 v216, v169
	;; [unrolled: 1-line block ×3, first 2 shown]
	s_wait_loadcnt_dscnt 0xd08
	v_dual_mul_f32 v9, v174, v111 :: v_dual_mul_f32 v39, v175, v111
	v_dual_mul_f32 v41, v177, v113 :: v_dual_mul_f32 v11, v176, v113
	s_wait_loadcnt_dscnt 0xc07
	v_mul_f32_e32 v13, v178, v115
	s_wait_loadcnt_dscnt 0xa05
	v_dual_mul_f32 v51, v187, v123 :: v_dual_fma_f32 v39, v174, v110, -v39
	v_dual_fmac_f32 v9, v175, v110 :: v_dual_mul_f32 v53, v189, v125
	v_dual_mul_f32 v43, v179, v115 :: v_dual_mul_f32 v45, v181, v117
	v_dual_fmac_f32 v11, v177, v112 :: v_dual_fma_f32 v41, v176, v112, -v41
	s_delay_alu instid0(VALU_DEP_3) | instskip(SKIP_3) | instid1(VALU_DEP_3)
	v_dual_add_f32 v9, 0, v9 :: v_dual_add_f32 v39, 0, v39
	v_dual_mul_f32 v15, v180, v117 :: v_dual_mul_f32 v17, v182, v119
	s_wait_loadcnt_dscnt 0x904
	v_dual_mul_f32 v55, v191, v127 :: v_dual_fma_f32 v43, v178, v114, -v43
	v_dual_fmac_f32 v13, v179, v114 :: v_dual_add_f32 v9, v9, v11
	s_delay_alu instid0(VALU_DEP_3) | instskip(SKIP_2) | instid1(VALU_DEP_3)
	v_dual_add_f32 v11, v39, v41 :: v_dual_fmac_f32 v15, v181, v116
	v_dual_mul_f32 v47, v183, v119 :: v_dual_mul_f32 v49, v185, v121
	v_dual_mul_f32 v39, v193, v129 :: v_dual_fma_f32 v41, v180, v116, -v45
	v_dual_add_f32 v9, v9, v13 :: v_dual_add_f32 v11, v11, v43
	v_dual_mul_f32 v19, v184, v121 :: v_dual_mul_f32 v21, v186, v123
	s_wait_loadcnt_dscnt 0x803
	v_dual_mul_f32 v13, v195, v131 :: v_dual_fma_f32 v43, v182, v118, -v47
	s_delay_alu instid0(VALU_DEP_3) | instskip(NEXT) | instid1(VALU_DEP_3)
	v_dual_fmac_f32 v17, v183, v118 :: v_dual_add_f32 v9, v9, v15
	v_dual_add_f32 v11, v11, v41 :: v_dual_fmac_f32 v19, v185, v120
	v_dual_mul_f32 v15, v197, v133 :: v_dual_fma_f32 v41, v184, v120, -v49
	s_delay_alu instid0(VALU_DEP_2) | instskip(SKIP_3) | instid1(VALU_DEP_3)
	v_dual_add_f32 v9, v9, v17 :: v_dual_add_f32 v11, v11, v43
	v_dual_mul_f32 v23, v188, v125 :: v_dual_mul_f32 v25, v190, v127
	s_wait_loadcnt_dscnt 0x702
	v_dual_mul_f32 v17, v199, v135 :: v_dual_fma_f32 v43, v186, v122, -v51
	v_dual_fmac_f32 v21, v187, v122 :: v_dual_add_f32 v9, v9, v19
	s_delay_alu instid0(VALU_DEP_3) | instskip(SKIP_1) | instid1(VALU_DEP_2)
	v_dual_add_f32 v11, v11, v41 :: v_dual_fmac_f32 v23, v189, v124
	v_dual_mul_f32 v19, v201, v137 :: v_dual_fma_f32 v41, v188, v124, -v53
	v_dual_add_f32 v9, v9, v21 :: v_dual_add_f32 v11, v11, v43
	v_dual_mul_f32 v27, v192, v129 :: v_dual_mul_f32 v29, v194, v131
	s_wait_loadcnt_dscnt 0x601
	v_dual_mul_f32 v21, v203, v139 :: v_dual_fma_f32 v43, v190, v126, -v55
	s_delay_alu instid0(VALU_DEP_3) | instskip(NEXT) | instid1(VALU_DEP_3)
	v_dual_fmac_f32 v25, v191, v126 :: v_dual_add_f32 v9, v9, v23
	v_dual_add_f32 v11, v11, v41 :: v_dual_fmac_f32 v27, v193, v128
	v_dual_mul_f32 v23, v205, v141 :: v_dual_fma_f32 v39, v192, v128, -v39
	s_delay_alu instid0(VALU_DEP_2) | instskip(SKIP_3) | instid1(VALU_DEP_3)
	v_dual_add_f32 v9, v9, v25 :: v_dual_add_f32 v11, v11, v43
	v_dual_mul_f32 v31, v196, v133 :: v_dual_mul_f32 v33, v198, v135
	s_wait_loadcnt 0x5
	v_dual_mul_f32 v25, v159, v143 :: v_dual_fma_f32 v13, v194, v130, -v13
	v_dual_fmac_f32 v29, v195, v130 :: v_dual_add_f32 v9, v9, v27
	v_dual_add_f32 v11, v11, v39 :: v_dual_mov_b32 v110, v145
	v_fmac_f32_e32 v31, v197, v132
	s_delay_alu instid0(VALU_DEP_3) | instskip(NEXT) | instid1(VALU_DEP_3)
	v_dual_fma_f32 v15, v196, v132, -v15 :: v_dual_add_f32 v9, v9, v29
	v_add_f32_e32 v11, v11, v13
	v_dual_mul_f32 v35, v200, v137 :: v_dual_mul_f32 v37, v202, v139
	s_delay_alu instid0(VALU_DEP_3) | instskip(NEXT) | instid1(VALU_DEP_3)
	v_dual_fmac_f32 v33, v199, v134 :: v_dual_add_f32 v9, v9, v31
	v_dual_fma_f32 v13, v198, v134, -v17 :: v_dual_add_f32 v11, v11, v15
	s_wait_loadcnt 0x4
	v_dual_mov_b32 v114, v149 :: v_dual_fma_f32 v15, v200, v136, -v19
	v_fmac_f32_e32 v35, v201, v136
	v_dual_add_f32 v9, v9, v33 :: v_dual_fmac_f32 v37, v203, v138
	v_add_f32_e32 v11, v11, v13
	v_dual_mul_f32 v221, v204, v141 :: v_dual_mul_f32 v223, v158, v143
	s_delay_alu instid0(VALU_DEP_3) | instskip(NEXT) | instid1(VALU_DEP_2)
	v_dual_fma_f32 v13, v202, v138, -v21 :: v_dual_add_f32 v9, v9, v35
	v_dual_add_f32 v11, v11, v15 :: v_dual_fmac_f32 v221, v205, v140
	v_fma_f32 v220, v204, v140, -v23
	v_pk_mul_f32 v[110:111], v[212:213], v[110:111] op_sel_hi:[1,0]
	s_delay_alu instid0(VALU_DEP_4)
	v_add_f32_e32 v119, v9, v37
	s_wait_loadcnt 0x3
	v_dual_add_f32 v118, v11, v13 :: v_dual_mov_b32 v120, v153
	v_pk_mul_f32 v[112:113], v[162:163], v[146:147] op_sel:[1,1] op_sel_hi:[0,1]
	v_dual_fmac_f32 v223, v159, v142 :: v_dual_fma_f32 v222, v158, v142, -v25
	v_pk_fma_f32 v[122:123], v[160:161], v[144:145], v[110:111] op_sel_hi:[1,0,1]
	s_delay_alu instid0(VALU_DEP_4)
	v_pk_add_f32 v[118:119], v[118:119], v[220:221]
	v_pk_fma_f32 v[110:111], v[160:161], v[144:145], v[110:111] neg_lo:[0,0,1] neg_hi:[0,0,1]
	v_pk_fma_f32 v[124:125], v[162:163], v[146:147], v[112:113] op_sel_hi:[1,0,1]
	v_pk_mul_f32 v[114:115], v[214:215], v[114:115] op_sel_hi:[1,0]
	v_mov_b32_e32 v111, v123
	v_pk_add_f32 v[118:119], v[118:119], v[222:223]
	v_pk_fma_f32 v[112:113], v[162:163], v[146:147], v[112:113] neg_lo:[0,0,1] neg_hi:[0,0,1]
	v_pk_mul_f32 v[116:117], v[166:167], v[150:151] op_sel:[1,1] op_sel_hi:[0,1]
	v_mov_b32_e32 v113, v125
	v_pk_fma_f32 v[124:125], v[164:165], v[148:149], v[114:115] op_sel_hi:[1,0,1]
	v_pk_add_f32 v[110:111], v[118:119], v[110:111]
	v_pk_fma_f32 v[114:115], v[164:165], v[148:149], v[114:115] neg_lo:[0,0,1] neg_hi:[0,0,1]
	v_pk_fma_f32 v[118:119], v[166:167], v[150:151], v[116:117] op_sel_hi:[1,0,1]
	v_pk_mul_f32 v[120:121], v[216:217], v[120:121] op_sel_hi:[1,0]
	v_mov_b32_e32 v115, v125
	v_pk_add_f32 v[110:111], v[110:111], v[112:113]
	v_pk_fma_f32 v[116:117], v[166:167], v[150:151], v[116:117] neg_lo:[0,0,1] neg_hi:[0,0,1]
	s_wait_loadcnt 0x2
	v_pk_mul_f32 v[122:123], v[170:171], v[154:155] op_sel:[1,1] op_sel_hi:[0,1]
	v_dual_mov_b32 v112, v157 :: v_dual_mov_b32 v117, v119
	v_pk_fma_f32 v[118:119], v[168:169], v[152:153], v[120:121] op_sel_hi:[1,0,1]
	v_pk_add_f32 v[110:111], v[110:111], v[114:115]
	v_pk_fma_f32 v[120:121], v[168:169], v[152:153], v[120:121] neg_lo:[0,0,1] neg_hi:[0,0,1]
	v_pk_fma_f32 v[114:115], v[170:171], v[154:155], v[122:123] op_sel_hi:[1,0,1]
	v_pk_mul_f32 v[112:113], v[218:219], v[112:113] op_sel_hi:[1,0]
	v_mov_b32_e32 v121, v119
	v_pk_add_f32 v[110:111], v[110:111], v[116:117]
	v_pk_fma_f32 v[116:117], v[170:171], v[154:155], v[122:123] neg_lo:[0,0,1] neg_hi:[0,0,1]
	v_mov_b32_e32 v117, v115
	v_pk_fma_f32 v[114:115], v[172:173], v[156:157], v[112:113] op_sel_hi:[1,0,1]
	s_wait_loadcnt_dscnt 0x100
	v_pk_mul_f32 v[118:119], v[210:211], v[206:207] op_sel:[1,1] op_sel_hi:[0,1]
	v_pk_add_f32 v[110:111], v[110:111], v[120:121]
	v_pk_fma_f32 v[112:113], v[172:173], v[156:157], v[112:113] neg_lo:[0,0,1] neg_hi:[0,0,1]
	v_mov_b32_e32 v113, v115
	s_delay_alu instid0(VALU_DEP_4) | instskip(NEXT) | instid1(VALU_DEP_4)
	v_pk_fma_f32 v[114:115], v[210:211], v[206:207], v[118:119] op_sel_hi:[1,0,1]
	v_pk_add_f32 v[110:111], v[110:111], v[116:117]
	v_pk_fma_f32 v[116:117], v[210:211], v[206:207], v[118:119] neg_lo:[0,0,1] neg_hi:[0,0,1]
	s_delay_alu instid0(VALU_DEP_3) | instskip(NEXT) | instid1(VALU_DEP_3)
	v_mov_b32_e32 v117, v115
	v_pk_add_f32 v[110:111], v[110:111], v[112:113]
	s_delay_alu instid0(VALU_DEP_1) | instskip(SKIP_1) | instid1(VALU_DEP_1)
	v_pk_add_f32 v[110:111], v[110:111], v[116:117]
	s_wait_loadcnt 0x0
	v_pk_add_f32 v[110:111], v[208:209], v[110:111] neg_lo:[0,1] neg_hi:[0,1]
	scratch_store_b64 off, v[110:111], off offset:224
	s_wait_xcnt 0x0
	v_cmpx_lt_u32_e32 27, v0
	s_cbranch_execz .LBB53_283
; %bb.282:
	scratch_load_b64 v[110:111], off, off offset:216
	v_mov_b64_e32 v[112:113], 0
	scratch_store_b64 off, v[112:113], off offset:216
	s_wait_loadcnt 0x0
	ds_store_b64 v1, v[110:111]
.LBB53_283:
	s_wait_xcnt 0x0
	s_or_b32 exec_lo, exec_lo, s0
	s_wait_storecnt_dscnt 0x0
	s_barrier_signal -1
	s_barrier_wait -1
	s_clause 0xd
	scratch_load_b128 v[110:113], off, off offset:224
	scratch_load_b128 v[114:117], off, off offset:240
	;; [unrolled: 1-line block ×13, first 2 shown]
	scratch_load_b64 v[214:215], off, off offset:216
	ds_load_b128 v[162:165], v7 offset:800
	ds_load_b128 v[166:169], v7 offset:816
	;; [unrolled: 1-line block ×13, first 2 shown]
	s_mov_b32 s0, exec_lo
	s_wait_dscnt 0xc
	v_dual_mov_b32 v216, v165 :: v_dual_mov_b32 v217, v164
	s_wait_dscnt 0xb
	v_dual_mov_b32 v218, v169 :: v_dual_mov_b32 v219, v168
	;; [unrolled: 2-line block ×4, first 2 shown]
	s_wait_loadcnt_dscnt 0xd08
	v_dual_mul_f32 v7, v178, v111 :: v_dual_mul_f32 v9, v180, v113
	v_dual_mul_f32 v39, v179, v111 :: v_dual_mul_f32 v41, v181, v113
	s_wait_loadcnt_dscnt 0xc07
	v_dual_mul_f32 v11, v182, v115 :: v_dual_mul_f32 v13, v184, v117
	s_delay_alu instid0(VALU_DEP_3) | instskip(SKIP_3) | instid1(VALU_DEP_3)
	v_dual_fmac_f32 v7, v179, v110 :: v_dual_fmac_f32 v9, v181, v112
	s_wait_loadcnt_dscnt 0xa05
	v_dual_fma_f32 v39, v178, v110, -v39 :: v_dual_mul_f32 v51, v191, v123
	v_dual_mul_f32 v43, v183, v115 :: v_dual_mul_f32 v45, v185, v117
	v_dual_fma_f32 v41, v180, v112, -v41 :: v_dual_add_f32 v7, 0, v7
	s_delay_alu instid0(VALU_DEP_3) | instskip(SKIP_1) | instid1(VALU_DEP_3)
	v_dual_add_f32 v39, 0, v39 :: v_dual_mul_f32 v53, v193, v125
	v_dual_fmac_f32 v11, v183, v114 :: v_dual_fmac_f32 v13, v185, v116
	v_dual_fma_f32 v43, v182, v114, -v43 :: v_dual_add_f32 v7, v7, v9
	s_delay_alu instid0(VALU_DEP_3) | instskip(SKIP_2) | instid1(VALU_DEP_4)
	v_dual_add_f32 v9, v39, v41 :: v_dual_fma_f32 v41, v184, v116, -v45
	v_dual_mul_f32 v15, v186, v119 :: v_dual_mul_f32 v17, v188, v121
	v_dual_mul_f32 v47, v187, v119 :: v_dual_mul_f32 v49, v189, v121
	v_add_f32_e32 v7, v7, v11
	s_delay_alu instid0(VALU_DEP_3) | instskip(NEXT) | instid1(VALU_DEP_3)
	v_dual_add_f32 v9, v9, v43 :: v_dual_fmac_f32 v15, v187, v118
	v_fma_f32 v43, v186, v118, -v47
	v_dual_mul_f32 v19, v190, v123 :: v_dual_mul_f32 v21, v192, v125
	s_delay_alu instid0(VALU_DEP_4) | instskip(SKIP_2) | instid1(VALU_DEP_2)
	v_dual_add_f32 v7, v7, v13 :: v_dual_fmac_f32 v17, v189, v120
	s_wait_loadcnt_dscnt 0x802
	v_dual_add_f32 v9, v9, v41 :: v_dual_mul_f32 v13, v203, v131
	v_dual_fma_f32 v41, v188, v120, -v49 :: v_dual_add_f32 v7, v7, v15
	v_mul_f32_e32 v15, v205, v133
	s_delay_alu instid0(VALU_DEP_3) | instskip(NEXT) | instid1(VALU_DEP_3)
	v_dual_add_f32 v9, v9, v43 :: v_dual_fmac_f32 v19, v191, v122
	v_dual_fma_f32 v43, v190, v122, -v51 :: v_dual_add_f32 v7, v7, v17
	v_fmac_f32_e32 v21, v193, v124
	s_wait_loadcnt_dscnt 0x701
	s_delay_alu instid0(VALU_DEP_3) | instskip(SKIP_3) | instid1(VALU_DEP_3)
	v_dual_add_f32 v9, v9, v41 :: v_dual_mul_f32 v17, v207, v135
	v_dual_mul_f32 v23, v198, v127 :: v_dual_mul_f32 v25, v200, v129
	v_dual_mul_f32 v39, v199, v127 :: v_dual_mul_f32 v11, v201, v129
	v_dual_fma_f32 v41, v192, v124, -v53 :: v_dual_add_f32 v7, v7, v19
	v_dual_add_f32 v9, v9, v43 :: v_dual_fmac_f32 v23, v199, v126
	s_delay_alu instid0(VALU_DEP_3) | instskip(NEXT) | instid1(VALU_DEP_3)
	v_dual_mul_f32 v19, v209, v137 :: v_dual_fma_f32 v39, v198, v126, -v39
	v_dual_add_f32 v7, v7, v21 :: v_dual_fmac_f32 v25, v201, v128
	s_wait_loadcnt_dscnt 0x600
	s_delay_alu instid0(VALU_DEP_3) | instskip(SKIP_1) | instid1(VALU_DEP_3)
	v_dual_add_f32 v9, v9, v41 :: v_dual_mul_f32 v21, v211, v139
	v_dual_mul_f32 v27, v202, v131 :: v_dual_mul_f32 v29, v204, v133
	v_dual_fma_f32 v11, v200, v128, -v11 :: v_dual_add_f32 v7, v7, v23
	s_delay_alu instid0(VALU_DEP_2) | instskip(SKIP_1) | instid1(VALU_DEP_2)
	v_dual_add_f32 v9, v9, v39 :: v_dual_fmac_f32 v27, v203, v130
	v_dual_mul_f32 v23, v213, v141 :: v_dual_fma_f32 v13, v202, v130, -v13
	v_dual_add_f32 v7, v7, v25 :: v_dual_add_f32 v9, v9, v11
	v_dual_mul_f32 v31, v206, v135 :: v_dual_mul_f32 v33, v208, v137
	s_wait_loadcnt 0x5
	v_dual_mul_f32 v11, v195, v143 :: v_dual_fmac_f32 v29, v205, v132
	s_delay_alu instid0(VALU_DEP_3) | instskip(NEXT) | instid1(VALU_DEP_3)
	v_dual_fma_f32 v15, v204, v132, -v15 :: v_dual_add_f32 v7, v7, v27
	v_dual_add_f32 v9, v9, v13 :: v_dual_fmac_f32 v31, v207, v134
	v_dual_mul_f32 v13, v197, v145 :: v_dual_fma_f32 v17, v206, v134, -v17
	s_delay_alu instid0(VALU_DEP_2) | instskip(SKIP_2) | instid1(VALU_DEP_3)
	v_dual_add_f32 v7, v7, v29 :: v_dual_add_f32 v9, v9, v15
	v_dual_mul_f32 v35, v210, v139 :: v_dual_mul_f32 v37, v212, v141
	v_dual_fmac_f32 v33, v209, v136 :: v_dual_fma_f32 v15, v208, v136, -v19
	v_dual_add_f32 v7, v7, v31 :: v_dual_add_f32 v9, v9, v17
	s_wait_loadcnt 0x4
	s_delay_alu instid0(VALU_DEP_3) | instskip(NEXT) | instid1(VALU_DEP_2)
	v_dual_mov_b32 v112, v149 :: v_dual_fmac_f32 v35, v211, v138
	v_dual_fma_f32 v17, v210, v138, -v21 :: v_dual_add_f32 v7, v7, v33
	s_delay_alu instid0(VALU_DEP_3) | instskip(SKIP_1) | instid1(VALU_DEP_3)
	v_dual_add_f32 v9, v9, v15 :: v_dual_fma_f32 v15, v212, v140, -v23
	v_dual_mul_f32 v225, v194, v143 :: v_dual_mul_f32 v227, v196, v145
	v_dual_fmac_f32 v37, v213, v140 :: v_dual_add_f32 v7, v7, v35
	s_delay_alu instid0(VALU_DEP_2) | instskip(SKIP_3) | instid1(VALU_DEP_3)
	v_dual_add_f32 v9, v9, v17 :: v_dual_fmac_f32 v225, v195, v142
	v_pk_mul_f32 v[110:111], v[162:163], v[146:147] op_sel:[1,1] op_sel_hi:[0,1]
	s_wait_loadcnt 0x3
	v_dual_mov_b32 v116, v153 :: v_dual_fma_f32 v224, v194, v142, -v11
	v_dual_add_f32 v119, v7, v37 :: v_dual_add_f32 v118, v9, v15
	v_dual_fmac_f32 v227, v197, v144 :: v_dual_fma_f32 v226, v196, v144, -v13
	v_pk_fma_f32 v[120:121], v[162:163], v[146:147], v[110:111] op_sel_hi:[1,0,1]
	v_pk_mul_f32 v[112:113], v[216:217], v[112:113] op_sel_hi:[1,0]
	s_delay_alu instid0(VALU_DEP_4)
	v_pk_add_f32 v[118:119], v[118:119], v[224:225]
	v_pk_fma_f32 v[110:111], v[162:163], v[146:147], v[110:111] neg_lo:[0,0,1] neg_hi:[0,0,1]
	v_pk_mul_f32 v[114:115], v[166:167], v[150:151] op_sel:[1,1] op_sel_hi:[0,1]
	v_mov_b32_e32 v111, v121
	v_pk_fma_f32 v[120:121], v[164:165], v[148:149], v[112:113] op_sel_hi:[1,0,1]
	v_pk_add_f32 v[118:119], v[118:119], v[226:227]
	v_pk_fma_f32 v[112:113], v[164:165], v[148:149], v[112:113] neg_lo:[0,0,1] neg_hi:[0,0,1]
	v_pk_fma_f32 v[124:125], v[166:167], v[150:151], v[114:115] op_sel_hi:[1,0,1]
	v_pk_mul_f32 v[116:117], v[218:219], v[116:117] op_sel_hi:[1,0]
	v_mov_b32_e32 v113, v121
	v_pk_add_f32 v[110:111], v[118:119], v[110:111]
	s_wait_loadcnt 0x2
	v_pk_mul_f32 v[122:123], v[170:171], v[154:155] op_sel:[1,1] op_sel_hi:[0,1]
	v_mov_b32_e32 v118, v157
	v_pk_fma_f32 v[114:115], v[166:167], v[150:151], v[114:115] neg_lo:[0,0,1] neg_hi:[0,0,1]
	v_mov_b32_e32 v115, v125
	v_pk_fma_f32 v[120:121], v[168:169], v[152:153], v[116:117] op_sel_hi:[1,0,1]
	v_pk_add_f32 v[110:111], v[110:111], v[112:113]
	v_pk_fma_f32 v[112:113], v[170:171], v[154:155], v[122:123] op_sel_hi:[1,0,1]
	v_pk_mul_f32 v[118:119], v[220:221], v[118:119] op_sel_hi:[1,0]
	v_pk_fma_f32 v[116:117], v[168:169], v[152:153], v[116:117] neg_lo:[0,0,1] neg_hi:[0,0,1]
	v_mov_b32_e32 v117, v121
	v_pk_add_f32 v[110:111], v[110:111], v[114:115]
	v_pk_fma_f32 v[120:121], v[170:171], v[154:155], v[122:123] neg_lo:[0,0,1] neg_hi:[0,0,1]
	v_mov_b32_e32 v121, v113
	v_pk_fma_f32 v[112:113], v[172:173], v[156:157], v[118:119] op_sel_hi:[1,0,1]
	s_wait_loadcnt 0x1
	v_pk_mul_f32 v[114:115], v[174:175], v[158:159] op_sel:[1,1] op_sel_hi:[0,1]
	v_pk_add_f32 v[110:111], v[110:111], v[116:117]
	v_mov_b32_e32 v112, v161
	v_pk_fma_f32 v[118:119], v[172:173], v[156:157], v[118:119] neg_lo:[0,0,1] neg_hi:[0,0,1]
	v_mov_b32_e32 v119, v113
	v_pk_fma_f32 v[116:117], v[174:175], v[158:159], v[114:115] op_sel_hi:[1,0,1]
	v_pk_add_f32 v[110:111], v[110:111], v[120:121]
	v_pk_mul_f32 v[112:113], v[222:223], v[112:113] op_sel_hi:[1,0]
	v_pk_fma_f32 v[114:115], v[174:175], v[158:159], v[114:115] neg_lo:[0,0,1] neg_hi:[0,0,1]
	s_delay_alu instid0(VALU_DEP_4) | instskip(NEXT) | instid1(VALU_DEP_4)
	v_mov_b32_e32 v115, v117
	v_pk_add_f32 v[110:111], v[110:111], v[118:119]
	s_delay_alu instid0(VALU_DEP_4) | instskip(SKIP_1) | instid1(VALU_DEP_2)
	v_pk_fma_f32 v[116:117], v[176:177], v[160:161], v[112:113] op_sel_hi:[1,0,1]
	v_pk_fma_f32 v[112:113], v[176:177], v[160:161], v[112:113] neg_lo:[0,0,1] neg_hi:[0,0,1]
	v_mov_b32_e32 v113, v117
	s_delay_alu instid0(VALU_DEP_4) | instskip(NEXT) | instid1(VALU_DEP_1)
	v_pk_add_f32 v[110:111], v[110:111], v[114:115]
	v_pk_add_f32 v[110:111], v[110:111], v[112:113]
	s_wait_loadcnt 0x0
	s_delay_alu instid0(VALU_DEP_1)
	v_pk_add_f32 v[110:111], v[214:215], v[110:111] neg_lo:[0,1] neg_hi:[0,1]
	scratch_store_b64 off, v[110:111], off offset:216
	s_wait_xcnt 0x0
	v_cmpx_lt_u32_e32 26, v0
	s_cbranch_execz .LBB53_285
; %bb.284:
	scratch_load_b64 v[110:111], off, off offset:208
	v_mov_b64_e32 v[112:113], 0
	scratch_store_b64 off, v[112:113], off offset:208
	s_wait_loadcnt 0x0
	ds_store_b64 v1, v[110:111]
.LBB53_285:
	s_wait_xcnt 0x0
	s_or_b32 exec_lo, exec_lo, s0
	s_wait_storecnt_dscnt 0x0
	s_barrier_signal -1
	s_barrier_wait -1
	s_clause 0xe
	scratch_load_b128 v[110:113], off, off offset:216
	scratch_load_b128 v[114:117], off, off offset:232
	;; [unrolled: 1-line block ×13, first 2 shown]
	scratch_load_b64 v[214:215], off, off offset:424
	scratch_load_b64 v[216:217], off, off offset:208
	v_mov_b32_e32 v7, 0
	ds_load_2addr_b64 v[162:165], v7 offset0:99 offset1:100
	ds_load_2addr_b64 v[166:169], v7 offset0:101 offset1:102
	;; [unrolled: 1-line block ×13, first 2 shown]
	ds_load_b64 v[218:219], v7 offset:856
	s_mov_b32 s0, exec_lo
	s_wait_dscnt 0xd
	v_dual_mov_b32 v220, v165 :: v_dual_mov_b32 v221, v164
	s_wait_dscnt 0xa
	v_dual_mov_b32 v222, v169 :: v_dual_mov_b32 v227, v176
	v_dual_mov_b32 v223, v168 :: v_dual_mov_b32 v224, v173
	;; [unrolled: 1-line block ×3, first 2 shown]
	s_wait_loadcnt_dscnt 0xe09
	v_dual_mul_f32 v9, v178, v111 :: v_dual_mul_f32 v43, v179, v111
	v_dual_mul_f32 v45, v181, v113 :: v_dual_mul_f32 v11, v180, v113
	s_wait_loadcnt_dscnt 0xd08
	v_mul_f32_e32 v13, v182, v115
	s_wait_loadcnt_dscnt 0xb05
	v_dual_mul_f32 v55, v195, v123 :: v_dual_fma_f32 v43, v178, v110, -v43
	v_dual_fmac_f32 v9, v179, v110 :: v_dual_mul_f32 v57, v197, v125
	v_dual_mul_f32 v47, v183, v115 :: v_dual_mul_f32 v49, v185, v117
	v_dual_fmac_f32 v11, v181, v112 :: v_dual_fma_f32 v45, v180, v112, -v45
	s_delay_alu instid0(VALU_DEP_3) | instskip(SKIP_3) | instid1(VALU_DEP_3)
	v_dual_add_f32 v9, 0, v9 :: v_dual_add_f32 v43, 0, v43
	v_dual_mul_f32 v15, v184, v117 :: v_dual_mul_f32 v17, v186, v119
	s_wait_loadcnt_dscnt 0xa04
	v_dual_mul_f32 v59, v199, v127 :: v_dual_fma_f32 v47, v182, v114, -v47
	v_dual_fmac_f32 v13, v183, v114 :: v_dual_add_f32 v9, v9, v11
	s_delay_alu instid0(VALU_DEP_3) | instskip(SKIP_2) | instid1(VALU_DEP_3)
	v_dual_add_f32 v11, v43, v45 :: v_dual_fmac_f32 v15, v185, v116
	v_dual_mul_f32 v51, v187, v119 :: v_dual_mul_f32 v53, v189, v121
	v_dual_mul_f32 v43, v201, v129 :: v_dual_fma_f32 v45, v184, v116, -v49
	v_dual_add_f32 v9, v9, v13 :: v_dual_add_f32 v11, v11, v47
	v_dual_mul_f32 v19, v188, v121 :: v_dual_mul_f32 v21, v194, v123
	s_wait_loadcnt_dscnt 0x903
	v_dual_mul_f32 v13, v203, v131 :: v_dual_fma_f32 v47, v186, v118, -v51
	s_delay_alu instid0(VALU_DEP_3) | instskip(NEXT) | instid1(VALU_DEP_3)
	v_dual_fmac_f32 v17, v187, v118 :: v_dual_add_f32 v9, v9, v15
	v_dual_add_f32 v11, v11, v45 :: v_dual_fmac_f32 v19, v189, v120
	v_dual_mul_f32 v15, v205, v133 :: v_dual_fma_f32 v45, v188, v120, -v53
	s_delay_alu instid0(VALU_DEP_2) | instskip(SKIP_3) | instid1(VALU_DEP_3)
	v_dual_add_f32 v9, v9, v17 :: v_dual_add_f32 v11, v11, v47
	v_dual_mul_f32 v23, v196, v125 :: v_dual_mul_f32 v25, v198, v127
	s_wait_loadcnt_dscnt 0x802
	v_dual_mul_f32 v17, v207, v135 :: v_dual_fma_f32 v47, v194, v122, -v55
	v_dual_fmac_f32 v21, v195, v122 :: v_dual_add_f32 v9, v9, v19
	s_delay_alu instid0(VALU_DEP_3) | instskip(SKIP_1) | instid1(VALU_DEP_2)
	v_dual_add_f32 v11, v11, v45 :: v_dual_fmac_f32 v23, v197, v124
	v_dual_mul_f32 v19, v209, v137 :: v_dual_fma_f32 v45, v196, v124, -v57
	v_dual_add_f32 v9, v9, v21 :: v_dual_add_f32 v11, v11, v47
	v_dual_mul_f32 v27, v200, v129 :: v_dual_mul_f32 v29, v202, v131
	s_wait_loadcnt_dscnt 0x701
	v_dual_mul_f32 v21, v211, v139 :: v_dual_fma_f32 v47, v198, v126, -v59
	s_delay_alu instid0(VALU_DEP_3) | instskip(NEXT) | instid1(VALU_DEP_3)
	v_dual_fmac_f32 v25, v199, v126 :: v_dual_add_f32 v9, v9, v23
	v_dual_add_f32 v11, v11, v45 :: v_dual_fmac_f32 v27, v201, v128
	v_dual_mul_f32 v23, v213, v141 :: v_dual_fma_f32 v43, v200, v128, -v43
	s_delay_alu instid0(VALU_DEP_2) | instskip(SKIP_3) | instid1(VALU_DEP_3)
	v_dual_add_f32 v9, v9, v25 :: v_dual_add_f32 v11, v11, v47
	v_dual_mul_f32 v31, v204, v133 :: v_dual_mul_f32 v33, v206, v135
	s_wait_loadcnt 0x6
	v_dual_mul_f32 v25, v191, v143 :: v_dual_fma_f32 v13, v202, v130, -v13
	v_dual_fmac_f32 v29, v203, v130 :: v_dual_add_f32 v9, v9, v27
	v_dual_add_f32 v11, v11, v43 :: v_dual_mul_f32 v27, v193, v145
	v_fmac_f32_e32 v31, v205, v132
	s_delay_alu instid0(VALU_DEP_3) | instskip(NEXT) | instid1(VALU_DEP_3)
	v_dual_fma_f32 v15, v204, v132, -v15 :: v_dual_add_f32 v9, v9, v29
	v_add_f32_e32 v11, v11, v13
	v_dual_mul_f32 v35, v208, v137 :: v_dual_mul_f32 v37, v210, v139
	s_wait_loadcnt 0x5
	v_dual_mul_f32 v13, v163, v147 :: v_dual_fma_f32 v17, v206, v134, -v17
	v_dual_fmac_f32 v33, v207, v134 :: v_dual_add_f32 v9, v9, v31
	v_dual_add_f32 v11, v11, v15 :: v_dual_mov_b32 v110, v149
	v_fmac_f32_e32 v35, v209, v136
	s_delay_alu instid0(VALU_DEP_3) | instskip(NEXT) | instid1(VALU_DEP_3)
	v_dual_fma_f32 v15, v208, v136, -v19 :: v_dual_add_f32 v9, v9, v33
	v_add_f32_e32 v11, v11, v17
	v_dual_mul_f32 v39, v212, v141 :: v_dual_mul_f32 v41, v190, v143
	s_delay_alu instid0(VALU_DEP_3) | instskip(NEXT) | instid1(VALU_DEP_3)
	v_dual_fmac_f32 v37, v211, v138 :: v_dual_add_f32 v9, v9, v35
	v_dual_fma_f32 v17, v210, v138, -v21 :: v_dual_add_f32 v11, v11, v15
	s_wait_loadcnt 0x4
	v_dual_mov_b32 v114, v153 :: v_dual_fma_f32 v15, v212, v140, -v23
	v_fmac_f32_e32 v39, v213, v140
	v_dual_add_f32 v9, v9, v37 :: v_dual_fmac_f32 v41, v191, v142
	v_add_f32_e32 v11, v11, v17
	v_dual_mul_f32 v229, v192, v145 :: v_dual_mul_f32 v231, v162, v147
	s_delay_alu instid0(VALU_DEP_3) | instskip(NEXT) | instid1(VALU_DEP_2)
	v_dual_fma_f32 v17, v190, v142, -v25 :: v_dual_add_f32 v9, v9, v39
	v_dual_add_f32 v11, v11, v15 :: v_dual_fmac_f32 v229, v193, v144
	v_fma_f32 v228, v192, v144, -v27
	v_pk_mul_f32 v[110:111], v[220:221], v[110:111] op_sel_hi:[1,0]
	s_delay_alu instid0(VALU_DEP_4)
	v_add_f32_e32 v119, v9, v41
	s_wait_loadcnt 0x3
	v_dual_add_f32 v118, v11, v17 :: v_dual_mov_b32 v120, v157
	v_pk_mul_f32 v[112:113], v[166:167], v[150:151] op_sel:[1,1] op_sel_hi:[0,1]
	v_dual_fmac_f32 v231, v163, v146 :: v_dual_fma_f32 v230, v162, v146, -v13
	v_pk_fma_f32 v[122:123], v[164:165], v[148:149], v[110:111] op_sel_hi:[1,0,1]
	s_delay_alu instid0(VALU_DEP_4)
	v_pk_add_f32 v[118:119], v[118:119], v[228:229]
	v_pk_fma_f32 v[110:111], v[164:165], v[148:149], v[110:111] neg_lo:[0,0,1] neg_hi:[0,0,1]
	v_pk_fma_f32 v[124:125], v[166:167], v[150:151], v[112:113] op_sel_hi:[1,0,1]
	v_pk_mul_f32 v[114:115], v[222:223], v[114:115] op_sel_hi:[1,0]
	v_mov_b32_e32 v111, v123
	v_pk_add_f32 v[118:119], v[118:119], v[230:231]
	v_pk_fma_f32 v[112:113], v[166:167], v[150:151], v[112:113] neg_lo:[0,0,1] neg_hi:[0,0,1]
	v_pk_mul_f32 v[116:117], v[170:171], v[154:155] op_sel:[1,1] op_sel_hi:[0,1]
	v_mov_b32_e32 v113, v125
	v_pk_fma_f32 v[124:125], v[168:169], v[152:153], v[114:115] op_sel_hi:[1,0,1]
	v_pk_add_f32 v[110:111], v[118:119], v[110:111]
	v_pk_fma_f32 v[114:115], v[168:169], v[152:153], v[114:115] neg_lo:[0,0,1] neg_hi:[0,0,1]
	v_pk_fma_f32 v[118:119], v[170:171], v[154:155], v[116:117] op_sel_hi:[1,0,1]
	v_pk_mul_f32 v[120:121], v[224:225], v[120:121] op_sel_hi:[1,0]
	v_mov_b32_e32 v115, v125
	v_pk_add_f32 v[110:111], v[110:111], v[112:113]
	v_pk_fma_f32 v[116:117], v[170:171], v[154:155], v[116:117] neg_lo:[0,0,1] neg_hi:[0,0,1]
	s_wait_loadcnt 0x2
	v_pk_mul_f32 v[122:123], v[174:175], v[158:159] op_sel:[1,1] op_sel_hi:[0,1]
	v_dual_mov_b32 v112, v161 :: v_dual_mov_b32 v117, v119
	v_pk_fma_f32 v[118:119], v[172:173], v[156:157], v[120:121] op_sel_hi:[1,0,1]
	v_pk_add_f32 v[110:111], v[110:111], v[114:115]
	v_pk_fma_f32 v[120:121], v[172:173], v[156:157], v[120:121] neg_lo:[0,0,1] neg_hi:[0,0,1]
	v_pk_fma_f32 v[114:115], v[174:175], v[158:159], v[122:123] op_sel_hi:[1,0,1]
	v_pk_mul_f32 v[112:113], v[226:227], v[112:113] op_sel_hi:[1,0]
	v_mov_b32_e32 v121, v119
	v_pk_add_f32 v[110:111], v[110:111], v[116:117]
	v_pk_fma_f32 v[116:117], v[174:175], v[158:159], v[122:123] neg_lo:[0,0,1] neg_hi:[0,0,1]
	v_mov_b32_e32 v117, v115
	v_pk_fma_f32 v[114:115], v[176:177], v[160:161], v[112:113] op_sel_hi:[1,0,1]
	s_wait_loadcnt_dscnt 0x100
	v_pk_mul_f32 v[118:119], v[218:219], v[214:215] op_sel:[1,1] op_sel_hi:[0,1]
	v_pk_add_f32 v[110:111], v[110:111], v[120:121]
	v_pk_fma_f32 v[112:113], v[176:177], v[160:161], v[112:113] neg_lo:[0,0,1] neg_hi:[0,0,1]
	v_mov_b32_e32 v113, v115
	s_delay_alu instid0(VALU_DEP_4) | instskip(NEXT) | instid1(VALU_DEP_4)
	v_pk_fma_f32 v[114:115], v[218:219], v[214:215], v[118:119] op_sel_hi:[1,0,1]
	v_pk_add_f32 v[110:111], v[110:111], v[116:117]
	v_pk_fma_f32 v[116:117], v[218:219], v[214:215], v[118:119] neg_lo:[0,0,1] neg_hi:[0,0,1]
	s_delay_alu instid0(VALU_DEP_3) | instskip(NEXT) | instid1(VALU_DEP_3)
	v_mov_b32_e32 v117, v115
	v_pk_add_f32 v[110:111], v[110:111], v[112:113]
	s_delay_alu instid0(VALU_DEP_1) | instskip(SKIP_1) | instid1(VALU_DEP_1)
	v_pk_add_f32 v[110:111], v[110:111], v[116:117]
	s_wait_loadcnt 0x0
	v_pk_add_f32 v[110:111], v[216:217], v[110:111] neg_lo:[0,1] neg_hi:[0,1]
	scratch_store_b64 off, v[110:111], off offset:208
	s_wait_xcnt 0x0
	v_cmpx_lt_u32_e32 25, v0
	s_cbranch_execz .LBB53_287
; %bb.286:
	scratch_load_b64 v[110:111], off, off offset:200
	v_mov_b64_e32 v[112:113], 0
	scratch_store_b64 off, v[112:113], off offset:200
	s_wait_loadcnt 0x0
	ds_store_b64 v1, v[110:111]
.LBB53_287:
	s_wait_xcnt 0x0
	s_or_b32 exec_lo, exec_lo, s0
	s_wait_storecnt_dscnt 0x0
	s_barrier_signal -1
	s_barrier_wait -1
	s_clause 0xe
	scratch_load_b128 v[110:113], off, off offset:208
	scratch_load_b128 v[114:117], off, off offset:224
	;; [unrolled: 1-line block ×14, first 2 shown]
	scratch_load_b64 v[222:223], off, off offset:200
	ds_load_b128 v[166:169], v7 offset:800
	ds_load_b128 v[170:173], v7 offset:816
	ds_load_b128 v[174:177], v7 offset:832
	ds_load_b128 v[178:181], v7 offset:848
	ds_load_b128 v[182:185], v7 offset:640
	ds_load_b128 v[186:189], v7 offset:656
	ds_load_b128 v[190:193], v7 offset:672
	ds_load_b128 v[194:197], v7 offset:688
	ds_load_b128 v[198:201], v7 offset:704
	ds_load_b128 v[202:205], v7 offset:720
	ds_load_b128 v[206:209], v7 offset:736
	ds_load_b128 v[210:213], v7 offset:752
	ds_load_b128 v[214:217], v7 offset:768
	ds_load_b128 v[218:221], v7 offset:784
	s_mov_b32 s0, exec_lo
	s_wait_dscnt 0xd
	v_dual_mov_b32 v224, v169 :: v_dual_mov_b32 v225, v168
	s_wait_dscnt 0xc
	v_dual_mov_b32 v226, v173 :: v_dual_mov_b32 v227, v172
	;; [unrolled: 2-line block ×4, first 2 shown]
	s_wait_loadcnt_dscnt 0xe09
	v_dual_mul_f32 v7, v182, v111 :: v_dual_mul_f32 v9, v184, v113
	v_dual_mul_f32 v43, v183, v111 :: v_dual_mul_f32 v45, v185, v113
	s_wait_loadcnt_dscnt 0xd08
	v_dual_mul_f32 v11, v186, v115 :: v_dual_mul_f32 v13, v188, v117
	s_delay_alu instid0(VALU_DEP_3) | instskip(SKIP_3) | instid1(VALU_DEP_3)
	v_dual_fmac_f32 v7, v183, v110 :: v_dual_fmac_f32 v9, v185, v112
	s_wait_loadcnt_dscnt 0xb06
	v_dual_fma_f32 v43, v182, v110, -v43 :: v_dual_mul_f32 v55, v195, v123
	v_dual_mul_f32 v47, v187, v115 :: v_dual_mul_f32 v49, v189, v117
	v_dual_fma_f32 v45, v184, v112, -v45 :: v_dual_add_f32 v7, 0, v7
	s_delay_alu instid0(VALU_DEP_3) | instskip(SKIP_1) | instid1(VALU_DEP_3)
	v_dual_add_f32 v43, 0, v43 :: v_dual_mul_f32 v57, v197, v125
	v_dual_fmac_f32 v11, v187, v114 :: v_dual_fmac_f32 v13, v189, v116
	v_dual_fma_f32 v47, v186, v114, -v47 :: v_dual_add_f32 v7, v7, v9
	s_delay_alu instid0(VALU_DEP_3) | instskip(SKIP_2) | instid1(VALU_DEP_4)
	v_dual_add_f32 v9, v43, v45 :: v_dual_fma_f32 v45, v188, v116, -v49
	v_dual_mul_f32 v15, v190, v119 :: v_dual_mul_f32 v17, v192, v121
	v_dual_mul_f32 v51, v191, v119 :: v_dual_mul_f32 v53, v193, v121
	v_add_f32_e32 v7, v7, v11
	s_delay_alu instid0(VALU_DEP_3) | instskip(NEXT) | instid1(VALU_DEP_3)
	v_dual_add_f32 v9, v9, v47 :: v_dual_fmac_f32 v15, v191, v118
	v_fma_f32 v47, v190, v118, -v51
	v_dual_mul_f32 v19, v194, v123 :: v_dual_mul_f32 v21, v196, v125
	s_delay_alu instid0(VALU_DEP_4) | instskip(SKIP_2) | instid1(VALU_DEP_2)
	v_dual_add_f32 v7, v7, v13 :: v_dual_fmac_f32 v17, v193, v120
	s_wait_loadcnt_dscnt 0x904
	v_dual_add_f32 v9, v9, v45 :: v_dual_mul_f32 v13, v203, v131
	v_dual_fma_f32 v45, v192, v120, -v53 :: v_dual_add_f32 v7, v7, v15
	v_mul_f32_e32 v15, v205, v133
	s_delay_alu instid0(VALU_DEP_3) | instskip(NEXT) | instid1(VALU_DEP_3)
	v_dual_add_f32 v9, v9, v47 :: v_dual_fmac_f32 v19, v195, v122
	v_dual_fma_f32 v47, v194, v122, -v55 :: v_dual_add_f32 v7, v7, v17
	v_fmac_f32_e32 v21, v197, v124
	s_wait_loadcnt_dscnt 0x803
	s_delay_alu instid0(VALU_DEP_3) | instskip(SKIP_3) | instid1(VALU_DEP_3)
	v_dual_add_f32 v9, v9, v45 :: v_dual_mul_f32 v17, v207, v135
	v_dual_mul_f32 v23, v198, v127 :: v_dual_mul_f32 v25, v200, v129
	v_dual_mul_f32 v43, v199, v127 :: v_dual_mul_f32 v11, v201, v129
	v_dual_fma_f32 v45, v196, v124, -v57 :: v_dual_add_f32 v7, v7, v19
	v_dual_add_f32 v9, v9, v47 :: v_dual_fmac_f32 v23, v199, v126
	s_delay_alu instid0(VALU_DEP_3) | instskip(NEXT) | instid1(VALU_DEP_3)
	v_dual_mul_f32 v19, v209, v137 :: v_dual_fma_f32 v43, v198, v126, -v43
	v_dual_add_f32 v7, v7, v21 :: v_dual_fmac_f32 v25, v201, v128
	s_wait_loadcnt_dscnt 0x702
	s_delay_alu instid0(VALU_DEP_3) | instskip(SKIP_1) | instid1(VALU_DEP_3)
	v_dual_add_f32 v9, v9, v45 :: v_dual_mul_f32 v21, v211, v139
	v_dual_mul_f32 v27, v202, v131 :: v_dual_mul_f32 v29, v204, v133
	v_dual_fma_f32 v11, v200, v128, -v11 :: v_dual_add_f32 v7, v7, v23
	s_delay_alu instid0(VALU_DEP_2) | instskip(SKIP_1) | instid1(VALU_DEP_2)
	v_dual_add_f32 v9, v9, v43 :: v_dual_fmac_f32 v27, v203, v130
	v_dual_mul_f32 v23, v213, v141 :: v_dual_fma_f32 v13, v202, v130, -v13
	v_dual_add_f32 v7, v7, v25 :: v_dual_add_f32 v9, v9, v11
	v_dual_mul_f32 v31, v206, v135 :: v_dual_mul_f32 v33, v208, v137
	s_wait_loadcnt_dscnt 0x601
	v_dual_mul_f32 v11, v215, v143 :: v_dual_fmac_f32 v29, v205, v132
	s_delay_alu instid0(VALU_DEP_3) | instskip(NEXT) | instid1(VALU_DEP_3)
	v_dual_fma_f32 v15, v204, v132, -v15 :: v_dual_add_f32 v7, v7, v27
	v_dual_add_f32 v9, v9, v13 :: v_dual_fmac_f32 v31, v207, v134
	v_dual_mul_f32 v13, v217, v145 :: v_dual_fma_f32 v17, v206, v134, -v17
	s_delay_alu instid0(VALU_DEP_2) | instskip(SKIP_3) | instid1(VALU_DEP_3)
	v_dual_add_f32 v7, v7, v29 :: v_dual_add_f32 v9, v9, v15
	v_dual_mul_f32 v35, v210, v139 :: v_dual_mul_f32 v37, v212, v141
	s_wait_loadcnt_dscnt 0x500
	v_dual_mul_f32 v15, v219, v147 :: v_dual_fmac_f32 v33, v209, v136
	v_dual_fma_f32 v19, v208, v136, -v19 :: v_dual_add_f32 v7, v7, v31
	s_delay_alu instid0(VALU_DEP_3) | instskip(SKIP_1) | instid1(VALU_DEP_2)
	v_dual_add_f32 v9, v9, v17 :: v_dual_fmac_f32 v35, v211, v138
	v_dual_mul_f32 v17, v221, v149 :: v_dual_fma_f32 v21, v210, v138, -v21
	v_dual_add_f32 v7, v7, v33 :: v_dual_add_f32 v9, v9, v19
	v_dual_mul_f32 v39, v214, v143 :: v_dual_mul_f32 v41, v216, v145
	v_dual_fmac_f32 v37, v213, v140 :: v_dual_fma_f32 v19, v212, v140, -v23
	s_delay_alu instid0(VALU_DEP_3) | instskip(SKIP_1) | instid1(VALU_DEP_3)
	v_dual_add_f32 v7, v7, v35 :: v_dual_add_f32 v9, v9, v21
	s_wait_loadcnt 0x4
	v_dual_mov_b32 v112, v153 :: v_dual_fmac_f32 v39, v215, v142
	s_delay_alu instid0(VALU_DEP_2) | instskip(NEXT) | instid1(VALU_DEP_3)
	v_dual_fma_f32 v11, v214, v142, -v11 :: v_dual_add_f32 v7, v7, v37
	v_dual_add_f32 v9, v9, v19 :: v_dual_fma_f32 v13, v216, v144, -v13
	v_dual_mul_f32 v233, v218, v147 :: v_dual_mul_f32 v235, v220, v149
	s_delay_alu instid0(VALU_DEP_3) | instskip(NEXT) | instid1(VALU_DEP_2)
	v_dual_fmac_f32 v41, v217, v144 :: v_dual_add_f32 v7, v7, v39
	v_dual_add_f32 v9, v9, v11 :: v_dual_fmac_f32 v233, v219, v146
	v_pk_mul_f32 v[110:111], v[166:167], v[150:151] op_sel:[1,1] op_sel_hi:[0,1]
	s_wait_loadcnt 0x3
	v_dual_mov_b32 v116, v157 :: v_dual_fma_f32 v232, v218, v146, -v15
	v_dual_add_f32 v119, v7, v41 :: v_dual_fmac_f32 v235, v221, v148
	v_dual_add_f32 v118, v9, v13 :: v_dual_fma_f32 v234, v220, v148, -v17
	v_pk_fma_f32 v[120:121], v[166:167], v[150:151], v[110:111] op_sel_hi:[1,0,1]
	v_pk_mul_f32 v[112:113], v[224:225], v[112:113] op_sel_hi:[1,0]
	v_pk_fma_f32 v[110:111], v[166:167], v[150:151], v[110:111] neg_lo:[0,0,1] neg_hi:[0,0,1]
	s_delay_alu instid0(VALU_DEP_4)
	v_pk_add_f32 v[118:119], v[118:119], v[232:233]
	v_pk_mul_f32 v[114:115], v[170:171], v[154:155] op_sel:[1,1] op_sel_hi:[0,1]
	v_mov_b32_e32 v111, v121
	v_pk_fma_f32 v[120:121], v[168:169], v[152:153], v[112:113] op_sel_hi:[1,0,1]
	v_pk_fma_f32 v[112:113], v[168:169], v[152:153], v[112:113] neg_lo:[0,0,1] neg_hi:[0,0,1]
	v_pk_add_f32 v[118:119], v[118:119], v[234:235]
	v_pk_fma_f32 v[124:125], v[170:171], v[154:155], v[114:115] op_sel_hi:[1,0,1]
	v_pk_mul_f32 v[116:117], v[226:227], v[116:117] op_sel_hi:[1,0]
	v_mov_b32_e32 v113, v121
	s_wait_loadcnt 0x2
	v_pk_mul_f32 v[122:123], v[174:175], v[158:159] op_sel:[1,1] op_sel_hi:[0,1]
	v_pk_add_f32 v[110:111], v[118:119], v[110:111]
	v_mov_b32_e32 v118, v161
	v_pk_fma_f32 v[114:115], v[170:171], v[154:155], v[114:115] neg_lo:[0,0,1] neg_hi:[0,0,1]
	v_mov_b32_e32 v115, v125
	v_pk_fma_f32 v[120:121], v[172:173], v[156:157], v[116:117] op_sel_hi:[1,0,1]
	v_pk_add_f32 v[110:111], v[110:111], v[112:113]
	v_pk_fma_f32 v[112:113], v[174:175], v[158:159], v[122:123] op_sel_hi:[1,0,1]
	v_pk_mul_f32 v[118:119], v[228:229], v[118:119] op_sel_hi:[1,0]
	v_pk_fma_f32 v[116:117], v[172:173], v[156:157], v[116:117] neg_lo:[0,0,1] neg_hi:[0,0,1]
	v_mov_b32_e32 v117, v121
	v_pk_add_f32 v[110:111], v[110:111], v[114:115]
	v_pk_fma_f32 v[120:121], v[174:175], v[158:159], v[122:123] neg_lo:[0,0,1] neg_hi:[0,0,1]
	v_mov_b32_e32 v121, v113
	v_pk_fma_f32 v[112:113], v[176:177], v[160:161], v[118:119] op_sel_hi:[1,0,1]
	s_wait_loadcnt 0x1
	v_pk_mul_f32 v[114:115], v[178:179], v[162:163] op_sel:[1,1] op_sel_hi:[0,1]
	v_pk_add_f32 v[110:111], v[110:111], v[116:117]
	v_mov_b32_e32 v112, v165
	v_pk_fma_f32 v[118:119], v[176:177], v[160:161], v[118:119] neg_lo:[0,0,1] neg_hi:[0,0,1]
	v_mov_b32_e32 v119, v113
	v_pk_fma_f32 v[116:117], v[178:179], v[162:163], v[114:115] op_sel_hi:[1,0,1]
	v_pk_add_f32 v[110:111], v[110:111], v[120:121]
	v_pk_mul_f32 v[112:113], v[230:231], v[112:113] op_sel_hi:[1,0]
	v_pk_fma_f32 v[114:115], v[178:179], v[162:163], v[114:115] neg_lo:[0,0,1] neg_hi:[0,0,1]
	s_delay_alu instid0(VALU_DEP_4) | instskip(NEXT) | instid1(VALU_DEP_4)
	v_mov_b32_e32 v115, v117
	v_pk_add_f32 v[110:111], v[110:111], v[118:119]
	s_delay_alu instid0(VALU_DEP_4) | instskip(SKIP_1) | instid1(VALU_DEP_2)
	v_pk_fma_f32 v[116:117], v[180:181], v[164:165], v[112:113] op_sel_hi:[1,0,1]
	v_pk_fma_f32 v[112:113], v[180:181], v[164:165], v[112:113] neg_lo:[0,0,1] neg_hi:[0,0,1]
	v_mov_b32_e32 v113, v117
	s_delay_alu instid0(VALU_DEP_4) | instskip(NEXT) | instid1(VALU_DEP_1)
	v_pk_add_f32 v[110:111], v[110:111], v[114:115]
	v_pk_add_f32 v[110:111], v[110:111], v[112:113]
	s_wait_loadcnt 0x0
	s_delay_alu instid0(VALU_DEP_1)
	v_pk_add_f32 v[110:111], v[222:223], v[110:111] neg_lo:[0,1] neg_hi:[0,1]
	scratch_store_b64 off, v[110:111], off offset:200
	s_wait_xcnt 0x0
	v_cmpx_lt_u32_e32 24, v0
	s_cbranch_execz .LBB53_289
; %bb.288:
	scratch_load_b64 v[110:111], off, off offset:192
	v_mov_b64_e32 v[112:113], 0
	scratch_store_b64 off, v[112:113], off offset:192
	s_wait_loadcnt 0x0
	ds_store_b64 v1, v[110:111]
.LBB53_289:
	s_wait_xcnt 0x0
	s_or_b32 exec_lo, exec_lo, s0
	s_wait_storecnt_dscnt 0x0
	s_barrier_signal -1
	s_barrier_wait -1
	s_clause 0xf
	scratch_load_b128 v[110:113], off, off offset:200
	scratch_load_b128 v[114:117], off, off offset:216
	scratch_load_b128 v[118:121], off, off offset:232
	scratch_load_b128 v[122:125], off, off offset:248
	scratch_load_b128 v[126:129], off, off offset:264
	scratch_load_b128 v[130:133], off, off offset:280
	scratch_load_b128 v[134:137], off, off offset:296
	scratch_load_b128 v[138:141], off, off offset:312
	scratch_load_b128 v[142:145], off, off offset:328
	scratch_load_b128 v[146:149], off, off offset:344
	scratch_load_b128 v[150:153], off, off offset:360
	scratch_load_b128 v[154:157], off, off offset:376
	scratch_load_b128 v[158:161], off, off offset:392
	scratch_load_b128 v[162:165], off, off offset:408
	scratch_load_b64 v[222:223], off, off offset:424
	scratch_load_b64 v[224:225], off, off offset:192
	v_mov_b32_e32 v7, 0
	ds_load_2addr_b64 v[166:169], v7 offset0:99 offset1:100
	ds_load_2addr_b64 v[170:173], v7 offset0:101 offset1:102
	ds_load_2addr_b64 v[174:177], v7 offset0:103 offset1:104
	ds_load_2addr_b64 v[178:181], v7 offset0:105 offset1:106
	ds_load_2addr_b64 v[182:185], v7 offset0:79 offset1:80
	ds_load_2addr_b64 v[186:189], v7 offset0:81 offset1:82
	ds_load_2addr_b64 v[190:193], v7 offset0:83 offset1:84
	ds_load_2addr_b64 v[194:197], v7 offset0:85 offset1:86
	ds_load_2addr_b64 v[198:201], v7 offset0:87 offset1:88
	ds_load_2addr_b64 v[202:205], v7 offset0:89 offset1:90
	ds_load_2addr_b64 v[206:209], v7 offset0:91 offset1:92
	ds_load_2addr_b64 v[210:213], v7 offset0:93 offset1:94
	ds_load_2addr_b64 v[214:217], v7 offset0:95 offset1:96
	ds_load_2addr_b64 v[218:221], v7 offset0:97 offset1:98
	ds_load_b64 v[226:227], v7 offset:856
	s_mov_b32 s0, exec_lo
	s_wait_dscnt 0xe
	v_dual_mov_b32 v228, v169 :: v_dual_mov_b32 v229, v168
	s_wait_dscnt 0xb
	v_dual_mov_b32 v230, v173 :: v_dual_mov_b32 v235, v180
	v_dual_mov_b32 v231, v172 :: v_dual_mov_b32 v232, v177
	;; [unrolled: 1-line block ×3, first 2 shown]
	s_wait_loadcnt_dscnt 0xf0a
	v_dual_mul_f32 v9, v182, v111 :: v_dual_mul_f32 v47, v183, v111
	v_dual_mul_f32 v49, v185, v113 :: v_dual_mul_f32 v11, v184, v113
	s_wait_loadcnt_dscnt 0xe09
	v_mul_f32_e32 v13, v186, v115
	s_wait_loadcnt_dscnt 0xc07
	v_dual_mul_f32 v59, v195, v123 :: v_dual_fma_f32 v47, v182, v110, -v47
	v_dual_fmac_f32 v9, v183, v110 :: v_dual_mul_f32 v61, v197, v125
	v_dual_mul_f32 v51, v187, v115 :: v_dual_mul_f32 v53, v189, v117
	v_dual_fmac_f32 v11, v185, v112 :: v_dual_fma_f32 v49, v184, v112, -v49
	s_delay_alu instid0(VALU_DEP_3) | instskip(SKIP_3) | instid1(VALU_DEP_3)
	v_dual_add_f32 v9, 0, v9 :: v_dual_add_f32 v47, 0, v47
	v_dual_mul_f32 v15, v188, v117 :: v_dual_mul_f32 v17, v190, v119
	s_wait_loadcnt_dscnt 0xb06
	v_dual_mul_f32 v63, v199, v127 :: v_dual_fma_f32 v51, v186, v114, -v51
	v_dual_fmac_f32 v13, v187, v114 :: v_dual_add_f32 v9, v9, v11
	s_delay_alu instid0(VALU_DEP_3) | instskip(SKIP_2) | instid1(VALU_DEP_3)
	v_dual_add_f32 v11, v47, v49 :: v_dual_fmac_f32 v15, v189, v116
	v_dual_mul_f32 v55, v191, v119 :: v_dual_mul_f32 v57, v193, v121
	v_dual_mul_f32 v47, v201, v129 :: v_dual_fma_f32 v49, v188, v116, -v53
	v_dual_add_f32 v9, v9, v13 :: v_dual_add_f32 v11, v11, v51
	v_dual_mul_f32 v19, v192, v121 :: v_dual_mul_f32 v21, v194, v123
	s_wait_loadcnt_dscnt 0xa05
	v_dual_mul_f32 v13, v203, v131 :: v_dual_fma_f32 v51, v190, v118, -v55
	s_delay_alu instid0(VALU_DEP_3) | instskip(NEXT) | instid1(VALU_DEP_3)
	v_dual_fmac_f32 v17, v191, v118 :: v_dual_add_f32 v9, v9, v15
	v_dual_add_f32 v11, v11, v49 :: v_dual_fmac_f32 v19, v193, v120
	v_dual_mul_f32 v15, v205, v133 :: v_dual_fma_f32 v49, v192, v120, -v57
	s_delay_alu instid0(VALU_DEP_2) | instskip(SKIP_3) | instid1(VALU_DEP_3)
	v_dual_add_f32 v9, v9, v17 :: v_dual_add_f32 v11, v11, v51
	v_dual_mul_f32 v23, v196, v125 :: v_dual_mul_f32 v25, v198, v127
	s_wait_loadcnt_dscnt 0x904
	v_dual_mul_f32 v17, v207, v135 :: v_dual_fma_f32 v51, v194, v122, -v59
	v_dual_fmac_f32 v21, v195, v122 :: v_dual_add_f32 v9, v9, v19
	s_delay_alu instid0(VALU_DEP_3) | instskip(SKIP_1) | instid1(VALU_DEP_2)
	v_dual_add_f32 v11, v11, v49 :: v_dual_fmac_f32 v23, v197, v124
	v_dual_mul_f32 v19, v209, v137 :: v_dual_fma_f32 v49, v196, v124, -v61
	v_dual_add_f32 v9, v9, v21 :: v_dual_add_f32 v11, v11, v51
	v_dual_mul_f32 v27, v200, v129 :: v_dual_mul_f32 v29, v202, v131
	s_wait_loadcnt_dscnt 0x803
	v_dual_mul_f32 v21, v211, v139 :: v_dual_fma_f32 v51, v198, v126, -v63
	s_delay_alu instid0(VALU_DEP_3) | instskip(NEXT) | instid1(VALU_DEP_3)
	v_dual_fmac_f32 v25, v199, v126 :: v_dual_add_f32 v9, v9, v23
	v_dual_add_f32 v11, v11, v49 :: v_dual_fmac_f32 v27, v201, v128
	v_dual_mul_f32 v23, v213, v141 :: v_dual_fma_f32 v47, v200, v128, -v47
	s_delay_alu instid0(VALU_DEP_2) | instskip(SKIP_3) | instid1(VALU_DEP_3)
	v_dual_add_f32 v9, v9, v25 :: v_dual_add_f32 v11, v11, v51
	v_dual_mul_f32 v31, v204, v133 :: v_dual_mul_f32 v33, v206, v135
	s_wait_loadcnt_dscnt 0x702
	v_dual_mul_f32 v25, v215, v143 :: v_dual_fma_f32 v13, v202, v130, -v13
	v_dual_fmac_f32 v29, v203, v130 :: v_dual_add_f32 v9, v9, v27
	v_dual_add_f32 v11, v11, v47 :: v_dual_mul_f32 v27, v217, v145
	v_fmac_f32_e32 v31, v205, v132
	s_delay_alu instid0(VALU_DEP_3) | instskip(NEXT) | instid1(VALU_DEP_3)
	v_dual_fma_f32 v15, v204, v132, -v15 :: v_dual_add_f32 v9, v9, v29
	v_add_f32_e32 v11, v11, v13
	v_dual_mul_f32 v35, v208, v137 :: v_dual_mul_f32 v37, v210, v139
	s_wait_loadcnt_dscnt 0x601
	v_dual_mul_f32 v13, v219, v147 :: v_dual_fma_f32 v17, v206, v134, -v17
	v_dual_fmac_f32 v33, v207, v134 :: v_dual_add_f32 v9, v9, v31
	v_dual_add_f32 v11, v11, v15 :: v_dual_mul_f32 v15, v221, v149
	v_fmac_f32_e32 v35, v209, v136
	s_delay_alu instid0(VALU_DEP_3) | instskip(NEXT) | instid1(VALU_DEP_3)
	v_dual_fma_f32 v19, v208, v136, -v19 :: v_dual_add_f32 v9, v9, v33
	v_add_f32_e32 v11, v11, v17
	v_dual_mul_f32 v39, v212, v141 :: v_dual_mul_f32 v41, v214, v143
	s_wait_loadcnt 0x5
	v_dual_mul_f32 v17, v167, v151 :: v_dual_fma_f32 v21, v210, v138, -v21
	v_dual_fmac_f32 v37, v211, v138 :: v_dual_add_f32 v9, v9, v35
	v_dual_add_f32 v11, v11, v19 :: v_dual_mov_b32 v110, v153
	v_fmac_f32_e32 v39, v213, v140
	s_delay_alu instid0(VALU_DEP_3) | instskip(NEXT) | instid1(VALU_DEP_3)
	v_dual_fma_f32 v19, v212, v140, -v23 :: v_dual_add_f32 v9, v9, v37
	v_add_f32_e32 v11, v11, v21
	v_dual_mul_f32 v43, v216, v145 :: v_dual_mul_f32 v45, v218, v147
	s_delay_alu instid0(VALU_DEP_3) | instskip(NEXT) | instid1(VALU_DEP_3)
	v_dual_fmac_f32 v41, v215, v142 :: v_dual_add_f32 v9, v9, v39
	v_dual_fma_f32 v21, v214, v142, -v25 :: v_dual_add_f32 v11, v11, v19
	s_wait_loadcnt 0x4
	v_dual_mov_b32 v114, v157 :: v_dual_fma_f32 v19, v216, v144, -v27
	v_fmac_f32_e32 v43, v217, v144
	v_dual_add_f32 v9, v9, v41 :: v_dual_fmac_f32 v45, v219, v146
	v_add_f32_e32 v11, v11, v21
	v_dual_mul_f32 v237, v220, v149 :: v_dual_mul_f32 v239, v166, v151
	s_delay_alu instid0(VALU_DEP_3) | instskip(NEXT) | instid1(VALU_DEP_2)
	v_dual_fma_f32 v13, v218, v146, -v13 :: v_dual_add_f32 v9, v9, v43
	v_dual_add_f32 v11, v11, v19 :: v_dual_fmac_f32 v237, v221, v148
	v_fma_f32 v236, v220, v148, -v15
	v_pk_mul_f32 v[110:111], v[228:229], v[110:111] op_sel_hi:[1,0]
	s_delay_alu instid0(VALU_DEP_4)
	v_add_f32_e32 v119, v9, v45
	s_wait_loadcnt 0x3
	v_dual_add_f32 v118, v11, v13 :: v_dual_mov_b32 v120, v161
	v_pk_mul_f32 v[112:113], v[170:171], v[154:155] op_sel:[1,1] op_sel_hi:[0,1]
	v_dual_fmac_f32 v239, v167, v150 :: v_dual_fma_f32 v238, v166, v150, -v17
	v_pk_fma_f32 v[122:123], v[168:169], v[152:153], v[110:111] op_sel_hi:[1,0,1]
	s_delay_alu instid0(VALU_DEP_4)
	v_pk_add_f32 v[118:119], v[118:119], v[236:237]
	v_pk_fma_f32 v[110:111], v[168:169], v[152:153], v[110:111] neg_lo:[0,0,1] neg_hi:[0,0,1]
	v_pk_fma_f32 v[124:125], v[170:171], v[154:155], v[112:113] op_sel_hi:[1,0,1]
	v_pk_mul_f32 v[114:115], v[230:231], v[114:115] op_sel_hi:[1,0]
	v_mov_b32_e32 v111, v123
	v_pk_add_f32 v[118:119], v[118:119], v[238:239]
	v_pk_fma_f32 v[112:113], v[170:171], v[154:155], v[112:113] neg_lo:[0,0,1] neg_hi:[0,0,1]
	v_pk_mul_f32 v[116:117], v[174:175], v[158:159] op_sel:[1,1] op_sel_hi:[0,1]
	v_mov_b32_e32 v113, v125
	v_pk_fma_f32 v[124:125], v[172:173], v[156:157], v[114:115] op_sel_hi:[1,0,1]
	v_pk_add_f32 v[110:111], v[118:119], v[110:111]
	v_pk_fma_f32 v[114:115], v[172:173], v[156:157], v[114:115] neg_lo:[0,0,1] neg_hi:[0,0,1]
	v_pk_fma_f32 v[118:119], v[174:175], v[158:159], v[116:117] op_sel_hi:[1,0,1]
	v_pk_mul_f32 v[120:121], v[232:233], v[120:121] op_sel_hi:[1,0]
	v_mov_b32_e32 v115, v125
	v_pk_add_f32 v[110:111], v[110:111], v[112:113]
	v_pk_fma_f32 v[116:117], v[174:175], v[158:159], v[116:117] neg_lo:[0,0,1] neg_hi:[0,0,1]
	s_wait_loadcnt 0x2
	v_pk_mul_f32 v[122:123], v[178:179], v[162:163] op_sel:[1,1] op_sel_hi:[0,1]
	v_dual_mov_b32 v112, v165 :: v_dual_mov_b32 v117, v119
	v_pk_fma_f32 v[118:119], v[176:177], v[160:161], v[120:121] op_sel_hi:[1,0,1]
	v_pk_add_f32 v[110:111], v[110:111], v[114:115]
	v_pk_fma_f32 v[120:121], v[176:177], v[160:161], v[120:121] neg_lo:[0,0,1] neg_hi:[0,0,1]
	v_pk_fma_f32 v[114:115], v[178:179], v[162:163], v[122:123] op_sel_hi:[1,0,1]
	v_pk_mul_f32 v[112:113], v[234:235], v[112:113] op_sel_hi:[1,0]
	v_mov_b32_e32 v121, v119
	v_pk_add_f32 v[110:111], v[110:111], v[116:117]
	v_pk_fma_f32 v[116:117], v[178:179], v[162:163], v[122:123] neg_lo:[0,0,1] neg_hi:[0,0,1]
	v_mov_b32_e32 v117, v115
	v_pk_fma_f32 v[114:115], v[180:181], v[164:165], v[112:113] op_sel_hi:[1,0,1]
	s_wait_loadcnt_dscnt 0x100
	v_pk_mul_f32 v[118:119], v[226:227], v[222:223] op_sel:[1,1] op_sel_hi:[0,1]
	v_pk_add_f32 v[110:111], v[110:111], v[120:121]
	v_pk_fma_f32 v[112:113], v[180:181], v[164:165], v[112:113] neg_lo:[0,0,1] neg_hi:[0,0,1]
	v_mov_b32_e32 v113, v115
	s_delay_alu instid0(VALU_DEP_4) | instskip(NEXT) | instid1(VALU_DEP_4)
	v_pk_fma_f32 v[114:115], v[226:227], v[222:223], v[118:119] op_sel_hi:[1,0,1]
	v_pk_add_f32 v[110:111], v[110:111], v[116:117]
	v_pk_fma_f32 v[116:117], v[226:227], v[222:223], v[118:119] neg_lo:[0,0,1] neg_hi:[0,0,1]
	s_delay_alu instid0(VALU_DEP_3) | instskip(NEXT) | instid1(VALU_DEP_3)
	v_mov_b32_e32 v117, v115
	v_pk_add_f32 v[110:111], v[110:111], v[112:113]
	s_delay_alu instid0(VALU_DEP_1) | instskip(SKIP_1) | instid1(VALU_DEP_1)
	v_pk_add_f32 v[110:111], v[110:111], v[116:117]
	s_wait_loadcnt 0x0
	v_pk_add_f32 v[110:111], v[224:225], v[110:111] neg_lo:[0,1] neg_hi:[0,1]
	scratch_store_b64 off, v[110:111], off offset:192
	s_wait_xcnt 0x0
	v_cmpx_lt_u32_e32 23, v0
	s_cbranch_execz .LBB53_291
; %bb.290:
	scratch_load_b64 v[110:111], off, off offset:184
	v_mov_b64_e32 v[112:113], 0
	scratch_store_b64 off, v[112:113], off offset:184
	s_wait_loadcnt 0x0
	ds_store_b64 v1, v[110:111]
.LBB53_291:
	s_wait_xcnt 0x0
	s_or_b32 exec_lo, exec_lo, s0
	s_wait_storecnt_dscnt 0x0
	s_barrier_signal -1
	s_barrier_wait -1
	s_clause 0xf
	scratch_load_b128 v[110:113], off, off offset:192
	scratch_load_b128 v[114:117], off, off offset:208
	;; [unrolled: 1-line block ×15, first 2 shown]
	scratch_load_b64 v[230:231], off, off offset:184
	ds_load_b128 v[170:173], v7 offset:800
	ds_load_b128 v[174:177], v7 offset:816
	;; [unrolled: 1-line block ×15, first 2 shown]
	s_mov_b32 s0, exec_lo
	s_wait_dscnt 0xe
	v_dual_mov_b32 v232, v173 :: v_dual_mov_b32 v233, v172
	s_wait_dscnt 0xd
	v_dual_mov_b32 v234, v177 :: v_dual_mov_b32 v235, v176
	;; [unrolled: 2-line block ×4, first 2 shown]
	s_wait_loadcnt_dscnt 0xf0a
	v_dual_mul_f32 v7, v186, v111 :: v_dual_mul_f32 v9, v188, v113
	v_dual_mul_f32 v47, v187, v111 :: v_dual_mul_f32 v49, v189, v113
	s_wait_loadcnt_dscnt 0xe09
	v_dual_mul_f32 v11, v190, v115 :: v_dual_mul_f32 v13, v192, v117
	s_delay_alu instid0(VALU_DEP_3) | instskip(SKIP_3) | instid1(VALU_DEP_3)
	v_dual_fmac_f32 v7, v187, v110 :: v_dual_fmac_f32 v9, v189, v112
	s_wait_loadcnt_dscnt 0xc06
	v_dual_fma_f32 v47, v186, v110, -v47 :: v_dual_mul_f32 v59, v203, v123
	v_dual_mul_f32 v51, v191, v115 :: v_dual_mul_f32 v53, v193, v117
	v_dual_fma_f32 v49, v188, v112, -v49 :: v_dual_add_f32 v7, 0, v7
	s_delay_alu instid0(VALU_DEP_3) | instskip(SKIP_1) | instid1(VALU_DEP_3)
	v_dual_add_f32 v47, 0, v47 :: v_dual_mul_f32 v61, v205, v125
	v_dual_fmac_f32 v11, v191, v114 :: v_dual_fmac_f32 v13, v193, v116
	v_dual_fma_f32 v51, v190, v114, -v51 :: v_dual_add_f32 v7, v7, v9
	s_delay_alu instid0(VALU_DEP_3) | instskip(SKIP_2) | instid1(VALU_DEP_4)
	v_dual_add_f32 v9, v47, v49 :: v_dual_fma_f32 v49, v192, v116, -v53
	v_dual_mul_f32 v15, v198, v119 :: v_dual_mul_f32 v17, v200, v121
	v_dual_mul_f32 v55, v199, v119 :: v_dual_mul_f32 v57, v201, v121
	v_add_f32_e32 v7, v7, v11
	s_delay_alu instid0(VALU_DEP_3) | instskip(NEXT) | instid1(VALU_DEP_3)
	v_dual_add_f32 v9, v9, v51 :: v_dual_fmac_f32 v15, v199, v118
	v_fma_f32 v51, v198, v118, -v55
	v_dual_mul_f32 v19, v202, v123 :: v_dual_mul_f32 v21, v204, v125
	s_delay_alu instid0(VALU_DEP_4) | instskip(SKIP_2) | instid1(VALU_DEP_2)
	v_dual_add_f32 v7, v7, v13 :: v_dual_fmac_f32 v17, v201, v120
	s_wait_loadcnt_dscnt 0xa04
	v_dual_add_f32 v9, v9, v49 :: v_dual_mul_f32 v13, v211, v131
	v_dual_fma_f32 v49, v200, v120, -v57 :: v_dual_add_f32 v7, v7, v15
	v_mul_f32_e32 v15, v213, v133
	s_delay_alu instid0(VALU_DEP_3) | instskip(NEXT) | instid1(VALU_DEP_3)
	v_dual_add_f32 v9, v9, v51 :: v_dual_fmac_f32 v19, v203, v122
	v_dual_fma_f32 v51, v202, v122, -v59 :: v_dual_add_f32 v7, v7, v17
	v_fmac_f32_e32 v21, v205, v124
	s_wait_loadcnt_dscnt 0x903
	s_delay_alu instid0(VALU_DEP_3) | instskip(SKIP_3) | instid1(VALU_DEP_3)
	v_dual_add_f32 v9, v9, v49 :: v_dual_mul_f32 v17, v215, v135
	v_dual_mul_f32 v23, v206, v127 :: v_dual_mul_f32 v25, v208, v129
	v_dual_mul_f32 v47, v207, v127 :: v_dual_mul_f32 v11, v209, v129
	v_dual_fma_f32 v49, v204, v124, -v61 :: v_dual_add_f32 v7, v7, v19
	v_dual_add_f32 v9, v9, v51 :: v_dual_fmac_f32 v23, v207, v126
	s_delay_alu instid0(VALU_DEP_3) | instskip(NEXT) | instid1(VALU_DEP_3)
	v_dual_mul_f32 v19, v217, v137 :: v_dual_fma_f32 v47, v206, v126, -v47
	v_dual_add_f32 v7, v7, v21 :: v_dual_fmac_f32 v25, v209, v128
	s_wait_loadcnt_dscnt 0x802
	s_delay_alu instid0(VALU_DEP_3) | instskip(SKIP_1) | instid1(VALU_DEP_3)
	v_dual_add_f32 v9, v9, v49 :: v_dual_mul_f32 v21, v219, v139
	v_dual_mul_f32 v27, v210, v131 :: v_dual_mul_f32 v29, v212, v133
	v_dual_fma_f32 v11, v208, v128, -v11 :: v_dual_add_f32 v7, v7, v23
	s_delay_alu instid0(VALU_DEP_2) | instskip(SKIP_1) | instid1(VALU_DEP_2)
	v_dual_add_f32 v9, v9, v47 :: v_dual_fmac_f32 v27, v211, v130
	v_dual_mul_f32 v23, v221, v141 :: v_dual_fma_f32 v13, v210, v130, -v13
	v_dual_add_f32 v7, v7, v25 :: v_dual_add_f32 v9, v9, v11
	v_dual_mul_f32 v31, v214, v135 :: v_dual_mul_f32 v33, v216, v137
	s_wait_loadcnt_dscnt 0x701
	v_dual_mul_f32 v11, v223, v143 :: v_dual_fmac_f32 v29, v213, v132
	s_delay_alu instid0(VALU_DEP_3) | instskip(NEXT) | instid1(VALU_DEP_3)
	v_dual_fma_f32 v15, v212, v132, -v15 :: v_dual_add_f32 v7, v7, v27
	v_dual_add_f32 v9, v9, v13 :: v_dual_fmac_f32 v31, v215, v134
	v_dual_mul_f32 v13, v225, v145 :: v_dual_fma_f32 v17, v214, v134, -v17
	s_delay_alu instid0(VALU_DEP_2) | instskip(SKIP_3) | instid1(VALU_DEP_3)
	v_dual_add_f32 v7, v7, v29 :: v_dual_add_f32 v9, v9, v15
	v_dual_mul_f32 v35, v218, v139 :: v_dual_mul_f32 v37, v220, v141
	s_wait_loadcnt_dscnt 0x600
	v_dual_mul_f32 v15, v227, v147 :: v_dual_fmac_f32 v33, v217, v136
	v_dual_fma_f32 v19, v216, v136, -v19 :: v_dual_add_f32 v7, v7, v31
	s_delay_alu instid0(VALU_DEP_3) | instskip(SKIP_1) | instid1(VALU_DEP_2)
	v_dual_add_f32 v9, v9, v17 :: v_dual_fmac_f32 v35, v219, v138
	v_dual_mul_f32 v17, v229, v149 :: v_dual_fma_f32 v21, v218, v138, -v21
	v_dual_add_f32 v7, v7, v33 :: v_dual_add_f32 v9, v9, v19
	v_dual_mul_f32 v39, v222, v143 :: v_dual_mul_f32 v41, v224, v145
	s_wait_loadcnt 0x5
	v_dual_mul_f32 v19, v195, v151 :: v_dual_fmac_f32 v37, v221, v140
	s_delay_alu instid0(VALU_DEP_3) | instskip(NEXT) | instid1(VALU_DEP_3)
	v_dual_fma_f32 v23, v220, v140, -v23 :: v_dual_add_f32 v7, v7, v35
	v_dual_add_f32 v9, v9, v21 :: v_dual_fmac_f32 v39, v223, v142
	v_dual_mul_f32 v21, v197, v153 :: v_dual_fma_f32 v11, v222, v142, -v11
	s_delay_alu instid0(VALU_DEP_2) | instskip(SKIP_1) | instid1(VALU_DEP_2)
	v_dual_add_f32 v7, v7, v37 :: v_dual_add_f32 v9, v9, v23
	v_dual_mul_f32 v43, v226, v147 :: v_dual_mul_f32 v45, v228, v149
	v_dual_fmac_f32 v41, v225, v144 :: v_dual_add_f32 v7, v7, v39
	s_delay_alu instid0(VALU_DEP_3) | instskip(SKIP_1) | instid1(VALU_DEP_3)
	v_dual_fma_f32 v13, v224, v144, -v13 :: v_dual_add_f32 v9, v9, v11
	s_wait_loadcnt 0x4
	v_dual_mov_b32 v112, v157 :: v_dual_fmac_f32 v43, v227, v146
	s_delay_alu instid0(VALU_DEP_3) | instskip(NEXT) | instid1(VALU_DEP_3)
	v_dual_fma_f32 v11, v226, v146, -v15 :: v_dual_add_f32 v7, v7, v41
	v_dual_add_f32 v9, v9, v13 :: v_dual_fma_f32 v13, v228, v148, -v17
	v_dual_mul_f32 v241, v194, v151 :: v_dual_mul_f32 v243, v196, v153
	s_delay_alu instid0(VALU_DEP_3) | instskip(NEXT) | instid1(VALU_DEP_2)
	v_dual_fmac_f32 v45, v229, v148 :: v_dual_add_f32 v7, v7, v43
	v_dual_add_f32 v9, v9, v11 :: v_dual_fmac_f32 v241, v195, v150
	v_pk_mul_f32 v[110:111], v[170:171], v[154:155] op_sel:[1,1] op_sel_hi:[0,1]
	s_wait_loadcnt 0x3
	v_dual_mov_b32 v116, v161 :: v_dual_fma_f32 v240, v194, v150, -v19
	v_dual_add_f32 v119, v7, v45 :: v_dual_fmac_f32 v243, v197, v152
	v_dual_add_f32 v118, v9, v13 :: v_dual_fma_f32 v242, v196, v152, -v21
	v_pk_fma_f32 v[120:121], v[170:171], v[154:155], v[110:111] op_sel_hi:[1,0,1]
	v_pk_mul_f32 v[112:113], v[232:233], v[112:113] op_sel_hi:[1,0]
	v_pk_fma_f32 v[110:111], v[170:171], v[154:155], v[110:111] neg_lo:[0,0,1] neg_hi:[0,0,1]
	s_delay_alu instid0(VALU_DEP_4)
	v_pk_add_f32 v[118:119], v[118:119], v[240:241]
	v_pk_mul_f32 v[114:115], v[174:175], v[158:159] op_sel:[1,1] op_sel_hi:[0,1]
	v_mov_b32_e32 v111, v121
	v_pk_fma_f32 v[120:121], v[172:173], v[156:157], v[112:113] op_sel_hi:[1,0,1]
	v_pk_fma_f32 v[112:113], v[172:173], v[156:157], v[112:113] neg_lo:[0,0,1] neg_hi:[0,0,1]
	v_pk_add_f32 v[118:119], v[118:119], v[242:243]
	v_pk_fma_f32 v[124:125], v[174:175], v[158:159], v[114:115] op_sel_hi:[1,0,1]
	v_pk_mul_f32 v[116:117], v[234:235], v[116:117] op_sel_hi:[1,0]
	v_mov_b32_e32 v113, v121
	s_wait_loadcnt 0x2
	v_pk_mul_f32 v[122:123], v[178:179], v[162:163] op_sel:[1,1] op_sel_hi:[0,1]
	v_pk_add_f32 v[110:111], v[118:119], v[110:111]
	v_mov_b32_e32 v118, v165
	v_pk_fma_f32 v[114:115], v[174:175], v[158:159], v[114:115] neg_lo:[0,0,1] neg_hi:[0,0,1]
	v_mov_b32_e32 v115, v125
	v_pk_fma_f32 v[120:121], v[176:177], v[160:161], v[116:117] op_sel_hi:[1,0,1]
	v_pk_add_f32 v[110:111], v[110:111], v[112:113]
	v_pk_fma_f32 v[112:113], v[178:179], v[162:163], v[122:123] op_sel_hi:[1,0,1]
	v_pk_mul_f32 v[118:119], v[236:237], v[118:119] op_sel_hi:[1,0]
	v_pk_fma_f32 v[116:117], v[176:177], v[160:161], v[116:117] neg_lo:[0,0,1] neg_hi:[0,0,1]
	v_mov_b32_e32 v117, v121
	v_pk_add_f32 v[110:111], v[110:111], v[114:115]
	v_pk_fma_f32 v[120:121], v[178:179], v[162:163], v[122:123] neg_lo:[0,0,1] neg_hi:[0,0,1]
	v_mov_b32_e32 v121, v113
	v_pk_fma_f32 v[112:113], v[180:181], v[164:165], v[118:119] op_sel_hi:[1,0,1]
	s_wait_loadcnt 0x1
	v_pk_mul_f32 v[114:115], v[182:183], v[166:167] op_sel:[1,1] op_sel_hi:[0,1]
	v_pk_add_f32 v[110:111], v[110:111], v[116:117]
	v_mov_b32_e32 v112, v169
	v_pk_fma_f32 v[118:119], v[180:181], v[164:165], v[118:119] neg_lo:[0,0,1] neg_hi:[0,0,1]
	v_mov_b32_e32 v119, v113
	v_pk_fma_f32 v[116:117], v[182:183], v[166:167], v[114:115] op_sel_hi:[1,0,1]
	v_pk_add_f32 v[110:111], v[110:111], v[120:121]
	v_pk_mul_f32 v[112:113], v[238:239], v[112:113] op_sel_hi:[1,0]
	v_pk_fma_f32 v[114:115], v[182:183], v[166:167], v[114:115] neg_lo:[0,0,1] neg_hi:[0,0,1]
	s_delay_alu instid0(VALU_DEP_4) | instskip(NEXT) | instid1(VALU_DEP_4)
	v_mov_b32_e32 v115, v117
	v_pk_add_f32 v[110:111], v[110:111], v[118:119]
	s_delay_alu instid0(VALU_DEP_4) | instskip(SKIP_1) | instid1(VALU_DEP_2)
	v_pk_fma_f32 v[116:117], v[184:185], v[168:169], v[112:113] op_sel_hi:[1,0,1]
	v_pk_fma_f32 v[112:113], v[184:185], v[168:169], v[112:113] neg_lo:[0,0,1] neg_hi:[0,0,1]
	v_mov_b32_e32 v113, v117
	s_delay_alu instid0(VALU_DEP_4) | instskip(NEXT) | instid1(VALU_DEP_1)
	v_pk_add_f32 v[110:111], v[110:111], v[114:115]
	v_pk_add_f32 v[110:111], v[110:111], v[112:113]
	s_wait_loadcnt 0x0
	s_delay_alu instid0(VALU_DEP_1)
	v_pk_add_f32 v[110:111], v[230:231], v[110:111] neg_lo:[0,1] neg_hi:[0,1]
	scratch_store_b64 off, v[110:111], off offset:184
	s_wait_xcnt 0x0
	v_cmpx_lt_u32_e32 22, v0
	s_cbranch_execz .LBB53_293
; %bb.292:
	scratch_load_b64 v[110:111], off, off offset:176
	v_mov_b64_e32 v[112:113], 0
	scratch_store_b64 off, v[112:113], off offset:176
	s_wait_loadcnt 0x0
	ds_store_b64 v1, v[110:111]
.LBB53_293:
	s_wait_xcnt 0x0
	s_or_b32 exec_lo, exec_lo, s0
	s_wait_storecnt_dscnt 0x0
	s_barrier_signal -1
	s_barrier_wait -1
	s_clause 0x10
	scratch_load_b128 v[110:113], off, off offset:184
	scratch_load_b128 v[114:117], off, off offset:200
	;; [unrolled: 1-line block ×15, first 2 shown]
	scratch_load_b64 v[230:231], off, off offset:424
	scratch_load_b64 v[232:233], off, off offset:176
	v_mov_b32_e32 v7, 0
	ds_load_2addr_b64 v[170:173], v7 offset0:99 offset1:100
	ds_load_2addr_b64 v[174:177], v7 offset0:101 offset1:102
	ds_load_2addr_b64 v[178:181], v7 offset0:103 offset1:104
	ds_load_2addr_b64 v[182:185], v7 offset0:105 offset1:106
	ds_load_2addr_b64 v[186:189], v7 offset0:77 offset1:78
	ds_load_2addr_b64 v[190:193], v7 offset0:97 offset1:98
	ds_load_2addr_b64 v[194:197], v7 offset0:79 offset1:80
	ds_load_2addr_b64 v[198:201], v7 offset0:81 offset1:82
	ds_load_2addr_b64 v[202:205], v7 offset0:83 offset1:84
	ds_load_2addr_b64 v[206:209], v7 offset0:85 offset1:86
	ds_load_2addr_b64 v[210:213], v7 offset0:87 offset1:88
	ds_load_2addr_b64 v[214:217], v7 offset0:89 offset1:90
	ds_load_2addr_b64 v[218:221], v7 offset0:91 offset1:92
	ds_load_2addr_b64 v[222:225], v7 offset0:93 offset1:94
	ds_load_2addr_b64 v[226:229], v7 offset0:95 offset1:96
	ds_load_b64 v[234:235], v7 offset:856
	s_mov_b32 s0, exec_lo
	s_wait_dscnt 0xf
	v_dual_mov_b32 v236, v173 :: v_dual_mov_b32 v237, v172
	s_wait_dscnt 0xc
	v_dual_mov_b32 v238, v177 :: v_dual_mov_b32 v243, v184
	v_dual_mov_b32 v239, v176 :: v_dual_mov_b32 v240, v181
	;; [unrolled: 1-line block ×3, first 2 shown]
	s_wait_loadcnt_dscnt 0x100b
	v_dual_mul_f32 v9, v186, v111 :: v_dual_mul_f32 v51, v187, v111
	v_dual_mul_f32 v53, v189, v113 :: v_dual_mul_f32 v11, v188, v113
	s_wait_loadcnt_dscnt 0xf09
	v_mul_f32_e32 v13, v194, v115
	s_wait_loadcnt_dscnt 0xd07
	v_dual_mul_f32 v63, v203, v123 :: v_dual_fma_f32 v51, v186, v110, -v51
	v_dual_fmac_f32 v9, v187, v110 :: v_dual_mul_f32 v65, v205, v125
	v_dual_mul_f32 v55, v195, v115 :: v_dual_mul_f32 v57, v197, v117
	v_dual_fmac_f32 v11, v189, v112 :: v_dual_fma_f32 v53, v188, v112, -v53
	s_delay_alu instid0(VALU_DEP_3) | instskip(SKIP_3) | instid1(VALU_DEP_3)
	v_dual_add_f32 v9, 0, v9 :: v_dual_add_f32 v51, 0, v51
	v_dual_mul_f32 v15, v196, v117 :: v_dual_mul_f32 v17, v198, v119
	s_wait_loadcnt_dscnt 0xc06
	v_dual_mul_f32 v67, v207, v127 :: v_dual_fma_f32 v55, v194, v114, -v55
	v_dual_fmac_f32 v13, v195, v114 :: v_dual_add_f32 v9, v9, v11
	s_delay_alu instid0(VALU_DEP_3) | instskip(SKIP_2) | instid1(VALU_DEP_3)
	v_dual_add_f32 v11, v51, v53 :: v_dual_fmac_f32 v15, v197, v116
	v_dual_mul_f32 v59, v199, v119 :: v_dual_mul_f32 v61, v201, v121
	v_dual_mul_f32 v51, v209, v129 :: v_dual_fma_f32 v53, v196, v116, -v57
	v_dual_add_f32 v9, v9, v13 :: v_dual_add_f32 v11, v11, v55
	v_dual_mul_f32 v19, v200, v121 :: v_dual_mul_f32 v21, v202, v123
	s_wait_loadcnt_dscnt 0xb05
	v_dual_mul_f32 v13, v211, v131 :: v_dual_fma_f32 v55, v198, v118, -v59
	s_delay_alu instid0(VALU_DEP_3) | instskip(NEXT) | instid1(VALU_DEP_3)
	v_dual_fmac_f32 v17, v199, v118 :: v_dual_add_f32 v9, v9, v15
	v_dual_add_f32 v11, v11, v53 :: v_dual_fmac_f32 v19, v201, v120
	v_dual_mul_f32 v15, v213, v133 :: v_dual_fma_f32 v53, v200, v120, -v61
	s_delay_alu instid0(VALU_DEP_2) | instskip(SKIP_3) | instid1(VALU_DEP_3)
	v_dual_add_f32 v9, v9, v17 :: v_dual_add_f32 v11, v11, v55
	v_dual_mul_f32 v23, v204, v125 :: v_dual_mul_f32 v25, v206, v127
	s_wait_loadcnt_dscnt 0xa04
	v_dual_mul_f32 v17, v215, v135 :: v_dual_fma_f32 v55, v202, v122, -v63
	v_dual_fmac_f32 v21, v203, v122 :: v_dual_add_f32 v9, v9, v19
	s_delay_alu instid0(VALU_DEP_3) | instskip(SKIP_1) | instid1(VALU_DEP_2)
	v_dual_add_f32 v11, v11, v53 :: v_dual_fmac_f32 v23, v205, v124
	v_dual_mul_f32 v19, v217, v137 :: v_dual_fma_f32 v53, v204, v124, -v65
	v_dual_add_f32 v9, v9, v21 :: v_dual_add_f32 v11, v11, v55
	v_dual_mul_f32 v27, v208, v129 :: v_dual_mul_f32 v29, v210, v131
	s_wait_loadcnt_dscnt 0x903
	v_dual_mul_f32 v21, v219, v139 :: v_dual_fma_f32 v55, v206, v126, -v67
	s_delay_alu instid0(VALU_DEP_3) | instskip(NEXT) | instid1(VALU_DEP_3)
	v_dual_fmac_f32 v25, v207, v126 :: v_dual_add_f32 v9, v9, v23
	v_dual_add_f32 v11, v11, v53 :: v_dual_fmac_f32 v27, v209, v128
	v_dual_mul_f32 v23, v221, v141 :: v_dual_fma_f32 v51, v208, v128, -v51
	s_delay_alu instid0(VALU_DEP_2) | instskip(SKIP_3) | instid1(VALU_DEP_3)
	v_dual_add_f32 v9, v9, v25 :: v_dual_add_f32 v11, v11, v55
	v_dual_mul_f32 v31, v212, v133 :: v_dual_mul_f32 v33, v214, v135
	s_wait_loadcnt_dscnt 0x802
	v_dual_mul_f32 v25, v223, v143 :: v_dual_fma_f32 v13, v210, v130, -v13
	v_dual_fmac_f32 v29, v211, v130 :: v_dual_add_f32 v9, v9, v27
	v_dual_add_f32 v11, v11, v51 :: v_dual_mul_f32 v27, v225, v145
	v_fmac_f32_e32 v31, v213, v132
	s_delay_alu instid0(VALU_DEP_3) | instskip(NEXT) | instid1(VALU_DEP_3)
	v_dual_fma_f32 v15, v212, v132, -v15 :: v_dual_add_f32 v9, v9, v29
	v_add_f32_e32 v11, v11, v13
	v_dual_mul_f32 v35, v216, v137 :: v_dual_mul_f32 v37, v218, v139
	s_wait_loadcnt_dscnt 0x701
	v_dual_mul_f32 v13, v227, v147 :: v_dual_fma_f32 v17, v214, v134, -v17
	v_dual_fmac_f32 v33, v215, v134 :: v_dual_add_f32 v9, v9, v31
	v_dual_add_f32 v11, v11, v15 :: v_dual_mul_f32 v15, v229, v149
	v_fmac_f32_e32 v35, v217, v136
	s_delay_alu instid0(VALU_DEP_3) | instskip(NEXT) | instid1(VALU_DEP_3)
	v_dual_fma_f32 v19, v216, v136, -v19 :: v_dual_add_f32 v9, v9, v33
	v_add_f32_e32 v11, v11, v17
	v_dual_mul_f32 v39, v220, v141 :: v_dual_mul_f32 v41, v222, v143
	s_wait_loadcnt 0x6
	v_dual_mul_f32 v17, v191, v151 :: v_dual_fma_f32 v21, v218, v138, -v21
	v_dual_fmac_f32 v37, v219, v138 :: v_dual_add_f32 v9, v9, v35
	v_dual_add_f32 v11, v11, v19 :: v_dual_mul_f32 v19, v193, v153
	v_fmac_f32_e32 v39, v221, v140
	s_delay_alu instid0(VALU_DEP_3) | instskip(NEXT) | instid1(VALU_DEP_3)
	v_dual_fma_f32 v23, v220, v140, -v23 :: v_dual_add_f32 v9, v9, v37
	v_add_f32_e32 v11, v11, v21
	v_dual_mul_f32 v43, v224, v145 :: v_dual_mul_f32 v45, v226, v147
	s_wait_loadcnt 0x5
	v_dual_mul_f32 v21, v171, v155 :: v_dual_fma_f32 v25, v222, v142, -v25
	v_dual_fmac_f32 v41, v223, v142 :: v_dual_add_f32 v9, v9, v39
	v_dual_add_f32 v11, v11, v23 :: v_dual_mov_b32 v110, v157
	v_fmac_f32_e32 v43, v225, v144
	s_delay_alu instid0(VALU_DEP_3) | instskip(NEXT) | instid1(VALU_DEP_3)
	v_dual_fma_f32 v23, v224, v144, -v27 :: v_dual_add_f32 v9, v9, v41
	v_add_f32_e32 v11, v11, v25
	v_dual_mul_f32 v47, v228, v149 :: v_dual_mul_f32 v49, v190, v151
	s_delay_alu instid0(VALU_DEP_3) | instskip(NEXT) | instid1(VALU_DEP_3)
	v_dual_fmac_f32 v45, v227, v146 :: v_dual_add_f32 v9, v9, v43
	v_dual_fma_f32 v13, v226, v146, -v13 :: v_dual_add_f32 v11, v11, v23
	s_wait_loadcnt 0x4
	v_dual_mov_b32 v114, v161 :: v_dual_fma_f32 v15, v228, v148, -v15
	v_fmac_f32_e32 v47, v229, v148
	v_dual_add_f32 v9, v9, v45 :: v_dual_fmac_f32 v49, v191, v150
	v_add_f32_e32 v11, v11, v13
	v_dual_mul_f32 v245, v192, v153 :: v_dual_mul_f32 v247, v170, v155
	s_delay_alu instid0(VALU_DEP_3) | instskip(NEXT) | instid1(VALU_DEP_2)
	v_dual_fma_f32 v13, v190, v150, -v17 :: v_dual_add_f32 v9, v9, v47
	v_dual_add_f32 v11, v11, v15 :: v_dual_fmac_f32 v245, v193, v152
	v_fma_f32 v244, v192, v152, -v19
	v_pk_mul_f32 v[110:111], v[236:237], v[110:111] op_sel_hi:[1,0]
	s_delay_alu instid0(VALU_DEP_4)
	v_add_f32_e32 v119, v9, v49
	s_wait_loadcnt 0x3
	v_dual_add_f32 v118, v11, v13 :: v_dual_mov_b32 v120, v165
	v_pk_mul_f32 v[112:113], v[174:175], v[158:159] op_sel:[1,1] op_sel_hi:[0,1]
	v_dual_fmac_f32 v247, v171, v154 :: v_dual_fma_f32 v246, v170, v154, -v21
	v_pk_fma_f32 v[122:123], v[172:173], v[156:157], v[110:111] op_sel_hi:[1,0,1]
	s_delay_alu instid0(VALU_DEP_4)
	v_pk_add_f32 v[118:119], v[118:119], v[244:245]
	v_pk_fma_f32 v[110:111], v[172:173], v[156:157], v[110:111] neg_lo:[0,0,1] neg_hi:[0,0,1]
	v_pk_fma_f32 v[124:125], v[174:175], v[158:159], v[112:113] op_sel_hi:[1,0,1]
	v_pk_mul_f32 v[114:115], v[238:239], v[114:115] op_sel_hi:[1,0]
	v_mov_b32_e32 v111, v123
	v_pk_add_f32 v[118:119], v[118:119], v[246:247]
	v_pk_fma_f32 v[112:113], v[174:175], v[158:159], v[112:113] neg_lo:[0,0,1] neg_hi:[0,0,1]
	v_pk_mul_f32 v[116:117], v[178:179], v[162:163] op_sel:[1,1] op_sel_hi:[0,1]
	v_mov_b32_e32 v113, v125
	v_pk_fma_f32 v[124:125], v[176:177], v[160:161], v[114:115] op_sel_hi:[1,0,1]
	v_pk_add_f32 v[110:111], v[118:119], v[110:111]
	v_pk_fma_f32 v[114:115], v[176:177], v[160:161], v[114:115] neg_lo:[0,0,1] neg_hi:[0,0,1]
	v_pk_fma_f32 v[118:119], v[178:179], v[162:163], v[116:117] op_sel_hi:[1,0,1]
	v_pk_mul_f32 v[120:121], v[240:241], v[120:121] op_sel_hi:[1,0]
	v_mov_b32_e32 v115, v125
	v_pk_add_f32 v[110:111], v[110:111], v[112:113]
	v_pk_fma_f32 v[116:117], v[178:179], v[162:163], v[116:117] neg_lo:[0,0,1] neg_hi:[0,0,1]
	s_wait_loadcnt 0x2
	v_pk_mul_f32 v[122:123], v[182:183], v[166:167] op_sel:[1,1] op_sel_hi:[0,1]
	v_dual_mov_b32 v112, v169 :: v_dual_mov_b32 v117, v119
	v_pk_fma_f32 v[118:119], v[180:181], v[164:165], v[120:121] op_sel_hi:[1,0,1]
	v_pk_add_f32 v[110:111], v[110:111], v[114:115]
	v_pk_fma_f32 v[120:121], v[180:181], v[164:165], v[120:121] neg_lo:[0,0,1] neg_hi:[0,0,1]
	v_pk_fma_f32 v[114:115], v[182:183], v[166:167], v[122:123] op_sel_hi:[1,0,1]
	v_pk_mul_f32 v[112:113], v[242:243], v[112:113] op_sel_hi:[1,0]
	v_mov_b32_e32 v121, v119
	v_pk_add_f32 v[110:111], v[110:111], v[116:117]
	v_pk_fma_f32 v[116:117], v[182:183], v[166:167], v[122:123] neg_lo:[0,0,1] neg_hi:[0,0,1]
	v_mov_b32_e32 v117, v115
	v_pk_fma_f32 v[114:115], v[184:185], v[168:169], v[112:113] op_sel_hi:[1,0,1]
	s_wait_loadcnt_dscnt 0x100
	v_pk_mul_f32 v[118:119], v[234:235], v[230:231] op_sel:[1,1] op_sel_hi:[0,1]
	v_pk_add_f32 v[110:111], v[110:111], v[120:121]
	v_pk_fma_f32 v[112:113], v[184:185], v[168:169], v[112:113] neg_lo:[0,0,1] neg_hi:[0,0,1]
	v_mov_b32_e32 v113, v115
	s_delay_alu instid0(VALU_DEP_4) | instskip(NEXT) | instid1(VALU_DEP_4)
	v_pk_fma_f32 v[114:115], v[234:235], v[230:231], v[118:119] op_sel_hi:[1,0,1]
	v_pk_add_f32 v[110:111], v[110:111], v[116:117]
	v_pk_fma_f32 v[116:117], v[234:235], v[230:231], v[118:119] neg_lo:[0,0,1] neg_hi:[0,0,1]
	s_delay_alu instid0(VALU_DEP_3) | instskip(NEXT) | instid1(VALU_DEP_3)
	v_mov_b32_e32 v117, v115
	v_pk_add_f32 v[110:111], v[110:111], v[112:113]
	s_delay_alu instid0(VALU_DEP_1) | instskip(SKIP_1) | instid1(VALU_DEP_1)
	v_pk_add_f32 v[110:111], v[110:111], v[116:117]
	s_wait_loadcnt 0x0
	v_pk_add_f32 v[110:111], v[232:233], v[110:111] neg_lo:[0,1] neg_hi:[0,1]
	scratch_store_b64 off, v[110:111], off offset:176
	s_wait_xcnt 0x0
	v_cmpx_lt_u32_e32 21, v0
	s_cbranch_execz .LBB53_295
; %bb.294:
	scratch_load_b64 v[110:111], off, off offset:168
	v_mov_b64_e32 v[112:113], 0
	scratch_store_b64 off, v[112:113], off offset:168
	s_wait_loadcnt 0x0
	ds_store_b64 v1, v[110:111]
.LBB53_295:
	s_wait_xcnt 0x0
	s_or_b32 exec_lo, exec_lo, s0
	s_wait_storecnt_dscnt 0x0
	s_barrier_signal -1
	s_barrier_wait -1
	s_clause 0x10
	scratch_load_b128 v[110:113], off, off offset:176
	scratch_load_b128 v[114:117], off, off offset:192
	;; [unrolled: 1-line block ×16, first 2 shown]
	scratch_load_b64 v[238:239], off, off offset:168
	ds_load_b128 v[174:177], v7 offset:800
	ds_load_b128 v[178:181], v7 offset:816
	;; [unrolled: 1-line block ×16, first 2 shown]
	s_mov_b32 s0, exec_lo
	s_wait_dscnt 0xf
	v_dual_mov_b32 v240, v177 :: v_dual_mov_b32 v241, v176
	s_wait_dscnt 0xe
	v_dual_mov_b32 v242, v181 :: v_dual_mov_b32 v243, v180
	;; [unrolled: 2-line block ×4, first 2 shown]
	s_wait_loadcnt_dscnt 0x100b
	v_dual_mul_f32 v7, v190, v111 :: v_dual_mul_f32 v9, v192, v113
	v_dual_mul_f32 v51, v191, v111 :: v_dual_mul_f32 v53, v193, v113
	s_wait_loadcnt_dscnt 0xf0a
	v_dual_mul_f32 v11, v194, v115 :: v_dual_mul_f32 v13, v196, v117
	s_delay_alu instid0(VALU_DEP_3) | instskip(SKIP_3) | instid1(VALU_DEP_3)
	v_dual_fmac_f32 v7, v191, v110 :: v_dual_fmac_f32 v9, v193, v112
	s_wait_loadcnt_dscnt 0xd08
	v_dual_fma_f32 v51, v190, v110, -v51 :: v_dual_mul_f32 v63, v203, v123
	v_dual_mul_f32 v55, v195, v115 :: v_dual_mul_f32 v57, v197, v117
	v_dual_fma_f32 v53, v192, v112, -v53 :: v_dual_add_f32 v7, 0, v7
	s_delay_alu instid0(VALU_DEP_3) | instskip(SKIP_1) | instid1(VALU_DEP_3)
	v_dual_add_f32 v51, 0, v51 :: v_dual_mul_f32 v65, v205, v125
	v_dual_fmac_f32 v11, v195, v114 :: v_dual_fmac_f32 v13, v197, v116
	v_dual_fma_f32 v55, v194, v114, -v55 :: v_dual_add_f32 v7, v7, v9
	s_delay_alu instid0(VALU_DEP_3) | instskip(SKIP_2) | instid1(VALU_DEP_4)
	v_dual_add_f32 v9, v51, v53 :: v_dual_fma_f32 v53, v196, v116, -v57
	v_dual_mul_f32 v15, v198, v119 :: v_dual_mul_f32 v17, v200, v121
	v_dual_mul_f32 v59, v199, v119 :: v_dual_mul_f32 v61, v201, v121
	v_add_f32_e32 v7, v7, v11
	s_delay_alu instid0(VALU_DEP_3) | instskip(NEXT) | instid1(VALU_DEP_3)
	v_dual_add_f32 v9, v9, v55 :: v_dual_fmac_f32 v15, v199, v118
	v_fma_f32 v55, v198, v118, -v59
	v_dual_mul_f32 v19, v202, v123 :: v_dual_mul_f32 v21, v204, v125
	s_delay_alu instid0(VALU_DEP_4) | instskip(SKIP_2) | instid1(VALU_DEP_2)
	v_dual_add_f32 v7, v7, v13 :: v_dual_fmac_f32 v17, v201, v120
	s_wait_loadcnt_dscnt 0xb06
	v_dual_add_f32 v9, v9, v53 :: v_dual_mul_f32 v13, v211, v131
	v_dual_fma_f32 v53, v200, v120, -v61 :: v_dual_add_f32 v7, v7, v15
	v_mul_f32_e32 v15, v213, v133
	s_delay_alu instid0(VALU_DEP_3) | instskip(NEXT) | instid1(VALU_DEP_3)
	v_dual_add_f32 v9, v9, v55 :: v_dual_fmac_f32 v19, v203, v122
	v_dual_fma_f32 v55, v202, v122, -v63 :: v_dual_add_f32 v7, v7, v17
	v_fmac_f32_e32 v21, v205, v124
	s_wait_loadcnt_dscnt 0xa05
	s_delay_alu instid0(VALU_DEP_3) | instskip(SKIP_3) | instid1(VALU_DEP_3)
	v_dual_add_f32 v9, v9, v53 :: v_dual_mul_f32 v17, v215, v135
	v_dual_mul_f32 v23, v206, v127 :: v_dual_mul_f32 v25, v208, v129
	v_dual_mul_f32 v51, v207, v127 :: v_dual_mul_f32 v11, v209, v129
	v_dual_fma_f32 v53, v204, v124, -v65 :: v_dual_add_f32 v7, v7, v19
	v_dual_add_f32 v9, v9, v55 :: v_dual_fmac_f32 v23, v207, v126
	s_delay_alu instid0(VALU_DEP_3) | instskip(NEXT) | instid1(VALU_DEP_3)
	v_dual_mul_f32 v19, v217, v137 :: v_dual_fma_f32 v51, v206, v126, -v51
	v_dual_add_f32 v7, v7, v21 :: v_dual_fmac_f32 v25, v209, v128
	s_wait_loadcnt_dscnt 0x904
	s_delay_alu instid0(VALU_DEP_3) | instskip(SKIP_1) | instid1(VALU_DEP_3)
	v_dual_add_f32 v9, v9, v53 :: v_dual_mul_f32 v21, v219, v139
	v_dual_mul_f32 v27, v210, v131 :: v_dual_mul_f32 v29, v212, v133
	v_dual_fma_f32 v11, v208, v128, -v11 :: v_dual_add_f32 v7, v7, v23
	s_delay_alu instid0(VALU_DEP_2) | instskip(SKIP_1) | instid1(VALU_DEP_2)
	v_dual_add_f32 v9, v9, v51 :: v_dual_fmac_f32 v27, v211, v130
	v_dual_mul_f32 v23, v221, v141 :: v_dual_fma_f32 v13, v210, v130, -v13
	v_dual_add_f32 v7, v7, v25 :: v_dual_add_f32 v9, v9, v11
	v_dual_mul_f32 v31, v214, v135 :: v_dual_mul_f32 v33, v216, v137
	s_wait_loadcnt_dscnt 0x803
	v_dual_mul_f32 v11, v223, v143 :: v_dual_fmac_f32 v29, v213, v132
	s_delay_alu instid0(VALU_DEP_3) | instskip(NEXT) | instid1(VALU_DEP_3)
	v_dual_fma_f32 v15, v212, v132, -v15 :: v_dual_add_f32 v7, v7, v27
	v_dual_add_f32 v9, v9, v13 :: v_dual_fmac_f32 v31, v215, v134
	v_dual_mul_f32 v13, v225, v145 :: v_dual_fma_f32 v17, v214, v134, -v17
	s_delay_alu instid0(VALU_DEP_2) | instskip(SKIP_3) | instid1(VALU_DEP_3)
	v_dual_add_f32 v7, v7, v29 :: v_dual_add_f32 v9, v9, v15
	v_dual_mul_f32 v35, v218, v139 :: v_dual_mul_f32 v37, v220, v141
	s_wait_loadcnt_dscnt 0x702
	v_dual_mul_f32 v15, v227, v147 :: v_dual_fmac_f32 v33, v217, v136
	v_dual_fma_f32 v19, v216, v136, -v19 :: v_dual_add_f32 v7, v7, v31
	s_delay_alu instid0(VALU_DEP_3) | instskip(SKIP_1) | instid1(VALU_DEP_2)
	v_dual_add_f32 v9, v9, v17 :: v_dual_fmac_f32 v35, v219, v138
	v_dual_mul_f32 v17, v229, v149 :: v_dual_fma_f32 v21, v218, v138, -v21
	v_dual_add_f32 v7, v7, v33 :: v_dual_add_f32 v9, v9, v19
	v_dual_mul_f32 v39, v222, v143 :: v_dual_mul_f32 v41, v224, v145
	s_wait_loadcnt_dscnt 0x601
	v_dual_mul_f32 v19, v231, v151 :: v_dual_fmac_f32 v37, v221, v140
	s_delay_alu instid0(VALU_DEP_3) | instskip(NEXT) | instid1(VALU_DEP_3)
	v_dual_fma_f32 v23, v220, v140, -v23 :: v_dual_add_f32 v7, v7, v35
	v_dual_add_f32 v9, v9, v21 :: v_dual_fmac_f32 v39, v223, v142
	v_dual_mul_f32 v21, v233, v153 :: v_dual_fma_f32 v11, v222, v142, -v11
	s_delay_alu instid0(VALU_DEP_2) | instskip(SKIP_3) | instid1(VALU_DEP_3)
	v_dual_add_f32 v7, v7, v37 :: v_dual_add_f32 v9, v9, v23
	v_dual_mul_f32 v43, v226, v147 :: v_dual_mul_f32 v45, v228, v149
	s_wait_loadcnt_dscnt 0x500
	v_dual_mul_f32 v23, v235, v155 :: v_dual_fmac_f32 v41, v225, v144
	v_dual_fma_f32 v13, v224, v144, -v13 :: v_dual_add_f32 v7, v7, v39
	s_delay_alu instid0(VALU_DEP_3) | instskip(SKIP_1) | instid1(VALU_DEP_3)
	v_dual_add_f32 v9, v9, v11 :: v_dual_fmac_f32 v43, v227, v146
	v_dual_mul_f32 v11, v237, v157 :: v_dual_fma_f32 v15, v226, v146, -v15
	v_dual_add_f32 v7, v7, v41 :: v_dual_fmac_f32 v45, v229, v148
	s_delay_alu instid0(VALU_DEP_3) | instskip(SKIP_2) | instid1(VALU_DEP_3)
	v_dual_add_f32 v9, v9, v13 :: v_dual_fma_f32 v13, v228, v148, -v17
	v_dual_mul_f32 v47, v230, v151 :: v_dual_mul_f32 v49, v232, v153
	s_wait_loadcnt 0x4
	v_dual_add_f32 v7, v7, v43 :: v_dual_mov_b32 v112, v161
	s_delay_alu instid0(VALU_DEP_2) | instskip(NEXT) | instid1(VALU_DEP_2)
	v_dual_add_f32 v9, v9, v15 :: v_dual_fmac_f32 v47, v231, v150
	v_dual_fma_f32 v15, v230, v150, -v19 :: v_dual_add_f32 v7, v7, v45
	v_dual_mul_f32 v249, v234, v155 :: v_dual_mul_f32 v251, v236, v157
	s_delay_alu instid0(VALU_DEP_3) | instskip(NEXT) | instid1(VALU_DEP_3)
	v_dual_add_f32 v9, v9, v13 :: v_dual_fma_f32 v13, v232, v152, -v21
	v_dual_fmac_f32 v49, v233, v152 :: v_dual_add_f32 v7, v7, v47
	v_pk_mul_f32 v[110:111], v[174:175], v[158:159] op_sel:[1,1] op_sel_hi:[0,1]
	s_delay_alu instid0(VALU_DEP_3) | instskip(SKIP_3) | instid1(VALU_DEP_3)
	v_dual_add_f32 v9, v9, v15 :: v_dual_fmac_f32 v249, v235, v154
	s_wait_loadcnt 0x3
	v_dual_mov_b32 v116, v165 :: v_dual_fma_f32 v248, v234, v154, -v23
	v_dual_add_f32 v119, v7, v49 :: v_dual_fmac_f32 v251, v237, v156
	v_dual_add_f32 v118, v9, v13 :: v_dual_fma_f32 v250, v236, v156, -v11
	v_pk_fma_f32 v[120:121], v[174:175], v[158:159], v[110:111] op_sel_hi:[1,0,1]
	v_pk_mul_f32 v[112:113], v[240:241], v[112:113] op_sel_hi:[1,0]
	v_pk_fma_f32 v[110:111], v[174:175], v[158:159], v[110:111] neg_lo:[0,0,1] neg_hi:[0,0,1]
	s_delay_alu instid0(VALU_DEP_4)
	v_pk_add_f32 v[118:119], v[118:119], v[248:249]
	v_pk_mul_f32 v[114:115], v[178:179], v[162:163] op_sel:[1,1] op_sel_hi:[0,1]
	v_mov_b32_e32 v111, v121
	v_pk_fma_f32 v[120:121], v[176:177], v[160:161], v[112:113] op_sel_hi:[1,0,1]
	v_pk_fma_f32 v[112:113], v[176:177], v[160:161], v[112:113] neg_lo:[0,0,1] neg_hi:[0,0,1]
	v_pk_add_f32 v[118:119], v[118:119], v[250:251]
	v_pk_fma_f32 v[124:125], v[178:179], v[162:163], v[114:115] op_sel_hi:[1,0,1]
	v_pk_mul_f32 v[116:117], v[242:243], v[116:117] op_sel_hi:[1,0]
	v_mov_b32_e32 v113, v121
	s_wait_loadcnt 0x2
	v_pk_mul_f32 v[122:123], v[182:183], v[166:167] op_sel:[1,1] op_sel_hi:[0,1]
	v_pk_add_f32 v[110:111], v[118:119], v[110:111]
	v_mov_b32_e32 v118, v169
	v_pk_fma_f32 v[114:115], v[178:179], v[162:163], v[114:115] neg_lo:[0,0,1] neg_hi:[0,0,1]
	v_mov_b32_e32 v115, v125
	v_pk_fma_f32 v[120:121], v[180:181], v[164:165], v[116:117] op_sel_hi:[1,0,1]
	v_pk_add_f32 v[110:111], v[110:111], v[112:113]
	v_pk_fma_f32 v[112:113], v[182:183], v[166:167], v[122:123] op_sel_hi:[1,0,1]
	v_pk_mul_f32 v[118:119], v[244:245], v[118:119] op_sel_hi:[1,0]
	v_pk_fma_f32 v[116:117], v[180:181], v[164:165], v[116:117] neg_lo:[0,0,1] neg_hi:[0,0,1]
	v_mov_b32_e32 v117, v121
	v_pk_add_f32 v[110:111], v[110:111], v[114:115]
	v_pk_fma_f32 v[120:121], v[182:183], v[166:167], v[122:123] neg_lo:[0,0,1] neg_hi:[0,0,1]
	v_mov_b32_e32 v121, v113
	v_pk_fma_f32 v[112:113], v[184:185], v[168:169], v[118:119] op_sel_hi:[1,0,1]
	s_wait_loadcnt 0x1
	v_pk_mul_f32 v[114:115], v[186:187], v[170:171] op_sel:[1,1] op_sel_hi:[0,1]
	v_pk_add_f32 v[110:111], v[110:111], v[116:117]
	v_mov_b32_e32 v112, v173
	v_pk_fma_f32 v[118:119], v[184:185], v[168:169], v[118:119] neg_lo:[0,0,1] neg_hi:[0,0,1]
	v_mov_b32_e32 v119, v113
	v_pk_fma_f32 v[116:117], v[186:187], v[170:171], v[114:115] op_sel_hi:[1,0,1]
	v_pk_add_f32 v[110:111], v[110:111], v[120:121]
	v_pk_mul_f32 v[112:113], v[246:247], v[112:113] op_sel_hi:[1,0]
	v_pk_fma_f32 v[114:115], v[186:187], v[170:171], v[114:115] neg_lo:[0,0,1] neg_hi:[0,0,1]
	s_delay_alu instid0(VALU_DEP_4) | instskip(NEXT) | instid1(VALU_DEP_4)
	v_mov_b32_e32 v115, v117
	v_pk_add_f32 v[110:111], v[110:111], v[118:119]
	s_delay_alu instid0(VALU_DEP_4) | instskip(SKIP_1) | instid1(VALU_DEP_2)
	v_pk_fma_f32 v[116:117], v[188:189], v[172:173], v[112:113] op_sel_hi:[1,0,1]
	v_pk_fma_f32 v[112:113], v[188:189], v[172:173], v[112:113] neg_lo:[0,0,1] neg_hi:[0,0,1]
	v_mov_b32_e32 v113, v117
	s_delay_alu instid0(VALU_DEP_4) | instskip(NEXT) | instid1(VALU_DEP_1)
	v_pk_add_f32 v[110:111], v[110:111], v[114:115]
	v_pk_add_f32 v[110:111], v[110:111], v[112:113]
	s_wait_loadcnt 0x0
	s_delay_alu instid0(VALU_DEP_1)
	v_pk_add_f32 v[110:111], v[238:239], v[110:111] neg_lo:[0,1] neg_hi:[0,1]
	scratch_store_b64 off, v[110:111], off offset:168
	s_wait_xcnt 0x0
	v_cmpx_lt_u32_e32 20, v0
	s_cbranch_execz .LBB53_297
; %bb.296:
	scratch_load_b64 v[110:111], off, off offset:160
	v_mov_b64_e32 v[112:113], 0
	scratch_store_b64 off, v[112:113], off offset:160
	s_wait_loadcnt 0x0
	ds_store_b64 v1, v[110:111]
.LBB53_297:
	s_wait_xcnt 0x0
	s_or_b32 exec_lo, exec_lo, s0
	s_wait_storecnt_dscnt 0x0
	s_barrier_signal -1
	s_barrier_wait -1
	s_clause 0x11
	scratch_load_b128 v[110:113], off, off offset:168
	scratch_load_b128 v[114:117], off, off offset:184
	;; [unrolled: 1-line block ×16, first 2 shown]
	scratch_load_b64 v[238:239], off, off offset:424
	scratch_load_b64 v[240:241], off, off offset:160
	v_mov_b32_e32 v7, 0
	ds_load_2addr_b64 v[174:177], v7 offset0:99 offset1:100
	ds_load_2addr_b64 v[178:181], v7 offset0:101 offset1:102
	;; [unrolled: 1-line block ×16, first 2 shown]
	ds_load_b64 v[242:243], v7 offset:856
	s_mov_b32 s0, exec_lo
	s_wait_dscnt 0x10
	v_dual_mov_b32 v244, v177 :: v_dual_mov_b32 v245, v176
	s_wait_dscnt 0xd
	v_dual_mov_b32 v246, v181 :: v_dual_mov_b32 v251, v188
	v_dual_mov_b32 v247, v180 :: v_dual_mov_b32 v248, v185
	;; [unrolled: 1-line block ×3, first 2 shown]
	s_wait_loadcnt_dscnt 0x110c
	v_dual_mul_f32 v9, v190, v111 :: v_dual_mul_f32 v55, v191, v111
	v_dual_mul_f32 v57, v193, v113 :: v_dual_mul_f32 v11, v192, v113
	s_wait_loadcnt_dscnt 0x100b
	v_mul_f32_e32 v13, v194, v115
	s_wait_loadcnt_dscnt 0xe09
	v_dual_mul_f32 v67, v203, v123 :: v_dual_fma_f32 v55, v190, v110, -v55
	v_dual_fmac_f32 v9, v191, v110 :: v_dual_mul_f32 v69, v205, v125
	v_dual_mul_f32 v59, v195, v115 :: v_dual_mul_f32 v61, v197, v117
	v_dual_fmac_f32 v11, v193, v112 :: v_dual_fma_f32 v57, v192, v112, -v57
	s_delay_alu instid0(VALU_DEP_3) | instskip(SKIP_3) | instid1(VALU_DEP_3)
	v_dual_add_f32 v9, 0, v9 :: v_dual_add_f32 v55, 0, v55
	v_dual_mul_f32 v15, v196, v117 :: v_dual_mul_f32 v17, v198, v119
	s_wait_loadcnt_dscnt 0xd08
	v_dual_mul_f32 v71, v207, v127 :: v_dual_fma_f32 v59, v194, v114, -v59
	v_dual_fmac_f32 v13, v195, v114 :: v_dual_add_f32 v9, v9, v11
	s_delay_alu instid0(VALU_DEP_3) | instskip(SKIP_2) | instid1(VALU_DEP_3)
	v_dual_add_f32 v11, v55, v57 :: v_dual_fmac_f32 v15, v197, v116
	v_dual_mul_f32 v63, v199, v119 :: v_dual_mul_f32 v65, v201, v121
	v_dual_mul_f32 v55, v209, v129 :: v_dual_fma_f32 v57, v196, v116, -v61
	v_dual_add_f32 v9, v9, v13 :: v_dual_add_f32 v11, v11, v59
	v_dual_mul_f32 v19, v200, v121 :: v_dual_mul_f32 v21, v202, v123
	s_wait_loadcnt_dscnt 0xc07
	v_dual_mul_f32 v13, v211, v131 :: v_dual_fma_f32 v59, v198, v118, -v63
	s_delay_alu instid0(VALU_DEP_3) | instskip(NEXT) | instid1(VALU_DEP_3)
	v_dual_fmac_f32 v17, v199, v118 :: v_dual_add_f32 v9, v9, v15
	v_dual_add_f32 v11, v11, v57 :: v_dual_fmac_f32 v19, v201, v120
	v_dual_mul_f32 v15, v213, v133 :: v_dual_fma_f32 v57, v200, v120, -v65
	s_delay_alu instid0(VALU_DEP_2) | instskip(SKIP_3) | instid1(VALU_DEP_3)
	v_dual_add_f32 v9, v9, v17 :: v_dual_add_f32 v11, v11, v59
	v_dual_mul_f32 v23, v204, v125 :: v_dual_mul_f32 v25, v206, v127
	s_wait_loadcnt_dscnt 0xb06
	v_dual_mul_f32 v17, v215, v135 :: v_dual_fma_f32 v59, v202, v122, -v67
	v_dual_fmac_f32 v21, v203, v122 :: v_dual_add_f32 v9, v9, v19
	s_delay_alu instid0(VALU_DEP_3) | instskip(SKIP_1) | instid1(VALU_DEP_2)
	v_dual_add_f32 v11, v11, v57 :: v_dual_fmac_f32 v23, v205, v124
	v_dual_mul_f32 v19, v217, v137 :: v_dual_fma_f32 v57, v204, v124, -v69
	v_dual_add_f32 v9, v9, v21 :: v_dual_add_f32 v11, v11, v59
	v_dual_mul_f32 v27, v208, v129 :: v_dual_mul_f32 v29, v210, v131
	s_wait_loadcnt_dscnt 0xa05
	v_dual_mul_f32 v21, v219, v139 :: v_dual_fma_f32 v59, v206, v126, -v71
	s_delay_alu instid0(VALU_DEP_3) | instskip(NEXT) | instid1(VALU_DEP_3)
	v_dual_fmac_f32 v25, v207, v126 :: v_dual_add_f32 v9, v9, v23
	v_dual_add_f32 v11, v11, v57 :: v_dual_fmac_f32 v27, v209, v128
	v_dual_mul_f32 v23, v221, v141 :: v_dual_fma_f32 v55, v208, v128, -v55
	s_delay_alu instid0(VALU_DEP_2) | instskip(SKIP_3) | instid1(VALU_DEP_3)
	v_dual_add_f32 v9, v9, v25 :: v_dual_add_f32 v11, v11, v59
	v_dual_mul_f32 v31, v212, v133 :: v_dual_mul_f32 v33, v214, v135
	s_wait_loadcnt_dscnt 0x904
	v_dual_mul_f32 v25, v223, v143 :: v_dual_fma_f32 v13, v210, v130, -v13
	v_dual_fmac_f32 v29, v211, v130 :: v_dual_add_f32 v9, v9, v27
	v_dual_add_f32 v11, v11, v55 :: v_dual_mul_f32 v27, v225, v145
	v_fmac_f32_e32 v31, v213, v132
	s_delay_alu instid0(VALU_DEP_3) | instskip(NEXT) | instid1(VALU_DEP_3)
	v_dual_fma_f32 v15, v212, v132, -v15 :: v_dual_add_f32 v9, v9, v29
	v_add_f32_e32 v11, v11, v13
	v_dual_mul_f32 v35, v216, v137 :: v_dual_mul_f32 v37, v218, v139
	s_wait_loadcnt_dscnt 0x803
	v_dual_mul_f32 v13, v227, v147 :: v_dual_fma_f32 v17, v214, v134, -v17
	v_dual_fmac_f32 v33, v215, v134 :: v_dual_add_f32 v9, v9, v31
	v_dual_add_f32 v11, v11, v15 :: v_dual_mul_f32 v15, v229, v149
	v_fmac_f32_e32 v35, v217, v136
	s_delay_alu instid0(VALU_DEP_3) | instskip(NEXT) | instid1(VALU_DEP_3)
	v_dual_fma_f32 v19, v216, v136, -v19 :: v_dual_add_f32 v9, v9, v33
	v_add_f32_e32 v11, v11, v17
	;; [unrolled: 9-line block ×4, first 2 shown]
	v_dual_mul_f32 v47, v228, v149 :: v_dual_mul_f32 v49, v230, v151
	s_wait_loadcnt 0x5
	v_dual_mul_f32 v25, v175, v159 :: v_dual_fma_f32 v13, v226, v146, -v13
	v_dual_fmac_f32 v45, v227, v146 :: v_dual_add_f32 v9, v9, v43
	v_dual_add_f32 v11, v11, v27 :: v_dual_mov_b32 v110, v161
	v_fmac_f32_e32 v47, v229, v148
	s_delay_alu instid0(VALU_DEP_3) | instskip(NEXT) | instid1(VALU_DEP_3)
	v_dual_fma_f32 v15, v228, v148, -v15 :: v_dual_add_f32 v9, v9, v45
	v_add_f32_e32 v11, v11, v13
	v_dual_mul_f32 v51, v232, v153 :: v_dual_mul_f32 v53, v234, v155
	s_delay_alu instid0(VALU_DEP_3) | instskip(NEXT) | instid1(VALU_DEP_3)
	v_dual_fmac_f32 v49, v231, v150 :: v_dual_add_f32 v9, v9, v47
	v_dual_fma_f32 v13, v230, v150, -v17 :: v_dual_add_f32 v11, v11, v15
	s_wait_loadcnt 0x4
	v_dual_mov_b32 v114, v165 :: v_dual_fma_f32 v15, v232, v152, -v19
	v_fmac_f32_e32 v51, v233, v152
	v_dual_add_f32 v9, v9, v49 :: v_dual_fmac_f32 v53, v235, v154
	v_add_f32_e32 v11, v11, v13
	v_dual_mul_f32 v253, v236, v157 :: v_dual_mul_f32 v255, v174, v159
	s_delay_alu instid0(VALU_DEP_3) | instskip(NEXT) | instid1(VALU_DEP_2)
	v_dual_fma_f32 v13, v234, v154, -v21 :: v_dual_add_f32 v9, v9, v51
	v_dual_add_f32 v11, v11, v15 :: v_dual_fmac_f32 v253, v237, v156
	v_fma_f32 v252, v236, v156, -v23
	v_pk_mul_f32 v[110:111], v[244:245], v[110:111] op_sel_hi:[1,0]
	s_delay_alu instid0(VALU_DEP_4)
	v_add_f32_e32 v119, v9, v53
	s_wait_loadcnt 0x3
	v_dual_add_f32 v118, v11, v13 :: v_dual_mov_b32 v120, v169
	v_pk_mul_f32 v[112:113], v[178:179], v[162:163] op_sel:[1,1] op_sel_hi:[0,1]
	v_dual_fmac_f32 v255, v175, v158 :: v_dual_fma_f32 v254, v174, v158, -v25
	v_pk_fma_f32 v[122:123], v[176:177], v[160:161], v[110:111] op_sel_hi:[1,0,1]
	s_delay_alu instid0(VALU_DEP_4)
	v_pk_add_f32 v[118:119], v[118:119], v[252:253]
	v_pk_fma_f32 v[110:111], v[176:177], v[160:161], v[110:111] neg_lo:[0,0,1] neg_hi:[0,0,1]
	v_pk_fma_f32 v[124:125], v[178:179], v[162:163], v[112:113] op_sel_hi:[1,0,1]
	v_pk_mul_f32 v[114:115], v[246:247], v[114:115] op_sel_hi:[1,0]
	v_mov_b32_e32 v111, v123
	v_pk_add_f32 v[118:119], v[118:119], v[254:255]
	v_pk_fma_f32 v[112:113], v[178:179], v[162:163], v[112:113] neg_lo:[0,0,1] neg_hi:[0,0,1]
	v_pk_mul_f32 v[116:117], v[182:183], v[166:167] op_sel:[1,1] op_sel_hi:[0,1]
	v_mov_b32_e32 v113, v125
	v_pk_fma_f32 v[124:125], v[180:181], v[164:165], v[114:115] op_sel_hi:[1,0,1]
	v_pk_add_f32 v[110:111], v[118:119], v[110:111]
	v_pk_fma_f32 v[114:115], v[180:181], v[164:165], v[114:115] neg_lo:[0,0,1] neg_hi:[0,0,1]
	v_pk_fma_f32 v[118:119], v[182:183], v[166:167], v[116:117] op_sel_hi:[1,0,1]
	v_pk_mul_f32 v[120:121], v[248:249], v[120:121] op_sel_hi:[1,0]
	v_mov_b32_e32 v115, v125
	v_pk_add_f32 v[110:111], v[110:111], v[112:113]
	v_pk_fma_f32 v[116:117], v[182:183], v[166:167], v[116:117] neg_lo:[0,0,1] neg_hi:[0,0,1]
	s_wait_loadcnt 0x2
	v_pk_mul_f32 v[122:123], v[186:187], v[170:171] op_sel:[1,1] op_sel_hi:[0,1]
	v_dual_mov_b32 v112, v173 :: v_dual_mov_b32 v117, v119
	v_pk_fma_f32 v[118:119], v[184:185], v[168:169], v[120:121] op_sel_hi:[1,0,1]
	v_pk_add_f32 v[110:111], v[110:111], v[114:115]
	v_pk_fma_f32 v[120:121], v[184:185], v[168:169], v[120:121] neg_lo:[0,0,1] neg_hi:[0,0,1]
	v_pk_fma_f32 v[114:115], v[186:187], v[170:171], v[122:123] op_sel_hi:[1,0,1]
	v_pk_mul_f32 v[112:113], v[250:251], v[112:113] op_sel_hi:[1,0]
	v_mov_b32_e32 v121, v119
	v_pk_add_f32 v[110:111], v[110:111], v[116:117]
	v_pk_fma_f32 v[116:117], v[186:187], v[170:171], v[122:123] neg_lo:[0,0,1] neg_hi:[0,0,1]
	v_mov_b32_e32 v117, v115
	v_pk_fma_f32 v[114:115], v[188:189], v[172:173], v[112:113] op_sel_hi:[1,0,1]
	s_wait_loadcnt_dscnt 0x100
	v_pk_mul_f32 v[118:119], v[242:243], v[238:239] op_sel:[1,1] op_sel_hi:[0,1]
	v_pk_add_f32 v[110:111], v[110:111], v[120:121]
	v_pk_fma_f32 v[112:113], v[188:189], v[172:173], v[112:113] neg_lo:[0,0,1] neg_hi:[0,0,1]
	v_mov_b32_e32 v113, v115
	s_delay_alu instid0(VALU_DEP_4) | instskip(NEXT) | instid1(VALU_DEP_4)
	v_pk_fma_f32 v[114:115], v[242:243], v[238:239], v[118:119] op_sel_hi:[1,0,1]
	v_pk_add_f32 v[110:111], v[110:111], v[116:117]
	v_pk_fma_f32 v[116:117], v[242:243], v[238:239], v[118:119] neg_lo:[0,0,1] neg_hi:[0,0,1]
	s_delay_alu instid0(VALU_DEP_3) | instskip(NEXT) | instid1(VALU_DEP_3)
	v_mov_b32_e32 v117, v115
	v_pk_add_f32 v[110:111], v[110:111], v[112:113]
	s_delay_alu instid0(VALU_DEP_1) | instskip(SKIP_1) | instid1(VALU_DEP_1)
	v_pk_add_f32 v[110:111], v[110:111], v[116:117]
	s_wait_loadcnt 0x0
	v_pk_add_f32 v[110:111], v[240:241], v[110:111] neg_lo:[0,1] neg_hi:[0,1]
	scratch_store_b64 off, v[110:111], off offset:160
	s_wait_xcnt 0x0
	v_cmpx_lt_u32_e32 19, v0
	s_cbranch_execz .LBB53_299
; %bb.298:
	scratch_load_b64 v[110:111], off, off offset:152
	v_mov_b64_e32 v[112:113], 0
	scratch_store_b64 off, v[112:113], off offset:152
	s_wait_loadcnt 0x0
	ds_store_b64 v1, v[110:111]
.LBB53_299:
	s_wait_xcnt 0x0
	s_or_b32 exec_lo, exec_lo, s0
	s_wait_storecnt_dscnt 0x0
	s_barrier_signal -1
	s_barrier_wait -1
	s_clause 0x11
	scratch_load_b128 v[110:113], off, off offset:160
	scratch_load_b128 v[114:117], off, off offset:176
	;; [unrolled: 1-line block ×17, first 2 shown]
	scratch_load_b64 v[246:247], off, off offset:152
	ds_load_b128 v[178:181], v7 offset:800
	ds_load_b128 v[182:185], v7 offset:816
	;; [unrolled: 1-line block ×17, first 2 shown]
	s_mov_b32 s0, exec_lo
	s_wait_dscnt 0x10
	v_dual_mov_b32 v248, v181 :: v_dual_mov_b32 v249, v180
	s_wait_dscnt 0xf
	v_dual_mov_b32 v250, v185 :: v_dual_mov_b32 v251, v184
	;; [unrolled: 2-line block ×4, first 2 shown]
	s_wait_loadcnt_dscnt 0x110b
	v_dual_mul_f32 v7, v198, v111 :: v_dual_mul_f32 v9, v200, v113
	v_dual_mul_f32 v55, v199, v111 :: v_dual_mul_f32 v57, v201, v113
	s_wait_loadcnt_dscnt 0x100a
	v_dual_mul_f32 v11, v202, v115 :: v_dual_mul_f32 v13, v204, v117
	s_delay_alu instid0(VALU_DEP_3) | instskip(SKIP_3) | instid1(VALU_DEP_3)
	v_dual_fmac_f32 v7, v199, v110 :: v_dual_fmac_f32 v9, v201, v112
	s_wait_loadcnt_dscnt 0xe08
	v_dual_fma_f32 v55, v198, v110, -v55 :: v_dual_mul_f32 v67, v211, v123
	v_dual_mul_f32 v59, v203, v115 :: v_dual_mul_f32 v61, v205, v117
	v_dual_fma_f32 v57, v200, v112, -v57 :: v_dual_add_f32 v7, 0, v7
	s_delay_alu instid0(VALU_DEP_3) | instskip(SKIP_1) | instid1(VALU_DEP_3)
	v_dual_add_f32 v55, 0, v55 :: v_dual_mul_f32 v69, v213, v125
	v_dual_fmac_f32 v11, v203, v114 :: v_dual_fmac_f32 v13, v205, v116
	v_dual_fma_f32 v59, v202, v114, -v59 :: v_dual_add_f32 v7, v7, v9
	s_delay_alu instid0(VALU_DEP_3) | instskip(SKIP_2) | instid1(VALU_DEP_4)
	v_dual_add_f32 v9, v55, v57 :: v_dual_fma_f32 v57, v204, v116, -v61
	v_dual_mul_f32 v15, v206, v119 :: v_dual_mul_f32 v17, v208, v121
	v_dual_mul_f32 v63, v207, v119 :: v_dual_mul_f32 v65, v209, v121
	v_add_f32_e32 v7, v7, v11
	s_delay_alu instid0(VALU_DEP_3) | instskip(NEXT) | instid1(VALU_DEP_3)
	v_dual_add_f32 v9, v9, v59 :: v_dual_fmac_f32 v15, v207, v118
	v_fma_f32 v59, v206, v118, -v63
	v_dual_mul_f32 v19, v210, v123 :: v_dual_mul_f32 v21, v212, v125
	s_delay_alu instid0(VALU_DEP_4) | instskip(SKIP_2) | instid1(VALU_DEP_2)
	v_dual_add_f32 v7, v7, v13 :: v_dual_fmac_f32 v17, v209, v120
	s_wait_loadcnt_dscnt 0xc06
	v_dual_add_f32 v9, v9, v57 :: v_dual_mul_f32 v13, v219, v131
	v_dual_fma_f32 v57, v208, v120, -v65 :: v_dual_add_f32 v7, v7, v15
	v_mul_f32_e32 v15, v221, v133
	s_delay_alu instid0(VALU_DEP_3) | instskip(NEXT) | instid1(VALU_DEP_3)
	v_dual_add_f32 v9, v9, v59 :: v_dual_fmac_f32 v19, v211, v122
	v_dual_fma_f32 v59, v210, v122, -v67 :: v_dual_add_f32 v7, v7, v17
	v_fmac_f32_e32 v21, v213, v124
	s_wait_loadcnt_dscnt 0xb05
	s_delay_alu instid0(VALU_DEP_3) | instskip(SKIP_3) | instid1(VALU_DEP_3)
	v_dual_add_f32 v9, v9, v57 :: v_dual_mul_f32 v17, v223, v135
	v_dual_mul_f32 v23, v214, v127 :: v_dual_mul_f32 v25, v216, v129
	v_dual_mul_f32 v55, v215, v127 :: v_dual_mul_f32 v11, v217, v129
	v_dual_fma_f32 v57, v212, v124, -v69 :: v_dual_add_f32 v7, v7, v19
	v_dual_add_f32 v9, v9, v59 :: v_dual_fmac_f32 v23, v215, v126
	s_delay_alu instid0(VALU_DEP_3) | instskip(NEXT) | instid1(VALU_DEP_3)
	v_dual_mul_f32 v19, v225, v137 :: v_dual_fma_f32 v55, v214, v126, -v55
	v_dual_add_f32 v7, v7, v21 :: v_dual_fmac_f32 v25, v217, v128
	s_wait_loadcnt_dscnt 0xa04
	s_delay_alu instid0(VALU_DEP_3) | instskip(SKIP_1) | instid1(VALU_DEP_3)
	v_dual_add_f32 v9, v9, v57 :: v_dual_mul_f32 v21, v227, v139
	v_dual_mul_f32 v27, v218, v131 :: v_dual_mul_f32 v29, v220, v133
	v_dual_fma_f32 v11, v216, v128, -v11 :: v_dual_add_f32 v7, v7, v23
	s_delay_alu instid0(VALU_DEP_2) | instskip(SKIP_1) | instid1(VALU_DEP_2)
	v_dual_add_f32 v9, v9, v55 :: v_dual_fmac_f32 v27, v219, v130
	v_dual_mul_f32 v23, v229, v141 :: v_dual_fma_f32 v13, v218, v130, -v13
	v_dual_add_f32 v7, v7, v25 :: v_dual_add_f32 v9, v9, v11
	v_dual_mul_f32 v31, v222, v135 :: v_dual_mul_f32 v33, v224, v137
	s_wait_loadcnt_dscnt 0x903
	v_dual_mul_f32 v11, v231, v143 :: v_dual_fmac_f32 v29, v221, v132
	s_delay_alu instid0(VALU_DEP_3) | instskip(NEXT) | instid1(VALU_DEP_3)
	v_dual_fma_f32 v15, v220, v132, -v15 :: v_dual_add_f32 v7, v7, v27
	v_dual_add_f32 v9, v9, v13 :: v_dual_fmac_f32 v31, v223, v134
	v_dual_mul_f32 v13, v233, v145 :: v_dual_fma_f32 v17, v222, v134, -v17
	s_delay_alu instid0(VALU_DEP_2) | instskip(SKIP_3) | instid1(VALU_DEP_3)
	v_dual_add_f32 v7, v7, v29 :: v_dual_add_f32 v9, v9, v15
	v_dual_mul_f32 v35, v226, v139 :: v_dual_mul_f32 v37, v228, v141
	s_wait_loadcnt_dscnt 0x802
	v_dual_mul_f32 v15, v235, v147 :: v_dual_fmac_f32 v33, v225, v136
	v_dual_fma_f32 v19, v224, v136, -v19 :: v_dual_add_f32 v7, v7, v31
	s_delay_alu instid0(VALU_DEP_3) | instskip(SKIP_1) | instid1(VALU_DEP_2)
	v_dual_add_f32 v9, v9, v17 :: v_dual_fmac_f32 v35, v227, v138
	v_dual_mul_f32 v17, v237, v149 :: v_dual_fma_f32 v21, v226, v138, -v21
	v_dual_add_f32 v7, v7, v33 :: v_dual_add_f32 v9, v9, v19
	v_dual_mul_f32 v39, v230, v143 :: v_dual_mul_f32 v41, v232, v145
	s_wait_loadcnt_dscnt 0x701
	v_dual_mul_f32 v19, v239, v151 :: v_dual_fmac_f32 v37, v229, v140
	s_delay_alu instid0(VALU_DEP_3) | instskip(NEXT) | instid1(VALU_DEP_3)
	v_dual_fma_f32 v23, v228, v140, -v23 :: v_dual_add_f32 v7, v7, v35
	v_dual_add_f32 v9, v9, v21 :: v_dual_fmac_f32 v39, v231, v142
	v_dual_mul_f32 v21, v241, v153 :: v_dual_fma_f32 v11, v230, v142, -v11
	s_delay_alu instid0(VALU_DEP_2) | instskip(SKIP_3) | instid1(VALU_DEP_3)
	v_dual_add_f32 v7, v7, v37 :: v_dual_add_f32 v9, v9, v23
	v_dual_mul_f32 v43, v234, v147 :: v_dual_mul_f32 v45, v236, v149
	s_wait_loadcnt_dscnt 0x600
	v_dual_mul_f32 v23, v243, v155 :: v_dual_fmac_f32 v41, v233, v144
	v_dual_fma_f32 v13, v232, v144, -v13 :: v_dual_add_f32 v7, v7, v39
	s_delay_alu instid0(VALU_DEP_3) | instskip(SKIP_1) | instid1(VALU_DEP_3)
	v_dual_add_f32 v9, v9, v11 :: v_dual_fmac_f32 v43, v235, v146
	v_dual_mul_f32 v11, v245, v157 :: v_dual_fma_f32 v15, v234, v146, -v15
	v_dual_add_f32 v7, v7, v41 :: v_dual_fmac_f32 v45, v237, v148
	s_wait_loadcnt 0x5
	s_delay_alu instid0(VALU_DEP_3) | instskip(SKIP_1) | instid1(VALU_DEP_3)
	v_dual_add_f32 v9, v9, v13 :: v_dual_mul_f32 v13, v195, v159
	v_dual_mul_f32 v47, v238, v151 :: v_dual_mul_f32 v49, v240, v153
	v_dual_fma_f32 v17, v236, v148, -v17 :: v_dual_add_f32 v7, v7, v43
	s_delay_alu instid0(VALU_DEP_2) | instskip(SKIP_1) | instid1(VALU_DEP_3)
	v_dual_add_f32 v9, v9, v15 :: v_dual_fmac_f32 v47, v239, v150
	v_dual_mul_f32 v15, v197, v161 :: v_dual_fma_f32 v19, v238, v150, -v19
	v_dual_add_f32 v7, v7, v45 :: v_dual_fmac_f32 v49, v241, v152
	s_delay_alu instid0(VALU_DEP_3) | instskip(SKIP_2) | instid1(VALU_DEP_3)
	v_dual_add_f32 v9, v9, v17 :: v_dual_fma_f32 v17, v240, v152, -v21
	v_dual_mul_f32 v51, v242, v155 :: v_dual_mul_f32 v53, v244, v157
	s_wait_loadcnt 0x4
	v_dual_add_f32 v7, v7, v47 :: v_dual_mov_b32 v112, v165
	s_delay_alu instid0(VALU_DEP_2) | instskip(NEXT) | instid1(VALU_DEP_2)
	v_dual_add_f32 v9, v9, v19 :: v_dual_fmac_f32 v51, v243, v154
	v_dual_fma_f32 v19, v242, v154, -v23 :: v_dual_add_f32 v7, v7, v49
	s_set_vgpr_msb 64                       ;  msbs: dst=1 src0=0 src1=0 src2=0
	v_dual_mul_f32 v1 /*v257*/, v194, v159 :: v_dual_mul_f32 v3 /*v259*/, v196, v161
	s_set_vgpr_msb 0                        ;  msbs: dst=0 src0=0 src1=0 src2=0
	v_dual_add_f32 v9, v9, v17 :: v_dual_fma_f32 v11, v244, v156, -v11
	v_dual_fmac_f32 v53, v245, v156 :: v_dual_add_f32 v7, v7, v51
	v_pk_mul_f32 v[110:111], v[178:179], v[162:163] op_sel:[1,1] op_sel_hi:[0,1]
	s_delay_alu instid0(VALU_DEP_3)
	v_add_f32_e32 v9, v9, v19
	s_set_vgpr_msb 64                       ;  msbs: dst=1 src0=0 src1=0 src2=0
	v_dual_fmac_f32 v1 /*v257*/, v195, v158 :: v_dual_fmac_f32 v3 /*v259*/, v197, v160
	v_dual_fma_f32 v0 /*v256*/, v194, v158, -v13 :: v_dual_fma_f32 v2 /*v258*/, v196, v160, -v15
	s_set_vgpr_msb 0                        ;  msbs: dst=0 src0=0 src1=0 src2=0
	v_dual_add_f32 v119, v7, v53 :: v_dual_add_f32 v118, v9, v11
	v_pk_fma_f32 v[120:121], v[178:179], v[162:163], v[110:111] op_sel_hi:[1,0,1]
	v_pk_mul_f32 v[112:113], v[248:249], v[112:113] op_sel_hi:[1,0]
	v_pk_fma_f32 v[110:111], v[178:179], v[162:163], v[110:111] neg_lo:[0,0,1] neg_hi:[0,0,1]
	s_wait_loadcnt 0x3
	v_pk_mul_f32 v[114:115], v[182:183], v[166:167] op_sel:[1,1] op_sel_hi:[0,1]
	s_set_vgpr_msb 4                        ;  msbs: dst=0 src0=0 src1=1 src2=0
	v_pk_add_f32 v[118:119], v[118:119], v[0:1] /*v[256:257]*/
	v_dual_mov_b32 v116, v169 :: v_dual_mov_b32 v111, v121
	s_set_vgpr_msb 0                        ;  msbs: dst=0 src0=0 src1=0 src2=0
	v_pk_fma_f32 v[120:121], v[180:181], v[164:165], v[112:113] op_sel_hi:[1,0,1]
	v_pk_fma_f32 v[112:113], v[180:181], v[164:165], v[112:113] neg_lo:[0,0,1] neg_hi:[0,0,1]
	s_set_vgpr_msb 4                        ;  msbs: dst=0 src0=0 src1=1 src2=0
	v_pk_add_f32 v[118:119], v[118:119], v[2:3] /*v[258:259]*/
	s_set_vgpr_msb 0                        ;  msbs: dst=0 src0=0 src1=0 src2=0
	v_pk_fma_f32 v[124:125], v[182:183], v[166:167], v[114:115] op_sel_hi:[1,0,1]
	v_pk_mul_f32 v[116:117], v[250:251], v[116:117] op_sel_hi:[1,0]
	v_mov_b32_e32 v113, v121
	s_wait_loadcnt 0x2
	v_pk_mul_f32 v[122:123], v[186:187], v[170:171] op_sel:[1,1] op_sel_hi:[0,1]
	v_pk_add_f32 v[110:111], v[118:119], v[110:111]
	v_mov_b32_e32 v118, v173
	v_pk_fma_f32 v[114:115], v[182:183], v[166:167], v[114:115] neg_lo:[0,0,1] neg_hi:[0,0,1]
	v_pk_fma_f32 v[120:121], v[184:185], v[168:169], v[116:117] op_sel_hi:[1,0,1]
	v_mov_b32_e32 v115, v125
	v_pk_add_f32 v[110:111], v[110:111], v[112:113]
	v_pk_fma_f32 v[112:113], v[186:187], v[170:171], v[122:123] op_sel_hi:[1,0,1]
	v_pk_mul_f32 v[118:119], v[252:253], v[118:119] op_sel_hi:[1,0]
	v_pk_fma_f32 v[116:117], v[184:185], v[168:169], v[116:117] neg_lo:[0,0,1] neg_hi:[0,0,1]
	v_mov_b32_e32 v117, v121
	v_pk_add_f32 v[110:111], v[110:111], v[114:115]
	v_pk_fma_f32 v[120:121], v[186:187], v[170:171], v[122:123] neg_lo:[0,0,1] neg_hi:[0,0,1]
	v_mov_b32_e32 v121, v113
	v_pk_fma_f32 v[112:113], v[188:189], v[172:173], v[118:119] op_sel_hi:[1,0,1]
	s_wait_loadcnt 0x1
	v_pk_mul_f32 v[114:115], v[190:191], v[174:175] op_sel:[1,1] op_sel_hi:[0,1]
	v_pk_add_f32 v[110:111], v[110:111], v[116:117]
	v_mov_b32_e32 v112, v177
	v_pk_fma_f32 v[118:119], v[188:189], v[172:173], v[118:119] neg_lo:[0,0,1] neg_hi:[0,0,1]
	s_delay_alu instid0(VALU_DEP_4)
	v_pk_fma_f32 v[116:117], v[190:191], v[174:175], v[114:115] op_sel_hi:[1,0,1]
	v_mov_b32_e32 v119, v113
	v_pk_add_f32 v[110:111], v[110:111], v[120:121]
	v_pk_mul_f32 v[112:113], v[254:255], v[112:113] op_sel_hi:[1,0]
	v_pk_fma_f32 v[114:115], v[190:191], v[174:175], v[114:115] neg_lo:[0,0,1] neg_hi:[0,0,1]
	v_mov_b32_e32 v115, v117
	s_delay_alu instid0(VALU_DEP_4) | instskip(NEXT) | instid1(VALU_DEP_4)
	v_pk_add_f32 v[110:111], v[110:111], v[118:119]
	v_pk_fma_f32 v[116:117], v[192:193], v[176:177], v[112:113] op_sel_hi:[1,0,1]
	v_pk_fma_f32 v[112:113], v[192:193], v[176:177], v[112:113] neg_lo:[0,0,1] neg_hi:[0,0,1]
	s_delay_alu instid0(VALU_DEP_3) | instskip(NEXT) | instid1(VALU_DEP_3)
	v_pk_add_f32 v[110:111], v[110:111], v[114:115]
	v_mov_b32_e32 v113, v117
	s_delay_alu instid0(VALU_DEP_1) | instskip(SKIP_1) | instid1(VALU_DEP_1)
	v_pk_add_f32 v[110:111], v[110:111], v[112:113]
	s_wait_loadcnt 0x0
	v_pk_add_f32 v[110:111], v[246:247], v[110:111] neg_lo:[0,1] neg_hi:[0,1]
	scratch_store_b64 off, v[110:111], off offset:152
	s_wait_xcnt 0x0
	v_cmpx_lt_u32_e32 18, v0
	s_cbranch_execz .LBB53_301
; %bb.300:
	scratch_load_b64 v[110:111], off, off offset:144
	v_mov_b64_e32 v[112:113], 0
	scratch_store_b64 off, v[112:113], off offset:144
	s_wait_loadcnt 0x0
	ds_store_b64 v1, v[110:111]
.LBB53_301:
	s_wait_xcnt 0x0
	s_or_b32 exec_lo, exec_lo, s0
	s_wait_storecnt_dscnt 0x0
	s_barrier_signal -1
	s_barrier_wait -1
	s_clause 0x12
	scratch_load_b128 v[110:113], off, off offset:152
	scratch_load_b128 v[114:117], off, off offset:168
	;; [unrolled: 1-line block ×17, first 2 shown]
	scratch_load_b64 v[246:247], off, off offset:424
	scratch_load_b64 v[248:249], off, off offset:144
	v_mov_b32_e32 v7, 0
	ds_load_2addr_b64 v[178:181], v7 offset0:99 offset1:100
	ds_load_2addr_b64 v[182:185], v7 offset0:101 offset1:102
	;; [unrolled: 1-line block ×17, first 2 shown]
	ds_load_b64 v[250:251], v7 offset:856
	s_mov_b32 s0, exec_lo
	s_wait_dscnt 0x10
	v_dual_mov_b32 v252, v181 :: v_dual_mov_b32 v255, v184
	v_dual_mov_b32 v253, v180 :: v_dual_mov_b32 v254, v185
	s_wait_dscnt 0xf
	s_set_vgpr_msb 64                       ;  msbs: dst=1 src0=0 src1=0 src2=0
	v_dual_mov_b32 v0 /*v256*/, v189 :: v_dual_mov_b32 v1 /*v257*/, v188
	s_wait_dscnt 0xd
	v_dual_mov_b32 v2 /*v258*/, v197 :: v_dual_mov_b32 v3 /*v259*/, v196
	s_wait_loadcnt_dscnt 0x120c
	s_set_vgpr_msb 0                        ;  msbs: dst=0 src0=0 src1=0 src2=0
	v_dual_mul_f32 v9, v198, v111 :: v_dual_mul_f32 v59, v199, v111
	v_dual_mul_f32 v61, v201, v113 :: v_dual_mul_f32 v11, v200, v113
	s_wait_loadcnt_dscnt 0x110b
	v_mul_f32_e32 v13, v202, v115
	s_wait_loadcnt_dscnt 0xf09
	v_dual_mul_f32 v71, v211, v123 :: v_dual_fma_f32 v59, v198, v110, -v59
	v_dual_fmac_f32 v9, v199, v110 :: v_dual_mul_f32 v73, v213, v125
	v_dual_mul_f32 v63, v203, v115 :: v_dual_mul_f32 v65, v205, v117
	v_dual_fmac_f32 v11, v201, v112 :: v_dual_fma_f32 v61, v200, v112, -v61
	s_delay_alu instid0(VALU_DEP_3) | instskip(SKIP_3) | instid1(VALU_DEP_3)
	v_dual_add_f32 v9, 0, v9 :: v_dual_add_f32 v59, 0, v59
	v_dual_mul_f32 v15, v204, v117 :: v_dual_mul_f32 v17, v206, v119
	s_wait_loadcnt_dscnt 0xe08
	v_dual_mul_f32 v75, v215, v127 :: v_dual_fma_f32 v63, v202, v114, -v63
	v_dual_fmac_f32 v13, v203, v114 :: v_dual_add_f32 v9, v9, v11
	s_delay_alu instid0(VALU_DEP_3) | instskip(SKIP_2) | instid1(VALU_DEP_3)
	v_dual_add_f32 v11, v59, v61 :: v_dual_fmac_f32 v15, v205, v116
	v_dual_mul_f32 v67, v207, v119 :: v_dual_mul_f32 v69, v209, v121
	v_dual_mul_f32 v59, v217, v129 :: v_dual_fma_f32 v61, v204, v116, -v65
	v_dual_add_f32 v9, v9, v13 :: v_dual_add_f32 v11, v11, v63
	v_dual_mul_f32 v19, v208, v121 :: v_dual_mul_f32 v21, v210, v123
	s_wait_loadcnt_dscnt 0xd07
	v_dual_mul_f32 v13, v219, v131 :: v_dual_fma_f32 v63, v206, v118, -v67
	s_delay_alu instid0(VALU_DEP_3) | instskip(NEXT) | instid1(VALU_DEP_3)
	v_dual_fmac_f32 v17, v207, v118 :: v_dual_add_f32 v9, v9, v15
	v_dual_add_f32 v11, v11, v61 :: v_dual_fmac_f32 v19, v209, v120
	v_dual_mul_f32 v15, v221, v133 :: v_dual_fma_f32 v61, v208, v120, -v69
	s_delay_alu instid0(VALU_DEP_2) | instskip(SKIP_3) | instid1(VALU_DEP_3)
	v_dual_add_f32 v9, v9, v17 :: v_dual_add_f32 v11, v11, v63
	v_dual_mul_f32 v23, v212, v125 :: v_dual_mul_f32 v25, v214, v127
	s_wait_loadcnt_dscnt 0xc06
	v_dual_mul_f32 v17, v223, v135 :: v_dual_fma_f32 v63, v210, v122, -v71
	v_dual_fmac_f32 v21, v211, v122 :: v_dual_add_f32 v9, v9, v19
	s_delay_alu instid0(VALU_DEP_3) | instskip(SKIP_1) | instid1(VALU_DEP_2)
	v_dual_add_f32 v11, v11, v61 :: v_dual_fmac_f32 v23, v213, v124
	v_dual_mul_f32 v19, v225, v137 :: v_dual_fma_f32 v61, v212, v124, -v73
	v_dual_add_f32 v9, v9, v21 :: v_dual_add_f32 v11, v11, v63
	v_dual_mul_f32 v27, v216, v129 :: v_dual_mul_f32 v29, v218, v131
	s_wait_loadcnt_dscnt 0xb05
	v_dual_mul_f32 v21, v227, v139 :: v_dual_fma_f32 v63, v214, v126, -v75
	s_delay_alu instid0(VALU_DEP_3) | instskip(NEXT) | instid1(VALU_DEP_3)
	v_dual_fmac_f32 v25, v215, v126 :: v_dual_add_f32 v9, v9, v23
	v_dual_add_f32 v11, v11, v61 :: v_dual_fmac_f32 v27, v217, v128
	v_dual_mul_f32 v23, v229, v141 :: v_dual_fma_f32 v59, v216, v128, -v59
	s_delay_alu instid0(VALU_DEP_2) | instskip(SKIP_3) | instid1(VALU_DEP_3)
	v_dual_add_f32 v9, v9, v25 :: v_dual_add_f32 v11, v11, v63
	v_dual_mul_f32 v31, v220, v133 :: v_dual_mul_f32 v33, v222, v135
	s_wait_loadcnt_dscnt 0xa04
	v_dual_mul_f32 v25, v231, v143 :: v_dual_fma_f32 v13, v218, v130, -v13
	v_dual_fmac_f32 v29, v219, v130 :: v_dual_add_f32 v9, v9, v27
	v_dual_add_f32 v11, v11, v59 :: v_dual_mul_f32 v27, v233, v145
	v_fmac_f32_e32 v31, v221, v132
	s_delay_alu instid0(VALU_DEP_3) | instskip(NEXT) | instid1(VALU_DEP_3)
	v_dual_fma_f32 v15, v220, v132, -v15 :: v_dual_add_f32 v9, v9, v29
	v_add_f32_e32 v11, v11, v13
	v_dual_mul_f32 v35, v224, v137 :: v_dual_mul_f32 v37, v226, v139
	s_wait_loadcnt_dscnt 0x903
	v_dual_mul_f32 v13, v235, v147 :: v_dual_fma_f32 v17, v222, v134, -v17
	v_dual_fmac_f32 v33, v223, v134 :: v_dual_add_f32 v9, v9, v31
	v_dual_add_f32 v11, v11, v15 :: v_dual_mul_f32 v15, v237, v149
	v_fmac_f32_e32 v35, v225, v136
	s_delay_alu instid0(VALU_DEP_3) | instskip(NEXT) | instid1(VALU_DEP_3)
	v_dual_fma_f32 v19, v224, v136, -v19 :: v_dual_add_f32 v9, v9, v33
	v_add_f32_e32 v11, v11, v17
	;; [unrolled: 9-line block ×4, first 2 shown]
	v_dual_mul_f32 v47, v236, v149 :: v_dual_mul_f32 v49, v238, v151
	s_wait_loadcnt 0x6
	v_dual_mul_f32 v25, v191, v159 :: v_dual_fma_f32 v13, v234, v146, -v13
	v_dual_fmac_f32 v45, v235, v146 :: v_dual_add_f32 v9, v9, v43
	v_dual_add_f32 v11, v11, v27 :: v_dual_mul_f32 v27, v193, v161
	v_fmac_f32_e32 v47, v237, v148
	s_delay_alu instid0(VALU_DEP_3) | instskip(NEXT) | instid1(VALU_DEP_3)
	v_dual_fma_f32 v15, v236, v148, -v15 :: v_dual_add_f32 v9, v9, v45
	v_add_f32_e32 v11, v11, v13
	v_dual_mul_f32 v51, v240, v153 :: v_dual_mul_f32 v53, v242, v155
	s_wait_loadcnt 0x5
	v_dual_mul_f32 v13, v179, v163 :: v_dual_fma_f32 v17, v238, v150, -v17
	v_dual_fmac_f32 v49, v239, v150 :: v_dual_add_f32 v9, v9, v47
	v_dual_add_f32 v11, v11, v15 :: v_dual_mov_b32 v110, v165
	v_fmac_f32_e32 v51, v241, v152
	s_delay_alu instid0(VALU_DEP_3) | instskip(NEXT) | instid1(VALU_DEP_3)
	v_dual_fma_f32 v15, v240, v152, -v19 :: v_dual_add_f32 v9, v9, v49
	v_add_f32_e32 v11, v11, v17
	v_dual_mul_f32 v55, v244, v157 :: v_dual_mul_f32 v57, v190, v159
	s_delay_alu instid0(VALU_DEP_3) | instskip(NEXT) | instid1(VALU_DEP_3)
	v_dual_fmac_f32 v53, v243, v154 :: v_dual_add_f32 v9, v9, v51
	v_dual_fma_f32 v17, v242, v154, -v21 :: v_dual_add_f32 v11, v11, v15
	s_wait_loadcnt 0x4
	v_dual_mov_b32 v114, v169 :: v_dual_fma_f32 v15, v244, v156, -v23
	v_fmac_f32_e32 v55, v245, v156
	v_dual_add_f32 v9, v9, v53 :: v_dual_fmac_f32 v57, v191, v158
	v_add_f32_e32 v11, v11, v17
	s_set_vgpr_msb 64                       ;  msbs: dst=1 src0=0 src1=0 src2=0
	v_dual_mul_f32 v5 /*v261*/, v192, v161 :: v_dual_mul_f32 v7 /*v263*/, v178, v163
	s_set_vgpr_msb 0                        ;  msbs: dst=0 src0=0 src1=0 src2=0
	v_dual_fma_f32 v17, v190, v158, -v25 :: v_dual_add_f32 v9, v9, v55
	v_add_f32_e32 v11, v11, v15
	s_set_vgpr_msb 64                       ;  msbs: dst=1 src0=0 src1=0 src2=0
	v_dual_fmac_f32 v5 /*v261*/, v193, v160 :: v_dual_fmac_f32 v7 /*v263*/, v179, v162
	v_dual_fma_f32 v4 /*v260*/, v192, v160, -v27 :: v_dual_fma_f32 v6 /*v262*/, v178, v162, -v13
	s_set_vgpr_msb 0                        ;  msbs: dst=0 src0=0 src1=0 src2=0
	v_pk_mul_f32 v[110:111], v[252:253], v[110:111] op_sel_hi:[1,0]
	v_add_f32_e32 v119, v9, v57
	s_wait_loadcnt 0x3
	v_dual_add_f32 v118, v11, v17 :: v_dual_mov_b32 v120, v173
	v_pk_mul_f32 v[112:113], v[182:183], v[166:167] op_sel:[1,1] op_sel_hi:[0,1]
	v_pk_fma_f32 v[122:123], v[180:181], v[164:165], v[110:111] op_sel_hi:[1,0,1]
	v_pk_fma_f32 v[110:111], v[180:181], v[164:165], v[110:111] neg_lo:[0,0,1] neg_hi:[0,0,1]
	s_set_vgpr_msb 4                        ;  msbs: dst=0 src0=0 src1=1 src2=0
	v_pk_add_f32 v[118:119], v[118:119], v[4:5] /*v[260:261]*/
	s_set_vgpr_msb 0                        ;  msbs: dst=0 src0=0 src1=0 src2=0
	v_pk_mul_f32 v[114:115], v[254:255], v[114:115] op_sel_hi:[1,0]
	v_pk_fma_f32 v[124:125], v[182:183], v[166:167], v[112:113] op_sel_hi:[1,0,1]
	v_mov_b32_e32 v111, v123
	v_pk_fma_f32 v[112:113], v[182:183], v[166:167], v[112:113] neg_lo:[0,0,1] neg_hi:[0,0,1]
	s_set_vgpr_msb 4                        ;  msbs: dst=0 src0=0 src1=1 src2=0
	v_pk_add_f32 v[118:119], v[118:119], v[6:7] /*v[262:263]*/
	s_set_vgpr_msb 0                        ;  msbs: dst=0 src0=0 src1=0 src2=0
	v_pk_mul_f32 v[116:117], v[186:187], v[170:171] op_sel:[1,1] op_sel_hi:[0,1]
	v_mov_b32_e32 v113, v125
	v_pk_fma_f32 v[124:125], v[184:185], v[168:169], v[114:115] op_sel_hi:[1,0,1]
	v_pk_fma_f32 v[114:115], v[184:185], v[168:169], v[114:115] neg_lo:[0,0,1] neg_hi:[0,0,1]
	v_pk_add_f32 v[110:111], v[118:119], v[110:111]
	v_pk_fma_f32 v[118:119], v[186:187], v[170:171], v[116:117] op_sel_hi:[1,0,1]
	s_set_vgpr_msb 1                        ;  msbs: dst=0 src0=1 src1=0 src2=0
	v_pk_mul_f32 v[120:121], v[0:1] /*v[256:257]*/, v[120:121] op_sel_hi:[1,0]
	s_set_vgpr_msb 0                        ;  msbs: dst=0 src0=0 src1=0 src2=0
	v_mov_b32_e32 v115, v125
	v_pk_fma_f32 v[116:117], v[186:187], v[170:171], v[116:117] neg_lo:[0,0,1] neg_hi:[0,0,1]
	v_pk_add_f32 v[110:111], v[110:111], v[112:113]
	s_wait_loadcnt 0x2
	v_pk_mul_f32 v[122:123], v[194:195], v[174:175] op_sel:[1,1] op_sel_hi:[0,1]
	v_dual_mov_b32 v112, v177 :: v_dual_mov_b32 v117, v119
	v_pk_fma_f32 v[118:119], v[188:189], v[172:173], v[120:121] op_sel_hi:[1,0,1]
	v_pk_add_f32 v[110:111], v[110:111], v[114:115]
	v_pk_fma_f32 v[120:121], v[188:189], v[172:173], v[120:121] neg_lo:[0,0,1] neg_hi:[0,0,1]
	v_pk_fma_f32 v[114:115], v[194:195], v[174:175], v[122:123] op_sel_hi:[1,0,1]
	s_set_vgpr_msb 1                        ;  msbs: dst=0 src0=1 src1=0 src2=0
	v_pk_mul_f32 v[112:113], v[2:3] /*v[258:259]*/, v[112:113] op_sel_hi:[1,0]
	s_set_vgpr_msb 0                        ;  msbs: dst=0 src0=0 src1=0 src2=0
	v_mov_b32_e32 v121, v119
	v_pk_add_f32 v[110:111], v[110:111], v[116:117]
	v_pk_fma_f32 v[116:117], v[194:195], v[174:175], v[122:123] neg_lo:[0,0,1] neg_hi:[0,0,1]
	v_mov_b32_e32 v117, v115
	v_pk_fma_f32 v[114:115], v[196:197], v[176:177], v[112:113] op_sel_hi:[1,0,1]
	s_wait_loadcnt_dscnt 0x100
	v_pk_mul_f32 v[118:119], v[250:251], v[246:247] op_sel:[1,1] op_sel_hi:[0,1]
	v_pk_add_f32 v[110:111], v[110:111], v[120:121]
	v_pk_fma_f32 v[112:113], v[196:197], v[176:177], v[112:113] neg_lo:[0,0,1] neg_hi:[0,0,1]
	v_mov_b32_e32 v113, v115
	s_delay_alu instid0(VALU_DEP_4) | instskip(NEXT) | instid1(VALU_DEP_4)
	v_pk_fma_f32 v[114:115], v[250:251], v[246:247], v[118:119] op_sel_hi:[1,0,1]
	v_pk_add_f32 v[110:111], v[110:111], v[116:117]
	v_pk_fma_f32 v[116:117], v[250:251], v[246:247], v[118:119] neg_lo:[0,0,1] neg_hi:[0,0,1]
	s_delay_alu instid0(VALU_DEP_3) | instskip(NEXT) | instid1(VALU_DEP_3)
	v_mov_b32_e32 v117, v115
	v_pk_add_f32 v[110:111], v[110:111], v[112:113]
	s_delay_alu instid0(VALU_DEP_1) | instskip(SKIP_1) | instid1(VALU_DEP_1)
	v_pk_add_f32 v[110:111], v[110:111], v[116:117]
	s_wait_loadcnt 0x0
	v_pk_add_f32 v[110:111], v[248:249], v[110:111] neg_lo:[0,1] neg_hi:[0,1]
	scratch_store_b64 off, v[110:111], off offset:144
	s_wait_xcnt 0x0
	v_cmpx_lt_u32_e32 17, v0
	s_cbranch_execz .LBB53_303
; %bb.302:
	scratch_load_b64 v[110:111], off, off offset:136
	v_mov_b64_e32 v[112:113], 0
	scratch_store_b64 off, v[112:113], off offset:136
	s_wait_loadcnt 0x0
	ds_store_b64 v1, v[110:111]
.LBB53_303:
	s_wait_xcnt 0x0
	s_or_b32 exec_lo, exec_lo, s0
	s_wait_storecnt_dscnt 0x0
	s_barrier_signal -1
	s_barrier_wait -1
	s_clause 0x12
	scratch_load_b128 v[110:113], off, off offset:144
	scratch_load_b128 v[114:117], off, off offset:160
	;; [unrolled: 1-line block ×18, first 2 shown]
	scratch_load_b64 v[254:255], off, off offset:136
	ds_load_b128 v[182:185], v7 offset:800
	ds_load_b128 v[186:189], v7 offset:816
	;; [unrolled: 1-line block ×18, first 2 shown]
	s_mov_b32 s0, exec_lo
	s_wait_dscnt 0x11
	s_set_vgpr_msb 64                       ;  msbs: dst=1 src0=0 src1=0 src2=0
	v_dual_mov_b32 v0 /*v256*/, v185 :: v_dual_mov_b32 v1 /*v257*/, v184
	s_wait_dscnt 0x10
	v_dual_mov_b32 v2 /*v258*/, v189 :: v_dual_mov_b32 v3 /*v259*/, v188
	s_wait_dscnt 0xf
	;; [unrolled: 2-line block ×3, first 2 shown]
	v_dual_mov_b32 v6 /*v262*/, v197 :: v_dual_mov_b32 v7 /*v263*/, v196
	s_wait_loadcnt_dscnt 0x120d
	s_set_vgpr_msb 0                        ;  msbs: dst=0 src0=0 src1=0 src2=0
	v_dual_mul_f32 v7, v198, v111 :: v_dual_mul_f32 v9, v200, v113
	v_dual_mul_f32 v59, v199, v111 :: v_dual_mul_f32 v61, v201, v113
	s_wait_loadcnt_dscnt 0x110c
	v_dual_mul_f32 v11, v202, v115 :: v_dual_mul_f32 v13, v204, v117
	s_delay_alu instid0(VALU_DEP_3) | instskip(SKIP_3) | instid1(VALU_DEP_3)
	v_dual_fmac_f32 v7, v199, v110 :: v_dual_fmac_f32 v9, v201, v112
	s_wait_loadcnt_dscnt 0xf0a
	v_dual_fma_f32 v59, v198, v110, -v59 :: v_dual_mul_f32 v71, v211, v123
	v_dual_mul_f32 v63, v203, v115 :: v_dual_mul_f32 v65, v205, v117
	v_dual_fma_f32 v61, v200, v112, -v61 :: v_dual_add_f32 v7, 0, v7
	s_delay_alu instid0(VALU_DEP_3) | instskip(SKIP_1) | instid1(VALU_DEP_3)
	v_dual_add_f32 v59, 0, v59 :: v_dual_mul_f32 v73, v213, v125
	v_dual_fmac_f32 v11, v203, v114 :: v_dual_fmac_f32 v13, v205, v116
	v_dual_fma_f32 v63, v202, v114, -v63 :: v_dual_add_f32 v7, v7, v9
	s_delay_alu instid0(VALU_DEP_3) | instskip(SKIP_2) | instid1(VALU_DEP_4)
	v_dual_add_f32 v9, v59, v61 :: v_dual_fma_f32 v61, v204, v116, -v65
	v_dual_mul_f32 v15, v206, v119 :: v_dual_mul_f32 v17, v208, v121
	v_dual_mul_f32 v67, v207, v119 :: v_dual_mul_f32 v69, v209, v121
	v_add_f32_e32 v7, v7, v11
	s_delay_alu instid0(VALU_DEP_3) | instskip(NEXT) | instid1(VALU_DEP_3)
	v_dual_add_f32 v9, v9, v63 :: v_dual_fmac_f32 v15, v207, v118
	v_fma_f32 v63, v206, v118, -v67
	v_dual_mul_f32 v19, v210, v123 :: v_dual_mul_f32 v21, v212, v125
	s_delay_alu instid0(VALU_DEP_4) | instskip(SKIP_2) | instid1(VALU_DEP_2)
	v_dual_add_f32 v7, v7, v13 :: v_dual_fmac_f32 v17, v209, v120
	s_wait_loadcnt_dscnt 0xd08
	v_dual_add_f32 v9, v9, v61 :: v_dual_mul_f32 v13, v219, v131
	v_dual_fma_f32 v61, v208, v120, -v69 :: v_dual_add_f32 v7, v7, v15
	v_mul_f32_e32 v15, v221, v133
	s_delay_alu instid0(VALU_DEP_3) | instskip(NEXT) | instid1(VALU_DEP_3)
	v_dual_add_f32 v9, v9, v63 :: v_dual_fmac_f32 v19, v211, v122
	v_dual_fma_f32 v63, v210, v122, -v71 :: v_dual_add_f32 v7, v7, v17
	v_fmac_f32_e32 v21, v213, v124
	s_wait_loadcnt_dscnt 0xc07
	s_delay_alu instid0(VALU_DEP_3) | instskip(SKIP_3) | instid1(VALU_DEP_3)
	v_dual_add_f32 v9, v9, v61 :: v_dual_mul_f32 v17, v223, v135
	v_dual_mul_f32 v23, v214, v127 :: v_dual_mul_f32 v25, v216, v129
	v_dual_mul_f32 v59, v215, v127 :: v_dual_mul_f32 v11, v217, v129
	v_dual_fma_f32 v61, v212, v124, -v73 :: v_dual_add_f32 v7, v7, v19
	v_dual_add_f32 v9, v9, v63 :: v_dual_fmac_f32 v23, v215, v126
	s_delay_alu instid0(VALU_DEP_3) | instskip(NEXT) | instid1(VALU_DEP_3)
	v_dual_mul_f32 v19, v225, v137 :: v_dual_fma_f32 v59, v214, v126, -v59
	v_dual_add_f32 v7, v7, v21 :: v_dual_fmac_f32 v25, v217, v128
	s_wait_loadcnt_dscnt 0xb06
	s_delay_alu instid0(VALU_DEP_3) | instskip(SKIP_1) | instid1(VALU_DEP_3)
	v_dual_add_f32 v9, v9, v61 :: v_dual_mul_f32 v21, v227, v139
	v_dual_mul_f32 v27, v218, v131 :: v_dual_mul_f32 v29, v220, v133
	v_dual_fma_f32 v11, v216, v128, -v11 :: v_dual_add_f32 v7, v7, v23
	s_delay_alu instid0(VALU_DEP_2) | instskip(SKIP_1) | instid1(VALU_DEP_2)
	v_dual_add_f32 v9, v9, v59 :: v_dual_fmac_f32 v27, v219, v130
	v_dual_mul_f32 v23, v229, v141 :: v_dual_fma_f32 v13, v218, v130, -v13
	v_dual_add_f32 v7, v7, v25 :: v_dual_add_f32 v9, v9, v11
	v_dual_mul_f32 v31, v222, v135 :: v_dual_mul_f32 v33, v224, v137
	s_wait_loadcnt_dscnt 0xa05
	v_dual_mul_f32 v11, v231, v143 :: v_dual_fmac_f32 v29, v221, v132
	s_delay_alu instid0(VALU_DEP_3) | instskip(NEXT) | instid1(VALU_DEP_3)
	v_dual_fma_f32 v15, v220, v132, -v15 :: v_dual_add_f32 v7, v7, v27
	v_dual_add_f32 v9, v9, v13 :: v_dual_fmac_f32 v31, v223, v134
	v_dual_mul_f32 v13, v233, v145 :: v_dual_fma_f32 v17, v222, v134, -v17
	s_delay_alu instid0(VALU_DEP_2) | instskip(SKIP_3) | instid1(VALU_DEP_3)
	v_dual_add_f32 v7, v7, v29 :: v_dual_add_f32 v9, v9, v15
	v_dual_mul_f32 v35, v226, v139 :: v_dual_mul_f32 v37, v228, v141
	s_wait_loadcnt_dscnt 0x904
	v_dual_mul_f32 v15, v235, v147 :: v_dual_fmac_f32 v33, v225, v136
	v_dual_fma_f32 v19, v224, v136, -v19 :: v_dual_add_f32 v7, v7, v31
	s_delay_alu instid0(VALU_DEP_3) | instskip(SKIP_1) | instid1(VALU_DEP_2)
	v_dual_add_f32 v9, v9, v17 :: v_dual_fmac_f32 v35, v227, v138
	v_dual_mul_f32 v17, v237, v149 :: v_dual_fma_f32 v21, v226, v138, -v21
	v_dual_add_f32 v7, v7, v33 :: v_dual_add_f32 v9, v9, v19
	v_dual_mul_f32 v39, v230, v143 :: v_dual_mul_f32 v41, v232, v145
	s_wait_loadcnt_dscnt 0x803
	v_dual_mul_f32 v19, v239, v151 :: v_dual_fmac_f32 v37, v229, v140
	s_delay_alu instid0(VALU_DEP_3) | instskip(NEXT) | instid1(VALU_DEP_3)
	v_dual_fma_f32 v23, v228, v140, -v23 :: v_dual_add_f32 v7, v7, v35
	v_dual_add_f32 v9, v9, v21 :: v_dual_fmac_f32 v39, v231, v142
	v_dual_mul_f32 v21, v241, v153 :: v_dual_fma_f32 v11, v230, v142, -v11
	s_delay_alu instid0(VALU_DEP_2) | instskip(SKIP_3) | instid1(VALU_DEP_3)
	v_dual_add_f32 v7, v7, v37 :: v_dual_add_f32 v9, v9, v23
	v_dual_mul_f32 v43, v234, v147 :: v_dual_mul_f32 v45, v236, v149
	s_wait_loadcnt_dscnt 0x702
	v_dual_mul_f32 v23, v243, v155 :: v_dual_fmac_f32 v41, v233, v144
	v_dual_fma_f32 v13, v232, v144, -v13 :: v_dual_add_f32 v7, v7, v39
	s_delay_alu instid0(VALU_DEP_3) | instskip(SKIP_1) | instid1(VALU_DEP_3)
	v_dual_add_f32 v9, v9, v11 :: v_dual_fmac_f32 v43, v235, v146
	v_dual_mul_f32 v11, v245, v157 :: v_dual_fma_f32 v15, v234, v146, -v15
	v_dual_add_f32 v7, v7, v41 :: v_dual_fmac_f32 v45, v237, v148
	s_wait_loadcnt_dscnt 0x601
	s_delay_alu instid0(VALU_DEP_3) | instskip(SKIP_1) | instid1(VALU_DEP_3)
	v_dual_add_f32 v9, v9, v13 :: v_dual_mul_f32 v13, v247, v159
	v_dual_mul_f32 v47, v238, v151 :: v_dual_mul_f32 v49, v240, v153
	v_dual_fma_f32 v17, v236, v148, -v17 :: v_dual_add_f32 v7, v7, v43
	s_delay_alu instid0(VALU_DEP_2) | instskip(SKIP_1) | instid1(VALU_DEP_3)
	v_dual_add_f32 v9, v9, v15 :: v_dual_fmac_f32 v47, v239, v150
	v_dual_mul_f32 v15, v249, v161 :: v_dual_fma_f32 v19, v238, v150, -v19
	v_dual_add_f32 v7, v7, v45 :: v_dual_fmac_f32 v49, v241, v152
	s_wait_loadcnt_dscnt 0x500
	s_delay_alu instid0(VALU_DEP_3) | instskip(SKIP_1) | instid1(VALU_DEP_3)
	v_dual_add_f32 v9, v9, v17 :: v_dual_mul_f32 v17, v251, v163
	v_dual_mul_f32 v51, v242, v155 :: v_dual_mul_f32 v53, v244, v157
	v_dual_fma_f32 v21, v240, v152, -v21 :: v_dual_add_f32 v7, v7, v47
	s_delay_alu instid0(VALU_DEP_2) | instskip(SKIP_1) | instid1(VALU_DEP_3)
	v_dual_add_f32 v9, v9, v19 :: v_dual_fmac_f32 v51, v243, v154
	v_dual_mul_f32 v19, v253, v165 :: v_dual_fma_f32 v23, v242, v154, -v23
	v_dual_add_f32 v7, v7, v49 :: v_dual_fmac_f32 v53, v245, v156
	s_delay_alu instid0(VALU_DEP_3) | instskip(SKIP_2) | instid1(VALU_DEP_3)
	v_dual_add_f32 v9, v9, v21 :: v_dual_fma_f32 v11, v244, v156, -v11
	v_dual_mul_f32 v55, v246, v159 :: v_dual_mul_f32 v57, v248, v161
	s_wait_loadcnt 0x4
	v_dual_add_f32 v7, v7, v51 :: v_dual_mov_b32 v112, v169
	s_delay_alu instid0(VALU_DEP_2) | instskip(NEXT) | instid1(VALU_DEP_2)
	v_dual_add_f32 v9, v9, v23 :: v_dual_fmac_f32 v55, v247, v158
	v_dual_fma_f32 v13, v246, v158, -v13 :: v_dual_add_f32 v7, v7, v53
	s_set_vgpr_msb 64                       ;  msbs: dst=1 src0=0 src1=0 src2=0
	v_dual_mul_f32 v9 /*v265*/, v250, v163 :: v_dual_mul_f32 v11 /*v267*/, v252, v165
	s_set_vgpr_msb 0                        ;  msbs: dst=0 src0=0 src1=0 src2=0
	v_dual_add_f32 v9, v9, v11 :: v_dual_fma_f32 v11, v248, v160, -v15
	v_dual_fmac_f32 v57, v249, v160 :: v_dual_add_f32 v7, v7, v55
	v_pk_mul_f32 v[110:111], v[182:183], v[166:167] op_sel:[1,1] op_sel_hi:[0,1]
	s_delay_alu instid0(VALU_DEP_3)
	v_add_f32_e32 v9, v9, v13
	s_wait_loadcnt 0x3
	v_mov_b32_e32 v116, v173
	s_set_vgpr_msb 64                       ;  msbs: dst=1 src0=0 src1=0 src2=0
	v_dual_fmac_f32 v9 /*v265*/, v251, v162 :: v_dual_fmac_f32 v11 /*v267*/, v253, v164
	v_dual_fma_f32 v8 /*v264*/, v250, v162, -v17 :: v_dual_fma_f32 v10 /*v266*/, v252, v164, -v19
	s_set_vgpr_msb 0                        ;  msbs: dst=0 src0=0 src1=0 src2=0
	v_dual_add_f32 v119, v7, v57 :: v_dual_add_f32 v118, v9, v11
	v_pk_fma_f32 v[120:121], v[182:183], v[166:167], v[110:111] op_sel_hi:[1,0,1]
	s_set_vgpr_msb 1                        ;  msbs: dst=0 src0=1 src1=0 src2=0
	v_pk_mul_f32 v[112:113], v[0:1] /*v[256:257]*/, v[112:113] op_sel_hi:[1,0]
	s_set_vgpr_msb 0                        ;  msbs: dst=0 src0=0 src1=0 src2=0
	v_pk_fma_f32 v[110:111], v[182:183], v[166:167], v[110:111] neg_lo:[0,0,1] neg_hi:[0,0,1]
	v_pk_mul_f32 v[114:115], v[186:187], v[170:171] op_sel:[1,1] op_sel_hi:[0,1]
	s_set_vgpr_msb 4                        ;  msbs: dst=0 src0=0 src1=1 src2=0
	v_pk_add_f32 v[118:119], v[118:119], v[8:9] /*v[264:265]*/
	v_mov_b32_e32 v111, v121
	s_set_vgpr_msb 0                        ;  msbs: dst=0 src0=0 src1=0 src2=0
	v_pk_fma_f32 v[120:121], v[184:185], v[168:169], v[112:113] op_sel_hi:[1,0,1]
	v_pk_fma_f32 v[112:113], v[184:185], v[168:169], v[112:113] neg_lo:[0,0,1] neg_hi:[0,0,1]
	v_pk_fma_f32 v[124:125], v[186:187], v[170:171], v[114:115] op_sel_hi:[1,0,1]
	s_set_vgpr_msb 4                        ;  msbs: dst=0 src0=0 src1=1 src2=0
	v_pk_add_f32 v[118:119], v[118:119], v[10:11] /*v[266:267]*/
	s_set_vgpr_msb 1                        ;  msbs: dst=0 src0=1 src1=0 src2=0
	v_pk_mul_f32 v[116:117], v[2:3] /*v[258:259]*/, v[116:117] op_sel_hi:[1,0]
	s_set_vgpr_msb 0                        ;  msbs: dst=0 src0=0 src1=0 src2=0
	v_mov_b32_e32 v113, v121
	s_wait_loadcnt 0x2
	v_pk_mul_f32 v[122:123], v[190:191], v[174:175] op_sel:[1,1] op_sel_hi:[0,1]
	v_pk_fma_f32 v[114:115], v[186:187], v[170:171], v[114:115] neg_lo:[0,0,1] neg_hi:[0,0,1]
	v_pk_add_f32 v[110:111], v[118:119], v[110:111]
	v_dual_mov_b32 v118, v177 :: v_dual_mov_b32 v115, v125
	v_pk_fma_f32 v[120:121], v[188:189], v[172:173], v[116:117] op_sel_hi:[1,0,1]
	v_pk_fma_f32 v[116:117], v[188:189], v[172:173], v[116:117] neg_lo:[0,0,1] neg_hi:[0,0,1]
	s_delay_alu instid0(VALU_DEP_4)
	v_pk_add_f32 v[110:111], v[110:111], v[112:113]
	v_pk_fma_f32 v[112:113], v[190:191], v[174:175], v[122:123] op_sel_hi:[1,0,1]
	s_set_vgpr_msb 1                        ;  msbs: dst=0 src0=1 src1=0 src2=0
	v_pk_mul_f32 v[118:119], v[4:5] /*v[260:261]*/, v[118:119] op_sel_hi:[1,0]
	s_set_vgpr_msb 0                        ;  msbs: dst=0 src0=0 src1=0 src2=0
	v_mov_b32_e32 v117, v121
	v_pk_fma_f32 v[120:121], v[190:191], v[174:175], v[122:123] neg_lo:[0,0,1] neg_hi:[0,0,1]
	v_pk_add_f32 v[110:111], v[110:111], v[114:115]
	v_mov_b32_e32 v121, v113
	v_pk_fma_f32 v[112:113], v[192:193], v[176:177], v[118:119] op_sel_hi:[1,0,1]
	s_wait_loadcnt 0x1
	v_pk_mul_f32 v[114:115], v[194:195], v[178:179] op_sel:[1,1] op_sel_hi:[0,1]
	v_mov_b32_e32 v112, v181
	v_pk_add_f32 v[110:111], v[110:111], v[116:117]
	v_pk_fma_f32 v[118:119], v[192:193], v[176:177], v[118:119] neg_lo:[0,0,1] neg_hi:[0,0,1]
	v_mov_b32_e32 v119, v113
	v_pk_fma_f32 v[116:117], v[194:195], v[178:179], v[114:115] op_sel_hi:[1,0,1]
	s_set_vgpr_msb 1                        ;  msbs: dst=0 src0=1 src1=0 src2=0
	v_pk_mul_f32 v[112:113], v[6:7] /*v[262:263]*/, v[112:113] op_sel_hi:[1,0]
	s_set_vgpr_msb 0                        ;  msbs: dst=0 src0=0 src1=0 src2=0
	v_pk_add_f32 v[110:111], v[110:111], v[120:121]
	v_pk_fma_f32 v[114:115], v[194:195], v[178:179], v[114:115] neg_lo:[0,0,1] neg_hi:[0,0,1]
	v_mov_b32_e32 v115, v117
	v_pk_fma_f32 v[116:117], v[196:197], v[180:181], v[112:113] op_sel_hi:[1,0,1]
	s_delay_alu instid0(VALU_DEP_4) | instskip(SKIP_1) | instid1(VALU_DEP_3)
	v_pk_add_f32 v[110:111], v[110:111], v[118:119]
	v_pk_fma_f32 v[112:113], v[196:197], v[180:181], v[112:113] neg_lo:[0,0,1] neg_hi:[0,0,1]
	v_mov_b32_e32 v113, v117
	s_delay_alu instid0(VALU_DEP_3) | instskip(NEXT) | instid1(VALU_DEP_1)
	v_pk_add_f32 v[110:111], v[110:111], v[114:115]
	v_pk_add_f32 v[110:111], v[110:111], v[112:113]
	s_wait_loadcnt 0x0
	s_delay_alu instid0(VALU_DEP_1)
	v_pk_add_f32 v[110:111], v[254:255], v[110:111] neg_lo:[0,1] neg_hi:[0,1]
	scratch_store_b64 off, v[110:111], off offset:136
	s_wait_xcnt 0x0
	v_cmpx_lt_u32_e32 16, v0
	s_cbranch_execz .LBB53_305
; %bb.304:
	scratch_load_b64 v[110:111], off, off offset:128
	v_mov_b64_e32 v[112:113], 0
	scratch_store_b64 off, v[112:113], off offset:128
	s_wait_loadcnt 0x0
	ds_store_b64 v1, v[110:111]
.LBB53_305:
	s_wait_xcnt 0x0
	s_or_b32 exec_lo, exec_lo, s0
	s_wait_storecnt_dscnt 0x0
	s_barrier_signal -1
	s_barrier_wait -1
	s_clause 0x14
	scratch_load_b128 v[110:113], off, off offset:136
	scratch_load_b128 v[114:117], off, off offset:152
	;; [unrolled: 1-line block ×18, first 2 shown]
	scratch_load_b64 v[254:255], off, off offset:424
	s_set_vgpr_msb 64                       ;  msbs: dst=1 src0=0 src1=0 src2=0
	scratch_load_b64 v[0:1] /*v[256:257]*/, off, off offset:128
	s_set_vgpr_msb 0                        ;  msbs: dst=0 src0=0 src1=0 src2=0
	v_mov_b32_e32 v7, 0
	ds_load_2addr_b64 v[182:185], v7 offset0:99 offset1:100
	ds_load_2addr_b64 v[186:189], v7 offset0:101 offset1:102
	;; [unrolled: 1-line block ×18, first 2 shown]
	s_set_vgpr_msb 64                       ;  msbs: dst=1 src0=0 src1=0 src2=0
	ds_load_b64 v[2:3] /*v[258:259]*/, v7 offset:856
	s_mov_b32 s0, exec_lo
	s_wait_dscnt 0x12
	v_dual_mov_b32 v4 /*v260*/, v185 :: v_dual_mov_b32 v5 /*v261*/, v184
	s_wait_dscnt 0x11
	v_dual_mov_b32 v6 /*v262*/, v189 :: v_dual_mov_b32 v7 /*v263*/, v188
	;; [unrolled: 2-line block ×4, first 2 shown]
	s_wait_loadcnt 0x13
	s_set_vgpr_msb 0                        ;  msbs: dst=0 src0=0 src1=0 src2=0
	v_dual_mul_f32 v9, v194, v111 :: v_dual_mul_f32 v63, v195, v111
	v_dual_mul_f32 v65, v197, v113 :: v_dual_mul_f32 v11, v196, v113
	s_wait_loadcnt 0x12
	v_mul_f32_e32 v13, v198, v115
	s_wait_loadcnt_dscnt 0x100b
	v_dual_mul_f32 v75, v211, v123 :: v_dual_fma_f32 v63, v194, v110, -v63
	v_dual_fmac_f32 v9, v195, v110 :: v_dual_mul_f32 v77, v213, v125
	v_dual_mul_f32 v67, v199, v115 :: v_dual_mul_f32 v69, v201, v117
	v_dual_fmac_f32 v11, v197, v112 :: v_dual_fma_f32 v65, v196, v112, -v65
	s_delay_alu instid0(VALU_DEP_3) | instskip(SKIP_3) | instid1(VALU_DEP_3)
	v_dual_add_f32 v9, 0, v9 :: v_dual_add_f32 v63, 0, v63
	v_dual_mul_f32 v15, v200, v117 :: v_dual_mul_f32 v17, v206, v119
	s_wait_loadcnt_dscnt 0xf0a
	v_dual_mul_f32 v79, v215, v127 :: v_dual_fma_f32 v67, v198, v114, -v67
	v_dual_fmac_f32 v13, v199, v114 :: v_dual_add_f32 v9, v9, v11
	s_delay_alu instid0(VALU_DEP_3) | instskip(SKIP_2) | instid1(VALU_DEP_3)
	v_dual_add_f32 v11, v63, v65 :: v_dual_fmac_f32 v15, v201, v116
	v_dual_mul_f32 v71, v207, v119 :: v_dual_mul_f32 v73, v209, v121
	v_dual_mul_f32 v63, v217, v129 :: v_dual_fma_f32 v65, v200, v116, -v69
	v_dual_add_f32 v9, v9, v13 :: v_dual_add_f32 v11, v11, v67
	v_dual_mul_f32 v19, v208, v121 :: v_dual_mul_f32 v21, v210, v123
	s_wait_loadcnt_dscnt 0xe09
	v_dual_mul_f32 v13, v219, v131 :: v_dual_fma_f32 v67, v206, v118, -v71
	s_delay_alu instid0(VALU_DEP_3) | instskip(NEXT) | instid1(VALU_DEP_3)
	v_dual_fmac_f32 v17, v207, v118 :: v_dual_add_f32 v9, v9, v15
	v_dual_add_f32 v11, v11, v65 :: v_dual_fmac_f32 v19, v209, v120
	v_dual_mul_f32 v15, v221, v133 :: v_dual_fma_f32 v65, v208, v120, -v73
	s_delay_alu instid0(VALU_DEP_2) | instskip(SKIP_3) | instid1(VALU_DEP_3)
	v_dual_add_f32 v9, v9, v17 :: v_dual_add_f32 v11, v11, v67
	v_dual_mul_f32 v23, v212, v125 :: v_dual_mul_f32 v25, v214, v127
	s_wait_loadcnt_dscnt 0xd08
	v_dual_mul_f32 v17, v223, v135 :: v_dual_fma_f32 v67, v210, v122, -v75
	v_dual_fmac_f32 v21, v211, v122 :: v_dual_add_f32 v9, v9, v19
	s_delay_alu instid0(VALU_DEP_3) | instskip(SKIP_1) | instid1(VALU_DEP_2)
	v_dual_add_f32 v11, v11, v65 :: v_dual_fmac_f32 v23, v213, v124
	v_dual_mul_f32 v19, v225, v137 :: v_dual_fma_f32 v65, v212, v124, -v77
	v_dual_add_f32 v9, v9, v21 :: v_dual_add_f32 v11, v11, v67
	v_dual_mul_f32 v27, v216, v129 :: v_dual_mul_f32 v29, v218, v131
	s_wait_loadcnt_dscnt 0xc07
	v_dual_mul_f32 v21, v227, v139 :: v_dual_fma_f32 v67, v214, v126, -v79
	s_delay_alu instid0(VALU_DEP_3) | instskip(NEXT) | instid1(VALU_DEP_3)
	v_dual_fmac_f32 v25, v215, v126 :: v_dual_add_f32 v9, v9, v23
	v_dual_add_f32 v11, v11, v65 :: v_dual_fmac_f32 v27, v217, v128
	v_dual_mul_f32 v23, v229, v141 :: v_dual_fma_f32 v63, v216, v128, -v63
	s_delay_alu instid0(VALU_DEP_2) | instskip(SKIP_3) | instid1(VALU_DEP_3)
	v_dual_add_f32 v9, v9, v25 :: v_dual_add_f32 v11, v11, v67
	v_dual_mul_f32 v31, v220, v133 :: v_dual_mul_f32 v33, v222, v135
	s_wait_loadcnt_dscnt 0xb06
	v_dual_mul_f32 v25, v231, v143 :: v_dual_fma_f32 v13, v218, v130, -v13
	v_dual_fmac_f32 v29, v219, v130 :: v_dual_add_f32 v9, v9, v27
	v_dual_add_f32 v11, v11, v63 :: v_dual_mul_f32 v27, v233, v145
	v_fmac_f32_e32 v31, v221, v132
	s_delay_alu instid0(VALU_DEP_3) | instskip(NEXT) | instid1(VALU_DEP_3)
	v_dual_fma_f32 v15, v220, v132, -v15 :: v_dual_add_f32 v9, v9, v29
	v_add_f32_e32 v11, v11, v13
	v_dual_mul_f32 v35, v224, v137 :: v_dual_mul_f32 v37, v226, v139
	s_wait_loadcnt_dscnt 0xa05
	v_dual_mul_f32 v13, v235, v147 :: v_dual_fma_f32 v17, v222, v134, -v17
	v_dual_fmac_f32 v33, v223, v134 :: v_dual_add_f32 v9, v9, v31
	v_dual_add_f32 v11, v11, v15 :: v_dual_mul_f32 v15, v237, v149
	v_fmac_f32_e32 v35, v225, v136
	s_delay_alu instid0(VALU_DEP_3) | instskip(NEXT) | instid1(VALU_DEP_3)
	v_dual_fma_f32 v19, v224, v136, -v19 :: v_dual_add_f32 v9, v9, v33
	v_add_f32_e32 v11, v11, v17
	;; [unrolled: 9-line block ×6, first 2 shown]
	v_dual_mul_f32 v55, v244, v157 :: v_dual_mul_f32 v57, v246, v159
	s_wait_loadcnt 0x5
	v_dual_mul_f32 v17, v183, v167 :: v_dual_fma_f32 v21, v242, v154, -v21
	v_dual_fmac_f32 v53, v243, v154 :: v_dual_add_f32 v9, v9, v51
	v_dual_add_f32 v11, v11, v19 :: v_dual_mov_b32 v110, v169
	v_fmac_f32_e32 v55, v245, v156
	s_delay_alu instid0(VALU_DEP_3) | instskip(NEXT) | instid1(VALU_DEP_3)
	v_dual_fma_f32 v19, v244, v156, -v23 :: v_dual_add_f32 v9, v9, v53
	v_add_f32_e32 v11, v11, v21
	v_dual_mul_f32 v59, v248, v161 :: v_dual_mul_f32 v61, v250, v163
	s_delay_alu instid0(VALU_DEP_3) | instskip(NEXT) | instid1(VALU_DEP_3)
	v_dual_fmac_f32 v57, v247, v158 :: v_dual_add_f32 v9, v9, v55
	v_dual_fma_f32 v21, v246, v158, -v25 :: v_dual_add_f32 v11, v11, v19
	s_wait_loadcnt 0x4
	v_dual_mov_b32 v114, v173 :: v_dual_fma_f32 v19, v248, v160, -v27
	v_fmac_f32_e32 v59, v249, v160
	v_dual_add_f32 v9, v9, v57 :: v_dual_fmac_f32 v61, v251, v162
	v_add_f32_e32 v11, v11, v21
	s_set_vgpr_msb 64                       ;  msbs: dst=1 src0=0 src1=0 src2=0
	v_dual_mul_f32 v13 /*v269*/, v252, v165 :: v_dual_mul_f32 v15 /*v271*/, v182, v167
	s_set_vgpr_msb 0                        ;  msbs: dst=0 src0=0 src1=0 src2=0
	v_dual_fma_f32 v13, v250, v162, -v13 :: v_dual_add_f32 v9, v9, v59
	v_add_f32_e32 v11, v11, v19
	s_set_vgpr_msb 64                       ;  msbs: dst=1 src0=0 src1=0 src2=0
	v_dual_fmac_f32 v13 /*v269*/, v253, v164 :: v_dual_fmac_f32 v15 /*v271*/, v183, v166
	v_dual_fma_f32 v12 /*v268*/, v252, v164, -v15 :: v_dual_fma_f32 v14 /*v270*/, v182, v166, -v17
	s_set_vgpr_msb 1                        ;  msbs: dst=0 src0=1 src1=0 src2=0
	v_pk_mul_f32 v[110:111], v[4:5] /*v[260:261]*/, v[110:111] op_sel_hi:[1,0]
	s_set_vgpr_msb 0                        ;  msbs: dst=0 src0=0 src1=0 src2=0
	v_add_f32_e32 v119, v9, v61
	s_wait_loadcnt 0x3
	v_dual_add_f32 v118, v11, v13 :: v_dual_mov_b32 v120, v177
	v_pk_mul_f32 v[112:113], v[186:187], v[170:171] op_sel:[1,1] op_sel_hi:[0,1]
	v_pk_fma_f32 v[122:123], v[184:185], v[168:169], v[110:111] op_sel_hi:[1,0,1]
	v_pk_fma_f32 v[110:111], v[184:185], v[168:169], v[110:111] neg_lo:[0,0,1] neg_hi:[0,0,1]
	s_set_vgpr_msb 4                        ;  msbs: dst=0 src0=0 src1=1 src2=0
	v_pk_add_f32 v[118:119], v[118:119], v[12:13] /*v[268:269]*/
	s_set_vgpr_msb 1                        ;  msbs: dst=0 src0=1 src1=0 src2=0
	v_pk_mul_f32 v[114:115], v[6:7] /*v[262:263]*/, v[114:115] op_sel_hi:[1,0]
	s_set_vgpr_msb 0                        ;  msbs: dst=0 src0=0 src1=0 src2=0
	v_pk_fma_f32 v[124:125], v[186:187], v[170:171], v[112:113] op_sel_hi:[1,0,1]
	v_mov_b32_e32 v111, v123
	v_pk_fma_f32 v[112:113], v[186:187], v[170:171], v[112:113] neg_lo:[0,0,1] neg_hi:[0,0,1]
	s_set_vgpr_msb 4                        ;  msbs: dst=0 src0=0 src1=1 src2=0
	v_pk_add_f32 v[118:119], v[118:119], v[14:15] /*v[270:271]*/
	s_set_vgpr_msb 0                        ;  msbs: dst=0 src0=0 src1=0 src2=0
	v_pk_mul_f32 v[116:117], v[190:191], v[174:175] op_sel:[1,1] op_sel_hi:[0,1]
	v_mov_b32_e32 v113, v125
	v_pk_fma_f32 v[124:125], v[188:189], v[172:173], v[114:115] op_sel_hi:[1,0,1]
	v_pk_fma_f32 v[114:115], v[188:189], v[172:173], v[114:115] neg_lo:[0,0,1] neg_hi:[0,0,1]
	v_pk_add_f32 v[110:111], v[118:119], v[110:111]
	v_pk_fma_f32 v[118:119], v[190:191], v[174:175], v[116:117] op_sel_hi:[1,0,1]
	s_set_vgpr_msb 1                        ;  msbs: dst=0 src0=1 src1=0 src2=0
	v_pk_mul_f32 v[120:121], v[8:9] /*v[264:265]*/, v[120:121] op_sel_hi:[1,0]
	s_set_vgpr_msb 0                        ;  msbs: dst=0 src0=0 src1=0 src2=0
	v_mov_b32_e32 v115, v125
	v_pk_fma_f32 v[116:117], v[190:191], v[174:175], v[116:117] neg_lo:[0,0,1] neg_hi:[0,0,1]
	v_pk_add_f32 v[110:111], v[110:111], v[112:113]
	s_wait_loadcnt 0x2
	v_pk_mul_f32 v[122:123], v[202:203], v[178:179] op_sel:[1,1] op_sel_hi:[0,1]
	v_dual_mov_b32 v112, v181 :: v_dual_mov_b32 v117, v119
	v_pk_fma_f32 v[118:119], v[192:193], v[176:177], v[120:121] op_sel_hi:[1,0,1]
	v_pk_add_f32 v[110:111], v[110:111], v[114:115]
	v_pk_fma_f32 v[120:121], v[192:193], v[176:177], v[120:121] neg_lo:[0,0,1] neg_hi:[0,0,1]
	v_pk_fma_f32 v[114:115], v[202:203], v[178:179], v[122:123] op_sel_hi:[1,0,1]
	s_set_vgpr_msb 1                        ;  msbs: dst=0 src0=1 src1=0 src2=0
	v_pk_mul_f32 v[112:113], v[10:11] /*v[266:267]*/, v[112:113] op_sel_hi:[1,0]
	s_set_vgpr_msb 0                        ;  msbs: dst=0 src0=0 src1=0 src2=0
	v_mov_b32_e32 v121, v119
	v_pk_add_f32 v[110:111], v[110:111], v[116:117]
	v_pk_fma_f32 v[116:117], v[202:203], v[178:179], v[122:123] neg_lo:[0,0,1] neg_hi:[0,0,1]
	v_mov_b32_e32 v117, v115
	v_pk_fma_f32 v[114:115], v[204:205], v[180:181], v[112:113] op_sel_hi:[1,0,1]
	s_wait_loadcnt_dscnt 0x100
	s_set_vgpr_msb 1                        ;  msbs: dst=0 src0=1 src1=0 src2=0
	v_pk_mul_f32 v[118:119], v[2:3] /*v[258:259]*/, v[254:255] op_sel:[1,1] op_sel_hi:[0,1]
	s_set_vgpr_msb 0                        ;  msbs: dst=0 src0=0 src1=0 src2=0
	v_pk_add_f32 v[110:111], v[110:111], v[120:121]
	v_pk_fma_f32 v[112:113], v[204:205], v[180:181], v[112:113] neg_lo:[0,0,1] neg_hi:[0,0,1]
	v_mov_b32_e32 v113, v115
	s_set_vgpr_msb 1                        ;  msbs: dst=0 src0=1 src1=0 src2=0
	v_pk_fma_f32 v[114:115], v[2:3] /*v[258:259]*/, v[254:255], v[118:119] op_sel_hi:[1,0,1]
	s_set_vgpr_msb 0                        ;  msbs: dst=0 src0=0 src1=0 src2=0
	v_pk_add_f32 v[110:111], v[110:111], v[116:117]
	s_set_vgpr_msb 1                        ;  msbs: dst=0 src0=1 src1=0 src2=0
	v_pk_fma_f32 v[116:117], v[2:3] /*v[258:259]*/, v[254:255], v[118:119] neg_lo:[0,0,1] neg_hi:[0,0,1]
	s_set_vgpr_msb 0                        ;  msbs: dst=0 src0=0 src1=0 src2=0
	v_mov_b32_e32 v117, v115
	v_pk_add_f32 v[110:111], v[110:111], v[112:113]
	s_delay_alu instid0(VALU_DEP_1) | instskip(SKIP_2) | instid1(VALU_DEP_1)
	v_pk_add_f32 v[110:111], v[110:111], v[116:117]
	s_wait_loadcnt 0x0
	s_set_vgpr_msb 1                        ;  msbs: dst=0 src0=1 src1=0 src2=0
	v_pk_add_f32 v[110:111], v[0:1] /*v[256:257]*/, v[110:111] neg_lo:[0,1] neg_hi:[0,1]
	scratch_store_b64 off, v[110:111], off offset:128
	s_wait_xcnt 0x0
	v_cmpx_lt_u32_e32 15, v0
	s_set_vgpr_msb 0                        ;  msbs: dst=0 src0=0 src1=0 src2=0
	s_cbranch_execz .LBB53_307
; %bb.306:
	scratch_load_b64 v[110:111], off, off offset:120
	v_mov_b64_e32 v[112:113], 0
	scratch_store_b64 off, v[112:113], off offset:120
	s_wait_loadcnt 0x0
	ds_store_b64 v1, v[110:111]
.LBB53_307:
	s_wait_xcnt 0x0
	s_or_b32 exec_lo, exec_lo, s0
	s_wait_storecnt_dscnt 0x0
	s_barrier_signal -1
	s_barrier_wait -1
	s_clause 0x14
	scratch_load_b128 v[110:113], off, off offset:128
	scratch_load_b128 v[114:117], off, off offset:144
	;; [unrolled: 1-line block ×19, first 2 shown]
	s_set_vgpr_msb 64                       ;  msbs: dst=1 src0=0 src1=0 src2=0
	scratch_load_b64 v[6:7] /*v[262:263]*/, off, off offset:120
	s_set_vgpr_msb 0                        ;  msbs: dst=0 src0=0 src1=0 src2=0
	ds_load_b128 v[186:189], v7 offset:800
	ds_load_b128 v[190:193], v7 offset:816
	;; [unrolled: 1-line block ×18, first 2 shown]
	s_set_vgpr_msb 64                       ;  msbs: dst=1 src0=0 src1=0 src2=0
	ds_load_b128 v[2:5] /*v[258:261]*/, v7 offset:768
	s_mov_b32 s0, exec_lo
	s_wait_dscnt 0x12
	v_dual_mov_b32 v8 /*v264*/, v189 :: v_dual_mov_b32 v9 /*v265*/, v188
	s_wait_dscnt 0x11
	v_dual_mov_b32 v10 /*v266*/, v193 :: v_dual_mov_b32 v11 /*v267*/, v192
	;; [unrolled: 2-line block ×4, first 2 shown]
	s_wait_loadcnt_dscnt 0x130d
	s_set_vgpr_msb 0                        ;  msbs: dst=0 src0=0 src1=0 src2=0
	v_dual_mul_f32 v7, v206, v111 :: v_dual_mul_f32 v9, v208, v113
	s_wait_loadcnt_dscnt 0x120c
	v_dual_mul_f32 v63, v207, v111 :: v_dual_mul_f32 v69, v213, v117
	v_dual_mul_f32 v11, v210, v115 :: v_dual_mul_f32 v13, v212, v117
	s_delay_alu instid0(VALU_DEP_3)
	v_dual_fmac_f32 v7, v207, v110 :: v_dual_fmac_f32 v9, v209, v112
	v_dual_mul_f32 v65, v209, v113 :: v_dual_mul_f32 v67, v211, v115
	s_wait_loadcnt_dscnt 0x110b
	v_dual_mul_f32 v73, v217, v121 :: v_dual_mul_f32 v71, v215, v119
	v_fma_f32 v63, v206, v110, -v63
	s_wait_loadcnt_dscnt 0x701
	v_mul_f32_e32 v55, v254, v159
	s_wait_loadcnt_dscnt 0x600
	s_set_vgpr_msb 1                        ;  msbs: dst=0 src0=1 src1=0 src2=0
	v_dual_mul_f32 v61, v4 /*v260*/, v165 :: v_dual_add_f32 v7, 0, v7
	s_set_vgpr_msb 0                        ;  msbs: dst=0 src0=0 src1=0 src2=0
	v_dual_mul_f32 v75, v219, v123 :: v_dual_fma_f32 v65, v208, v112, -v65
	v_dual_add_f32 v63, 0, v63 :: v_dual_mul_f32 v77, v221, v125
	v_dual_fmac_f32 v11, v211, v114 :: v_dual_fmac_f32 v13, v213, v116
	v_dual_fma_f32 v67, v210, v114, -v67 :: v_dual_add_f32 v7, v7, v9
	v_dual_mul_f32 v15, v214, v119 :: v_dual_mul_f32 v17, v216, v121
	s_delay_alu instid0(VALU_DEP_4) | instskip(NEXT) | instid1(VALU_DEP_3)
	v_dual_add_f32 v9, v63, v65 :: v_dual_fma_f32 v65, v212, v116, -v69
	v_add_f32_e32 v7, v7, v11
	s_delay_alu instid0(VALU_DEP_3) | instskip(NEXT) | instid1(VALU_DEP_3)
	v_dual_fmac_f32 v15, v215, v118 :: v_dual_mul_f32 v19, v218, v123
	v_dual_mul_f32 v21, v220, v125 :: v_dual_add_f32 v9, v9, v67
	s_delay_alu instid0(VALU_DEP_3) | instskip(SKIP_1) | instid1(VALU_DEP_3)
	v_dual_fma_f32 v67, v214, v118, -v71 :: v_dual_add_f32 v7, v7, v13
	v_dual_fmac_f32 v17, v217, v120 :: v_dual_mul_f32 v13, v227, v131
	v_dual_add_f32 v9, v9, v65 :: v_dual_fma_f32 v65, v216, v120, -v73
	s_delay_alu instid0(VALU_DEP_3) | instskip(SKIP_1) | instid1(VALU_DEP_3)
	v_add_f32_e32 v7, v7, v15
	v_dual_fmac_f32 v19, v219, v122 :: v_dual_mul_f32 v23, v222, v127
	v_dual_mul_f32 v25, v224, v129 :: v_dual_add_f32 v9, v9, v67
	s_delay_alu instid0(VALU_DEP_3) | instskip(SKIP_1) | instid1(VALU_DEP_3)
	v_dual_add_f32 v7, v7, v17 :: v_dual_fmac_f32 v21, v221, v124
	v_dual_mul_f32 v15, v229, v133 :: v_dual_fma_f32 v67, v218, v122, -v75
	v_dual_add_f32 v9, v9, v65 :: v_dual_mul_f32 v17, v231, v135
	s_delay_alu instid0(VALU_DEP_3) | instskip(SKIP_1) | instid1(VALU_DEP_3)
	v_dual_fma_f32 v65, v220, v124, -v77 :: v_dual_add_f32 v7, v7, v19
	v_dual_mul_f32 v63, v223, v127 :: v_dual_mul_f32 v11, v225, v129
	v_dual_add_f32 v9, v9, v67 :: v_dual_fmac_f32 v23, v223, v126
	s_delay_alu instid0(VALU_DEP_3) | instskip(SKIP_1) | instid1(VALU_DEP_4)
	v_dual_add_f32 v7, v7, v21 :: v_dual_fmac_f32 v25, v225, v128
	v_dual_mul_f32 v27, v226, v131 :: v_dual_mul_f32 v29, v228, v133
	v_dual_mul_f32 v19, v233, v137 :: v_dual_fma_f32 v63, v222, v126, -v63
	s_delay_alu instid0(VALU_DEP_4) | instskip(NEXT) | instid1(VALU_DEP_4)
	v_dual_add_f32 v9, v9, v65 :: v_dual_mul_f32 v21, v235, v139
	v_dual_fma_f32 v11, v224, v128, -v11 :: v_dual_add_f32 v7, v7, v23
	s_delay_alu instid0(VALU_DEP_2) | instskip(SKIP_1) | instid1(VALU_DEP_3)
	v_dual_fmac_f32 v27, v227, v130 :: v_dual_add_f32 v9, v9, v63
	v_dual_mul_f32 v31, v230, v135 :: v_dual_mul_f32 v33, v232, v137
	v_add_f32_e32 v7, v7, v25
	v_dual_mul_f32 v23, v237, v141 :: v_dual_fma_f32 v13, v226, v130, -v13
	s_delay_alu instid0(VALU_DEP_4) | instskip(SKIP_1) | instid1(VALU_DEP_4)
	v_add_f32_e32 v9, v9, v11
	v_dual_mul_f32 v11, v239, v143 :: v_dual_fmac_f32 v29, v229, v132
	v_dual_fma_f32 v15, v228, v132, -v15 :: v_dual_add_f32 v7, v7, v27
	s_delay_alu instid0(VALU_DEP_3) | instskip(SKIP_1) | instid1(VALU_DEP_2)
	v_dual_add_f32 v9, v9, v13 :: v_dual_fmac_f32 v31, v231, v134
	v_dual_mul_f32 v35, v234, v139 :: v_dual_mul_f32 v37, v236, v141
	v_dual_add_f32 v7, v7, v29 :: v_dual_add_f32 v9, v9, v15
	v_dual_mul_f32 v13, v241, v145 :: v_dual_fma_f32 v17, v230, v134, -v17
	v_dual_mul_f32 v15, v243, v147 :: v_dual_fmac_f32 v33, v233, v136
	s_delay_alu instid0(VALU_DEP_3) | instskip(NEXT) | instid1(VALU_DEP_3)
	v_dual_fma_f32 v19, v232, v136, -v19 :: v_dual_add_f32 v7, v7, v31
	v_dual_add_f32 v9, v9, v17 :: v_dual_fmac_f32 v35, v235, v138
	v_dual_mul_f32 v39, v238, v143 :: v_dual_mul_f32 v41, v240, v145
	s_delay_alu instid0(VALU_DEP_2) | instskip(SKIP_2) | instid1(VALU_DEP_3)
	v_dual_add_f32 v7, v7, v33 :: v_dual_add_f32 v9, v9, v19
	v_dual_mul_f32 v17, v245, v149 :: v_dual_fma_f32 v21, v234, v138, -v21
	v_dual_mul_f32 v19, v247, v151 :: v_dual_fmac_f32 v37, v237, v140
	v_dual_fma_f32 v23, v236, v140, -v23 :: v_dual_add_f32 v7, v7, v35
	s_delay_alu instid0(VALU_DEP_3) | instskip(SKIP_1) | instid1(VALU_DEP_2)
	v_dual_add_f32 v9, v9, v21 :: v_dual_fmac_f32 v39, v239, v142
	v_dual_mul_f32 v43, v242, v147 :: v_dual_mul_f32 v45, v244, v149
	v_dual_add_f32 v7, v7, v37 :: v_dual_add_f32 v9, v9, v23
	v_dual_mul_f32 v21, v249, v153 :: v_dual_fma_f32 v11, v238, v142, -v11
	v_dual_mul_f32 v23, v251, v155 :: v_dual_fmac_f32 v41, v241, v144
	s_delay_alu instid0(VALU_DEP_3) | instskip(NEXT) | instid1(VALU_DEP_3)
	v_dual_fma_f32 v13, v240, v144, -v13 :: v_dual_add_f32 v7, v7, v39
	v_dual_add_f32 v9, v9, v11 :: v_dual_fmac_f32 v43, v243, v146
	v_dual_mul_f32 v47, v246, v151 :: v_dual_mul_f32 v49, v248, v153
	s_delay_alu instid0(VALU_DEP_3) | instskip(SKIP_1) | instid1(VALU_DEP_4)
	v_dual_add_f32 v7, v7, v41 :: v_dual_fmac_f32 v45, v245, v148
	v_dual_mul_f32 v11, v253, v157 :: v_dual_fma_f32 v15, v242, v146, -v15
	v_dual_add_f32 v9, v9, v13 :: v_dual_mul_f32 v13, v255, v159
	s_delay_alu instid0(VALU_DEP_3) | instskip(NEXT) | instid1(VALU_DEP_2)
	v_dual_fma_f32 v17, v244, v148, -v17 :: v_dual_add_f32 v7, v7, v43
	v_dual_fmac_f32 v47, v247, v150 :: v_dual_add_f32 v9, v9, v15
	v_fma_f32 v19, v246, v150, -v19
	v_dual_mul_f32 v51, v250, v155 :: v_dual_mul_f32 v53, v252, v157
	s_delay_alu instid0(VALU_DEP_4) | instskip(NEXT) | instid1(VALU_DEP_4)
	v_add_f32_e32 v7, v7, v45
	v_dual_add_f32 v9, v9, v17 :: v_dual_fma_f32 v21, v248, v152, -v21
	s_delay_alu instid0(VALU_DEP_3) | instskip(NEXT) | instid1(VALU_DEP_3)
	v_dual_fmac_f32 v49, v249, v152 :: v_dual_fmac_f32 v51, v251, v154
	v_add_f32_e32 v7, v7, v47
	s_delay_alu instid0(VALU_DEP_3) | instskip(SKIP_1) | instid1(VALU_DEP_3)
	v_dual_add_f32 v9, v9, v19 :: v_dual_fma_f32 v23, v250, v154, -v23
	v_dual_fmac_f32 v53, v253, v156 :: v_dual_fma_f32 v11, v252, v156, -v11
	v_add_f32_e32 v7, v7, v49
	s_wait_loadcnt 0x5
	s_delay_alu instid0(VALU_DEP_3)
	v_dual_add_f32 v9, v9, v21 :: v_dual_mul_f32 v21, v195, v167
	s_set_vgpr_msb 1                        ;  msbs: dst=0 src0=1 src1=0 src2=0
	v_dual_mul_f32 v57, v0 /*v256*/, v161 :: v_dual_mul_f32 v59, v2 /*v258*/, v163
	s_set_vgpr_msb 0                        ;  msbs: dst=0 src0=0 src1=0 src2=0
	v_add_f32_e32 v7, v7, v51
	v_dual_add_f32 v9, v9, v23 :: v_dual_fmac_f32 v55, v255, v158
	v_dual_mul_f32 v23, v197, v169 :: v_dual_fma_f32 v13, v254, v158, -v13
	s_delay_alu instid0(VALU_DEP_3)
	v_add_f32_e32 v7, v7, v53
	s_set_vgpr_msb 1                        ;  msbs: dst=0 src0=1 src1=0 src2=0
	v_dual_mul_f32 v15, v1 /*v257*/, v161 :: v_dual_mul_f32 v17, v3 /*v259*/, v163
	v_dual_fmac_f32 v57, v1 /*v257*/, v160 :: v_dual_fmac_f32 v59, v3 /*v259*/, v162
	s_set_vgpr_msb 0                        ;  msbs: dst=0 src0=0 src1=0 src2=0
	v_add_f32_e32 v7, v7, v55
	v_add_f32_e32 v9, v9, v11
	s_set_vgpr_msb 1                        ;  msbs: dst=0 src0=1 src1=0 src2=0
	v_dual_mul_f32 v19, v5 /*v261*/, v165 :: v_dual_fma_f32 v11, v0 /*v256*/, v160, -v15
	v_fmac_f32_e32 v61, v5 /*v261*/, v164
	s_set_vgpr_msb 0                        ;  msbs: dst=0 src0=0 src1=0 src2=0
	v_add_f32_e32 v7, v7, v57
	v_add_f32_e32 v9, v9, v13
	s_wait_loadcnt 0x4
	v_mov_b32_e32 v112, v173
	s_set_vgpr_msb 1                        ;  msbs: dst=0 src0=1 src1=0 src2=0
	v_fma_f32 v13, v2 /*v258*/, v162, -v17
	s_set_vgpr_msb 64                       ;  msbs: dst=1 src0=0 src1=0 src2=0
	v_dual_mul_f32 v17 /*v273*/, v194, v167 :: v_dual_mul_f32 v19 /*v275*/, v196, v169
	s_set_vgpr_msb 0                        ;  msbs: dst=0 src0=0 src1=0 src2=0
	v_add_f32_e32 v7, v7, v59
	v_add_f32_e32 v9, v9, v11
	s_set_vgpr_msb 1                        ;  msbs: dst=0 src0=1 src1=0 src2=0
	v_fma_f32 v11, v4 /*v260*/, v164, -v19
	s_set_vgpr_msb 0                        ;  msbs: dst=0 src0=0 src1=0 src2=0
	v_pk_mul_f32 v[110:111], v[186:187], v[170:171] op_sel:[1,1] op_sel_hi:[0,1]
	s_set_vgpr_msb 64                       ;  msbs: dst=1 src0=0 src1=0 src2=0
	v_dual_fmac_f32 v17 /*v273*/, v195, v166 :: v_dual_fmac_f32 v19 /*v275*/, v197, v168
	s_set_vgpr_msb 0                        ;  msbs: dst=0 src0=0 src1=0 src2=0
	v_add_f32_e32 v119, v7, v61
	v_add_f32_e32 v9, v9, v13
	s_set_vgpr_msb 64                       ;  msbs: dst=1 src0=0 src1=0 src2=0
	v_dual_fma_f32 v16 /*v272*/, v194, v166, -v21 :: v_dual_fma_f32 v18 /*v274*/, v196, v168, -v23
	s_set_vgpr_msb 0                        ;  msbs: dst=0 src0=0 src1=0 src2=0
	v_pk_fma_f32 v[120:121], v[186:187], v[170:171], v[110:111] op_sel_hi:[1,0,1]
	s_set_vgpr_msb 1                        ;  msbs: dst=0 src0=1 src1=0 src2=0
	v_pk_mul_f32 v[112:113], v[8:9] /*v[264:265]*/, v[112:113] op_sel_hi:[1,0]
	s_set_vgpr_msb 0                        ;  msbs: dst=0 src0=0 src1=0 src2=0
	v_add_f32_e32 v118, v9, v11
	v_pk_fma_f32 v[110:111], v[186:187], v[170:171], v[110:111] neg_lo:[0,0,1] neg_hi:[0,0,1]
	s_wait_loadcnt 0x3
	v_pk_mul_f32 v[114:115], v[190:191], v[174:175] op_sel:[1,1] op_sel_hi:[0,1]
	v_dual_mov_b32 v116, v177 :: v_dual_mov_b32 v111, v121
	s_set_vgpr_msb 4                        ;  msbs: dst=0 src0=0 src1=1 src2=0
	v_pk_add_f32 v[118:119], v[118:119], v[16:17] /*v[272:273]*/
	s_set_vgpr_msb 0                        ;  msbs: dst=0 src0=0 src1=0 src2=0
	v_pk_fma_f32 v[120:121], v[188:189], v[172:173], v[112:113] op_sel_hi:[1,0,1]
	v_pk_fma_f32 v[112:113], v[188:189], v[172:173], v[112:113] neg_lo:[0,0,1] neg_hi:[0,0,1]
	v_pk_fma_f32 v[124:125], v[190:191], v[174:175], v[114:115] op_sel_hi:[1,0,1]
	s_set_vgpr_msb 1                        ;  msbs: dst=0 src0=1 src1=0 src2=0
	v_pk_mul_f32 v[116:117], v[10:11] /*v[266:267]*/, v[116:117] op_sel_hi:[1,0]
	s_set_vgpr_msb 4                        ;  msbs: dst=0 src0=0 src1=1 src2=0
	v_pk_add_f32 v[118:119], v[118:119], v[18:19] /*v[274:275]*/
	v_mov_b32_e32 v113, v121
	s_wait_loadcnt 0x2
	s_set_vgpr_msb 0                        ;  msbs: dst=0 src0=0 src1=0 src2=0
	v_pk_mul_f32 v[122:123], v[198:199], v[178:179] op_sel:[1,1] op_sel_hi:[0,1]
	v_pk_fma_f32 v[114:115], v[190:191], v[174:175], v[114:115] neg_lo:[0,0,1] neg_hi:[0,0,1]
	v_pk_fma_f32 v[120:121], v[192:193], v[176:177], v[116:117] op_sel_hi:[1,0,1]
	v_pk_add_f32 v[110:111], v[118:119], v[110:111]
	v_dual_mov_b32 v118, v181 :: v_dual_mov_b32 v115, v125
	v_pk_fma_f32 v[116:117], v[192:193], v[176:177], v[116:117] neg_lo:[0,0,1] neg_hi:[0,0,1]
	s_delay_alu instid0(VALU_DEP_4) | instskip(NEXT) | instid1(VALU_DEP_4)
	v_mov_b32_e32 v117, v121
	v_pk_add_f32 v[110:111], v[110:111], v[112:113]
	v_pk_fma_f32 v[112:113], v[198:199], v[178:179], v[122:123] op_sel_hi:[1,0,1]
	s_set_vgpr_msb 1                        ;  msbs: dst=0 src0=1 src1=0 src2=0
	v_pk_mul_f32 v[118:119], v[12:13] /*v[268:269]*/, v[118:119] op_sel_hi:[1,0]
	s_set_vgpr_msb 0                        ;  msbs: dst=0 src0=0 src1=0 src2=0
	v_pk_fma_f32 v[120:121], v[198:199], v[178:179], v[122:123] neg_lo:[0,0,1] neg_hi:[0,0,1]
	v_pk_add_f32 v[110:111], v[110:111], v[114:115]
	v_mov_b32_e32 v121, v113
	v_pk_fma_f32 v[112:113], v[200:201], v[180:181], v[118:119] op_sel_hi:[1,0,1]
	s_wait_loadcnt 0x1
	v_pk_mul_f32 v[114:115], v[202:203], v[182:183] op_sel:[1,1] op_sel_hi:[0,1]
	v_mov_b32_e32 v112, v185
	v_pk_add_f32 v[110:111], v[110:111], v[116:117]
	v_pk_fma_f32 v[118:119], v[200:201], v[180:181], v[118:119] neg_lo:[0,0,1] neg_hi:[0,0,1]
	s_delay_alu instid0(VALU_DEP_4) | instskip(SKIP_1) | instid1(VALU_DEP_4)
	v_pk_fma_f32 v[116:117], v[202:203], v[182:183], v[114:115] op_sel_hi:[1,0,1]
	v_mov_b32_e32 v119, v113
	v_pk_add_f32 v[110:111], v[110:111], v[120:121]
	s_set_vgpr_msb 1                        ;  msbs: dst=0 src0=1 src1=0 src2=0
	v_pk_mul_f32 v[112:113], v[14:15] /*v[270:271]*/, v[112:113] op_sel_hi:[1,0]
	s_set_vgpr_msb 0                        ;  msbs: dst=0 src0=0 src1=0 src2=0
	v_pk_fma_f32 v[114:115], v[202:203], v[182:183], v[114:115] neg_lo:[0,0,1] neg_hi:[0,0,1]
	v_mov_b32_e32 v115, v117
	v_pk_add_f32 v[110:111], v[110:111], v[118:119]
	v_pk_fma_f32 v[116:117], v[204:205], v[184:185], v[112:113] op_sel_hi:[1,0,1]
	v_pk_fma_f32 v[112:113], v[204:205], v[184:185], v[112:113] neg_lo:[0,0,1] neg_hi:[0,0,1]
	s_delay_alu instid0(VALU_DEP_3) | instskip(NEXT) | instid1(VALU_DEP_3)
	v_pk_add_f32 v[110:111], v[110:111], v[114:115]
	v_mov_b32_e32 v113, v117
	s_delay_alu instid0(VALU_DEP_1) | instskip(SKIP_2) | instid1(VALU_DEP_1)
	v_pk_add_f32 v[110:111], v[110:111], v[112:113]
	s_wait_loadcnt 0x0
	s_set_vgpr_msb 1                        ;  msbs: dst=0 src0=1 src1=0 src2=0
	v_pk_add_f32 v[110:111], v[6:7] /*v[262:263]*/, v[110:111] neg_lo:[0,1] neg_hi:[0,1]
	scratch_store_b64 off, v[110:111], off offset:120
	s_wait_xcnt 0x0
	v_cmpx_lt_u32_e32 14, v0
	s_set_vgpr_msb 0                        ;  msbs: dst=0 src0=0 src1=0 src2=0
	s_cbranch_execz .LBB53_309
; %bb.308:
	scratch_load_b64 v[110:111], off, off offset:112
	v_mov_b64_e32 v[112:113], 0
	scratch_store_b64 off, v[112:113], off offset:112
	s_wait_loadcnt 0x0
	ds_store_b64 v1, v[110:111]
.LBB53_309:
	s_wait_xcnt 0x0
	s_or_b32 exec_lo, exec_lo, s0
	s_wait_storecnt_dscnt 0x0
	s_barrier_signal -1
	s_barrier_wait -1
	s_clause 0xf
	scratch_load_b128 v[114:117], off, off offset:120
	scratch_load_b128 v[122:125], off, off offset:136
	;; [unrolled: 1-line block ×16, first 2 shown]
	v_mov_b32_e32 v7, 0
	s_mov_b32 s0, exec_lo
	ds_load_2addr_b64 v[110:113], v7 offset0:69 offset1:70
	ds_load_2addr_b64 v[118:121], v7 offset0:71 offset1:72
	s_wait_loadcnt_dscnt 0xf01
	v_mul_f32_e32 v9, v110, v115
	ds_load_2addr_b64 v[222:225], v7 offset0:97 offset1:98
	ds_load_2addr_b64 v[230:233], v7 offset0:99 offset1:100
	v_mul_f32_e32 v11, v112, v117
	ds_load_2addr_b64 v[126:129], v7 offset0:73 offset1:74
	ds_load_2addr_b64 v[134:137], v7 offset0:75 offset1:76
	v_fmac_f32_e32 v9, v111, v114
	ds_load_2addr_b64 v[142:145], v7 offset0:77 offset1:78
	ds_load_2addr_b64 v[150:153], v7 offset0:79 offset1:80
	v_fmac_f32_e32 v11, v113, v116
	ds_load_2addr_b64 v[158:161], v7 offset0:81 offset1:82
	ds_load_2addr_b64 v[166:169], v7 offset0:83 offset1:84
	v_add_f32_e32 v9, 0, v9
	ds_load_2addr_b64 v[174:177], v7 offset0:85 offset1:86
	ds_load_2addr_b64 v[182:185], v7 offset0:87 offset1:88
	;; [unrolled: 1-line block ×4, first 2 shown]
	v_add_f32_e32 v9, v9, v11
	s_wait_loadcnt_dscnt 0xe0c
	v_mul_f32_e32 v11, v118, v123
	ds_load_2addr_b64 v[206:209], v7 offset0:93 offset1:94
	ds_load_2addr_b64 v[214:217], v7 offset0:95 offset1:96
	s_wait_loadcnt_dscnt 0xd0d
	v_mul_f32_e32 v253, v224, v229
	s_clause 0x4
	scratch_load_b128 v[238:241], off, off offset:376
	scratch_load_b128 v[242:245], off, off offset:392
	;; [unrolled: 1-line block ×3, first 2 shown]
	s_set_vgpr_msb 64                       ;  msbs: dst=1 src0=0 src1=0 src2=0
	scratch_load_b64 v[0:1] /*v[256:257]*/, off, off offset:424
	s_wait_loadcnt_dscnt 0x100c
	s_set_vgpr_msb 0                        ;  msbs: dst=0 src0=0 src1=0 src2=0
	v_dual_fmac_f32 v11, v119, v122 :: v_dual_mul_f32 v255, v230, v235
	v_fmac_f32_e32 v253, v225, v228
	s_delay_alu instid0(VALU_DEP_2) | instskip(NEXT) | instid1(VALU_DEP_3)
	v_dual_add_f32 v9, v9, v11 :: v_dual_mul_f32 v11, v120, v125
	v_fmac_f32_e32 v255, v231, v234
	s_delay_alu instid0(VALU_DEP_2) | instskip(NEXT) | instid1(VALU_DEP_1)
	v_fmac_f32_e32 v11, v121, v124
	v_add_f32_e32 v9, v9, v11
	s_wait_loadcnt_dscnt 0xf0b
	v_mul_f32_e32 v11, v126, v131
	s_delay_alu instid0(VALU_DEP_1) | instskip(NEXT) | instid1(VALU_DEP_1)
	v_fmac_f32_e32 v11, v127, v130
	v_dual_add_f32 v9, v9, v11 :: v_dual_mul_f32 v11, v128, v133
	s_delay_alu instid0(VALU_DEP_1) | instskip(NEXT) | instid1(VALU_DEP_1)
	v_fmac_f32_e32 v11, v129, v132
	v_add_f32_e32 v9, v9, v11
	s_wait_loadcnt_dscnt 0xe0a
	v_mul_f32_e32 v11, v134, v139
	s_delay_alu instid0(VALU_DEP_1) | instskip(NEXT) | instid1(VALU_DEP_1)
	v_fmac_f32_e32 v11, v135, v138
	v_dual_add_f32 v9, v9, v11 :: v_dual_mul_f32 v11, v136, v141
	s_delay_alu instid0(VALU_DEP_1) | instskip(NEXT) | instid1(VALU_DEP_1)
	;; [unrolled: 8-line block ×12, first 2 shown]
	v_fmac_f32_e32 v11, v217, v220
	v_add_f32_e32 v9, v9, v11
	v_mul_f32_e32 v11, v222, v227
	s_delay_alu instid0(VALU_DEP_1) | instskip(NEXT) | instid1(VALU_DEP_1)
	v_fmac_f32_e32 v11, v223, v226
	v_add_f32_e32 v251, v9, v11
	v_dual_mul_f32 v9, v111, v115 :: v_dual_mul_f32 v11, v113, v117
	s_delay_alu instid0(VALU_DEP_1) | instskip(NEXT) | instid1(VALU_DEP_1)
	v_dual_fma_f32 v9, v110, v114, -v9 :: v_dual_fma_f32 v11, v112, v116, -v11
	v_add_f32_e32 v9, 0, v9
	s_delay_alu instid0(VALU_DEP_1) | instskip(SKIP_1) | instid1(VALU_DEP_1)
	v_add_f32_e32 v9, v9, v11
	v_mul_f32_e32 v11, v119, v123
	v_fma_f32 v11, v118, v122, -v11
	s_delay_alu instid0(VALU_DEP_1) | instskip(SKIP_1) | instid1(VALU_DEP_1)
	v_add_f32_e32 v9, v9, v11
	v_mul_f32_e32 v11, v121, v125
	v_fma_f32 v11, v120, v124, -v11
	ds_load_2addr_b64 v[110:113], v7 offset0:101 offset1:102
	ds_load_2addr_b64 v[114:117], v7 offset0:103 offset1:104
	;; [unrolled: 1-line block ×3, first 2 shown]
	ds_load_b64 v[122:123], v7 offset:856
	v_add_f32_e32 v9, v9, v11
	v_dual_mul_f32 v11, v127, v131 :: v_dual_mov_b32 v127, v232
	s_delay_alu instid0(VALU_DEP_1) | instskip(NEXT) | instid1(VALU_DEP_1)
	v_dual_fma_f32 v11, v126, v130, -v11 :: v_dual_mov_b32 v126, v233
	v_add_f32_e32 v9, v9, v11
	v_mul_f32_e32 v11, v129, v133
	s_delay_alu instid0(VALU_DEP_1) | instskip(NEXT) | instid1(VALU_DEP_1)
	v_dual_fma_f32 v11, v128, v132, -v11 :: v_dual_mov_b32 v128, v237
	v_add_f32_e32 v9, v9, v11
	v_mul_f32_e32 v11, v135, v139
	s_delay_alu instid0(VALU_DEP_3) | instskip(NEXT) | instid1(VALU_DEP_2)
	v_pk_mul_f32 v[126:127], v[126:127], v[128:129] op_sel_hi:[1,0]
	v_fma_f32 v11, v134, v138, -v11
	s_delay_alu instid0(VALU_DEP_2) | instskip(SKIP_1) | instid1(VALU_DEP_3)
	v_pk_fma_f32 v[128:129], v[232:233], v[236:237], v[126:127] neg_lo:[0,0,1] neg_hi:[0,0,1]
	v_pk_fma_f32 v[126:127], v[232:233], v[236:237], v[126:127] op_sel_hi:[1,0,1]
	v_add_f32_e32 v9, v9, v11
	s_delay_alu instid0(VALU_DEP_2) | instskip(SKIP_2) | instid1(VALU_DEP_2)
	v_dual_mul_f32 v11, v137, v141 :: v_dual_mov_b32 v129, v127
	s_wait_loadcnt_dscnt 0x303
	v_pk_mul_f32 v[126:127], v[110:111], v[238:239] op_sel:[1,1] op_sel_hi:[0,1]
	v_fma_f32 v11, v136, v140, -v11
	s_delay_alu instid0(VALU_DEP_1) | instskip(SKIP_1) | instid1(VALU_DEP_1)
	v_add_f32_e32 v9, v9, v11
	v_mul_f32_e32 v11, v143, v147
	v_fma_f32 v11, v142, v146, -v11
	s_delay_alu instid0(VALU_DEP_1) | instskip(SKIP_1) | instid1(VALU_DEP_1)
	v_add_f32_e32 v9, v9, v11
	v_mul_f32_e32 v11, v145, v149
	;; [unrolled: 4-line block ×22, first 2 shown]
	v_dual_fma_f32 v252, v224, v228, -v9 :: v_dual_mul_f32 v9, v231, v235
	s_delay_alu instid0(VALU_DEP_1) | instskip(NEXT) | instid1(VALU_DEP_2)
	v_pk_add_f32 v[124:125], v[250:251], v[252:253]
	v_fma_f32 v254, v230, v234, -v9
	s_delay_alu instid0(VALU_DEP_1) | instskip(NEXT) | instid1(VALU_DEP_1)
	v_pk_add_f32 v[124:125], v[124:125], v[254:255]
	v_pk_add_f32 v[124:125], v[124:125], v[128:129]
	v_pk_fma_f32 v[128:129], v[110:111], v[238:239], v[126:127] neg_lo:[0,0,1] neg_hi:[0,0,1]
	v_pk_fma_f32 v[110:111], v[110:111], v[238:239], v[126:127] op_sel_hi:[1,0,1]
	s_delay_alu instid0(VALU_DEP_1) | instskip(NEXT) | instid1(VALU_DEP_1)
	v_dual_mov_b32 v126, v241 :: v_dual_mov_b32 v129, v111
	v_pk_add_f32 v[110:111], v[124:125], v[128:129]
	v_dual_mov_b32 v124, v113 :: v_dual_mov_b32 v125, v112
	s_delay_alu instid0(VALU_DEP_1) | instskip(NEXT) | instid1(VALU_DEP_1)
	v_pk_mul_f32 v[124:125], v[124:125], v[126:127] op_sel_hi:[1,0]
	v_pk_fma_f32 v[126:127], v[112:113], v[240:241], v[124:125] neg_lo:[0,0,1] neg_hi:[0,0,1]
	v_pk_fma_f32 v[112:113], v[112:113], v[240:241], v[124:125] op_sel_hi:[1,0,1]
	s_delay_alu instid0(VALU_DEP_1) | instskip(SKIP_2) | instid1(VALU_DEP_2)
	v_mov_b32_e32 v127, v113
	s_wait_loadcnt_dscnt 0x202
	v_pk_mul_f32 v[112:113], v[114:115], v[242:243] op_sel:[1,1] op_sel_hi:[0,1]
	v_pk_add_f32 v[110:111], v[110:111], v[126:127]
	s_delay_alu instid0(VALU_DEP_2) | instskip(SKIP_2) | instid1(VALU_DEP_2)
	v_pk_fma_f32 v[124:125], v[114:115], v[242:243], v[112:113] neg_lo:[0,0,1] neg_hi:[0,0,1]
	v_pk_fma_f32 v[112:113], v[114:115], v[242:243], v[112:113] op_sel_hi:[1,0,1]
	v_dual_mov_b32 v112, v117 :: v_dual_mov_b32 v114, v245
	v_dual_mov_b32 v125, v113 :: v_dual_mov_b32 v113, v116
	s_delay_alu instid0(VALU_DEP_1) | instskip(NEXT) | instid1(VALU_DEP_2)
	v_pk_add_f32 v[110:111], v[110:111], v[124:125]
	v_pk_mul_f32 v[112:113], v[112:113], v[114:115] op_sel_hi:[1,0]
	s_delay_alu instid0(VALU_DEP_1) | instskip(SKIP_1) | instid1(VALU_DEP_1)
	v_pk_fma_f32 v[114:115], v[116:117], v[244:245], v[112:113] neg_lo:[0,0,1] neg_hi:[0,0,1]
	v_pk_fma_f32 v[112:113], v[116:117], v[244:245], v[112:113] op_sel_hi:[1,0,1]
	v_mov_b32_e32 v115, v113
	s_wait_loadcnt_dscnt 0x101
	v_pk_mul_f32 v[112:113], v[118:119], v[246:247] op_sel:[1,1] op_sel_hi:[0,1]
	s_delay_alu instid0(VALU_DEP_2) | instskip(NEXT) | instid1(VALU_DEP_2)
	v_pk_add_f32 v[110:111], v[110:111], v[114:115]
	v_pk_fma_f32 v[114:115], v[118:119], v[246:247], v[112:113] neg_lo:[0,0,1] neg_hi:[0,0,1]
	v_pk_fma_f32 v[112:113], v[118:119], v[246:247], v[112:113] op_sel_hi:[1,0,1]
	s_delay_alu instid0(VALU_DEP_1) | instskip(SKIP_1) | instid1(VALU_DEP_2)
	v_dual_mov_b32 v112, v121 :: v_dual_mov_b32 v115, v113
	v_mov_b32_e32 v113, v120
	v_pk_add_f32 v[110:111], v[110:111], v[114:115]
	v_mov_b32_e32 v114, v249
	s_delay_alu instid0(VALU_DEP_1) | instskip(NEXT) | instid1(VALU_DEP_1)
	v_pk_mul_f32 v[112:113], v[112:113], v[114:115] op_sel_hi:[1,0]
	v_pk_fma_f32 v[114:115], v[120:121], v[248:249], v[112:113] neg_lo:[0,0,1] neg_hi:[0,0,1]
	v_pk_fma_f32 v[112:113], v[120:121], v[248:249], v[112:113] op_sel_hi:[1,0,1]
	s_delay_alu instid0(VALU_DEP_1)
	v_mov_b32_e32 v115, v113
	s_wait_loadcnt_dscnt 0x0
	s_set_vgpr_msb 4                        ;  msbs: dst=0 src0=0 src1=1 src2=0
	v_pk_mul_f32 v[112:113], v[122:123], v[0:1] /*v[256:257]*/ op_sel:[1,1] op_sel_hi:[0,1]
	s_set_vgpr_msb 0                        ;  msbs: dst=0 src0=0 src1=0 src2=0
	v_pk_add_f32 v[110:111], v[110:111], v[114:115]
	s_set_vgpr_msb 4                        ;  msbs: dst=0 src0=0 src1=1 src2=0
	s_delay_alu instid0(VALU_DEP_2) | instskip(SKIP_1) | instid1(VALU_DEP_1)
	v_pk_fma_f32 v[114:115], v[122:123], v[0:1] /*v[256:257]*/, v[112:113] neg_lo:[0,0,1] neg_hi:[0,0,1]
	v_pk_fma_f32 v[112:113], v[122:123], v[0:1] /*v[256:257]*/, v[112:113] op_sel_hi:[1,0,1]
	v_mov_b32_e32 v115, v113
	scratch_load_b64 v[112:113], off, off offset:112
	s_set_vgpr_msb 0                        ;  msbs: dst=0 src0=0 src1=0 src2=0
	v_pk_add_f32 v[110:111], v[110:111], v[114:115]
	s_wait_loadcnt 0x0
	s_delay_alu instid0(VALU_DEP_1)
	v_pk_add_f32 v[110:111], v[112:113], v[110:111] neg_lo:[0,1] neg_hi:[0,1]
	scratch_store_b64 off, v[110:111], off offset:112
	s_wait_xcnt 0x0
	v_cmpx_lt_u32_e32 13, v0
	s_cbranch_execz .LBB53_311
; %bb.310:
	scratch_load_b64 v[110:111], off, off offset:104
	v_mov_b64_e32 v[112:113], 0
	scratch_store_b64 off, v[112:113], off offset:104
	s_wait_loadcnt 0x0
	ds_store_b64 v1, v[110:111]
.LBB53_311:
	s_wait_xcnt 0x0
	s_or_b32 exec_lo, exec_lo, s0
	s_wait_storecnt_dscnt 0x0
	s_barrier_signal -1
	s_barrier_wait -1
	ds_load_b128 v[110:113], v7 offset:544
	ds_load_b128 v[114:117], v7 offset:560
	;; [unrolled: 1-line block ×4, first 2 shown]
	s_clause 0xf
	scratch_load_b128 v[126:129], off, off offset:112
	scratch_load_b128 v[130:133], off, off offset:128
	;; [unrolled: 1-line block ×16, first 2 shown]
	ds_load_b128 v[142:145], v7 offset:608
	ds_load_b128 v[150:153], v7 offset:624
	;; [unrolled: 1-line block ×12, first 2 shown]
	s_clause 0x3
	scratch_load_b128 v[238:241], off, off offset:368
	scratch_load_b128 v[242:245], off, off offset:384
	scratch_load_b128 v[246:249], off, off offset:400
	scratch_load_b128 v[250:253], off, off offset:416
	s_mov_b32 s0, exec_lo
	s_wait_loadcnt_dscnt 0x130f
	v_dual_mul_f32 v9, v110, v127 :: v_dual_mul_f32 v11, v112, v129
	s_delay_alu instid0(VALU_DEP_1) | instskip(NEXT) | instid1(VALU_DEP_1)
	v_dual_fmac_f32 v9, v111, v126 :: v_dual_fmac_f32 v11, v113, v128
	v_add_f32_e32 v9, 0, v9
	s_delay_alu instid0(VALU_DEP_1)
	v_add_f32_e32 v9, v9, v11
	s_wait_loadcnt_dscnt 0x120e
	v_mul_f32_e32 v11, v114, v131
	s_wait_loadcnt_dscnt 0x408
	s_set_vgpr_msb 64                       ;  msbs: dst=1 src0=0 src1=0 src2=0
	v_dual_mul_f32 v1 /*v257*/, v230, v235 :: v_dual_mul_f32 v3 /*v259*/, v232, v237
	s_set_vgpr_msb 0                        ;  msbs: dst=0 src0=0 src1=0 src2=0
	v_fmac_f32_e32 v11, v115, v130
	s_set_vgpr_msb 64                       ;  msbs: dst=1 src0=0 src1=0 src2=0
	s_delay_alu instid0(VALU_DEP_2) | instskip(SKIP_1) | instid1(VALU_DEP_2)
	v_dual_fmac_f32 v1 /*v257*/, v231, v234 :: v_dual_fmac_f32 v3 /*v259*/, v233, v236
	s_set_vgpr_msb 0                        ;  msbs: dst=0 src0=0 src1=0 src2=0
	v_dual_add_f32 v9, v9, v11 :: v_dual_mul_f32 v11, v116, v133
	s_delay_alu instid0(VALU_DEP_1) | instskip(NEXT) | instid1(VALU_DEP_1)
	v_fmac_f32_e32 v11, v117, v132
	v_add_f32_e32 v9, v9, v11
	v_mul_f32_e32 v11, v118, v135
	s_delay_alu instid0(VALU_DEP_1) | instskip(NEXT) | instid1(VALU_DEP_1)
	v_fmac_f32_e32 v11, v119, v134
	v_dual_add_f32 v9, v9, v11 :: v_dual_mul_f32 v11, v120, v137
	s_delay_alu instid0(VALU_DEP_1) | instskip(NEXT) | instid1(VALU_DEP_1)
	v_fmac_f32_e32 v11, v121, v136
	v_add_f32_e32 v9, v9, v11
	v_mul_f32_e32 v11, v122, v139
	s_delay_alu instid0(VALU_DEP_1) | instskip(NEXT) | instid1(VALU_DEP_1)
	v_fmac_f32_e32 v11, v123, v138
	;; [unrolled: 7-line block ×4, first 2 shown]
	v_dual_add_f32 v9, v9, v11 :: v_dual_mul_f32 v11, v152, v157
	s_delay_alu instid0(VALU_DEP_1) | instskip(NEXT) | instid1(VALU_DEP_1)
	v_fmac_f32_e32 v11, v153, v156
	v_add_f32_e32 v9, v9, v11
	s_wait_dscnt 0x7
	v_mul_f32_e32 v11, v158, v163
	s_delay_alu instid0(VALU_DEP_1) | instskip(NEXT) | instid1(VALU_DEP_1)
	v_fmac_f32_e32 v11, v159, v162
	v_dual_add_f32 v9, v9, v11 :: v_dual_mul_f32 v11, v160, v165
	s_delay_alu instid0(VALU_DEP_1) | instskip(NEXT) | instid1(VALU_DEP_1)
	v_fmac_f32_e32 v11, v161, v164
	v_add_f32_e32 v9, v9, v11
	s_wait_dscnt 0x6
	v_mul_f32_e32 v11, v166, v171
	s_delay_alu instid0(VALU_DEP_1) | instskip(NEXT) | instid1(VALU_DEP_1)
	v_fmac_f32_e32 v11, v167, v170
	;; [unrolled: 8-line block ×8, first 2 shown]
	v_dual_add_f32 v9, v9, v11 :: v_dual_mul_f32 v11, v216, v221
	s_delay_alu instid0(VALU_DEP_1) | instskip(NEXT) | instid1(VALU_DEP_1)
	v_fmac_f32_e32 v11, v217, v220
	v_add_f32_e32 v9, v9, v11
	v_mul_f32_e32 v11, v222, v227
	s_delay_alu instid0(VALU_DEP_1) | instskip(NEXT) | instid1(VALU_DEP_1)
	v_fmac_f32_e32 v11, v223, v226
	v_dual_add_f32 v9, v9, v11 :: v_dual_mul_f32 v11, v224, v229
	s_delay_alu instid0(VALU_DEP_1) | instskip(NEXT) | instid1(VALU_DEP_1)
	v_fmac_f32_e32 v11, v225, v228
	v_add_f32_e32 v255, v9, v11
	v_dual_mul_f32 v9, v111, v127 :: v_dual_mul_f32 v11, v113, v129
	s_delay_alu instid0(VALU_DEP_1) | instskip(NEXT) | instid1(VALU_DEP_1)
	v_dual_fma_f32 v9, v110, v126, -v9 :: v_dual_fma_f32 v11, v112, v128, -v11
	v_add_f32_e32 v9, 0, v9
	s_delay_alu instid0(VALU_DEP_1) | instskip(SKIP_1) | instid1(VALU_DEP_1)
	v_add_f32_e32 v9, v9, v11
	v_mul_f32_e32 v11, v115, v131
	v_fma_f32 v11, v114, v130, -v11
	s_delay_alu instid0(VALU_DEP_1) | instskip(SKIP_1) | instid1(VALU_DEP_1)
	v_add_f32_e32 v9, v9, v11
	v_mul_f32_e32 v11, v117, v133
	v_fma_f32 v11, v116, v132, -v11
	;; [unrolled: 4-line block ×6, first 2 shown]
	ds_load_b128 v[110:113], v7 offset:800
	ds_load_b128 v[114:117], v7 offset:816
	;; [unrolled: 1-line block ×4, first 2 shown]
	v_add_f32_e32 v9, v9, v11
	v_mul_f32_e32 v11, v143, v147
	s_delay_alu instid0(VALU_DEP_1) | instskip(NEXT) | instid1(VALU_DEP_1)
	v_fma_f32 v11, v142, v146, -v11
	v_add_f32_e32 v9, v9, v11
	v_mul_f32_e32 v11, v145, v149
	s_wait_loadcnt_dscnt 0x303
	v_pk_mul_f32 v[128:129], v[110:111], v[238:239] op_sel:[1,1] op_sel_hi:[0,1]
	s_delay_alu instid0(VALU_DEP_2) | instskip(NEXT) | instid1(VALU_DEP_2)
	v_fma_f32 v11, v144, v148, -v11
	v_pk_fma_f32 v[130:131], v[110:111], v[238:239], v[128:129] neg_lo:[0,0,1] neg_hi:[0,0,1]
	v_pk_fma_f32 v[110:111], v[110:111], v[238:239], v[128:129] op_sel_hi:[1,0,1]
	v_mov_b32_e32 v128, v241
	s_delay_alu instid0(VALU_DEP_4) | instskip(SKIP_1) | instid1(VALU_DEP_1)
	v_add_f32_e32 v9, v9, v11
	v_mul_f32_e32 v11, v151, v155
	v_dual_mov_b32 v131, v111 :: v_dual_fma_f32 v11, v150, v154, -v11
	s_delay_alu instid0(VALU_DEP_1) | instskip(SKIP_1) | instid1(VALU_DEP_1)
	v_add_f32_e32 v9, v9, v11
	v_mul_f32_e32 v11, v153, v157
	v_fma_f32 v11, v152, v156, -v11
	s_delay_alu instid0(VALU_DEP_1) | instskip(SKIP_1) | instid1(VALU_DEP_1)
	v_add_f32_e32 v9, v9, v11
	v_mul_f32_e32 v11, v159, v163
	v_fma_f32 v11, v158, v162, -v11
	;; [unrolled: 4-line block ×19, first 2 shown]
	s_delay_alu instid0(VALU_DEP_1) | instskip(SKIP_2) | instid1(VALU_DEP_1)
	v_add_f32_e32 v254, v9, v11
	v_mul_f32_e32 v9, v231, v235
	s_set_vgpr_msb 64                       ;  msbs: dst=1 src0=0 src1=0 src2=0
	v_fma_f32 v0 /*v256*/, v230, v234, -v9
	s_set_vgpr_msb 0                        ;  msbs: dst=0 src0=0 src1=0 src2=0
	v_mul_f32_e32 v9, v233, v237
	s_set_vgpr_msb 64                       ;  msbs: dst=1 src0=0 src1=0 src2=0
	s_delay_alu instid0(VALU_DEP_1) | instskip(SKIP_2) | instid1(VALU_DEP_1)
	v_fma_f32 v2 /*v258*/, v232, v236, -v9
	s_set_vgpr_msb 4                        ;  msbs: dst=0 src0=0 src1=1 src2=0
	v_pk_add_f32 v[126:127], v[254:255], v[0:1] /*v[256:257]*/
	v_pk_add_f32 v[126:127], v[126:127], v[2:3] /*v[258:259]*/
	s_set_vgpr_msb 0                        ;  msbs: dst=0 src0=0 src1=0 src2=0
	s_delay_alu instid0(VALU_DEP_1) | instskip(SKIP_1) | instid1(VALU_DEP_1)
	v_pk_add_f32 v[110:111], v[126:127], v[130:131]
	v_dual_mov_b32 v126, v113 :: v_dual_mov_b32 v127, v112
	v_pk_mul_f32 v[126:127], v[126:127], v[128:129] op_sel_hi:[1,0]
	s_delay_alu instid0(VALU_DEP_1) | instskip(SKIP_1) | instid1(VALU_DEP_1)
	v_pk_fma_f32 v[128:129], v[112:113], v[240:241], v[126:127] neg_lo:[0,0,1] neg_hi:[0,0,1]
	v_pk_fma_f32 v[112:113], v[112:113], v[240:241], v[126:127] op_sel_hi:[1,0,1]
	v_mov_b32_e32 v129, v113
	s_wait_loadcnt_dscnt 0x202
	v_pk_mul_f32 v[112:113], v[114:115], v[242:243] op_sel:[1,1] op_sel_hi:[0,1]
	s_delay_alu instid0(VALU_DEP_2) | instskip(NEXT) | instid1(VALU_DEP_2)
	v_pk_add_f32 v[110:111], v[110:111], v[128:129]
	v_pk_fma_f32 v[126:127], v[114:115], v[242:243], v[112:113] neg_lo:[0,0,1] neg_hi:[0,0,1]
	v_pk_fma_f32 v[112:113], v[114:115], v[242:243], v[112:113] op_sel_hi:[1,0,1]
	v_dual_mov_b32 v112, v117 :: v_dual_mov_b32 v114, v245
	s_delay_alu instid0(VALU_DEP_2) | instskip(NEXT) | instid1(VALU_DEP_1)
	v_dual_mov_b32 v127, v113 :: v_dual_mov_b32 v113, v116
	v_pk_add_f32 v[110:111], v[110:111], v[126:127]
	s_delay_alu instid0(VALU_DEP_2) | instskip(NEXT) | instid1(VALU_DEP_1)
	v_pk_mul_f32 v[112:113], v[112:113], v[114:115] op_sel_hi:[1,0]
	v_pk_fma_f32 v[114:115], v[116:117], v[244:245], v[112:113] neg_lo:[0,0,1] neg_hi:[0,0,1]
	v_pk_fma_f32 v[112:113], v[116:117], v[244:245], v[112:113] op_sel_hi:[1,0,1]
	s_delay_alu instid0(VALU_DEP_1) | instskip(SKIP_2) | instid1(VALU_DEP_2)
	v_mov_b32_e32 v115, v113
	s_wait_loadcnt_dscnt 0x101
	v_pk_mul_f32 v[112:113], v[118:119], v[246:247] op_sel:[1,1] op_sel_hi:[0,1]
	v_pk_add_f32 v[110:111], v[110:111], v[114:115]
	s_delay_alu instid0(VALU_DEP_2) | instskip(SKIP_1) | instid1(VALU_DEP_1)
	v_pk_fma_f32 v[114:115], v[118:119], v[246:247], v[112:113] neg_lo:[0,0,1] neg_hi:[0,0,1]
	v_pk_fma_f32 v[112:113], v[118:119], v[246:247], v[112:113] op_sel_hi:[1,0,1]
	v_dual_mov_b32 v112, v121 :: v_dual_mov_b32 v115, v113
	v_mov_b32_e32 v113, v120
	s_delay_alu instid0(VALU_DEP_2) | instskip(SKIP_1) | instid1(VALU_DEP_1)
	v_pk_add_f32 v[110:111], v[110:111], v[114:115]
	v_mov_b32_e32 v114, v249
	v_pk_mul_f32 v[112:113], v[112:113], v[114:115] op_sel_hi:[1,0]
	s_delay_alu instid0(VALU_DEP_1) | instskip(SKIP_1) | instid1(VALU_DEP_1)
	v_pk_fma_f32 v[114:115], v[120:121], v[248:249], v[112:113] neg_lo:[0,0,1] neg_hi:[0,0,1]
	v_pk_fma_f32 v[112:113], v[120:121], v[248:249], v[112:113] op_sel_hi:[1,0,1]
	v_mov_b32_e32 v115, v113
	s_wait_loadcnt_dscnt 0x0
	v_pk_mul_f32 v[112:113], v[122:123], v[250:251] op_sel:[1,1] op_sel_hi:[0,1]
	s_delay_alu instid0(VALU_DEP_2) | instskip(NEXT) | instid1(VALU_DEP_2)
	v_pk_add_f32 v[110:111], v[110:111], v[114:115]
	v_pk_fma_f32 v[114:115], v[122:123], v[250:251], v[112:113] neg_lo:[0,0,1] neg_hi:[0,0,1]
	v_pk_fma_f32 v[112:113], v[122:123], v[250:251], v[112:113] op_sel_hi:[1,0,1]
	s_delay_alu instid0(VALU_DEP_1) | instskip(SKIP_1) | instid1(VALU_DEP_2)
	v_dual_mov_b32 v112, v125 :: v_dual_mov_b32 v115, v113
	v_mov_b32_e32 v113, v124
	v_pk_add_f32 v[110:111], v[110:111], v[114:115]
	v_mov_b32_e32 v114, v253
	s_delay_alu instid0(VALU_DEP_1) | instskip(NEXT) | instid1(VALU_DEP_1)
	v_pk_mul_f32 v[112:113], v[112:113], v[114:115] op_sel_hi:[1,0]
	v_pk_fma_f32 v[114:115], v[124:125], v[252:253], v[112:113] neg_lo:[0,0,1] neg_hi:[0,0,1]
	v_pk_fma_f32 v[112:113], v[124:125], v[252:253], v[112:113] op_sel_hi:[1,0,1]
	s_delay_alu instid0(VALU_DEP_1) | instskip(SKIP_3) | instid1(VALU_DEP_1)
	v_mov_b32_e32 v115, v113
	scratch_load_b64 v[112:113], off, off offset:104
	v_pk_add_f32 v[110:111], v[110:111], v[114:115]
	s_wait_loadcnt 0x0
	v_pk_add_f32 v[110:111], v[112:113], v[110:111] neg_lo:[0,1] neg_hi:[0,1]
	scratch_store_b64 off, v[110:111], off offset:104
	s_wait_xcnt 0x0
	v_cmpx_lt_u32_e32 12, v0
	s_cbranch_execz .LBB53_313
; %bb.312:
	scratch_load_b64 v[110:111], off, off offset:96
	v_mov_b64_e32 v[112:113], 0
	scratch_store_b64 off, v[112:113], off offset:96
	s_wait_loadcnt 0x0
	ds_store_b64 v1, v[110:111]
.LBB53_313:
	s_wait_xcnt 0x0
	s_or_b32 exec_lo, exec_lo, s0
	s_wait_storecnt_dscnt 0x0
	s_barrier_signal -1
	s_barrier_wait -1
	s_clause 0xf
	scratch_load_b128 v[114:117], off, off offset:104
	scratch_load_b128 v[122:125], off, off offset:120
	scratch_load_b128 v[130:133], off, off offset:136
	scratch_load_b128 v[138:141], off, off offset:152
	scratch_load_b128 v[146:149], off, off offset:168
	scratch_load_b128 v[154:157], off, off offset:184
	scratch_load_b128 v[162:165], off, off offset:200
	scratch_load_b128 v[170:173], off, off offset:216
	scratch_load_b128 v[178:181], off, off offset:232
	scratch_load_b128 v[186:189], off, off offset:248
	scratch_load_b128 v[194:197], off, off offset:264
	scratch_load_b128 v[202:205], off, off offset:280
	scratch_load_b128 v[210:213], off, off offset:296
	scratch_load_b128 v[218:221], off, off offset:312
	scratch_load_b128 v[226:229], off, off offset:328
	scratch_load_b128 v[234:237], off, off offset:344
	v_mov_b32_e32 v7, 0
	scratch_load_b128 v[242:245], off, off offset:360
	s_mov_b32 s0, exec_lo
	ds_load_2addr_b64 v[110:113], v7 offset0:67 offset1:68
	ds_load_2addr_b64 v[118:121], v7 offset0:69 offset1:70
	s_wait_loadcnt_dscnt 0x1001
	v_dual_mul_f32 v9, v110, v115 :: v_dual_mul_f32 v11, v112, v117
	ds_load_2addr_b64 v[126:129], v7 offset0:71 offset1:72
	ds_load_2addr_b64 v[134:137], v7 offset0:73 offset1:74
	;; [unrolled: 1-line block ×4, first 2 shown]
	v_dual_fmac_f32 v9, v111, v114 :: v_dual_fmac_f32 v11, v113, v116
	ds_load_2addr_b64 v[142:145], v7 offset0:75 offset1:76
	ds_load_2addr_b64 v[150:153], v7 offset0:77 offset1:78
	;; [unrolled: 1-line block ×3, first 2 shown]
	v_add_f32_e32 v9, 0, v9
	ds_load_2addr_b64 v[158:161], v7 offset0:79 offset1:80
	ds_load_2addr_b64 v[166:169], v7 offset0:81 offset1:82
	;; [unrolled: 1-line block ×4, first 2 shown]
	v_add_f32_e32 v9, v9, v11
	s_wait_loadcnt_dscnt 0xf0b
	v_mul_f32_e32 v11, v118, v123
	ds_load_2addr_b64 v[190:193], v7 offset0:87 offset1:88
	ds_load_2addr_b64 v[198:201], v7 offset0:89 offset1:90
	;; [unrolled: 1-line block ×4, first 2 shown]
	v_fmac_f32_e32 v11, v119, v122
	s_clause 0x4
	scratch_load_b128 v[246:249], off, off offset:376
	scratch_load_b128 v[250:253], off, off offset:392
	scratch_load_b128 v[254:257], off, off offset:408
	s_set_vgpr_msb 64                       ;  msbs: dst=1 src0=0 src1=0 src2=0
	scratch_load_b64 v[8:9] /*v[264:265]*/, off, off offset:424
	s_wait_loadcnt_dscnt 0x50b
	v_mul_f32_e32 v5 /*v261*/, v232, v237
	s_set_vgpr_msb 0                        ;  msbs: dst=0 src0=0 src1=0 src2=0
	v_dual_add_f32 v9, v9, v11 :: v_dual_mul_f32 v11, v120, v125
	s_wait_loadcnt_dscnt 0x408
	s_set_vgpr_msb 64                       ;  msbs: dst=1 src0=0 src1=0 src2=0
	v_dual_fmac_f32 v5 /*v261*/, v233, v236 :: v_dual_mul_f32 v7 /*v263*/, v238, v243
	s_set_vgpr_msb 0                        ;  msbs: dst=0 src0=0 src1=0 src2=0
	v_fmac_f32_e32 v11, v121, v124
	s_delay_alu instid0(VALU_DEP_1) | instskip(SKIP_1) | instid1(VALU_DEP_1)
	v_add_f32_e32 v9, v9, v11
	v_mul_f32_e32 v11, v126, v131
	v_fmac_f32_e32 v11, v127, v130
	s_delay_alu instid0(VALU_DEP_1) | instskip(NEXT) | instid1(VALU_DEP_1)
	v_dual_add_f32 v9, v9, v11 :: v_dual_mul_f32 v11, v128, v133
	v_fmac_f32_e32 v11, v129, v132
	s_delay_alu instid0(VALU_DEP_1) | instskip(SKIP_1) | instid1(VALU_DEP_1)
	v_add_f32_e32 v9, v9, v11
	v_mul_f32_e32 v11, v134, v139
	v_fmac_f32_e32 v11, v135, v138
	s_delay_alu instid0(VALU_DEP_1) | instskip(NEXT) | instid1(VALU_DEP_1)
	v_dual_add_f32 v9, v9, v11 :: v_dual_mul_f32 v11, v136, v141
	;; [unrolled: 7-line block ×4, first 2 shown]
	v_fmac_f32_e32 v11, v153, v156
	s_delay_alu instid0(VALU_DEP_1) | instskip(SKIP_2) | instid1(VALU_DEP_1)
	v_add_f32_e32 v9, v9, v11
	s_wait_dscnt 0x7
	v_mul_f32_e32 v11, v158, v163
	v_fmac_f32_e32 v11, v159, v162
	s_delay_alu instid0(VALU_DEP_1) | instskip(NEXT) | instid1(VALU_DEP_1)
	v_dual_add_f32 v9, v9, v11 :: v_dual_mul_f32 v11, v160, v165
	v_fmac_f32_e32 v11, v161, v164
	s_delay_alu instid0(VALU_DEP_1) | instskip(SKIP_2) | instid1(VALU_DEP_1)
	v_add_f32_e32 v9, v9, v11
	s_wait_dscnt 0x6
	v_mul_f32_e32 v11, v166, v171
	v_fmac_f32_e32 v11, v167, v170
	s_delay_alu instid0(VALU_DEP_1) | instskip(NEXT) | instid1(VALU_DEP_1)
	v_dual_add_f32 v9, v9, v11 :: v_dual_mul_f32 v11, v168, v173
	;; [unrolled: 8-line block ×8, first 2 shown]
	v_fmac_f32_e32 v11, v217, v220
	s_delay_alu instid0(VALU_DEP_1) | instskip(SKIP_1) | instid1(VALU_DEP_1)
	v_add_f32_e32 v9, v9, v11
	v_mul_f32_e32 v11, v222, v227
	v_fmac_f32_e32 v11, v223, v226
	s_delay_alu instid0(VALU_DEP_1) | instskip(NEXT) | instid1(VALU_DEP_1)
	v_dual_add_f32 v9, v9, v11 :: v_dual_mul_f32 v11, v224, v229
	v_fmac_f32_e32 v11, v225, v228
	s_delay_alu instid0(VALU_DEP_1) | instskip(SKIP_1) | instid1(VALU_DEP_1)
	v_add_f32_e32 v9, v9, v11
	v_mul_f32_e32 v11, v230, v235
	v_fmac_f32_e32 v11, v231, v234
	s_set_vgpr_msb 64                       ;  msbs: dst=1 src0=0 src1=0 src2=0
	s_delay_alu instid0(VALU_DEP_1) | instskip(SKIP_2) | instid1(VALU_DEP_1)
	v_add_f32_e32 v3 /*v259*/, v9, v11
	s_set_vgpr_msb 0                        ;  msbs: dst=0 src0=0 src1=0 src2=0
	v_dual_mul_f32 v9, v111, v115 :: v_dual_mul_f32 v11, v113, v117
	v_dual_fma_f32 v9, v110, v114, -v9 :: v_dual_fma_f32 v11, v112, v116, -v11
	s_delay_alu instid0(VALU_DEP_1) | instskip(NEXT) | instid1(VALU_DEP_1)
	v_add_f32_e32 v9, 0, v9
	v_add_f32_e32 v9, v9, v11
	v_mul_f32_e32 v11, v119, v123
	s_delay_alu instid0(VALU_DEP_1) | instskip(NEXT) | instid1(VALU_DEP_1)
	v_fma_f32 v11, v118, v122, -v11
	v_add_f32_e32 v9, v9, v11
	v_mul_f32_e32 v11, v121, v125
	s_delay_alu instid0(VALU_DEP_1)
	v_fma_f32 v11, v120, v124, -v11
	ds_load_2addr_b64 v[110:113], v7 offset0:101 offset1:102
	ds_load_2addr_b64 v[114:117], v7 offset0:103 offset1:104
	;; [unrolled: 1-line block ×3, first 2 shown]
	ds_load_b64 v[122:123], v7 offset:856
	v_add_f32_e32 v9, v9, v11
	v_dual_mul_f32 v11, v127, v131 :: v_dual_mov_b32 v127, v240
	s_delay_alu instid0(VALU_DEP_1) | instskip(NEXT) | instid1(VALU_DEP_1)
	v_dual_fma_f32 v11, v126, v130, -v11 :: v_dual_mov_b32 v126, v241
	v_add_f32_e32 v9, v9, v11
	v_mul_f32_e32 v11, v129, v133
	s_delay_alu instid0(VALU_DEP_1) | instskip(NEXT) | instid1(VALU_DEP_1)
	v_dual_fma_f32 v11, v128, v132, -v11 :: v_dual_mov_b32 v128, v245
	v_add_f32_e32 v9, v9, v11
	v_mul_f32_e32 v11, v135, v139
	s_delay_alu instid0(VALU_DEP_3) | instskip(NEXT) | instid1(VALU_DEP_2)
	v_pk_mul_f32 v[126:127], v[126:127], v[128:129] op_sel_hi:[1,0]
	v_fma_f32 v11, v134, v138, -v11
	s_delay_alu instid0(VALU_DEP_2) | instskip(SKIP_1) | instid1(VALU_DEP_3)
	v_pk_fma_f32 v[128:129], v[240:241], v[244:245], v[126:127] neg_lo:[0,0,1] neg_hi:[0,0,1]
	v_pk_fma_f32 v[126:127], v[240:241], v[244:245], v[126:127] op_sel_hi:[1,0,1]
	v_add_f32_e32 v9, v9, v11
	s_delay_alu instid0(VALU_DEP_2) | instskip(SKIP_2) | instid1(VALU_DEP_2)
	v_dual_mul_f32 v11, v137, v141 :: v_dual_mov_b32 v129, v127
	s_wait_loadcnt_dscnt 0x303
	v_pk_mul_f32 v[126:127], v[110:111], v[246:247] op_sel:[1,1] op_sel_hi:[0,1]
	v_fma_f32 v11, v136, v140, -v11
	s_delay_alu instid0(VALU_DEP_1) | instskip(SKIP_1) | instid1(VALU_DEP_1)
	v_add_f32_e32 v9, v9, v11
	v_mul_f32_e32 v11, v143, v147
	v_fma_f32 v11, v142, v146, -v11
	s_delay_alu instid0(VALU_DEP_1) | instskip(SKIP_1) | instid1(VALU_DEP_1)
	v_add_f32_e32 v9, v9, v11
	v_mul_f32_e32 v11, v145, v149
	;; [unrolled: 4-line block ×23, first 2 shown]
	v_fma_f32 v11, v230, v234, -v11
	s_set_vgpr_msb 64                       ;  msbs: dst=1 src0=0 src1=0 src2=0
	s_delay_alu instid0(VALU_DEP_1) | instskip(SKIP_3) | instid1(VALU_DEP_1)
	v_dual_fmac_f32 v7 /*v263*/, v239, v242 :: v_dual_add_f32 v2 /*v258*/, v9, v11
	s_set_vgpr_msb 0                        ;  msbs: dst=0 src0=0 src1=0 src2=0
	v_mul_f32_e32 v9, v233, v237
	s_set_vgpr_msb 64                       ;  msbs: dst=1 src0=0 src1=0 src2=0
	v_fma_f32 v4 /*v260*/, v232, v236, -v9
	s_set_vgpr_msb 0                        ;  msbs: dst=0 src0=0 src1=0 src2=0
	v_mul_f32_e32 v9, v239, v243
	s_set_vgpr_msb 64                       ;  msbs: dst=1 src0=0 src1=0 src2=0
	s_delay_alu instid0(VALU_DEP_1) | instskip(SKIP_3) | instid1(VALU_DEP_1)
	v_fma_f32 v6 /*v262*/, v238, v242, -v9
	s_set_vgpr_msb 5                        ;  msbs: dst=0 src0=1 src1=1 src2=0
	v_pk_add_f32 v[124:125], v[2:3] /*v[258:259]*/, v[4:5] /*v[260:261]*/
	s_set_vgpr_msb 4                        ;  msbs: dst=0 src0=0 src1=1 src2=0
	v_pk_add_f32 v[124:125], v[124:125], v[6:7] /*v[262:263]*/
	s_set_vgpr_msb 0                        ;  msbs: dst=0 src0=0 src1=0 src2=0
	s_delay_alu instid0(VALU_DEP_1) | instskip(SKIP_2) | instid1(VALU_DEP_1)
	v_pk_add_f32 v[124:125], v[124:125], v[128:129]
	v_pk_fma_f32 v[128:129], v[110:111], v[246:247], v[126:127] neg_lo:[0,0,1] neg_hi:[0,0,1]
	v_pk_fma_f32 v[110:111], v[110:111], v[246:247], v[126:127] op_sel_hi:[1,0,1]
	v_dual_mov_b32 v126, v249 :: v_dual_mov_b32 v129, v111
	s_delay_alu instid0(VALU_DEP_1) | instskip(SKIP_1) | instid1(VALU_DEP_1)
	v_pk_add_f32 v[110:111], v[124:125], v[128:129]
	v_dual_mov_b32 v124, v113 :: v_dual_mov_b32 v125, v112
	v_pk_mul_f32 v[124:125], v[124:125], v[126:127] op_sel_hi:[1,0]
	s_delay_alu instid0(VALU_DEP_1) | instskip(SKIP_1) | instid1(VALU_DEP_1)
	v_pk_fma_f32 v[126:127], v[112:113], v[248:249], v[124:125] neg_lo:[0,0,1] neg_hi:[0,0,1]
	v_pk_fma_f32 v[112:113], v[112:113], v[248:249], v[124:125] op_sel_hi:[1,0,1]
	v_mov_b32_e32 v127, v113
	s_wait_loadcnt_dscnt 0x202
	v_pk_mul_f32 v[112:113], v[114:115], v[250:251] op_sel:[1,1] op_sel_hi:[0,1]
	s_delay_alu instid0(VALU_DEP_2) | instskip(NEXT) | instid1(VALU_DEP_2)
	v_pk_add_f32 v[110:111], v[110:111], v[126:127]
	v_pk_fma_f32 v[124:125], v[114:115], v[250:251], v[112:113] neg_lo:[0,0,1] neg_hi:[0,0,1]
	v_pk_fma_f32 v[112:113], v[114:115], v[250:251], v[112:113] op_sel_hi:[1,0,1]
	v_dual_mov_b32 v112, v117 :: v_dual_mov_b32 v114, v253
	s_delay_alu instid0(VALU_DEP_2) | instskip(NEXT) | instid1(VALU_DEP_1)
	v_dual_mov_b32 v125, v113 :: v_dual_mov_b32 v113, v116
	v_pk_add_f32 v[110:111], v[110:111], v[124:125]
	s_delay_alu instid0(VALU_DEP_2) | instskip(NEXT) | instid1(VALU_DEP_1)
	v_pk_mul_f32 v[112:113], v[112:113], v[114:115] op_sel_hi:[1,0]
	v_pk_fma_f32 v[114:115], v[116:117], v[252:253], v[112:113] neg_lo:[0,0,1] neg_hi:[0,0,1]
	v_pk_fma_f32 v[112:113], v[116:117], v[252:253], v[112:113] op_sel_hi:[1,0,1]
	s_delay_alu instid0(VALU_DEP_1) | instskip(SKIP_2) | instid1(VALU_DEP_2)
	v_mov_b32_e32 v115, v113
	s_wait_loadcnt_dscnt 0x101
	v_pk_mul_f32 v[112:113], v[118:119], v[254:255] op_sel:[1,1] op_sel_hi:[0,1]
	v_pk_add_f32 v[110:111], v[110:111], v[114:115]
	s_delay_alu instid0(VALU_DEP_2) | instskip(SKIP_1) | instid1(VALU_DEP_1)
	v_pk_fma_f32 v[114:115], v[118:119], v[254:255], v[112:113] neg_lo:[0,0,1] neg_hi:[0,0,1]
	v_pk_fma_f32 v[112:113], v[118:119], v[254:255], v[112:113] op_sel_hi:[1,0,1]
	v_dual_mov_b32 v112, v121 :: v_dual_mov_b32 v115, v113
	v_mov_b32_e32 v113, v120
	s_delay_alu instid0(VALU_DEP_2) | instskip(SKIP_3) | instid1(VALU_DEP_1)
	v_pk_add_f32 v[110:111], v[110:111], v[114:115]
	s_set_vgpr_msb 1                        ;  msbs: dst=0 src0=1 src1=0 src2=0
	v_mov_b32_e32 v114, v1 /*v257*/
	s_set_vgpr_msb 0                        ;  msbs: dst=0 src0=0 src1=0 src2=0
	v_pk_mul_f32 v[112:113], v[112:113], v[114:115] op_sel_hi:[1,0]
	s_set_vgpr_msb 4                        ;  msbs: dst=0 src0=0 src1=1 src2=0
	s_delay_alu instid0(VALU_DEP_1) | instskip(SKIP_1) | instid1(VALU_DEP_1)
	v_pk_fma_f32 v[114:115], v[120:121], v[0:1] /*v[256:257]*/, v[112:113] neg_lo:[0,0,1] neg_hi:[0,0,1]
	v_pk_fma_f32 v[112:113], v[120:121], v[0:1] /*v[256:257]*/, v[112:113] op_sel_hi:[1,0,1]
	v_mov_b32_e32 v115, v113
	s_wait_loadcnt_dscnt 0x0
	v_pk_mul_f32 v[112:113], v[122:123], v[8:9] /*v[264:265]*/ op_sel:[1,1] op_sel_hi:[0,1]
	s_set_vgpr_msb 0                        ;  msbs: dst=0 src0=0 src1=0 src2=0
	s_delay_alu instid0(VALU_DEP_2) | instskip(SKIP_1) | instid1(VALU_DEP_2)
	v_pk_add_f32 v[110:111], v[110:111], v[114:115]
	s_set_vgpr_msb 4                        ;  msbs: dst=0 src0=0 src1=1 src2=0
	v_pk_fma_f32 v[114:115], v[122:123], v[8:9] /*v[264:265]*/, v[112:113] neg_lo:[0,0,1] neg_hi:[0,0,1]
	v_pk_fma_f32 v[112:113], v[122:123], v[8:9] /*v[264:265]*/, v[112:113] op_sel_hi:[1,0,1]
	s_delay_alu instid0(VALU_DEP_1) | instskip(SKIP_4) | instid1(VALU_DEP_1)
	v_mov_b32_e32 v115, v113
	scratch_load_b64 v[112:113], off, off offset:96
	s_set_vgpr_msb 0                        ;  msbs: dst=0 src0=0 src1=0 src2=0
	v_pk_add_f32 v[110:111], v[110:111], v[114:115]
	s_wait_loadcnt 0x0
	v_pk_add_f32 v[110:111], v[112:113], v[110:111] neg_lo:[0,1] neg_hi:[0,1]
	scratch_store_b64 off, v[110:111], off offset:96
	s_wait_xcnt 0x0
	v_cmpx_lt_u32_e32 11, v0
	s_cbranch_execz .LBB53_315
; %bb.314:
	scratch_load_b64 v[110:111], off, off offset:88
	v_mov_b64_e32 v[112:113], 0
	scratch_store_b64 off, v[112:113], off offset:88
	s_wait_loadcnt 0x0
	ds_store_b64 v1, v[110:111]
.LBB53_315:
	s_wait_xcnt 0x0
	s_or_b32 exec_lo, exec_lo, s0
	s_wait_storecnt_dscnt 0x0
	s_barrier_signal -1
	s_barrier_wait -1
	ds_load_b128 v[110:113], v7 offset:528
	ds_load_b128 v[114:117], v7 offset:544
	ds_load_b128 v[118:121], v7 offset:560
	ds_load_b128 v[122:125], v7 offset:576
	s_clause 0x10
	scratch_load_b128 v[126:129], off, off offset:96
	scratch_load_b128 v[130:133], off, off offset:112
	;; [unrolled: 1-line block ×17, first 2 shown]
	ds_load_b128 v[142:145], v7 offset:592
	ds_load_b128 v[150:153], v7 offset:608
	;; [unrolled: 1-line block ×13, first 2 shown]
	s_clause 0x4
	scratch_load_b128 v[246:249], off, off offset:368
	scratch_load_b128 v[250:253], off, off offset:384
	;; [unrolled: 1-line block ×3, first 2 shown]
	s_set_vgpr_msb 64                       ;  msbs: dst=1 src0=0 src1=0 src2=0
	scratch_load_b128 v[2:5] /*v[258:261]*/, off, off offset:416
	s_mov_b32 s0, exec_lo
	s_wait_loadcnt_dscnt 0x1410
	s_set_vgpr_msb 0                        ;  msbs: dst=0 src0=0 src1=0 src2=0
	v_dual_mul_f32 v9, v110, v127 :: v_dual_mul_f32 v11, v112, v129
	s_delay_alu instid0(VALU_DEP_1) | instskip(NEXT) | instid1(VALU_DEP_1)
	v_dual_fmac_f32 v9, v111, v126 :: v_dual_fmac_f32 v11, v113, v128
	v_add_f32_e32 v9, 0, v9
	s_delay_alu instid0(VALU_DEP_1)
	v_add_f32_e32 v9, v9, v11
	s_wait_loadcnt_dscnt 0x130f
	v_mul_f32_e32 v11, v114, v131
	s_wait_loadcnt_dscnt 0x40a
	s_set_vgpr_msb 64                       ;  msbs: dst=1 src0=0 src1=0 src2=0
	v_dual_mul_f32 v9 /*v265*/, v238, v243 :: v_dual_mul_f32 v11 /*v267*/, v240, v245
	s_set_vgpr_msb 0                        ;  msbs: dst=0 src0=0 src1=0 src2=0
	v_fmac_f32_e32 v11, v115, v130
	s_set_vgpr_msb 64                       ;  msbs: dst=1 src0=0 src1=0 src2=0
	s_delay_alu instid0(VALU_DEP_2) | instskip(SKIP_1) | instid1(VALU_DEP_2)
	v_dual_fmac_f32 v9 /*v265*/, v239, v242 :: v_dual_fmac_f32 v11 /*v267*/, v241, v244
	s_set_vgpr_msb 0                        ;  msbs: dst=0 src0=0 src1=0 src2=0
	v_dual_add_f32 v9, v9, v11 :: v_dual_mul_f32 v11, v116, v133
	s_delay_alu instid0(VALU_DEP_1) | instskip(NEXT) | instid1(VALU_DEP_1)
	v_fmac_f32_e32 v11, v117, v132
	v_add_f32_e32 v9, v9, v11
	v_mul_f32_e32 v11, v118, v135
	s_delay_alu instid0(VALU_DEP_1) | instskip(NEXT) | instid1(VALU_DEP_1)
	v_fmac_f32_e32 v11, v119, v134
	v_dual_add_f32 v9, v9, v11 :: v_dual_mul_f32 v11, v120, v137
	s_delay_alu instid0(VALU_DEP_1) | instskip(NEXT) | instid1(VALU_DEP_1)
	v_fmac_f32_e32 v11, v121, v136
	v_add_f32_e32 v9, v9, v11
	v_mul_f32_e32 v11, v122, v139
	s_delay_alu instid0(VALU_DEP_1) | instskip(NEXT) | instid1(VALU_DEP_1)
	v_fmac_f32_e32 v11, v123, v138
	;; [unrolled: 7-line block ×4, first 2 shown]
	v_dual_add_f32 v9, v9, v11 :: v_dual_mul_f32 v11, v152, v157
	s_delay_alu instid0(VALU_DEP_1) | instskip(NEXT) | instid1(VALU_DEP_1)
	v_fmac_f32_e32 v11, v153, v156
	v_add_f32_e32 v9, v9, v11
	s_wait_dscnt 0x9
	v_mul_f32_e32 v11, v158, v163
	s_delay_alu instid0(VALU_DEP_1) | instskip(NEXT) | instid1(VALU_DEP_1)
	v_fmac_f32_e32 v11, v159, v162
	v_dual_add_f32 v9, v9, v11 :: v_dual_mul_f32 v11, v160, v165
	s_delay_alu instid0(VALU_DEP_1) | instskip(NEXT) | instid1(VALU_DEP_1)
	v_fmac_f32_e32 v11, v161, v164
	v_add_f32_e32 v9, v9, v11
	s_wait_dscnt 0x8
	v_mul_f32_e32 v11, v166, v171
	s_delay_alu instid0(VALU_DEP_1) | instskip(NEXT) | instid1(VALU_DEP_1)
	v_fmac_f32_e32 v11, v167, v170
	;; [unrolled: 8-line block ×10, first 2 shown]
	v_dual_add_f32 v9, v9, v11 :: v_dual_mul_f32 v11, v232, v237
	s_delay_alu instid0(VALU_DEP_1) | instskip(SKIP_1) | instid1(VALU_DEP_1)
	v_fmac_f32_e32 v11, v233, v236
	s_set_vgpr_msb 64                       ;  msbs: dst=1 src0=0 src1=0 src2=0
	v_add_f32_e32 v7 /*v263*/, v9, v11
	s_set_vgpr_msb 0                        ;  msbs: dst=0 src0=0 src1=0 src2=0
	v_dual_mul_f32 v9, v111, v127 :: v_dual_mul_f32 v11, v113, v129
	s_delay_alu instid0(VALU_DEP_1) | instskip(NEXT) | instid1(VALU_DEP_1)
	v_dual_fma_f32 v9, v110, v126, -v9 :: v_dual_fma_f32 v11, v112, v128, -v11
	v_add_f32_e32 v9, 0, v9
	s_delay_alu instid0(VALU_DEP_1) | instskip(SKIP_1) | instid1(VALU_DEP_1)
	v_add_f32_e32 v9, v9, v11
	v_mul_f32_e32 v11, v115, v131
	v_fma_f32 v11, v114, v130, -v11
	s_delay_alu instid0(VALU_DEP_1) | instskip(SKIP_1) | instid1(VALU_DEP_1)
	v_add_f32_e32 v9, v9, v11
	v_mul_f32_e32 v11, v117, v133
	v_fma_f32 v11, v116, v132, -v11
	;; [unrolled: 4-line block ×6, first 2 shown]
	ds_load_b128 v[110:113], v7 offset:800
	ds_load_b128 v[114:117], v7 offset:816
	;; [unrolled: 1-line block ×4, first 2 shown]
	v_add_f32_e32 v9, v9, v11
	v_mul_f32_e32 v11, v143, v147
	s_delay_alu instid0(VALU_DEP_1) | instskip(NEXT) | instid1(VALU_DEP_1)
	v_fma_f32 v11, v142, v146, -v11
	v_add_f32_e32 v9, v9, v11
	v_mul_f32_e32 v11, v145, v149
	s_wait_loadcnt_dscnt 0x303
	v_pk_mul_f32 v[128:129], v[110:111], v[246:247] op_sel:[1,1] op_sel_hi:[0,1]
	s_delay_alu instid0(VALU_DEP_2) | instskip(NEXT) | instid1(VALU_DEP_2)
	v_fma_f32 v11, v144, v148, -v11
	v_pk_fma_f32 v[130:131], v[110:111], v[246:247], v[128:129] neg_lo:[0,0,1] neg_hi:[0,0,1]
	v_pk_fma_f32 v[110:111], v[110:111], v[246:247], v[128:129] op_sel_hi:[1,0,1]
	v_mov_b32_e32 v128, v249
	s_delay_alu instid0(VALU_DEP_4) | instskip(SKIP_1) | instid1(VALU_DEP_1)
	v_add_f32_e32 v9, v9, v11
	v_mul_f32_e32 v11, v151, v155
	v_dual_mov_b32 v131, v111 :: v_dual_fma_f32 v11, v150, v154, -v11
	s_delay_alu instid0(VALU_DEP_1) | instskip(SKIP_1) | instid1(VALU_DEP_1)
	v_add_f32_e32 v9, v9, v11
	v_mul_f32_e32 v11, v153, v157
	v_fma_f32 v11, v152, v156, -v11
	s_delay_alu instid0(VALU_DEP_1) | instskip(SKIP_1) | instid1(VALU_DEP_1)
	v_add_f32_e32 v9, v9, v11
	v_mul_f32_e32 v11, v159, v163
	v_fma_f32 v11, v158, v162, -v11
	;; [unrolled: 4-line block ×21, first 2 shown]
	s_set_vgpr_msb 64                       ;  msbs: dst=1 src0=0 src1=0 src2=0
	s_delay_alu instid0(VALU_DEP_1) | instskip(SKIP_3) | instid1(VALU_DEP_1)
	v_add_f32_e32 v6 /*v262*/, v9, v11
	s_set_vgpr_msb 0                        ;  msbs: dst=0 src0=0 src1=0 src2=0
	v_mul_f32_e32 v9, v239, v243
	s_set_vgpr_msb 64                       ;  msbs: dst=1 src0=0 src1=0 src2=0
	v_fma_f32 v8 /*v264*/, v238, v242, -v9
	s_set_vgpr_msb 0                        ;  msbs: dst=0 src0=0 src1=0 src2=0
	v_mul_f32_e32 v9, v241, v245
	s_set_vgpr_msb 5                        ;  msbs: dst=0 src0=1 src1=1 src2=0
	s_delay_alu instid0(VALU_DEP_2) | instskip(SKIP_1) | instid1(VALU_DEP_2)
	v_pk_add_f32 v[126:127], v[6:7] /*v[262:263]*/, v[8:9] /*v[264:265]*/
	s_set_vgpr_msb 64                       ;  msbs: dst=1 src0=0 src1=0 src2=0
	v_fma_f32 v10 /*v266*/, v240, v244, -v9
	s_set_vgpr_msb 4                        ;  msbs: dst=0 src0=0 src1=1 src2=0
	s_delay_alu instid0(VALU_DEP_1) | instskip(SKIP_1) | instid1(VALU_DEP_1)
	v_pk_add_f32 v[126:127], v[126:127], v[10:11] /*v[266:267]*/
	s_set_vgpr_msb 0                        ;  msbs: dst=0 src0=0 src1=0 src2=0
	v_pk_add_f32 v[110:111], v[126:127], v[130:131]
	v_dual_mov_b32 v126, v113 :: v_dual_mov_b32 v127, v112
	s_delay_alu instid0(VALU_DEP_1) | instskip(NEXT) | instid1(VALU_DEP_1)
	v_pk_mul_f32 v[126:127], v[126:127], v[128:129] op_sel_hi:[1,0]
	v_pk_fma_f32 v[128:129], v[112:113], v[248:249], v[126:127] neg_lo:[0,0,1] neg_hi:[0,0,1]
	v_pk_fma_f32 v[112:113], v[112:113], v[248:249], v[126:127] op_sel_hi:[1,0,1]
	s_delay_alu instid0(VALU_DEP_1) | instskip(SKIP_2) | instid1(VALU_DEP_2)
	v_mov_b32_e32 v129, v113
	s_wait_loadcnt_dscnt 0x202
	v_pk_mul_f32 v[112:113], v[114:115], v[250:251] op_sel:[1,1] op_sel_hi:[0,1]
	v_pk_add_f32 v[110:111], v[110:111], v[128:129]
	s_delay_alu instid0(VALU_DEP_2) | instskip(SKIP_2) | instid1(VALU_DEP_2)
	v_pk_fma_f32 v[126:127], v[114:115], v[250:251], v[112:113] neg_lo:[0,0,1] neg_hi:[0,0,1]
	v_pk_fma_f32 v[112:113], v[114:115], v[250:251], v[112:113] op_sel_hi:[1,0,1]
	v_dual_mov_b32 v112, v117 :: v_dual_mov_b32 v114, v253
	v_dual_mov_b32 v127, v113 :: v_dual_mov_b32 v113, v116
	s_delay_alu instid0(VALU_DEP_1) | instskip(NEXT) | instid1(VALU_DEP_2)
	v_pk_add_f32 v[110:111], v[110:111], v[126:127]
	v_pk_mul_f32 v[112:113], v[112:113], v[114:115] op_sel_hi:[1,0]
	s_delay_alu instid0(VALU_DEP_1) | instskip(SKIP_1) | instid1(VALU_DEP_1)
	v_pk_fma_f32 v[114:115], v[116:117], v[252:253], v[112:113] neg_lo:[0,0,1] neg_hi:[0,0,1]
	v_pk_fma_f32 v[112:113], v[116:117], v[252:253], v[112:113] op_sel_hi:[1,0,1]
	v_mov_b32_e32 v115, v113
	s_wait_loadcnt_dscnt 0x101
	v_pk_mul_f32 v[112:113], v[118:119], v[254:255] op_sel:[1,1] op_sel_hi:[0,1]
	s_delay_alu instid0(VALU_DEP_2) | instskip(NEXT) | instid1(VALU_DEP_2)
	v_pk_add_f32 v[110:111], v[110:111], v[114:115]
	v_pk_fma_f32 v[114:115], v[118:119], v[254:255], v[112:113] neg_lo:[0,0,1] neg_hi:[0,0,1]
	v_pk_fma_f32 v[112:113], v[118:119], v[254:255], v[112:113] op_sel_hi:[1,0,1]
	s_delay_alu instid0(VALU_DEP_1) | instskip(SKIP_1) | instid1(VALU_DEP_2)
	v_dual_mov_b32 v112, v121 :: v_dual_mov_b32 v115, v113
	v_mov_b32_e32 v113, v120
	v_pk_add_f32 v[110:111], v[110:111], v[114:115]
	s_set_vgpr_msb 1                        ;  msbs: dst=0 src0=1 src1=0 src2=0
	v_mov_b32_e32 v114, v1 /*v257*/
	s_set_vgpr_msb 0                        ;  msbs: dst=0 src0=0 src1=0 src2=0
	s_delay_alu instid0(VALU_DEP_1) | instskip(SKIP_1) | instid1(VALU_DEP_1)
	v_pk_mul_f32 v[112:113], v[112:113], v[114:115] op_sel_hi:[1,0]
	s_set_vgpr_msb 4                        ;  msbs: dst=0 src0=0 src1=1 src2=0
	v_pk_fma_f32 v[114:115], v[120:121], v[0:1] /*v[256:257]*/, v[112:113] neg_lo:[0,0,1] neg_hi:[0,0,1]
	v_pk_fma_f32 v[112:113], v[120:121], v[0:1] /*v[256:257]*/, v[112:113] op_sel_hi:[1,0,1]
	s_delay_alu instid0(VALU_DEP_1) | instskip(SKIP_3) | instid1(VALU_DEP_2)
	v_mov_b32_e32 v115, v113
	s_wait_loadcnt_dscnt 0x0
	v_pk_mul_f32 v[112:113], v[122:123], v[2:3] /*v[258:259]*/ op_sel:[1,1] op_sel_hi:[0,1]
	s_set_vgpr_msb 0                        ;  msbs: dst=0 src0=0 src1=0 src2=0
	v_pk_add_f32 v[110:111], v[110:111], v[114:115]
	s_set_vgpr_msb 4                        ;  msbs: dst=0 src0=0 src1=1 src2=0
	s_delay_alu instid0(VALU_DEP_2) | instskip(SKIP_1) | instid1(VALU_DEP_1)
	v_pk_fma_f32 v[114:115], v[122:123], v[2:3] /*v[258:259]*/, v[112:113] neg_lo:[0,0,1] neg_hi:[0,0,1]
	v_pk_fma_f32 v[112:113], v[122:123], v[2:3] /*v[258:259]*/, v[112:113] op_sel_hi:[1,0,1]
	v_dual_mov_b32 v112, v125 :: v_dual_mov_b32 v115, v113
	v_mov_b32_e32 v113, v124
	s_set_vgpr_msb 0                        ;  msbs: dst=0 src0=0 src1=0 src2=0
	s_delay_alu instid0(VALU_DEP_2) | instskip(SKIP_3) | instid1(VALU_DEP_1)
	v_pk_add_f32 v[110:111], v[110:111], v[114:115]
	s_set_vgpr_msb 1                        ;  msbs: dst=0 src0=1 src1=0 src2=0
	v_mov_b32_e32 v114, v5 /*v261*/
	s_set_vgpr_msb 0                        ;  msbs: dst=0 src0=0 src1=0 src2=0
	v_pk_mul_f32 v[112:113], v[112:113], v[114:115] op_sel_hi:[1,0]
	s_set_vgpr_msb 4                        ;  msbs: dst=0 src0=0 src1=1 src2=0
	s_delay_alu instid0(VALU_DEP_1) | instskip(SKIP_1) | instid1(VALU_DEP_1)
	v_pk_fma_f32 v[114:115], v[124:125], v[4:5] /*v[260:261]*/, v[112:113] neg_lo:[0,0,1] neg_hi:[0,0,1]
	v_pk_fma_f32 v[112:113], v[124:125], v[4:5] /*v[260:261]*/, v[112:113] op_sel_hi:[1,0,1]
	v_mov_b32_e32 v115, v113
	scratch_load_b64 v[112:113], off, off offset:88
	s_set_vgpr_msb 0                        ;  msbs: dst=0 src0=0 src1=0 src2=0
	v_pk_add_f32 v[110:111], v[110:111], v[114:115]
	s_wait_loadcnt 0x0
	s_delay_alu instid0(VALU_DEP_1)
	v_pk_add_f32 v[110:111], v[112:113], v[110:111] neg_lo:[0,1] neg_hi:[0,1]
	scratch_store_b64 off, v[110:111], off offset:88
	s_wait_xcnt 0x0
	v_cmpx_lt_u32_e32 10, v0
	s_cbranch_execz .LBB53_317
; %bb.316:
	scratch_load_b64 v[110:111], off, off offset:80
	v_mov_b64_e32 v[112:113], 0
	scratch_store_b64 off, v[112:113], off offset:80
	s_wait_loadcnt 0x0
	ds_store_b64 v1, v[110:111]
.LBB53_317:
	s_wait_xcnt 0x0
	s_or_b32 exec_lo, exec_lo, s0
	s_wait_storecnt_dscnt 0x0
	s_barrier_signal -1
	s_barrier_wait -1
	s_clause 0xf
	scratch_load_b128 v[114:117], off, off offset:88
	scratch_load_b128 v[122:125], off, off offset:104
	;; [unrolled: 1-line block ×16, first 2 shown]
	v_mov_b32_e32 v7, 0
	s_clause 0x1
	scratch_load_b128 v[242:245], off, off offset:344
	scratch_load_b128 v[250:253], off, off offset:360
	s_mov_b32 s0, exec_lo
	ds_load_2addr_b64 v[110:113], v7 offset0:65 offset1:66
	ds_load_2addr_b64 v[118:121], v7 offset0:67 offset1:68
	s_wait_loadcnt_dscnt 0x1101
	v_dual_mul_f32 v9, v110, v115 :: v_dual_mul_f32 v11, v112, v117
	ds_load_2addr_b64 v[126:129], v7 offset0:69 offset1:70
	ds_load_2addr_b64 v[134:137], v7 offset0:71 offset1:72
	;; [unrolled: 1-line block ×4, first 2 shown]
	v_dual_fmac_f32 v9, v111, v114 :: v_dual_fmac_f32 v11, v113, v116
	ds_load_2addr_b64 v[142:145], v7 offset0:73 offset1:74
	ds_load_2addr_b64 v[150:153], v7 offset0:75 offset1:76
	;; [unrolled: 1-line block ×4, first 2 shown]
	v_add_f32_e32 v9, 0, v9
	ds_load_2addr_b64 v[174:177], v7 offset0:81 offset1:82
	ds_load_2addr_b64 v[182:185], v7 offset0:83 offset1:84
	;; [unrolled: 1-line block ×4, first 2 shown]
	v_add_f32_e32 v9, v9, v11
	s_wait_loadcnt_dscnt 0x100c
	v_mul_f32_e32 v11, v118, v123
	ds_load_2addr_b64 v[206:209], v7 offset0:89 offset1:90
	ds_load_2addr_b64 v[214:217], v7 offset0:91 offset1:92
	;; [unrolled: 1-line block ×4, first 2 shown]
	v_fmac_f32_e32 v11, v119, v122
	s_clause 0x4
	scratch_load_b128 v[254:257], off, off offset:376
	s_set_vgpr_msb 64                       ;  msbs: dst=1 src0=0 src1=0 src2=0
	scratch_load_b128 v[2:5] /*v[258:261]*/, off, off offset:392
	scratch_load_b128 v[6:9] /*v[262:265]*/, off, off offset:408
	scratch_load_b64 v[16:17] /*v[272:273]*/, off, off offset:424
	s_wait_loadcnt_dscnt 0x40c
	v_dual_mul_f32 v13 /*v269*/, v240, v245 :: v_dual_mul_f32 v15 /*v271*/, v246, v251
	s_set_vgpr_msb 0                        ;  msbs: dst=0 src0=0 src1=0 src2=0
	v_dual_add_f32 v9, v9, v11 :: v_dual_mul_f32 v11, v120, v125
	s_set_vgpr_msb 64                       ;  msbs: dst=1 src0=0 src1=0 src2=0
	s_delay_alu instid0(VALU_DEP_2) | instskip(SKIP_1) | instid1(VALU_DEP_2)
	v_fmac_f32_e32 v13 /*v269*/, v241, v244
	s_set_vgpr_msb 0                        ;  msbs: dst=0 src0=0 src1=0 src2=0
	v_fmac_f32_e32 v11, v121, v124
	s_delay_alu instid0(VALU_DEP_1) | instskip(SKIP_1) | instid1(VALU_DEP_1)
	v_add_f32_e32 v9, v9, v11
	v_mul_f32_e32 v11, v126, v131
	v_fmac_f32_e32 v11, v127, v130
	s_delay_alu instid0(VALU_DEP_1) | instskip(NEXT) | instid1(VALU_DEP_1)
	v_dual_add_f32 v9, v9, v11 :: v_dual_mul_f32 v11, v128, v133
	v_fmac_f32_e32 v11, v129, v132
	s_delay_alu instid0(VALU_DEP_1) | instskip(SKIP_1) | instid1(VALU_DEP_1)
	v_add_f32_e32 v9, v9, v11
	v_mul_f32_e32 v11, v134, v139
	v_fmac_f32_e32 v11, v135, v138
	s_delay_alu instid0(VALU_DEP_1) | instskip(NEXT) | instid1(VALU_DEP_1)
	v_dual_add_f32 v9, v9, v11 :: v_dual_mul_f32 v11, v136, v141
	v_fmac_f32_e32 v11, v137, v140
	s_delay_alu instid0(VALU_DEP_1) | instskip(SKIP_2) | instid1(VALU_DEP_1)
	v_add_f32_e32 v9, v9, v11
	s_wait_dscnt 0xb
	v_mul_f32_e32 v11, v142, v147
	v_fmac_f32_e32 v11, v143, v146
	s_delay_alu instid0(VALU_DEP_1) | instskip(NEXT) | instid1(VALU_DEP_1)
	v_dual_add_f32 v9, v9, v11 :: v_dual_mul_f32 v11, v144, v149
	v_fmac_f32_e32 v11, v145, v148
	s_delay_alu instid0(VALU_DEP_1) | instskip(SKIP_2) | instid1(VALU_DEP_1)
	v_add_f32_e32 v9, v9, v11
	s_wait_dscnt 0xa
	;; [unrolled: 8-line block ×12, first 2 shown]
	v_mul_f32_e32 v11, v230, v235
	v_fmac_f32_e32 v11, v231, v234
	s_delay_alu instid0(VALU_DEP_1) | instskip(NEXT) | instid1(VALU_DEP_1)
	v_dual_add_f32 v9, v9, v11 :: v_dual_mul_f32 v11, v232, v237
	v_fmac_f32_e32 v11, v233, v236
	s_delay_alu instid0(VALU_DEP_1) | instskip(SKIP_1) | instid1(VALU_DEP_1)
	v_add_f32_e32 v9, v9, v11
	v_mul_f32_e32 v11, v238, v243
	v_fmac_f32_e32 v11, v239, v242
	s_set_vgpr_msb 64                       ;  msbs: dst=1 src0=0 src1=0 src2=0
	s_delay_alu instid0(VALU_DEP_1) | instskip(SKIP_2) | instid1(VALU_DEP_1)
	v_add_f32_e32 v11 /*v267*/, v9, v11
	s_set_vgpr_msb 0                        ;  msbs: dst=0 src0=0 src1=0 src2=0
	v_dual_mul_f32 v9, v111, v115 :: v_dual_mul_f32 v11, v113, v117
	v_dual_fma_f32 v9, v110, v114, -v9 :: v_dual_fma_f32 v11, v112, v116, -v11
	s_delay_alu instid0(VALU_DEP_1) | instskip(NEXT) | instid1(VALU_DEP_1)
	v_add_f32_e32 v9, 0, v9
	v_add_f32_e32 v9, v9, v11
	v_mul_f32_e32 v11, v119, v123
	s_delay_alu instid0(VALU_DEP_1) | instskip(NEXT) | instid1(VALU_DEP_1)
	v_fma_f32 v11, v118, v122, -v11
	v_add_f32_e32 v9, v9, v11
	v_mul_f32_e32 v11, v121, v125
	s_delay_alu instid0(VALU_DEP_1)
	v_fma_f32 v11, v120, v124, -v11
	ds_load_2addr_b64 v[110:113], v7 offset0:101 offset1:102
	ds_load_2addr_b64 v[114:117], v7 offset0:103 offset1:104
	;; [unrolled: 1-line block ×3, first 2 shown]
	ds_load_b64 v[122:123], v7 offset:856
	v_add_f32_e32 v9, v9, v11
	v_dual_mul_f32 v11, v127, v131 :: v_dual_mov_b32 v127, v248
	s_delay_alu instid0(VALU_DEP_1) | instskip(NEXT) | instid1(VALU_DEP_1)
	v_dual_fma_f32 v11, v126, v130, -v11 :: v_dual_mov_b32 v126, v249
	v_add_f32_e32 v9, v9, v11
	v_mul_f32_e32 v11, v129, v133
	s_delay_alu instid0(VALU_DEP_1) | instskip(NEXT) | instid1(VALU_DEP_1)
	v_dual_fma_f32 v11, v128, v132, -v11 :: v_dual_mov_b32 v128, v253
	v_add_f32_e32 v9, v9, v11
	v_mul_f32_e32 v11, v135, v139
	s_delay_alu instid0(VALU_DEP_3) | instskip(NEXT) | instid1(VALU_DEP_2)
	v_pk_mul_f32 v[126:127], v[126:127], v[128:129] op_sel_hi:[1,0]
	v_fma_f32 v11, v134, v138, -v11
	s_delay_alu instid0(VALU_DEP_2) | instskip(SKIP_1) | instid1(VALU_DEP_3)
	v_pk_fma_f32 v[128:129], v[248:249], v[252:253], v[126:127] neg_lo:[0,0,1] neg_hi:[0,0,1]
	v_pk_fma_f32 v[126:127], v[248:249], v[252:253], v[126:127] op_sel_hi:[1,0,1]
	v_add_f32_e32 v9, v9, v11
	s_delay_alu instid0(VALU_DEP_2) | instskip(SKIP_2) | instid1(VALU_DEP_2)
	v_dual_mul_f32 v11, v137, v141 :: v_dual_mov_b32 v129, v127
	s_wait_loadcnt_dscnt 0x303
	v_pk_mul_f32 v[126:127], v[110:111], v[254:255] op_sel:[1,1] op_sel_hi:[0,1]
	v_fma_f32 v11, v136, v140, -v11
	s_delay_alu instid0(VALU_DEP_1) | instskip(SKIP_1) | instid1(VALU_DEP_1)
	v_add_f32_e32 v9, v9, v11
	v_mul_f32_e32 v11, v143, v147
	v_fma_f32 v11, v142, v146, -v11
	s_delay_alu instid0(VALU_DEP_1) | instskip(SKIP_1) | instid1(VALU_DEP_1)
	v_add_f32_e32 v9, v9, v11
	v_mul_f32_e32 v11, v145, v149
	v_fma_f32 v11, v144, v148, -v11
	s_delay_alu instid0(VALU_DEP_1) | instskip(SKIP_1) | instid1(VALU_DEP_1)
	v_add_f32_e32 v9, v9, v11
	v_mul_f32_e32 v11, v151, v155
	v_fma_f32 v11, v150, v154, -v11
	s_delay_alu instid0(VALU_DEP_1) | instskip(SKIP_1) | instid1(VALU_DEP_1)
	v_add_f32_e32 v9, v9, v11
	v_mul_f32_e32 v11, v153, v157
	v_fma_f32 v11, v152, v156, -v11
	s_delay_alu instid0(VALU_DEP_1) | instskip(SKIP_1) | instid1(VALU_DEP_1)
	v_add_f32_e32 v9, v9, v11
	v_mul_f32_e32 v11, v159, v163
	v_fma_f32 v11, v158, v162, -v11
	s_delay_alu instid0(VALU_DEP_1) | instskip(SKIP_1) | instid1(VALU_DEP_1)
	v_add_f32_e32 v9, v9, v11
	v_mul_f32_e32 v11, v161, v165
	v_fma_f32 v11, v160, v164, -v11
	s_delay_alu instid0(VALU_DEP_1) | instskip(SKIP_1) | instid1(VALU_DEP_1)
	v_add_f32_e32 v9, v9, v11
	v_mul_f32_e32 v11, v167, v171
	v_fma_f32 v11, v166, v170, -v11
	s_delay_alu instid0(VALU_DEP_1) | instskip(SKIP_1) | instid1(VALU_DEP_1)
	v_add_f32_e32 v9, v9, v11
	v_mul_f32_e32 v11, v169, v173
	v_fma_f32 v11, v168, v172, -v11
	s_delay_alu instid0(VALU_DEP_1) | instskip(SKIP_1) | instid1(VALU_DEP_1)
	v_add_f32_e32 v9, v9, v11
	v_mul_f32_e32 v11, v175, v179
	v_fma_f32 v11, v174, v178, -v11
	s_delay_alu instid0(VALU_DEP_1) | instskip(SKIP_1) | instid1(VALU_DEP_1)
	v_add_f32_e32 v9, v9, v11
	v_mul_f32_e32 v11, v177, v181
	v_fma_f32 v11, v176, v180, -v11
	s_delay_alu instid0(VALU_DEP_1) | instskip(SKIP_1) | instid1(VALU_DEP_1)
	v_add_f32_e32 v9, v9, v11
	v_mul_f32_e32 v11, v183, v187
	v_fma_f32 v11, v182, v186, -v11
	s_delay_alu instid0(VALU_DEP_1) | instskip(SKIP_1) | instid1(VALU_DEP_1)
	v_add_f32_e32 v9, v9, v11
	v_mul_f32_e32 v11, v185, v189
	v_fma_f32 v11, v184, v188, -v11
	s_delay_alu instid0(VALU_DEP_1) | instskip(SKIP_1) | instid1(VALU_DEP_1)
	v_add_f32_e32 v9, v9, v11
	v_mul_f32_e32 v11, v191, v195
	v_fma_f32 v11, v190, v194, -v11
	s_delay_alu instid0(VALU_DEP_1) | instskip(SKIP_1) | instid1(VALU_DEP_1)
	v_add_f32_e32 v9, v9, v11
	v_mul_f32_e32 v11, v193, v197
	v_fma_f32 v11, v192, v196, -v11
	s_delay_alu instid0(VALU_DEP_1) | instskip(SKIP_1) | instid1(VALU_DEP_1)
	v_add_f32_e32 v9, v9, v11
	v_mul_f32_e32 v11, v199, v203
	v_fma_f32 v11, v198, v202, -v11
	s_delay_alu instid0(VALU_DEP_1) | instskip(SKIP_1) | instid1(VALU_DEP_1)
	v_add_f32_e32 v9, v9, v11
	v_mul_f32_e32 v11, v201, v205
	v_fma_f32 v11, v200, v204, -v11
	s_delay_alu instid0(VALU_DEP_1) | instskip(SKIP_1) | instid1(VALU_DEP_1)
	v_add_f32_e32 v9, v9, v11
	v_mul_f32_e32 v11, v207, v211
	v_fma_f32 v11, v206, v210, -v11
	s_delay_alu instid0(VALU_DEP_1) | instskip(SKIP_1) | instid1(VALU_DEP_1)
	v_add_f32_e32 v9, v9, v11
	v_mul_f32_e32 v11, v209, v213
	v_fma_f32 v11, v208, v212, -v11
	s_delay_alu instid0(VALU_DEP_1) | instskip(SKIP_1) | instid1(VALU_DEP_1)
	v_add_f32_e32 v9, v9, v11
	v_mul_f32_e32 v11, v215, v219
	v_fma_f32 v11, v214, v218, -v11
	s_delay_alu instid0(VALU_DEP_1) | instskip(SKIP_1) | instid1(VALU_DEP_1)
	v_add_f32_e32 v9, v9, v11
	v_mul_f32_e32 v11, v217, v221
	v_fma_f32 v11, v216, v220, -v11
	s_delay_alu instid0(VALU_DEP_1) | instskip(SKIP_1) | instid1(VALU_DEP_1)
	v_add_f32_e32 v9, v9, v11
	v_mul_f32_e32 v11, v223, v227
	v_fma_f32 v11, v222, v226, -v11
	s_delay_alu instid0(VALU_DEP_1) | instskip(SKIP_1) | instid1(VALU_DEP_1)
	v_add_f32_e32 v9, v9, v11
	v_mul_f32_e32 v11, v225, v229
	v_fma_f32 v11, v224, v228, -v11
	s_delay_alu instid0(VALU_DEP_1) | instskip(SKIP_1) | instid1(VALU_DEP_1)
	v_add_f32_e32 v9, v9, v11
	v_mul_f32_e32 v11, v231, v235
	v_fma_f32 v11, v230, v234, -v11
	s_delay_alu instid0(VALU_DEP_1) | instskip(SKIP_1) | instid1(VALU_DEP_1)
	v_add_f32_e32 v9, v9, v11
	v_mul_f32_e32 v11, v233, v237
	v_fma_f32 v11, v232, v236, -v11
	s_delay_alu instid0(VALU_DEP_1) | instskip(SKIP_1) | instid1(VALU_DEP_1)
	v_add_f32_e32 v9, v9, v11
	v_mul_f32_e32 v11, v239, v243
	v_fma_f32 v11, v238, v242, -v11
	s_set_vgpr_msb 64                       ;  msbs: dst=1 src0=0 src1=0 src2=0
	s_delay_alu instid0(VALU_DEP_1) | instskip(SKIP_3) | instid1(VALU_DEP_1)
	v_dual_fmac_f32 v15 /*v271*/, v247, v250 :: v_dual_add_f32 v10 /*v266*/, v9, v11
	s_set_vgpr_msb 0                        ;  msbs: dst=0 src0=0 src1=0 src2=0
	v_mul_f32_e32 v9, v241, v245
	s_set_vgpr_msb 64                       ;  msbs: dst=1 src0=0 src1=0 src2=0
	v_fma_f32 v12 /*v268*/, v240, v244, -v9
	s_set_vgpr_msb 0                        ;  msbs: dst=0 src0=0 src1=0 src2=0
	v_mul_f32_e32 v9, v247, v251
	s_set_vgpr_msb 64                       ;  msbs: dst=1 src0=0 src1=0 src2=0
	s_delay_alu instid0(VALU_DEP_1) | instskip(SKIP_3) | instid1(VALU_DEP_1)
	v_fma_f32 v14 /*v270*/, v246, v250, -v9
	s_set_vgpr_msb 5                        ;  msbs: dst=0 src0=1 src1=1 src2=0
	v_pk_add_f32 v[124:125], v[10:11] /*v[266:267]*/, v[12:13] /*v[268:269]*/
	s_set_vgpr_msb 4                        ;  msbs: dst=0 src0=0 src1=1 src2=0
	v_pk_add_f32 v[124:125], v[124:125], v[14:15] /*v[270:271]*/
	s_set_vgpr_msb 0                        ;  msbs: dst=0 src0=0 src1=0 src2=0
	s_delay_alu instid0(VALU_DEP_1)
	v_pk_add_f32 v[124:125], v[124:125], v[128:129]
	v_pk_fma_f32 v[128:129], v[110:111], v[254:255], v[126:127] neg_lo:[0,0,1] neg_hi:[0,0,1]
	v_pk_fma_f32 v[110:111], v[110:111], v[254:255], v[126:127] op_sel_hi:[1,0,1]
	s_set_vgpr_msb 1                        ;  msbs: dst=0 src0=1 src1=0 src2=0
	v_mov_b32_e32 v126, v1 /*v257*/
	s_set_vgpr_msb 0                        ;  msbs: dst=0 src0=0 src1=0 src2=0
	s_delay_alu instid0(VALU_DEP_2) | instskip(NEXT) | instid1(VALU_DEP_1)
	v_mov_b32_e32 v129, v111
	v_pk_add_f32 v[110:111], v[124:125], v[128:129]
	v_dual_mov_b32 v124, v113 :: v_dual_mov_b32 v125, v112
	s_delay_alu instid0(VALU_DEP_1) | instskip(SKIP_1) | instid1(VALU_DEP_1)
	v_pk_mul_f32 v[124:125], v[124:125], v[126:127] op_sel_hi:[1,0]
	s_set_vgpr_msb 4                        ;  msbs: dst=0 src0=0 src1=1 src2=0
	v_pk_fma_f32 v[126:127], v[112:113], v[0:1] /*v[256:257]*/, v[124:125] neg_lo:[0,0,1] neg_hi:[0,0,1]
	v_pk_fma_f32 v[112:113], v[112:113], v[0:1] /*v[256:257]*/, v[124:125] op_sel_hi:[1,0,1]
	s_delay_alu instid0(VALU_DEP_1) | instskip(SKIP_3) | instid1(VALU_DEP_2)
	v_mov_b32_e32 v127, v113
	s_wait_loadcnt_dscnt 0x202
	v_pk_mul_f32 v[112:113], v[114:115], v[2:3] /*v[258:259]*/ op_sel:[1,1] op_sel_hi:[0,1]
	s_set_vgpr_msb 0                        ;  msbs: dst=0 src0=0 src1=0 src2=0
	v_pk_add_f32 v[110:111], v[110:111], v[126:127]
	s_set_vgpr_msb 4                        ;  msbs: dst=0 src0=0 src1=1 src2=0
	s_delay_alu instid0(VALU_DEP_2)
	v_pk_fma_f32 v[124:125], v[114:115], v[2:3] /*v[258:259]*/, v[112:113] neg_lo:[0,0,1] neg_hi:[0,0,1]
	v_pk_fma_f32 v[112:113], v[114:115], v[2:3] /*v[258:259]*/, v[112:113] op_sel_hi:[1,0,1]
	v_mov_b32_e32 v112, v117
	s_set_vgpr_msb 1                        ;  msbs: dst=0 src0=1 src1=0 src2=0
	v_mov_b32_e32 v114, v5 /*v261*/
	s_set_vgpr_msb 0                        ;  msbs: dst=0 src0=0 src1=0 src2=0
	v_dual_mov_b32 v125, v113 :: v_dual_mov_b32 v113, v116
	s_delay_alu instid0(VALU_DEP_1) | instskip(NEXT) | instid1(VALU_DEP_2)
	v_pk_add_f32 v[110:111], v[110:111], v[124:125]
	v_pk_mul_f32 v[112:113], v[112:113], v[114:115] op_sel_hi:[1,0]
	s_set_vgpr_msb 4                        ;  msbs: dst=0 src0=0 src1=1 src2=0
	s_delay_alu instid0(VALU_DEP_1) | instskip(SKIP_1) | instid1(VALU_DEP_1)
	v_pk_fma_f32 v[114:115], v[116:117], v[4:5] /*v[260:261]*/, v[112:113] neg_lo:[0,0,1] neg_hi:[0,0,1]
	v_pk_fma_f32 v[112:113], v[116:117], v[4:5] /*v[260:261]*/, v[112:113] op_sel_hi:[1,0,1]
	v_mov_b32_e32 v115, v113
	s_wait_loadcnt_dscnt 0x101
	v_pk_mul_f32 v[112:113], v[118:119], v[6:7] /*v[262:263]*/ op_sel:[1,1] op_sel_hi:[0,1]
	s_set_vgpr_msb 0                        ;  msbs: dst=0 src0=0 src1=0 src2=0
	s_delay_alu instid0(VALU_DEP_2) | instskip(SKIP_1) | instid1(VALU_DEP_2)
	v_pk_add_f32 v[110:111], v[110:111], v[114:115]
	s_set_vgpr_msb 4                        ;  msbs: dst=0 src0=0 src1=1 src2=0
	v_pk_fma_f32 v[114:115], v[118:119], v[6:7] /*v[262:263]*/, v[112:113] neg_lo:[0,0,1] neg_hi:[0,0,1]
	v_pk_fma_f32 v[112:113], v[118:119], v[6:7] /*v[262:263]*/, v[112:113] op_sel_hi:[1,0,1]
	s_delay_alu instid0(VALU_DEP_1) | instskip(SKIP_2) | instid1(VALU_DEP_2)
	v_dual_mov_b32 v112, v121 :: v_dual_mov_b32 v115, v113
	v_mov_b32_e32 v113, v120
	s_set_vgpr_msb 0                        ;  msbs: dst=0 src0=0 src1=0 src2=0
	v_pk_add_f32 v[110:111], v[110:111], v[114:115]
	s_set_vgpr_msb 1                        ;  msbs: dst=0 src0=1 src1=0 src2=0
	v_mov_b32_e32 v114, v9 /*v265*/
	s_set_vgpr_msb 0                        ;  msbs: dst=0 src0=0 src1=0 src2=0
	s_delay_alu instid0(VALU_DEP_1) | instskip(SKIP_1) | instid1(VALU_DEP_1)
	v_pk_mul_f32 v[112:113], v[112:113], v[114:115] op_sel_hi:[1,0]
	s_set_vgpr_msb 4                        ;  msbs: dst=0 src0=0 src1=1 src2=0
	v_pk_fma_f32 v[114:115], v[120:121], v[8:9] /*v[264:265]*/, v[112:113] neg_lo:[0,0,1] neg_hi:[0,0,1]
	v_pk_fma_f32 v[112:113], v[120:121], v[8:9] /*v[264:265]*/, v[112:113] op_sel_hi:[1,0,1]
	s_delay_alu instid0(VALU_DEP_1) | instskip(SKIP_3) | instid1(VALU_DEP_2)
	v_mov_b32_e32 v115, v113
	s_wait_loadcnt_dscnt 0x0
	v_pk_mul_f32 v[112:113], v[122:123], v[16:17] /*v[272:273]*/ op_sel:[1,1] op_sel_hi:[0,1]
	s_set_vgpr_msb 0                        ;  msbs: dst=0 src0=0 src1=0 src2=0
	v_pk_add_f32 v[110:111], v[110:111], v[114:115]
	s_set_vgpr_msb 4                        ;  msbs: dst=0 src0=0 src1=1 src2=0
	s_delay_alu instid0(VALU_DEP_2) | instskip(SKIP_1) | instid1(VALU_DEP_1)
	v_pk_fma_f32 v[114:115], v[122:123], v[16:17] /*v[272:273]*/, v[112:113] neg_lo:[0,0,1] neg_hi:[0,0,1]
	v_pk_fma_f32 v[112:113], v[122:123], v[16:17] /*v[272:273]*/, v[112:113] op_sel_hi:[1,0,1]
	v_mov_b32_e32 v115, v113
	scratch_load_b64 v[112:113], off, off offset:80
	s_set_vgpr_msb 0                        ;  msbs: dst=0 src0=0 src1=0 src2=0
	v_pk_add_f32 v[110:111], v[110:111], v[114:115]
	s_wait_loadcnt 0x0
	s_delay_alu instid0(VALU_DEP_1)
	v_pk_add_f32 v[110:111], v[112:113], v[110:111] neg_lo:[0,1] neg_hi:[0,1]
	scratch_store_b64 off, v[110:111], off offset:80
	s_wait_xcnt 0x0
	v_cmpx_lt_u32_e32 9, v0
	s_cbranch_execz .LBB53_319
; %bb.318:
	scratch_load_b64 v[110:111], off, off offset:72
	v_mov_b64_e32 v[112:113], 0
	scratch_store_b64 off, v[112:113], off offset:72
	s_wait_loadcnt 0x0
	ds_store_b64 v1, v[110:111]
.LBB53_319:
	s_wait_xcnt 0x0
	s_or_b32 exec_lo, exec_lo, s0
	s_wait_storecnt_dscnt 0x0
	s_barrier_signal -1
	s_barrier_wait -1
	ds_load_b128 v[110:113], v7 offset:512
	ds_load_b128 v[114:117], v7 offset:528
	;; [unrolled: 1-line block ×4, first 2 shown]
	s_clause 0x11
	scratch_load_b128 v[126:129], off, off offset:80
	scratch_load_b128 v[130:133], off, off offset:96
	;; [unrolled: 1-line block ×18, first 2 shown]
	ds_load_b128 v[142:145], v7 offset:576
	ds_load_b128 v[150:153], v7 offset:592
	;; [unrolled: 1-line block ×14, first 2 shown]
	s_clause 0x4
	scratch_load_b128 v[254:257], off, off offset:368
	s_set_vgpr_msb 64                       ;  msbs: dst=1 src0=0 src1=0 src2=0
	scratch_load_b128 v[2:5] /*v[258:261]*/, off, off offset:384
	scratch_load_b128 v[6:9] /*v[262:265]*/, off, off offset:400
	;; [unrolled: 1-line block ×3, first 2 shown]
	s_mov_b32 s0, exec_lo
	s_wait_loadcnt_dscnt 0x1511
	s_set_vgpr_msb 0                        ;  msbs: dst=0 src0=0 src1=0 src2=0
	v_dual_mul_f32 v9, v110, v127 :: v_dual_mul_f32 v11, v112, v129
	s_delay_alu instid0(VALU_DEP_1) | instskip(NEXT) | instid1(VALU_DEP_1)
	v_dual_fmac_f32 v9, v111, v126 :: v_dual_fmac_f32 v11, v113, v128
	v_add_f32_e32 v9, 0, v9
	s_delay_alu instid0(VALU_DEP_1)
	v_add_f32_e32 v9, v9, v11
	s_wait_loadcnt_dscnt 0x1410
	v_mul_f32_e32 v11, v114, v131
	s_wait_loadcnt_dscnt 0x40a
	s_set_vgpr_msb 64                       ;  msbs: dst=1 src0=0 src1=0 src2=0
	v_dual_mul_f32 v17 /*v273*/, v246, v251 :: v_dual_mul_f32 v19 /*v275*/, v248, v253
	s_set_vgpr_msb 0                        ;  msbs: dst=0 src0=0 src1=0 src2=0
	v_fmac_f32_e32 v11, v115, v130
	s_set_vgpr_msb 64                       ;  msbs: dst=1 src0=0 src1=0 src2=0
	s_delay_alu instid0(VALU_DEP_2) | instskip(SKIP_1) | instid1(VALU_DEP_2)
	v_dual_fmac_f32 v17 /*v273*/, v247, v250 :: v_dual_fmac_f32 v19 /*v275*/, v249, v252
	s_set_vgpr_msb 0                        ;  msbs: dst=0 src0=0 src1=0 src2=0
	v_dual_add_f32 v9, v9, v11 :: v_dual_mul_f32 v11, v116, v133
	s_delay_alu instid0(VALU_DEP_1) | instskip(NEXT) | instid1(VALU_DEP_1)
	v_fmac_f32_e32 v11, v117, v132
	v_add_f32_e32 v9, v9, v11
	v_mul_f32_e32 v11, v118, v135
	s_delay_alu instid0(VALU_DEP_1) | instskip(NEXT) | instid1(VALU_DEP_1)
	v_fmac_f32_e32 v11, v119, v134
	v_dual_add_f32 v9, v9, v11 :: v_dual_mul_f32 v11, v120, v137
	s_delay_alu instid0(VALU_DEP_1) | instskip(NEXT) | instid1(VALU_DEP_1)
	v_fmac_f32_e32 v11, v121, v136
	v_add_f32_e32 v9, v9, v11
	v_mul_f32_e32 v11, v122, v139
	s_delay_alu instid0(VALU_DEP_1) | instskip(NEXT) | instid1(VALU_DEP_1)
	v_fmac_f32_e32 v11, v123, v138
	;; [unrolled: 7-line block ×4, first 2 shown]
	v_dual_add_f32 v9, v9, v11 :: v_dual_mul_f32 v11, v152, v157
	s_delay_alu instid0(VALU_DEP_1) | instskip(NEXT) | instid1(VALU_DEP_1)
	v_fmac_f32_e32 v11, v153, v156
	v_add_f32_e32 v9, v9, v11
	s_wait_dscnt 0x9
	v_mul_f32_e32 v11, v158, v163
	s_delay_alu instid0(VALU_DEP_1) | instskip(NEXT) | instid1(VALU_DEP_1)
	v_fmac_f32_e32 v11, v159, v162
	v_dual_add_f32 v9, v9, v11 :: v_dual_mul_f32 v11, v160, v165
	s_delay_alu instid0(VALU_DEP_1) | instskip(NEXT) | instid1(VALU_DEP_1)
	v_fmac_f32_e32 v11, v161, v164
	v_add_f32_e32 v9, v9, v11
	s_wait_dscnt 0x8
	v_mul_f32_e32 v11, v166, v171
	s_delay_alu instid0(VALU_DEP_1) | instskip(NEXT) | instid1(VALU_DEP_1)
	v_fmac_f32_e32 v11, v167, v170
	;; [unrolled: 8-line block ×10, first 2 shown]
	v_dual_add_f32 v9, v9, v11 :: v_dual_mul_f32 v11, v232, v237
	s_delay_alu instid0(VALU_DEP_1) | instskip(NEXT) | instid1(VALU_DEP_1)
	v_fmac_f32_e32 v11, v233, v236
	v_add_f32_e32 v9, v9, v11
	v_mul_f32_e32 v11, v238, v243
	s_delay_alu instid0(VALU_DEP_1) | instskip(NEXT) | instid1(VALU_DEP_1)
	v_fmac_f32_e32 v11, v239, v242
	v_dual_add_f32 v9, v9, v11 :: v_dual_mul_f32 v11, v240, v245
	s_delay_alu instid0(VALU_DEP_1) | instskip(SKIP_1) | instid1(VALU_DEP_1)
	v_fmac_f32_e32 v11, v241, v244
	s_set_vgpr_msb 64                       ;  msbs: dst=1 src0=0 src1=0 src2=0
	v_add_f32_e32 v15 /*v271*/, v9, v11
	s_set_vgpr_msb 0                        ;  msbs: dst=0 src0=0 src1=0 src2=0
	v_dual_mul_f32 v9, v111, v127 :: v_dual_mul_f32 v11, v113, v129
	s_delay_alu instid0(VALU_DEP_1) | instskip(NEXT) | instid1(VALU_DEP_1)
	v_dual_fma_f32 v9, v110, v126, -v9 :: v_dual_fma_f32 v11, v112, v128, -v11
	v_add_f32_e32 v9, 0, v9
	s_delay_alu instid0(VALU_DEP_1) | instskip(SKIP_1) | instid1(VALU_DEP_1)
	v_add_f32_e32 v9, v9, v11
	v_mul_f32_e32 v11, v115, v131
	v_fma_f32 v11, v114, v130, -v11
	s_delay_alu instid0(VALU_DEP_1) | instskip(SKIP_1) | instid1(VALU_DEP_1)
	v_add_f32_e32 v9, v9, v11
	v_mul_f32_e32 v11, v117, v133
	v_fma_f32 v11, v116, v132, -v11
	;; [unrolled: 4-line block ×6, first 2 shown]
	ds_load_b128 v[110:113], v7 offset:800
	ds_load_b128 v[114:117], v7 offset:816
	;; [unrolled: 1-line block ×4, first 2 shown]
	v_add_f32_e32 v9, v9, v11
	v_mul_f32_e32 v11, v143, v147
	s_delay_alu instid0(VALU_DEP_1) | instskip(NEXT) | instid1(VALU_DEP_1)
	v_fma_f32 v11, v142, v146, -v11
	v_add_f32_e32 v9, v9, v11
	v_mul_f32_e32 v11, v145, v149
	s_wait_loadcnt_dscnt 0x303
	v_pk_mul_f32 v[128:129], v[110:111], v[254:255] op_sel:[1,1] op_sel_hi:[0,1]
	s_delay_alu instid0(VALU_DEP_2) | instskip(NEXT) | instid1(VALU_DEP_2)
	v_fma_f32 v11, v144, v148, -v11
	v_pk_fma_f32 v[130:131], v[110:111], v[254:255], v[128:129] neg_lo:[0,0,1] neg_hi:[0,0,1]
	v_pk_fma_f32 v[110:111], v[110:111], v[254:255], v[128:129] op_sel_hi:[1,0,1]
	s_set_vgpr_msb 1                        ;  msbs: dst=0 src0=1 src1=0 src2=0
	v_mov_b32_e32 v128, v1 /*v257*/
	s_set_vgpr_msb 0                        ;  msbs: dst=0 src0=0 src1=0 src2=0
	v_add_f32_e32 v9, v9, v11
	v_mul_f32_e32 v11, v151, v155
	s_delay_alu instid0(VALU_DEP_1) | instskip(NEXT) | instid1(VALU_DEP_1)
	v_dual_mov_b32 v131, v111 :: v_dual_fma_f32 v11, v150, v154, -v11
	v_add_f32_e32 v9, v9, v11
	v_mul_f32_e32 v11, v153, v157
	s_delay_alu instid0(VALU_DEP_1) | instskip(NEXT) | instid1(VALU_DEP_1)
	v_fma_f32 v11, v152, v156, -v11
	v_add_f32_e32 v9, v9, v11
	v_mul_f32_e32 v11, v159, v163
	s_delay_alu instid0(VALU_DEP_1) | instskip(NEXT) | instid1(VALU_DEP_1)
	v_fma_f32 v11, v158, v162, -v11
	;; [unrolled: 4-line block ×22, first 2 shown]
	v_add_f32_e32 v9, v9, v11
	v_mul_f32_e32 v11, v241, v245
	s_delay_alu instid0(VALU_DEP_1) | instskip(SKIP_1) | instid1(VALU_DEP_1)
	v_fma_f32 v11, v240, v244, -v11
	s_set_vgpr_msb 64                       ;  msbs: dst=1 src0=0 src1=0 src2=0
	v_add_f32_e32 v14 /*v270*/, v9, v11
	s_set_vgpr_msb 0                        ;  msbs: dst=0 src0=0 src1=0 src2=0
	v_mul_f32_e32 v9, v247, v251
	s_set_vgpr_msb 64                       ;  msbs: dst=1 src0=0 src1=0 src2=0
	s_delay_alu instid0(VALU_DEP_1) | instskip(SKIP_3) | instid1(VALU_DEP_2)
	v_fma_f32 v16 /*v272*/, v246, v250, -v9
	s_set_vgpr_msb 0                        ;  msbs: dst=0 src0=0 src1=0 src2=0
	v_mul_f32_e32 v9, v249, v253
	s_set_vgpr_msb 5                        ;  msbs: dst=0 src0=1 src1=1 src2=0
	v_pk_add_f32 v[126:127], v[14:15] /*v[270:271]*/, v[16:17] /*v[272:273]*/
	s_set_vgpr_msb 64                       ;  msbs: dst=1 src0=0 src1=0 src2=0
	s_delay_alu instid0(VALU_DEP_2) | instskip(SKIP_1) | instid1(VALU_DEP_1)
	v_fma_f32 v18 /*v274*/, v248, v252, -v9
	s_set_vgpr_msb 4                        ;  msbs: dst=0 src0=0 src1=1 src2=0
	v_pk_add_f32 v[126:127], v[126:127], v[18:19] /*v[274:275]*/
	s_set_vgpr_msb 0                        ;  msbs: dst=0 src0=0 src1=0 src2=0
	s_delay_alu instid0(VALU_DEP_1) | instskip(SKIP_1) | instid1(VALU_DEP_1)
	v_pk_add_f32 v[110:111], v[126:127], v[130:131]
	v_dual_mov_b32 v126, v113 :: v_dual_mov_b32 v127, v112
	v_pk_mul_f32 v[126:127], v[126:127], v[128:129] op_sel_hi:[1,0]
	s_set_vgpr_msb 4                        ;  msbs: dst=0 src0=0 src1=1 src2=0
	s_delay_alu instid0(VALU_DEP_1) | instskip(SKIP_1) | instid1(VALU_DEP_1)
	v_pk_fma_f32 v[128:129], v[112:113], v[0:1] /*v[256:257]*/, v[126:127] neg_lo:[0,0,1] neg_hi:[0,0,1]
	v_pk_fma_f32 v[112:113], v[112:113], v[0:1] /*v[256:257]*/, v[126:127] op_sel_hi:[1,0,1]
	v_mov_b32_e32 v129, v113
	s_wait_loadcnt_dscnt 0x202
	v_pk_mul_f32 v[112:113], v[114:115], v[2:3] /*v[258:259]*/ op_sel:[1,1] op_sel_hi:[0,1]
	s_set_vgpr_msb 0                        ;  msbs: dst=0 src0=0 src1=0 src2=0
	s_delay_alu instid0(VALU_DEP_2) | instskip(SKIP_1) | instid1(VALU_DEP_2)
	v_pk_add_f32 v[110:111], v[110:111], v[128:129]
	s_set_vgpr_msb 4                        ;  msbs: dst=0 src0=0 src1=1 src2=0
	v_pk_fma_f32 v[126:127], v[114:115], v[2:3] /*v[258:259]*/, v[112:113] neg_lo:[0,0,1] neg_hi:[0,0,1]
	v_pk_fma_f32 v[112:113], v[114:115], v[2:3] /*v[258:259]*/, v[112:113] op_sel_hi:[1,0,1]
	v_mov_b32_e32 v112, v117
	s_set_vgpr_msb 1                        ;  msbs: dst=0 src0=1 src1=0 src2=0
	v_mov_b32_e32 v114, v5 /*v261*/
	s_set_vgpr_msb 0                        ;  msbs: dst=0 src0=0 src1=0 src2=0
	v_dual_mov_b32 v127, v113 :: v_dual_mov_b32 v113, v116
	s_delay_alu instid0(VALU_DEP_1) | instskip(NEXT) | instid1(VALU_DEP_2)
	v_pk_add_f32 v[110:111], v[110:111], v[126:127]
	v_pk_mul_f32 v[112:113], v[112:113], v[114:115] op_sel_hi:[1,0]
	s_set_vgpr_msb 4                        ;  msbs: dst=0 src0=0 src1=1 src2=0
	s_delay_alu instid0(VALU_DEP_1) | instskip(SKIP_1) | instid1(VALU_DEP_1)
	v_pk_fma_f32 v[114:115], v[116:117], v[4:5] /*v[260:261]*/, v[112:113] neg_lo:[0,0,1] neg_hi:[0,0,1]
	v_pk_fma_f32 v[112:113], v[116:117], v[4:5] /*v[260:261]*/, v[112:113] op_sel_hi:[1,0,1]
	v_mov_b32_e32 v115, v113
	s_wait_loadcnt_dscnt 0x101
	v_pk_mul_f32 v[112:113], v[118:119], v[6:7] /*v[262:263]*/ op_sel:[1,1] op_sel_hi:[0,1]
	s_set_vgpr_msb 0                        ;  msbs: dst=0 src0=0 src1=0 src2=0
	s_delay_alu instid0(VALU_DEP_2) | instskip(SKIP_1) | instid1(VALU_DEP_2)
	v_pk_add_f32 v[110:111], v[110:111], v[114:115]
	s_set_vgpr_msb 4                        ;  msbs: dst=0 src0=0 src1=1 src2=0
	v_pk_fma_f32 v[114:115], v[118:119], v[6:7] /*v[262:263]*/, v[112:113] neg_lo:[0,0,1] neg_hi:[0,0,1]
	v_pk_fma_f32 v[112:113], v[118:119], v[6:7] /*v[262:263]*/, v[112:113] op_sel_hi:[1,0,1]
	s_delay_alu instid0(VALU_DEP_1) | instskip(SKIP_2) | instid1(VALU_DEP_2)
	v_dual_mov_b32 v112, v121 :: v_dual_mov_b32 v115, v113
	v_mov_b32_e32 v113, v120
	s_set_vgpr_msb 0                        ;  msbs: dst=0 src0=0 src1=0 src2=0
	v_pk_add_f32 v[110:111], v[110:111], v[114:115]
	s_set_vgpr_msb 1                        ;  msbs: dst=0 src0=1 src1=0 src2=0
	v_mov_b32_e32 v114, v9 /*v265*/
	s_set_vgpr_msb 0                        ;  msbs: dst=0 src0=0 src1=0 src2=0
	s_delay_alu instid0(VALU_DEP_1) | instskip(SKIP_1) | instid1(VALU_DEP_1)
	v_pk_mul_f32 v[112:113], v[112:113], v[114:115] op_sel_hi:[1,0]
	s_set_vgpr_msb 4                        ;  msbs: dst=0 src0=0 src1=1 src2=0
	v_pk_fma_f32 v[114:115], v[120:121], v[8:9] /*v[264:265]*/, v[112:113] neg_lo:[0,0,1] neg_hi:[0,0,1]
	v_pk_fma_f32 v[112:113], v[120:121], v[8:9] /*v[264:265]*/, v[112:113] op_sel_hi:[1,0,1]
	s_delay_alu instid0(VALU_DEP_1) | instskip(SKIP_3) | instid1(VALU_DEP_2)
	v_mov_b32_e32 v115, v113
	s_wait_loadcnt_dscnt 0x0
	v_pk_mul_f32 v[112:113], v[122:123], v[10:11] /*v[266:267]*/ op_sel:[1,1] op_sel_hi:[0,1]
	s_set_vgpr_msb 0                        ;  msbs: dst=0 src0=0 src1=0 src2=0
	v_pk_add_f32 v[110:111], v[110:111], v[114:115]
	s_set_vgpr_msb 4                        ;  msbs: dst=0 src0=0 src1=1 src2=0
	s_delay_alu instid0(VALU_DEP_2) | instskip(SKIP_1) | instid1(VALU_DEP_1)
	v_pk_fma_f32 v[114:115], v[122:123], v[10:11] /*v[266:267]*/, v[112:113] neg_lo:[0,0,1] neg_hi:[0,0,1]
	v_pk_fma_f32 v[112:113], v[122:123], v[10:11] /*v[266:267]*/, v[112:113] op_sel_hi:[1,0,1]
	v_dual_mov_b32 v112, v125 :: v_dual_mov_b32 v115, v113
	v_mov_b32_e32 v113, v124
	s_set_vgpr_msb 0                        ;  msbs: dst=0 src0=0 src1=0 src2=0
	s_delay_alu instid0(VALU_DEP_2) | instskip(SKIP_3) | instid1(VALU_DEP_1)
	v_pk_add_f32 v[110:111], v[110:111], v[114:115]
	s_set_vgpr_msb 1                        ;  msbs: dst=0 src0=1 src1=0 src2=0
	v_mov_b32_e32 v114, v13 /*v269*/
	s_set_vgpr_msb 0                        ;  msbs: dst=0 src0=0 src1=0 src2=0
	v_pk_mul_f32 v[112:113], v[112:113], v[114:115] op_sel_hi:[1,0]
	s_set_vgpr_msb 4                        ;  msbs: dst=0 src0=0 src1=1 src2=0
	s_delay_alu instid0(VALU_DEP_1) | instskip(SKIP_1) | instid1(VALU_DEP_1)
	v_pk_fma_f32 v[114:115], v[124:125], v[12:13] /*v[268:269]*/, v[112:113] neg_lo:[0,0,1] neg_hi:[0,0,1]
	v_pk_fma_f32 v[112:113], v[124:125], v[12:13] /*v[268:269]*/, v[112:113] op_sel_hi:[1,0,1]
	v_mov_b32_e32 v115, v113
	scratch_load_b64 v[112:113], off, off offset:72
	s_set_vgpr_msb 0                        ;  msbs: dst=0 src0=0 src1=0 src2=0
	v_pk_add_f32 v[110:111], v[110:111], v[114:115]
	s_wait_loadcnt 0x0
	s_delay_alu instid0(VALU_DEP_1)
	v_pk_add_f32 v[110:111], v[112:113], v[110:111] neg_lo:[0,1] neg_hi:[0,1]
	scratch_store_b64 off, v[110:111], off offset:72
	s_wait_xcnt 0x0
	v_cmpx_lt_u32_e32 8, v0
	s_cbranch_execz .LBB53_321
; %bb.320:
	scratch_load_b64 v[110:111], off, off offset:64
	v_mov_b64_e32 v[112:113], 0
	scratch_store_b64 off, v[112:113], off offset:64
	s_wait_loadcnt 0x0
	ds_store_b64 v1, v[110:111]
.LBB53_321:
	s_wait_xcnt 0x0
	s_or_b32 exec_lo, exec_lo, s0
	s_wait_storecnt_dscnt 0x0
	s_barrier_signal -1
	s_barrier_wait -1
	s_clause 0xf
	scratch_load_b128 v[114:117], off, off offset:72
	scratch_load_b128 v[122:125], off, off offset:88
	;; [unrolled: 1-line block ×16, first 2 shown]
	v_mov_b32_e32 v7, 0
	s_clause 0x3
	scratch_load_b128 v[242:245], off, off offset:328
	scratch_load_b128 v[250:253], off, off offset:344
	s_set_vgpr_msb 64                       ;  msbs: dst=1 src0=0 src1=0 src2=0
	scratch_load_b128 v[2:5] /*v[258:261]*/, off, off offset:360
	s_mov_b32 s0, exec_lo
	s_set_vgpr_msb 0                        ;  msbs: dst=0 src0=0 src1=0 src2=0
	ds_load_2addr_b64 v[110:113], v7 offset0:63 offset1:64
	ds_load_2addr_b64 v[118:121], v7 offset0:65 offset1:66
	s_wait_loadcnt_dscnt 0x1201
	v_dual_mul_f32 v9, v110, v115 :: v_dual_mul_f32 v11, v112, v117
	ds_load_2addr_b64 v[126:129], v7 offset0:67 offset1:68
	ds_load_2addr_b64 v[134:137], v7 offset0:69 offset1:70
	;; [unrolled: 1-line block ×4, first 2 shown]
	v_dual_fmac_f32 v9, v111, v114 :: v_dual_fmac_f32 v11, v113, v116
	ds_load_2addr_b64 v[142:145], v7 offset0:71 offset1:72
	ds_load_2addr_b64 v[150:153], v7 offset0:73 offset1:74
	;; [unrolled: 1-line block ×4, first 2 shown]
	v_add_f32_e32 v9, 0, v9
	ds_load_2addr_b64 v[174:177], v7 offset0:79 offset1:80
	ds_load_2addr_b64 v[182:185], v7 offset0:81 offset1:82
	;; [unrolled: 1-line block ×4, first 2 shown]
	v_add_f32_e32 v9, v9, v11
	s_wait_loadcnt_dscnt 0x110c
	v_mul_f32_e32 v11, v118, v123
	ds_load_2addr_b64 v[206:209], v7 offset0:87 offset1:88
	ds_load_2addr_b64 v[214:217], v7 offset0:89 offset1:90
	;; [unrolled: 1-line block ×4, first 2 shown]
	v_fmac_f32_e32 v11, v119, v122
	ds_load_2addr_b64 v[254:257], v7 offset0:99 offset1:100
	s_set_vgpr_msb 64                       ;  msbs: dst=1 src0=0 src1=0 src2=0
	s_clause 0x3
	scratch_load_b128 v[6:9] /*v[262:265]*/, off, off offset:376
	scratch_load_b128 v[10:13] /*v[266:269]*/, off, off offset:392
	;; [unrolled: 1-line block ×3, first 2 shown]
	scratch_load_b64 v[24:25] /*v[280:281]*/, off, off offset:424
	s_wait_loadcnt_dscnt 0x50d
	v_mul_f32_e32 v21 /*v277*/, v248, v253
	s_set_vgpr_msb 0                        ;  msbs: dst=0 src0=0 src1=0 src2=0
	v_dual_add_f32 v9, v9, v11 :: v_dual_mul_f32 v11, v120, v125
	s_set_vgpr_msb 64                       ;  msbs: dst=1 src0=0 src1=0 src2=0
	s_delay_alu instid0(VALU_DEP_2) | instskip(SKIP_1) | instid1(VALU_DEP_2)
	v_fmac_f32_e32 v21 /*v277*/, v249, v252
	s_set_vgpr_msb 0                        ;  msbs: dst=0 src0=0 src1=0 src2=0
	v_fmac_f32_e32 v11, v121, v124
	s_delay_alu instid0(VALU_DEP_1) | instskip(SKIP_1) | instid1(VALU_DEP_1)
	v_add_f32_e32 v9, v9, v11
	v_mul_f32_e32 v11, v126, v131
	v_fmac_f32_e32 v11, v127, v130
	s_delay_alu instid0(VALU_DEP_1) | instskip(NEXT) | instid1(VALU_DEP_1)
	v_dual_add_f32 v9, v9, v11 :: v_dual_mul_f32 v11, v128, v133
	v_fmac_f32_e32 v11, v129, v132
	s_delay_alu instid0(VALU_DEP_1) | instskip(SKIP_1) | instid1(VALU_DEP_1)
	v_add_f32_e32 v9, v9, v11
	v_mul_f32_e32 v11, v134, v139
	v_fmac_f32_e32 v11, v135, v138
	s_delay_alu instid0(VALU_DEP_1) | instskip(NEXT) | instid1(VALU_DEP_1)
	v_dual_add_f32 v9, v9, v11 :: v_dual_mul_f32 v11, v136, v141
	v_fmac_f32_e32 v11, v137, v140
	s_delay_alu instid0(VALU_DEP_1) | instskip(SKIP_2) | instid1(VALU_DEP_1)
	v_add_f32_e32 v9, v9, v11
	s_wait_dscnt 0xc
	v_mul_f32_e32 v11, v142, v147
	v_fmac_f32_e32 v11, v143, v146
	s_delay_alu instid0(VALU_DEP_1) | instskip(NEXT) | instid1(VALU_DEP_1)
	v_dual_add_f32 v9, v9, v11 :: v_dual_mul_f32 v11, v144, v149
	v_fmac_f32_e32 v11, v145, v148
	s_delay_alu instid0(VALU_DEP_1) | instskip(SKIP_2) | instid1(VALU_DEP_1)
	v_add_f32_e32 v9, v9, v11
	s_wait_dscnt 0xb
	;; [unrolled: 8-line block ×12, first 2 shown]
	v_mul_f32_e32 v11, v230, v235
	v_fmac_f32_e32 v11, v231, v234
	s_delay_alu instid0(VALU_DEP_1) | instskip(NEXT) | instid1(VALU_DEP_1)
	v_dual_add_f32 v9, v9, v11 :: v_dual_mul_f32 v11, v232, v237
	v_fmac_f32_e32 v11, v233, v236
	s_delay_alu instid0(VALU_DEP_1) | instskip(SKIP_1) | instid1(VALU_DEP_1)
	v_add_f32_e32 v9, v9, v11
	v_mul_f32_e32 v11, v238, v243
	v_fmac_f32_e32 v11, v239, v242
	s_delay_alu instid0(VALU_DEP_1) | instskip(NEXT) | instid1(VALU_DEP_1)
	v_dual_add_f32 v9, v9, v11 :: v_dual_mul_f32 v11, v240, v245
	v_fmac_f32_e32 v11, v241, v244
	s_delay_alu instid0(VALU_DEP_1) | instskip(SKIP_1) | instid1(VALU_DEP_1)
	v_add_f32_e32 v9, v9, v11
	v_mul_f32_e32 v11, v246, v251
	v_fmac_f32_e32 v11, v247, v250
	s_set_vgpr_msb 64                       ;  msbs: dst=1 src0=0 src1=0 src2=0
	s_delay_alu instid0(VALU_DEP_1) | instskip(SKIP_2) | instid1(VALU_DEP_1)
	v_add_f32_e32 v19 /*v275*/, v9, v11
	s_set_vgpr_msb 0                        ;  msbs: dst=0 src0=0 src1=0 src2=0
	v_dual_mul_f32 v9, v111, v115 :: v_dual_mul_f32 v11, v113, v117
	v_dual_fma_f32 v9, v110, v114, -v9 :: v_dual_fma_f32 v11, v112, v116, -v11
	s_delay_alu instid0(VALU_DEP_1) | instskip(NEXT) | instid1(VALU_DEP_1)
	v_add_f32_e32 v9, 0, v9
	v_add_f32_e32 v9, v9, v11
	v_mul_f32_e32 v11, v119, v123
	s_delay_alu instid0(VALU_DEP_1) | instskip(NEXT) | instid1(VALU_DEP_1)
	v_fma_f32 v11, v118, v122, -v11
	v_add_f32_e32 v9, v9, v11
	v_mul_f32_e32 v11, v121, v125
	s_delay_alu instid0(VALU_DEP_1)
	v_fma_f32 v11, v120, v124, -v11
	ds_load_2addr_b64 v[110:113], v7 offset0:101 offset1:102
	ds_load_2addr_b64 v[114:117], v7 offset0:103 offset1:104
	;; [unrolled: 1-line block ×3, first 2 shown]
	ds_load_b64 v[122:123], v7 offset:856
	v_add_f32_e32 v9, v9, v11
	v_mul_f32_e32 v11, v127, v131
	s_wait_dscnt 0x4
	s_set_vgpr_msb 1                        ;  msbs: dst=0 src0=1 src1=0 src2=0
	v_mov_b32_e32 v127, v0 /*v256*/
	s_set_vgpr_msb 0                        ;  msbs: dst=0 src0=0 src1=0 src2=0
	v_fma_f32 v11, v126, v130, -v11
	s_set_vgpr_msb 1                        ;  msbs: dst=0 src0=1 src1=0 src2=0
	v_mov_b32_e32 v126, v1 /*v257*/
	s_set_vgpr_msb 0                        ;  msbs: dst=0 src0=0 src1=0 src2=0
	s_delay_alu instid0(VALU_DEP_2) | instskip(SKIP_1) | instid1(VALU_DEP_1)
	v_add_f32_e32 v9, v9, v11
	v_mul_f32_e32 v11, v129, v133
	v_fma_f32 v11, v128, v132, -v11
	s_wait_loadcnt 0x4
	s_set_vgpr_msb 1                        ;  msbs: dst=0 src0=1 src1=0 src2=0
	v_mov_b32_e32 v128, v5 /*v261*/
	s_set_vgpr_msb 0                        ;  msbs: dst=0 src0=0 src1=0 src2=0
	v_add_f32_e32 v9, v9, v11
	v_mul_f32_e32 v11, v135, v139
	s_delay_alu instid0(VALU_DEP_3) | instskip(NEXT) | instid1(VALU_DEP_2)
	v_pk_mul_f32 v[126:127], v[126:127], v[128:129] op_sel_hi:[1,0]
	v_fma_f32 v11, v134, v138, -v11
	s_set_vgpr_msb 5                        ;  msbs: dst=0 src0=1 src1=1 src2=0
	s_delay_alu instid0(VALU_DEP_2) | instskip(SKIP_3) | instid1(VALU_DEP_2)
	v_pk_fma_f32 v[128:129], v[0:1] /*v[256:257]*/, v[4:5] /*v[260:261]*/, v[126:127] neg_lo:[0,0,1] neg_hi:[0,0,1]
	v_pk_fma_f32 v[126:127], v[0:1] /*v[256:257]*/, v[4:5] /*v[260:261]*/, v[126:127] op_sel_hi:[1,0,1]
	s_set_vgpr_msb 0                        ;  msbs: dst=0 src0=0 src1=0 src2=0
	v_add_f32_e32 v9, v9, v11
	v_dual_mul_f32 v11, v137, v141 :: v_dual_mov_b32 v129, v127
	s_wait_loadcnt_dscnt 0x303
	s_set_vgpr_msb 4                        ;  msbs: dst=0 src0=0 src1=1 src2=0
	v_pk_mul_f32 v[126:127], v[110:111], v[6:7] /*v[262:263]*/ op_sel:[1,1] op_sel_hi:[0,1]
	s_set_vgpr_msb 0                        ;  msbs: dst=0 src0=0 src1=0 src2=0
	v_fma_f32 v11, v136, v140, -v11
	s_delay_alu instid0(VALU_DEP_1) | instskip(SKIP_1) | instid1(VALU_DEP_1)
	v_add_f32_e32 v9, v9, v11
	v_mul_f32_e32 v11, v143, v147
	v_fma_f32 v11, v142, v146, -v11
	s_delay_alu instid0(VALU_DEP_1) | instskip(SKIP_1) | instid1(VALU_DEP_1)
	v_add_f32_e32 v9, v9, v11
	v_mul_f32_e32 v11, v145, v149
	v_fma_f32 v11, v144, v148, -v11
	s_delay_alu instid0(VALU_DEP_1) | instskip(SKIP_1) | instid1(VALU_DEP_1)
	v_add_f32_e32 v9, v9, v11
	v_mul_f32_e32 v11, v151, v155
	v_fma_f32 v11, v150, v154, -v11
	s_delay_alu instid0(VALU_DEP_1) | instskip(SKIP_1) | instid1(VALU_DEP_1)
	v_add_f32_e32 v9, v9, v11
	v_mul_f32_e32 v11, v153, v157
	v_fma_f32 v11, v152, v156, -v11
	s_delay_alu instid0(VALU_DEP_1) | instskip(SKIP_1) | instid1(VALU_DEP_1)
	v_add_f32_e32 v9, v9, v11
	v_mul_f32_e32 v11, v159, v163
	v_fma_f32 v11, v158, v162, -v11
	s_delay_alu instid0(VALU_DEP_1) | instskip(SKIP_1) | instid1(VALU_DEP_1)
	v_add_f32_e32 v9, v9, v11
	v_mul_f32_e32 v11, v161, v165
	v_fma_f32 v11, v160, v164, -v11
	s_delay_alu instid0(VALU_DEP_1) | instskip(SKIP_1) | instid1(VALU_DEP_1)
	v_add_f32_e32 v9, v9, v11
	v_mul_f32_e32 v11, v167, v171
	v_fma_f32 v11, v166, v170, -v11
	s_delay_alu instid0(VALU_DEP_1) | instskip(SKIP_1) | instid1(VALU_DEP_1)
	v_add_f32_e32 v9, v9, v11
	v_mul_f32_e32 v11, v169, v173
	v_fma_f32 v11, v168, v172, -v11
	s_delay_alu instid0(VALU_DEP_1) | instskip(SKIP_1) | instid1(VALU_DEP_1)
	v_add_f32_e32 v9, v9, v11
	v_mul_f32_e32 v11, v175, v179
	v_fma_f32 v11, v174, v178, -v11
	s_delay_alu instid0(VALU_DEP_1) | instskip(SKIP_1) | instid1(VALU_DEP_1)
	v_add_f32_e32 v9, v9, v11
	v_mul_f32_e32 v11, v177, v181
	v_fma_f32 v11, v176, v180, -v11
	s_delay_alu instid0(VALU_DEP_1) | instskip(SKIP_1) | instid1(VALU_DEP_1)
	v_add_f32_e32 v9, v9, v11
	v_mul_f32_e32 v11, v183, v187
	v_fma_f32 v11, v182, v186, -v11
	s_delay_alu instid0(VALU_DEP_1) | instskip(SKIP_1) | instid1(VALU_DEP_1)
	v_add_f32_e32 v9, v9, v11
	v_mul_f32_e32 v11, v185, v189
	v_fma_f32 v11, v184, v188, -v11
	s_delay_alu instid0(VALU_DEP_1) | instskip(SKIP_1) | instid1(VALU_DEP_1)
	v_add_f32_e32 v9, v9, v11
	v_mul_f32_e32 v11, v191, v195
	v_fma_f32 v11, v190, v194, -v11
	s_delay_alu instid0(VALU_DEP_1) | instskip(SKIP_1) | instid1(VALU_DEP_1)
	v_add_f32_e32 v9, v9, v11
	v_mul_f32_e32 v11, v193, v197
	v_fma_f32 v11, v192, v196, -v11
	s_delay_alu instid0(VALU_DEP_1) | instskip(SKIP_1) | instid1(VALU_DEP_1)
	v_add_f32_e32 v9, v9, v11
	v_mul_f32_e32 v11, v199, v203
	v_fma_f32 v11, v198, v202, -v11
	s_delay_alu instid0(VALU_DEP_1) | instskip(SKIP_1) | instid1(VALU_DEP_1)
	v_add_f32_e32 v9, v9, v11
	v_mul_f32_e32 v11, v201, v205
	v_fma_f32 v11, v200, v204, -v11
	s_delay_alu instid0(VALU_DEP_1) | instskip(SKIP_1) | instid1(VALU_DEP_1)
	v_add_f32_e32 v9, v9, v11
	v_mul_f32_e32 v11, v207, v211
	v_fma_f32 v11, v206, v210, -v11
	s_delay_alu instid0(VALU_DEP_1) | instskip(SKIP_1) | instid1(VALU_DEP_1)
	v_add_f32_e32 v9, v9, v11
	v_mul_f32_e32 v11, v209, v213
	v_fma_f32 v11, v208, v212, -v11
	s_delay_alu instid0(VALU_DEP_1) | instskip(SKIP_1) | instid1(VALU_DEP_1)
	v_add_f32_e32 v9, v9, v11
	v_mul_f32_e32 v11, v215, v219
	v_fma_f32 v11, v214, v218, -v11
	s_delay_alu instid0(VALU_DEP_1) | instskip(SKIP_1) | instid1(VALU_DEP_1)
	v_add_f32_e32 v9, v9, v11
	v_mul_f32_e32 v11, v217, v221
	v_fma_f32 v11, v216, v220, -v11
	s_delay_alu instid0(VALU_DEP_1) | instskip(SKIP_1) | instid1(VALU_DEP_1)
	v_add_f32_e32 v9, v9, v11
	v_mul_f32_e32 v11, v223, v227
	v_fma_f32 v11, v222, v226, -v11
	s_delay_alu instid0(VALU_DEP_1) | instskip(SKIP_1) | instid1(VALU_DEP_1)
	v_add_f32_e32 v9, v9, v11
	v_mul_f32_e32 v11, v225, v229
	v_fma_f32 v11, v224, v228, -v11
	s_delay_alu instid0(VALU_DEP_1) | instskip(SKIP_1) | instid1(VALU_DEP_1)
	v_add_f32_e32 v9, v9, v11
	v_mul_f32_e32 v11, v231, v235
	v_fma_f32 v11, v230, v234, -v11
	s_delay_alu instid0(VALU_DEP_1) | instskip(SKIP_1) | instid1(VALU_DEP_1)
	v_add_f32_e32 v9, v9, v11
	v_mul_f32_e32 v11, v233, v237
	v_fma_f32 v11, v232, v236, -v11
	s_delay_alu instid0(VALU_DEP_1) | instskip(SKIP_1) | instid1(VALU_DEP_1)
	v_add_f32_e32 v9, v9, v11
	v_mul_f32_e32 v11, v239, v243
	v_fma_f32 v11, v238, v242, -v11
	s_delay_alu instid0(VALU_DEP_1) | instskip(SKIP_1) | instid1(VALU_DEP_1)
	v_add_f32_e32 v9, v9, v11
	v_mul_f32_e32 v11, v241, v245
	v_fma_f32 v11, v240, v244, -v11
	s_delay_alu instid0(VALU_DEP_1) | instskip(SKIP_1) | instid1(VALU_DEP_1)
	v_add_f32_e32 v9, v9, v11
	v_mul_f32_e32 v11, v247, v251
	v_fma_f32 v11, v246, v250, -v11
	s_set_vgpr_msb 64                       ;  msbs: dst=1 src0=0 src1=0 src2=0
	s_delay_alu instid0(VALU_DEP_1) | instskip(SKIP_3) | instid1(VALU_DEP_1)
	v_add_f32_e32 v18 /*v274*/, v9, v11
	s_set_vgpr_msb 0                        ;  msbs: dst=0 src0=0 src1=0 src2=0
	v_mul_f32_e32 v9, v249, v253
	s_set_vgpr_msb 64                       ;  msbs: dst=1 src0=0 src1=0 src2=0
	v_fma_f32 v20 /*v276*/, v248, v252, -v9
	s_set_vgpr_msb 4                        ;  msbs: dst=0 src0=0 src1=1 src2=0
	v_mul_f32_e32 v9, v255, v3 /*v259*/
	s_set_vgpr_msb 0x44                     ;  msbs: dst=1 src0=0 src1=1 src2=0
	v_mul_f32_e32 v23 /*v279*/, v254, v3 /*v259*/
	s_set_vgpr_msb 5                        ;  msbs: dst=0 src0=1 src1=1 src2=0
	v_pk_add_f32 v[124:125], v[18:19] /*v[274:275]*/, v[20:21] /*v[276:277]*/
	s_set_vgpr_msb 0x44                     ;  msbs: dst=1 src0=0 src1=1 src2=0
	v_fma_f32 v22 /*v278*/, v254, v2 /*v258*/, -v9
	v_fmac_f32_e32 v23 /*v279*/, v255, v2 /*v258*/
	s_set_vgpr_msb 4                        ;  msbs: dst=0 src0=0 src1=1 src2=0
	s_delay_alu instid0(VALU_DEP_1) | instskip(SKIP_1) | instid1(VALU_DEP_1)
	v_pk_add_f32 v[124:125], v[124:125], v[22:23] /*v[278:279]*/
	s_set_vgpr_msb 0                        ;  msbs: dst=0 src0=0 src1=0 src2=0
	v_pk_add_f32 v[124:125], v[124:125], v[128:129]
	s_set_vgpr_msb 4                        ;  msbs: dst=0 src0=0 src1=1 src2=0
	v_pk_fma_f32 v[128:129], v[110:111], v[6:7] /*v[262:263]*/, v[126:127] neg_lo:[0,0,1] neg_hi:[0,0,1]
	v_pk_fma_f32 v[110:111], v[110:111], v[6:7] /*v[262:263]*/, v[126:127] op_sel_hi:[1,0,1]
	s_set_vgpr_msb 1                        ;  msbs: dst=0 src0=1 src1=0 src2=0
	v_mov_b32_e32 v126, v9 /*v265*/
	s_set_vgpr_msb 0                        ;  msbs: dst=0 src0=0 src1=0 src2=0
	s_delay_alu instid0(VALU_DEP_2) | instskip(NEXT) | instid1(VALU_DEP_1)
	v_mov_b32_e32 v129, v111
	v_pk_add_f32 v[110:111], v[124:125], v[128:129]
	v_dual_mov_b32 v124, v113 :: v_dual_mov_b32 v125, v112
	s_delay_alu instid0(VALU_DEP_1) | instskip(SKIP_1) | instid1(VALU_DEP_1)
	v_pk_mul_f32 v[124:125], v[124:125], v[126:127] op_sel_hi:[1,0]
	s_set_vgpr_msb 4                        ;  msbs: dst=0 src0=0 src1=1 src2=0
	v_pk_fma_f32 v[126:127], v[112:113], v[8:9] /*v[264:265]*/, v[124:125] neg_lo:[0,0,1] neg_hi:[0,0,1]
	v_pk_fma_f32 v[112:113], v[112:113], v[8:9] /*v[264:265]*/, v[124:125] op_sel_hi:[1,0,1]
	s_delay_alu instid0(VALU_DEP_1) | instskip(SKIP_3) | instid1(VALU_DEP_2)
	v_mov_b32_e32 v127, v113
	s_wait_loadcnt_dscnt 0x202
	v_pk_mul_f32 v[112:113], v[114:115], v[10:11] /*v[266:267]*/ op_sel:[1,1] op_sel_hi:[0,1]
	s_set_vgpr_msb 0                        ;  msbs: dst=0 src0=0 src1=0 src2=0
	v_pk_add_f32 v[110:111], v[110:111], v[126:127]
	s_set_vgpr_msb 4                        ;  msbs: dst=0 src0=0 src1=1 src2=0
	s_delay_alu instid0(VALU_DEP_2)
	v_pk_fma_f32 v[124:125], v[114:115], v[10:11] /*v[266:267]*/, v[112:113] neg_lo:[0,0,1] neg_hi:[0,0,1]
	v_pk_fma_f32 v[112:113], v[114:115], v[10:11] /*v[266:267]*/, v[112:113] op_sel_hi:[1,0,1]
	v_mov_b32_e32 v112, v117
	s_set_vgpr_msb 1                        ;  msbs: dst=0 src0=1 src1=0 src2=0
	v_mov_b32_e32 v114, v13 /*v269*/
	s_set_vgpr_msb 0                        ;  msbs: dst=0 src0=0 src1=0 src2=0
	v_dual_mov_b32 v125, v113 :: v_dual_mov_b32 v113, v116
	s_delay_alu instid0(VALU_DEP_1) | instskip(NEXT) | instid1(VALU_DEP_2)
	v_pk_add_f32 v[110:111], v[110:111], v[124:125]
	v_pk_mul_f32 v[112:113], v[112:113], v[114:115] op_sel_hi:[1,0]
	s_set_vgpr_msb 4                        ;  msbs: dst=0 src0=0 src1=1 src2=0
	s_delay_alu instid0(VALU_DEP_1) | instskip(SKIP_1) | instid1(VALU_DEP_1)
	v_pk_fma_f32 v[114:115], v[116:117], v[12:13] /*v[268:269]*/, v[112:113] neg_lo:[0,0,1] neg_hi:[0,0,1]
	v_pk_fma_f32 v[112:113], v[116:117], v[12:13] /*v[268:269]*/, v[112:113] op_sel_hi:[1,0,1]
	v_mov_b32_e32 v115, v113
	s_wait_loadcnt_dscnt 0x101
	v_pk_mul_f32 v[112:113], v[118:119], v[14:15] /*v[270:271]*/ op_sel:[1,1] op_sel_hi:[0,1]
	s_set_vgpr_msb 0                        ;  msbs: dst=0 src0=0 src1=0 src2=0
	s_delay_alu instid0(VALU_DEP_2) | instskip(SKIP_1) | instid1(VALU_DEP_2)
	v_pk_add_f32 v[110:111], v[110:111], v[114:115]
	s_set_vgpr_msb 4                        ;  msbs: dst=0 src0=0 src1=1 src2=0
	v_pk_fma_f32 v[114:115], v[118:119], v[14:15] /*v[270:271]*/, v[112:113] neg_lo:[0,0,1] neg_hi:[0,0,1]
	v_pk_fma_f32 v[112:113], v[118:119], v[14:15] /*v[270:271]*/, v[112:113] op_sel_hi:[1,0,1]
	s_delay_alu instid0(VALU_DEP_1) | instskip(SKIP_2) | instid1(VALU_DEP_2)
	v_dual_mov_b32 v112, v121 :: v_dual_mov_b32 v115, v113
	v_mov_b32_e32 v113, v120
	s_set_vgpr_msb 0                        ;  msbs: dst=0 src0=0 src1=0 src2=0
	v_pk_add_f32 v[110:111], v[110:111], v[114:115]
	s_set_vgpr_msb 1                        ;  msbs: dst=0 src0=1 src1=0 src2=0
	v_mov_b32_e32 v114, v17 /*v273*/
	s_set_vgpr_msb 0                        ;  msbs: dst=0 src0=0 src1=0 src2=0
	s_delay_alu instid0(VALU_DEP_1) | instskip(SKIP_1) | instid1(VALU_DEP_1)
	v_pk_mul_f32 v[112:113], v[112:113], v[114:115] op_sel_hi:[1,0]
	s_set_vgpr_msb 4                        ;  msbs: dst=0 src0=0 src1=1 src2=0
	v_pk_fma_f32 v[114:115], v[120:121], v[16:17] /*v[272:273]*/, v[112:113] neg_lo:[0,0,1] neg_hi:[0,0,1]
	v_pk_fma_f32 v[112:113], v[120:121], v[16:17] /*v[272:273]*/, v[112:113] op_sel_hi:[1,0,1]
	s_delay_alu instid0(VALU_DEP_1) | instskip(SKIP_3) | instid1(VALU_DEP_2)
	v_mov_b32_e32 v115, v113
	s_wait_loadcnt_dscnt 0x0
	v_pk_mul_f32 v[112:113], v[122:123], v[24:25] /*v[280:281]*/ op_sel:[1,1] op_sel_hi:[0,1]
	s_set_vgpr_msb 0                        ;  msbs: dst=0 src0=0 src1=0 src2=0
	v_pk_add_f32 v[110:111], v[110:111], v[114:115]
	s_set_vgpr_msb 4                        ;  msbs: dst=0 src0=0 src1=1 src2=0
	s_delay_alu instid0(VALU_DEP_2) | instskip(SKIP_1) | instid1(VALU_DEP_1)
	v_pk_fma_f32 v[114:115], v[122:123], v[24:25] /*v[280:281]*/, v[112:113] neg_lo:[0,0,1] neg_hi:[0,0,1]
	v_pk_fma_f32 v[112:113], v[122:123], v[24:25] /*v[280:281]*/, v[112:113] op_sel_hi:[1,0,1]
	v_mov_b32_e32 v115, v113
	scratch_load_b64 v[112:113], off, off offset:64
	s_set_vgpr_msb 0                        ;  msbs: dst=0 src0=0 src1=0 src2=0
	v_pk_add_f32 v[110:111], v[110:111], v[114:115]
	s_wait_loadcnt 0x0
	s_delay_alu instid0(VALU_DEP_1)
	v_pk_add_f32 v[110:111], v[112:113], v[110:111] neg_lo:[0,1] neg_hi:[0,1]
	scratch_store_b64 off, v[110:111], off offset:64
	s_wait_xcnt 0x0
	v_cmpx_lt_u32_e32 7, v0
	s_cbranch_execz .LBB53_323
; %bb.322:
	scratch_load_b64 v[110:111], off, off offset:56
	v_mov_b64_e32 v[112:113], 0
	scratch_store_b64 off, v[112:113], off offset:56
	s_wait_loadcnt 0x0
	ds_store_b64 v1, v[110:111]
.LBB53_323:
	s_wait_xcnt 0x0
	s_or_b32 exec_lo, exec_lo, s0
	s_wait_storecnt_dscnt 0x0
	s_barrier_signal -1
	s_barrier_wait -1
	ds_load_b128 v[110:113], v7 offset:496
	ds_load_b128 v[114:117], v7 offset:512
	;; [unrolled: 1-line block ×4, first 2 shown]
	s_clause 0x11
	scratch_load_b128 v[126:129], off, off offset:64
	scratch_load_b128 v[130:133], off, off offset:80
	;; [unrolled: 1-line block ×18, first 2 shown]
	ds_load_b128 v[142:145], v7 offset:560
	ds_load_b128 v[150:153], v7 offset:576
	ds_load_b128 v[158:161], v7 offset:592
	ds_load_b128 v[166:169], v7 offset:608
	ds_load_b128 v[174:177], v7 offset:624
	ds_load_b128 v[182:185], v7 offset:640
	ds_load_b128 v[190:193], v7 offset:656
	ds_load_b128 v[198:201], v7 offset:672
	ds_load_b128 v[206:209], v7 offset:688
	ds_load_b128 v[214:217], v7 offset:704
	ds_load_b128 v[222:225], v7 offset:720
	ds_load_b128 v[230:233], v7 offset:736
	ds_load_b128 v[238:241], v7 offset:752
	ds_load_b128 v[246:249], v7 offset:768
	s_set_vgpr_msb 64                       ;  msbs: dst=1 src0=0 src1=0 src2=0
	scratch_load_b128 v[2:5] /*v[258:261]*/, off, off offset:352
	s_set_vgpr_msb 0                        ;  msbs: dst=0 src0=0 src1=0 src2=0
	ds_load_b128 v[254:257], v7 offset:784
	s_set_vgpr_msb 64                       ;  msbs: dst=1 src0=0 src1=0 src2=0
	s_clause 0x3
	scratch_load_b128 v[6:9] /*v[262:265]*/, off, off offset:368
	scratch_load_b128 v[10:13] /*v[266:269]*/, off, off offset:384
	;; [unrolled: 1-line block ×4, first 2 shown]
	s_mov_b32 s0, exec_lo
	s_wait_loadcnt_dscnt 0x1612
	s_set_vgpr_msb 0                        ;  msbs: dst=0 src0=0 src1=0 src2=0
	v_dual_mul_f32 v9, v110, v127 :: v_dual_mul_f32 v11, v112, v129
	s_delay_alu instid0(VALU_DEP_1) | instskip(NEXT) | instid1(VALU_DEP_1)
	v_dual_fmac_f32 v9, v111, v126 :: v_dual_fmac_f32 v11, v113, v128
	v_add_f32_e32 v9, 0, v9
	s_delay_alu instid0(VALU_DEP_1) | instskip(SKIP_2) | instid1(VALU_DEP_1)
	v_add_f32_e32 v9, v9, v11
	s_wait_loadcnt_dscnt 0x1511
	v_mul_f32_e32 v11, v114, v131
	v_fmac_f32_e32 v11, v115, v130
	s_delay_alu instid0(VALU_DEP_1) | instskip(NEXT) | instid1(VALU_DEP_1)
	v_dual_add_f32 v9, v9, v11 :: v_dual_mul_f32 v11, v116, v133
	v_fmac_f32_e32 v11, v117, v132
	s_delay_alu instid0(VALU_DEP_1) | instskip(SKIP_2) | instid1(VALU_DEP_1)
	v_add_f32_e32 v9, v9, v11
	s_wait_loadcnt_dscnt 0x1410
	v_mul_f32_e32 v11, v118, v135
	v_fmac_f32_e32 v11, v119, v134
	s_delay_alu instid0(VALU_DEP_1) | instskip(NEXT) | instid1(VALU_DEP_1)
	v_dual_add_f32 v9, v9, v11 :: v_dual_mul_f32 v11, v120, v137
	v_fmac_f32_e32 v11, v121, v136
	;; [unrolled: 8-line block ×17, first 2 shown]
	s_set_vgpr_msb 64                       ;  msbs: dst=1 src0=0 src1=0 src2=0
	s_delay_alu instid0(VALU_DEP_1) | instskip(SKIP_2) | instid1(VALU_DEP_1)
	v_add_f32_e32 v23 /*v279*/, v9, v11
	s_set_vgpr_msb 0                        ;  msbs: dst=0 src0=0 src1=0 src2=0
	v_dual_mul_f32 v9, v111, v127 :: v_dual_mul_f32 v11, v113, v129
	v_dual_fma_f32 v9, v110, v126, -v9 :: v_dual_fma_f32 v11, v112, v128, -v11
	s_delay_alu instid0(VALU_DEP_1) | instskip(NEXT) | instid1(VALU_DEP_1)
	v_add_f32_e32 v9, 0, v9
	v_add_f32_e32 v9, v9, v11
	v_mul_f32_e32 v11, v115, v131
	s_delay_alu instid0(VALU_DEP_1) | instskip(NEXT) | instid1(VALU_DEP_1)
	v_fma_f32 v11, v114, v130, -v11
	v_add_f32_e32 v9, v9, v11
	v_mul_f32_e32 v11, v117, v133
	s_delay_alu instid0(VALU_DEP_1) | instskip(NEXT) | instid1(VALU_DEP_1)
	v_fma_f32 v11, v116, v132, -v11
	;; [unrolled: 4-line block ×5, first 2 shown]
	v_add_f32_e32 v9, v9, v11
	v_mul_f32_e32 v11, v125, v141
	s_delay_alu instid0(VALU_DEP_1)
	v_fma_f32 v11, v124, v140, -v11
	ds_load_b128 v[110:113], v7 offset:800
	ds_load_b128 v[114:117], v7 offset:816
	;; [unrolled: 1-line block ×4, first 2 shown]
	v_add_f32_e32 v9, v9, v11
	v_mul_f32_e32 v11, v143, v147
	s_delay_alu instid0(VALU_DEP_1) | instskip(NEXT) | instid1(VALU_DEP_1)
	v_fma_f32 v11, v142, v146, -v11
	v_add_f32_e32 v9, v9, v11
	v_mul_f32_e32 v11, v145, v149
	s_wait_loadcnt_dscnt 0x303
	s_set_vgpr_msb 4                        ;  msbs: dst=0 src0=0 src1=1 src2=0
	v_pk_mul_f32 v[128:129], v[110:111], v[6:7] /*v[262:263]*/ op_sel:[1,1] op_sel_hi:[0,1]
	s_set_vgpr_msb 0                        ;  msbs: dst=0 src0=0 src1=0 src2=0
	v_fma_f32 v11, v144, v148, -v11
	s_set_vgpr_msb 4                        ;  msbs: dst=0 src0=0 src1=1 src2=0
	s_delay_alu instid0(VALU_DEP_2)
	v_pk_fma_f32 v[130:131], v[110:111], v[6:7] /*v[262:263]*/, v[128:129] neg_lo:[0,0,1] neg_hi:[0,0,1]
	v_pk_fma_f32 v[110:111], v[110:111], v[6:7] /*v[262:263]*/, v[128:129] op_sel_hi:[1,0,1]
	s_set_vgpr_msb 1                        ;  msbs: dst=0 src0=1 src1=0 src2=0
	v_mov_b32_e32 v128, v9 /*v265*/
	s_set_vgpr_msb 0                        ;  msbs: dst=0 src0=0 src1=0 src2=0
	v_add_f32_e32 v9, v9, v11
	v_mul_f32_e32 v11, v151, v155
	s_delay_alu instid0(VALU_DEP_1) | instskip(NEXT) | instid1(VALU_DEP_1)
	v_dual_mov_b32 v131, v111 :: v_dual_fma_f32 v11, v150, v154, -v11
	v_add_f32_e32 v9, v9, v11
	v_mul_f32_e32 v11, v153, v157
	s_delay_alu instid0(VALU_DEP_1) | instskip(NEXT) | instid1(VALU_DEP_1)
	v_fma_f32 v11, v152, v156, -v11
	v_add_f32_e32 v9, v9, v11
	v_mul_f32_e32 v11, v159, v163
	s_delay_alu instid0(VALU_DEP_1) | instskip(NEXT) | instid1(VALU_DEP_1)
	v_fma_f32 v11, v158, v162, -v11
	;; [unrolled: 4-line block ×24, first 2 shown]
	v_add_f32_e32 v9, v9, v11
	v_mul_f32_e32 v11, v249, v253
	s_delay_alu instid0(VALU_DEP_1) | instskip(SKIP_1) | instid1(VALU_DEP_1)
	v_fma_f32 v11, v248, v252, -v11
	s_set_vgpr_msb 64                       ;  msbs: dst=1 src0=0 src1=0 src2=0
	v_add_f32_e32 v22 /*v278*/, v9, v11
	s_set_vgpr_msb 4                        ;  msbs: dst=0 src0=0 src1=1 src2=0
	v_mul_f32_e32 v9, v255, v3 /*v259*/
	s_set_vgpr_msb 0x44                     ;  msbs: dst=1 src0=0 src1=1 src2=0
	s_delay_alu instid0(VALU_DEP_1) | instskip(NEXT) | instid1(VALU_DEP_1)
	v_dual_mul_f32 v25 /*v281*/, v254, v3 /*v259*/ :: v_dual_fma_f32 v24 /*v280*/, v254, v2 /*v258*/, -v9
	v_fmac_f32_e32 v25 /*v281*/, v255, v2 /*v258*/
	s_set_vgpr_msb 5                        ;  msbs: dst=0 src0=1 src1=1 src2=0
	v_mul_f32_e32 v9, v1 /*v257*/, v5 /*v261*/
	s_set_vgpr_msb 0x45                     ;  msbs: dst=1 src0=1 src1=1 src2=0
	v_mul_f32_e32 v27 /*v283*/, v0 /*v256*/, v5 /*v261*/
	s_set_vgpr_msb 5                        ;  msbs: dst=0 src0=1 src1=1 src2=0
	v_pk_add_f32 v[126:127], v[22:23] /*v[278:279]*/, v[24:25] /*v[280:281]*/
	s_set_vgpr_msb 0x45                     ;  msbs: dst=1 src0=1 src1=1 src2=0
	v_fma_f32 v26 /*v282*/, v0 /*v256*/, v4 /*v260*/, -v9
	v_fmac_f32_e32 v27 /*v283*/, v1 /*v257*/, v4 /*v260*/
	s_set_vgpr_msb 4                        ;  msbs: dst=0 src0=0 src1=1 src2=0
	s_delay_alu instid0(VALU_DEP_1) | instskip(SKIP_1) | instid1(VALU_DEP_1)
	v_pk_add_f32 v[126:127], v[126:127], v[26:27] /*v[282:283]*/
	s_set_vgpr_msb 0                        ;  msbs: dst=0 src0=0 src1=0 src2=0
	v_pk_add_f32 v[110:111], v[126:127], v[130:131]
	v_dual_mov_b32 v126, v113 :: v_dual_mov_b32 v127, v112
	s_delay_alu instid0(VALU_DEP_1) | instskip(SKIP_1) | instid1(VALU_DEP_1)
	v_pk_mul_f32 v[126:127], v[126:127], v[128:129] op_sel_hi:[1,0]
	s_set_vgpr_msb 4                        ;  msbs: dst=0 src0=0 src1=1 src2=0
	v_pk_fma_f32 v[128:129], v[112:113], v[8:9] /*v[264:265]*/, v[126:127] neg_lo:[0,0,1] neg_hi:[0,0,1]
	v_pk_fma_f32 v[112:113], v[112:113], v[8:9] /*v[264:265]*/, v[126:127] op_sel_hi:[1,0,1]
	s_delay_alu instid0(VALU_DEP_1) | instskip(SKIP_3) | instid1(VALU_DEP_2)
	v_mov_b32_e32 v129, v113
	s_wait_loadcnt_dscnt 0x202
	v_pk_mul_f32 v[112:113], v[114:115], v[10:11] /*v[266:267]*/ op_sel:[1,1] op_sel_hi:[0,1]
	s_set_vgpr_msb 0                        ;  msbs: dst=0 src0=0 src1=0 src2=0
	v_pk_add_f32 v[110:111], v[110:111], v[128:129]
	s_set_vgpr_msb 4                        ;  msbs: dst=0 src0=0 src1=1 src2=0
	s_delay_alu instid0(VALU_DEP_2)
	v_pk_fma_f32 v[126:127], v[114:115], v[10:11] /*v[266:267]*/, v[112:113] neg_lo:[0,0,1] neg_hi:[0,0,1]
	v_pk_fma_f32 v[112:113], v[114:115], v[10:11] /*v[266:267]*/, v[112:113] op_sel_hi:[1,0,1]
	v_mov_b32_e32 v112, v117
	s_set_vgpr_msb 1                        ;  msbs: dst=0 src0=1 src1=0 src2=0
	v_mov_b32_e32 v114, v13 /*v269*/
	s_set_vgpr_msb 0                        ;  msbs: dst=0 src0=0 src1=0 src2=0
	v_dual_mov_b32 v127, v113 :: v_dual_mov_b32 v113, v116
	s_delay_alu instid0(VALU_DEP_1) | instskip(NEXT) | instid1(VALU_DEP_2)
	v_pk_add_f32 v[110:111], v[110:111], v[126:127]
	v_pk_mul_f32 v[112:113], v[112:113], v[114:115] op_sel_hi:[1,0]
	s_set_vgpr_msb 4                        ;  msbs: dst=0 src0=0 src1=1 src2=0
	s_delay_alu instid0(VALU_DEP_1) | instskip(SKIP_1) | instid1(VALU_DEP_1)
	v_pk_fma_f32 v[114:115], v[116:117], v[12:13] /*v[268:269]*/, v[112:113] neg_lo:[0,0,1] neg_hi:[0,0,1]
	v_pk_fma_f32 v[112:113], v[116:117], v[12:13] /*v[268:269]*/, v[112:113] op_sel_hi:[1,0,1]
	v_mov_b32_e32 v115, v113
	s_wait_loadcnt_dscnt 0x101
	v_pk_mul_f32 v[112:113], v[118:119], v[14:15] /*v[270:271]*/ op_sel:[1,1] op_sel_hi:[0,1]
	s_set_vgpr_msb 0                        ;  msbs: dst=0 src0=0 src1=0 src2=0
	s_delay_alu instid0(VALU_DEP_2) | instskip(SKIP_1) | instid1(VALU_DEP_2)
	v_pk_add_f32 v[110:111], v[110:111], v[114:115]
	s_set_vgpr_msb 4                        ;  msbs: dst=0 src0=0 src1=1 src2=0
	v_pk_fma_f32 v[114:115], v[118:119], v[14:15] /*v[270:271]*/, v[112:113] neg_lo:[0,0,1] neg_hi:[0,0,1]
	v_pk_fma_f32 v[112:113], v[118:119], v[14:15] /*v[270:271]*/, v[112:113] op_sel_hi:[1,0,1]
	s_delay_alu instid0(VALU_DEP_1) | instskip(SKIP_2) | instid1(VALU_DEP_2)
	v_dual_mov_b32 v112, v121 :: v_dual_mov_b32 v115, v113
	v_mov_b32_e32 v113, v120
	s_set_vgpr_msb 0                        ;  msbs: dst=0 src0=0 src1=0 src2=0
	v_pk_add_f32 v[110:111], v[110:111], v[114:115]
	s_set_vgpr_msb 1                        ;  msbs: dst=0 src0=1 src1=0 src2=0
	v_mov_b32_e32 v114, v17 /*v273*/
	s_set_vgpr_msb 0                        ;  msbs: dst=0 src0=0 src1=0 src2=0
	s_delay_alu instid0(VALU_DEP_1) | instskip(SKIP_1) | instid1(VALU_DEP_1)
	v_pk_mul_f32 v[112:113], v[112:113], v[114:115] op_sel_hi:[1,0]
	s_set_vgpr_msb 4                        ;  msbs: dst=0 src0=0 src1=1 src2=0
	v_pk_fma_f32 v[114:115], v[120:121], v[16:17] /*v[272:273]*/, v[112:113] neg_lo:[0,0,1] neg_hi:[0,0,1]
	v_pk_fma_f32 v[112:113], v[120:121], v[16:17] /*v[272:273]*/, v[112:113] op_sel_hi:[1,0,1]
	s_delay_alu instid0(VALU_DEP_1) | instskip(SKIP_3) | instid1(VALU_DEP_2)
	v_mov_b32_e32 v115, v113
	s_wait_loadcnt_dscnt 0x0
	v_pk_mul_f32 v[112:113], v[122:123], v[18:19] /*v[274:275]*/ op_sel:[1,1] op_sel_hi:[0,1]
	s_set_vgpr_msb 0                        ;  msbs: dst=0 src0=0 src1=0 src2=0
	v_pk_add_f32 v[110:111], v[110:111], v[114:115]
	s_set_vgpr_msb 4                        ;  msbs: dst=0 src0=0 src1=1 src2=0
	s_delay_alu instid0(VALU_DEP_2) | instskip(SKIP_1) | instid1(VALU_DEP_1)
	v_pk_fma_f32 v[114:115], v[122:123], v[18:19] /*v[274:275]*/, v[112:113] neg_lo:[0,0,1] neg_hi:[0,0,1]
	v_pk_fma_f32 v[112:113], v[122:123], v[18:19] /*v[274:275]*/, v[112:113] op_sel_hi:[1,0,1]
	v_dual_mov_b32 v112, v125 :: v_dual_mov_b32 v115, v113
	v_mov_b32_e32 v113, v124
	s_set_vgpr_msb 0                        ;  msbs: dst=0 src0=0 src1=0 src2=0
	s_delay_alu instid0(VALU_DEP_2) | instskip(SKIP_3) | instid1(VALU_DEP_1)
	v_pk_add_f32 v[110:111], v[110:111], v[114:115]
	s_set_vgpr_msb 1                        ;  msbs: dst=0 src0=1 src1=0 src2=0
	v_mov_b32_e32 v114, v21 /*v277*/
	s_set_vgpr_msb 0                        ;  msbs: dst=0 src0=0 src1=0 src2=0
	v_pk_mul_f32 v[112:113], v[112:113], v[114:115] op_sel_hi:[1,0]
	s_set_vgpr_msb 4                        ;  msbs: dst=0 src0=0 src1=1 src2=0
	s_delay_alu instid0(VALU_DEP_1) | instskip(SKIP_1) | instid1(VALU_DEP_1)
	v_pk_fma_f32 v[114:115], v[124:125], v[20:21] /*v[276:277]*/, v[112:113] neg_lo:[0,0,1] neg_hi:[0,0,1]
	v_pk_fma_f32 v[112:113], v[124:125], v[20:21] /*v[276:277]*/, v[112:113] op_sel_hi:[1,0,1]
	v_mov_b32_e32 v115, v113
	scratch_load_b64 v[112:113], off, off offset:56
	s_set_vgpr_msb 0                        ;  msbs: dst=0 src0=0 src1=0 src2=0
	v_pk_add_f32 v[110:111], v[110:111], v[114:115]
	s_wait_loadcnt 0x0
	s_delay_alu instid0(VALU_DEP_1)
	v_pk_add_f32 v[110:111], v[112:113], v[110:111] neg_lo:[0,1] neg_hi:[0,1]
	scratch_store_b64 off, v[110:111], off offset:56
	s_wait_xcnt 0x0
	v_cmpx_lt_u32_e32 6, v0
	s_cbranch_execz .LBB53_325
; %bb.324:
	scratch_load_b64 v[110:111], off, off offset:48
	v_mov_b64_e32 v[112:113], 0
	scratch_store_b64 off, v[112:113], off offset:48
	s_wait_loadcnt 0x0
	ds_store_b64 v1, v[110:111]
.LBB53_325:
	s_wait_xcnt 0x0
	s_or_b32 exec_lo, exec_lo, s0
	s_wait_storecnt_dscnt 0x0
	s_barrier_signal -1
	s_barrier_wait -1
	s_clause 0xf
	scratch_load_b128 v[114:117], off, off offset:56
	scratch_load_b128 v[122:125], off, off offset:72
	;; [unrolled: 1-line block ×16, first 2 shown]
	v_mov_b32_e32 v7, 0
	s_clause 0x4
	scratch_load_b128 v[242:245], off, off offset:312
	scratch_load_b128 v[250:253], off, off offset:328
	s_set_vgpr_msb 64                       ;  msbs: dst=1 src0=0 src1=0 src2=0
	scratch_load_b128 v[2:5] /*v[258:261]*/, off, off offset:344
	scratch_load_b128 v[10:13] /*v[266:269]*/, off, off offset:360
	s_set_vgpr_msb 0                        ;  msbs: dst=0 src0=0 src1=0 src2=0
	ds_load_2addr_b64 v[110:113], v7 offset0:61 offset1:62
	ds_load_2addr_b64 v[118:121], v7 offset0:63 offset1:64
	s_mov_b32 s0, exec_lo
	s_wait_loadcnt_dscnt 0x1301
	v_dual_mul_f32 v9, v110, v115 :: v_dual_mul_f32 v11, v112, v117
	ds_load_2addr_b64 v[126:129], v7 offset0:65 offset1:66
	ds_load_2addr_b64 v[134:137], v7 offset0:67 offset1:68
	;; [unrolled: 1-line block ×4, first 2 shown]
	v_dual_fmac_f32 v9, v111, v114 :: v_dual_fmac_f32 v11, v113, v116
	ds_load_2addr_b64 v[158:161], v7 offset0:73 offset1:74
	ds_load_2addr_b64 v[166:169], v7 offset0:75 offset1:76
	;; [unrolled: 1-line block ×4, first 2 shown]
	v_add_f32_e32 v9, 0, v9
	ds_load_2addr_b64 v[190:193], v7 offset0:81 offset1:82
	ds_load_2addr_b64 v[198:201], v7 offset0:83 offset1:84
	;; [unrolled: 1-line block ×4, first 2 shown]
	v_add_f32_e32 v9, v9, v11
	s_wait_loadcnt_dscnt 0x120c
	v_mul_f32_e32 v11, v118, v123
	ds_load_2addr_b64 v[222:225], v7 offset0:89 offset1:90
	ds_load_2addr_b64 v[230:233], v7 offset0:91 offset1:92
	;; [unrolled: 1-line block ×4, first 2 shown]
	v_fmac_f32_e32 v11, v119, v122
	ds_load_2addr_b64 v[254:257], v7 offset0:97 offset1:98
	s_set_vgpr_msb 64                       ;  msbs: dst=1 src0=0 src1=0 src2=0
	ds_load_2addr_b64 v[6:9] /*v[262:265]*/, v7 offset0:99 offset1:100
	s_clause 0x3
	scratch_load_b128 v[14:17] /*v[270:273]*/, off, off offset:376
	scratch_load_b128 v[18:21] /*v[274:277]*/, off, off offset:392
	;; [unrolled: 1-line block ×3, first 2 shown]
	scratch_load_b64 v[32:33] /*v[288:289]*/, off, off offset:424
	s_set_vgpr_msb 0                        ;  msbs: dst=0 src0=0 src1=0 src2=0
	v_dual_add_f32 v9, v9, v11 :: v_dual_mul_f32 v11, v120, v125
	s_delay_alu instid0(VALU_DEP_1) | instskip(NEXT) | instid1(VALU_DEP_1)
	v_fmac_f32_e32 v11, v121, v124
	v_add_f32_e32 v9, v9, v11
	s_wait_loadcnt_dscnt 0x1511
	v_mul_f32_e32 v11, v126, v131
	s_wait_loadcnt_dscnt 0x400
	s_set_vgpr_msb 0x45                     ;  msbs: dst=1 src0=1 src1=1 src2=0
	v_dual_mul_f32 v29 /*v285*/, v0 /*v256*/, v5 /*v261*/ :: v_dual_mul_f32 v31 /*v287*/, v6 /*v262*/, v11 /*v267*/
	s_set_vgpr_msb 0                        ;  msbs: dst=0 src0=0 src1=0 src2=0
	v_fmac_f32_e32 v11, v127, v130
	s_set_vgpr_msb 0x45                     ;  msbs: dst=1 src0=1 src1=1 src2=0
	s_delay_alu instid0(VALU_DEP_2) | instskip(SKIP_1) | instid1(VALU_DEP_2)
	v_dual_fmac_f32 v29 /*v285*/, v1 /*v257*/, v4 /*v260*/ :: v_dual_fmac_f32 v31 /*v287*/, v7 /*v263*/, v10 /*v266*/
	s_set_vgpr_msb 0                        ;  msbs: dst=0 src0=0 src1=0 src2=0
	v_dual_add_f32 v9, v9, v11 :: v_dual_mul_f32 v11, v128, v133
	s_delay_alu instid0(VALU_DEP_1) | instskip(NEXT) | instid1(VALU_DEP_1)
	v_fmac_f32_e32 v11, v129, v132
	v_add_f32_e32 v9, v9, v11
	v_mul_f32_e32 v11, v134, v139
	s_delay_alu instid0(VALU_DEP_1) | instskip(NEXT) | instid1(VALU_DEP_1)
	v_fmac_f32_e32 v11, v135, v138
	v_dual_add_f32 v9, v9, v11 :: v_dual_mul_f32 v11, v136, v141
	s_delay_alu instid0(VALU_DEP_1) | instskip(NEXT) | instid1(VALU_DEP_1)
	v_fmac_f32_e32 v11, v137, v140
	v_add_f32_e32 v9, v9, v11
	v_mul_f32_e32 v11, v142, v147
	s_delay_alu instid0(VALU_DEP_1) | instskip(NEXT) | instid1(VALU_DEP_1)
	v_fmac_f32_e32 v11, v143, v146
	;; [unrolled: 7-line block ×15, first 2 shown]
	v_dual_add_f32 v9, v9, v11 :: v_dual_mul_f32 v11, v248, v253
	s_delay_alu instid0(VALU_DEP_1) | instskip(NEXT) | instid1(VALU_DEP_1)
	v_fmac_f32_e32 v11, v249, v252
	v_add_f32_e32 v9, v9, v11
	s_set_vgpr_msb 4                        ;  msbs: dst=0 src0=0 src1=1 src2=0
	v_mul_f32_e32 v11, v254, v3 /*v259*/
	s_delay_alu instid0(VALU_DEP_1) | instskip(SKIP_1) | instid1(VALU_DEP_1)
	v_fmac_f32_e32 v11, v255, v2 /*v258*/
	s_set_vgpr_msb 64                       ;  msbs: dst=1 src0=0 src1=0 src2=0
	v_add_f32_e32 v27 /*v283*/, v9, v11
	s_set_vgpr_msb 0                        ;  msbs: dst=0 src0=0 src1=0 src2=0
	v_dual_mul_f32 v9, v111, v115 :: v_dual_mul_f32 v11, v113, v117
	s_delay_alu instid0(VALU_DEP_1) | instskip(NEXT) | instid1(VALU_DEP_1)
	v_dual_fma_f32 v9, v110, v114, -v9 :: v_dual_fma_f32 v11, v112, v116, -v11
	v_add_f32_e32 v9, 0, v9
	s_delay_alu instid0(VALU_DEP_1) | instskip(SKIP_1) | instid1(VALU_DEP_1)
	v_add_f32_e32 v9, v9, v11
	v_mul_f32_e32 v11, v119, v123
	v_fma_f32 v11, v118, v122, -v11
	s_delay_alu instid0(VALU_DEP_1) | instskip(SKIP_1) | instid1(VALU_DEP_1)
	v_add_f32_e32 v9, v9, v11
	v_mul_f32_e32 v11, v121, v125
	v_fma_f32 v11, v120, v124, -v11
	ds_load_2addr_b64 v[110:113], v7 offset0:101 offset1:102
	ds_load_2addr_b64 v[114:117], v7 offset0:103 offset1:104
	;; [unrolled: 1-line block ×3, first 2 shown]
	ds_load_b64 v[122:123], v7 offset:856
	v_add_f32_e32 v9, v9, v11
	v_mul_f32_e32 v11, v127, v131
	s_set_vgpr_msb 1                        ;  msbs: dst=0 src0=1 src1=0 src2=0
	v_mov_b32_e32 v127, v8 /*v264*/
	s_set_vgpr_msb 0                        ;  msbs: dst=0 src0=0 src1=0 src2=0
	s_delay_alu instid0(VALU_DEP_2) | instskip(SKIP_3) | instid1(VALU_DEP_2)
	v_fma_f32 v11, v126, v130, -v11
	s_set_vgpr_msb 1                        ;  msbs: dst=0 src0=1 src1=0 src2=0
	v_mov_b32_e32 v126, v9 /*v265*/
	s_set_vgpr_msb 0                        ;  msbs: dst=0 src0=0 src1=0 src2=0
	v_add_f32_e32 v9, v9, v11
	v_mul_f32_e32 v11, v129, v133
	s_delay_alu instid0(VALU_DEP_1) | instskip(SKIP_3) | instid1(VALU_DEP_2)
	v_fma_f32 v11, v128, v132, -v11
	s_set_vgpr_msb 1                        ;  msbs: dst=0 src0=1 src1=0 src2=0
	v_mov_b32_e32 v128, v13 /*v269*/
	s_set_vgpr_msb 0                        ;  msbs: dst=0 src0=0 src1=0 src2=0
	v_add_f32_e32 v9, v9, v11
	v_mul_f32_e32 v11, v135, v139
	s_delay_alu instid0(VALU_DEP_3) | instskip(NEXT) | instid1(VALU_DEP_2)
	v_pk_mul_f32 v[126:127], v[126:127], v[128:129] op_sel_hi:[1,0]
	v_fma_f32 v11, v134, v138, -v11
	s_set_vgpr_msb 5                        ;  msbs: dst=0 src0=1 src1=1 src2=0
	s_delay_alu instid0(VALU_DEP_2) | instskip(SKIP_3) | instid1(VALU_DEP_2)
	v_pk_fma_f32 v[128:129], v[8:9] /*v[264:265]*/, v[12:13] /*v[268:269]*/, v[126:127] neg_lo:[0,0,1] neg_hi:[0,0,1]
	v_pk_fma_f32 v[126:127], v[8:9] /*v[264:265]*/, v[12:13] /*v[268:269]*/, v[126:127] op_sel_hi:[1,0,1]
	s_set_vgpr_msb 0                        ;  msbs: dst=0 src0=0 src1=0 src2=0
	v_add_f32_e32 v9, v9, v11
	v_dual_mul_f32 v11, v137, v141 :: v_dual_mov_b32 v129, v127
	s_wait_loadcnt_dscnt 0x303
	s_set_vgpr_msb 4                        ;  msbs: dst=0 src0=0 src1=1 src2=0
	v_pk_mul_f32 v[126:127], v[110:111], v[14:15] /*v[270:271]*/ op_sel:[1,1] op_sel_hi:[0,1]
	s_set_vgpr_msb 0                        ;  msbs: dst=0 src0=0 src1=0 src2=0
	v_fma_f32 v11, v136, v140, -v11
	s_delay_alu instid0(VALU_DEP_1) | instskip(SKIP_1) | instid1(VALU_DEP_1)
	v_add_f32_e32 v9, v9, v11
	v_mul_f32_e32 v11, v143, v147
	v_fma_f32 v11, v142, v146, -v11
	s_delay_alu instid0(VALU_DEP_1) | instskip(SKIP_1) | instid1(VALU_DEP_1)
	v_add_f32_e32 v9, v9, v11
	v_mul_f32_e32 v11, v145, v149
	;; [unrolled: 4-line block ×28, first 2 shown]
	v_fma_f32 v11, v248, v252, -v11
	s_delay_alu instid0(VALU_DEP_1) | instskip(SKIP_2) | instid1(VALU_DEP_1)
	v_add_f32_e32 v9, v9, v11
	s_set_vgpr_msb 4                        ;  msbs: dst=0 src0=0 src1=1 src2=0
	v_mul_f32_e32 v11, v255, v3 /*v259*/
	v_fma_f32 v11, v254, v2 /*v258*/, -v11
	s_set_vgpr_msb 64                       ;  msbs: dst=1 src0=0 src1=0 src2=0
	s_delay_alu instid0(VALU_DEP_1) | instskip(SKIP_3) | instid1(VALU_DEP_1)
	v_add_f32_e32 v26 /*v282*/, v9, v11
	s_set_vgpr_msb 5                        ;  msbs: dst=0 src0=1 src1=1 src2=0
	v_mul_f32_e32 v9, v1 /*v257*/, v5 /*v261*/
	s_set_vgpr_msb 0x45                     ;  msbs: dst=1 src0=1 src1=1 src2=0
	v_fma_f32 v28 /*v284*/, v0 /*v256*/, v4 /*v260*/, -v9
	s_set_vgpr_msb 5                        ;  msbs: dst=0 src0=1 src1=1 src2=0
	v_mul_f32_e32 v9, v7 /*v263*/, v11 /*v267*/
	s_set_vgpr_msb 0x45                     ;  msbs: dst=1 src0=1 src1=1 src2=0
	s_delay_alu instid0(VALU_DEP_1) | instskip(SKIP_3) | instid1(VALU_DEP_1)
	v_fma_f32 v30 /*v286*/, v6 /*v262*/, v10 /*v266*/, -v9
	s_set_vgpr_msb 5                        ;  msbs: dst=0 src0=1 src1=1 src2=0
	v_pk_add_f32 v[124:125], v[26:27] /*v[282:283]*/, v[28:29] /*v[284:285]*/
	s_set_vgpr_msb 4                        ;  msbs: dst=0 src0=0 src1=1 src2=0
	v_pk_add_f32 v[124:125], v[124:125], v[30:31] /*v[286:287]*/
	s_set_vgpr_msb 0                        ;  msbs: dst=0 src0=0 src1=0 src2=0
	s_delay_alu instid0(VALU_DEP_1)
	v_pk_add_f32 v[124:125], v[124:125], v[128:129]
	s_set_vgpr_msb 4                        ;  msbs: dst=0 src0=0 src1=1 src2=0
	v_pk_fma_f32 v[128:129], v[110:111], v[14:15] /*v[270:271]*/, v[126:127] neg_lo:[0,0,1] neg_hi:[0,0,1]
	v_pk_fma_f32 v[110:111], v[110:111], v[14:15] /*v[270:271]*/, v[126:127] op_sel_hi:[1,0,1]
	s_set_vgpr_msb 1                        ;  msbs: dst=0 src0=1 src1=0 src2=0
	v_mov_b32_e32 v126, v17 /*v273*/
	s_set_vgpr_msb 0                        ;  msbs: dst=0 src0=0 src1=0 src2=0
	s_delay_alu instid0(VALU_DEP_2) | instskip(NEXT) | instid1(VALU_DEP_1)
	v_mov_b32_e32 v129, v111
	v_pk_add_f32 v[110:111], v[124:125], v[128:129]
	v_dual_mov_b32 v124, v113 :: v_dual_mov_b32 v125, v112
	s_delay_alu instid0(VALU_DEP_1) | instskip(SKIP_1) | instid1(VALU_DEP_1)
	v_pk_mul_f32 v[124:125], v[124:125], v[126:127] op_sel_hi:[1,0]
	s_set_vgpr_msb 4                        ;  msbs: dst=0 src0=0 src1=1 src2=0
	v_pk_fma_f32 v[126:127], v[112:113], v[16:17] /*v[272:273]*/, v[124:125] neg_lo:[0,0,1] neg_hi:[0,0,1]
	v_pk_fma_f32 v[112:113], v[112:113], v[16:17] /*v[272:273]*/, v[124:125] op_sel_hi:[1,0,1]
	s_delay_alu instid0(VALU_DEP_1) | instskip(SKIP_3) | instid1(VALU_DEP_2)
	v_mov_b32_e32 v127, v113
	s_wait_loadcnt_dscnt 0x202
	v_pk_mul_f32 v[112:113], v[114:115], v[18:19] /*v[274:275]*/ op_sel:[1,1] op_sel_hi:[0,1]
	s_set_vgpr_msb 0                        ;  msbs: dst=0 src0=0 src1=0 src2=0
	v_pk_add_f32 v[110:111], v[110:111], v[126:127]
	s_set_vgpr_msb 4                        ;  msbs: dst=0 src0=0 src1=1 src2=0
	s_delay_alu instid0(VALU_DEP_2)
	v_pk_fma_f32 v[124:125], v[114:115], v[18:19] /*v[274:275]*/, v[112:113] neg_lo:[0,0,1] neg_hi:[0,0,1]
	v_pk_fma_f32 v[112:113], v[114:115], v[18:19] /*v[274:275]*/, v[112:113] op_sel_hi:[1,0,1]
	v_mov_b32_e32 v112, v117
	s_set_vgpr_msb 1                        ;  msbs: dst=0 src0=1 src1=0 src2=0
	v_mov_b32_e32 v114, v21 /*v277*/
	s_set_vgpr_msb 0                        ;  msbs: dst=0 src0=0 src1=0 src2=0
	v_dual_mov_b32 v125, v113 :: v_dual_mov_b32 v113, v116
	s_delay_alu instid0(VALU_DEP_1) | instskip(NEXT) | instid1(VALU_DEP_2)
	v_pk_add_f32 v[110:111], v[110:111], v[124:125]
	v_pk_mul_f32 v[112:113], v[112:113], v[114:115] op_sel_hi:[1,0]
	s_set_vgpr_msb 4                        ;  msbs: dst=0 src0=0 src1=1 src2=0
	s_delay_alu instid0(VALU_DEP_1) | instskip(SKIP_1) | instid1(VALU_DEP_1)
	v_pk_fma_f32 v[114:115], v[116:117], v[20:21] /*v[276:277]*/, v[112:113] neg_lo:[0,0,1] neg_hi:[0,0,1]
	v_pk_fma_f32 v[112:113], v[116:117], v[20:21] /*v[276:277]*/, v[112:113] op_sel_hi:[1,0,1]
	v_mov_b32_e32 v115, v113
	s_wait_loadcnt_dscnt 0x101
	v_pk_mul_f32 v[112:113], v[118:119], v[22:23] /*v[278:279]*/ op_sel:[1,1] op_sel_hi:[0,1]
	s_set_vgpr_msb 0                        ;  msbs: dst=0 src0=0 src1=0 src2=0
	s_delay_alu instid0(VALU_DEP_2) | instskip(SKIP_1) | instid1(VALU_DEP_2)
	v_pk_add_f32 v[110:111], v[110:111], v[114:115]
	s_set_vgpr_msb 4                        ;  msbs: dst=0 src0=0 src1=1 src2=0
	v_pk_fma_f32 v[114:115], v[118:119], v[22:23] /*v[278:279]*/, v[112:113] neg_lo:[0,0,1] neg_hi:[0,0,1]
	v_pk_fma_f32 v[112:113], v[118:119], v[22:23] /*v[278:279]*/, v[112:113] op_sel_hi:[1,0,1]
	s_delay_alu instid0(VALU_DEP_1) | instskip(SKIP_2) | instid1(VALU_DEP_2)
	v_dual_mov_b32 v112, v121 :: v_dual_mov_b32 v115, v113
	v_mov_b32_e32 v113, v120
	s_set_vgpr_msb 0                        ;  msbs: dst=0 src0=0 src1=0 src2=0
	v_pk_add_f32 v[110:111], v[110:111], v[114:115]
	s_set_vgpr_msb 1                        ;  msbs: dst=0 src0=1 src1=0 src2=0
	v_mov_b32_e32 v114, v25 /*v281*/
	s_set_vgpr_msb 0                        ;  msbs: dst=0 src0=0 src1=0 src2=0
	s_delay_alu instid0(VALU_DEP_1) | instskip(SKIP_1) | instid1(VALU_DEP_1)
	v_pk_mul_f32 v[112:113], v[112:113], v[114:115] op_sel_hi:[1,0]
	s_set_vgpr_msb 4                        ;  msbs: dst=0 src0=0 src1=1 src2=0
	v_pk_fma_f32 v[114:115], v[120:121], v[24:25] /*v[280:281]*/, v[112:113] neg_lo:[0,0,1] neg_hi:[0,0,1]
	v_pk_fma_f32 v[112:113], v[120:121], v[24:25] /*v[280:281]*/, v[112:113] op_sel_hi:[1,0,1]
	s_delay_alu instid0(VALU_DEP_1) | instskip(SKIP_3) | instid1(VALU_DEP_2)
	v_mov_b32_e32 v115, v113
	s_wait_loadcnt_dscnt 0x0
	v_pk_mul_f32 v[112:113], v[122:123], v[32:33] /*v[288:289]*/ op_sel:[1,1] op_sel_hi:[0,1]
	s_set_vgpr_msb 0                        ;  msbs: dst=0 src0=0 src1=0 src2=0
	v_pk_add_f32 v[110:111], v[110:111], v[114:115]
	s_set_vgpr_msb 4                        ;  msbs: dst=0 src0=0 src1=1 src2=0
	s_delay_alu instid0(VALU_DEP_2) | instskip(SKIP_1) | instid1(VALU_DEP_1)
	v_pk_fma_f32 v[114:115], v[122:123], v[32:33] /*v[288:289]*/, v[112:113] neg_lo:[0,0,1] neg_hi:[0,0,1]
	v_pk_fma_f32 v[112:113], v[122:123], v[32:33] /*v[288:289]*/, v[112:113] op_sel_hi:[1,0,1]
	v_mov_b32_e32 v115, v113
	scratch_load_b64 v[112:113], off, off offset:48
	s_set_vgpr_msb 0                        ;  msbs: dst=0 src0=0 src1=0 src2=0
	v_pk_add_f32 v[110:111], v[110:111], v[114:115]
	s_wait_loadcnt 0x0
	s_delay_alu instid0(VALU_DEP_1)
	v_pk_add_f32 v[110:111], v[112:113], v[110:111] neg_lo:[0,1] neg_hi:[0,1]
	scratch_store_b64 off, v[110:111], off offset:48
	s_wait_xcnt 0x0
	v_cmpx_lt_u32_e32 5, v0
	s_cbranch_execz .LBB53_327
; %bb.326:
	scratch_load_b64 v[110:111], off, off offset:40
	v_mov_b64_e32 v[112:113], 0
	scratch_store_b64 off, v[112:113], off offset:40
	s_wait_loadcnt 0x0
	ds_store_b64 v1, v[110:111]
.LBB53_327:
	s_wait_xcnt 0x0
	s_or_b32 exec_lo, exec_lo, s0
	s_wait_storecnt_dscnt 0x0
	s_barrier_signal -1
	s_barrier_wait -1
	s_clause 0x17
	scratch_load_b128 v[110:113], off, off offset:48
	scratch_load_b128 v[114:117], off, off offset:64
	;; [unrolled: 1-line block ×24, first 2 shown]
	ds_load_b128 v[206:209], v7 offset:480
	ds_load_b128 v[210:213], v7 offset:496
	;; [unrolled: 1-line block ×6, first 2 shown]
	s_set_vgpr_msb 64                       ;  msbs: dst=1 src0=0 src1=0 src2=0
	scratch_load_b64 v[46:47] /*v[302:303]*/, off, off offset:40
	s_set_vgpr_msb 0                        ;  msbs: dst=0 src0=0 src1=0 src2=0
	ds_load_b128 v[230:233], v7 offset:544
	ds_load_b128 v[234:237], v7 offset:560
	;; [unrolled: 1-line block ×7, first 2 shown]
	s_set_vgpr_msb 64                       ;  msbs: dst=1 src0=0 src1=0 src2=0
	ds_load_b128 v[2:5] /*v[258:261]*/, v7 offset:624
	ds_load_b128 v[6:9] /*v[262:265]*/, v7 offset:640
	;; [unrolled: 1-line block ×11, first 2 shown]
	s_mov_b32 s0, exec_lo
	s_wait_dscnt 0xf
	v_dual_mov_b32 v52 /*v308*/, v241 :: v_dual_mov_b32 v53 /*v309*/, v240
	s_wait_dscnt 0xe
	v_dual_mov_b32 v54 /*v310*/, v245 :: v_dual_mov_b32 v55 /*v311*/, v244
	v_dual_mov_b32 v48 /*v304*/, v225 :: v_dual_mov_b32 v49 /*v305*/, v224
	;; [unrolled: 1-line block ×3, first 2 shown]
	s_wait_loadcnt 0x18
	s_set_vgpr_msb 0                        ;  msbs: dst=0 src0=0 src1=0 src2=0
	v_dual_mul_f32 v7, v206, v111 :: v_dual_mul_f32 v9, v208, v113
	s_wait_loadcnt 0x17
	v_dual_mul_f32 v83, v207, v111 :: v_dual_mul_f32 v89, v213, v117
	v_dual_mul_f32 v11, v210, v115 :: v_dual_mul_f32 v13, v212, v117
	s_delay_alu instid0(VALU_DEP_3)
	v_dual_fmac_f32 v7, v207, v110 :: v_dual_fmac_f32 v9, v209, v112
	s_wait_loadcnt_dscnt 0x100b
	v_dual_mul_f32 v39, v254, v143 :: v_dual_mul_f32 v85, v209, v113
	v_dual_mul_f32 v87, v211, v115 :: v_dual_mul_f32 v93, v217, v121
	v_dual_mul_f32 v91, v215, v119 :: v_dual_fma_f32 v83, v206, v110, -v83
	v_add_f32_e32 v7, 0, v7
	s_delay_alu instid0(VALU_DEP_4)
	v_dual_mul_f32 v95, v219, v123 :: v_dual_fma_f32 v85, v208, v112, -v85
	v_dual_fmac_f32 v11, v211, v114 :: v_dual_fmac_f32 v13, v213, v116
	s_wait_loadcnt_dscnt 0x601
	s_set_vgpr_msb 1                        ;  msbs: dst=0 src0=1 src1=0 src2=0
	v_dual_mul_f32 v81, v40 /*v296*/, v185 :: v_dual_add_f32 v83, 0, v83
	s_set_vgpr_msb 0                        ;  msbs: dst=0 src0=0 src1=0 src2=0
	v_dual_mul_f32 v97, v221, v125 :: v_dual_fma_f32 v87, v210, v114, -v87
	v_dual_add_f32 v7, v7, v9 :: v_dual_mul_f32 v15, v214, v119
	v_mul_f32_e32 v17, v216, v121
	v_dual_add_f32 v9, v83, v85 :: v_dual_fma_f32 v85, v212, v116, -v89
	s_delay_alu instid0(VALU_DEP_3) | instskip(NEXT) | instid1(VALU_DEP_4)
	v_add_f32_e32 v7, v7, v11
	v_dual_fmac_f32 v15, v215, v118 :: v_dual_mul_f32 v19, v218, v123
	s_delay_alu instid0(VALU_DEP_3) | instskip(NEXT) | instid1(VALU_DEP_3)
	v_dual_mul_f32 v21, v220, v125 :: v_dual_add_f32 v9, v9, v87
	v_dual_fma_f32 v87, v214, v118, -v91 :: v_dual_add_f32 v7, v7, v13
	v_dual_fmac_f32 v17, v217, v120 :: v_dual_mul_f32 v13, v235, v131
	s_delay_alu instid0(VALU_DEP_3) | instskip(NEXT) | instid1(VALU_DEP_3)
	v_dual_add_f32 v9, v9, v85 :: v_dual_fma_f32 v85, v216, v120, -v93
	v_add_f32_e32 v7, v7, v15
	v_dual_fmac_f32 v19, v219, v122 :: v_dual_mul_f32 v23, v230, v127
	s_delay_alu instid0(VALU_DEP_3) | instskip(NEXT) | instid1(VALU_DEP_3)
	v_dual_mul_f32 v25, v232, v129 :: v_dual_add_f32 v9, v9, v87
	v_dual_add_f32 v7, v7, v17 :: v_dual_fmac_f32 v21, v221, v124
	v_dual_mul_f32 v15, v237, v133 :: v_dual_fma_f32 v87, v218, v122, -v95
	s_delay_alu instid0(VALU_DEP_3) | instskip(NEXT) | instid1(VALU_DEP_3)
	v_dual_add_f32 v9, v9, v85 :: v_dual_mul_f32 v17, v247, v135
	v_dual_fma_f32 v85, v220, v124, -v97 :: v_dual_add_f32 v7, v7, v19
	v_dual_mul_f32 v83, v231, v127 :: v_dual_mul_f32 v11, v233, v129
	s_delay_alu instid0(VALU_DEP_3) | instskip(NEXT) | instid1(VALU_DEP_3)
	v_dual_add_f32 v9, v9, v87 :: v_dual_fmac_f32 v23, v231, v126
	v_dual_add_f32 v7, v7, v21 :: v_dual_fmac_f32 v25, v233, v128
	v_dual_mul_f32 v27, v234, v131 :: v_dual_mul_f32 v29, v236, v133
	s_delay_alu instid0(VALU_DEP_4) | instskip(NEXT) | instid1(VALU_DEP_4)
	v_dual_mul_f32 v19, v249, v137 :: v_dual_fma_f32 v83, v230, v126, -v83
	v_dual_add_f32 v9, v9, v85 :: v_dual_mul_f32 v21, v251, v139
	s_delay_alu instid0(VALU_DEP_4) | instskip(NEXT) | instid1(VALU_DEP_2)
	v_dual_fma_f32 v11, v232, v128, -v11 :: v_dual_add_f32 v7, v7, v23
	v_dual_fmac_f32 v27, v235, v130 :: v_dual_add_f32 v9, v9, v83
	v_dual_mul_f32 v31, v246, v135 :: v_dual_mul_f32 v33, v248, v137
	s_delay_alu instid0(VALU_DEP_3) | instskip(SKIP_1) | instid1(VALU_DEP_4)
	v_add_f32_e32 v7, v7, v25
	v_dual_mul_f32 v23, v253, v141 :: v_dual_fma_f32 v13, v234, v130, -v13
	v_add_f32_e32 v9, v9, v11
	v_dual_mul_f32 v11, v255, v143 :: v_dual_fmac_f32 v29, v237, v132
	s_delay_alu instid0(VALU_DEP_4) | instskip(NEXT) | instid1(VALU_DEP_3)
	v_dual_fma_f32 v15, v236, v132, -v15 :: v_dual_add_f32 v7, v7, v27
	v_dual_add_f32 v9, v9, v13 :: v_dual_fmac_f32 v31, v247, v134
	v_fma_f32 v17, v246, v134, -v17
	v_dual_mul_f32 v35, v250, v139 :: v_dual_mul_f32 v37, v252, v141
	s_delay_alu instid0(VALU_DEP_3) | instskip(SKIP_1) | instid1(VALU_DEP_3)
	v_dual_add_f32 v7, v7, v29 :: v_dual_add_f32 v9, v9, v15
	v_dual_fma_f32 v19, v248, v136, -v19 :: v_dual_fmac_f32 v33, v249, v136
	v_fmac_f32_e32 v35, v251, v138
	s_delay_alu instid0(VALU_DEP_3)
	v_dual_add_f32 v7, v7, v31 :: v_dual_add_f32 v9, v9, v17
	v_fma_f32 v21, v250, v138, -v21
	s_set_vgpr_msb 1                        ;  msbs: dst=0 src0=1 src1=0 src2=0
	v_dual_mul_f32 v41, v0 /*v256*/, v145 :: v_dual_mul_f32 v43, v2 /*v258*/, v147
	s_set_vgpr_msb 0                        ;  msbs: dst=0 src0=0 src1=0 src2=0
	v_dual_add_f32 v7, v7, v33 :: v_dual_add_f32 v9, v9, v19
	v_dual_fma_f32 v23, v252, v140, -v23 :: v_dual_fmac_f32 v37, v253, v140
	s_set_vgpr_msb 1                        ;  msbs: dst=0 src0=1 src1=0 src2=0
	v_dual_mul_f32 v13, v1 /*v257*/, v145 :: v_dual_mul_f32 v15, v3 /*v259*/, v147
	s_set_vgpr_msb 0                        ;  msbs: dst=0 src0=0 src1=0 src2=0
	v_dual_add_f32 v7, v7, v35 :: v_dual_add_f32 v9, v9, v21
	v_fmac_f32_e32 v39, v255, v142
	v_fma_f32 v11, v254, v142, -v11
	s_set_vgpr_msb 1                        ;  msbs: dst=0 src0=1 src1=0 src2=0
	v_dual_fmac_f32 v41, v1 /*v257*/, v144 :: v_dual_fmac_f32 v43, v3 /*v259*/, v146
	s_set_vgpr_msb 0                        ;  msbs: dst=0 src0=0 src1=0 src2=0
	v_add_f32_e32 v7, v7, v37
	s_set_vgpr_msb 1                        ;  msbs: dst=0 src0=1 src1=0 src2=0
	v_fma_f32 v13, v0 /*v256*/, v144, -v13
	v_dual_mul_f32 v45, v4 /*v260*/, v149 :: v_dual_mul_f32 v47, v6 /*v262*/, v151
	v_dual_mul_f32 v17, v5 /*v261*/, v149 :: v_dual_mul_f32 v19, v7 /*v263*/, v151
	s_set_vgpr_msb 0                        ;  msbs: dst=0 src0=0 src1=0 src2=0
	v_add_f32_e32 v7, v7, v39
	v_add_f32_e32 v9, v9, v23
	s_set_vgpr_msb 1                        ;  msbs: dst=0 src0=1 src1=0 src2=0
	v_dual_fmac_f32 v45, v5 /*v261*/, v148 :: v_dual_fmac_f32 v47, v7 /*v263*/, v150
	v_fma_f32 v17, v4 /*v260*/, v148, -v17
	s_set_vgpr_msb 0                        ;  msbs: dst=0 src0=0 src1=0 src2=0
	v_add_f32_e32 v7, v7, v41
	s_set_vgpr_msb 1                        ;  msbs: dst=0 src0=1 src1=0 src2=0
	v_dual_mul_f32 v49, v8 /*v264*/, v153 :: v_dual_mul_f32 v51, v10 /*v266*/, v155
	v_dual_mul_f32 v21, v9 /*v265*/, v153 :: v_dual_mul_f32 v23, v11 /*v267*/, v155
	s_set_vgpr_msb 0                        ;  msbs: dst=0 src0=0 src1=0 src2=0
	v_add_f32_e32 v7, v7, v43
	v_add_f32_e32 v9, v9, v11
	s_set_vgpr_msb 1                        ;  msbs: dst=0 src0=1 src1=0 src2=0
	v_dual_mul_f32 v11, v13 /*v269*/, v157 :: v_dual_fma_f32 v15, v2 /*v258*/, v146, -v15
	v_dual_fmac_f32 v49, v9 /*v265*/, v152 :: v_dual_fmac_f32 v51, v11 /*v267*/, v154
	s_set_vgpr_msb 0                        ;  msbs: dst=0 src0=0 src1=0 src2=0
	v_add_f32_e32 v7, v7, v45
	v_add_f32_e32 v9, v9, v13
	s_set_vgpr_msb 1                        ;  msbs: dst=0 src0=1 src1=0 src2=0
	v_fma_f32 v21, v8 /*v264*/, v152, -v21
	v_dual_mul_f32 v53, v12 /*v268*/, v157 :: v_dual_mul_f32 v55, v14 /*v270*/, v159
	s_set_vgpr_msb 0                        ;  msbs: dst=0 src0=0 src1=0 src2=0
	v_add_f32_e32 v7, v7, v47
	s_set_vgpr_msb 1                        ;  msbs: dst=0 src0=1 src1=0 src2=0
	v_mul_f32_e32 v13, v15 /*v271*/, v159
	s_set_vgpr_msb 0                        ;  msbs: dst=0 src0=0 src1=0 src2=0
	v_add_f32_e32 v9, v9, v15
	s_set_vgpr_msb 1                        ;  msbs: dst=0 src0=1 src1=0 src2=0
	v_dual_mul_f32 v15, v17 /*v273*/, v161 :: v_dual_fma_f32 v19, v6 /*v262*/, v150, -v19
	s_set_vgpr_msb 0                        ;  msbs: dst=0 src0=0 src1=0 src2=0
	v_add_f32_e32 v7, v7, v49
	s_set_vgpr_msb 1                        ;  msbs: dst=0 src0=1 src1=0 src2=0
	v_dual_fmac_f32 v53, v13 /*v269*/, v156 :: v_dual_fma_f32 v11, v12 /*v268*/, v156, -v11
	s_set_vgpr_msb 0                        ;  msbs: dst=0 src0=0 src1=0 src2=0
	v_add_f32_e32 v9, v9, v17
	s_set_vgpr_msb 1                        ;  msbs: dst=0 src0=1 src1=0 src2=0
	v_dual_fmac_f32 v55, v15 /*v271*/, v158 :: v_dual_fma_f32 v13, v14 /*v270*/, v158, -v13
	s_set_vgpr_msb 0                        ;  msbs: dst=0 src0=0 src1=0 src2=0
	v_add_f32_e32 v7, v7, v51
	s_set_vgpr_msb 1                        ;  msbs: dst=0 src0=1 src1=0 src2=0
	v_dual_mul_f32 v57, v16 /*v272*/, v161 :: v_dual_mul_f32 v59, v18 /*v274*/, v163
	v_mul_f32_e32 v17, v19 /*v275*/, v163
	s_set_vgpr_msb 0                        ;  msbs: dst=0 src0=0 src1=0 src2=0
	v_dual_add_f32 v9, v9, v19 :: v_dual_add_f32 v7, v7, v53
	s_set_vgpr_msb 1                        ;  msbs: dst=0 src0=1 src1=0 src2=0
	v_dual_mul_f32 v19, v21 /*v277*/, v165 :: v_dual_fma_f32 v23, v10 /*v266*/, v154, -v23
	v_dual_fmac_f32 v57, v17 /*v273*/, v160 :: v_dual_fma_f32 v15, v16 /*v272*/, v160, -v15
	s_set_vgpr_msb 0                        ;  msbs: dst=0 src0=0 src1=0 src2=0
	v_add_f32_e32 v9, v9, v21
	s_set_vgpr_msb 1                        ;  msbs: dst=0 src0=1 src1=0 src2=0
	v_dual_fmac_f32 v59, v19 /*v275*/, v162 :: v_dual_fma_f32 v17, v18 /*v274*/, v162, -v17
	s_set_vgpr_msb 0                        ;  msbs: dst=0 src0=0 src1=0 src2=0
	v_add_f32_e32 v7, v7, v55
	s_set_vgpr_msb 1                        ;  msbs: dst=0 src0=1 src1=0 src2=0
	v_dual_mul_f32 v61, v20 /*v276*/, v165 :: v_dual_mul_f32 v63, v22 /*v278*/, v167
	v_mul_f32_e32 v21, v23 /*v279*/, v167
	s_set_vgpr_msb 0                        ;  msbs: dst=0 src0=0 src1=0 src2=0
	v_dual_add_f32 v9, v9, v23 :: v_dual_add_f32 v7, v7, v57
	s_set_vgpr_msb 1                        ;  msbs: dst=0 src0=1 src1=0 src2=0
	v_dual_fmac_f32 v61, v21 /*v277*/, v164 :: v_dual_fma_f32 v19, v20 /*v276*/, v164, -v19
	v_dual_fmac_f32 v63, v23 /*v279*/, v166 :: v_dual_fma_f32 v21, v22 /*v278*/, v166, -v21
	s_set_vgpr_msb 0                        ;  msbs: dst=0 src0=0 src1=0 src2=0
	v_add_f32_e32 v7, v7, v59
	s_set_vgpr_msb 1                        ;  msbs: dst=0 src0=1 src1=0 src2=0
	v_dual_mul_f32 v65, v24 /*v280*/, v169 :: v_dual_mul_f32 v67, v26 /*v282*/, v171
	s_set_vgpr_msb 0                        ;  msbs: dst=0 src0=0 src1=0 src2=0
	v_add_f32_e32 v9, v9, v11
	s_set_vgpr_msb 1                        ;  msbs: dst=0 src0=1 src1=0 src2=0
	v_dual_mul_f32 v23, v25 /*v281*/, v169 :: v_dual_mul_f32 v11, v27 /*v283*/, v171
	s_set_vgpr_msb 0                        ;  msbs: dst=0 src0=0 src1=0 src2=0
	v_add_f32_e32 v7, v7, v61
	s_set_vgpr_msb 1                        ;  msbs: dst=0 src0=1 src1=0 src2=0
	v_fmac_f32_e32 v65, v25 /*v281*/, v168
	s_set_vgpr_msb 0                        ;  msbs: dst=0 src0=0 src1=0 src2=0
	v_add_f32_e32 v9, v9, v13
	s_set_vgpr_msb 1                        ;  msbs: dst=0 src0=1 src1=0 src2=0
	v_dual_mul_f32 v69, v28 /*v284*/, v173 :: v_dual_mul_f32 v71, v30 /*v286*/, v175
	s_set_vgpr_msb 0                        ;  msbs: dst=0 src0=0 src1=0 src2=0
	v_add_f32_e32 v7, v7, v63
	s_set_vgpr_msb 1                        ;  msbs: dst=0 src0=1 src1=0 src2=0
	v_fma_f32 v23, v24 /*v280*/, v168, -v23
	s_set_vgpr_msb 0                        ;  msbs: dst=0 src0=0 src1=0 src2=0
	v_add_f32_e32 v9, v9, v15
	s_set_vgpr_msb 1                        ;  msbs: dst=0 src0=1 src1=0 src2=0
	v_dual_fmac_f32 v67, v27 /*v283*/, v170 :: v_dual_fmac_f32 v69, v29 /*v285*/, v172
	s_set_vgpr_msb 0                        ;  msbs: dst=0 src0=0 src1=0 src2=0
	v_add_f32_e32 v7, v7, v65
	s_set_vgpr_msb 1                        ;  msbs: dst=0 src0=1 src1=0 src2=0
	v_dual_mul_f32 v73, v32 /*v288*/, v177 :: v_dual_mul_f32 v75, v34 /*v290*/, v179
	s_set_vgpr_msb 0                        ;  msbs: dst=0 src0=0 src1=0 src2=0
	v_add_f32_e32 v9, v9, v17
	s_set_vgpr_msb 1                        ;  msbs: dst=0 src0=1 src1=0 src2=0
	v_fmac_f32_e32 v71, v31 /*v287*/, v174
	s_set_vgpr_msb 0                        ;  msbs: dst=0 src0=0 src1=0 src2=0
	v_add_f32_e32 v7, v7, v67
	s_set_vgpr_msb 1                        ;  msbs: dst=0 src0=1 src1=0 src2=0
	v_dual_fmac_f32 v73, v33 /*v289*/, v176 :: v_dual_mul_f32 v77, v36 /*v292*/, v181
	v_mul_f32_e32 v79, v38 /*v294*/, v183
	s_set_vgpr_msb 0                        ;  msbs: dst=0 src0=0 src1=0 src2=0
	v_dual_add_f32 v9, v9, v19 :: v_dual_add_f32 v7, v7, v69
	s_set_vgpr_msb 1                        ;  msbs: dst=0 src0=1 src1=0 src2=0
	v_dual_mul_f32 v13, v29 /*v285*/, v173 :: v_dual_mul_f32 v15, v31 /*v287*/, v175
	v_fma_f32 v11, v26 /*v282*/, v170, -v11
	s_set_vgpr_msb 0                        ;  msbs: dst=0 src0=0 src1=0 src2=0
	v_dual_add_f32 v9, v9, v21 :: v_dual_add_f32 v7, v7, v71
	s_wait_loadcnt 0x4
	v_mov_b32_e32 v112, v193
	s_set_vgpr_msb 1                        ;  msbs: dst=0 src0=1 src1=0 src2=0
	v_dual_mul_f32 v21, v37 /*v293*/, v181 :: v_dual_fmac_f32 v75, v35 /*v291*/, v178
	v_fmac_f32_e32 v77, v37 /*v293*/, v180
	s_set_vgpr_msb 0                        ;  msbs: dst=0 src0=0 src1=0 src2=0
	v_dual_add_f32 v9, v9, v23 :: v_dual_add_f32 v7, v7, v73
	s_set_vgpr_msb 1                        ;  msbs: dst=0 src0=1 src1=0 src2=0
	v_dual_mul_f32 v23, v39 /*v295*/, v183 :: v_dual_fma_f32 v13, v28 /*v284*/, v172, -v13
	v_dual_mul_f32 v17, v33 /*v289*/, v177 :: v_dual_mul_f32 v19, v35 /*v291*/, v179
	s_set_vgpr_msb 0                        ;  msbs: dst=0 src0=0 src1=0 src2=0
	v_add_f32_e32 v7, v7, v75
	v_add_f32_e32 v9, v9, v11
	s_set_vgpr_msb 1                        ;  msbs: dst=0 src0=1 src1=0 src2=0
	v_dual_mul_f32 v11, v41 /*v297*/, v185 :: v_dual_fma_f32 v15, v30 /*v286*/, v174, -v15
	v_dual_fmac_f32 v79, v39 /*v295*/, v182 :: v_dual_fmac_f32 v81, v41 /*v297*/, v184
	s_set_vgpr_msb 0                        ;  msbs: dst=0 src0=0 src1=0 src2=0
	v_add_f32_e32 v7, v7, v77
	v_add_f32_e32 v9, v9, v13
	s_wait_dscnt 0x0
	s_set_vgpr_msb 1                        ;  msbs: dst=0 src0=1 src1=0 src2=0
	v_dual_mul_f32 v13, v43 /*v299*/, v187 :: v_dual_fma_f32 v17, v32 /*v288*/, v176, -v17
	s_wait_loadcnt 0x3
	s_set_vgpr_msb 0                        ;  msbs: dst=0 src0=0 src1=0 src2=0
	v_dual_mov_b32 v116, v197 :: v_dual_add_f32 v7, v7, v79
	v_add_f32_e32 v9, v9, v15
	s_set_vgpr_msb 1                        ;  msbs: dst=0 src0=1 src1=0 src2=0
	v_dual_mul_f32 v15, v45 /*v301*/, v189 :: v_dual_fma_f32 v19, v34 /*v290*/, v178, -v19
	s_set_vgpr_msb 0x41                     ;  msbs: dst=1 src0=1 src1=0 src2=0
	v_dual_mul_f32 v57 /*v313*/, v42 /*v298*/, v187 :: v_dual_mul_f32 v59 /*v315*/, v44 /*v300*/, v189
	s_set_vgpr_msb 0                        ;  msbs: dst=0 src0=0 src1=0 src2=0
	v_add_f32_e32 v119, v7, v81
	v_add_f32_e32 v9, v9, v17
	s_set_vgpr_msb 1                        ;  msbs: dst=0 src0=1 src1=0 src2=0
	v_fma_f32 v17, v36 /*v292*/, v180, -v21
	v_fma_f32 v11, v40 /*v296*/, v184, -v11
	s_set_vgpr_msb 0                        ;  msbs: dst=0 src0=0 src1=0 src2=0
	v_pk_mul_f32 v[110:111], v[222:223], v[190:191] op_sel:[1,1] op_sel_hi:[0,1]
	s_set_vgpr_msb 0x41                     ;  msbs: dst=1 src0=1 src1=0 src2=0
	v_dual_fmac_f32 v57 /*v313*/, v43 /*v299*/, v186 :: v_dual_fmac_f32 v59 /*v315*/, v45 /*v301*/, v188
	s_set_vgpr_msb 0                        ;  msbs: dst=0 src0=0 src1=0 src2=0
	v_add_f32_e32 v9, v9, v19
	s_set_vgpr_msb 1                        ;  msbs: dst=0 src0=1 src1=0 src2=0
	v_fma_f32 v19, v38 /*v294*/, v182, -v23
	s_set_vgpr_msb 0x41                     ;  msbs: dst=1 src0=1 src1=0 src2=0
	v_dual_fma_f32 v56 /*v312*/, v42 /*v298*/, v186, -v13 :: v_dual_fma_f32 v58 /*v314*/, v44 /*v300*/, v188, -v15
	s_set_vgpr_msb 0                        ;  msbs: dst=0 src0=0 src1=0 src2=0
	v_pk_fma_f32 v[120:121], v[222:223], v[190:191], v[110:111] op_sel_hi:[1,0,1]
	v_add_f32_e32 v9, v9, v17
	s_set_vgpr_msb 1                        ;  msbs: dst=0 src0=1 src1=0 src2=0
	v_pk_mul_f32 v[112:113], v[48:49] /*v[304:305]*/, v[112:113] op_sel_hi:[1,0]
	s_set_vgpr_msb 0                        ;  msbs: dst=0 src0=0 src1=0 src2=0
	v_pk_fma_f32 v[110:111], v[222:223], v[190:191], v[110:111] neg_lo:[0,0,1] neg_hi:[0,0,1]
	v_pk_mul_f32 v[114:115], v[226:227], v[194:195] op_sel:[1,1] op_sel_hi:[0,1]
	v_mov_b32_e32 v111, v121
	v_add_f32_e32 v9, v9, v19
	v_pk_fma_f32 v[120:121], v[224:225], v[192:193], v[112:113] op_sel_hi:[1,0,1]
	v_pk_fma_f32 v[112:113], v[224:225], v[192:193], v[112:113] neg_lo:[0,0,1] neg_hi:[0,0,1]
	v_pk_fma_f32 v[124:125], v[226:227], v[194:195], v[114:115] op_sel_hi:[1,0,1]
	s_set_vgpr_msb 1                        ;  msbs: dst=0 src0=1 src1=0 src2=0
	v_pk_mul_f32 v[116:117], v[50:51] /*v[306:307]*/, v[116:117] op_sel_hi:[1,0]
	s_set_vgpr_msb 0                        ;  msbs: dst=0 src0=0 src1=0 src2=0
	v_add_f32_e32 v118, v9, v11
	v_mov_b32_e32 v113, v121
	s_wait_loadcnt 0x2
	v_pk_mul_f32 v[122:123], v[238:239], v[198:199] op_sel:[1,1] op_sel_hi:[0,1]
	v_pk_fma_f32 v[114:115], v[226:227], v[194:195], v[114:115] neg_lo:[0,0,1] neg_hi:[0,0,1]
	v_mov_b32_e32 v115, v125
	s_set_vgpr_msb 4                        ;  msbs: dst=0 src0=0 src1=1 src2=0
	v_pk_add_f32 v[118:119], v[118:119], v[56:57] /*v[312:313]*/
	s_set_vgpr_msb 0                        ;  msbs: dst=0 src0=0 src1=0 src2=0
	v_pk_fma_f32 v[120:121], v[228:229], v[196:197], v[116:117] op_sel_hi:[1,0,1]
	v_pk_fma_f32 v[116:117], v[228:229], v[196:197], v[116:117] neg_lo:[0,0,1] neg_hi:[0,0,1]
	s_set_vgpr_msb 4                        ;  msbs: dst=0 src0=0 src1=1 src2=0
	v_pk_add_f32 v[118:119], v[118:119], v[58:59] /*v[314:315]*/
	s_set_vgpr_msb 0                        ;  msbs: dst=0 src0=0 src1=0 src2=0
	s_delay_alu instid0(VALU_DEP_1) | instskip(SKIP_1) | instid1(VALU_DEP_2)
	v_pk_add_f32 v[110:111], v[118:119], v[110:111]
	v_mov_b32_e32 v118, v201
	v_pk_add_f32 v[110:111], v[110:111], v[112:113]
	v_pk_fma_f32 v[112:113], v[238:239], v[198:199], v[122:123] op_sel_hi:[1,0,1]
	s_set_vgpr_msb 1                        ;  msbs: dst=0 src0=1 src1=0 src2=0
	s_delay_alu instid0(VALU_DEP_3)
	v_pk_mul_f32 v[118:119], v[52:53] /*v[308:309]*/, v[118:119] op_sel_hi:[1,0]
	s_set_vgpr_msb 0                        ;  msbs: dst=0 src0=0 src1=0 src2=0
	v_mov_b32_e32 v117, v121
	v_pk_fma_f32 v[120:121], v[238:239], v[198:199], v[122:123] neg_lo:[0,0,1] neg_hi:[0,0,1]
	v_pk_add_f32 v[110:111], v[110:111], v[114:115]
	v_mov_b32_e32 v121, v113
	v_pk_fma_f32 v[112:113], v[240:241], v[200:201], v[118:119] op_sel_hi:[1,0,1]
	s_wait_loadcnt 0x1
	v_pk_mul_f32 v[114:115], v[242:243], v[202:203] op_sel:[1,1] op_sel_hi:[0,1]
	v_mov_b32_e32 v112, v205
	v_pk_add_f32 v[110:111], v[110:111], v[116:117]
	v_pk_fma_f32 v[118:119], v[240:241], v[200:201], v[118:119] neg_lo:[0,0,1] neg_hi:[0,0,1]
	v_mov_b32_e32 v119, v113
	v_pk_fma_f32 v[116:117], v[242:243], v[202:203], v[114:115] op_sel_hi:[1,0,1]
	s_set_vgpr_msb 1                        ;  msbs: dst=0 src0=1 src1=0 src2=0
	v_pk_mul_f32 v[112:113], v[54:55] /*v[310:311]*/, v[112:113] op_sel_hi:[1,0]
	s_set_vgpr_msb 0                        ;  msbs: dst=0 src0=0 src1=0 src2=0
	v_pk_add_f32 v[110:111], v[110:111], v[120:121]
	v_pk_fma_f32 v[114:115], v[242:243], v[202:203], v[114:115] neg_lo:[0,0,1] neg_hi:[0,0,1]
	v_mov_b32_e32 v115, v117
	v_pk_fma_f32 v[116:117], v[244:245], v[204:205], v[112:113] op_sel_hi:[1,0,1]
	s_delay_alu instid0(VALU_DEP_4) | instskip(SKIP_1) | instid1(VALU_DEP_3)
	v_pk_add_f32 v[110:111], v[110:111], v[118:119]
	v_pk_fma_f32 v[112:113], v[244:245], v[204:205], v[112:113] neg_lo:[0,0,1] neg_hi:[0,0,1]
	v_mov_b32_e32 v113, v117
	s_delay_alu instid0(VALU_DEP_3) | instskip(NEXT) | instid1(VALU_DEP_1)
	v_pk_add_f32 v[110:111], v[110:111], v[114:115]
	v_pk_add_f32 v[110:111], v[110:111], v[112:113]
	s_wait_loadcnt 0x0
	s_set_vgpr_msb 1                        ;  msbs: dst=0 src0=1 src1=0 src2=0
	s_delay_alu instid0(VALU_DEP_1)
	v_pk_add_f32 v[110:111], v[46:47] /*v[302:303]*/, v[110:111] neg_lo:[0,1] neg_hi:[0,1]
	scratch_store_b64 off, v[110:111], off offset:40
	s_wait_xcnt 0x0
	v_cmpx_lt_u32_e32 4, v0
	s_set_vgpr_msb 0                        ;  msbs: dst=0 src0=0 src1=0 src2=0
	s_cbranch_execz .LBB53_329
; %bb.328:
	scratch_load_b64 v[110:111], off, off offset:32
	v_mov_b64_e32 v[112:113], 0
	scratch_store_b64 off, v[112:113], off offset:32
	s_wait_loadcnt 0x0
	ds_store_b64 v1, v[110:111]
.LBB53_329:
	s_wait_xcnt 0x0
	s_or_b32 exec_lo, exec_lo, s0
	s_wait_storecnt_dscnt 0x0
	s_barrier_signal -1
	s_barrier_wait -1
	s_clause 0x1a
	scratch_load_b128 v[110:113], off, off offset:40
	scratch_load_b128 v[114:117], off, off offset:56
	scratch_load_b128 v[118:121], off, off offset:72
	scratch_load_b128 v[122:125], off, off offset:88
	scratch_load_b128 v[126:129], off, off offset:104
	scratch_load_b128 v[130:133], off, off offset:120
	scratch_load_b128 v[134:137], off, off offset:136
	scratch_load_b128 v[138:141], off, off offset:152
	scratch_load_b128 v[142:145], off, off offset:168
	scratch_load_b128 v[146:149], off, off offset:184
	scratch_load_b128 v[150:153], off, off offset:200
	scratch_load_b128 v[154:157], off, off offset:216
	scratch_load_b128 v[158:161], off, off offset:232
	scratch_load_b128 v[162:165], off, off offset:248
	scratch_load_b128 v[166:169], off, off offset:264
	scratch_load_b128 v[170:173], off, off offset:280
	scratch_load_b128 v[174:177], off, off offset:296
	scratch_load_b128 v[178:181], off, off offset:312
	scratch_load_b128 v[182:185], off, off offset:328
	scratch_load_b128 v[186:189], off, off offset:344
	scratch_load_b128 v[190:193], off, off offset:360
	scratch_load_b128 v[194:197], off, off offset:376
	scratch_load_b128 v[198:201], off, off offset:392
	scratch_load_b128 v[202:205], off, off offset:408
	s_set_vgpr_msb 64                       ;  msbs: dst=1 src0=0 src1=0 src2=0
	scratch_load_b64 v[46:47] /*v[302:303]*/, off, off offset:424
	scratch_load_b64 v[48:49] /*v[304:305]*/, off, off offset:32
	s_set_vgpr_msb 0                        ;  msbs: dst=0 src0=0 src1=0 src2=0
	v_mov_b32_e32 v7, 0
	ds_load_2addr_b64 v[206:209], v7 offset0:59 offset1:60
	ds_load_2addr_b64 v[210:213], v7 offset0:61 offset1:62
	;; [unrolled: 1-line block ×13, first 2 shown]
	s_set_vgpr_msb 64                       ;  msbs: dst=1 src0=0 src1=0 src2=0
	ds_load_2addr_b64 v[2:5] /*v[258:261]*/, v7 offset0:77 offset1:78
	ds_load_2addr_b64 v[6:9] /*v[262:265]*/, v7 offset0:79 offset1:80
	;; [unrolled: 1-line block ×11, first 2 shown]
	ds_load_b64 v[50:51] /*v[306:307]*/, v7 offset:856
	s_wait_dscnt 0x14
	v_dual_mov_b32 v52 /*v308*/, v225 :: v_dual_mov_b32 v53 /*v309*/, v224
	s_wait_dscnt 0x11
	v_dual_mov_b32 v54 /*v310*/, v237 :: v_dual_mov_b32 v55 /*v311*/, v236
	;; [unrolled: 2-line block ×4, first 2 shown]
	s_mov_b32 s0, exec_lo
	s_wait_loadcnt 0x19
	s_set_vgpr_msb 0                        ;  msbs: dst=0 src0=0 src1=0 src2=0
	v_dual_mul_f32 v9, v206, v111 :: v_dual_mul_f32 v87, v207, v111
	v_dual_mul_f32 v89, v209, v113 :: v_dual_mul_f32 v11, v208, v113
	s_wait_loadcnt 0x18
	v_mul_f32_e32 v13, v210, v115
	s_wait_loadcnt 0x16
	v_dual_mul_f32 v99, v219, v123 :: v_dual_fma_f32 v87, v206, v110, -v87
	v_dual_fmac_f32 v9, v207, v110 :: v_dual_mul_f32 v101, v221, v125
	v_dual_mul_f32 v91, v211, v115 :: v_dual_mul_f32 v93, v213, v117
	v_dual_fmac_f32 v11, v209, v112 :: v_dual_fma_f32 v89, v208, v112, -v89
	s_delay_alu instid0(VALU_DEP_3) | instskip(SKIP_3) | instid1(VALU_DEP_3)
	v_dual_add_f32 v9, 0, v9 :: v_dual_add_f32 v87, 0, v87
	v_dual_mul_f32 v15, v212, v117 :: v_dual_mul_f32 v17, v214, v119
	s_wait_loadcnt 0x15
	v_dual_mul_f32 v103, v227, v127 :: v_dual_fma_f32 v91, v210, v114, -v91
	v_dual_fmac_f32 v13, v211, v114 :: v_dual_add_f32 v9, v9, v11
	s_delay_alu instid0(VALU_DEP_3) | instskip(SKIP_2) | instid1(VALU_DEP_3)
	v_dual_add_f32 v11, v87, v89 :: v_dual_fmac_f32 v15, v213, v116
	v_dual_mul_f32 v95, v215, v119 :: v_dual_mul_f32 v97, v217, v121
	v_dual_mul_f32 v87, v229, v129 :: v_dual_fma_f32 v89, v212, v116, -v93
	v_dual_add_f32 v9, v9, v13 :: v_dual_add_f32 v11, v11, v91
	v_dual_mul_f32 v19, v216, v121 :: v_dual_mul_f32 v21, v218, v123
	s_wait_loadcnt 0x14
	v_dual_mul_f32 v13, v231, v131 :: v_dual_fma_f32 v91, v214, v118, -v95
	s_delay_alu instid0(VALU_DEP_3) | instskip(NEXT) | instid1(VALU_DEP_3)
	v_dual_fmac_f32 v17, v215, v118 :: v_dual_add_f32 v9, v9, v15
	v_dual_add_f32 v11, v11, v89 :: v_dual_fmac_f32 v19, v217, v120
	v_dual_mul_f32 v15, v233, v133 :: v_dual_fma_f32 v89, v216, v120, -v97
	s_delay_alu instid0(VALU_DEP_2) | instskip(SKIP_3) | instid1(VALU_DEP_3)
	v_dual_add_f32 v9, v9, v17 :: v_dual_add_f32 v11, v11, v91
	v_dual_mul_f32 v23, v220, v125 :: v_dual_mul_f32 v25, v226, v127
	s_wait_loadcnt 0x13
	v_dual_mul_f32 v17, v243, v135 :: v_dual_fma_f32 v91, v218, v122, -v99
	v_dual_fmac_f32 v21, v219, v122 :: v_dual_add_f32 v9, v9, v19
	s_delay_alu instid0(VALU_DEP_3) | instskip(SKIP_1) | instid1(VALU_DEP_2)
	v_dual_add_f32 v11, v11, v89 :: v_dual_fmac_f32 v23, v221, v124
	v_dual_mul_f32 v19, v245, v137 :: v_dual_fma_f32 v89, v220, v124, -v101
	v_dual_add_f32 v9, v9, v21 :: v_dual_add_f32 v11, v11, v91
	v_dual_mul_f32 v27, v228, v129 :: v_dual_mul_f32 v29, v230, v131
	s_wait_loadcnt 0x12
	v_dual_mul_f32 v21, v247, v139 :: v_dual_fma_f32 v91, v226, v126, -v103
	s_delay_alu instid0(VALU_DEP_3) | instskip(NEXT) | instid1(VALU_DEP_3)
	v_dual_fmac_f32 v25, v227, v126 :: v_dual_add_f32 v9, v9, v23
	v_dual_add_f32 v11, v11, v89 :: v_dual_fmac_f32 v27, v229, v128
	v_dual_mul_f32 v23, v249, v141 :: v_dual_fma_f32 v87, v228, v128, -v87
	s_delay_alu instid0(VALU_DEP_2) | instskip(SKIP_3) | instid1(VALU_DEP_3)
	v_dual_add_f32 v9, v9, v25 :: v_dual_add_f32 v11, v11, v91
	v_dual_mul_f32 v31, v232, v133 :: v_dual_mul_f32 v33, v242, v135
	s_wait_loadcnt_dscnt 0x110c
	v_dual_mul_f32 v25, v255, v143 :: v_dual_fma_f32 v13, v230, v130, -v13
	v_dual_fmac_f32 v29, v231, v130 :: v_dual_add_f32 v9, v9, v27
	s_delay_alu instid0(VALU_DEP_3) | instskip(SKIP_2) | instid1(VALU_DEP_4)
	v_dual_add_f32 v11, v11, v87 :: v_dual_fmac_f32 v31, v233, v132
	v_fma_f32 v15, v232, v132, -v15
	v_dual_mul_f32 v35, v244, v137 :: v_dual_mul_f32 v37, v246, v139
	v_add_f32_e32 v9, v9, v29
	s_delay_alu instid0(VALU_DEP_4) | instskip(NEXT) | instid1(VALU_DEP_3)
	v_dual_add_f32 v11, v11, v13 :: v_dual_fma_f32 v17, v242, v134, -v17
	v_dual_fmac_f32 v33, v243, v134 :: v_dual_fmac_f32 v35, v245, v136
	s_delay_alu instid0(VALU_DEP_3) | instskip(NEXT) | instid1(VALU_DEP_3)
	v_add_f32_e32 v9, v9, v31
	v_dual_add_f32 v11, v11, v15 :: v_dual_fma_f32 v19, v244, v136, -v19
	v_dual_mul_f32 v39, v248, v141 :: v_dual_mul_f32 v41, v254, v143
	s_delay_alu instid0(VALU_DEP_3) | instskip(NEXT) | instid1(VALU_DEP_3)
	v_add_f32_e32 v9, v9, v33
	v_dual_add_f32 v11, v11, v17 :: v_dual_fma_f32 v21, v246, v138, -v21
	s_delay_alu instid0(VALU_DEP_3) | instskip(NEXT) | instid1(VALU_DEP_3)
	v_dual_fmac_f32 v37, v247, v138 :: v_dual_fmac_f32 v39, v249, v140
	v_add_f32_e32 v9, v9, v35
	s_delay_alu instid0(VALU_DEP_3)
	v_dual_add_f32 v11, v11, v19 :: v_dual_fma_f32 v23, v248, v140, -v23
	s_wait_loadcnt_dscnt 0x100b
	s_set_vgpr_msb 1                        ;  msbs: dst=0 src0=1 src1=0 src2=0
	v_dual_mul_f32 v43, v0 /*v256*/, v145 :: v_dual_mul_f32 v45, v2 /*v258*/, v147
	s_set_vgpr_msb 0                        ;  msbs: dst=0 src0=0 src1=0 src2=0
	v_add_f32_e32 v9, v9, v37
	v_dual_add_f32 v11, v11, v21 :: v_dual_fma_f32 v25, v254, v142, -v25
	s_set_vgpr_msb 1                        ;  msbs: dst=0 src0=1 src1=0 src2=0
	v_dual_mul_f32 v27, v1 /*v257*/, v145 :: v_dual_mul_f32 v13, v3 /*v259*/, v147
	s_set_vgpr_msb 0                        ;  msbs: dst=0 src0=0 src1=0 src2=0
	v_dual_fmac_f32 v41, v255, v142 :: v_dual_add_f32 v9, v9, v39
	v_add_f32_e32 v11, v11, v23
	s_wait_loadcnt_dscnt 0xe09
	s_set_vgpr_msb 1                        ;  msbs: dst=0 src0=1 src1=0 src2=0
	v_dual_mul_f32 v23, v13 /*v269*/, v157 :: v_dual_fma_f32 v27, v0 /*v256*/, v144, -v27
	v_fmac_f32_e32 v43, v1 /*v257*/, v144
	s_set_vgpr_msb 0                        ;  msbs: dst=0 src0=0 src1=0 src2=0
	v_add_f32_e32 v9, v9, v41
	v_add_f32_e32 v11, v11, v25
	s_set_vgpr_msb 1                        ;  msbs: dst=0 src0=1 src1=0 src2=0
	v_dual_mul_f32 v47, v4 /*v260*/, v149 :: v_dual_mul_f32 v49, v6 /*v262*/, v151
	v_dual_mul_f32 v15, v5 /*v261*/, v149 :: v_dual_mul_f32 v17, v7 /*v263*/, v151
	s_wait_loadcnt_dscnt 0xd08
	v_mul_f32_e32 v25, v15 /*v271*/, v159
	v_fmac_f32_e32 v45, v3 /*v259*/, v146
	v_dual_fma_f32 v13, v2 /*v258*/, v146, -v13 :: v_dual_fmac_f32 v47, v5 /*v261*/, v148
	s_set_vgpr_msb 0                        ;  msbs: dst=0 src0=0 src1=0 src2=0
	v_add_f32_e32 v9, v9, v43
	v_add_f32_e32 v11, v11, v27
	s_set_vgpr_msb 1                        ;  msbs: dst=0 src0=1 src1=0 src2=0
	v_dual_mul_f32 v27, v17 /*v273*/, v161 :: v_dual_fma_f32 v15, v4 /*v260*/, v148, -v15
	v_dual_mul_f32 v51, v8 /*v264*/, v153 :: v_dual_mul_f32 v53, v10 /*v266*/, v155
	s_set_vgpr_msb 0                        ;  msbs: dst=0 src0=0 src1=0 src2=0
	v_add_f32_e32 v9, v9, v45
	v_add_f32_e32 v11, v11, v13
	s_set_vgpr_msb 1                        ;  msbs: dst=0 src0=1 src1=0 src2=0
	v_dual_mul_f32 v19, v9 /*v265*/, v153 :: v_dual_mul_f32 v21, v11 /*v267*/, v155
	s_wait_loadcnt_dscnt 0xc07
	v_mul_f32_e32 v13, v19 /*v275*/, v163
	v_fmac_f32_e32 v49, v7 /*v263*/, v150
	v_dual_fma_f32 v17, v6 /*v262*/, v150, -v17 :: v_dual_fmac_f32 v51, v9 /*v265*/, v152
	s_set_vgpr_msb 0                        ;  msbs: dst=0 src0=0 src1=0 src2=0
	v_add_f32_e32 v9, v9, v47
	v_add_f32_e32 v11, v11, v15
	s_set_vgpr_msb 1                        ;  msbs: dst=0 src0=1 src1=0 src2=0
	v_dual_mul_f32 v15, v21 /*v277*/, v165 :: v_dual_fma_f32 v19, v8 /*v264*/, v152, -v19
	v_dual_mul_f32 v55, v12 /*v268*/, v157 :: v_dual_mul_f32 v57, v14 /*v270*/, v159
	s_set_vgpr_msb 0                        ;  msbs: dst=0 src0=0 src1=0 src2=0
	v_add_f32_e32 v9, v9, v49
	v_add_f32_e32 v11, v11, v17
	s_wait_loadcnt_dscnt 0xb06
	s_set_vgpr_msb 1                        ;  msbs: dst=0 src0=1 src1=0 src2=0
	v_mul_f32_e32 v17, v23 /*v279*/, v167
	v_fmac_f32_e32 v53, v11 /*v267*/, v154
	v_dual_fma_f32 v21, v10 /*v266*/, v154, -v21 :: v_dual_fmac_f32 v55, v13 /*v269*/, v156
	s_set_vgpr_msb 0                        ;  msbs: dst=0 src0=0 src1=0 src2=0
	v_add_f32_e32 v9, v9, v51
	v_add_f32_e32 v11, v11, v19
	s_set_vgpr_msb 1                        ;  msbs: dst=0 src0=1 src1=0 src2=0
	v_dual_mul_f32 v19, v25 /*v281*/, v169 :: v_dual_fma_f32 v23, v12 /*v268*/, v156, -v23
	v_dual_mul_f32 v59, v16 /*v272*/, v161 :: v_dual_mul_f32 v61, v18 /*v274*/, v163
	s_set_vgpr_msb 0                        ;  msbs: dst=0 src0=0 src1=0 src2=0
	v_add_f32_e32 v9, v9, v53
	v_add_f32_e32 v11, v11, v21
	s_wait_loadcnt_dscnt 0xa05
	s_set_vgpr_msb 1                        ;  msbs: dst=0 src0=1 src1=0 src2=0
	;; [unrolled: 14-line block ×6, first 2 shown]
	v_mul_f32_e32 v21, v43 /*v299*/, v187
	v_fmac_f32_e32 v73, v31 /*v287*/, v174
	v_dual_fma_f32 v25, v30 /*v286*/, v174, -v25 :: v_dual_fmac_f32 v75, v33 /*v289*/, v176
	s_set_vgpr_msb 0                        ;  msbs: dst=0 src0=0 src1=0 src2=0
	v_add_f32_e32 v9, v9, v71
	v_add_f32_e32 v11, v11, v23
	s_set_vgpr_msb 1                        ;  msbs: dst=0 src0=1 src1=0 src2=0
	v_dual_mul_f32 v23, v45 /*v301*/, v189 :: v_dual_fma_f32 v27, v32 /*v288*/, v176, -v27
	v_fmac_f32_e32 v77, v35 /*v291*/, v178
	s_set_vgpr_msb 0                        ;  msbs: dst=0 src0=0 src1=0 src2=0
	v_add_f32_e32 v9, v9, v73
	v_add_f32_e32 v11, v11, v25
	s_set_vgpr_msb 1                        ;  msbs: dst=0 src0=1 src1=0 src2=0
	v_dual_mul_f32 v79, v36 /*v292*/, v181 :: v_dual_mul_f32 v81, v38 /*v294*/, v183
	v_fma_f32 v13, v34 /*v290*/, v178, -v13
	s_set_vgpr_msb 0                        ;  msbs: dst=0 src0=0 src1=0 src2=0
	v_add_f32_e32 v9, v9, v75
	v_add_f32_e32 v11, v11, v27
	s_set_vgpr_msb 1                        ;  msbs: dst=0 src0=1 src1=0 src2=0
	v_fmac_f32_e32 v79, v37 /*v293*/, v180
	v_dual_fma_f32 v15, v36 /*v292*/, v180, -v15 :: v_dual_fmac_f32 v81, v39 /*v295*/, v182
	s_set_vgpr_msb 0                        ;  msbs: dst=0 src0=0 src1=0 src2=0
	v_add_f32_e32 v9, v9, v77
	v_add_f32_e32 v11, v11, v13
	s_set_vgpr_msb 1                        ;  msbs: dst=0 src0=1 src1=0 src2=0
	v_dual_mul_f32 v83, v40 /*v296*/, v185 :: v_dual_mul_f32 v85, v42 /*v298*/, v187
	v_fma_f32 v13, v38 /*v294*/, v182, -v17
	s_set_vgpr_msb 0                        ;  msbs: dst=0 src0=0 src1=0 src2=0
	v_add_f32_e32 v9, v9, v79
	s_wait_loadcnt 0x4
	v_dual_add_f32 v11, v11, v15 :: v_dual_mov_b32 v114, v197
	v_dual_mul_f32 v25, v223, v191 :: v_dual_mov_b32 v110, v193
	s_set_vgpr_msb 1                        ;  msbs: dst=0 src0=1 src1=0 src2=0
	v_fmac_f32_e32 v83, v41 /*v297*/, v184
	v_dual_fma_f32 v15, v40 /*v296*/, v184, -v19 :: v_dual_fmac_f32 v85, v43 /*v299*/, v186
	s_set_vgpr_msb 0                        ;  msbs: dst=0 src0=0 src1=0 src2=0
	v_add_f32_e32 v11, v11, v13
	v_add_f32_e32 v9, v9, v81
	s_set_vgpr_msb 0x41                     ;  msbs: dst=1 src0=1 src1=0 src2=0
	v_dual_mul_f32 v61 /*v317*/, v44 /*v300*/, v189 :: v_dual_fma_f32 v60 /*v316*/, v44 /*v300*/, v188, -v23
	s_set_vgpr_msb 1                        ;  msbs: dst=0 src0=1 src1=0 src2=0
	v_fma_f32 v13, v42 /*v298*/, v186, -v21
	s_set_vgpr_msb 0                        ;  msbs: dst=0 src0=0 src1=0 src2=0
	v_add_f32_e32 v11, v11, v15
	v_add_f32_e32 v9, v9, v83
	s_set_vgpr_msb 1                        ;  msbs: dst=0 src0=1 src1=0 src2=0
	v_pk_mul_f32 v[110:111], v[52:53] /*v[308:309]*/, v[110:111] op_sel_hi:[1,0]
	s_set_vgpr_msb 64                       ;  msbs: dst=1 src0=0 src1=0 src2=0
	v_dual_mul_f32 v63 /*v319*/, v222, v191 :: v_dual_fma_f32 v62 /*v318*/, v222, v190, -v25
	s_set_vgpr_msb 0x41                     ;  msbs: dst=1 src0=1 src1=0 src2=0
	v_fmac_f32_e32 v61 /*v317*/, v45 /*v301*/, v188
	s_wait_loadcnt 0x3
	s_set_vgpr_msb 0                        ;  msbs: dst=0 src0=0 src1=0 src2=0
	v_dual_add_f32 v118, v11, v13 :: v_dual_mov_b32 v120, v201
	v_pk_fma_f32 v[122:123], v[224:225], v[192:193], v[110:111] op_sel_hi:[1,0,1]
	v_add_f32_e32 v119, v9, v85
	v_pk_fma_f32 v[110:111], v[224:225], v[192:193], v[110:111] neg_lo:[0,0,1] neg_hi:[0,0,1]
	v_pk_mul_f32 v[112:113], v[234:235], v[194:195] op_sel:[1,1] op_sel_hi:[0,1]
	s_set_vgpr_msb 64                       ;  msbs: dst=1 src0=0 src1=0 src2=0
	v_fmac_f32_e32 v63 /*v319*/, v223, v190
	s_set_vgpr_msb 4                        ;  msbs: dst=0 src0=0 src1=1 src2=0
	v_mov_b32_e32 v111, v123
	v_pk_add_f32 v[118:119], v[118:119], v[60:61] /*v[316:317]*/
	s_set_vgpr_msb 1                        ;  msbs: dst=0 src0=1 src1=0 src2=0
	v_pk_mul_f32 v[114:115], v[54:55] /*v[310:311]*/, v[114:115] op_sel_hi:[1,0]
	s_set_vgpr_msb 0                        ;  msbs: dst=0 src0=0 src1=0 src2=0
	v_pk_fma_f32 v[124:125], v[234:235], v[194:195], v[112:113] op_sel_hi:[1,0,1]
	v_pk_fma_f32 v[112:113], v[234:235], v[194:195], v[112:113] neg_lo:[0,0,1] neg_hi:[0,0,1]
	v_pk_mul_f32 v[116:117], v[238:239], v[198:199] op_sel:[1,1] op_sel_hi:[0,1]
	s_set_vgpr_msb 4                        ;  msbs: dst=0 src0=0 src1=1 src2=0
	v_pk_add_f32 v[118:119], v[118:119], v[62:63] /*v[318:319]*/
	s_set_vgpr_msb 1                        ;  msbs: dst=0 src0=1 src1=0 src2=0
	v_pk_mul_f32 v[120:121], v[56:57] /*v[312:313]*/, v[120:121] op_sel_hi:[1,0]
	s_set_vgpr_msb 0                        ;  msbs: dst=0 src0=0 src1=0 src2=0
	v_mov_b32_e32 v113, v125
	v_pk_fma_f32 v[124:125], v[236:237], v[196:197], v[114:115] op_sel_hi:[1,0,1]
	v_pk_fma_f32 v[114:115], v[236:237], v[196:197], v[114:115] neg_lo:[0,0,1] neg_hi:[0,0,1]
	v_pk_add_f32 v[110:111], v[118:119], v[110:111]
	v_pk_fma_f32 v[118:119], v[238:239], v[198:199], v[116:117] op_sel_hi:[1,0,1]
	v_pk_fma_f32 v[116:117], v[238:239], v[198:199], v[116:117] neg_lo:[0,0,1] neg_hi:[0,0,1]
	v_mov_b32_e32 v115, v125
	s_wait_loadcnt 0x2
	v_pk_mul_f32 v[122:123], v[250:251], v[202:203] op_sel:[1,1] op_sel_hi:[0,1]
	v_pk_add_f32 v[110:111], v[110:111], v[112:113]
	v_dual_mov_b32 v112, v205 :: v_dual_mov_b32 v117, v119
	v_pk_fma_f32 v[118:119], v[240:241], v[200:201], v[120:121] op_sel_hi:[1,0,1]
	v_pk_fma_f32 v[120:121], v[240:241], v[200:201], v[120:121] neg_lo:[0,0,1] neg_hi:[0,0,1]
	s_delay_alu instid0(VALU_DEP_4)
	v_pk_add_f32 v[110:111], v[110:111], v[114:115]
	v_pk_fma_f32 v[114:115], v[250:251], v[202:203], v[122:123] op_sel_hi:[1,0,1]
	s_set_vgpr_msb 1                        ;  msbs: dst=0 src0=1 src1=0 src2=0
	v_pk_mul_f32 v[112:113], v[58:59] /*v[314:315]*/, v[112:113] op_sel_hi:[1,0]
	s_set_vgpr_msb 0                        ;  msbs: dst=0 src0=0 src1=0 src2=0
	v_mov_b32_e32 v121, v119
	s_wait_loadcnt_dscnt 0x100
	s_set_vgpr_msb 5                        ;  msbs: dst=0 src0=1 src1=1 src2=0
	v_pk_mul_f32 v[118:119], v[50:51] /*v[306:307]*/, v[46:47] /*v[302:303]*/ op_sel:[1,1] op_sel_hi:[0,1]
	s_set_vgpr_msb 0                        ;  msbs: dst=0 src0=0 src1=0 src2=0
	v_pk_add_f32 v[110:111], v[110:111], v[116:117]
	v_pk_fma_f32 v[116:117], v[250:251], v[202:203], v[122:123] neg_lo:[0,0,1] neg_hi:[0,0,1]
	v_mov_b32_e32 v117, v115
	v_pk_fma_f32 v[114:115], v[252:253], v[204:205], v[112:113] op_sel_hi:[1,0,1]
	v_pk_fma_f32 v[112:113], v[252:253], v[204:205], v[112:113] neg_lo:[0,0,1] neg_hi:[0,0,1]
	v_pk_add_f32 v[110:111], v[110:111], v[120:121]
	s_delay_alu instid0(VALU_DEP_3)
	v_mov_b32_e32 v113, v115
	s_set_vgpr_msb 5                        ;  msbs: dst=0 src0=1 src1=1 src2=0
	v_pk_fma_f32 v[114:115], v[50:51] /*v[306:307]*/, v[46:47] /*v[302:303]*/, v[118:119] op_sel_hi:[1,0,1]
	s_set_vgpr_msb 0                        ;  msbs: dst=0 src0=0 src1=0 src2=0
	v_pk_add_f32 v[110:111], v[110:111], v[116:117]
	s_set_vgpr_msb 5                        ;  msbs: dst=0 src0=1 src1=1 src2=0
	v_pk_fma_f32 v[116:117], v[50:51] /*v[306:307]*/, v[46:47] /*v[302:303]*/, v[118:119] neg_lo:[0,0,1] neg_hi:[0,0,1]
	s_set_vgpr_msb 0                        ;  msbs: dst=0 src0=0 src1=0 src2=0
	v_mov_b32_e32 v117, v115
	v_pk_add_f32 v[110:111], v[110:111], v[112:113]
	s_delay_alu instid0(VALU_DEP_1) | instskip(SKIP_2) | instid1(VALU_DEP_1)
	v_pk_add_f32 v[110:111], v[110:111], v[116:117]
	s_wait_loadcnt 0x0
	s_set_vgpr_msb 1                        ;  msbs: dst=0 src0=1 src1=0 src2=0
	v_pk_add_f32 v[110:111], v[48:49] /*v[304:305]*/, v[110:111] neg_lo:[0,1] neg_hi:[0,1]
	scratch_store_b64 off, v[110:111], off offset:32
	s_wait_xcnt 0x0
	v_cmpx_lt_u32_e32 3, v0
	s_set_vgpr_msb 0                        ;  msbs: dst=0 src0=0 src1=0 src2=0
	s_cbranch_execz .LBB53_331
; %bb.330:
	scratch_load_b64 v[110:111], off, off offset:24
	v_mov_b64_e32 v[112:113], 0
	scratch_store_b64 off, v[112:113], off offset:24
	s_wait_loadcnt 0x0
	ds_store_b64 v1, v[110:111]
.LBB53_331:
	s_wait_xcnt 0x0
	s_or_b32 exec_lo, exec_lo, s0
	s_wait_storecnt_dscnt 0x0
	s_barrier_signal -1
	s_barrier_wait -1
	s_clause 0x18
	scratch_load_b128 v[110:113], off, off offset:32
	scratch_load_b128 v[114:117], off, off offset:48
	;; [unrolled: 1-line block ×25, first 2 shown]
	ds_load_b128 v[210:213], v7 offset:464
	ds_load_b128 v[214:217], v7 offset:480
	ds_load_b128 v[218:221], v7 offset:496
	ds_load_b128 v[222:225], v7 offset:512
	ds_load_b128 v[226:229], v7 offset:784
	ds_load_b128 v[230:233], v7 offset:800
	ds_load_b128 v[234:237], v7 offset:528
	ds_load_b128 v[238:241], v7 offset:544
	ds_load_b128 v[242:245], v7 offset:816
	ds_load_b128 v[246:249], v7 offset:832
	ds_load_b128 v[250:253], v7 offset:560
	ds_load_b128 v[254:257], v7 offset:576
	s_set_vgpr_msb 64                       ;  msbs: dst=1 src0=0 src1=0 src2=0
	ds_load_b128 v[2:5] /*v[258:261]*/, v7 offset:848
	ds_load_b128 v[6:9] /*v[262:265]*/, v7 offset:592
	;; [unrolled: 1-line block ×7, first 2 shown]
	scratch_load_b64 v[54:55] /*v[310:311]*/, off, off offset:24
	ds_load_b128 v[30:33] /*v[286:289]*/, v7 offset:688
	ds_load_b128 v[34:37] /*v[290:293]*/, v7 offset:704
	;; [unrolled: 1-line block ×6, first 2 shown]
	s_mov_b32 s0, exec_lo
	s_wait_dscnt 0x13
	v_dual_mov_b32 v56 /*v312*/, v233 :: v_dual_mov_b32 v57 /*v313*/, v232
	s_wait_dscnt 0x10
	v_dual_mov_b32 v58 /*v314*/, v245 :: v_dual_mov_b32 v59 /*v315*/, v244
	;; [unrolled: 2-line block ×3, first 2 shown]
	s_wait_dscnt 0xc
	s_set_vgpr_msb 0x41                     ;  msbs: dst=1 src0=1 src1=0 src2=0
	v_dual_mov_b32 v62 /*v318*/, v5 /*v261*/ :: v_dual_mov_b32 v63 /*v319*/, v4 /*v260*/
	s_wait_loadcnt 0x19
	s_set_vgpr_msb 0                        ;  msbs: dst=0 src0=0 src1=0 src2=0
	v_dual_mul_f32 v7, v210, v111 :: v_dual_mul_f32 v9, v212, v113
	s_wait_loadcnt 0x18
	v_dual_mul_f32 v87, v211, v111 :: v_dual_mul_f32 v93, v217, v117
	v_dual_mul_f32 v11, v214, v115 :: v_dual_mul_f32 v13, v216, v117
	s_delay_alu instid0(VALU_DEP_3) | instskip(SKIP_4) | instid1(VALU_DEP_3)
	v_dual_fmac_f32 v7, v211, v110 :: v_dual_fmac_f32 v9, v213, v112
	s_wait_loadcnt 0x12
	v_dual_mul_f32 v35, v254, v139 :: v_dual_mul_f32 v89, v213, v113
	v_dual_mul_f32 v91, v215, v115 :: v_dual_mul_f32 v97, v221, v121
	v_dual_mul_f32 v95, v219, v119 :: v_dual_fma_f32 v87, v210, v110, -v87
	v_dual_mul_f32 v99, v223, v123 :: v_dual_fma_f32 v89, v212, v112, -v89
	v_dual_add_f32 v7, 0, v7 :: v_dual_fmac_f32 v11, v215, v114
	v_fmac_f32_e32 v13, v217, v116
	s_wait_loadcnt_dscnt 0x600
	s_set_vgpr_msb 1                        ;  msbs: dst=0 src0=1 src1=0 src2=0
	v_dual_mul_f32 v85, v52 /*v308*/, v189 :: v_dual_add_f32 v87, 0, v87
	s_set_vgpr_msb 0                        ;  msbs: dst=0 src0=0 src1=0 src2=0
	v_dual_mul_f32 v101, v225, v125 :: v_dual_fma_f32 v91, v214, v114, -v91
	v_dual_add_f32 v7, v7, v9 :: v_dual_mul_f32 v15, v218, v119
	v_mul_f32_e32 v17, v220, v121
	v_dual_add_f32 v9, v87, v89 :: v_dual_fma_f32 v89, v216, v116, -v93
	s_delay_alu instid0(VALU_DEP_3) | instskip(NEXT) | instid1(VALU_DEP_4)
	v_add_f32_e32 v7, v7, v11
	v_dual_fmac_f32 v15, v219, v118 :: v_dual_mul_f32 v19, v222, v123
	s_delay_alu instid0(VALU_DEP_3) | instskip(NEXT) | instid1(VALU_DEP_3)
	v_dual_mul_f32 v21, v224, v125 :: v_dual_add_f32 v9, v9, v91
	v_dual_fma_f32 v91, v218, v118, -v95 :: v_dual_add_f32 v7, v7, v13
	v_dual_fmac_f32 v17, v221, v120 :: v_dual_mul_f32 v13, v239, v131
	s_delay_alu instid0(VALU_DEP_3) | instskip(NEXT) | instid1(VALU_DEP_3)
	v_dual_add_f32 v9, v9, v89 :: v_dual_fma_f32 v89, v220, v120, -v97
	v_add_f32_e32 v7, v7, v15
	v_dual_fmac_f32 v19, v223, v122 :: v_dual_mul_f32 v23, v234, v127
	s_delay_alu instid0(VALU_DEP_3) | instskip(NEXT) | instid1(VALU_DEP_3)
	v_dual_mul_f32 v25, v236, v129 :: v_dual_add_f32 v9, v9, v91
	v_dual_add_f32 v7, v7, v17 :: v_dual_fmac_f32 v21, v225, v124
	v_dual_mul_f32 v15, v241, v133 :: v_dual_fma_f32 v91, v222, v122, -v99
	s_delay_alu instid0(VALU_DEP_3) | instskip(NEXT) | instid1(VALU_DEP_3)
	v_dual_add_f32 v9, v9, v89 :: v_dual_mul_f32 v17, v251, v135
	v_dual_fma_f32 v89, v224, v124, -v101 :: v_dual_add_f32 v7, v7, v19
	v_dual_mul_f32 v87, v235, v127 :: v_dual_mul_f32 v11, v237, v129
	s_delay_alu instid0(VALU_DEP_3) | instskip(NEXT) | instid1(VALU_DEP_3)
	v_dual_add_f32 v9, v9, v91 :: v_dual_fmac_f32 v23, v235, v126
	v_dual_add_f32 v7, v7, v21 :: v_dual_fmac_f32 v25, v237, v128
	v_dual_mul_f32 v27, v238, v131 :: v_dual_mul_f32 v29, v240, v133
	s_delay_alu instid0(VALU_DEP_4) | instskip(NEXT) | instid1(VALU_DEP_4)
	v_dual_mul_f32 v19, v253, v137 :: v_dual_fma_f32 v87, v234, v126, -v87
	v_dual_add_f32 v9, v9, v89 :: v_dual_mul_f32 v21, v255, v139
	s_delay_alu instid0(VALU_DEP_4) | instskip(NEXT) | instid1(VALU_DEP_2)
	v_dual_fma_f32 v11, v236, v128, -v11 :: v_dual_add_f32 v7, v7, v23
	v_dual_fmac_f32 v27, v239, v130 :: v_dual_add_f32 v9, v9, v87
	v_fma_f32 v13, v238, v130, -v13
	v_dual_mul_f32 v31, v250, v135 :: v_dual_mul_f32 v33, v252, v137
	s_delay_alu instid0(VALU_DEP_3) | instskip(SKIP_1) | instid1(VALU_DEP_3)
	v_dual_add_f32 v7, v7, v25 :: v_dual_add_f32 v9, v9, v11
	v_dual_fma_f32 v15, v240, v132, -v15 :: v_dual_fmac_f32 v29, v241, v132
	v_fmac_f32_e32 v31, v251, v134
	s_delay_alu instid0(VALU_DEP_3)
	v_dual_add_f32 v7, v7, v27 :: v_dual_add_f32 v9, v9, v13
	v_fma_f32 v17, v250, v134, -v17
	s_set_vgpr_msb 1                        ;  msbs: dst=0 src0=1 src1=0 src2=0
	v_dual_mul_f32 v37, v0 /*v256*/, v141 :: v_dual_mul_f32 v39, v6 /*v262*/, v143
	s_set_vgpr_msb 0                        ;  msbs: dst=0 src0=0 src1=0 src2=0
	v_dual_add_f32 v7, v7, v29 :: v_dual_add_f32 v9, v9, v15
	v_dual_fma_f32 v19, v252, v136, -v19 :: v_dual_fmac_f32 v33, v253, v136
	s_set_vgpr_msb 1                        ;  msbs: dst=0 src0=1 src1=0 src2=0
	v_dual_mul_f32 v23, v1 /*v257*/, v141 :: v_dual_mul_f32 v11, v7 /*v263*/, v143
	s_set_vgpr_msb 0                        ;  msbs: dst=0 src0=0 src1=0 src2=0
	v_dual_add_f32 v7, v7, v31 :: v_dual_add_f32 v9, v9, v17
	v_dual_fmac_f32 v35, v255, v138 :: v_dual_fma_f32 v21, v254, v138, -v21
	s_set_vgpr_msb 1                        ;  msbs: dst=0 src0=1 src1=0 src2=0
	v_dual_fmac_f32 v37, v1 /*v257*/, v140 :: v_dual_fma_f32 v23, v0 /*v256*/, v140, -v23
	s_set_vgpr_msb 0                        ;  msbs: dst=0 src0=0 src1=0 src2=0
	v_add_f32_e32 v7, v7, v33
	s_set_vgpr_msb 1                        ;  msbs: dst=0 src0=1 src1=0 src2=0
	v_dual_mul_f32 v41, v8 /*v264*/, v145 :: v_dual_mul_f32 v43, v10 /*v266*/, v147
	v_dual_mul_f32 v13, v9 /*v265*/, v145 :: v_dual_mul_f32 v15, v11 /*v267*/, v147
	s_set_vgpr_msb 0                        ;  msbs: dst=0 src0=0 src1=0 src2=0
	v_add_f32_e32 v7, v7, v35
	v_add_f32_e32 v9, v9, v19
	s_set_vgpr_msb 1                        ;  msbs: dst=0 src0=1 src1=0 src2=0
	v_dual_fmac_f32 v39, v7 /*v263*/, v142 :: v_dual_fmac_f32 v41, v9 /*v265*/, v144
	v_fmac_f32_e32 v43, v11 /*v267*/, v146
	s_set_vgpr_msb 0                        ;  msbs: dst=0 src0=0 src1=0 src2=0
	v_add_f32_e32 v7, v7, v37
	v_add_f32_e32 v9, v9, v21
	s_set_vgpr_msb 1                        ;  msbs: dst=0 src0=1 src1=0 src2=0
	v_dual_mul_f32 v21, v17 /*v273*/, v153 :: v_dual_fma_f32 v13, v8 /*v264*/, v144, -v13
	v_dual_mul_f32 v45, v12 /*v268*/, v149 :: v_dual_mul_f32 v47, v14 /*v270*/, v151
	s_set_vgpr_msb 0                        ;  msbs: dst=0 src0=0 src1=0 src2=0
	v_add_f32_e32 v7, v7, v39
	s_set_vgpr_msb 1                        ;  msbs: dst=0 src0=1 src1=0 src2=0
	v_dual_mul_f32 v17, v13 /*v269*/, v149 :: v_dual_mul_f32 v19, v15 /*v271*/, v151
	s_set_vgpr_msb 0                        ;  msbs: dst=0 src0=0 src1=0 src2=0
	v_add_f32_e32 v9, v9, v23
	s_set_vgpr_msb 1                        ;  msbs: dst=0 src0=1 src1=0 src2=0
	v_dual_fma_f32 v11, v6 /*v262*/, v142, -v11 :: v_dual_mul_f32 v23, v19 /*v275*/, v155
	s_set_vgpr_msb 0                        ;  msbs: dst=0 src0=0 src1=0 src2=0
	v_add_f32_e32 v7, v7, v41
	s_set_vgpr_msb 1                        ;  msbs: dst=0 src0=1 src1=0 src2=0
	v_dual_fmac_f32 v45, v13 /*v269*/, v148 :: v_dual_fmac_f32 v47, v15 /*v271*/, v150
	v_fma_f32 v17, v12 /*v268*/, v148, -v17
	v_dual_mul_f32 v49, v16 /*v272*/, v153 :: v_dual_mul_f32 v51, v18 /*v274*/, v155
	s_set_vgpr_msb 0                        ;  msbs: dst=0 src0=0 src1=0 src2=0
	v_add_f32_e32 v7, v7, v43
	v_add_f32_e32 v9, v9, v11
	s_set_vgpr_msb 1                        ;  msbs: dst=0 src0=1 src1=0 src2=0
	v_dual_mul_f32 v11, v21 /*v277*/, v157 :: v_dual_fma_f32 v15, v10 /*v266*/, v146, -v15
	v_dual_fmac_f32 v49, v17 /*v273*/, v152 :: v_dual_fmac_f32 v51, v19 /*v275*/, v154
	s_set_vgpr_msb 0                        ;  msbs: dst=0 src0=0 src1=0 src2=0
	v_add_f32_e32 v7, v7, v45
	v_add_f32_e32 v9, v9, v13
	s_set_vgpr_msb 1                        ;  msbs: dst=0 src0=1 src1=0 src2=0
	v_fma_f32 v21, v16 /*v272*/, v152, -v21
	v_dual_mul_f32 v53, v20 /*v276*/, v157 :: v_dual_mul_f32 v55, v22 /*v278*/, v159
	s_set_vgpr_msb 0                        ;  msbs: dst=0 src0=0 src1=0 src2=0
	v_add_f32_e32 v7, v7, v47
	s_set_vgpr_msb 1                        ;  msbs: dst=0 src0=1 src1=0 src2=0
	v_mul_f32_e32 v13, v23 /*v279*/, v159
	s_set_vgpr_msb 0                        ;  msbs: dst=0 src0=0 src1=0 src2=0
	v_add_f32_e32 v9, v9, v15
	s_set_vgpr_msb 1                        ;  msbs: dst=0 src0=1 src1=0 src2=0
	v_dual_mul_f32 v15, v25 /*v281*/, v161 :: v_dual_fma_f32 v19, v14 /*v270*/, v150, -v19
	s_set_vgpr_msb 0                        ;  msbs: dst=0 src0=0 src1=0 src2=0
	v_add_f32_e32 v7, v7, v49
	s_set_vgpr_msb 1                        ;  msbs: dst=0 src0=1 src1=0 src2=0
	v_dual_fmac_f32 v53, v21 /*v277*/, v156 :: v_dual_fma_f32 v11, v20 /*v276*/, v156, -v11
	s_set_vgpr_msb 0                        ;  msbs: dst=0 src0=0 src1=0 src2=0
	v_add_f32_e32 v9, v9, v17
	s_set_vgpr_msb 1                        ;  msbs: dst=0 src0=1 src1=0 src2=0
	v_dual_fmac_f32 v55, v23 /*v279*/, v158 :: v_dual_fma_f32 v13, v22 /*v278*/, v158, -v13
	s_set_vgpr_msb 0                        ;  msbs: dst=0 src0=0 src1=0 src2=0
	v_add_f32_e32 v7, v7, v51
	s_set_vgpr_msb 1                        ;  msbs: dst=0 src0=1 src1=0 src2=0
	v_dual_mul_f32 v57, v24 /*v280*/, v161 :: v_dual_mul_f32 v59, v26 /*v282*/, v163
	v_mul_f32_e32 v17, v27 /*v283*/, v163
	s_set_vgpr_msb 0                        ;  msbs: dst=0 src0=0 src1=0 src2=0
	v_dual_add_f32 v9, v9, v19 :: v_dual_add_f32 v7, v7, v53
	s_set_vgpr_msb 1                        ;  msbs: dst=0 src0=1 src1=0 src2=0
	v_dual_mul_f32 v19, v29 /*v285*/, v165 :: v_dual_fma_f32 v23, v18 /*v274*/, v154, -v23
	v_dual_fmac_f32 v57, v25 /*v281*/, v160 :: v_dual_fma_f32 v15, v24 /*v280*/, v160, -v15
	s_set_vgpr_msb 0                        ;  msbs: dst=0 src0=0 src1=0 src2=0
	v_add_f32_e32 v9, v9, v21
	s_set_vgpr_msb 1                        ;  msbs: dst=0 src0=1 src1=0 src2=0
	v_dual_fmac_f32 v59, v27 /*v283*/, v162 :: v_dual_fma_f32 v17, v26 /*v282*/, v162, -v17
	s_set_vgpr_msb 0                        ;  msbs: dst=0 src0=0 src1=0 src2=0
	v_add_f32_e32 v7, v7, v55
	s_set_vgpr_msb 1                        ;  msbs: dst=0 src0=1 src1=0 src2=0
	v_dual_mul_f32 v61, v28 /*v284*/, v165 :: v_dual_mul_f32 v63, v30 /*v286*/, v167
	v_mul_f32_e32 v21, v31 /*v287*/, v167
	s_set_vgpr_msb 0                        ;  msbs: dst=0 src0=0 src1=0 src2=0
	v_dual_add_f32 v9, v9, v23 :: v_dual_add_f32 v7, v7, v57
	s_set_vgpr_msb 1                        ;  msbs: dst=0 src0=1 src1=0 src2=0
	v_dual_fmac_f32 v61, v29 /*v285*/, v164 :: v_dual_fma_f32 v19, v28 /*v284*/, v164, -v19
	v_dual_fmac_f32 v63, v31 /*v287*/, v166 :: v_dual_fma_f32 v21, v30 /*v286*/, v166, -v21
	s_set_vgpr_msb 0                        ;  msbs: dst=0 src0=0 src1=0 src2=0
	v_add_f32_e32 v7, v7, v59
	s_set_vgpr_msb 1                        ;  msbs: dst=0 src0=1 src1=0 src2=0
	v_dual_mul_f32 v65, v32 /*v288*/, v169 :: v_dual_mul_f32 v67, v34 /*v290*/, v171
	s_set_vgpr_msb 0                        ;  msbs: dst=0 src0=0 src1=0 src2=0
	v_add_f32_e32 v9, v9, v11
	s_set_vgpr_msb 1                        ;  msbs: dst=0 src0=1 src1=0 src2=0
	v_dual_mul_f32 v23, v33 /*v289*/, v169 :: v_dual_mul_f32 v11, v35 /*v291*/, v171
	s_set_vgpr_msb 0                        ;  msbs: dst=0 src0=0 src1=0 src2=0
	v_add_f32_e32 v7, v7, v61
	s_set_vgpr_msb 1                        ;  msbs: dst=0 src0=1 src1=0 src2=0
	v_fmac_f32_e32 v65, v33 /*v289*/, v168
	s_set_vgpr_msb 0                        ;  msbs: dst=0 src0=0 src1=0 src2=0
	v_add_f32_e32 v9, v9, v13
	s_set_vgpr_msb 1                        ;  msbs: dst=0 src0=1 src1=0 src2=0
	v_dual_mul_f32 v69, v36 /*v292*/, v173 :: v_dual_mul_f32 v71, v38 /*v294*/, v175
	s_set_vgpr_msb 0                        ;  msbs: dst=0 src0=0 src1=0 src2=0
	v_add_f32_e32 v7, v7, v63
	s_set_vgpr_msb 1                        ;  msbs: dst=0 src0=1 src1=0 src2=0
	v_fma_f32 v23, v32 /*v288*/, v168, -v23
	s_set_vgpr_msb 0                        ;  msbs: dst=0 src0=0 src1=0 src2=0
	v_add_f32_e32 v9, v9, v15
	s_set_vgpr_msb 1                        ;  msbs: dst=0 src0=1 src1=0 src2=0
	v_dual_fmac_f32 v67, v35 /*v291*/, v170 :: v_dual_fmac_f32 v69, v37 /*v293*/, v172
	s_set_vgpr_msb 0                        ;  msbs: dst=0 src0=0 src1=0 src2=0
	v_add_f32_e32 v7, v7, v65
	s_set_vgpr_msb 1                        ;  msbs: dst=0 src0=1 src1=0 src2=0
	v_dual_mul_f32 v73, v40 /*v296*/, v177 :: v_dual_mul_f32 v75, v42 /*v298*/, v179
	s_set_vgpr_msb 0                        ;  msbs: dst=0 src0=0 src1=0 src2=0
	v_add_f32_e32 v9, v9, v17
	s_set_vgpr_msb 1                        ;  msbs: dst=0 src0=1 src1=0 src2=0
	v_fmac_f32_e32 v71, v39 /*v295*/, v174
	s_set_vgpr_msb 0                        ;  msbs: dst=0 src0=0 src1=0 src2=0
	v_add_f32_e32 v7, v7, v67
	s_set_vgpr_msb 1                        ;  msbs: dst=0 src0=1 src1=0 src2=0
	v_dual_fmac_f32 v73, v41 /*v297*/, v176 :: v_dual_mul_f32 v77, v44 /*v300*/, v181
	v_mul_f32_e32 v79, v46 /*v302*/, v183
	s_set_vgpr_msb 0                        ;  msbs: dst=0 src0=0 src1=0 src2=0
	v_dual_add_f32 v9, v9, v19 :: v_dual_add_f32 v7, v7, v69
	s_set_vgpr_msb 1                        ;  msbs: dst=0 src0=1 src1=0 src2=0
	v_dual_mul_f32 v13, v37 /*v293*/, v173 :: v_dual_mul_f32 v15, v39 /*v295*/, v175
	v_fma_f32 v11, v34 /*v290*/, v170, -v11
	s_set_vgpr_msb 0                        ;  msbs: dst=0 src0=0 src1=0 src2=0
	v_dual_add_f32 v9, v9, v21 :: v_dual_add_f32 v7, v7, v71
	s_set_vgpr_msb 1                        ;  msbs: dst=0 src0=1 src1=0 src2=0
	v_dual_mul_f32 v21, v45 /*v301*/, v181 :: v_dual_fmac_f32 v75, v43 /*v299*/, v178
	v_fmac_f32_e32 v77, v45 /*v301*/, v180
	s_set_vgpr_msb 0                        ;  msbs: dst=0 src0=0 src1=0 src2=0
	v_dual_add_f32 v9, v9, v23 :: v_dual_add_f32 v7, v7, v73
	s_set_vgpr_msb 1                        ;  msbs: dst=0 src0=1 src1=0 src2=0
	v_dual_mul_f32 v23, v47 /*v303*/, v183 :: v_dual_fma_f32 v13, v36 /*v292*/, v172, -v13
	s_wait_loadcnt 0x4
	s_set_vgpr_msb 0                        ;  msbs: dst=0 src0=0 src1=0 src2=0
	v_mov_b32_e32 v112, v197
	s_set_vgpr_msb 1                        ;  msbs: dst=0 src0=1 src1=0 src2=0
	v_dual_mul_f32 v81, v48 /*v304*/, v185 :: v_dual_mul_f32 v83, v50 /*v306*/, v187
	s_set_vgpr_msb 0                        ;  msbs: dst=0 src0=0 src1=0 src2=0
	v_add_f32_e32 v7, v7, v75
	v_add_f32_e32 v9, v9, v11
	s_set_vgpr_msb 1                        ;  msbs: dst=0 src0=1 src1=0 src2=0
	v_dual_mul_f32 v17, v41 /*v297*/, v177 :: v_dual_mul_f32 v19, v43 /*v299*/, v179
	v_dual_mul_f32 v11, v49 /*v305*/, v185 :: v_dual_fma_f32 v15, v38 /*v294*/, v174, -v15
	v_dual_fma_f32 v21, v44 /*v300*/, v180, -v21 :: v_dual_fmac_f32 v79, v47 /*v303*/, v182
	s_set_vgpr_msb 0                        ;  msbs: dst=0 src0=0 src1=0 src2=0
	v_add_f32_e32 v7, v7, v77
	v_add_f32_e32 v9, v9, v13
	s_set_vgpr_msb 1                        ;  msbs: dst=0 src0=1 src1=0 src2=0
	v_dual_mul_f32 v13, v51 /*v307*/, v187 :: v_dual_fma_f32 v17, v40 /*v296*/, v176, -v17
	v_dual_fma_f32 v23, v46 /*v302*/, v182, -v23 :: v_dual_fmac_f32 v81, v49 /*v305*/, v184
	s_delay_alu instid0(VALU_DEP_2)
	v_dual_fma_f32 v11, v48 /*v304*/, v184, -v11 :: v_dual_fma_f32 v13, v50 /*v306*/, v186, -v13
	s_set_vgpr_msb 0                        ;  msbs: dst=0 src0=0 src1=0 src2=0
	v_add_f32_e32 v7, v7, v79
	v_add_f32_e32 v9, v9, v15
	s_set_vgpr_msb 1                        ;  msbs: dst=0 src0=1 src1=0 src2=0
	v_dual_mul_f32 v15, v53 /*v309*/, v189 :: v_dual_fma_f32 v19, v42 /*v298*/, v178, -v19
	v_dual_fmac_f32 v83, v51 /*v307*/, v186 :: v_dual_fmac_f32 v85, v53 /*v309*/, v188
	s_set_vgpr_msb 0                        ;  msbs: dst=0 src0=0 src1=0 src2=0
	v_add_f32_e32 v7, v7, v81
	v_add_f32_e32 v9, v9, v17
	s_wait_loadcnt 0x3
	v_mov_b32_e32 v116, v201
	s_set_vgpr_msb 64                       ;  msbs: dst=1 src0=0 src1=0 src2=0
	v_dual_mul_f32 v65 /*v321*/, v226, v191 :: v_dual_mul_f32 v67 /*v323*/, v228, v193
	s_set_vgpr_msb 0                        ;  msbs: dst=0 src0=0 src1=0 src2=0
	v_add_f32_e32 v7, v7, v83
	v_add_f32_e32 v9, v9, v19
	v_mul_f32_e32 v19, v229, v193
	v_pk_mul_f32 v[110:111], v[230:231], v[194:195] op_sel:[1,1] op_sel_hi:[0,1]
	s_set_vgpr_msb 64                       ;  msbs: dst=1 src0=0 src1=0 src2=0
	v_dual_fmac_f32 v65 /*v321*/, v227, v190 :: v_dual_fmac_f32 v67 /*v323*/, v229, v192
	s_set_vgpr_msb 0                        ;  msbs: dst=0 src0=0 src1=0 src2=0
	v_add_f32_e32 v119, v7, v85
	v_dual_mul_f32 v17, v227, v191 :: v_dual_add_f32 v9, v9, v21
	s_set_vgpr_msb 64                       ;  msbs: dst=1 src0=0 src1=0 src2=0
	v_fma_f32 v66 /*v322*/, v228, v192, -v19
	s_set_vgpr_msb 0                        ;  msbs: dst=0 src0=0 src1=0 src2=0
	v_pk_fma_f32 v[120:121], v[230:231], v[194:195], v[110:111] op_sel_hi:[1,0,1]
	s_set_vgpr_msb 1                        ;  msbs: dst=0 src0=1 src1=0 src2=0
	v_pk_mul_f32 v[112:113], v[56:57] /*v[312:313]*/, v[112:113] op_sel_hi:[1,0]
	s_set_vgpr_msb 64                       ;  msbs: dst=1 src0=0 src1=0 src2=0
	v_fma_f32 v64 /*v320*/, v226, v190, -v17
	s_set_vgpr_msb 0                        ;  msbs: dst=0 src0=0 src1=0 src2=0
	v_add_f32_e32 v9, v9, v23
	v_pk_fma_f32 v[110:111], v[230:231], v[194:195], v[110:111] neg_lo:[0,0,1] neg_hi:[0,0,1]
	v_pk_mul_f32 v[114:115], v[242:243], v[198:199] op_sel:[1,1] op_sel_hi:[0,1]
	v_mov_b32_e32 v111, v121
	v_pk_fma_f32 v[120:121], v[232:233], v[196:197], v[112:113] op_sel_hi:[1,0,1]
	v_add_f32_e32 v9, v9, v11
	s_set_vgpr_msb 1                        ;  msbs: dst=0 src0=1 src1=0 src2=0
	v_fma_f32 v11, v52 /*v308*/, v188, -v15
	s_set_vgpr_msb 0                        ;  msbs: dst=0 src0=0 src1=0 src2=0
	v_pk_fma_f32 v[112:113], v[232:233], v[196:197], v[112:113] neg_lo:[0,0,1] neg_hi:[0,0,1]
	v_pk_fma_f32 v[124:125], v[242:243], v[198:199], v[114:115] op_sel_hi:[1,0,1]
	s_set_vgpr_msb 1                        ;  msbs: dst=0 src0=1 src1=0 src2=0
	v_pk_mul_f32 v[116:117], v[58:59] /*v[314:315]*/, v[116:117] op_sel_hi:[1,0]
	s_set_vgpr_msb 0                        ;  msbs: dst=0 src0=0 src1=0 src2=0
	v_add_f32_e32 v9, v9, v13
	v_mov_b32_e32 v113, v121
	s_wait_loadcnt 0x2
	v_pk_mul_f32 v[122:123], v[246:247], v[202:203] op_sel:[1,1] op_sel_hi:[0,1]
	v_pk_fma_f32 v[114:115], v[242:243], v[198:199], v[114:115] neg_lo:[0,0,1] neg_hi:[0,0,1]
	v_mov_b32_e32 v115, v125
	v_add_f32_e32 v118, v9, v11
	v_pk_fma_f32 v[120:121], v[244:245], v[200:201], v[116:117] op_sel_hi:[1,0,1]
	v_pk_fma_f32 v[116:117], v[244:245], v[200:201], v[116:117] neg_lo:[0,0,1] neg_hi:[0,0,1]
	s_set_vgpr_msb 4                        ;  msbs: dst=0 src0=0 src1=1 src2=0
	s_delay_alu instid0(VALU_DEP_3) | instskip(NEXT) | instid1(VALU_DEP_1)
	v_pk_add_f32 v[118:119], v[118:119], v[64:65] /*v[320:321]*/
	v_pk_add_f32 v[118:119], v[118:119], v[66:67] /*v[322:323]*/
	s_set_vgpr_msb 0                        ;  msbs: dst=0 src0=0 src1=0 src2=0
	s_delay_alu instid0(VALU_DEP_1) | instskip(SKIP_1) | instid1(VALU_DEP_2)
	v_pk_add_f32 v[110:111], v[118:119], v[110:111]
	v_mov_b32_e32 v118, v205
	v_pk_add_f32 v[110:111], v[110:111], v[112:113]
	v_pk_fma_f32 v[112:113], v[246:247], v[202:203], v[122:123] op_sel_hi:[1,0,1]
	s_set_vgpr_msb 1                        ;  msbs: dst=0 src0=1 src1=0 src2=0
	s_delay_alu instid0(VALU_DEP_3)
	v_pk_mul_f32 v[118:119], v[60:61] /*v[316:317]*/, v[118:119] op_sel_hi:[1,0]
	s_set_vgpr_msb 0                        ;  msbs: dst=0 src0=0 src1=0 src2=0
	v_mov_b32_e32 v117, v121
	v_pk_fma_f32 v[120:121], v[246:247], v[202:203], v[122:123] neg_lo:[0,0,1] neg_hi:[0,0,1]
	v_pk_add_f32 v[110:111], v[110:111], v[114:115]
	v_mov_b32_e32 v121, v113
	v_pk_fma_f32 v[112:113], v[248:249], v[204:205], v[118:119] op_sel_hi:[1,0,1]
	s_wait_loadcnt 0x1
	s_set_vgpr_msb 1                        ;  msbs: dst=0 src0=1 src1=0 src2=0
	v_pk_mul_f32 v[114:115], v[2:3] /*v[258:259]*/, v[206:207] op_sel:[1,1] op_sel_hi:[0,1]
	s_set_vgpr_msb 0                        ;  msbs: dst=0 src0=0 src1=0 src2=0
	v_mov_b32_e32 v112, v209
	v_pk_add_f32 v[110:111], v[110:111], v[116:117]
	v_pk_fma_f32 v[118:119], v[248:249], v[204:205], v[118:119] neg_lo:[0,0,1] neg_hi:[0,0,1]
	v_mov_b32_e32 v119, v113
	s_set_vgpr_msb 1                        ;  msbs: dst=0 src0=1 src1=0 src2=0
	v_pk_fma_f32 v[116:117], v[2:3] /*v[258:259]*/, v[206:207], v[114:115] op_sel_hi:[1,0,1]
	v_pk_mul_f32 v[112:113], v[62:63] /*v[318:319]*/, v[112:113] op_sel_hi:[1,0]
	s_set_vgpr_msb 0                        ;  msbs: dst=0 src0=0 src1=0 src2=0
	v_pk_add_f32 v[110:111], v[110:111], v[120:121]
	s_set_vgpr_msb 1                        ;  msbs: dst=0 src0=1 src1=0 src2=0
	v_pk_fma_f32 v[114:115], v[2:3] /*v[258:259]*/, v[206:207], v[114:115] neg_lo:[0,0,1] neg_hi:[0,0,1]
	s_set_vgpr_msb 0                        ;  msbs: dst=0 src0=0 src1=0 src2=0
	v_mov_b32_e32 v115, v117
	s_set_vgpr_msb 1                        ;  msbs: dst=0 src0=1 src1=0 src2=0
	v_pk_fma_f32 v[116:117], v[4:5] /*v[260:261]*/, v[208:209], v[112:113] op_sel_hi:[1,0,1]
	s_set_vgpr_msb 0                        ;  msbs: dst=0 src0=0 src1=0 src2=0
	v_pk_add_f32 v[110:111], v[110:111], v[118:119]
	s_set_vgpr_msb 1                        ;  msbs: dst=0 src0=1 src1=0 src2=0
	v_pk_fma_f32 v[112:113], v[4:5] /*v[260:261]*/, v[208:209], v[112:113] neg_lo:[0,0,1] neg_hi:[0,0,1]
	s_set_vgpr_msb 0                        ;  msbs: dst=0 src0=0 src1=0 src2=0
	v_mov_b32_e32 v113, v117
	v_pk_add_f32 v[110:111], v[110:111], v[114:115]
	s_delay_alu instid0(VALU_DEP_1) | instskip(SKIP_2) | instid1(VALU_DEP_1)
	v_pk_add_f32 v[110:111], v[110:111], v[112:113]
	s_wait_loadcnt 0x0
	s_set_vgpr_msb 1                        ;  msbs: dst=0 src0=1 src1=0 src2=0
	v_pk_add_f32 v[110:111], v[54:55] /*v[310:311]*/, v[110:111] neg_lo:[0,1] neg_hi:[0,1]
	scratch_store_b64 off, v[110:111], off offset:24
	s_wait_xcnt 0x0
	v_cmpx_lt_u32_e32 2, v0
	s_set_vgpr_msb 0                        ;  msbs: dst=0 src0=0 src1=0 src2=0
	s_cbranch_execz .LBB53_333
; %bb.332:
	scratch_load_b64 v[110:111], off, off offset:16
	v_mov_b64_e32 v[112:113], 0
	scratch_store_b64 off, v[112:113], off offset:16
	s_wait_loadcnt 0x0
	ds_store_b64 v1, v[110:111]
.LBB53_333:
	s_wait_xcnt 0x0
	s_or_b32 exec_lo, exec_lo, s0
	s_wait_storecnt_dscnt 0x0
	s_barrier_signal -1
	s_barrier_wait -1
	s_clause 0x1b
	scratch_load_b128 v[110:113], off, off offset:24
	scratch_load_b128 v[114:117], off, off offset:40
	;; [unrolled: 1-line block ×25, first 2 shown]
	s_set_vgpr_msb 64                       ;  msbs: dst=1 src0=0 src1=0 src2=0
	scratch_load_b64 v[54:55] /*v[310:311]*/, off, off offset:424
	scratch_load_b64 v[56:57] /*v[312:313]*/, off, off offset:16
	s_set_vgpr_msb 0                        ;  msbs: dst=0 src0=0 src1=0 src2=0
	v_mov_b32_e32 v89, 0
	ds_load_2addr_b64 v[210:213], v89 offset0:57 offset1:58
	ds_load_2addr_b64 v[214:217], v89 offset0:59 offset1:60
	;; [unrolled: 1-line block ×12, first 2 shown]
	s_set_vgpr_msb 64                       ;  msbs: dst=1 src0=0 src1=0 src2=0
	ds_load_2addr_b64 v[2:5] /*v[258:261]*/, v89 offset0:105 offset1:106
	ds_load_2addr_b64 v[6:9] /*v[262:265]*/, v89 offset0:73 offset1:74
	;; [unrolled: 1-line block ×13, first 2 shown]
	ds_load_b64 v[58:59] /*v[314:315]*/, v89 offset:856
	s_wait_dscnt 0x14
	v_dual_mov_b32 v60 /*v316*/, v233 :: v_dual_mov_b32 v61 /*v317*/, v232
	s_wait_dscnt 0x11
	v_dual_mov_b32 v62 /*v318*/, v245 :: v_dual_mov_b32 v63 /*v319*/, v244
	;; [unrolled: 2-line block ×3, first 2 shown]
	s_wait_dscnt 0xd
	s_set_vgpr_msb 0x41                     ;  msbs: dst=1 src0=1 src1=0 src2=0
	v_dual_mov_b32 v66 /*v322*/, v5 /*v261*/ :: v_dual_mov_b32 v67 /*v323*/, v4 /*v260*/
	s_mov_b32 s0, exec_lo
	s_wait_loadcnt 0x1a
	s_set_vgpr_msb 0                        ;  msbs: dst=0 src0=0 src1=0 src2=0
	v_dual_mul_f32 v7, v210, v111 :: v_dual_mul_f32 v91, v211, v111
	s_wait_loadcnt 0x19
	v_mul_f32_e32 v97, v217, v117
	v_dual_mul_f32 v9, v212, v113 :: v_dual_mul_f32 v11, v214, v115
	s_wait_loadcnt 0x18
	v_dual_mul_f32 v99, v219, v119 :: v_dual_fma_f32 v91, v210, v110, -v91
	s_delay_alu instid0(VALU_DEP_2) | instskip(SKIP_3) | instid1(VALU_DEP_2)
	v_dual_fmac_f32 v7, v211, v110 :: v_dual_fmac_f32 v9, v213, v112
	v_dual_mul_f32 v95, v215, v115 :: v_dual_mul_f32 v101, v221, v121
	v_dual_mul_f32 v13, v216, v117 :: v_dual_mul_f32 v15, v218, v119
	s_wait_loadcnt 0x16
	v_dual_mul_f32 v107, v235, v127 :: v_dual_fma_f32 v95, v214, v114, -v95
	v_dual_add_f32 v7, 0, v7 :: v_dual_mul_f32 v93, v213, v113
	v_dual_fmac_f32 v11, v215, v114 :: v_dual_mul_f32 v17, v220, v121
	v_mul_f32_e32 v19, v222, v123
	s_wait_loadcnt 0x6
	v_mul_f32_e32 v87, v226, v191
	s_wait_dscnt 0x1
	s_set_vgpr_msb 1                        ;  msbs: dst=0 src0=1 src1=0 src2=0
	v_mul_f32_e32 v85, v52 /*v308*/, v189
	s_set_vgpr_msb 0                        ;  msbs: dst=0 src0=0 src1=0 src2=0
	v_dual_fma_f32 v93, v212, v112, -v93 :: v_dual_add_f32 v91, 0, v91
	v_dual_add_f32 v7, v7, v9 :: v_dual_fmac_f32 v13, v217, v116
	v_dual_mul_f32 v103, v223, v123 :: v_dual_mul_f32 v105, v225, v125
	s_delay_alu instid0(VALU_DEP_3) | instskip(NEXT) | instid1(VALU_DEP_3)
	v_dual_add_f32 v9, v91, v93 :: v_dual_fma_f32 v93, v216, v116, -v97
	v_dual_mul_f32 v91, v237, v129 :: v_dual_add_f32 v7, v7, v11
	s_delay_alu instid0(VALU_DEP_2) | instskip(SKIP_1) | instid1(VALU_DEP_3)
	v_dual_fmac_f32 v15, v219, v118 :: v_dual_add_f32 v9, v9, v95
	v_dual_mul_f32 v11, v239, v131 :: v_dual_fma_f32 v95, v218, v118, -v99
	v_dual_add_f32 v7, v7, v13 :: v_dual_fmac_f32 v17, v221, v120
	s_delay_alu instid0(VALU_DEP_3) | instskip(SKIP_1) | instid1(VALU_DEP_3)
	v_add_f32_e32 v9, v9, v93
	v_dual_mul_f32 v13, v241, v133 :: v_dual_fma_f32 v93, v220, v120, -v101
	v_dual_add_f32 v7, v7, v15 :: v_dual_mul_f32 v21, v224, v125
	v_mul_f32_e32 v23, v234, v127
	s_delay_alu instid0(VALU_DEP_4) | instskip(SKIP_1) | instid1(VALU_DEP_4)
	v_dual_add_f32 v9, v9, v95 :: v_dual_fmac_f32 v19, v223, v122
	v_dual_mul_f32 v15, v251, v135 :: v_dual_fma_f32 v95, v222, v122, -v103
	v_dual_add_f32 v7, v7, v17 :: v_dual_fmac_f32 v21, v225, v124
	s_delay_alu instid0(VALU_DEP_3) | instskip(SKIP_1) | instid1(VALU_DEP_3)
	v_add_f32_e32 v9, v9, v93
	v_dual_mul_f32 v17, v253, v137 :: v_dual_fma_f32 v93, v224, v124, -v105
	v_dual_add_f32 v7, v7, v19 :: v_dual_mul_f32 v25, v236, v129
	v_mul_f32_e32 v27, v238, v131
	s_delay_alu instid0(VALU_DEP_4) | instskip(SKIP_1) | instid1(VALU_DEP_4)
	v_dual_add_f32 v9, v9, v95 :: v_dual_fmac_f32 v23, v235, v126
	v_dual_mul_f32 v19, v255, v139 :: v_dual_fma_f32 v95, v234, v126, -v107
	v_dual_add_f32 v7, v7, v21 :: v_dual_fmac_f32 v25, v237, v128
	s_delay_alu instid0(VALU_DEP_3) | instskip(SKIP_1) | instid1(VALU_DEP_3)
	v_dual_add_f32 v9, v9, v93 :: v_dual_fma_f32 v91, v236, v128, -v91
	v_dual_mul_f32 v29, v240, v133 :: v_dual_mul_f32 v31, v250, v135
	v_add_f32_e32 v7, v7, v23
	s_delay_alu instid0(VALU_DEP_3) | instskip(SKIP_1) | instid1(VALU_DEP_2)
	v_dual_add_f32 v9, v9, v95 :: v_dual_fmac_f32 v27, v239, v130
	v_dual_fma_f32 v11, v238, v130, -v11 :: v_dual_fma_f32 v13, v240, v132, -v13
	v_dual_add_f32 v7, v7, v25 :: v_dual_add_f32 v9, v9, v91
	v_dual_fmac_f32 v29, v241, v132 :: v_dual_mul_f32 v33, v252, v137
	v_mul_f32_e32 v35, v254, v139
	s_delay_alu instid0(VALU_DEP_3) | instskip(NEXT) | instid1(VALU_DEP_4)
	v_add_f32_e32 v7, v7, v27
	v_dual_add_f32 v9, v9, v11 :: v_dual_fmac_f32 v31, v251, v134
	v_dual_fma_f32 v15, v250, v134, -v15 :: v_dual_fma_f32 v17, v252, v136, -v17
	s_delay_alu instid0(VALU_DEP_3) | instskip(NEXT) | instid1(VALU_DEP_3)
	v_add_f32_e32 v7, v7, v29
	v_add_f32_e32 v9, v9, v13
	v_fmac_f32_e32 v33, v253, v136
	s_set_vgpr_msb 1                        ;  msbs: dst=0 src0=1 src1=0 src2=0
	v_dual_mul_f32 v37, v0 /*v256*/, v141 :: v_dual_mul_f32 v39, v6 /*v262*/, v143
	s_set_vgpr_msb 0                        ;  msbs: dst=0 src0=0 src1=0 src2=0
	v_add_f32_e32 v7, v7, v31
	v_dual_add_f32 v9, v9, v15 :: v_dual_fmac_f32 v35, v255, v138
	s_set_vgpr_msb 1                        ;  msbs: dst=0 src0=1 src1=0 src2=0
	v_dual_mul_f32 v21, v1 /*v257*/, v141 :: v_dual_mul_f32 v23, v7 /*v263*/, v143
	s_set_vgpr_msb 0                        ;  msbs: dst=0 src0=0 src1=0 src2=0
	v_dual_fma_f32 v19, v254, v138, -v19 :: v_dual_add_f32 v7, v7, v33
	v_add_f32_e32 v9, v9, v17
	s_set_vgpr_msb 1                        ;  msbs: dst=0 src0=1 src1=0 src2=0
	v_dual_mul_f32 v17, v17 /*v273*/, v153 :: v_dual_fma_f32 v21, v0 /*v256*/, v140, -v21
	v_fmac_f32_e32 v37, v1 /*v257*/, v140
	s_set_vgpr_msb 0                        ;  msbs: dst=0 src0=0 src1=0 src2=0
	v_add_f32_e32 v7, v7, v35
	v_add_f32_e32 v9, v9, v19
	s_set_vgpr_msb 1                        ;  msbs: dst=0 src0=1 src1=0 src2=0
	v_dual_mul_f32 v41, v8 /*v264*/, v145 :: v_dual_mul_f32 v43, v10 /*v266*/, v147
	v_dual_mul_f32 v25, v9 /*v265*/, v145 :: v_dual_mul_f32 v11, v11 /*v267*/, v147
	v_mul_f32_e32 v19, v19 /*v275*/, v155
	v_fmac_f32_e32 v39, v7 /*v263*/, v142
	s_delay_alu instid0(VALU_DEP_4)
	v_dual_fma_f32 v23, v6 /*v262*/, v142, -v23 :: v_dual_fmac_f32 v41, v9 /*v265*/, v144
	s_set_vgpr_msb 0                        ;  msbs: dst=0 src0=0 src1=0 src2=0
	v_add_f32_e32 v7, v7, v37
	v_add_f32_e32 v9, v9, v21
	s_set_vgpr_msb 1                        ;  msbs: dst=0 src0=1 src1=0 src2=0
	v_dual_mul_f32 v21, v21 /*v277*/, v157 :: v_dual_fma_f32 v25, v8 /*v264*/, v144, -v25
	v_dual_mul_f32 v45, v12 /*v268*/, v149 :: v_dual_mul_f32 v47, v14 /*v270*/, v151
	s_set_vgpr_msb 0                        ;  msbs: dst=0 src0=0 src1=0 src2=0
	v_add_f32_e32 v7, v7, v39
	v_add_f32_e32 v9, v9, v23
	s_set_vgpr_msb 1                        ;  msbs: dst=0 src0=1 src1=0 src2=0
	v_dual_mul_f32 v13, v13 /*v269*/, v149 :: v_dual_mul_f32 v15, v15 /*v271*/, v151
	v_mul_f32_e32 v23, v23 /*v279*/, v159
	v_fmac_f32_e32 v43, v11 /*v267*/, v146
	v_dual_fma_f32 v11, v10 /*v266*/, v146, -v11 :: v_dual_fmac_f32 v45, v13 /*v269*/, v148
	s_set_vgpr_msb 0                        ;  msbs: dst=0 src0=0 src1=0 src2=0
	v_add_f32_e32 v7, v7, v41
	v_add_f32_e32 v9, v9, v25
	s_set_vgpr_msb 1                        ;  msbs: dst=0 src0=1 src1=0 src2=0
	v_dual_mul_f32 v25, v25 /*v281*/, v161 :: v_dual_fma_f32 v13, v12 /*v268*/, v148, -v13
	v_dual_mul_f32 v49, v16 /*v272*/, v153 :: v_dual_mul_f32 v51, v18 /*v274*/, v155
	s_set_vgpr_msb 0                        ;  msbs: dst=0 src0=0 src1=0 src2=0
	v_add_f32_e32 v7, v7, v43
	v_add_f32_e32 v9, v9, v11
	s_set_vgpr_msb 1                        ;  msbs: dst=0 src0=1 src1=0 src2=0
	v_mul_f32_e32 v11, v27 /*v283*/, v163
	v_fmac_f32_e32 v47, v15 /*v271*/, v150
	v_dual_fma_f32 v15, v14 /*v270*/, v150, -v15 :: v_dual_fmac_f32 v49, v17 /*v273*/, v152
	s_set_vgpr_msb 0                        ;  msbs: dst=0 src0=0 src1=0 src2=0
	v_add_f32_e32 v7, v7, v45
	v_add_f32_e32 v9, v9, v13
	s_set_vgpr_msb 1                        ;  msbs: dst=0 src0=1 src1=0 src2=0
	v_dual_mul_f32 v13, v29 /*v285*/, v165 :: v_dual_fma_f32 v17, v16 /*v272*/, v152, -v17
	v_dual_mul_f32 v53, v20 /*v276*/, v157 :: v_dual_mul_f32 v55, v22 /*v278*/, v159
	s_set_vgpr_msb 0                        ;  msbs: dst=0 src0=0 src1=0 src2=0
	v_add_f32_e32 v7, v7, v47
	v_add_f32_e32 v9, v9, v15
	s_set_vgpr_msb 1                        ;  msbs: dst=0 src0=1 src1=0 src2=0
	;; [unrolled: 13-line block ×7, first 2 shown]
	v_mul_f32_e32 v19, v51 /*v307*/, v187
	v_fmac_f32_e32 v71, v39 /*v295*/, v174
	v_dual_fma_f32 v23, v38 /*v294*/, v174, -v23 :: v_dual_fmac_f32 v73, v41 /*v297*/, v176
	s_set_vgpr_msb 0                        ;  msbs: dst=0 src0=0 src1=0 src2=0
	v_add_f32_e32 v7, v7, v69
	v_add_f32_e32 v9, v9, v21
	s_set_vgpr_msb 1                        ;  msbs: dst=0 src0=1 src1=0 src2=0
	v_dual_mul_f32 v21, v53 /*v309*/, v189 :: v_dual_fma_f32 v25, v40 /*v296*/, v176, -v25
	v_fmac_f32_e32 v75, v43 /*v299*/, v178
	s_set_vgpr_msb 0                        ;  msbs: dst=0 src0=0 src1=0 src2=0
	v_add_f32_e32 v7, v7, v71
	v_add_f32_e32 v9, v9, v23
	s_set_vgpr_msb 1                        ;  msbs: dst=0 src0=1 src1=0 src2=0
	v_dual_mul_f32 v77, v44 /*v300*/, v181 :: v_dual_mul_f32 v79, v46 /*v302*/, v183
	v_fma_f32 v11, v42 /*v298*/, v178, -v11
	s_set_vgpr_msb 0                        ;  msbs: dst=0 src0=0 src1=0 src2=0
	v_add_f32_e32 v7, v7, v73
	v_dual_mul_f32 v23, v227, v191 :: v_dual_add_f32 v9, v9, v25
	v_mul_f32_e32 v25, v229, v193
	s_set_vgpr_msb 1                        ;  msbs: dst=0 src0=1 src1=0 src2=0
	v_fmac_f32_e32 v77, v45 /*v301*/, v180
	v_dual_fma_f32 v13, v44 /*v300*/, v180, -v13 :: v_dual_fmac_f32 v79, v47 /*v303*/, v182
	s_set_vgpr_msb 0                        ;  msbs: dst=0 src0=0 src1=0 src2=0
	v_add_f32_e32 v7, v7, v75
	v_add_f32_e32 v9, v9, v11
	s_set_vgpr_msb 1                        ;  msbs: dst=0 src0=1 src1=0 src2=0
	v_dual_mul_f32 v81, v48 /*v304*/, v185 :: v_dual_mul_f32 v83, v50 /*v306*/, v187
	v_fma_f32 v15, v46 /*v302*/, v182, -v15
	s_set_vgpr_msb 0                        ;  msbs: dst=0 src0=0 src1=0 src2=0
	v_add_f32_e32 v7, v7, v77
	s_wait_loadcnt 0x5
	v_dual_mul_f32 v11, v231, v195 :: v_dual_add_f32 v9, v9, v13
	v_mov_b32_e32 v110, v197
	s_set_vgpr_msb 1                        ;  msbs: dst=0 src0=1 src1=0 src2=0
	v_fmac_f32_e32 v81, v49 /*v305*/, v184
	v_dual_fma_f32 v13, v48 /*v304*/, v184, -v17 :: v_dual_fmac_f32 v83, v51 /*v307*/, v186
	s_set_vgpr_msb 0                        ;  msbs: dst=0 src0=0 src1=0 src2=0
	v_add_f32_e32 v7, v7, v79
	v_add_f32_e32 v9, v9, v15
	s_set_vgpr_msb 1                        ;  msbs: dst=0 src0=1 src1=0 src2=0
	v_dual_fma_f32 v15, v50 /*v306*/, v186, -v19 :: v_dual_fmac_f32 v85, v53 /*v309*/, v188
	s_set_vgpr_msb 64                       ;  msbs: dst=1 src0=0 src1=0 src2=0
	v_dual_mul_f32 v69 /*v325*/, v228, v193 :: v_dual_mul_f32 v71 /*v327*/, v230, v195
	s_set_vgpr_msb 0                        ;  msbs: dst=0 src0=0 src1=0 src2=0
	v_add_f32_e32 v7, v7, v81
	v_add_f32_e32 v9, v9, v13
	s_set_vgpr_msb 1                        ;  msbs: dst=0 src0=1 src1=0 src2=0
	v_fma_f32 v13, v52 /*v308*/, v188, -v21
	s_wait_loadcnt 0x4
	s_set_vgpr_msb 0                        ;  msbs: dst=0 src0=0 src1=0 src2=0
	v_dual_mov_b32 v114, v201 :: v_dual_fmac_f32 v87, v227, v190
	v_add_f32_e32 v7, v7, v83
	v_dual_add_f32 v9, v9, v15 :: v_dual_fma_f32 v15, v226, v190, -v23
	s_set_vgpr_msb 64                       ;  msbs: dst=1 src0=0 src1=0 src2=0
	v_dual_fmac_f32 v69 /*v325*/, v229, v192 :: v_dual_fmac_f32 v71 /*v327*/, v231, v194
	v_dual_fma_f32 v68 /*v324*/, v228, v192, -v25 :: v_dual_fma_f32 v70 /*v326*/, v230, v194, -v11
	s_set_vgpr_msb 0                        ;  msbs: dst=0 src0=0 src1=0 src2=0
	v_add_f32_e32 v9, v9, v13
	v_add_f32_e32 v7, v7, v85
	s_set_vgpr_msb 1                        ;  msbs: dst=0 src0=1 src1=0 src2=0
	v_pk_mul_f32 v[110:111], v[60:61] /*v[316:317]*/, v[110:111] op_sel_hi:[1,0]
	s_set_vgpr_msb 0                        ;  msbs: dst=0 src0=0 src1=0 src2=0
	v_pk_mul_f32 v[112:113], v[242:243], v[198:199] op_sel:[1,1] op_sel_hi:[0,1]
	s_set_vgpr_msb 1                        ;  msbs: dst=0 src0=1 src1=0 src2=0
	v_pk_mul_f32 v[114:115], v[62:63] /*v[318:319]*/, v[114:115] op_sel_hi:[1,0]
	s_set_vgpr_msb 0                        ;  msbs: dst=0 src0=0 src1=0 src2=0
	v_add_f32_e32 v118, v9, v15
	v_add_f32_e32 v119, v7, v87
	v_pk_fma_f32 v[122:123], v[232:233], v[196:197], v[110:111] op_sel_hi:[1,0,1]
	v_pk_fma_f32 v[110:111], v[232:233], v[196:197], v[110:111] neg_lo:[0,0,1] neg_hi:[0,0,1]
	s_wait_loadcnt 0x3
	v_mov_b32_e32 v120, v205
	v_pk_fma_f32 v[124:125], v[242:243], v[198:199], v[112:113] op_sel_hi:[1,0,1]
	s_set_vgpr_msb 4                        ;  msbs: dst=0 src0=0 src1=1 src2=0
	v_pk_add_f32 v[118:119], v[118:119], v[68:69] /*v[324:325]*/
	v_mov_b32_e32 v111, v123
	s_set_vgpr_msb 0                        ;  msbs: dst=0 src0=0 src1=0 src2=0
	v_pk_fma_f32 v[112:113], v[242:243], v[198:199], v[112:113] neg_lo:[0,0,1] neg_hi:[0,0,1]
	v_pk_mul_f32 v[116:117], v[246:247], v[202:203] op_sel:[1,1] op_sel_hi:[0,1]
	v_mov_b32_e32 v113, v125
	s_set_vgpr_msb 4                        ;  msbs: dst=0 src0=0 src1=1 src2=0
	v_pk_add_f32 v[118:119], v[118:119], v[70:71] /*v[326:327]*/
	s_set_vgpr_msb 0                        ;  msbs: dst=0 src0=0 src1=0 src2=0
	v_pk_fma_f32 v[124:125], v[244:245], v[200:201], v[114:115] op_sel_hi:[1,0,1]
	v_pk_fma_f32 v[114:115], v[244:245], v[200:201], v[114:115] neg_lo:[0,0,1] neg_hi:[0,0,1]
	s_set_vgpr_msb 1                        ;  msbs: dst=0 src0=1 src1=0 src2=0
	v_pk_mul_f32 v[120:121], v[64:65] /*v[320:321]*/, v[120:121] op_sel_hi:[1,0]
	s_wait_loadcnt 0x2
	v_pk_mul_f32 v[122:123], v[2:3] /*v[258:259]*/, v[206:207] op_sel:[1,1] op_sel_hi:[0,1]
	s_set_vgpr_msb 0                        ;  msbs: dst=0 src0=0 src1=0 src2=0
	v_pk_add_f32 v[110:111], v[118:119], v[110:111]
	v_pk_fma_f32 v[118:119], v[246:247], v[202:203], v[116:117] op_sel_hi:[1,0,1]
	v_mov_b32_e32 v115, v125
	v_pk_fma_f32 v[116:117], v[246:247], v[202:203], v[116:117] neg_lo:[0,0,1] neg_hi:[0,0,1]
	s_delay_alu instid0(VALU_DEP_4) | instskip(NEXT) | instid1(VALU_DEP_4)
	v_pk_add_f32 v[110:111], v[110:111], v[112:113]
	v_dual_mov_b32 v112, v209 :: v_dual_mov_b32 v117, v119
	v_pk_fma_f32 v[118:119], v[248:249], v[204:205], v[120:121] op_sel_hi:[1,0,1]
	v_pk_fma_f32 v[120:121], v[248:249], v[204:205], v[120:121] neg_lo:[0,0,1] neg_hi:[0,0,1]
	s_delay_alu instid0(VALU_DEP_4)
	v_pk_add_f32 v[110:111], v[110:111], v[114:115]
	s_set_vgpr_msb 1                        ;  msbs: dst=0 src0=1 src1=0 src2=0
	v_pk_fma_f32 v[114:115], v[2:3] /*v[258:259]*/, v[206:207], v[122:123] op_sel_hi:[1,0,1]
	v_pk_mul_f32 v[112:113], v[66:67] /*v[322:323]*/, v[112:113] op_sel_hi:[1,0]
	s_set_vgpr_msb 0                        ;  msbs: dst=0 src0=0 src1=0 src2=0
	v_mov_b32_e32 v121, v119
	s_wait_loadcnt_dscnt 0x100
	s_set_vgpr_msb 5                        ;  msbs: dst=0 src0=1 src1=1 src2=0
	v_pk_mul_f32 v[118:119], v[58:59] /*v[314:315]*/, v[54:55] /*v[310:311]*/ op_sel:[1,1] op_sel_hi:[0,1]
	s_set_vgpr_msb 0                        ;  msbs: dst=0 src0=0 src1=0 src2=0
	v_pk_add_f32 v[110:111], v[110:111], v[116:117]
	s_set_vgpr_msb 1                        ;  msbs: dst=0 src0=1 src1=0 src2=0
	v_pk_fma_f32 v[116:117], v[2:3] /*v[258:259]*/, v[206:207], v[122:123] neg_lo:[0,0,1] neg_hi:[0,0,1]
	s_set_vgpr_msb 0                        ;  msbs: dst=0 src0=0 src1=0 src2=0
	v_mov_b32_e32 v117, v115
	s_set_vgpr_msb 1                        ;  msbs: dst=0 src0=1 src1=0 src2=0
	v_pk_fma_f32 v[114:115], v[4:5] /*v[260:261]*/, v[208:209], v[112:113] op_sel_hi:[1,0,1]
	v_pk_fma_f32 v[112:113], v[4:5] /*v[260:261]*/, v[208:209], v[112:113] neg_lo:[0,0,1] neg_hi:[0,0,1]
	s_set_vgpr_msb 0                        ;  msbs: dst=0 src0=0 src1=0 src2=0
	v_pk_add_f32 v[110:111], v[110:111], v[120:121]
	s_delay_alu instid0(VALU_DEP_3)
	v_mov_b32_e32 v113, v115
	s_set_vgpr_msb 5                        ;  msbs: dst=0 src0=1 src1=1 src2=0
	v_pk_fma_f32 v[114:115], v[58:59] /*v[314:315]*/, v[54:55] /*v[310:311]*/, v[118:119] op_sel_hi:[1,0,1]
	s_set_vgpr_msb 0                        ;  msbs: dst=0 src0=0 src1=0 src2=0
	v_pk_add_f32 v[110:111], v[110:111], v[116:117]
	s_set_vgpr_msb 5                        ;  msbs: dst=0 src0=1 src1=1 src2=0
	v_pk_fma_f32 v[116:117], v[58:59] /*v[314:315]*/, v[54:55] /*v[310:311]*/, v[118:119] neg_lo:[0,0,1] neg_hi:[0,0,1]
	s_set_vgpr_msb 0                        ;  msbs: dst=0 src0=0 src1=0 src2=0
	v_mov_b32_e32 v117, v115
	v_pk_add_f32 v[110:111], v[110:111], v[112:113]
	s_delay_alu instid0(VALU_DEP_1) | instskip(SKIP_2) | instid1(VALU_DEP_1)
	v_pk_add_f32 v[110:111], v[110:111], v[116:117]
	s_wait_loadcnt 0x0
	s_set_vgpr_msb 1                        ;  msbs: dst=0 src0=1 src1=0 src2=0
	v_pk_add_f32 v[110:111], v[56:57] /*v[312:313]*/, v[110:111] neg_lo:[0,1] neg_hi:[0,1]
	scratch_store_b64 off, v[110:111], off offset:16
	s_wait_xcnt 0x0
	v_cmpx_lt_u32_e32 1, v0
	s_set_vgpr_msb 0                        ;  msbs: dst=0 src0=0 src1=0 src2=0
	s_cbranch_execz .LBB53_335
; %bb.334:
	scratch_load_b64 v[110:111], off, off offset:8
	v_mov_b64_e32 v[112:113], 0
	scratch_store_b64 off, v[112:113], off offset:8
	s_wait_loadcnt 0x0
	ds_store_b64 v1, v[110:111]
.LBB53_335:
	s_wait_xcnt 0x0
	s_or_b32 exec_lo, exec_lo, s0
	s_wait_storecnt_dscnt 0x0
	s_barrier_signal -1
	s_barrier_wait -1
	s_clause 0x18
	scratch_load_b128 v[110:113], off, off offset:16
	scratch_load_b128 v[114:117], off, off offset:32
	;; [unrolled: 1-line block ×25, first 2 shown]
	ds_load_b128 v[210:213], v89 offset:448
	ds_load_b128 v[214:217], v89 offset:464
	scratch_load_b128 v[218:221], off, off offset:416
	ds_load_b128 v[222:225], v89 offset:480
	ds_load_b128 v[226:229], v89 offset:496
	;; [unrolled: 1-line block ×8, first 2 shown]
	v_ashrrev_i32_e32 v87, 31, v86
	s_set_vgpr_msb 64                       ;  msbs: dst=1 src0=0 src1=0 src2=0
	scratch_load_b64 v[62:63] /*v[318:319]*/, off, off offset:8
	s_set_vgpr_msb 0                        ;  msbs: dst=0 src0=0 src1=0 src2=0
	ds_load_b128 v[254:257], v89 offset:832
	s_set_vgpr_msb 64                       ;  msbs: dst=1 src0=0 src1=0 src2=0
	ds_load_b128 v[2:5] /*v[258:261]*/, v89 offset:848
	ds_load_b128 v[6:9] /*v[262:265]*/, v89 offset:576
	;; [unrolled: 1-line block ×15, first 2 shown]
	s_set_vgpr_msb 0                        ;  msbs: dst=0 src0=0 src1=0 src2=0
	v_dual_ashrrev_i32 v7, 31, v6 :: v_dual_ashrrev_i32 v9, 31, v8
	v_dual_ashrrev_i32 v11, 31, v10 :: v_dual_ashrrev_i32 v13, 31, v12
	s_wait_dscnt 0xf
	s_set_vgpr_msb 0x41                     ;  msbs: dst=1 src0=1 src1=0 src2=0
	v_dual_mov_b32 v68 /*v324*/, v1 /*v257*/ :: v_dual_mov_b32 v69 /*v325*/, v0 /*v256*/
	s_wait_dscnt 0xe
	v_dual_mov_b32 v70 /*v326*/, v5 /*v261*/ :: v_dual_mov_b32 v71 /*v327*/, v4 /*v260*/
	s_set_vgpr_msb 0                        ;  msbs: dst=0 src0=0 src1=0 src2=0
	v_dual_ashrrev_i32 v15, 31, v14 :: v_dual_ashrrev_i32 v17, 31, v16
	v_dual_ashrrev_i32 v19, 31, v18 :: v_dual_ashrrev_i32 v21, 31, v20
	;; [unrolled: 1-line block ×3, first 2 shown]
	s_set_vgpr_msb 64                       ;  msbs: dst=1 src0=0 src1=0 src2=0
	v_dual_mov_b32 v64 /*v320*/, v241 :: v_dual_mov_b32 v65 /*v321*/, v240
	v_dual_mov_b32 v66 /*v322*/, v253 :: v_dual_mov_b32 v67 /*v323*/, v252
	s_set_vgpr_msb 0                        ;  msbs: dst=0 src0=0 src1=0 src2=0
	v_dual_ashrrev_i32 v27, 31, v26 :: v_dual_ashrrev_i32 v29, 31, v28
	v_dual_ashrrev_i32 v31, 31, v30 :: v_dual_ashrrev_i32 v33, 31, v32
	;; [unrolled: 1-line block ×15, first 2 shown]
	s_mov_b32 s0, exec_lo
	s_wait_loadcnt 0x19
	v_dual_mul_f32 v89, v210, v111 :: v_dual_mul_f32 v95, v216, v117
	v_dual_mul_f32 v97, v211, v111 :: v_dual_mul_f32 v91, v212, v113
	;; [unrolled: 1-line block ×3, first 2 shown]
	v_mul_f32_e32 v101, v215, v115
	s_delay_alu instid0(VALU_DEP_3) | instskip(NEXT) | instid1(VALU_DEP_3)
	v_dual_fmac_f32 v89, v211, v110 :: v_dual_fmac_f32 v91, v213, v112
	v_dual_fma_f32 v97, v210, v110, -v97 :: v_dual_fma_f32 v99, v212, v112, -v99
	s_wait_loadcnt 0x17
	v_dual_mul_f32 v110, v228, v125 :: v_dual_mul_f32 v111, v223, v119
	v_mul_f32_e32 v115, v229, v125
	v_dual_mul_f32 v103, v217, v117 :: v_dual_mul_f32 v105, v222, v119
	v_dual_mul_f32 v112, v225, v121 :: v_dual_mul_f32 v113, v227, v123
	s_wait_loadcnt 0x16
	v_dual_mul_f32 v117, v230, v127 :: v_dual_fmac_f32 v110, v229, v124
	v_dual_fma_f32 v115, v228, v124, -v115 :: v_dual_add_f32 v89, 0, v89
	s_wait_loadcnt_dscnt 0x120d
	s_set_vgpr_msb 1                        ;  msbs: dst=0 src0=1 src1=0 src2=0
	v_dual_mul_f32 v124, v7 /*v263*/, v143 :: v_dual_add_f32 v97, 0, v97
	s_set_vgpr_msb 0                        ;  msbs: dst=0 src0=0 src1=0 src2=0
	v_dual_mul_f32 v107, v224, v121 :: v_dual_mul_f32 v109, v226, v123
	v_dual_fma_f32 v101, v214, v114, -v101 :: v_dual_fma_f32 v103, v216, v116, -v103
	v_dual_mul_f32 v119, v236, v133 :: v_dual_mul_f32 v121, v231, v127
	v_dual_add_f32 v97, v97, v99 :: v_dual_fmac_f32 v93, v215, v114
	v_dual_fmac_f32 v95, v217, v116 :: v_dual_mul_f32 v114, v232, v129
	s_delay_alu instid0(VALU_DEP_2) | instskip(SKIP_3) | instid1(VALU_DEP_4)
	v_dual_mul_f32 v116, v234, v131 :: v_dual_add_f32 v97, v97, v101
	v_dual_mul_f32 v123, v233, v129 :: v_dual_mul_f32 v125, v235, v131
	v_dual_mul_f32 v127, v237, v133 :: v_dual_mul_f32 v129, v242, v135
	v_dual_fma_f32 v111, v222, v118, -v111 :: v_dual_fma_f32 v112, v224, v120, -v112
	v_dual_fmac_f32 v116, v235, v130 :: v_dual_add_f32 v97, v97, v103
	v_dual_fmac_f32 v105, v223, v118 :: v_dual_fmac_f32 v107, v225, v120
	v_dual_mul_f32 v118, v244, v137 :: v_dual_mul_f32 v120, v243, v135
	s_delay_alu instid0(VALU_DEP_3) | instskip(SKIP_2) | instid1(VALU_DEP_3)
	v_add_f32_e32 v97, v97, v111
	v_dual_mul_f32 v131, v245, v137 :: v_dual_mul_f32 v133, v246, v139
	v_dual_fma_f32 v113, v226, v122, -v113 :: v_dual_add_f32 v89, v89, v91
	v_dual_fmac_f32 v117, v231, v126 :: v_dual_add_f32 v97, v97, v112
	s_delay_alu instid0(VALU_DEP_3) | instskip(NEXT) | instid1(VALU_DEP_3)
	v_fmac_f32_e32 v133, v247, v138
	v_dual_fma_f32 v111, v230, v126, -v121 :: v_dual_add_f32 v89, v89, v93
	s_delay_alu instid0(VALU_DEP_3) | instskip(SKIP_2) | instid1(VALU_DEP_4)
	v_dual_fma_f32 v121, v232, v128, -v123 :: v_dual_add_f32 v97, v97, v113
	v_fma_f32 v113, v236, v132, -v127
	v_dual_mul_f32 v135, v248, v141 :: v_dual_mul_f32 v137, v247, v139
	v_add_f32_e32 v89, v89, v95
	s_delay_alu instid0(VALU_DEP_4)
	v_add_f32_e32 v97, v97, v115
	v_dual_mul_f32 v139, v249, v141 :: v_dual_fmac_f32 v109, v227, v122
	v_fmac_f32_e32 v129, v243, v134
	s_wait_loadcnt_dscnt 0x100b
	s_set_vgpr_msb 1                        ;  msbs: dst=0 src0=1 src1=0 src2=0
	v_mul_f32_e32 v101, v16 /*v272*/, v153
	s_set_vgpr_msb 0                        ;  msbs: dst=0 src0=0 src1=0 src2=0
	v_dual_add_f32 v97, v97, v111 :: v_dual_fma_f32 v111, v234, v130, -v125
	v_add_f32_e32 v89, v89, v105
	s_wait_loadcnt_dscnt 0xf0a
	s_set_vgpr_msb 1                        ;  msbs: dst=0 src0=1 src1=0 src2=0
	v_dual_mul_f32 v95, v17 /*v273*/, v153 :: v_dual_mul_f32 v103, v18 /*v274*/, v155
	s_set_vgpr_msb 0                        ;  msbs: dst=0 src0=0 src1=0 src2=0
	v_add_f32_e32 v97, v97, v121
	s_set_vgpr_msb 1                        ;  msbs: dst=0 src0=1 src1=0 src2=0
	v_dual_mul_f32 v141, v6 /*v262*/, v143 :: v_dual_mul_f32 v122, v8 /*v264*/, v145
	s_set_vgpr_msb 0                        ;  msbs: dst=0 src0=0 src1=0 src2=0
	v_add_f32_e32 v89, v89, v107
	s_set_vgpr_msb 1                        ;  msbs: dst=0 src0=1 src1=0 src2=0
	v_dual_mul_f32 v143, v9 /*v265*/, v145 :: v_dual_mul_f32 v145, v10 /*v266*/, v147
	s_set_vgpr_msb 0                        ;  msbs: dst=0 src0=0 src1=0 src2=0
	v_dual_add_f32 v97, v97, v111 :: v_dual_fma_f32 v111, v242, v134, -v120
	s_set_vgpr_msb 1                        ;  msbs: dst=0 src0=1 src1=0 src2=0
	v_dual_mul_f32 v91, v12 /*v268*/, v149 :: v_dual_mul_f32 v99, v11 /*v267*/, v147
	v_dual_mul_f32 v147, v13 /*v269*/, v149 :: v_dual_mul_f32 v93, v14 /*v270*/, v151
	s_set_vgpr_msb 0                        ;  msbs: dst=0 src0=0 src1=0 src2=0
	v_dual_add_f32 v97, v97, v113 :: v_dual_fma_f32 v113, v244, v136, -v131
	v_add_f32_e32 v89, v89, v109
	s_set_vgpr_msb 1                        ;  msbs: dst=0 src0=1 src1=0 src2=0
	v_dual_mul_f32 v149, v15 /*v271*/, v151 :: v_dual_fmac_f32 v101, v17 /*v273*/, v152
	v_fma_f32 v95, v16 /*v272*/, v152, -v95
	s_set_vgpr_msb 0                        ;  msbs: dst=0 src0=0 src1=0 src2=0
	v_add_f32_e32 v97, v97, v111
	v_dual_fmac_f32 v114, v233, v128 :: v_dual_fma_f32 v111, v246, v138, -v137
	v_fmac_f32_e32 v119, v237, v132
	v_fmac_f32_e32 v118, v245, v136
	s_delay_alu instid0(VALU_DEP_4)
	v_dual_add_f32 v97, v97, v113 :: v_dual_fma_f32 v113, v248, v140, -v139
	v_add_f32_e32 v89, v89, v110
	v_fmac_f32_e32 v135, v249, v140
	s_wait_loadcnt_dscnt 0xe09
	s_set_vgpr_msb 1                        ;  msbs: dst=0 src0=1 src1=0 src2=0
	v_dual_mul_f32 v121, v25 /*v281*/, v161 :: v_dual_fmac_f32 v141, v7 /*v263*/, v142
	s_set_vgpr_msb 0                        ;  msbs: dst=0 src0=0 src1=0 src2=0
	v_add_f32_e32 v97, v97, v111
	v_add_f32_e32 v89, v89, v117
	s_set_vgpr_msb 1                        ;  msbs: dst=0 src0=1 src1=0 src2=0
	v_dual_fma_f32 v111, v6 /*v262*/, v142, -v124 :: v_dual_fmac_f32 v122, v9 /*v265*/, v144
	s_wait_loadcnt_dscnt 0x601
	v_dual_mul_f32 v125, v56 /*v312*/, v193 :: v_dual_fmac_f32 v145, v11 /*v267*/, v146
	s_set_vgpr_msb 0                        ;  msbs: dst=0 src0=0 src1=0 src2=0
	v_add_f32_e32 v89, v89, v114
	v_add_f32_e32 v97, v97, v113
	s_set_vgpr_msb 1                        ;  msbs: dst=0 src0=1 src1=0 src2=0
	v_dual_fmac_f32 v91, v13 /*v269*/, v148 :: v_dual_mul_f32 v151, v20 /*v276*/, v157
	v_mul_f32_e32 v105, v19 /*v275*/, v155
	s_set_vgpr_msb 0                        ;  msbs: dst=0 src0=0 src1=0 src2=0
	v_add_f32_e32 v89, v89, v116
	v_add_f32_e32 v97, v97, v111
	s_wait_loadcnt_dscnt 0x500
	s_set_vgpr_msb 1                        ;  msbs: dst=0 src0=1 src1=0 src2=0
	v_dual_mul_f32 v111, v58 /*v314*/, v195 :: v_dual_mul_f32 v153, v21 /*v277*/, v157
	v_mul_f32_e32 v155, v22 /*v278*/, v159
	s_set_vgpr_msb 0                        ;  msbs: dst=0 src0=0 src1=0 src2=0
	v_add_f32_e32 v89, v89, v119
	s_set_vgpr_msb 1                        ;  msbs: dst=0 src0=1 src1=0 src2=0
	v_dual_fmac_f32 v151, v21 /*v277*/, v156 :: v_dual_mul_f32 v107, v24 /*v280*/, v161
	v_dual_mul_f32 v112, v26 /*v282*/, v163 :: v_dual_fmac_f32 v93, v15 /*v271*/, v150
	s_set_vgpr_msb 0                        ;  msbs: dst=0 src0=0 src1=0 src2=0
	v_add_f32_e32 v89, v89, v129
	s_set_vgpr_msb 1                        ;  msbs: dst=0 src0=1 src1=0 src2=0
	v_fmac_f32_e32 v155, v23 /*v279*/, v158
	v_dual_fmac_f32 v107, v25 /*v281*/, v160 :: v_dual_fmac_f32 v112, v27 /*v283*/, v162
	v_dual_mul_f32 v123, v28 /*v284*/, v165 :: v_dual_mul_f32 v126, v30 /*v286*/, v167
	s_set_vgpr_msb 0                        ;  msbs: dst=0 src0=0 src1=0 src2=0
	v_add_f32_e32 v89, v89, v118
	s_set_vgpr_msb 1                        ;  msbs: dst=0 src0=1 src1=0 src2=0
	v_dual_mul_f32 v109, v32 /*v288*/, v169 :: v_dual_mul_f32 v128, v34 /*v290*/, v171
	v_dual_mul_f32 v157, v36 /*v292*/, v173 :: v_dual_mul_f32 v110, v38 /*v294*/, v175
	s_set_vgpr_msb 0                        ;  msbs: dst=0 src0=0 src1=0 src2=0
	v_add_f32_e32 v89, v89, v133
	s_set_vgpr_msb 1                        ;  msbs: dst=0 src0=1 src1=0 src2=0
	v_dual_fmac_f32 v126, v31 /*v287*/, v166 :: v_dual_fmac_f32 v109, v33 /*v289*/, v168
	v_fmac_f32_e32 v103, v19 /*v275*/, v154
	v_dual_fmac_f32 v128, v35 /*v291*/, v170 :: v_dual_fmac_f32 v157, v37 /*v293*/, v172
	s_set_vgpr_msb 0                        ;  msbs: dst=0 src0=0 src1=0 src2=0
	v_add_f32_e32 v89, v89, v135
	s_set_vgpr_msb 1                        ;  msbs: dst=0 src0=1 src1=0 src2=0
	v_dual_mul_f32 v115, v40 /*v296*/, v177 :: v_dual_mul_f32 v210, v42 /*v298*/, v179
	v_dual_fmac_f32 v110, v39 /*v295*/, v174 :: v_dual_mul_f32 v117, v44 /*v300*/, v181
	v_mul_f32_e32 v114, v46 /*v302*/, v183
	s_set_vgpr_msb 0                        ;  msbs: dst=0 src0=0 src1=0 src2=0
	v_add_f32_e32 v89, v89, v141
	s_set_vgpr_msb 1                        ;  msbs: dst=0 src0=1 src1=0 src2=0
	v_dual_fmac_f32 v115, v41 /*v297*/, v176 :: v_dual_fmac_f32 v210, v43 /*v299*/, v178
	v_dual_fmac_f32 v117, v45 /*v301*/, v180 :: v_dual_mul_f32 v116, v48 /*v304*/, v185
	v_mul_f32_e32 v119, v50 /*v306*/, v187
	s_set_vgpr_msb 0                        ;  msbs: dst=0 src0=0 src1=0 src2=0
	v_add_f32_e32 v89, v89, v122
	s_set_vgpr_msb 1                        ;  msbs: dst=0 src0=1 src1=0 src2=0
	v_dual_fma_f32 v122, v12 /*v268*/, v148, -v147 :: v_dual_fmac_f32 v114, v47 /*v303*/, v182
	v_dual_fmac_f32 v116, v49 /*v305*/, v184 :: v_dual_mul_f32 v120, v52 /*v308*/, v189
	v_mul_f32_e32 v118, v23 /*v279*/, v159
	s_set_vgpr_msb 0                        ;  msbs: dst=0 src0=0 src1=0 src2=0
	v_add_f32_e32 v89, v89, v145
	s_set_vgpr_msb 1                        ;  msbs: dst=0 src0=1 src1=0 src2=0
	v_dual_fmac_f32 v119, v51 /*v307*/, v186 :: v_dual_mul_f32 v124, v54 /*v310*/, v191
	v_fma_f32 v113, v8 /*v264*/, v144, -v143
	v_fmac_f32_e32 v120, v53 /*v309*/, v188
	s_set_vgpr_msb 0                        ;  msbs: dst=0 src0=0 src1=0 src2=0
	v_add_f32_e32 v89, v89, v91
	s_set_vgpr_msb 1                        ;  msbs: dst=0 src0=1 src1=0 src2=0
	v_fma_f32 v99, v10 /*v266*/, v146, -v99
	v_fmac_f32_e32 v124, v55 /*v311*/, v190
	s_set_vgpr_msb 0                        ;  msbs: dst=0 src0=0 src1=0 src2=0
	v_add_f32_e32 v97, v97, v113
	s_set_vgpr_msb 1                        ;  msbs: dst=0 src0=1 src1=0 src2=0
	v_fmac_f32_e32 v125, v57 /*v313*/, v192
	s_set_vgpr_msb 0                        ;  msbs: dst=0 src0=0 src1=0 src2=0
	v_add_f32_e32 v89, v89, v93
	s_set_vgpr_msb 1                        ;  msbs: dst=0 src0=1 src1=0 src2=0
	v_dual_mul_f32 v93, v29 /*v285*/, v165 :: v_dual_fmac_f32 v123, v29 /*v285*/, v164
	v_dual_mul_f32 v113, v60 /*v316*/, v197 :: v_dual_fmac_f32 v111, v59 /*v315*/, v194
	s_set_vgpr_msb 0                        ;  msbs: dst=0 src0=0 src1=0 src2=0
	v_add_f32_e32 v89, v89, v101
	s_set_vgpr_msb 1                        ;  msbs: dst=0 src0=1 src1=0 src2=0
	v_fma_f32 v101, v20 /*v276*/, v156, -v153
	v_fma_f32 v93, v28 /*v284*/, v164, -v93
	s_set_vgpr_msb 0                        ;  msbs: dst=0 src0=0 src1=0 src2=0
	v_add_f32_e32 v89, v89, v103
	s_set_vgpr_msb 1                        ;  msbs: dst=0 src0=1 src1=0 src2=0
	v_fma_f32 v103, v22 /*v278*/, v158, -v118
	s_set_vgpr_msb 0                        ;  msbs: dst=0 src0=0 src1=0 src2=0
	s_delay_alu instid0(VALU_DEP_2) | instskip(NEXT) | instid1(VALU_DEP_1)
	v_add_f32_e32 v89, v89, v151
	v_add_f32_e32 v89, v89, v155
	s_delay_alu instid0(VALU_DEP_1) | instskip(NEXT) | instid1(VALU_DEP_1)
	v_dual_add_f32 v89, v89, v107 :: v_dual_ashrrev_i32 v107, 31, v106
	v_add_f32_e32 v89, v89, v112
	s_delay_alu instid0(VALU_DEP_1) | instskip(NEXT) | instid1(VALU_DEP_1)
	v_add_f32_e32 v89, v89, v123
	v_add_f32_e32 v89, v89, v126
	s_delay_alu instid0(VALU_DEP_1) | instskip(NEXT) | instid1(VALU_DEP_1)
	v_dual_add_f32 v89, v89, v109 :: v_dual_ashrrev_i32 v109, 31, v108
	v_add_f32_e32 v89, v89, v128
	s_delay_alu instid0(VALU_DEP_1) | instskip(NEXT) | instid1(VALU_DEP_1)
	v_add_f32_e32 v89, v89, v157
	v_add_f32_e32 v89, v89, v110
	s_delay_alu instid0(VALU_DEP_1) | instskip(NEXT) | instid1(VALU_DEP_1)
	v_add_f32_e32 v89, v89, v115
	;; [unrolled: 3-line block ×3, first 2 shown]
	v_add_f32_e32 v89, v89, v114
	s_wait_loadcnt 0x4
	v_pk_mul_f32 v[114:115], v[238:239], v[198:199] op_sel:[1,1] op_sel_hi:[0,1]
	s_delay_alu instid0(VALU_DEP_2) | instskip(SKIP_1) | instid1(VALU_DEP_2)
	v_add_f32_e32 v89, v89, v116
	v_mov_b32_e32 v116, v201
	v_add_f32_e32 v89, v89, v119
	s_wait_loadcnt 0x3
	v_pk_mul_f32 v[118:119], v[250:251], v[202:203] op_sel:[1,1] op_sel_hi:[0,1]
	s_delay_alu instid0(VALU_DEP_2)
	v_add_f32_e32 v89, v89, v120
	v_mov_b32_e32 v120, v205
	s_set_vgpr_msb 1                        ;  msbs: dst=0 src0=1 src1=0 src2=0
	v_pk_mul_f32 v[116:117], v[64:65] /*v[320:321]*/, v[116:117] op_sel_hi:[1,0]
	s_set_vgpr_msb 0                        ;  msbs: dst=0 src0=0 src1=0 src2=0
	v_add_f32_e32 v89, v89, v124
	s_delay_alu instid0(VALU_DEP_1)
	v_dual_add_f32 v123, v89, v125 :: v_dual_ashrrev_i32 v89, 31, v88
	v_add_f32_e32 v97, v97, v99
	s_set_vgpr_msb 1                        ;  msbs: dst=0 src0=1 src1=0 src2=0
	v_fma_f32 v99, v14 /*v270*/, v150, -v149
	s_set_vgpr_msb 0                        ;  msbs: dst=0 src0=0 src1=0 src2=0
	v_pk_fma_f32 v[124:125], v[238:239], v[198:199], v[114:115] op_sel_hi:[1,0,1]
	v_pk_fma_f32 v[114:115], v[238:239], v[198:199], v[114:115] neg_lo:[0,0,1] neg_hi:[0,0,1]
	v_add_f32_e32 v91, v97, v122
	s_set_vgpr_msb 1                        ;  msbs: dst=0 src0=1 src1=0 src2=0
	v_mul_f32_e32 v97, v27 /*v283*/, v163
	s_set_vgpr_msb 0                        ;  msbs: dst=0 src0=0 src1=0 src2=0
	v_mov_b32_e32 v115, v125
	v_pk_fma_f32 v[124:125], v[240:241], v[200:201], v[116:117] op_sel_hi:[1,0,1]
	v_pk_fma_f32 v[116:117], v[240:241], v[200:201], v[116:117] neg_lo:[0,0,1] neg_hi:[0,0,1]
	v_add_f32_e32 v91, v91, v99
	s_set_vgpr_msb 1                        ;  msbs: dst=0 src0=1 src1=0 src2=0
	v_fma_f32 v99, v18 /*v274*/, v154, -v105
	v_fma_f32 v105, v24 /*v280*/, v160, -v121
	;; [unrolled: 1-line block ×3, first 2 shown]
	v_pk_mul_f32 v[120:121], v[66:67] /*v[322:323]*/, v[120:121] op_sel_hi:[1,0]
	s_set_vgpr_msb 0                        ;  msbs: dst=0 src0=0 src1=0 src2=0
	v_add_f32_e32 v91, v91, v95
	s_set_vgpr_msb 1                        ;  msbs: dst=0 src0=1 src1=0 src2=0
	v_mul_f32_e32 v95, v31 /*v287*/, v167
	s_set_vgpr_msb 0                        ;  msbs: dst=0 src0=0 src1=0 src2=0
	s_delay_alu instid0(VALU_DEP_2) | instskip(SKIP_1) | instid1(VALU_DEP_2)
	v_dual_mov_b32 v117, v125 :: v_dual_add_f32 v91, v91, v99
	s_set_vgpr_msb 1                        ;  msbs: dst=0 src0=1 src1=0 src2=0
	v_dual_mul_f32 v99, v33 /*v289*/, v169 :: v_dual_fma_f32 v95, v30 /*v286*/, v166, -v95
	s_set_vgpr_msb 0                        ;  msbs: dst=0 src0=0 src1=0 src2=0
	s_delay_alu instid0(VALU_DEP_2) | instskip(SKIP_1) | instid1(VALU_DEP_2)
	v_add_f32_e32 v91, v91, v101
	s_set_vgpr_msb 1                        ;  msbs: dst=0 src0=1 src1=0 src2=0
	v_dual_mul_f32 v101, v35 /*v291*/, v171 :: v_dual_fma_f32 v99, v32 /*v288*/, v168, -v99
	s_set_vgpr_msb 0                        ;  msbs: dst=0 src0=0 src1=0 src2=0
	s_delay_alu instid0(VALU_DEP_2) | instskip(SKIP_1) | instid1(VALU_DEP_2)
	v_add_f32_e32 v91, v91, v103
	;; [unrolled: 5-line block ×10, first 2 shown]
	s_set_vgpr_msb 1                        ;  msbs: dst=0 src0=1 src1=0 src2=0
	v_dual_mul_f32 v105, v53 /*v309*/, v189 :: v_dual_fma_f32 v103, v50 /*v306*/, v186, -v103
	s_set_vgpr_msb 0                        ;  msbs: dst=0 src0=0 src1=0 src2=0
	s_delay_alu instid0(VALU_DEP_2) | instskip(SKIP_3) | instid1(VALU_DEP_2)
	v_add_f32_e32 v91, v91, v97
	s_set_vgpr_msb 1                        ;  msbs: dst=0 src0=1 src1=0 src2=0
	v_mul_f32_e32 v97, v55 /*v311*/, v191
	s_set_vgpr_msb 0                        ;  msbs: dst=0 src0=0 src1=0 src2=0
	v_add_f32_e32 v91, v91, v93
	s_set_vgpr_msb 1                        ;  msbs: dst=0 src0=1 src1=0 src2=0
	s_delay_alu instid0(VALU_DEP_2) | instskip(SKIP_1) | instid1(VALU_DEP_2)
	v_dual_mul_f32 v93, v57 /*v313*/, v193 :: v_dual_fma_f32 v97, v54 /*v310*/, v190, -v97
	s_set_vgpr_msb 0                        ;  msbs: dst=0 src0=0 src1=0 src2=0
	v_add_f32_e32 v91, v91, v95
	s_set_vgpr_msb 1                        ;  msbs: dst=0 src0=1 src1=0 src2=0
	s_delay_alu instid0(VALU_DEP_2) | instskip(SKIP_1) | instid1(VALU_DEP_2)
	v_dual_mul_f32 v95, v59 /*v315*/, v195 :: v_dual_fma_f32 v93, v56 /*v312*/, v192, -v93
	s_set_vgpr_msb 0                        ;  msbs: dst=0 src0=0 src1=0 src2=0
	v_add_f32_e32 v91, v91, v99
	s_set_vgpr_msb 1                        ;  msbs: dst=0 src0=1 src1=0 src2=0
	s_delay_alu instid0(VALU_DEP_2)
	v_dual_mul_f32 v99, v61 /*v317*/, v197 :: v_dual_fma_f32 v110, v58 /*v314*/, v194, -v95
	v_dual_fmac_f32 v113, v61 /*v317*/, v196 :: v_dual_ashrrev_i32 v95, 31, v94
	s_set_vgpr_msb 0                        ;  msbs: dst=0 src0=0 src1=0 src2=0
	v_add_f32_e32 v91, v91, v101
	s_set_vgpr_msb 1                        ;  msbs: dst=0 src0=1 src1=0 src2=0
	v_fma_f32 v101, v52 /*v308*/, v188, -v105
	v_dual_fma_f32 v112, v60 /*v316*/, v196, -v99 :: v_dual_ashrrev_i32 v99, 31, v98
	s_set_vgpr_msb 0                        ;  msbs: dst=0 src0=0 src1=0 src2=0
	v_dual_ashrrev_i32 v105, 31, v104 :: v_dual_add_f32 v91, v91, v103
	s_delay_alu instid0(VALU_DEP_1) | instskip(NEXT) | instid1(VALU_DEP_1)
	v_dual_ashrrev_i32 v103, 31, v102 :: v_dual_add_f32 v91, v91, v101
	v_dual_ashrrev_i32 v101, 31, v100 :: v_dual_add_f32 v91, v91, v97
	s_delay_alu instid0(VALU_DEP_1) | instskip(SKIP_1) | instid1(VALU_DEP_2)
	v_dual_add_f32 v122, v91, v93 :: v_dual_ashrrev_i32 v97, 31, v96
	v_dual_ashrrev_i32 v91, 31, v90 :: v_dual_ashrrev_i32 v93, 31, v92
	v_pk_add_f32 v[110:111], v[122:123], v[110:111]
	s_wait_loadcnt 0x2
	v_pk_mul_f32 v[122:123], v[254:255], v[206:207] op_sel:[1,1] op_sel_hi:[0,1]
	s_delay_alu instid0(VALU_DEP_2) | instskip(SKIP_2) | instid1(VALU_DEP_3)
	v_pk_add_f32 v[110:111], v[110:111], v[112:113]
	v_pk_fma_f32 v[112:113], v[250:251], v[202:203], v[118:119] op_sel_hi:[1,0,1]
	v_mov_b32_e32 v112, v209
	v_pk_add_f32 v[110:111], v[110:111], v[114:115]
	v_pk_fma_f32 v[114:115], v[250:251], v[202:203], v[118:119] neg_lo:[0,0,1] neg_hi:[0,0,1]
	s_delay_alu instid0(VALU_DEP_4)
	v_mov_b32_e32 v115, v113
	v_pk_fma_f32 v[118:119], v[252:253], v[204:205], v[120:121] op_sel_hi:[1,0,1]
	s_set_vgpr_msb 1                        ;  msbs: dst=0 src0=1 src1=0 src2=0
	v_pk_mul_f32 v[112:113], v[68:69] /*v[324:325]*/, v[112:113] op_sel_hi:[1,0]
	s_set_vgpr_msb 0                        ;  msbs: dst=0 src0=0 src1=0 src2=0
	v_pk_add_f32 v[110:111], v[110:111], v[116:117]
	v_pk_fma_f32 v[116:117], v[254:255], v[206:207], v[122:123] op_sel_hi:[1,0,1]
	v_pk_fma_f32 v[120:121], v[252:253], v[204:205], v[120:121] neg_lo:[0,0,1] neg_hi:[0,0,1]
	v_mov_b32_e32 v121, v119
	v_pk_fma_f32 v[118:119], v[254:255], v[206:207], v[122:123] neg_lo:[0,0,1] neg_hi:[0,0,1]
	v_pk_add_f32 v[110:111], v[110:111], v[114:115]
	v_mov_b32_e32 v119, v117
	s_set_vgpr_msb 1                        ;  msbs: dst=0 src0=1 src1=0 src2=0
	v_pk_fma_f32 v[116:117], v[0:1] /*v[256:257]*/, v[208:209], v[112:113] op_sel_hi:[1,0,1]
	s_wait_loadcnt 0x1
	v_pk_mul_f32 v[114:115], v[2:3] /*v[258:259]*/, v[218:219] op_sel:[1,1] op_sel_hi:[0,1]
	s_set_vgpr_msb 0                        ;  msbs: dst=0 src0=0 src1=0 src2=0
	v_mov_b32_e32 v116, v221
	v_pk_add_f32 v[110:111], v[110:111], v[120:121]
	s_set_vgpr_msb 1                        ;  msbs: dst=0 src0=1 src1=0 src2=0
	v_pk_fma_f32 v[112:113], v[0:1] /*v[256:257]*/, v[208:209], v[112:113] neg_lo:[0,0,1] neg_hi:[0,0,1]
	v_pk_fma_f32 v[120:121], v[2:3] /*v[258:259]*/, v[218:219], v[114:115] op_sel_hi:[1,0,1]
	s_set_vgpr_msb 0                        ;  msbs: dst=0 src0=0 src1=0 src2=0
	v_mov_b32_e32 v113, v117
	v_pk_add_f32 v[110:111], v[110:111], v[118:119]
	s_set_vgpr_msb 1                        ;  msbs: dst=0 src0=1 src1=0 src2=0
	v_pk_mul_f32 v[116:117], v[70:71] /*v[326:327]*/, v[116:117] op_sel_hi:[1,0]
	v_pk_fma_f32 v[114:115], v[2:3] /*v[258:259]*/, v[218:219], v[114:115] neg_lo:[0,0,1] neg_hi:[0,0,1]
	s_set_vgpr_msb 0                        ;  msbs: dst=0 src0=0 src1=0 src2=0
	v_mov_b32_e32 v115, v121
	v_pk_add_f32 v[110:111], v[110:111], v[112:113]
	s_set_vgpr_msb 1                        ;  msbs: dst=0 src0=1 src1=0 src2=0
	v_pk_fma_f32 v[112:113], v[4:5] /*v[260:261]*/, v[220:221], v[116:117] op_sel_hi:[1,0,1]
	v_pk_fma_f32 v[116:117], v[4:5] /*v[260:261]*/, v[220:221], v[116:117] neg_lo:[0,0,1] neg_hi:[0,0,1]
	s_set_vgpr_msb 0                        ;  msbs: dst=0 src0=0 src1=0 src2=0
	v_pk_add_f32 v[110:111], v[110:111], v[114:115]
	s_delay_alu instid0(VALU_DEP_3) | instskip(NEXT) | instid1(VALU_DEP_1)
	v_mov_b32_e32 v117, v113
	v_pk_add_f32 v[110:111], v[110:111], v[116:117]
	s_wait_loadcnt 0x0
	s_set_vgpr_msb 1                        ;  msbs: dst=0 src0=1 src1=0 src2=0
	s_delay_alu instid0(VALU_DEP_1)
	v_pk_add_f32 v[110:111], v[62:63] /*v[318:319]*/, v[110:111] neg_lo:[0,1] neg_hi:[0,1]
	scratch_store_b64 off, v[110:111], off offset:8
	s_wait_xcnt 0x0
	v_cmpx_ne_u32_e32 0, v0
	s_set_vgpr_msb 0                        ;  msbs: dst=0 src0=0 src1=0 src2=0
	s_cbranch_execz .LBB53_337
; %bb.336:
	scratch_load_b64 v[110:111], off, off
	v_mov_b64_e32 v[112:113], 0
	scratch_store_b64 off, v[112:113], off
	s_wait_loadcnt 0x0
	ds_store_b64 v1, v[110:111]
.LBB53_337:
	s_wait_xcnt 0x0
	s_or_b32 exec_lo, exec_lo, s0
	s_wait_storecnt_dscnt 0x0
	s_barrier_signal -1
	s_barrier_wait -1
	s_clause 0xf
	scratch_load_b128 v[118:121], off, off offset:8
	scratch_load_b128 v[126:129], off, off offset:24
	;; [unrolled: 1-line block ×16, first 2 shown]
	v_mov_b32_e32 v112, 0
	s_clause 0x4
	scratch_load_b128 v[246:249], off, off offset:264
	scratch_load_b128 v[254:257], off, off offset:280
	s_set_vgpr_msb 64                       ;  msbs: dst=1 src0=0 src1=0 src2=0
	scratch_load_b128 v[6:9] /*v[262:265]*/, off, off offset:296
	scratch_load_b128 v[14:17] /*v[270:273]*/, off, off offset:312
	s_set_vgpr_msb 0                        ;  msbs: dst=0 src0=0 src1=0 src2=0
	ds_load_2addr_b64 v[114:117], v112 offset0:55 offset1:56
	ds_load_2addr_b64 v[122:125], v112 offset0:57 offset1:58
	s_set_vgpr_msb 64                       ;  msbs: dst=1 src0=0 src1=0 src2=0
	s_clause 0x2
	scratch_load_b128 v[22:25] /*v[278:281]*/, off, off offset:328
	scratch_load_b128 v[30:33] /*v[286:289]*/, off, off offset:344
	;; [unrolled: 1-line block ×3, first 2 shown]
	s_and_b32 vcc_lo, exec_lo, s18
	s_wait_loadcnt_dscnt 0x1601
	s_set_vgpr_msb 0                        ;  msbs: dst=0 src0=0 src1=0 src2=0
	v_dual_mul_f32 v0, v114, v119 :: v_dual_mul_f32 v1, v116, v121
	ds_load_2addr_b64 v[130:133], v112 offset0:59 offset1:60
	ds_load_2addr_b64 v[138:141], v112 offset0:61 offset1:62
	;; [unrolled: 1-line block ×4, first 2 shown]
	v_dual_fmac_f32 v0, v115, v118 :: v_dual_fmac_f32 v1, v117, v120
	ds_load_2addr_b64 v[162:165], v112 offset0:67 offset1:68
	ds_load_2addr_b64 v[170:173], v112 offset0:69 offset1:70
	;; [unrolled: 1-line block ×4, first 2 shown]
	v_add_f32_e32 v0, 0, v0
	ds_load_2addr_b64 v[194:197], v112 offset0:75 offset1:76
	ds_load_2addr_b64 v[202:205], v112 offset0:77 offset1:78
	;; [unrolled: 1-line block ×4, first 2 shown]
	s_wait_loadcnt_dscnt 0x150c
	v_dual_add_f32 v0, v0, v1 :: v_dual_mul_f32 v1, v122, v127
	ds_load_2addr_b64 v[226:229], v112 offset0:83 offset1:84
	ds_load_2addr_b64 v[234:237], v112 offset0:85 offset1:86
	ds_load_2addr_b64 v[242:245], v112 offset0:87 offset1:88
	ds_load_2addr_b64 v[250:253], v112 offset0:89 offset1:90
	v_fmac_f32_e32 v1, v123, v126
	s_set_vgpr_msb 64                       ;  msbs: dst=1 src0=0 src1=0 src2=0
	ds_load_2addr_b64 v[2:5] /*v[258:261]*/, v112 offset0:91 offset1:92
	ds_load_2addr_b64 v[10:13] /*v[266:269]*/, v112 offset0:93 offset1:94
	;; [unrolled: 1-line block ×4, first 2 shown]
	s_set_vgpr_msb 0                        ;  msbs: dst=0 src0=0 src1=0 src2=0
	v_add_f32_e32 v0, v0, v1
	v_mul_f32_e32 v1, v124, v129
	s_set_vgpr_msb 64                       ;  msbs: dst=1 src0=0 src1=0 src2=0
	ds_load_2addr_b64 v[34:37] /*v[290:293]*/, v112 offset0:99 offset1:100
	s_clause 0x3
	scratch_load_b128 v[42:45] /*v[298:301]*/, off, off offset:376
	scratch_load_b128 v[46:49] /*v[302:305]*/, off, off offset:392
	;; [unrolled: 1-line block ×3, first 2 shown]
	scratch_load_b64 v[56:57] /*v[312:313]*/, off, off offset:424
	s_set_vgpr_msb 0                        ;  msbs: dst=0 src0=0 src1=0 src2=0
	v_mul_f32_e32 v110, v117, v121
	v_fmac_f32_e32 v1, v125, v128
	s_delay_alu instid0(VALU_DEP_2) | instskip(SKIP_1) | instid1(VALU_DEP_2)
	v_fma_f32 v110, v116, v120, -v110
	s_wait_loadcnt_dscnt 0x1814
	v_dual_add_f32 v0, v0, v1 :: v_dual_mul_f32 v1, v130, v135
	s_delay_alu instid0(VALU_DEP_1)
	v_fmac_f32_e32 v1, v131, v134
	s_wait_loadcnt_dscnt 0x501
	s_set_vgpr_msb 5                        ;  msbs: dst=0 src0=1 src1=1 src2=0
	v_mul_f32_e32 v111, v28 /*v284*/, v33 /*v289*/
	s_set_vgpr_msb 0                        ;  msbs: dst=0 src0=0 src1=0 src2=0
	v_add_f32_e32 v0, v0, v1
	v_mul_f32_e32 v1, v132, v137
	s_wait_loadcnt_dscnt 0x400
	s_set_vgpr_msb 5                        ;  msbs: dst=0 src0=1 src1=1 src2=0
	v_dual_fmac_f32 v111, v29 /*v285*/, v32 /*v288*/ :: v_dual_mul_f32 v113, v35 /*v291*/, v39 /*v295*/
	s_set_vgpr_msb 0x45                     ;  msbs: dst=1 src0=1 src1=1 src2=0
	v_mul_f32_e32 v55 /*v311*/, v34 /*v290*/, v39 /*v295*/
	s_set_vgpr_msb 0                        ;  msbs: dst=0 src0=0 src1=0 src2=0
	v_fmac_f32_e32 v1, v133, v136
	s_set_vgpr_msb 0x45                     ;  msbs: dst=1 src0=1 src1=1 src2=0
	v_fma_f32 v54 /*v310*/, v34 /*v290*/, v38 /*v294*/, -v113
	v_fmac_f32_e32 v55 /*v311*/, v35 /*v291*/, v38 /*v294*/
	s_set_vgpr_msb 0                        ;  msbs: dst=0 src0=0 src1=0 src2=0
	v_dual_add_f32 v0, v0, v1 :: v_dual_mul_f32 v1, v138, v143
	s_delay_alu instid0(VALU_DEP_1) | instskip(NEXT) | instid1(VALU_DEP_1)
	v_fmac_f32_e32 v1, v139, v142
	v_add_f32_e32 v0, v0, v1
	v_mul_f32_e32 v1, v140, v145
	s_delay_alu instid0(VALU_DEP_1) | instskip(NEXT) | instid1(VALU_DEP_1)
	v_fmac_f32_e32 v1, v141, v144
	v_dual_add_f32 v0, v0, v1 :: v_dual_mul_f32 v1, v146, v151
	s_delay_alu instid0(VALU_DEP_1) | instskip(NEXT) | instid1(VALU_DEP_1)
	v_fmac_f32_e32 v1, v147, v150
	v_add_f32_e32 v0, v0, v1
	v_mul_f32_e32 v1, v148, v153
	s_delay_alu instid0(VALU_DEP_1) | instskip(NEXT) | instid1(VALU_DEP_1)
	v_fmac_f32_e32 v1, v149, v152
	;; [unrolled: 7-line block ×14, first 2 shown]
	v_dual_add_f32 v0, v0, v1 :: v_dual_mul_f32 v1, v250, v255
	s_delay_alu instid0(VALU_DEP_1) | instskip(NEXT) | instid1(VALU_DEP_1)
	v_fmac_f32_e32 v1, v251, v254
	v_add_f32_e32 v0, v0, v1
	s_set_vgpr_msb 4                        ;  msbs: dst=0 src0=0 src1=1 src2=0
	v_mul_f32_e32 v1, v252, v1 /*v257*/
	s_delay_alu instid0(VALU_DEP_1) | instskip(SKIP_1) | instid1(VALU_DEP_1)
	v_fmac_f32_e32 v1, v253, v0 /*v256*/
	s_set_vgpr_msb 0                        ;  msbs: dst=0 src0=0 src1=0 src2=0
	v_add_f32_e32 v0, v0, v1
	s_set_vgpr_msb 5                        ;  msbs: dst=0 src0=1 src1=1 src2=0
	v_mul_f32_e32 v1, v2 /*v258*/, v7 /*v263*/
	s_delay_alu instid0(VALU_DEP_1) | instskip(SKIP_1) | instid1(VALU_DEP_1)
	v_fmac_f32_e32 v1, v3 /*v259*/, v6 /*v262*/
	s_set_vgpr_msb 0                        ;  msbs: dst=0 src0=0 src1=0 src2=0
	v_add_f32_e32 v0, v0, v1
	s_set_vgpr_msb 5                        ;  msbs: dst=0 src0=1 src1=1 src2=0
	v_mul_f32_e32 v1, v4 /*v260*/, v9 /*v265*/
	s_delay_alu instid0(VALU_DEP_1) | instskip(SKIP_1) | instid1(VALU_DEP_1)
	v_fmac_f32_e32 v1, v5 /*v261*/, v8 /*v264*/
	;; [unrolled: 6-line block ×7, first 2 shown]
	s_set_vgpr_msb 0                        ;  msbs: dst=0 src0=0 src1=0 src2=0
	v_dual_add_f32 v1, v0, v1 :: v_dual_mul_f32 v0, v115, v119
	s_delay_alu instid0(VALU_DEP_1) | instskip(NEXT) | instid1(VALU_DEP_1)
	v_fma_f32 v0, v114, v118, -v0
	v_add_f32_e32 v0, 0, v0
	s_delay_alu instid0(VALU_DEP_1) | instskip(NEXT) | instid1(VALU_DEP_1)
	v_dual_add_f32 v0, v0, v110 :: v_dual_mul_f32 v110, v123, v127
	v_fma_f32 v110, v122, v126, -v110
	s_delay_alu instid0(VALU_DEP_1) | instskip(NEXT) | instid1(VALU_DEP_1)
	v_dual_add_f32 v0, v0, v110 :: v_dual_mul_f32 v110, v125, v129
	v_fma_f32 v110, v124, v128, -v110
	ds_load_2addr_b64 v[114:117], v112 offset0:101 offset1:102
	ds_load_2addr_b64 v[118:121], v112 offset0:103 offset1:104
	;; [unrolled: 1-line block ×3, first 2 shown]
	ds_load_b64 v[126:127], v112 offset:856
	s_set_vgpr_msb 1                        ;  msbs: dst=0 src0=1 src1=0 src2=0
	v_mov_b32_e32 v128, v41 /*v297*/
	s_set_vgpr_msb 0                        ;  msbs: dst=0 src0=0 src1=0 src2=0
	v_dual_add_f32 v0, v0, v110 :: v_dual_mul_f32 v110, v131, v135
	s_delay_alu instid0(VALU_DEP_1) | instskip(NEXT) | instid1(VALU_DEP_1)
	v_fma_f32 v110, v130, v134, -v110
	v_dual_add_f32 v0, v0, v110 :: v_dual_mul_f32 v110, v133, v137
	s_delay_alu instid0(VALU_DEP_1) | instskip(NEXT) | instid1(VALU_DEP_1)
	v_fma_f32 v110, v132, v136, -v110
	;; [unrolled: 3-line block ×31, first 2 shown]
	v_add_f32_e32 v0, v0, v110
	s_set_vgpr_msb 4                        ;  msbs: dst=0 src0=0 src1=1 src2=0
	v_mul_f32_e32 v110, v253, v1 /*v257*/
	s_delay_alu instid0(VALU_DEP_1) | instskip(SKIP_1) | instid1(VALU_DEP_1)
	v_fma_f32 v110, v252, v0 /*v256*/, -v110
	s_set_vgpr_msb 0                        ;  msbs: dst=0 src0=0 src1=0 src2=0
	v_add_f32_e32 v0, v0, v110
	s_set_vgpr_msb 5                        ;  msbs: dst=0 src0=1 src1=1 src2=0
	v_mul_f32_e32 v110, v3 /*v259*/, v7 /*v263*/
	s_delay_alu instid0(VALU_DEP_1) | instskip(SKIP_1) | instid1(VALU_DEP_1)
	v_fma_f32 v110, v2 /*v258*/, v6 /*v262*/, -v110
	s_set_vgpr_msb 0                        ;  msbs: dst=0 src0=0 src1=0 src2=0
	v_add_f32_e32 v0, v0, v110
	s_set_vgpr_msb 5                        ;  msbs: dst=0 src0=1 src1=1 src2=0
	v_mul_f32_e32 v110, v5 /*v261*/, v9 /*v265*/
	s_delay_alu instid0(VALU_DEP_1) | instskip(SKIP_1) | instid1(VALU_DEP_1)
	v_fma_f32 v110, v4 /*v260*/, v8 /*v264*/, -v110
	;; [unrolled: 6-line block ×8, first 2 shown]
	s_set_vgpr_msb 0                        ;  msbs: dst=0 src0=0 src1=0 src2=0
	v_pk_add_f32 v[0:1], v[0:1], v[110:111]
	s_set_vgpr_msb 1                        ;  msbs: dst=0 src0=1 src1=0 src2=0
	v_dual_mov_b32 v110, v37 /*v293*/ :: v_dual_mov_b32 v111, v36 /*v292*/
	s_set_vgpr_msb 4                        ;  msbs: dst=0 src0=0 src1=1 src2=0
	s_delay_alu instid0(VALU_DEP_2) | instskip(SKIP_1) | instid1(VALU_DEP_2)
	v_pk_add_f32 v[0:1], v[0:1], v[54:55] /*v[310:311]*/
	s_set_vgpr_msb 0                        ;  msbs: dst=0 src0=0 src1=0 src2=0
	v_pk_mul_f32 v[110:111], v[110:111], v[128:129] op_sel_hi:[1,0]
	s_set_vgpr_msb 5                        ;  msbs: dst=0 src0=1 src1=1 src2=0
	s_delay_alu instid0(VALU_DEP_1) | instskip(SKIP_2) | instid1(VALU_DEP_1)
	v_pk_fma_f32 v[128:129], v[36:37] /*v[292:293]*/, v[40:41] /*v[296:297]*/, v[110:111] neg_lo:[0,0,1] neg_hi:[0,0,1]
	v_pk_fma_f32 v[110:111], v[36:37] /*v[292:293]*/, v[40:41] /*v[296:297]*/, v[110:111] op_sel_hi:[1,0,1]
	s_set_vgpr_msb 4                        ;  msbs: dst=0 src0=0 src1=1 src2=0
	v_mov_b32_e32 v129, v111
	s_wait_loadcnt_dscnt 0x303
	v_pk_mul_f32 v[110:111], v[114:115], v[42:43] /*v[298:299]*/ op_sel:[1,1] op_sel_hi:[0,1]
	s_set_vgpr_msb 0                        ;  msbs: dst=0 src0=0 src1=0 src2=0
	s_delay_alu instid0(VALU_DEP_2) | instskip(SKIP_1) | instid1(VALU_DEP_2)
	v_pk_add_f32 v[0:1], v[0:1], v[128:129]
	s_set_vgpr_msb 4                        ;  msbs: dst=0 src0=0 src1=1 src2=0
	v_pk_fma_f32 v[128:129], v[114:115], v[42:43] /*v[298:299]*/, v[110:111] neg_lo:[0,0,1] neg_hi:[0,0,1]
	v_pk_fma_f32 v[110:111], v[114:115], v[42:43] /*v[298:299]*/, v[110:111] op_sel_hi:[1,0,1]
	v_mov_b32_e32 v110, v117
	s_set_vgpr_msb 1                        ;  msbs: dst=0 src0=1 src1=0 src2=0
	v_mov_b32_e32 v114, v45 /*v301*/
	s_set_vgpr_msb 0                        ;  msbs: dst=0 src0=0 src1=0 src2=0
	v_dual_mov_b32 v129, v111 :: v_dual_mov_b32 v111, v116
	s_delay_alu instid0(VALU_DEP_1) | instskip(NEXT) | instid1(VALU_DEP_2)
	v_pk_add_f32 v[0:1], v[0:1], v[128:129]
	v_pk_mul_f32 v[110:111], v[110:111], v[114:115] op_sel_hi:[1,0]
	s_set_vgpr_msb 4                        ;  msbs: dst=0 src0=0 src1=1 src2=0
	s_delay_alu instid0(VALU_DEP_1) | instskip(SKIP_1) | instid1(VALU_DEP_1)
	v_pk_fma_f32 v[114:115], v[116:117], v[44:45] /*v[300:301]*/, v[110:111] neg_lo:[0,0,1] neg_hi:[0,0,1]
	v_pk_fma_f32 v[110:111], v[116:117], v[44:45] /*v[300:301]*/, v[110:111] op_sel_hi:[1,0,1]
	v_mov_b32_e32 v115, v111
	s_wait_loadcnt_dscnt 0x202
	v_pk_mul_f32 v[110:111], v[118:119], v[46:47] /*v[302:303]*/ op_sel:[1,1] op_sel_hi:[0,1]
	s_set_vgpr_msb 0                        ;  msbs: dst=0 src0=0 src1=0 src2=0
	s_delay_alu instid0(VALU_DEP_2) | instskip(SKIP_1) | instid1(VALU_DEP_2)
	v_pk_add_f32 v[0:1], v[0:1], v[114:115]
	s_set_vgpr_msb 4                        ;  msbs: dst=0 src0=0 src1=1 src2=0
	v_pk_fma_f32 v[114:115], v[118:119], v[46:47] /*v[302:303]*/, v[110:111] neg_lo:[0,0,1] neg_hi:[0,0,1]
	v_pk_fma_f32 v[110:111], v[118:119], v[46:47] /*v[302:303]*/, v[110:111] op_sel_hi:[1,0,1]
	s_delay_alu instid0(VALU_DEP_1) | instskip(SKIP_2) | instid1(VALU_DEP_2)
	v_dual_mov_b32 v110, v121 :: v_dual_mov_b32 v115, v111
	v_mov_b32_e32 v111, v120
	s_set_vgpr_msb 0                        ;  msbs: dst=0 src0=0 src1=0 src2=0
	v_pk_add_f32 v[0:1], v[0:1], v[114:115]
	s_set_vgpr_msb 1                        ;  msbs: dst=0 src0=1 src1=0 src2=0
	v_mov_b32_e32 v114, v49 /*v305*/
	s_set_vgpr_msb 0                        ;  msbs: dst=0 src0=0 src1=0 src2=0
	s_delay_alu instid0(VALU_DEP_1) | instskip(SKIP_1) | instid1(VALU_DEP_1)
	v_pk_mul_f32 v[110:111], v[110:111], v[114:115] op_sel_hi:[1,0]
	s_set_vgpr_msb 4                        ;  msbs: dst=0 src0=0 src1=1 src2=0
	v_pk_fma_f32 v[114:115], v[120:121], v[48:49] /*v[304:305]*/, v[110:111] neg_lo:[0,0,1] neg_hi:[0,0,1]
	v_pk_fma_f32 v[110:111], v[120:121], v[48:49] /*v[304:305]*/, v[110:111] op_sel_hi:[1,0,1]
	s_delay_alu instid0(VALU_DEP_1) | instskip(SKIP_3) | instid1(VALU_DEP_2)
	v_mov_b32_e32 v115, v111
	s_wait_loadcnt_dscnt 0x101
	v_pk_mul_f32 v[110:111], v[122:123], v[50:51] /*v[306:307]*/ op_sel:[1,1] op_sel_hi:[0,1]
	s_set_vgpr_msb 0                        ;  msbs: dst=0 src0=0 src1=0 src2=0
	v_pk_add_f32 v[0:1], v[0:1], v[114:115]
	s_set_vgpr_msb 4                        ;  msbs: dst=0 src0=0 src1=1 src2=0
	s_delay_alu instid0(VALU_DEP_2) | instskip(SKIP_1) | instid1(VALU_DEP_1)
	v_pk_fma_f32 v[114:115], v[122:123], v[50:51] /*v[306:307]*/, v[110:111] neg_lo:[0,0,1] neg_hi:[0,0,1]
	v_pk_fma_f32 v[110:111], v[122:123], v[50:51] /*v[306:307]*/, v[110:111] op_sel_hi:[1,0,1]
	v_dual_mov_b32 v110, v125 :: v_dual_mov_b32 v115, v111
	v_mov_b32_e32 v111, v124
	s_set_vgpr_msb 0                        ;  msbs: dst=0 src0=0 src1=0 src2=0
	s_delay_alu instid0(VALU_DEP_2) | instskip(SKIP_3) | instid1(VALU_DEP_1)
	v_pk_add_f32 v[0:1], v[0:1], v[114:115]
	s_set_vgpr_msb 1                        ;  msbs: dst=0 src0=1 src1=0 src2=0
	v_mov_b32_e32 v114, v53 /*v309*/
	s_set_vgpr_msb 0                        ;  msbs: dst=0 src0=0 src1=0 src2=0
	v_pk_mul_f32 v[110:111], v[110:111], v[114:115] op_sel_hi:[1,0]
	s_set_vgpr_msb 4                        ;  msbs: dst=0 src0=0 src1=1 src2=0
	s_delay_alu instid0(VALU_DEP_1) | instskip(SKIP_1) | instid1(VALU_DEP_1)
	v_pk_fma_f32 v[114:115], v[124:125], v[52:53] /*v[308:309]*/, v[110:111] neg_lo:[0,0,1] neg_hi:[0,0,1]
	v_pk_fma_f32 v[110:111], v[124:125], v[52:53] /*v[308:309]*/, v[110:111] op_sel_hi:[1,0,1]
	v_mov_b32_e32 v115, v111
	s_wait_loadcnt_dscnt 0x0
	v_pk_mul_f32 v[110:111], v[126:127], v[56:57] /*v[312:313]*/ op_sel:[1,1] op_sel_hi:[0,1]
	s_set_vgpr_msb 0                        ;  msbs: dst=0 src0=0 src1=0 src2=0
	s_delay_alu instid0(VALU_DEP_2) | instskip(SKIP_1) | instid1(VALU_DEP_2)
	v_pk_add_f32 v[0:1], v[0:1], v[114:115]
	s_set_vgpr_msb 4                        ;  msbs: dst=0 src0=0 src1=1 src2=0
	v_pk_fma_f32 v[114:115], v[126:127], v[56:57] /*v[312:313]*/, v[110:111] neg_lo:[0,0,1] neg_hi:[0,0,1]
	v_pk_fma_f32 v[110:111], v[126:127], v[56:57] /*v[312:313]*/, v[110:111] op_sel_hi:[1,0,1]
	s_delay_alu instid0(VALU_DEP_1) | instskip(SKIP_4) | instid1(VALU_DEP_1)
	v_mov_b32_e32 v115, v111
	scratch_load_b64 v[110:111], off, off
	s_set_vgpr_msb 0                        ;  msbs: dst=0 src0=0 src1=0 src2=0
	v_pk_add_f32 v[0:1], v[0:1], v[114:115]
	s_wait_loadcnt 0x0
	v_pk_add_f32 v[0:1], v[110:111], v[0:1] neg_lo:[0,1] neg_hi:[0,1]
	scratch_store_b64 off, v[0:1], off
	s_cbranch_vccz .LBB53_444
; %bb.338:
	global_load_b32 v0, v112, s[2:3] offset:208
	s_wait_loadcnt 0x0
	v_cmp_ne_u32_e32 vcc_lo, 53, v0
	s_cbranch_vccz .LBB53_340
; %bb.339:
	v_lshlrev_b32_e32 v0, 3, v0
	s_wait_xcnt 0x0
	s_delay_alu instid0(VALU_DEP_1)
	v_mov_b32_e32 v112, v0
	scratch_load_b64 v[0:1], v112, off offset:-8
	scratch_load_b64 v[110:111], off, off offset:416
	s_wait_loadcnt 0x1
	scratch_store_b64 off, v[0:1], off offset:416
	s_wait_loadcnt 0x0
	scratch_store_b64 v112, v[110:111], off offset:-8
.LBB53_340:
	s_wait_xcnt 0x1
	v_mov_b32_e32 v0, 0
	global_load_b32 v1, v0, s[2:3] offset:204
	s_wait_loadcnt 0x0
	v_cmp_eq_u32_e32 vcc_lo, 52, v1
	s_cbranch_vccnz .LBB53_342
; %bb.341:
	v_lshlrev_b32_e32 v1, 3, v1
	scratch_load_b64 v[110:111], v1, off offset:-8
	scratch_load_b64 v[112:113], off, off offset:408
	s_wait_loadcnt 0x1
	scratch_store_b64 off, v[110:111], off offset:408
	s_wait_loadcnt 0x0
	scratch_store_b64 v1, v[112:113], off offset:-8
.LBB53_342:
	global_load_b32 v0, v0, s[2:3] offset:200
	s_wait_loadcnt 0x0
	v_cmp_eq_u32_e32 vcc_lo, 51, v0
	s_cbranch_vccnz .LBB53_344
; %bb.343:
	s_wait_xcnt 0x0
	v_lshlrev_b32_e32 v0, 3, v0
	s_delay_alu instid0(VALU_DEP_1)
	v_mov_b32_e32 v112, v0
	scratch_load_b64 v[0:1], v112, off offset:-8
	scratch_load_b64 v[110:111], off, off offset:400
	s_wait_loadcnt 0x1
	scratch_store_b64 off, v[0:1], off offset:400
	s_wait_loadcnt 0x0
	scratch_store_b64 v112, v[110:111], off offset:-8
.LBB53_344:
	s_wait_xcnt 0x0
	v_mov_b32_e32 v0, 0
	global_load_b32 v1, v0, s[2:3] offset:196
	s_wait_loadcnt 0x0
	v_cmp_eq_u32_e32 vcc_lo, 50, v1
	s_cbranch_vccnz .LBB53_346
; %bb.345:
	v_lshlrev_b32_e32 v1, 3, v1
	scratch_load_b64 v[110:111], v1, off offset:-8
	scratch_load_b64 v[112:113], off, off offset:392
	s_wait_loadcnt 0x1
	scratch_store_b64 off, v[110:111], off offset:392
	s_wait_loadcnt 0x0
	scratch_store_b64 v1, v[112:113], off offset:-8
.LBB53_346:
	global_load_b32 v0, v0, s[2:3] offset:192
	s_wait_loadcnt 0x0
	v_cmp_eq_u32_e32 vcc_lo, 49, v0
	s_cbranch_vccnz .LBB53_348
; %bb.347:
	s_wait_xcnt 0x0
	v_lshlrev_b32_e32 v0, 3, v0
	s_delay_alu instid0(VALU_DEP_1)
	v_mov_b32_e32 v112, v0
	scratch_load_b64 v[0:1], v112, off offset:-8
	scratch_load_b64 v[110:111], off, off offset:384
	s_wait_loadcnt 0x1
	scratch_store_b64 off, v[0:1], off offset:384
	s_wait_loadcnt 0x0
	scratch_store_b64 v112, v[110:111], off offset:-8
.LBB53_348:
	;; [unrolled: 31-line block ×25, first 2 shown]
	s_wait_xcnt 0x0
	v_mov_b32_e32 v0, 0
	global_load_b32 v1, v0, s[2:3] offset:4
	s_wait_loadcnt 0x0
	v_cmp_eq_u32_e32 vcc_lo, 2, v1
	s_cbranch_vccnz .LBB53_442
; %bb.441:
	v_lshlrev_b32_e32 v1, 3, v1
	scratch_load_b64 v[110:111], v1, off offset:-8
	scratch_load_b64 v[112:113], off, off offset:8
	s_wait_loadcnt 0x1
	scratch_store_b64 off, v[110:111], off offset:8
	s_wait_loadcnt 0x0
	scratch_store_b64 v1, v[112:113], off offset:-8
.LBB53_442:
	global_load_b32 v110, v0, s[2:3]
	scratch_load_b64 v[0:1], off, off
	s_wait_loadcnt 0x1
	v_cmp_eq_u32_e32 vcc_lo, 1, v110
	s_cbranch_vccnz .LBB53_444
; %bb.443:
	v_lshlrev_b32_e32 v110, 3, v110
	s_delay_alu instid0(VALU_DEP_1)
	v_mov_b32_e32 v112, v110
	scratch_load_b64 v[110:111], v112, off offset:-8
	s_wait_loadcnt 0x0
	scratch_store_b64 off, v[110:111], off
	scratch_store_b64 v112, v[0:1], off offset:-8
	scratch_load_b64 v[0:1], off, off
.LBB53_444:
	s_clause 0x1a
	scratch_load_b128 v[110:113], off, off offset:8
	scratch_load_b128 v[114:117], off, off offset:24
	;; [unrolled: 1-line block ×26, first 2 shown]
	scratch_load_b64 v[214:215], off, off offset:424
	v_lshl_add_u64 v[6:7], v[6:7], 3, s[4:5]
	v_lshl_add_u64 v[8:9], v[8:9], 3, s[4:5]
	;; [unrolled: 1-line block ×52, first 2 shown]
	s_wait_loadcnt 0x1b
	global_store_b64 v[2:3], v[0:1], off
	s_wait_loadcnt 0x1a
	s_clause 0x1
	global_store_b64 v[4:5], v[110:111], off
	global_store_b64 v[6:7], v[112:113], off
	s_wait_loadcnt 0x19
	s_clause 0x1
	global_store_b64 v[8:9], v[114:115], off
	;; [unrolled: 4-line block ×26, first 2 shown]
	global_store_b64 v[106:107], v[212:213], off
	s_wait_loadcnt 0x0
	global_store_b64 v[108:109], v[214:215], off
	s_sendmsg sendmsg(MSG_DEALLOC_VGPRS)
	s_endpgm
	.section	.rodata,"a",@progbits
	.p2align	6, 0x0
	.amdhsa_kernel _ZN9rocsolver6v33100L18getri_kernel_smallILi54E19rocblas_complex_numIfEPS3_EEvT1_iilPiilS6_bb
		.amdhsa_group_segment_fixed_size 868
		.amdhsa_private_segment_fixed_size 448
		.amdhsa_kernarg_size 60
		.amdhsa_user_sgpr_count 2
		.amdhsa_user_sgpr_dispatch_ptr 0
		.amdhsa_user_sgpr_queue_ptr 0
		.amdhsa_user_sgpr_kernarg_segment_ptr 1
		.amdhsa_user_sgpr_dispatch_id 0
		.amdhsa_user_sgpr_kernarg_preload_length 0
		.amdhsa_user_sgpr_kernarg_preload_offset 0
		.amdhsa_user_sgpr_private_segment_size 0
		.amdhsa_wavefront_size32 1
		.amdhsa_uses_dynamic_stack 0
		.amdhsa_enable_private_segment 1
		.amdhsa_system_sgpr_workgroup_id_x 1
		.amdhsa_system_sgpr_workgroup_id_y 0
		.amdhsa_system_sgpr_workgroup_id_z 0
		.amdhsa_system_sgpr_workgroup_info 0
		.amdhsa_system_vgpr_workitem_id 0
		.amdhsa_next_free_vgpr 328
		.amdhsa_next_free_sgpr 19
		.amdhsa_named_barrier_count 0
		.amdhsa_reserve_vcc 1
		.amdhsa_float_round_mode_32 0
		.amdhsa_float_round_mode_16_64 0
		.amdhsa_float_denorm_mode_32 3
		.amdhsa_float_denorm_mode_16_64 3
		.amdhsa_fp16_overflow 0
		.amdhsa_memory_ordered 1
		.amdhsa_forward_progress 1
		.amdhsa_inst_pref_size 255
		.amdhsa_round_robin_scheduling 0
		.amdhsa_exception_fp_ieee_invalid_op 0
		.amdhsa_exception_fp_denorm_src 0
		.amdhsa_exception_fp_ieee_div_zero 0
		.amdhsa_exception_fp_ieee_overflow 0
		.amdhsa_exception_fp_ieee_underflow 0
		.amdhsa_exception_fp_ieee_inexact 0
		.amdhsa_exception_int_div_zero 0
	.end_amdhsa_kernel
	.section	.text._ZN9rocsolver6v33100L18getri_kernel_smallILi54E19rocblas_complex_numIfEPS3_EEvT1_iilPiilS6_bb,"axG",@progbits,_ZN9rocsolver6v33100L18getri_kernel_smallILi54E19rocblas_complex_numIfEPS3_EEvT1_iilPiilS6_bb,comdat
.Lfunc_end53:
	.size	_ZN9rocsolver6v33100L18getri_kernel_smallILi54E19rocblas_complex_numIfEPS3_EEvT1_iilPiilS6_bb, .Lfunc_end53-_ZN9rocsolver6v33100L18getri_kernel_smallILi54E19rocblas_complex_numIfEPS3_EEvT1_iilPiilS6_bb
                                        ; -- End function
	.set _ZN9rocsolver6v33100L18getri_kernel_smallILi54E19rocblas_complex_numIfEPS3_EEvT1_iilPiilS6_bb.num_vgpr, 328
	.set _ZN9rocsolver6v33100L18getri_kernel_smallILi54E19rocblas_complex_numIfEPS3_EEvT1_iilPiilS6_bb.num_agpr, 0
	.set _ZN9rocsolver6v33100L18getri_kernel_smallILi54E19rocblas_complex_numIfEPS3_EEvT1_iilPiilS6_bb.numbered_sgpr, 19
	.set _ZN9rocsolver6v33100L18getri_kernel_smallILi54E19rocblas_complex_numIfEPS3_EEvT1_iilPiilS6_bb.num_named_barrier, 0
	.set _ZN9rocsolver6v33100L18getri_kernel_smallILi54E19rocblas_complex_numIfEPS3_EEvT1_iilPiilS6_bb.private_seg_size, 448
	.set _ZN9rocsolver6v33100L18getri_kernel_smallILi54E19rocblas_complex_numIfEPS3_EEvT1_iilPiilS6_bb.uses_vcc, 1
	.set _ZN9rocsolver6v33100L18getri_kernel_smallILi54E19rocblas_complex_numIfEPS3_EEvT1_iilPiilS6_bb.uses_flat_scratch, 1
	.set _ZN9rocsolver6v33100L18getri_kernel_smallILi54E19rocblas_complex_numIfEPS3_EEvT1_iilPiilS6_bb.has_dyn_sized_stack, 0
	.set _ZN9rocsolver6v33100L18getri_kernel_smallILi54E19rocblas_complex_numIfEPS3_EEvT1_iilPiilS6_bb.has_recursion, 0
	.set _ZN9rocsolver6v33100L18getri_kernel_smallILi54E19rocblas_complex_numIfEPS3_EEvT1_iilPiilS6_bb.has_indirect_call, 0
	.section	.AMDGPU.csdata,"",@progbits
; Kernel info:
; codeLenInByte = 107304
; TotalNumSgprs: 21
; NumVgprs: 328
; ScratchSize: 448
; MemoryBound: 0
; FloatMode: 240
; IeeeMode: 1
; LDSByteSize: 868 bytes/workgroup (compile time only)
; SGPRBlocks: 0
; VGPRBlocks: 20
; NumSGPRsForWavesPerEU: 21
; NumVGPRsForWavesPerEU: 328
; NamedBarCnt: 0
; Occupancy: 3
; WaveLimiterHint : 1
; COMPUTE_PGM_RSRC2:SCRATCH_EN: 1
; COMPUTE_PGM_RSRC2:USER_SGPR: 2
; COMPUTE_PGM_RSRC2:TRAP_HANDLER: 0
; COMPUTE_PGM_RSRC2:TGID_X_EN: 1
; COMPUTE_PGM_RSRC2:TGID_Y_EN: 0
; COMPUTE_PGM_RSRC2:TGID_Z_EN: 0
; COMPUTE_PGM_RSRC2:TIDIG_COMP_CNT: 0
	.section	.text._ZN9rocsolver6v33100L18getri_kernel_smallILi55E19rocblas_complex_numIfEPS3_EEvT1_iilPiilS6_bb,"axG",@progbits,_ZN9rocsolver6v33100L18getri_kernel_smallILi55E19rocblas_complex_numIfEPS3_EEvT1_iilPiilS6_bb,comdat
	.globl	_ZN9rocsolver6v33100L18getri_kernel_smallILi55E19rocblas_complex_numIfEPS3_EEvT1_iilPiilS6_bb ; -- Begin function _ZN9rocsolver6v33100L18getri_kernel_smallILi55E19rocblas_complex_numIfEPS3_EEvT1_iilPiilS6_bb
	.p2align	8
	.type	_ZN9rocsolver6v33100L18getri_kernel_smallILi55E19rocblas_complex_numIfEPS3_EEvT1_iilPiilS6_bb,@function
_ZN9rocsolver6v33100L18getri_kernel_smallILi55E19rocblas_complex_numIfEPS3_EEvT1_iilPiilS6_bb: ; @_ZN9rocsolver6v33100L18getri_kernel_smallILi55E19rocblas_complex_numIfEPS3_EEvT1_iilPiilS6_bb
; %bb.0:
	s_mov_b32 s2, exec_lo
	v_cmpx_gt_u32_e32 55, v0
	s_cbranch_execz .LBB54_234
; %bb.1:
	s_clause 0x2
	s_load_b32 s2, s[0:1], 0x38
	s_load_b128 s[12:15], s[0:1], 0x10
	s_load_b128 s[4:7], s[0:1], 0x28
	s_getreg_b32 s9, hwreg(HW_REG_IB_STS2, 6, 4)
	s_wait_kmcnt 0x0
	s_bitcmp1_b32 s2, 8
	s_cselect_b32 s18, -1, 0
	s_bfe_u32 s3, ttmp6, 0x4000c
	s_and_b32 s8, ttmp6, 15
	s_add_co_i32 s3, s3, 1
	s_delay_alu instid0(SALU_CYCLE_1) | instskip(NEXT) | instid1(SALU_CYCLE_1)
	s_mul_i32 s3, ttmp9, s3
	s_add_co_i32 s8, s8, s3
	s_cmp_eq_u32 s9, 0
	s_cselect_b32 s16, ttmp9, s8
	s_bfe_u32 s2, s2, 0x10008
	s_ashr_i32 s17, s16, 31
	s_cmp_eq_u32 s2, 0
                                        ; implicit-def: $sgpr2_sgpr3
	s_cbranch_scc1 .LBB54_3
; %bb.2:
	s_load_b32 s2, s[0:1], 0x20
	s_mul_u64 s[4:5], s[4:5], s[16:17]
	s_delay_alu instid0(SALU_CYCLE_1) | instskip(NEXT) | instid1(SALU_CYCLE_1)
	s_lshl_b64 s[4:5], s[4:5], 2
	s_add_nc_u64 s[4:5], s[14:15], s[4:5]
	s_wait_kmcnt 0x0
	s_ashr_i32 s3, s2, 31
	s_delay_alu instid0(SALU_CYCLE_1) | instskip(NEXT) | instid1(SALU_CYCLE_1)
	s_lshl_b64 s[2:3], s[2:3], 2
	s_add_nc_u64 s[2:3], s[4:5], s[2:3]
.LBB54_3:
	s_clause 0x1
	s_load_b128 s[8:11], s[0:1], 0x0
	s_load_b32 s14, s[0:1], 0x38
	s_wait_xcnt 0x0
	s_mul_u64 s[0:1], s[12:13], s[16:17]
	v_mov_b32_e32 v113, 0
	s_lshl_b64 s[0:1], s[0:1], 3
	s_wait_kmcnt 0x0
	v_add3_u32 v4, s11, s11, v0
	s_ashr_i32 s5, s10, 31
	s_mov_b32 s4, s10
	s_add_nc_u64 s[0:1], s[8:9], s[0:1]
	s_lshl_b64 s[4:5], s[4:5], 3
	v_add_nc_u32_e32 v8, s11, v4
	s_add_nc_u64 s[4:5], s[0:1], s[4:5]
	s_ashr_i32 s1, s11, 31
	s_mov_b32 s0, s11
	s_bitcmp0_b32 s14, 0
	v_add_nc_u32_e32 v10, s11, v8
	s_delay_alu instid0(VALU_DEP_1) | instskip(NEXT) | instid1(VALU_DEP_1)
	v_add_nc_u32_e32 v12, s11, v10
	v_add_nc_u32_e32 v14, s11, v12
	s_delay_alu instid0(VALU_DEP_1) | instskip(NEXT) | instid1(VALU_DEP_1)
	v_add_nc_u32_e32 v16, s11, v14
	;; [unrolled: 3-line block ×17, first 2 shown]
	v_add_nc_u32_e32 v78, s11, v76
	s_delay_alu instid0(VALU_DEP_1) | instskip(NEXT) | instid1(VALU_DEP_1)
	v_dual_lshlrev_b32 v112, 3, v0 :: v_dual_add_nc_u32 v80, s11, v78
	v_add_nc_u64_e32 v[2:3], s[4:5], v[112:113]
	s_delay_alu instid0(VALU_DEP_2) | instskip(NEXT) | instid1(VALU_DEP_2)
	v_add_nc_u32_e32 v82, s11, v80
	v_lshl_add_u64 v[6:7], s[0:1], 3, v[2:3]
	s_mov_b32 s1, -1
	s_delay_alu instid0(VALU_DEP_2)
	v_add_nc_u32_e32 v84, s11, v82
	s_clause 0x9
	global_load_b64 v[114:115], v0, s[4:5] scale_offset
	global_load_b64 v[116:117], v[6:7], off
	global_load_b64 v[118:119], v4, s[4:5] scale_offset
	global_load_b64 v[120:121], v8, s[4:5] scale_offset
	;; [unrolled: 1-line block ×8, first 2 shown]
	v_add_nc_u32_e32 v86, s11, v84
	s_clause 0xf
	global_load_b64 v[134:135], v22, s[4:5] scale_offset
	global_load_b64 v[136:137], v24, s[4:5] scale_offset
	global_load_b64 v[138:139], v26, s[4:5] scale_offset
	global_load_b64 v[140:141], v28, s[4:5] scale_offset
	global_load_b64 v[142:143], v30, s[4:5] scale_offset
	global_load_b64 v[144:145], v32, s[4:5] scale_offset
	global_load_b64 v[146:147], v34, s[4:5] scale_offset
	global_load_b64 v[148:149], v36, s[4:5] scale_offset
	global_load_b64 v[150:151], v38, s[4:5] scale_offset
	global_load_b64 v[152:153], v40, s[4:5] scale_offset
	global_load_b64 v[154:155], v42, s[4:5] scale_offset
	global_load_b64 v[156:157], v44, s[4:5] scale_offset
	global_load_b64 v[158:159], v46, s[4:5] scale_offset
	global_load_b64 v[160:161], v48, s[4:5] scale_offset
	global_load_b64 v[162:163], v50, s[4:5] scale_offset
	global_load_b64 v[164:165], v52, s[4:5] scale_offset
	v_add_nc_u32_e32 v88, s11, v86
	s_clause 0xf
	global_load_b64 v[166:167], v54, s[4:5] scale_offset
	global_load_b64 v[168:169], v56, s[4:5] scale_offset
	;; [unrolled: 1-line block ×16, first 2 shown]
	v_add_nc_u32_e32 v90, s11, v88
	s_delay_alu instid0(VALU_DEP_1) | instskip(NEXT) | instid1(VALU_DEP_1)
	v_add_nc_u32_e32 v92, s11, v90
	v_add_nc_u32_e32 v94, s11, v92
	s_delay_alu instid0(VALU_DEP_1)
	v_add_nc_u32_e32 v96, s11, v94
	s_clause 0x3
	global_load_b64 v[198:199], v86, s[4:5] scale_offset
	global_load_b64 v[200:201], v88, s[4:5] scale_offset
	;; [unrolled: 1-line block ×4, first 2 shown]
	v_add_nc_u32_e32 v98, s11, v96
	s_delay_alu instid0(VALU_DEP_1) | instskip(NEXT) | instid1(VALU_DEP_1)
	v_add_nc_u32_e32 v100, s11, v98
	v_add_nc_u32_e32 v102, s11, v100
	s_delay_alu instid0(VALU_DEP_1)
	v_add_nc_u32_e32 v104, s11, v102
	s_clause 0x3
	global_load_b64 v[206:207], v94, s[4:5] scale_offset
	global_load_b64 v[208:209], v96, s[4:5] scale_offset
	;; [unrolled: 1-line block ×4, first 2 shown]
	v_add_nc_u32_e32 v106, s11, v104
	s_delay_alu instid0(VALU_DEP_1) | instskip(NEXT) | instid1(VALU_DEP_1)
	v_add_nc_u32_e32 v108, s11, v106
	v_add_nc_u32_e32 v110, s11, v108
	s_clause 0x4
	global_load_b64 v[214:215], v102, s[4:5] scale_offset
	global_load_b64 v[216:217], v104, s[4:5] scale_offset
	;; [unrolled: 1-line block ×5, first 2 shown]
	s_wait_loadcnt 0x35
	scratch_store_b128 off, v[114:117], off
	s_wait_loadcnt 0x33
	scratch_store_b128 off, v[118:121], off offset:16
	s_wait_loadcnt 0x31
	scratch_store_b128 off, v[122:125], off offset:32
	;; [unrolled: 2-line block ×26, first 2 shown]
	s_wait_loadcnt 0x0
	scratch_store_b64 off, v[222:223], off offset:432
	s_cbranch_scc1 .LBB54_232
; %bb.4:
	v_cmp_eq_u32_e64 s0, 0, v0
	s_wait_xcnt 0x0
	s_and_saveexec_b32 s1, s0
; %bb.5:
	v_mov_b32_e32 v1, 0
	ds_store_b32 v1, v1 offset:440
; %bb.6:
	s_or_b32 exec_lo, exec_lo, s1
	s_wait_storecnt_dscnt 0x0
	s_barrier_signal -1
	s_barrier_wait -1
	scratch_load_b64 v[114:115], v0, off scale_offset
	s_wait_loadcnt 0x0
	v_cmp_eq_f32_e32 vcc_lo, 0, v114
	v_cmp_eq_f32_e64 s1, 0, v115
	s_and_b32 s1, vcc_lo, s1
	s_delay_alu instid0(SALU_CYCLE_1)
	s_and_saveexec_b32 s8, s1
	s_cbranch_execz .LBB54_10
; %bb.7:
	v_mov_b32_e32 v1, 0
	s_mov_b32 s9, 0
	ds_load_b32 v5, v1 offset:440
	s_wait_dscnt 0x0
	v_readfirstlane_b32 s1, v5
	v_add_nc_u32_e32 v5, 1, v0
	s_cmp_eq_u32 s1, 0
	s_delay_alu instid0(VALU_DEP_1) | instskip(SKIP_1) | instid1(SALU_CYCLE_1)
	v_cmp_gt_i32_e32 vcc_lo, s1, v5
	s_cselect_b32 s10, -1, 0
	s_or_b32 s10, s10, vcc_lo
	s_delay_alu instid0(SALU_CYCLE_1)
	s_and_b32 exec_lo, exec_lo, s10
	s_cbranch_execz .LBB54_10
; %bb.8:
	v_mov_b32_e32 v9, s1
.LBB54_9:                               ; =>This Inner Loop Header: Depth=1
	ds_cmpstore_rtn_b32 v9, v1, v5, v9 offset:440
	s_wait_dscnt 0x0
	v_cmp_ne_u32_e32 vcc_lo, 0, v9
	v_cmp_le_i32_e64 s1, v9, v5
	s_and_b32 s1, vcc_lo, s1
	s_delay_alu instid0(SALU_CYCLE_1) | instskip(NEXT) | instid1(SALU_CYCLE_1)
	s_and_b32 s1, exec_lo, s1
	s_or_b32 s9, s1, s9
	s_delay_alu instid0(SALU_CYCLE_1)
	s_and_not1_b32 exec_lo, exec_lo, s9
	s_cbranch_execnz .LBB54_9
.LBB54_10:
	s_or_b32 exec_lo, exec_lo, s8
	v_mov_b32_e32 v1, 0
	s_barrier_signal -1
	s_barrier_wait -1
	ds_load_b32 v5, v1 offset:440
	s_and_saveexec_b32 s1, s0
	s_cbranch_execz .LBB54_12
; %bb.11:
	s_lshl_b64 s[8:9], s[16:17], 2
	s_delay_alu instid0(SALU_CYCLE_1)
	s_add_nc_u64 s[8:9], s[6:7], s[8:9]
	s_wait_dscnt 0x0
	global_store_b32 v1, v5, s[8:9]
.LBB54_12:
	s_wait_xcnt 0x0
	s_or_b32 exec_lo, exec_lo, s1
	s_wait_dscnt 0x0
	v_cmp_ne_u32_e32 vcc_lo, 0, v5
	s_mov_b32 s1, 0
	s_cbranch_vccnz .LBB54_232
; %bb.13:
	v_lshl_add_u32 v5, v0, 3, 0
                                        ; implicit-def: $vgpr117
                                        ; implicit-def: $vgpr118
	scratch_load_b64 v[114:115], v5, off
	s_wait_loadcnt 0x0
	v_cmp_ngt_f32_e64 s1, |v114|, |v115|
	s_wait_xcnt 0x0
	s_and_saveexec_b32 s8, s1
	s_delay_alu instid0(SALU_CYCLE_1)
	s_xor_b32 s1, exec_lo, s8
	s_cbranch_execz .LBB54_15
; %bb.14:
	v_div_scale_f32 v1, null, v115, v115, v114
	v_div_scale_f32 v13, vcc_lo, v114, v115, v114
	s_delay_alu instid0(VALU_DEP_2) | instskip(SKIP_1) | instid1(TRANS32_DEP_1)
	v_rcp_f32_e32 v9, v1
	v_nop
	v_fma_f32 v11, -v1, v9, 1.0
	s_delay_alu instid0(VALU_DEP_1) | instskip(NEXT) | instid1(VALU_DEP_1)
	v_fmac_f32_e32 v9, v11, v9
	v_mul_f32_e32 v11, v13, v9
	s_delay_alu instid0(VALU_DEP_1) | instskip(NEXT) | instid1(VALU_DEP_1)
	v_fma_f32 v15, -v1, v11, v13
	v_fmac_f32_e32 v11, v15, v9
	s_delay_alu instid0(VALU_DEP_1) | instskip(NEXT) | instid1(VALU_DEP_1)
	v_fma_f32 v1, -v1, v11, v13
	v_div_fmas_f32 v1, v1, v9, v11
	s_delay_alu instid0(VALU_DEP_1) | instskip(NEXT) | instid1(VALU_DEP_1)
	v_div_fixup_f32 v1, v1, v115, v114
	v_fmac_f32_e32 v115, v114, v1
	s_delay_alu instid0(VALU_DEP_1) | instskip(NEXT) | instid1(VALU_DEP_1)
	v_div_scale_f32 v9, null, v115, v115, -1.0
	v_rcp_f32_e32 v11, v9
	v_nop
	s_delay_alu instid0(TRANS32_DEP_1) | instskip(NEXT) | instid1(VALU_DEP_1)
	v_fma_f32 v13, -v9, v11, 1.0
	v_fmac_f32_e32 v11, v13, v11
	v_div_scale_f32 v13, vcc_lo, -1.0, v115, -1.0
	s_delay_alu instid0(VALU_DEP_1) | instskip(NEXT) | instid1(VALU_DEP_1)
	v_mul_f32_e32 v15, v13, v11
	v_fma_f32 v17, -v9, v15, v13
	s_delay_alu instid0(VALU_DEP_1) | instskip(NEXT) | instid1(VALU_DEP_1)
	v_fmac_f32_e32 v15, v17, v11
	v_fma_f32 v9, -v9, v15, v13
	s_delay_alu instid0(VALU_DEP_1) | instskip(NEXT) | instid1(VALU_DEP_1)
	v_div_fmas_f32 v9, v9, v11, v15
	v_div_fixup_f32 v117, v9, v115, -1.0
                                        ; implicit-def: $vgpr114_vgpr115
	s_delay_alu instid0(VALU_DEP_1) | instskip(NEXT) | instid1(VALU_DEP_1)
	v_mul_f32_e32 v118, v1, v117
	v_xor_b32_e32 v116, 0x80000000, v118
.LBB54_15:
	s_and_not1_saveexec_b32 s1, s1
	s_cbranch_execz .LBB54_17
; %bb.16:
	v_div_scale_f32 v1, null, v114, v114, v115
	v_div_scale_f32 v13, vcc_lo, v115, v114, v115
	s_delay_alu instid0(VALU_DEP_2) | instskip(SKIP_1) | instid1(TRANS32_DEP_1)
	v_rcp_f32_e32 v9, v1
	v_nop
	v_fma_f32 v11, -v1, v9, 1.0
	s_delay_alu instid0(VALU_DEP_1) | instskip(NEXT) | instid1(VALU_DEP_1)
	v_fmac_f32_e32 v9, v11, v9
	v_mul_f32_e32 v11, v13, v9
	s_delay_alu instid0(VALU_DEP_1) | instskip(NEXT) | instid1(VALU_DEP_1)
	v_fma_f32 v15, -v1, v11, v13
	v_fmac_f32_e32 v11, v15, v9
	s_delay_alu instid0(VALU_DEP_1) | instskip(NEXT) | instid1(VALU_DEP_1)
	v_fma_f32 v1, -v1, v11, v13
	v_div_fmas_f32 v1, v1, v9, v11
	s_delay_alu instid0(VALU_DEP_1) | instskip(NEXT) | instid1(VALU_DEP_1)
	v_div_fixup_f32 v1, v1, v114, v115
	v_fmac_f32_e32 v114, v115, v1
	s_delay_alu instid0(VALU_DEP_1) | instskip(SKIP_1) | instid1(VALU_DEP_2)
	v_div_scale_f32 v9, null, v114, v114, 1.0
	v_div_scale_f32 v15, vcc_lo, 1.0, v114, 1.0
	v_rcp_f32_e32 v11, v9
	v_nop
	s_delay_alu instid0(TRANS32_DEP_1) | instskip(NEXT) | instid1(VALU_DEP_1)
	v_fma_f32 v13, -v9, v11, 1.0
	v_fmac_f32_e32 v11, v13, v11
	s_delay_alu instid0(VALU_DEP_1) | instskip(NEXT) | instid1(VALU_DEP_1)
	v_mul_f32_e32 v13, v15, v11
	v_fma_f32 v17, -v9, v13, v15
	s_delay_alu instid0(VALU_DEP_1) | instskip(NEXT) | instid1(VALU_DEP_1)
	v_fmac_f32_e32 v13, v17, v11
	v_fma_f32 v9, -v9, v13, v15
	s_delay_alu instid0(VALU_DEP_1) | instskip(NEXT) | instid1(VALU_DEP_1)
	v_div_fmas_f32 v9, v9, v11, v13
	v_div_fixup_f32 v116, v9, v114, 1.0
	s_delay_alu instid0(VALU_DEP_1)
	v_xor_b32_e32 v118, 0x80000000, v116
	v_mul_f32_e64 v117, v1, -v116
.LBB54_17:
	s_or_b32 exec_lo, exec_lo, s1
	scratch_store_b64 v5, v[116:117], off
	scratch_load_b64 v[114:115], off, off offset:8
	v_xor_b32_e32 v119, 0x80000000, v117
	v_add_nc_u32_e32 v1, 0x1c0, v112
	s_wait_loadcnt 0x0
	ds_store_2addr_b64 v112, v[118:119], v[114:115] offset1:56
	s_wait_storecnt_dscnt 0x0
	s_barrier_signal -1
	s_barrier_wait -1
	s_wait_xcnt 0x0
	s_and_saveexec_b32 s1, s0
	s_cbranch_execz .LBB54_19
; %bb.18:
	scratch_load_b64 v[114:115], v5, off
	ds_load_b64 v[116:117], v1
	s_wait_loadcnt_dscnt 0x0
	v_pk_mul_f32 v[120:121], v[116:117], v[114:115] op_sel:[1,1] op_sel_hi:[0,1]
	s_delay_alu instid0(VALU_DEP_1) | instskip(SKIP_2) | instid1(VALU_DEP_3)
	v_pk_fma_f32 v[122:123], v[116:117], v[114:115], v[120:121] op_sel_hi:[1,0,1]
	v_mov_b32_e32 v9, 0
	v_pk_fma_f32 v[114:115], v[116:117], v[114:115], v[120:121] neg_lo:[0,0,1] neg_hi:[0,0,1]
	v_mov_b32_e32 v115, v123
	ds_load_b64 v[118:119], v9 offset:8
	v_pk_add_f32 v[114:115], v[114:115], 0 op_sel_hi:[1,0]
	s_wait_dscnt 0x0
	s_delay_alu instid0(VALU_DEP_1) | instskip(NEXT) | instid1(VALU_DEP_1)
	v_pk_mul_f32 v[116:117], v[114:115], v[118:119] op_sel:[1,1] op_sel_hi:[0,1]
	v_pk_fma_f32 v[120:121], v[114:115], v[118:119], v[116:117] op_sel_hi:[1,0,1]
	v_pk_fma_f32 v[114:115], v[114:115], v[118:119], v[116:117] neg_lo:[0,0,1] neg_hi:[0,0,1]
	s_delay_alu instid0(VALU_DEP_2)
	v_mov_b32_e32 v115, v121
	scratch_store_b64 off, v[114:115], off offset:8
.LBB54_19:
	s_wait_xcnt 0x0
	s_or_b32 exec_lo, exec_lo, s1
	s_wait_storecnt 0x0
	s_barrier_signal -1
	s_barrier_wait -1
	scratch_load_b64 v[114:115], off, off offset:16
	s_mov_b32 s1, exec_lo
	s_wait_loadcnt 0x0
	ds_store_b64 v1, v[114:115]
	s_wait_dscnt 0x0
	s_barrier_signal -1
	s_barrier_wait -1
	v_cmpx_gt_u32_e32 2, v0
	s_cbranch_execz .LBB54_23
; %bb.20:
	scratch_load_b64 v[114:115], v5, off
	ds_load_b64 v[116:117], v1
	s_wait_loadcnt_dscnt 0x0
	v_pk_mul_f32 v[118:119], v[116:117], v[114:115] op_sel:[1,1] op_sel_hi:[0,1]
	s_delay_alu instid0(VALU_DEP_1) | instskip(SKIP_1) | instid1(VALU_DEP_2)
	v_pk_fma_f32 v[120:121], v[116:117], v[114:115], v[118:119] op_sel_hi:[1,0,1]
	v_pk_fma_f32 v[114:115], v[116:117], v[114:115], v[118:119] neg_lo:[0,0,1] neg_hi:[0,0,1]
	v_mov_b32_e32 v115, v121
	s_delay_alu instid0(VALU_DEP_1)
	v_pk_add_f32 v[114:115], v[114:115], 0 op_sel_hi:[1,0]
	s_and_saveexec_b32 s8, s0
	s_cbranch_execz .LBB54_22
; %bb.21:
	scratch_load_b64 v[116:117], off, off offset:8
	v_mov_b32_e32 v5, 0
	ds_load_b64 v[118:119], v5 offset:456
	s_wait_loadcnt_dscnt 0x0
	v_pk_mul_f32 v[120:121], v[118:119], v[116:117] op_sel:[1,1] op_sel_hi:[0,1]
	s_delay_alu instid0(VALU_DEP_1) | instskip(SKIP_1) | instid1(VALU_DEP_2)
	v_pk_fma_f32 v[122:123], v[118:119], v[116:117], v[120:121] op_sel_hi:[1,0,1]
	v_pk_fma_f32 v[116:117], v[118:119], v[116:117], v[120:121] neg_lo:[0,0,1] neg_hi:[0,0,1]
	v_mov_b32_e32 v117, v123
	s_delay_alu instid0(VALU_DEP_1)
	v_pk_add_f32 v[114:115], v[114:115], v[116:117]
.LBB54_22:
	s_or_b32 exec_lo, exec_lo, s8
	v_mov_b32_e32 v5, 0
	ds_load_b64 v[116:117], v5 offset:16
	s_wait_dscnt 0x0
	v_pk_mul_f32 v[118:119], v[114:115], v[116:117] op_sel:[1,1] op_sel_hi:[0,1]
	s_delay_alu instid0(VALU_DEP_1) | instskip(SKIP_1) | instid1(VALU_DEP_2)
	v_pk_fma_f32 v[120:121], v[114:115], v[116:117], v[118:119] op_sel_hi:[1,0,1]
	v_pk_fma_f32 v[114:115], v[114:115], v[116:117], v[118:119] neg_lo:[0,0,1] neg_hi:[0,0,1]
	v_mov_b32_e32 v115, v121
	scratch_store_b64 off, v[114:115], off offset:16
.LBB54_23:
	s_wait_xcnt 0x0
	s_or_b32 exec_lo, exec_lo, s1
	s_wait_storecnt 0x0
	s_barrier_signal -1
	s_barrier_wait -1
	scratch_load_b64 v[114:115], off, off offset:24
	v_add_nc_u32_e32 v5, -1, v0
	s_mov_b32 s0, exec_lo
	s_wait_loadcnt 0x0
	ds_store_b64 v1, v[114:115]
	s_wait_dscnt 0x0
	s_barrier_signal -1
	s_barrier_wait -1
	v_cmpx_gt_u32_e32 3, v0
	s_cbranch_execz .LBB54_27
; %bb.24:
	v_dual_mov_b32 v114, 0 :: v_dual_add_nc_u32 v9, -1, v0
	v_add_nc_u32_e32 v11, 0x1c0, v112
	v_mov_b32_e32 v13, v112
	s_mov_b32 s1, 0
	s_delay_alu instid0(VALU_DEP_3)
	v_mov_b32_e32 v115, v114
.LBB54_25:                              ; =>This Inner Loop Header: Depth=1
	scratch_load_b64 v[116:117], v13, off
	ds_load_b64 v[118:119], v11
	s_wait_xcnt 0x0
	v_dual_add_nc_u32 v11, 8, v11 :: v_dual_add_nc_u32 v13, 8, v13
	s_wait_loadcnt_dscnt 0x0
	v_pk_mul_f32 v[120:121], v[118:119], v[116:117] op_sel:[1,1] op_sel_hi:[0,1]
	s_delay_alu instid0(VALU_DEP_1) | instskip(SKIP_2) | instid1(VALU_DEP_3)
	v_pk_fma_f32 v[122:123], v[118:119], v[116:117], v[120:121] op_sel_hi:[1,0,1]
	v_add_nc_u32_e32 v9, 1, v9
	v_pk_fma_f32 v[116:117], v[118:119], v[116:117], v[120:121] neg_lo:[0,0,1] neg_hi:[0,0,1]
	v_mov_b32_e32 v117, v123
	s_delay_alu instid0(VALU_DEP_3) | instskip(NEXT) | instid1(VALU_DEP_2)
	v_cmp_lt_u32_e32 vcc_lo, 1, v9
	v_pk_add_f32 v[114:115], v[114:115], v[116:117]
	s_or_b32 s1, vcc_lo, s1
	s_delay_alu instid0(SALU_CYCLE_1)
	s_and_not1_b32 exec_lo, exec_lo, s1
	s_cbranch_execnz .LBB54_25
; %bb.26:
	s_or_b32 exec_lo, exec_lo, s1
	v_mov_b32_e32 v9, 0
	ds_load_b64 v[116:117], v9 offset:24
	s_wait_dscnt 0x0
	v_pk_mul_f32 v[118:119], v[114:115], v[116:117] op_sel:[1,1] op_sel_hi:[0,1]
	s_delay_alu instid0(VALU_DEP_1) | instskip(SKIP_1) | instid1(VALU_DEP_2)
	v_pk_fma_f32 v[120:121], v[114:115], v[116:117], v[118:119] op_sel_hi:[1,0,1]
	v_pk_fma_f32 v[114:115], v[114:115], v[116:117], v[118:119] neg_lo:[0,0,1] neg_hi:[0,0,1]
	v_mov_b32_e32 v115, v121
	scratch_store_b64 off, v[114:115], off offset:24
.LBB54_27:
	s_wait_xcnt 0x0
	s_or_b32 exec_lo, exec_lo, s0
	s_wait_storecnt 0x0
	s_barrier_signal -1
	s_barrier_wait -1
	scratch_load_b64 v[114:115], off, off offset:32
	s_mov_b32 s0, exec_lo
	s_wait_loadcnt 0x0
	ds_store_b64 v1, v[114:115]
	s_wait_dscnt 0x0
	s_barrier_signal -1
	s_barrier_wait -1
	v_cmpx_gt_u32_e32 4, v0
	s_cbranch_execz .LBB54_31
; %bb.28:
	v_dual_mov_b32 v114, 0 :: v_dual_add_nc_u32 v9, -1, v0
	v_add_nc_u32_e32 v11, 0x1c0, v112
	v_mov_b32_e32 v13, v112
	s_mov_b32 s1, 0
	s_delay_alu instid0(VALU_DEP_3)
	v_mov_b32_e32 v115, v114
.LBB54_29:                              ; =>This Inner Loop Header: Depth=1
	scratch_load_b64 v[116:117], v13, off
	ds_load_b64 v[118:119], v11
	s_wait_xcnt 0x0
	v_dual_add_nc_u32 v11, 8, v11 :: v_dual_add_nc_u32 v13, 8, v13
	s_wait_loadcnt_dscnt 0x0
	v_pk_mul_f32 v[120:121], v[118:119], v[116:117] op_sel:[1,1] op_sel_hi:[0,1]
	s_delay_alu instid0(VALU_DEP_1) | instskip(SKIP_2) | instid1(VALU_DEP_3)
	v_pk_fma_f32 v[122:123], v[118:119], v[116:117], v[120:121] op_sel_hi:[1,0,1]
	v_add_nc_u32_e32 v9, 1, v9
	v_pk_fma_f32 v[116:117], v[118:119], v[116:117], v[120:121] neg_lo:[0,0,1] neg_hi:[0,0,1]
	v_mov_b32_e32 v117, v123
	s_delay_alu instid0(VALU_DEP_3) | instskip(NEXT) | instid1(VALU_DEP_2)
	v_cmp_lt_u32_e32 vcc_lo, 2, v9
	v_pk_add_f32 v[114:115], v[114:115], v[116:117]
	s_or_b32 s1, vcc_lo, s1
	s_delay_alu instid0(SALU_CYCLE_1)
	s_and_not1_b32 exec_lo, exec_lo, s1
	s_cbranch_execnz .LBB54_29
; %bb.30:
	s_or_b32 exec_lo, exec_lo, s1
	v_mov_b32_e32 v9, 0
	ds_load_b64 v[116:117], v9 offset:32
	s_wait_dscnt 0x0
	v_pk_mul_f32 v[118:119], v[114:115], v[116:117] op_sel:[1,1] op_sel_hi:[0,1]
	s_delay_alu instid0(VALU_DEP_1) | instskip(SKIP_1) | instid1(VALU_DEP_2)
	v_pk_fma_f32 v[120:121], v[114:115], v[116:117], v[118:119] op_sel_hi:[1,0,1]
	v_pk_fma_f32 v[114:115], v[114:115], v[116:117], v[118:119] neg_lo:[0,0,1] neg_hi:[0,0,1]
	v_mov_b32_e32 v115, v121
	scratch_store_b64 off, v[114:115], off offset:32
.LBB54_31:
	s_wait_xcnt 0x0
	s_or_b32 exec_lo, exec_lo, s0
	s_wait_storecnt 0x0
	s_barrier_signal -1
	s_barrier_wait -1
	scratch_load_b64 v[114:115], off, off offset:40
	;; [unrolled: 52-line block ×19, first 2 shown]
	s_mov_b32 s0, exec_lo
	s_wait_loadcnt 0x0
	ds_store_b64 v1, v[114:115]
	s_wait_dscnt 0x0
	s_barrier_signal -1
	s_barrier_wait -1
	v_cmpx_gt_u32_e32 22, v0
	s_cbranch_execz .LBB54_103
; %bb.100:
	v_dual_mov_b32 v114, 0 :: v_dual_add_nc_u32 v9, -1, v0
	v_add_nc_u32_e32 v11, 0x1c0, v112
	v_mov_b32_e32 v13, v112
	s_mov_b32 s1, 0
	s_delay_alu instid0(VALU_DEP_3)
	v_mov_b32_e32 v115, v114
.LBB54_101:                             ; =>This Inner Loop Header: Depth=1
	scratch_load_b64 v[116:117], v13, off
	ds_load_b64 v[118:119], v11
	s_wait_xcnt 0x0
	v_dual_add_nc_u32 v11, 8, v11 :: v_dual_add_nc_u32 v13, 8, v13
	s_wait_loadcnt_dscnt 0x0
	v_pk_mul_f32 v[120:121], v[118:119], v[116:117] op_sel:[1,1] op_sel_hi:[0,1]
	s_delay_alu instid0(VALU_DEP_1) | instskip(SKIP_2) | instid1(VALU_DEP_3)
	v_pk_fma_f32 v[122:123], v[118:119], v[116:117], v[120:121] op_sel_hi:[1,0,1]
	v_add_nc_u32_e32 v9, 1, v9
	v_pk_fma_f32 v[116:117], v[118:119], v[116:117], v[120:121] neg_lo:[0,0,1] neg_hi:[0,0,1]
	v_mov_b32_e32 v117, v123
	s_delay_alu instid0(VALU_DEP_3) | instskip(NEXT) | instid1(VALU_DEP_2)
	v_cmp_lt_u32_e32 vcc_lo, 20, v9
	v_pk_add_f32 v[114:115], v[114:115], v[116:117]
	s_or_b32 s1, vcc_lo, s1
	s_delay_alu instid0(SALU_CYCLE_1)
	s_and_not1_b32 exec_lo, exec_lo, s1
	s_cbranch_execnz .LBB54_101
; %bb.102:
	s_or_b32 exec_lo, exec_lo, s1
	v_mov_b32_e32 v9, 0
	ds_load_b64 v[116:117], v9 offset:176
	s_wait_dscnt 0x0
	v_pk_mul_f32 v[118:119], v[114:115], v[116:117] op_sel:[1,1] op_sel_hi:[0,1]
	s_delay_alu instid0(VALU_DEP_1) | instskip(SKIP_1) | instid1(VALU_DEP_2)
	v_pk_fma_f32 v[120:121], v[114:115], v[116:117], v[118:119] op_sel_hi:[1,0,1]
	v_pk_fma_f32 v[114:115], v[114:115], v[116:117], v[118:119] neg_lo:[0,0,1] neg_hi:[0,0,1]
	v_mov_b32_e32 v115, v121
	scratch_store_b64 off, v[114:115], off offset:176
.LBB54_103:
	s_wait_xcnt 0x0
	s_or_b32 exec_lo, exec_lo, s0
	s_wait_storecnt 0x0
	s_barrier_signal -1
	s_barrier_wait -1
	scratch_load_b64 v[114:115], off, off offset:184
	s_mov_b32 s0, exec_lo
	s_wait_loadcnt 0x0
	ds_store_b64 v1, v[114:115]
	s_wait_dscnt 0x0
	s_barrier_signal -1
	s_barrier_wait -1
	v_cmpx_gt_u32_e32 23, v0
	s_cbranch_execz .LBB54_107
; %bb.104:
	v_dual_mov_b32 v114, 0 :: v_dual_add_nc_u32 v9, -1, v0
	v_add_nc_u32_e32 v11, 0x1c0, v112
	v_mov_b32_e32 v13, v112
	s_mov_b32 s1, 0
	s_delay_alu instid0(VALU_DEP_3)
	v_mov_b32_e32 v115, v114
.LBB54_105:                             ; =>This Inner Loop Header: Depth=1
	scratch_load_b64 v[116:117], v13, off
	ds_load_b64 v[118:119], v11
	s_wait_xcnt 0x0
	v_dual_add_nc_u32 v11, 8, v11 :: v_dual_add_nc_u32 v13, 8, v13
	s_wait_loadcnt_dscnt 0x0
	v_pk_mul_f32 v[120:121], v[118:119], v[116:117] op_sel:[1,1] op_sel_hi:[0,1]
	s_delay_alu instid0(VALU_DEP_1) | instskip(SKIP_2) | instid1(VALU_DEP_3)
	v_pk_fma_f32 v[122:123], v[118:119], v[116:117], v[120:121] op_sel_hi:[1,0,1]
	v_add_nc_u32_e32 v9, 1, v9
	v_pk_fma_f32 v[116:117], v[118:119], v[116:117], v[120:121] neg_lo:[0,0,1] neg_hi:[0,0,1]
	v_mov_b32_e32 v117, v123
	s_delay_alu instid0(VALU_DEP_3) | instskip(NEXT) | instid1(VALU_DEP_2)
	v_cmp_lt_u32_e32 vcc_lo, 21, v9
	v_pk_add_f32 v[114:115], v[114:115], v[116:117]
	s_or_b32 s1, vcc_lo, s1
	s_delay_alu instid0(SALU_CYCLE_1)
	s_and_not1_b32 exec_lo, exec_lo, s1
	s_cbranch_execnz .LBB54_105
; %bb.106:
	s_or_b32 exec_lo, exec_lo, s1
	v_mov_b32_e32 v9, 0
	ds_load_b64 v[116:117], v9 offset:184
	s_wait_dscnt 0x0
	v_pk_mul_f32 v[118:119], v[114:115], v[116:117] op_sel:[1,1] op_sel_hi:[0,1]
	s_delay_alu instid0(VALU_DEP_1) | instskip(SKIP_1) | instid1(VALU_DEP_2)
	v_pk_fma_f32 v[120:121], v[114:115], v[116:117], v[118:119] op_sel_hi:[1,0,1]
	v_pk_fma_f32 v[114:115], v[114:115], v[116:117], v[118:119] neg_lo:[0,0,1] neg_hi:[0,0,1]
	v_mov_b32_e32 v115, v121
	scratch_store_b64 off, v[114:115], off offset:184
.LBB54_107:
	s_wait_xcnt 0x0
	s_or_b32 exec_lo, exec_lo, s0
	s_wait_storecnt 0x0
	s_barrier_signal -1
	s_barrier_wait -1
	scratch_load_b64 v[114:115], off, off offset:192
	;; [unrolled: 52-line block ×32, first 2 shown]
	s_mov_b32 s0, exec_lo
	s_wait_loadcnt 0x0
	ds_store_b64 v1, v[114:115]
	s_wait_dscnt 0x0
	s_barrier_signal -1
	s_barrier_wait -1
	v_cmpx_ne_u32_e32 54, v0
	s_cbranch_execz .LBB54_231
; %bb.228:
	v_dual_mov_b32 v114, 0 :: v_dual_mov_b32 v9, v112
	s_mov_b32 s1, 0
	s_delay_alu instid0(VALU_DEP_1)
	v_mov_b32_e32 v115, v114
.LBB54_229:                             ; =>This Inner Loop Header: Depth=1
	scratch_load_b64 v[112:113], v9, off
	ds_load_b64 v[116:117], v1
	v_add_nc_u32_e32 v1, 8, v1
	s_wait_xcnt 0x0
	v_add_nc_u32_e32 v9, 8, v9
	s_wait_loadcnt_dscnt 0x0
	v_pk_mul_f32 v[118:119], v[116:117], v[112:113] op_sel:[1,1] op_sel_hi:[0,1]
	s_delay_alu instid0(VALU_DEP_1) | instskip(SKIP_2) | instid1(VALU_DEP_3)
	v_pk_fma_f32 v[120:121], v[116:117], v[112:113], v[118:119] op_sel_hi:[1,0,1]
	v_add_nc_u32_e32 v5, 1, v5
	v_pk_fma_f32 v[112:113], v[116:117], v[112:113], v[118:119] neg_lo:[0,0,1] neg_hi:[0,0,1]
	v_mov_b32_e32 v113, v121
	s_delay_alu instid0(VALU_DEP_3) | instskip(NEXT) | instid1(VALU_DEP_2)
	v_cmp_lt_u32_e32 vcc_lo, 52, v5
	v_pk_add_f32 v[114:115], v[114:115], v[112:113]
	s_or_b32 s1, vcc_lo, s1
	s_delay_alu instid0(SALU_CYCLE_1)
	s_and_not1_b32 exec_lo, exec_lo, s1
	s_cbranch_execnz .LBB54_229
; %bb.230:
	s_or_b32 exec_lo, exec_lo, s1
	v_mov_b32_e32 v1, 0
	ds_load_b64 v[112:113], v1 offset:432
	s_wait_dscnt 0x0
	v_pk_mul_f32 v[116:117], v[114:115], v[112:113] op_sel:[1,1] op_sel_hi:[0,1]
	s_delay_alu instid0(VALU_DEP_1) | instskip(SKIP_1) | instid1(VALU_DEP_2)
	v_pk_fma_f32 v[118:119], v[114:115], v[112:113], v[116:117] op_sel_hi:[1,0,1]
	v_pk_fma_f32 v[112:113], v[114:115], v[112:113], v[116:117] neg_lo:[0,0,1] neg_hi:[0,0,1]
	v_mov_b32_e32 v113, v119
	scratch_store_b64 off, v[112:113], off offset:432
.LBB54_231:
	s_wait_xcnt 0x0
	s_or_b32 exec_lo, exec_lo, s0
	s_mov_b32 s1, -1
	s_wait_storecnt 0x0
	s_barrier_signal -1
	s_barrier_wait -1
.LBB54_232:
	s_and_b32 vcc_lo, exec_lo, s1
	s_cbranch_vccz .LBB54_234
; %bb.233:
	v_mov_b32_e32 v1, 0
	s_lshl_b64 s[0:1], s[16:17], 2
	s_delay_alu instid0(SALU_CYCLE_1)
	s_add_nc_u64 s[0:1], s[6:7], s[0:1]
	global_load_b32 v1, v1, s[0:1]
	s_wait_loadcnt 0x0
	v_cmp_ne_u32_e32 vcc_lo, 0, v1
	s_cbranch_vccz .LBB54_235
.LBB54_234:
	s_sendmsg sendmsg(MSG_DEALLOC_VGPRS)
	s_endpgm
.LBB54_235:
	s_wait_xcnt 0x0
	v_lshl_add_u32 v1, v0, 3, 0x1c0
	s_mov_b32 s0, exec_lo
	v_cmpx_eq_u32_e32 54, v0
	s_cbranch_execz .LBB54_237
; %bb.236:
	scratch_load_b64 v[112:113], off, off offset:424
	v_mov_b64_e32 v[114:115], 0
	scratch_store_b64 off, v[114:115], off offset:424
	s_wait_loadcnt 0x0
	ds_store_b64 v1, v[112:113]
.LBB54_237:
	s_wait_xcnt 0x0
	s_or_b32 exec_lo, exec_lo, s0
	s_wait_storecnt_dscnt 0x0
	s_barrier_signal -1
	s_barrier_wait -1
	s_clause 0x1
	scratch_load_b64 v[112:113], off, off offset:432
	scratch_load_b64 v[114:115], off, off offset:424
	v_mov_b32_e32 v5, 0
	s_mov_b32 s0, exec_lo
	ds_load_b64 v[116:117], v5 offset:880
	s_wait_loadcnt_dscnt 0x100
	v_pk_mul_f32 v[118:119], v[116:117], v[112:113] op_sel:[1,1] op_sel_hi:[0,1]
	s_delay_alu instid0(VALU_DEP_1) | instskip(SKIP_1) | instid1(VALU_DEP_2)
	v_pk_fma_f32 v[120:121], v[116:117], v[112:113], v[118:119] op_sel_hi:[1,0,1]
	v_pk_fma_f32 v[112:113], v[116:117], v[112:113], v[118:119] neg_lo:[0,0,1] neg_hi:[0,0,1]
	v_mov_b32_e32 v113, v121
	s_delay_alu instid0(VALU_DEP_1) | instskip(SKIP_1) | instid1(VALU_DEP_1)
	v_pk_add_f32 v[112:113], v[112:113], 0 op_sel_hi:[1,0]
	s_wait_loadcnt 0x0
	v_pk_add_f32 v[112:113], v[114:115], v[112:113] neg_lo:[0,1] neg_hi:[0,1]
	scratch_store_b64 off, v[112:113], off offset:424
	s_wait_xcnt 0x0
	v_cmpx_lt_u32_e32 52, v0
	s_cbranch_execz .LBB54_239
; %bb.238:
	scratch_load_b64 v[112:113], off, off offset:416
	v_mov_b64_e32 v[114:115], 0
	scratch_store_b64 off, v[114:115], off offset:416
	s_wait_loadcnt 0x0
	ds_store_b64 v1, v[112:113]
.LBB54_239:
	s_wait_xcnt 0x0
	s_or_b32 exec_lo, exec_lo, s0
	s_wait_storecnt_dscnt 0x0
	s_barrier_signal -1
	s_barrier_wait -1
	s_clause 0x1
	scratch_load_b128 v[112:115], off, off offset:424
	scratch_load_b64 v[120:121], off, off offset:416
	ds_load_2addr_b64 v[116:119], v5 offset0:109 offset1:110
	s_mov_b32 s0, exec_lo
	s_wait_dscnt 0x0
	v_dual_mov_b32 v122, v119 :: v_dual_mov_b32 v123, v118
	s_wait_loadcnt 0x1
	v_pk_mul_f32 v[124:125], v[116:117], v[112:113] op_sel:[1,1] op_sel_hi:[0,1]
	s_delay_alu instid0(VALU_DEP_1) | instskip(SKIP_2) | instid1(VALU_DEP_3)
	v_pk_fma_f32 v[128:129], v[116:117], v[112:113], v[124:125] op_sel_hi:[1,0,1]
	v_mov_b32_e32 v126, v115
	v_pk_fma_f32 v[112:113], v[116:117], v[112:113], v[124:125] neg_lo:[0,0,1] neg_hi:[0,0,1]
	v_mov_b32_e32 v113, v129
	s_delay_alu instid0(VALU_DEP_3) | instskip(NEXT) | instid1(VALU_DEP_2)
	v_pk_mul_f32 v[122:123], v[122:123], v[126:127] op_sel_hi:[1,0]
	v_pk_add_f32 v[112:113], v[112:113], 0 op_sel_hi:[1,0]
	s_delay_alu instid0(VALU_DEP_2) | instskip(SKIP_1) | instid1(VALU_DEP_2)
	v_pk_fma_f32 v[116:117], v[118:119], v[114:115], v[122:123] op_sel_hi:[1,0,1]
	v_pk_fma_f32 v[114:115], v[118:119], v[114:115], v[122:123] neg_lo:[0,0,1] neg_hi:[0,0,1]
	v_mov_b32_e32 v115, v117
	s_delay_alu instid0(VALU_DEP_1) | instskip(SKIP_1) | instid1(VALU_DEP_1)
	v_pk_add_f32 v[112:113], v[112:113], v[114:115]
	s_wait_loadcnt 0x0
	v_pk_add_f32 v[112:113], v[120:121], v[112:113] neg_lo:[0,1] neg_hi:[0,1]
	scratch_store_b64 off, v[112:113], off offset:416
	s_wait_xcnt 0x0
	v_cmpx_lt_u32_e32 51, v0
	s_cbranch_execz .LBB54_241
; %bb.240:
	scratch_load_b64 v[112:113], off, off offset:408
	v_mov_b64_e32 v[114:115], 0
	scratch_store_b64 off, v[114:115], off offset:408
	s_wait_loadcnt 0x0
	ds_store_b64 v1, v[112:113]
.LBB54_241:
	s_wait_xcnt 0x0
	s_or_b32 exec_lo, exec_lo, s0
	s_wait_storecnt_dscnt 0x0
	s_barrier_signal -1
	s_barrier_wait -1
	s_clause 0x2
	scratch_load_b128 v[112:115], off, off offset:416
	scratch_load_b64 v[120:121], off, off offset:432
	scratch_load_b64 v[122:123], off, off offset:408
	v_mov_b32_e32 v5, 0
	ds_load_b128 v[116:119], v5 offset:864
	ds_load_b64 v[124:125], v5 offset:880
	s_mov_b32 s0, exec_lo
	s_wait_dscnt 0x1
	v_dual_mov_b32 v126, v119 :: v_dual_mov_b32 v127, v118
	s_wait_loadcnt 0x2
	v_mov_b32_e32 v130, v115
	v_pk_mul_f32 v[128:129], v[116:117], v[112:113] op_sel:[1,1] op_sel_hi:[0,1]
	s_delay_alu instid0(VALU_DEP_2) | instskip(NEXT) | instid1(VALU_DEP_2)
	v_pk_mul_f32 v[126:127], v[126:127], v[130:131] op_sel_hi:[1,0]
	v_pk_fma_f32 v[132:133], v[116:117], v[112:113], v[128:129] op_sel_hi:[1,0,1]
	v_pk_fma_f32 v[112:113], v[116:117], v[112:113], v[128:129] neg_lo:[0,0,1] neg_hi:[0,0,1]
	s_wait_loadcnt_dscnt 0x100
	v_pk_mul_f32 v[128:129], v[124:125], v[120:121] op_sel:[1,1] op_sel_hi:[0,1]
	v_pk_fma_f32 v[116:117], v[118:119], v[114:115], v[126:127] op_sel_hi:[1,0,1]
	v_mov_b32_e32 v113, v133
	v_pk_fma_f32 v[114:115], v[118:119], v[114:115], v[126:127] neg_lo:[0,0,1] neg_hi:[0,0,1]
	s_delay_alu instid0(VALU_DEP_4) | instskip(NEXT) | instid1(VALU_DEP_4)
	v_pk_fma_f32 v[118:119], v[124:125], v[120:121], v[128:129] neg_lo:[0,0,1] neg_hi:[0,0,1]
	v_mov_b32_e32 v115, v117
	s_delay_alu instid0(VALU_DEP_4) | instskip(SKIP_1) | instid1(VALU_DEP_2)
	v_pk_add_f32 v[112:113], v[112:113], 0 op_sel_hi:[1,0]
	v_pk_fma_f32 v[116:117], v[124:125], v[120:121], v[128:129] op_sel_hi:[1,0,1]
	v_pk_add_f32 v[112:113], v[112:113], v[114:115]
	s_delay_alu instid0(VALU_DEP_2) | instskip(NEXT) | instid1(VALU_DEP_1)
	v_mov_b32_e32 v119, v117
	v_pk_add_f32 v[112:113], v[112:113], v[118:119]
	s_wait_loadcnt 0x0
	s_delay_alu instid0(VALU_DEP_1)
	v_pk_add_f32 v[112:113], v[122:123], v[112:113] neg_lo:[0,1] neg_hi:[0,1]
	scratch_store_b64 off, v[112:113], off offset:408
	s_wait_xcnt 0x0
	v_cmpx_lt_u32_e32 50, v0
	s_cbranch_execz .LBB54_243
; %bb.242:
	scratch_load_b64 v[112:113], off, off offset:400
	v_mov_b64_e32 v[114:115], 0
	scratch_store_b64 off, v[114:115], off offset:400
	s_wait_loadcnt 0x0
	ds_store_b64 v1, v[112:113]
.LBB54_243:
	s_wait_xcnt 0x0
	s_or_b32 exec_lo, exec_lo, s0
	s_wait_storecnt_dscnt 0x0
	s_barrier_signal -1
	s_barrier_wait -1
	s_clause 0x2
	scratch_load_b128 v[112:115], off, off offset:408
	scratch_load_b128 v[116:119], off, off offset:424
	scratch_load_b64 v[128:129], off, off offset:400
	ds_load_2addr_b64 v[120:123], v5 offset0:107 offset1:108
	ds_load_2addr_b64 v[124:127], v5 offset0:109 offset1:110
	s_mov_b32 s0, exec_lo
	s_wait_dscnt 0x1
	v_dual_mov_b32 v130, v123 :: v_dual_mov_b32 v131, v122
	s_wait_loadcnt_dscnt 0x200
	v_dual_mov_b32 v136, v127 :: v_dual_mov_b32 v134, v115
	v_pk_mul_f32 v[132:133], v[120:121], v[112:113] op_sel:[1,1] op_sel_hi:[0,1]
	s_delay_alu instid0(VALU_DEP_2) | instskip(NEXT) | instid1(VALU_DEP_2)
	v_pk_mul_f32 v[130:131], v[130:131], v[134:135] op_sel_hi:[1,0]
	v_pk_fma_f32 v[138:139], v[120:121], v[112:113], v[132:133] op_sel_hi:[1,0,1]
	v_pk_fma_f32 v[112:113], v[120:121], v[112:113], v[132:133] neg_lo:[0,0,1] neg_hi:[0,0,1]
	v_mov_b32_e32 v137, v126
	s_wait_loadcnt 0x1
	v_pk_mul_f32 v[134:135], v[124:125], v[116:117] op_sel:[1,1] op_sel_hi:[0,1]
	v_pk_fma_f32 v[120:121], v[122:123], v[114:115], v[130:131] op_sel_hi:[1,0,1]
	v_dual_mov_b32 v113, v139 :: v_dual_mov_b32 v120, v119
	v_pk_fma_f32 v[114:115], v[122:123], v[114:115], v[130:131] neg_lo:[0,0,1] neg_hi:[0,0,1]
	s_delay_alu instid0(VALU_DEP_4) | instskip(NEXT) | instid1(VALU_DEP_4)
	v_pk_fma_f32 v[132:133], v[124:125], v[116:117], v[134:135] op_sel_hi:[1,0,1]
	v_mov_b32_e32 v115, v121
	s_delay_alu instid0(VALU_DEP_4) | instskip(SKIP_2) | instid1(VALU_DEP_3)
	v_pk_add_f32 v[112:113], v[112:113], 0 op_sel_hi:[1,0]
	v_pk_mul_f32 v[120:121], v[136:137], v[120:121] op_sel_hi:[1,0]
	v_pk_fma_f32 v[116:117], v[124:125], v[116:117], v[134:135] neg_lo:[0,0,1] neg_hi:[0,0,1]
	v_pk_add_f32 v[112:113], v[112:113], v[114:115]
	s_delay_alu instid0(VALU_DEP_3) | instskip(SKIP_2) | instid1(VALU_DEP_3)
	v_pk_fma_f32 v[114:115], v[126:127], v[118:119], v[120:121] op_sel_hi:[1,0,1]
	v_mov_b32_e32 v117, v133
	v_pk_fma_f32 v[118:119], v[126:127], v[118:119], v[120:121] neg_lo:[0,0,1] neg_hi:[0,0,1]
	v_mov_b32_e32 v119, v115
	s_delay_alu instid0(VALU_DEP_3) | instskip(NEXT) | instid1(VALU_DEP_1)
	v_pk_add_f32 v[112:113], v[112:113], v[116:117]
	v_pk_add_f32 v[112:113], v[112:113], v[118:119]
	s_wait_loadcnt 0x0
	s_delay_alu instid0(VALU_DEP_1)
	v_pk_add_f32 v[112:113], v[128:129], v[112:113] neg_lo:[0,1] neg_hi:[0,1]
	scratch_store_b64 off, v[112:113], off offset:400
	s_wait_xcnt 0x0
	v_cmpx_lt_u32_e32 49, v0
	s_cbranch_execz .LBB54_245
; %bb.244:
	scratch_load_b64 v[112:113], off, off offset:392
	v_mov_b64_e32 v[114:115], 0
	scratch_store_b64 off, v[114:115], off offset:392
	s_wait_loadcnt 0x0
	ds_store_b64 v1, v[112:113]
.LBB54_245:
	s_wait_xcnt 0x0
	s_or_b32 exec_lo, exec_lo, s0
	s_wait_storecnt_dscnt 0x0
	s_barrier_signal -1
	s_barrier_wait -1
	s_clause 0x3
	scratch_load_b128 v[112:115], off, off offset:400
	scratch_load_b128 v[116:119], off, off offset:416
	scratch_load_b64 v[128:129], off, off offset:432
	scratch_load_b64 v[130:131], off, off offset:392
	v_mov_b32_e32 v5, 0
	ds_load_b128 v[120:123], v5 offset:848
	ds_load_b128 v[124:127], v5 offset:864
	s_mov_b32 s0, exec_lo
	s_wait_dscnt 0x1
	v_dual_mov_b32 v132, v123 :: v_dual_mov_b32 v133, v122
	ds_load_b64 v[138:139], v5 offset:880
	s_wait_dscnt 0x1
	v_dual_mov_b32 v140, v127 :: v_dual_mov_b32 v141, v126
	s_wait_loadcnt 0x3
	v_pk_mul_f32 v[134:135], v[120:121], v[112:113] op_sel:[1,1] op_sel_hi:[0,1]
	v_mov_b32_e32 v136, v115
	s_delay_alu instid0(VALU_DEP_2) | instskip(NEXT) | instid1(VALU_DEP_2)
	v_pk_fma_f32 v[142:143], v[120:121], v[112:113], v[134:135] op_sel_hi:[1,0,1]
	v_pk_mul_f32 v[132:133], v[132:133], v[136:137] op_sel_hi:[1,0]
	v_pk_fma_f32 v[112:113], v[120:121], v[112:113], v[134:135] neg_lo:[0,0,1] neg_hi:[0,0,1]
	s_wait_loadcnt 0x2
	v_pk_mul_f32 v[136:137], v[124:125], v[116:117] op_sel:[1,1] op_sel_hi:[0,1]
	v_dual_mov_b32 v142, v119 :: v_dual_mov_b32 v113, v143
	v_pk_fma_f32 v[120:121], v[122:123], v[114:115], v[132:133] op_sel_hi:[1,0,1]
	v_pk_fma_f32 v[114:115], v[122:123], v[114:115], v[132:133] neg_lo:[0,0,1] neg_hi:[0,0,1]
	s_delay_alu instid0(VALU_DEP_4) | instskip(NEXT) | instid1(VALU_DEP_4)
	v_pk_fma_f32 v[134:135], v[124:125], v[116:117], v[136:137] op_sel_hi:[1,0,1]
	v_pk_mul_f32 v[140:141], v[140:141], v[142:143] op_sel_hi:[1,0]
	v_pk_add_f32 v[112:113], v[112:113], 0 op_sel_hi:[1,0]
	v_mov_b32_e32 v115, v121
	v_pk_fma_f32 v[116:117], v[124:125], v[116:117], v[136:137] neg_lo:[0,0,1] neg_hi:[0,0,1]
	v_mov_b32_e32 v117, v135
	v_pk_fma_f32 v[120:121], v[126:127], v[118:119], v[140:141] op_sel_hi:[1,0,1]
	v_pk_fma_f32 v[118:119], v[126:127], v[118:119], v[140:141] neg_lo:[0,0,1] neg_hi:[0,0,1]
	v_pk_add_f32 v[112:113], v[112:113], v[114:115]
	s_wait_loadcnt_dscnt 0x100
	v_pk_mul_f32 v[114:115], v[138:139], v[128:129] op_sel:[1,1] op_sel_hi:[0,1]
	s_delay_alu instid0(VALU_DEP_2) | instskip(NEXT) | instid1(VALU_DEP_2)
	v_pk_add_f32 v[112:113], v[112:113], v[116:117]
	v_pk_fma_f32 v[116:117], v[138:139], v[128:129], v[114:115] op_sel_hi:[1,0,1]
	v_mov_b32_e32 v119, v121
	v_pk_fma_f32 v[114:115], v[138:139], v[128:129], v[114:115] neg_lo:[0,0,1] neg_hi:[0,0,1]
	s_delay_alu instid0(VALU_DEP_3) | instskip(NEXT) | instid1(VALU_DEP_3)
	v_mov_b32_e32 v115, v117
	v_pk_add_f32 v[112:113], v[112:113], v[118:119]
	s_delay_alu instid0(VALU_DEP_1) | instskip(SKIP_1) | instid1(VALU_DEP_1)
	v_pk_add_f32 v[112:113], v[112:113], v[114:115]
	s_wait_loadcnt 0x0
	v_pk_add_f32 v[112:113], v[130:131], v[112:113] neg_lo:[0,1] neg_hi:[0,1]
	scratch_store_b64 off, v[112:113], off offset:392
	s_wait_xcnt 0x0
	v_cmpx_lt_u32_e32 48, v0
	s_cbranch_execz .LBB54_247
; %bb.246:
	scratch_load_b64 v[112:113], off, off offset:384
	v_mov_b64_e32 v[114:115], 0
	scratch_store_b64 off, v[114:115], off offset:384
	s_wait_loadcnt 0x0
	ds_store_b64 v1, v[112:113]
.LBB54_247:
	s_wait_xcnt 0x0
	s_or_b32 exec_lo, exec_lo, s0
	s_wait_storecnt_dscnt 0x0
	s_barrier_signal -1
	s_barrier_wait -1
	s_clause 0x3
	scratch_load_b128 v[112:115], off, off offset:392
	scratch_load_b128 v[116:119], off, off offset:408
	scratch_load_b128 v[120:123], off, off offset:424
	scratch_load_b64 v[136:137], off, off offset:384
	ds_load_2addr_b64 v[124:127], v5 offset0:105 offset1:106
	ds_load_2addr_b64 v[128:131], v5 offset0:107 offset1:108
	;; [unrolled: 1-line block ×3, first 2 shown]
	s_mov_b32 s0, exec_lo
	s_wait_dscnt 0x2
	v_dual_mov_b32 v138, v127 :: v_dual_mov_b32 v139, v126
	s_wait_dscnt 0x1
	v_dual_mov_b32 v140, v131 :: v_dual_mov_b32 v141, v130
	;; [unrolled: 2-line block ×3, first 2 shown]
	s_wait_loadcnt 0x3
	v_pk_mul_f32 v[142:143], v[124:125], v[112:113] op_sel:[1,1] op_sel_hi:[0,1]
	v_mov_b32_e32 v144, v115
	s_delay_alu instid0(VALU_DEP_2) | instskip(NEXT) | instid1(VALU_DEP_2)
	v_pk_fma_f32 v[148:149], v[124:125], v[112:113], v[142:143] op_sel_hi:[1,0,1]
	v_pk_mul_f32 v[138:139], v[138:139], v[144:145] op_sel_hi:[1,0]
	v_pk_fma_f32 v[112:113], v[124:125], v[112:113], v[142:143] neg_lo:[0,0,1] neg_hi:[0,0,1]
	s_wait_loadcnt 0x2
	v_pk_mul_f32 v[144:145], v[128:129], v[116:117] op_sel:[1,1] op_sel_hi:[0,1]
	v_mov_b32_e32 v148, v119
	v_pk_fma_f32 v[124:125], v[126:127], v[114:115], v[138:139] op_sel_hi:[1,0,1]
	v_mov_b32_e32 v113, v149
	v_pk_fma_f32 v[114:115], v[126:127], v[114:115], v[138:139] neg_lo:[0,0,1] neg_hi:[0,0,1]
	v_pk_fma_f32 v[142:143], v[128:129], v[116:117], v[144:145] op_sel_hi:[1,0,1]
	v_pk_mul_f32 v[140:141], v[140:141], v[148:149] op_sel_hi:[1,0]
	v_mov_b32_e32 v115, v125
	v_pk_add_f32 v[112:113], v[112:113], 0 op_sel_hi:[1,0]
	v_pk_fma_f32 v[116:117], v[128:129], v[116:117], v[144:145] neg_lo:[0,0,1] neg_hi:[0,0,1]
	s_wait_loadcnt 0x1
	v_pk_mul_f32 v[124:125], v[132:133], v[120:121] op_sel:[1,1] op_sel_hi:[0,1]
	v_mov_b32_e32 v117, v143
	v_pk_fma_f32 v[126:127], v[130:131], v[118:119], v[140:141] op_sel_hi:[1,0,1]
	v_pk_add_f32 v[112:113], v[112:113], v[114:115]
	v_mov_b32_e32 v114, v123
	v_pk_fma_f32 v[118:119], v[130:131], v[118:119], v[140:141] neg_lo:[0,0,1] neg_hi:[0,0,1]
	v_pk_fma_f32 v[128:129], v[132:133], v[120:121], v[124:125] op_sel_hi:[1,0,1]
	v_mov_b32_e32 v119, v127
	v_pk_add_f32 v[112:113], v[112:113], v[116:117]
	v_pk_mul_f32 v[114:115], v[146:147], v[114:115] op_sel_hi:[1,0]
	v_pk_fma_f32 v[116:117], v[132:133], v[120:121], v[124:125] neg_lo:[0,0,1] neg_hi:[0,0,1]
	v_mov_b32_e32 v117, v129
	s_delay_alu instid0(VALU_DEP_4) | instskip(NEXT) | instid1(VALU_DEP_4)
	v_pk_add_f32 v[112:113], v[112:113], v[118:119]
	v_pk_fma_f32 v[118:119], v[134:135], v[122:123], v[114:115] op_sel_hi:[1,0,1]
	v_pk_fma_f32 v[114:115], v[134:135], v[122:123], v[114:115] neg_lo:[0,0,1] neg_hi:[0,0,1]
	s_delay_alu instid0(VALU_DEP_3) | instskip(NEXT) | instid1(VALU_DEP_3)
	v_pk_add_f32 v[112:113], v[112:113], v[116:117]
	v_mov_b32_e32 v115, v119
	s_delay_alu instid0(VALU_DEP_1) | instskip(SKIP_1) | instid1(VALU_DEP_1)
	v_pk_add_f32 v[112:113], v[112:113], v[114:115]
	s_wait_loadcnt 0x0
	v_pk_add_f32 v[112:113], v[136:137], v[112:113] neg_lo:[0,1] neg_hi:[0,1]
	scratch_store_b64 off, v[112:113], off offset:384
	s_wait_xcnt 0x0
	v_cmpx_lt_u32_e32 47, v0
	s_cbranch_execz .LBB54_249
; %bb.248:
	scratch_load_b64 v[112:113], off, off offset:376
	v_mov_b64_e32 v[114:115], 0
	scratch_store_b64 off, v[114:115], off offset:376
	s_wait_loadcnt 0x0
	ds_store_b64 v1, v[112:113]
.LBB54_249:
	s_wait_xcnt 0x0
	s_or_b32 exec_lo, exec_lo, s0
	s_wait_storecnt_dscnt 0x0
	s_barrier_signal -1
	s_barrier_wait -1
	s_clause 0x4
	scratch_load_b128 v[112:115], off, off offset:384
	scratch_load_b128 v[116:119], off, off offset:400
	scratch_load_b128 v[120:123], off, off offset:416
	scratch_load_b64 v[136:137], off, off offset:432
	scratch_load_b64 v[138:139], off, off offset:376
	v_mov_b32_e32 v5, 0
	ds_load_b128 v[124:127], v5 offset:832
	ds_load_b128 v[128:131], v5 offset:848
	;; [unrolled: 1-line block ×3, first 2 shown]
	ds_load_b64 v[140:141], v5 offset:880
	s_mov_b32 s0, exec_lo
	s_wait_dscnt 0x3
	v_dual_mov_b32 v142, v127 :: v_dual_mov_b32 v143, v126
	s_wait_dscnt 0x2
	v_dual_mov_b32 v144, v131 :: v_dual_mov_b32 v145, v130
	;; [unrolled: 2-line block ×3, first 2 shown]
	s_wait_loadcnt 0x4
	v_pk_mul_f32 v[146:147], v[124:125], v[112:113] op_sel:[1,1] op_sel_hi:[0,1]
	v_mov_b32_e32 v148, v115
	s_wait_loadcnt 0x3
	v_pk_mul_f32 v[152:153], v[128:129], v[116:117] op_sel:[1,1] op_sel_hi:[0,1]
	s_wait_loadcnt 0x2
	v_pk_mul_f32 v[156:157], v[132:133], v[120:121] op_sel:[1,1] op_sel_hi:[0,1]
	v_pk_fma_f32 v[154:155], v[124:125], v[112:113], v[146:147] op_sel_hi:[1,0,1]
	v_pk_mul_f32 v[142:143], v[142:143], v[148:149] op_sel_hi:[1,0]
	v_pk_fma_f32 v[112:113], v[124:125], v[112:113], v[146:147] neg_lo:[0,0,1] neg_hi:[0,0,1]
	v_mov_b32_e32 v148, v119
	v_pk_fma_f32 v[146:147], v[128:129], v[116:117], v[152:153] op_sel_hi:[1,0,1]
	v_mov_b32_e32 v113, v155
	v_pk_fma_f32 v[124:125], v[126:127], v[114:115], v[142:143] op_sel_hi:[1,0,1]
	v_pk_fma_f32 v[114:115], v[126:127], v[114:115], v[142:143] neg_lo:[0,0,1] neg_hi:[0,0,1]
	v_pk_mul_f32 v[144:145], v[144:145], v[148:149] op_sel_hi:[1,0]
	v_pk_fma_f32 v[116:117], v[128:129], v[116:117], v[152:153] neg_lo:[0,0,1] neg_hi:[0,0,1]
	v_pk_add_f32 v[112:113], v[112:113], 0 op_sel_hi:[1,0]
	v_dual_mov_b32 v115, v125 :: v_dual_mov_b32 v124, v123
	s_delay_alu instid0(VALU_DEP_4) | instskip(SKIP_2) | instid1(VALU_DEP_4)
	v_pk_fma_f32 v[126:127], v[130:131], v[118:119], v[144:145] op_sel_hi:[1,0,1]
	v_mov_b32_e32 v117, v147
	v_pk_fma_f32 v[118:119], v[130:131], v[118:119], v[144:145] neg_lo:[0,0,1] neg_hi:[0,0,1]
	v_pk_add_f32 v[112:113], v[112:113], v[114:115]
	v_pk_fma_f32 v[114:115], v[132:133], v[120:121], v[156:157] op_sel_hi:[1,0,1]
	v_pk_mul_f32 v[124:125], v[150:151], v[124:125] op_sel_hi:[1,0]
	v_mov_b32_e32 v119, v127
	s_delay_alu instid0(VALU_DEP_4)
	v_pk_add_f32 v[112:113], v[112:113], v[116:117]
	v_pk_fma_f32 v[116:117], v[132:133], v[120:121], v[156:157] neg_lo:[0,0,1] neg_hi:[0,0,1]
	v_mov_b32_e32 v117, v115
	v_pk_fma_f32 v[114:115], v[134:135], v[122:123], v[124:125] op_sel_hi:[1,0,1]
	v_pk_fma_f32 v[120:121], v[134:135], v[122:123], v[124:125] neg_lo:[0,0,1] neg_hi:[0,0,1]
	v_pk_add_f32 v[112:113], v[112:113], v[118:119]
	s_wait_loadcnt_dscnt 0x100
	v_pk_mul_f32 v[118:119], v[140:141], v[136:137] op_sel:[1,1] op_sel_hi:[0,1]
	v_mov_b32_e32 v121, v115
	s_delay_alu instid0(VALU_DEP_3) | instskip(NEXT) | instid1(VALU_DEP_3)
	v_pk_add_f32 v[112:113], v[112:113], v[116:117]
	v_pk_fma_f32 v[114:115], v[140:141], v[136:137], v[118:119] op_sel_hi:[1,0,1]
	v_pk_fma_f32 v[116:117], v[140:141], v[136:137], v[118:119] neg_lo:[0,0,1] neg_hi:[0,0,1]
	s_delay_alu instid0(VALU_DEP_3) | instskip(NEXT) | instid1(VALU_DEP_3)
	v_pk_add_f32 v[112:113], v[112:113], v[120:121]
	v_mov_b32_e32 v117, v115
	s_delay_alu instid0(VALU_DEP_1) | instskip(SKIP_1) | instid1(VALU_DEP_1)
	v_pk_add_f32 v[112:113], v[112:113], v[116:117]
	s_wait_loadcnt 0x0
	v_pk_add_f32 v[112:113], v[138:139], v[112:113] neg_lo:[0,1] neg_hi:[0,1]
	scratch_store_b64 off, v[112:113], off offset:376
	s_wait_xcnt 0x0
	v_cmpx_lt_u32_e32 46, v0
	s_cbranch_execz .LBB54_251
; %bb.250:
	scratch_load_b64 v[112:113], off, off offset:368
	v_mov_b64_e32 v[114:115], 0
	scratch_store_b64 off, v[114:115], off offset:368
	s_wait_loadcnt 0x0
	ds_store_b64 v1, v[112:113]
.LBB54_251:
	s_wait_xcnt 0x0
	s_or_b32 exec_lo, exec_lo, s0
	s_wait_storecnt_dscnt 0x0
	s_barrier_signal -1
	s_barrier_wait -1
	s_clause 0x4
	scratch_load_b128 v[112:115], off, off offset:376
	scratch_load_b128 v[116:119], off, off offset:392
	;; [unrolled: 1-line block ×4, first 2 shown]
	scratch_load_b64 v[144:145], off, off offset:368
	ds_load_2addr_b64 v[128:131], v5 offset0:103 offset1:104
	ds_load_2addr_b64 v[132:135], v5 offset0:105 offset1:106
	ds_load_2addr_b64 v[136:139], v5 offset0:107 offset1:108
	ds_load_2addr_b64 v[140:143], v5 offset0:109 offset1:110
	s_mov_b32 s0, exec_lo
	s_wait_dscnt 0x3
	v_dual_mov_b32 v146, v131 :: v_dual_mov_b32 v147, v130
	s_wait_dscnt 0x2
	v_dual_mov_b32 v148, v135 :: v_dual_mov_b32 v149, v134
	;; [unrolled: 2-line block ×3, first 2 shown]
	v_dual_mov_b32 v151, v138 :: v_dual_mov_b32 v156, v143
	s_wait_loadcnt 0x4
	v_mov_b32_e32 v154, v115
	v_pk_mul_f32 v[152:153], v[128:129], v[112:113] op_sel:[1,1] op_sel_hi:[0,1]
	s_wait_loadcnt 0x3
	v_pk_mul_f32 v[158:159], v[132:133], v[116:117] op_sel:[1,1] op_sel_hi:[0,1]
	s_wait_loadcnt 0x2
	v_pk_mul_f32 v[162:163], v[136:137], v[120:121] op_sel:[1,1] op_sel_hi:[0,1]
	v_pk_mul_f32 v[146:147], v[146:147], v[154:155] op_sel_hi:[1,0]
	v_pk_fma_f32 v[160:161], v[128:129], v[112:113], v[152:153] op_sel_hi:[1,0,1]
	v_pk_fma_f32 v[112:113], v[128:129], v[112:113], v[152:153] neg_lo:[0,0,1] neg_hi:[0,0,1]
	v_mov_b32_e32 v154, v119
	v_pk_fma_f32 v[152:153], v[132:133], v[116:117], v[158:159] op_sel_hi:[1,0,1]
	v_pk_fma_f32 v[128:129], v[130:131], v[114:115], v[146:147] op_sel_hi:[1,0,1]
	v_mov_b32_e32 v113, v161
	v_pk_fma_f32 v[114:115], v[130:131], v[114:115], v[146:147] neg_lo:[0,0,1] neg_hi:[0,0,1]
	v_pk_mul_f32 v[148:149], v[148:149], v[154:155] op_sel_hi:[1,0]
	s_delay_alu instid0(VALU_DEP_4) | instskip(NEXT) | instid1(VALU_DEP_4)
	v_dual_mov_b32 v128, v123 :: v_dual_mov_b32 v115, v129
	v_pk_add_f32 v[112:113], v[112:113], 0 op_sel_hi:[1,0]
	v_pk_fma_f32 v[116:117], v[132:133], v[116:117], v[158:159] neg_lo:[0,0,1] neg_hi:[0,0,1]
	v_mov_b32_e32 v117, v153
	v_pk_fma_f32 v[130:131], v[134:135], v[118:119], v[148:149] op_sel_hi:[1,0,1]
	v_pk_mul_f32 v[128:129], v[150:151], v[128:129] op_sel_hi:[1,0]
	v_pk_add_f32 v[112:113], v[112:113], v[114:115]
	v_pk_fma_f32 v[114:115], v[136:137], v[120:121], v[162:163] op_sel_hi:[1,0,1]
	v_pk_fma_f32 v[118:119], v[134:135], v[118:119], v[148:149] neg_lo:[0,0,1] neg_hi:[0,0,1]
	v_mov_b32_e32 v119, v131
	v_pk_fma_f32 v[120:121], v[136:137], v[120:121], v[162:163] neg_lo:[0,0,1] neg_hi:[0,0,1]
	v_pk_add_f32 v[112:113], v[112:113], v[116:117]
	v_mov_b32_e32 v121, v115
	v_pk_fma_f32 v[114:115], v[138:139], v[122:123], v[128:129] op_sel_hi:[1,0,1]
	s_wait_loadcnt 0x1
	v_pk_mul_f32 v[116:117], v[140:141], v[124:125] op_sel:[1,1] op_sel_hi:[0,1]
	v_mov_b32_e32 v114, v127
	v_pk_add_f32 v[112:113], v[112:113], v[118:119]
	v_pk_fma_f32 v[122:123], v[138:139], v[122:123], v[128:129] neg_lo:[0,0,1] neg_hi:[0,0,1]
	v_mov_b32_e32 v123, v115
	v_pk_fma_f32 v[118:119], v[140:141], v[124:125], v[116:117] op_sel_hi:[1,0,1]
	v_pk_mul_f32 v[114:115], v[156:157], v[114:115] op_sel_hi:[1,0]
	v_pk_add_f32 v[112:113], v[112:113], v[120:121]
	v_pk_fma_f32 v[116:117], v[140:141], v[124:125], v[116:117] neg_lo:[0,0,1] neg_hi:[0,0,1]
	s_delay_alu instid0(VALU_DEP_4) | instskip(NEXT) | instid1(VALU_DEP_4)
	v_mov_b32_e32 v117, v119
	v_pk_fma_f32 v[118:119], v[142:143], v[126:127], v[114:115] op_sel_hi:[1,0,1]
	s_delay_alu instid0(VALU_DEP_4) | instskip(SKIP_1) | instid1(VALU_DEP_3)
	v_pk_add_f32 v[112:113], v[112:113], v[122:123]
	v_pk_fma_f32 v[114:115], v[142:143], v[126:127], v[114:115] neg_lo:[0,0,1] neg_hi:[0,0,1]
	v_mov_b32_e32 v115, v119
	s_delay_alu instid0(VALU_DEP_3) | instskip(NEXT) | instid1(VALU_DEP_1)
	v_pk_add_f32 v[112:113], v[112:113], v[116:117]
	v_pk_add_f32 v[112:113], v[112:113], v[114:115]
	s_wait_loadcnt 0x0
	s_delay_alu instid0(VALU_DEP_1)
	v_pk_add_f32 v[112:113], v[144:145], v[112:113] neg_lo:[0,1] neg_hi:[0,1]
	scratch_store_b64 off, v[112:113], off offset:368
	s_wait_xcnt 0x0
	v_cmpx_lt_u32_e32 45, v0
	s_cbranch_execz .LBB54_253
; %bb.252:
	scratch_load_b64 v[112:113], off, off offset:360
	v_mov_b64_e32 v[114:115], 0
	scratch_store_b64 off, v[114:115], off offset:360
	s_wait_loadcnt 0x0
	ds_store_b64 v1, v[112:113]
.LBB54_253:
	s_wait_xcnt 0x0
	s_or_b32 exec_lo, exec_lo, s0
	s_wait_storecnt_dscnt 0x0
	s_barrier_signal -1
	s_barrier_wait -1
	s_clause 0x5
	scratch_load_b128 v[112:115], off, off offset:368
	scratch_load_b128 v[116:119], off, off offset:384
	;; [unrolled: 1-line block ×4, first 2 shown]
	scratch_load_b64 v[144:145], off, off offset:432
	scratch_load_b64 v[146:147], off, off offset:360
	v_mov_b32_e32 v5, 0
	ds_load_b128 v[128:131], v5 offset:816
	ds_load_b128 v[132:135], v5 offset:832
	;; [unrolled: 1-line block ×4, first 2 shown]
	ds_load_b64 v[148:149], v5 offset:880
	s_mov_b32 s0, exec_lo
	s_wait_dscnt 0x4
	v_dual_mov_b32 v150, v131 :: v_dual_mov_b32 v151, v130
	s_wait_dscnt 0x1
	v_dual_mov_b32 v152, v135 :: v_dual_mov_b32 v157, v142
	v_dual_mov_b32 v153, v134 :: v_dual_mov_b32 v154, v139
	;; [unrolled: 1-line block ×3, first 2 shown]
	s_wait_loadcnt 0x5
	v_dual_mov_b32 v158, v115 :: v_dual_mul_f32 v159, v128, v113
	v_mul_f32_e32 v9, v129, v113
	s_wait_loadcnt 0x4
	v_pk_mul_f32 v[160:161], v[132:133], v[116:117] op_sel:[1,1] op_sel_hi:[0,1]
	v_mov_b32_e32 v162, v119
	s_wait_loadcnt 0x3
	v_pk_mul_f32 v[164:165], v[136:137], v[120:121] op_sel:[1,1] op_sel_hi:[0,1]
	v_pk_mul_f32 v[150:151], v[150:151], v[158:159] op_sel_hi:[1,0]
	v_dual_fmac_f32 v159, v129, v112 :: v_dual_fma_f32 v158, v128, v112, -v9
	v_mov_b32_e32 v112, v123
	v_pk_fma_f32 v[166:167], v[132:133], v[116:117], v[160:161] op_sel_hi:[1,0,1]
	s_delay_alu instid0(VALU_DEP_4)
	v_pk_fma_f32 v[128:129], v[130:131], v[114:115], v[150:151] op_sel_hi:[1,0,1]
	v_pk_fma_f32 v[114:115], v[130:131], v[114:115], v[150:151] neg_lo:[0,0,1] neg_hi:[0,0,1]
	v_pk_mul_f32 v[152:153], v[152:153], v[162:163] op_sel_hi:[1,0]
	v_pk_add_f32 v[158:159], v[158:159], 0 op_sel_hi:[1,0]
	v_pk_fma_f32 v[116:117], v[132:133], v[116:117], v[160:161] neg_lo:[0,0,1] neg_hi:[0,0,1]
	v_dual_mov_b32 v115, v129 :: v_dual_mov_b32 v117, v167
	s_delay_alu instid0(VALU_DEP_4) | instskip(SKIP_2) | instid1(VALU_DEP_4)
	v_pk_fma_f32 v[130:131], v[134:135], v[118:119], v[152:153] op_sel_hi:[1,0,1]
	v_pk_fma_f32 v[118:119], v[134:135], v[118:119], v[152:153] neg_lo:[0,0,1] neg_hi:[0,0,1]
	v_pk_fma_f32 v[132:133], v[136:137], v[120:121], v[164:165] op_sel_hi:[1,0,1]
	v_pk_add_f32 v[114:115], v[158:159], v[114:115]
	v_pk_mul_f32 v[112:113], v[154:155], v[112:113] op_sel_hi:[1,0]
	v_mov_b32_e32 v119, v131
	v_pk_fma_f32 v[120:121], v[136:137], v[120:121], v[164:165] neg_lo:[0,0,1] neg_hi:[0,0,1]
	s_wait_loadcnt 0x2
	v_pk_mul_f32 v[128:129], v[140:141], v[124:125] op_sel:[1,1] op_sel_hi:[0,1]
	v_pk_add_f32 v[114:115], v[114:115], v[116:117]
	v_mov_b32_e32 v116, v127
	v_pk_fma_f32 v[130:131], v[138:139], v[122:123], v[112:113] op_sel_hi:[1,0,1]
	v_mov_b32_e32 v121, v133
	v_pk_fma_f32 v[112:113], v[138:139], v[122:123], v[112:113] neg_lo:[0,0,1] neg_hi:[0,0,1]
	v_pk_add_f32 v[114:115], v[114:115], v[118:119]
	v_pk_fma_f32 v[118:119], v[140:141], v[124:125], v[128:129] op_sel_hi:[1,0,1]
	v_pk_mul_f32 v[116:117], v[156:157], v[116:117] op_sel_hi:[1,0]
	v_mov_b32_e32 v113, v131
	s_delay_alu instid0(VALU_DEP_4)
	v_pk_add_f32 v[114:115], v[114:115], v[120:121]
	v_pk_fma_f32 v[120:121], v[140:141], v[124:125], v[128:129] neg_lo:[0,0,1] neg_hi:[0,0,1]
	v_mov_b32_e32 v121, v119
	v_pk_fma_f32 v[118:119], v[142:143], v[126:127], v[116:117] op_sel_hi:[1,0,1]
	v_pk_fma_f32 v[116:117], v[142:143], v[126:127], v[116:117] neg_lo:[0,0,1] neg_hi:[0,0,1]
	v_pk_add_f32 v[112:113], v[114:115], v[112:113]
	s_wait_loadcnt_dscnt 0x100
	v_pk_mul_f32 v[114:115], v[148:149], v[144:145] op_sel:[1,1] op_sel_hi:[0,1]
	v_mov_b32_e32 v117, v119
	s_delay_alu instid0(VALU_DEP_3) | instskip(NEXT) | instid1(VALU_DEP_3)
	v_pk_add_f32 v[112:113], v[112:113], v[120:121]
	v_pk_fma_f32 v[118:119], v[148:149], v[144:145], v[114:115] op_sel_hi:[1,0,1]
	v_pk_fma_f32 v[114:115], v[148:149], v[144:145], v[114:115] neg_lo:[0,0,1] neg_hi:[0,0,1]
	s_delay_alu instid0(VALU_DEP_3) | instskip(NEXT) | instid1(VALU_DEP_3)
	v_pk_add_f32 v[112:113], v[112:113], v[116:117]
	v_mov_b32_e32 v115, v119
	s_delay_alu instid0(VALU_DEP_1) | instskip(SKIP_1) | instid1(VALU_DEP_1)
	v_pk_add_f32 v[112:113], v[112:113], v[114:115]
	s_wait_loadcnt 0x0
	v_pk_add_f32 v[112:113], v[146:147], v[112:113] neg_lo:[0,1] neg_hi:[0,1]
	scratch_store_b64 off, v[112:113], off offset:360
	s_wait_xcnt 0x0
	v_cmpx_lt_u32_e32 44, v0
	s_cbranch_execz .LBB54_255
; %bb.254:
	scratch_load_b64 v[112:113], off, off offset:352
	v_mov_b64_e32 v[114:115], 0
	scratch_store_b64 off, v[114:115], off offset:352
	s_wait_loadcnt 0x0
	ds_store_b64 v1, v[112:113]
.LBB54_255:
	s_wait_xcnt 0x0
	s_or_b32 exec_lo, exec_lo, s0
	s_wait_storecnt_dscnt 0x0
	s_barrier_signal -1
	s_barrier_wait -1
	s_clause 0x5
	scratch_load_b128 v[112:115], off, off offset:360
	scratch_load_b128 v[116:119], off, off offset:376
	;; [unrolled: 1-line block ×5, first 2 shown]
	scratch_load_b64 v[152:153], off, off offset:352
	ds_load_2addr_b64 v[132:135], v5 offset0:103 offset1:104
	ds_load_2addr_b64 v[136:139], v5 offset0:105 offset1:106
	ds_load_2addr_b64 v[140:143], v5 offset0:107 offset1:108
	ds_load_2addr_b64 v[144:147], v5 offset0:109 offset1:110
	ds_load_2addr_b64 v[148:151], v5 offset0:101 offset1:102
	s_mov_b32 s0, exec_lo
	s_wait_dscnt 0x4
	v_dual_mov_b32 v154, v135 :: v_dual_mov_b32 v155, v134
	s_wait_dscnt 0x3
	v_dual_mov_b32 v156, v139 :: v_dual_mov_b32 v157, v138
	s_wait_dscnt 0x2
	v_dual_mov_b32 v158, v143 :: v_dual_mov_b32 v159, v142
	s_wait_dscnt 0x1
	v_dual_mov_b32 v160, v147 :: v_dual_mov_b32 v161, v146
	s_wait_loadcnt_dscnt 0x500
	v_dual_mul_f32 v163, v148, v113 :: v_dual_mul_f32 v165, v150, v115
	v_dual_mul_f32 v5, v149, v113 :: v_dual_mul_f32 v9, v151, v115
	s_wait_loadcnt 0x4
	v_pk_mul_f32 v[166:167], v[132:133], v[116:117] op_sel:[1,1] op_sel_hi:[0,1]
	s_wait_loadcnt 0x3
	v_dual_mov_b32 v168, v119 :: v_dual_mov_b32 v172, v123
	v_dual_fmac_f32 v163, v149, v112 :: v_dual_fma_f32 v162, v148, v112, -v5
	v_fma_f32 v164, v150, v114, -v9
	v_pk_fma_f32 v[112:113], v[132:133], v[116:117], v[166:167] op_sel_hi:[1,0,1]
	v_fmac_f32_e32 v165, v151, v114
	v_pk_mul_f32 v[114:115], v[154:155], v[168:169] op_sel_hi:[1,0]
	v_pk_fma_f32 v[116:117], v[132:133], v[116:117], v[166:167] neg_lo:[0,0,1] neg_hi:[0,0,1]
	v_pk_add_f32 v[148:149], v[162:163], 0 op_sel_hi:[1,0]
	v_mov_b32_e32 v117, v113
	v_pk_mul_f32 v[170:171], v[136:137], v[120:121] op_sel:[1,1] op_sel_hi:[0,1]
	v_pk_fma_f32 v[112:113], v[134:135], v[118:119], v[114:115] op_sel_hi:[1,0,1]
	v_pk_fma_f32 v[114:115], v[134:135], v[118:119], v[114:115] neg_lo:[0,0,1] neg_hi:[0,0,1]
	v_pk_mul_f32 v[154:155], v[156:157], v[172:173] op_sel_hi:[1,0]
	s_wait_loadcnt 0x2
	v_pk_mul_f32 v[150:151], v[140:141], v[124:125] op_sel:[1,1] op_sel_hi:[0,1]
	v_pk_fma_f32 v[118:119], v[136:137], v[120:121], v[170:171] neg_lo:[0,0,1] neg_hi:[0,0,1]
	v_mov_b32_e32 v115, v113
	v_pk_add_f32 v[132:133], v[148:149], v[164:165]
	v_pk_fma_f32 v[148:149], v[136:137], v[120:121], v[170:171] op_sel_hi:[1,0,1]
	v_pk_fma_f32 v[120:121], v[138:139], v[122:123], v[154:155] op_sel_hi:[1,0,1]
	v_pk_fma_f32 v[122:123], v[138:139], v[122:123], v[154:155] neg_lo:[0,0,1] neg_hi:[0,0,1]
	s_delay_alu instid0(VALU_DEP_4) | instskip(NEXT) | instid1(VALU_DEP_4)
	v_pk_add_f32 v[112:113], v[132:133], v[116:117]
	v_dual_mov_b32 v116, v127 :: v_dual_mov_b32 v119, v149
	s_delay_alu instid0(VALU_DEP_2) | instskip(SKIP_1) | instid1(VALU_DEP_3)
	v_pk_add_f32 v[112:113], v[112:113], v[114:115]
	v_pk_fma_f32 v[114:115], v[140:141], v[124:125], v[150:151] op_sel_hi:[1,0,1]
	v_pk_mul_f32 v[116:117], v[158:159], v[116:117] op_sel_hi:[1,0]
	v_mov_b32_e32 v123, v121
	v_pk_fma_f32 v[120:121], v[140:141], v[124:125], v[150:151] neg_lo:[0,0,1] neg_hi:[0,0,1]
	v_pk_add_f32 v[112:113], v[112:113], v[118:119]
	v_mov_b32_e32 v121, v115
	v_pk_fma_f32 v[114:115], v[142:143], v[126:127], v[116:117] op_sel_hi:[1,0,1]
	s_wait_loadcnt 0x1
	v_pk_mul_f32 v[118:119], v[144:145], v[128:129] op_sel:[1,1] op_sel_hi:[0,1]
	v_mov_b32_e32 v114, v131
	v_pk_add_f32 v[112:113], v[112:113], v[122:123]
	v_pk_fma_f32 v[116:117], v[142:143], v[126:127], v[116:117] neg_lo:[0,0,1] neg_hi:[0,0,1]
	v_mov_b32_e32 v117, v115
	v_pk_fma_f32 v[122:123], v[144:145], v[128:129], v[118:119] op_sel_hi:[1,0,1]
	v_pk_mul_f32 v[114:115], v[160:161], v[114:115] op_sel_hi:[1,0]
	v_pk_add_f32 v[112:113], v[112:113], v[120:121]
	v_pk_fma_f32 v[118:119], v[144:145], v[128:129], v[118:119] neg_lo:[0,0,1] neg_hi:[0,0,1]
	s_delay_alu instid0(VALU_DEP_2) | instskip(NEXT) | instid1(VALU_DEP_4)
	v_pk_add_f32 v[112:113], v[112:113], v[116:117]
	v_pk_fma_f32 v[116:117], v[146:147], v[130:131], v[114:115] op_sel_hi:[1,0,1]
	v_mov_b32_e32 v119, v123
	v_pk_fma_f32 v[114:115], v[146:147], v[130:131], v[114:115] neg_lo:[0,0,1] neg_hi:[0,0,1]
	s_delay_alu instid0(VALU_DEP_3) | instskip(NEXT) | instid1(VALU_DEP_3)
	v_mov_b32_e32 v115, v117
	v_pk_add_f32 v[112:113], v[112:113], v[118:119]
	s_delay_alu instid0(VALU_DEP_1) | instskip(SKIP_1) | instid1(VALU_DEP_1)
	v_pk_add_f32 v[112:113], v[112:113], v[114:115]
	s_wait_loadcnt 0x0
	v_pk_add_f32 v[112:113], v[152:153], v[112:113] neg_lo:[0,1] neg_hi:[0,1]
	scratch_store_b64 off, v[112:113], off offset:352
	s_wait_xcnt 0x0
	v_cmpx_lt_u32_e32 43, v0
	s_cbranch_execz .LBB54_257
; %bb.256:
	scratch_load_b64 v[112:113], off, off offset:344
	v_mov_b64_e32 v[114:115], 0
	scratch_store_b64 off, v[114:115], off offset:344
	s_wait_loadcnt 0x0
	ds_store_b64 v1, v[112:113]
.LBB54_257:
	s_wait_xcnt 0x0
	s_or_b32 exec_lo, exec_lo, s0
	s_wait_storecnt_dscnt 0x0
	s_barrier_signal -1
	s_barrier_wait -1
	s_clause 0x6
	scratch_load_b128 v[112:115], off, off offset:352
	scratch_load_b128 v[116:119], off, off offset:368
	;; [unrolled: 1-line block ×5, first 2 shown]
	scratch_load_b64 v[152:153], off, off offset:432
	scratch_load_b64 v[154:155], off, off offset:344
	v_mov_b32_e32 v5, 0
	ds_load_b128 v[132:135], v5 offset:816
	ds_load_b128 v[136:139], v5 offset:832
	;; [unrolled: 1-line block ×5, first 2 shown]
	ds_load_b64 v[156:157], v5 offset:880
	s_mov_b32 s0, exec_lo
	s_wait_dscnt 0x5
	v_dual_mov_b32 v158, v135 :: v_dual_mov_b32 v159, v134
	s_wait_dscnt 0x2
	v_dual_mov_b32 v160, v139 :: v_dual_mov_b32 v165, v146
	v_dual_mov_b32 v161, v138 :: v_dual_mov_b32 v162, v143
	;; [unrolled: 1-line block ×3, first 2 shown]
	s_wait_loadcnt_dscnt 0x601
	v_dual_mul_f32 v9, v148, v113 :: v_dual_mul_f32 v11, v149, v113
	v_dual_mul_f32 v13, v151, v115 :: v_dual_mul_f32 v167, v150, v115
	s_wait_loadcnt 0x5
	v_dual_mul_f32 v169, v132, v117 :: v_dual_mul_f32 v15, v133, v117
	s_wait_loadcnt 0x4
	v_dual_mov_b32 v168, v119 :: v_dual_mov_b32 v172, v123
	v_dual_fmac_f32 v9, v149, v112 :: v_dual_fma_f32 v11, v148, v112, -v11
	v_dual_fma_f32 v166, v150, v114, -v13 :: v_dual_fmac_f32 v167, v151, v114
	s_delay_alu instid0(VALU_DEP_3) | instskip(NEXT) | instid1(VALU_DEP_3)
	v_pk_mul_f32 v[112:113], v[158:159], v[168:169] op_sel_hi:[1,0]
	v_dual_add_f32 v115, 0, v9 :: v_dual_add_f32 v114, 0, v11
	s_wait_loadcnt 0x3
	v_mov_b32_e32 v148, v127
	v_pk_mul_f32 v[170:171], v[136:137], v[120:121] op_sel:[1,1] op_sel_hi:[0,1]
	v_dual_fmac_f32 v169, v133, v116 :: v_dual_fma_f32 v168, v132, v116, -v15
	v_pk_fma_f32 v[116:117], v[134:135], v[118:119], v[112:113] op_sel_hi:[1,0,1]
	v_pk_add_f32 v[114:115], v[114:115], v[166:167]
	v_pk_fma_f32 v[112:113], v[134:135], v[118:119], v[112:113] neg_lo:[0,0,1] neg_hi:[0,0,1]
	v_pk_fma_f32 v[132:133], v[136:137], v[120:121], v[170:171] op_sel_hi:[1,0,1]
	v_pk_mul_f32 v[150:151], v[160:161], v[172:173] op_sel_hi:[1,0]
	v_mov_b32_e32 v113, v117
	v_pk_add_f32 v[114:115], v[114:115], v[168:169]
	v_pk_fma_f32 v[118:119], v[136:137], v[120:121], v[170:171] neg_lo:[0,0,1] neg_hi:[0,0,1]
	v_pk_mul_f32 v[174:175], v[140:141], v[124:125] op_sel:[1,1] op_sel_hi:[0,1]
	v_mov_b32_e32 v119, v133
	v_pk_fma_f32 v[120:121], v[138:139], v[122:123], v[150:151] op_sel_hi:[1,0,1]
	v_pk_add_f32 v[112:113], v[114:115], v[112:113]
	v_pk_fma_f32 v[122:123], v[138:139], v[122:123], v[150:151] neg_lo:[0,0,1] neg_hi:[0,0,1]
	v_pk_fma_f32 v[114:115], v[140:141], v[124:125], v[174:175] op_sel_hi:[1,0,1]
	v_pk_mul_f32 v[132:133], v[162:163], v[148:149] op_sel_hi:[1,0]
	s_wait_loadcnt 0x2
	v_dual_mov_b32 v123, v121 :: v_dual_mov_b32 v114, v131
	v_pk_add_f32 v[112:113], v[112:113], v[118:119]
	v_pk_fma_f32 v[118:119], v[140:141], v[124:125], v[174:175] neg_lo:[0,0,1] neg_hi:[0,0,1]
	v_pk_mul_f32 v[116:117], v[144:145], v[128:129] op_sel:[1,1] op_sel_hi:[0,1]
	v_pk_fma_f32 v[120:121], v[142:143], v[126:127], v[132:133] op_sel_hi:[1,0,1]
	v_mov_b32_e32 v119, v115
	v_pk_add_f32 v[112:113], v[112:113], v[122:123]
	v_pk_fma_f32 v[124:125], v[142:143], v[126:127], v[132:133] neg_lo:[0,0,1] neg_hi:[0,0,1]
	v_pk_fma_f32 v[122:123], v[144:145], v[128:129], v[116:117] op_sel_hi:[1,0,1]
	v_pk_mul_f32 v[114:115], v[164:165], v[114:115] op_sel_hi:[1,0]
	v_mov_b32_e32 v125, v121
	v_pk_add_f32 v[112:113], v[112:113], v[118:119]
	v_pk_fma_f32 v[116:117], v[144:145], v[128:129], v[116:117] neg_lo:[0,0,1] neg_hi:[0,0,1]
	s_wait_loadcnt_dscnt 0x100
	v_pk_mul_f32 v[120:121], v[156:157], v[152:153] op_sel:[1,1] op_sel_hi:[0,1]
	v_pk_fma_f32 v[118:119], v[146:147], v[130:131], v[114:115] op_sel_hi:[1,0,1]
	v_mov_b32_e32 v117, v123
	v_pk_add_f32 v[112:113], v[112:113], v[124:125]
	v_pk_fma_f32 v[114:115], v[146:147], v[130:131], v[114:115] neg_lo:[0,0,1] neg_hi:[0,0,1]
	s_delay_alu instid0(VALU_DEP_4) | instskip(SKIP_1) | instid1(VALU_DEP_4)
	v_mov_b32_e32 v115, v119
	v_pk_fma_f32 v[118:119], v[156:157], v[152:153], v[120:121] neg_lo:[0,0,1] neg_hi:[0,0,1]
	v_pk_add_f32 v[112:113], v[112:113], v[116:117]
	v_pk_fma_f32 v[116:117], v[156:157], v[152:153], v[120:121] op_sel_hi:[1,0,1]
	s_delay_alu instid0(VALU_DEP_2) | instskip(NEXT) | instid1(VALU_DEP_2)
	v_pk_add_f32 v[112:113], v[112:113], v[114:115]
	v_mov_b32_e32 v119, v117
	s_delay_alu instid0(VALU_DEP_1) | instskip(SKIP_1) | instid1(VALU_DEP_1)
	v_pk_add_f32 v[112:113], v[112:113], v[118:119]
	s_wait_loadcnt 0x0
	v_pk_add_f32 v[112:113], v[154:155], v[112:113] neg_lo:[0,1] neg_hi:[0,1]
	scratch_store_b64 off, v[112:113], off offset:344
	s_wait_xcnt 0x0
	v_cmpx_lt_u32_e32 42, v0
	s_cbranch_execz .LBB54_259
; %bb.258:
	scratch_load_b64 v[112:113], off, off offset:336
	v_mov_b64_e32 v[114:115], 0
	scratch_store_b64 off, v[114:115], off offset:336
	s_wait_loadcnt 0x0
	ds_store_b64 v1, v[112:113]
.LBB54_259:
	s_wait_xcnt 0x0
	s_or_b32 exec_lo, exec_lo, s0
	s_wait_storecnt_dscnt 0x0
	s_barrier_signal -1
	s_barrier_wait -1
	s_clause 0x6
	scratch_load_b128 v[112:115], off, off offset:344
	scratch_load_b128 v[116:119], off, off offset:360
	;; [unrolled: 1-line block ×6, first 2 shown]
	scratch_load_b64 v[160:161], off, off offset:336
	ds_load_2addr_b64 v[136:139], v5 offset0:103 offset1:104
	ds_load_2addr_b64 v[140:143], v5 offset0:105 offset1:106
	;; [unrolled: 1-line block ×6, first 2 shown]
	s_mov_b32 s0, exec_lo
	s_wait_dscnt 0x5
	v_dual_mov_b32 v162, v139 :: v_dual_mov_b32 v163, v138
	s_wait_dscnt 0x4
	v_dual_mov_b32 v164, v143 :: v_dual_mov_b32 v165, v142
	;; [unrolled: 2-line block ×4, first 2 shown]
	s_wait_loadcnt_dscnt 0x601
	v_dual_mul_f32 v5, v152, v113 :: v_dual_mul_f32 v9, v154, v115
	v_dual_mul_f32 v11, v153, v113 :: v_dual_mul_f32 v13, v155, v115
	s_wait_loadcnt 0x4
	s_delay_alu instid0(VALU_DEP_2)
	v_dual_mov_b32 v176, v123 :: v_dual_fmac_f32 v5, v153, v112
	s_wait_dscnt 0x0
	v_dual_mul_f32 v171, v156, v117 :: v_dual_mul_f32 v173, v158, v119
	v_dual_fma_f32 v11, v152, v112, -v11 :: v_dual_fmac_f32 v9, v155, v114
	v_dual_mul_f32 v15, v157, v117 :: v_dual_mul_f32 v17, v159, v119
	v_dual_fma_f32 v13, v154, v114, -v13 :: v_dual_add_f32 v5, 0, v5
	s_wait_loadcnt 0x3
	s_delay_alu instid0(VALU_DEP_3)
	v_dual_add_f32 v11, 0, v11 :: v_dual_mov_b32 v114, v127
	v_pk_mul_f32 v[174:175], v[136:137], v[120:121] op_sel:[1,1] op_sel_hi:[0,1]
	v_pk_mul_f32 v[112:113], v[140:141], v[124:125] op_sel:[1,1] op_sel_hi:[0,1]
	v_fmac_f32_e32 v171, v157, v116
	v_dual_fma_f32 v170, v156, v116, -v15 :: v_dual_add_f32 v117, v5, v9
	v_add_f32_e32 v116, v11, v13
	v_fmac_f32_e32 v173, v159, v118
	v_fma_f32 v172, v158, v118, -v17
	v_pk_fma_f32 v[118:119], v[136:137], v[120:121], v[174:175] op_sel_hi:[1,0,1]
	v_pk_mul_f32 v[152:153], v[162:163], v[176:177] op_sel_hi:[1,0]
	v_pk_add_f32 v[116:117], v[116:117], v[170:171]
	v_pk_fma_f32 v[120:121], v[136:137], v[120:121], v[174:175] neg_lo:[0,0,1] neg_hi:[0,0,1]
	v_pk_fma_f32 v[136:137], v[140:141], v[124:125], v[112:113] op_sel_hi:[1,0,1]
	v_pk_fma_f32 v[112:113], v[140:141], v[124:125], v[112:113] neg_lo:[0,0,1] neg_hi:[0,0,1]
	v_mov_b32_e32 v121, v119
	v_pk_fma_f32 v[118:119], v[138:139], v[122:123], v[152:153] op_sel_hi:[1,0,1]
	v_pk_fma_f32 v[122:123], v[138:139], v[122:123], v[152:153] neg_lo:[0,0,1] neg_hi:[0,0,1]
	v_mov_b32_e32 v113, v137
	v_pk_add_f32 v[116:117], v[116:117], v[172:173]
	v_pk_mul_f32 v[114:115], v[164:165], v[114:115] op_sel_hi:[1,0]
	s_wait_loadcnt 0x2
	v_dual_mov_b32 v123, v119 :: v_dual_mov_b32 v118, v131
	v_pk_mul_f32 v[154:155], v[144:145], v[128:129] op_sel:[1,1] op_sel_hi:[0,1]
	v_pk_add_f32 v[116:117], v[116:117], v[120:121]
	v_pk_fma_f32 v[120:121], v[142:143], v[126:127], v[114:115] op_sel_hi:[1,0,1]
	v_pk_fma_f32 v[114:115], v[142:143], v[126:127], v[114:115] neg_lo:[0,0,1] neg_hi:[0,0,1]
	v_pk_mul_f32 v[118:119], v[166:167], v[118:119] op_sel_hi:[1,0]
	s_delay_alu instid0(VALU_DEP_4) | instskip(SKIP_3) | instid1(VALU_DEP_4)
	v_pk_add_f32 v[116:117], v[116:117], v[122:123]
	v_pk_fma_f32 v[122:123], v[144:145], v[128:129], v[154:155] op_sel_hi:[1,0,1]
	v_mov_b32_e32 v115, v121
	v_pk_fma_f32 v[120:121], v[144:145], v[128:129], v[154:155] neg_lo:[0,0,1] neg_hi:[0,0,1]
	v_pk_add_f32 v[112:113], v[116:117], v[112:113]
	s_wait_loadcnt 0x1
	v_pk_mul_f32 v[116:117], v[148:149], v[132:133] op_sel:[1,1] op_sel_hi:[0,1]
	v_mov_b32_e32 v121, v123
	v_pk_fma_f32 v[122:123], v[146:147], v[130:131], v[118:119] op_sel_hi:[1,0,1]
	v_pk_fma_f32 v[118:119], v[146:147], v[130:131], v[118:119] neg_lo:[0,0,1] neg_hi:[0,0,1]
	v_pk_add_f32 v[112:113], v[112:113], v[114:115]
	v_mov_b32_e32 v114, v135
	v_pk_fma_f32 v[124:125], v[148:149], v[132:133], v[116:117] op_sel_hi:[1,0,1]
	v_mov_b32_e32 v119, v123
	v_pk_fma_f32 v[116:117], v[148:149], v[132:133], v[116:117] neg_lo:[0,0,1] neg_hi:[0,0,1]
	v_pk_add_f32 v[112:113], v[112:113], v[120:121]
	v_pk_mul_f32 v[114:115], v[168:169], v[114:115] op_sel_hi:[1,0]
	s_delay_alu instid0(VALU_DEP_2) | instskip(NEXT) | instid1(VALU_DEP_2)
	v_pk_add_f32 v[112:113], v[112:113], v[118:119]
	v_pk_fma_f32 v[118:119], v[150:151], v[134:135], v[114:115] op_sel_hi:[1,0,1]
	v_mov_b32_e32 v117, v125
	v_pk_fma_f32 v[114:115], v[150:151], v[134:135], v[114:115] neg_lo:[0,0,1] neg_hi:[0,0,1]
	s_delay_alu instid0(VALU_DEP_3) | instskip(NEXT) | instid1(VALU_DEP_3)
	v_mov_b32_e32 v115, v119
	v_pk_add_f32 v[112:113], v[112:113], v[116:117]
	s_delay_alu instid0(VALU_DEP_1) | instskip(SKIP_1) | instid1(VALU_DEP_1)
	v_pk_add_f32 v[112:113], v[112:113], v[114:115]
	s_wait_loadcnt 0x0
	v_pk_add_f32 v[112:113], v[160:161], v[112:113] neg_lo:[0,1] neg_hi:[0,1]
	scratch_store_b64 off, v[112:113], off offset:336
	s_wait_xcnt 0x0
	v_cmpx_lt_u32_e32 41, v0
	s_cbranch_execz .LBB54_261
; %bb.260:
	scratch_load_b64 v[112:113], off, off offset:328
	v_mov_b64_e32 v[114:115], 0
	scratch_store_b64 off, v[114:115], off offset:328
	s_wait_loadcnt 0x0
	ds_store_b64 v1, v[112:113]
.LBB54_261:
	s_wait_xcnt 0x0
	s_or_b32 exec_lo, exec_lo, s0
	s_wait_storecnt_dscnt 0x0
	s_barrier_signal -1
	s_barrier_wait -1
	s_clause 0x7
	scratch_load_b128 v[112:115], off, off offset:336
	scratch_load_b128 v[116:119], off, off offset:352
	scratch_load_b128 v[120:123], off, off offset:368
	scratch_load_b128 v[124:127], off, off offset:384
	scratch_load_b128 v[128:131], off, off offset:400
	scratch_load_b128 v[132:135], off, off offset:416
	scratch_load_b64 v[160:161], off, off offset:432
	scratch_load_b64 v[162:163], off, off offset:328
	v_mov_b32_e32 v5, 0
	ds_load_b128 v[136:139], v5 offset:816
	ds_load_b128 v[140:143], v5 offset:832
	;; [unrolled: 1-line block ×6, first 2 shown]
	ds_load_b64 v[164:165], v5 offset:880
	s_mov_b32 s0, exec_lo
	s_wait_dscnt 0x6
	v_dual_mov_b32 v166, v139 :: v_dual_mov_b32 v167, v138
	s_wait_dscnt 0x3
	v_dual_mov_b32 v168, v143 :: v_dual_mov_b32 v173, v150
	v_dual_mov_b32 v169, v142 :: v_dual_mov_b32 v170, v147
	;; [unrolled: 1-line block ×3, first 2 shown]
	s_wait_loadcnt_dscnt 0x702
	v_dual_mul_f32 v9, v152, v113 :: v_dual_mul_f32 v15, v153, v113
	v_dual_mul_f32 v17, v155, v115 :: v_dual_mul_f32 v11, v154, v115
	s_wait_loadcnt_dscnt 0x601
	s_delay_alu instid0(VALU_DEP_2) | instskip(NEXT) | instid1(VALU_DEP_3)
	v_dual_mul_f32 v13, v156, v117 :: v_dual_fmac_f32 v9, v153, v112
	v_dual_fma_f32 v15, v152, v112, -v15 :: v_dual_mul_f32 v19, v157, v117
	v_mul_f32_e32 v21, v159, v119
	s_wait_loadcnt 0x4
	v_dual_mov_b32 v112, v127 :: v_dual_fma_f32 v17, v154, v114, -v17
	v_dual_fmac_f32 v11, v155, v114 :: v_dual_add_f32 v9, 0, v9
	v_dual_add_f32 v15, 0, v15 :: v_dual_fmac_f32 v13, v157, v116
	v_dual_mul_f32 v175, v158, v119 :: v_dual_mul_f32 v177, v136, v121
	v_dual_mul_f32 v23, v137, v121 :: v_dual_mov_b32 v176, v123
	s_delay_alu instid0(VALU_DEP_4) | instskip(NEXT) | instid1(VALU_DEP_4)
	v_dual_fma_f32 v19, v156, v116, -v19 :: v_dual_add_f32 v9, v9, v11
	v_dual_add_f32 v11, v15, v17 :: v_dual_fma_f32 v174, v158, v118, -v21
	s_delay_alu instid0(VALU_DEP_4) | instskip(NEXT) | instid1(VALU_DEP_4)
	v_fmac_f32_e32 v175, v159, v118
	v_pk_mul_f32 v[116:117], v[166:167], v[176:177] op_sel_hi:[1,0]
	s_delay_alu instid0(VALU_DEP_3)
	v_dual_add_f32 v119, v9, v13 :: v_dual_add_f32 v118, v11, v19
	v_fmac_f32_e32 v177, v137, v120
	v_pk_mul_f32 v[178:179], v[140:141], v[124:125] op_sel:[1,1] op_sel_hi:[0,1]
	s_wait_loadcnt 0x3
	v_dual_mov_b32 v152, v131 :: v_dual_fma_f32 v176, v136, v120, -v23
	v_pk_fma_f32 v[120:121], v[138:139], v[122:123], v[116:117] op_sel_hi:[1,0,1]
	v_pk_add_f32 v[118:119], v[118:119], v[174:175]
	v_pk_fma_f32 v[116:117], v[138:139], v[122:123], v[116:117] neg_lo:[0,0,1] neg_hi:[0,0,1]
	v_pk_fma_f32 v[136:137], v[140:141], v[124:125], v[178:179] op_sel_hi:[1,0,1]
	v_pk_mul_f32 v[112:113], v[168:169], v[112:113] op_sel_hi:[1,0]
	v_mov_b32_e32 v117, v121
	v_pk_add_f32 v[118:119], v[118:119], v[176:177]
	v_pk_fma_f32 v[122:123], v[140:141], v[124:125], v[178:179] neg_lo:[0,0,1] neg_hi:[0,0,1]
	v_pk_mul_f32 v[114:115], v[144:145], v[128:129] op_sel:[1,1] op_sel_hi:[0,1]
	v_mov_b32_e32 v123, v137
	v_pk_fma_f32 v[124:125], v[142:143], v[126:127], v[112:113] op_sel_hi:[1,0,1]
	v_pk_add_f32 v[116:117], v[118:119], v[116:117]
	v_pk_fma_f32 v[112:113], v[142:143], v[126:127], v[112:113] neg_lo:[0,0,1] neg_hi:[0,0,1]
	v_pk_fma_f32 v[118:119], v[144:145], v[128:129], v[114:115] op_sel_hi:[1,0,1]
	v_pk_mul_f32 v[136:137], v[170:171], v[152:153] op_sel_hi:[1,0]
	s_wait_loadcnt 0x2
	v_dual_mov_b32 v113, v125 :: v_dual_mov_b32 v118, v135
	v_pk_add_f32 v[116:117], v[116:117], v[122:123]
	v_pk_fma_f32 v[114:115], v[144:145], v[128:129], v[114:115] neg_lo:[0,0,1] neg_hi:[0,0,1]
	v_pk_mul_f32 v[120:121], v[148:149], v[132:133] op_sel:[1,1] op_sel_hi:[0,1]
	v_pk_fma_f32 v[122:123], v[146:147], v[130:131], v[136:137] op_sel_hi:[1,0,1]
	v_mov_b32_e32 v115, v119
	v_pk_add_f32 v[112:113], v[116:117], v[112:113]
	v_pk_fma_f32 v[124:125], v[146:147], v[130:131], v[136:137] neg_lo:[0,0,1] neg_hi:[0,0,1]
	v_pk_fma_f32 v[116:117], v[148:149], v[132:133], v[120:121] op_sel_hi:[1,0,1]
	v_pk_mul_f32 v[118:119], v[172:173], v[118:119] op_sel_hi:[1,0]
	v_mov_b32_e32 v125, v123
	v_pk_add_f32 v[112:113], v[112:113], v[114:115]
	v_pk_fma_f32 v[114:115], v[148:149], v[132:133], v[120:121] neg_lo:[0,0,1] neg_hi:[0,0,1]
	v_mov_b32_e32 v115, v117
	v_pk_fma_f32 v[116:117], v[150:151], v[134:135], v[118:119] op_sel_hi:[1,0,1]
	s_wait_loadcnt_dscnt 0x100
	v_pk_mul_f32 v[120:121], v[164:165], v[160:161] op_sel:[1,1] op_sel_hi:[0,1]
	v_pk_add_f32 v[112:113], v[112:113], v[124:125]
	v_pk_fma_f32 v[118:119], v[150:151], v[134:135], v[118:119] neg_lo:[0,0,1] neg_hi:[0,0,1]
	v_mov_b32_e32 v119, v117
	s_delay_alu instid0(VALU_DEP_4) | instskip(NEXT) | instid1(VALU_DEP_4)
	v_pk_fma_f32 v[116:117], v[164:165], v[160:161], v[120:121] neg_lo:[0,0,1] neg_hi:[0,0,1]
	v_pk_add_f32 v[112:113], v[112:113], v[114:115]
	v_pk_fma_f32 v[114:115], v[164:165], v[160:161], v[120:121] op_sel_hi:[1,0,1]
	s_delay_alu instid0(VALU_DEP_2) | instskip(NEXT) | instid1(VALU_DEP_2)
	v_pk_add_f32 v[112:113], v[112:113], v[118:119]
	v_mov_b32_e32 v117, v115
	s_delay_alu instid0(VALU_DEP_1) | instskip(SKIP_1) | instid1(VALU_DEP_1)
	v_pk_add_f32 v[112:113], v[112:113], v[116:117]
	s_wait_loadcnt 0x0
	v_pk_add_f32 v[112:113], v[162:163], v[112:113] neg_lo:[0,1] neg_hi:[0,1]
	scratch_store_b64 off, v[112:113], off offset:328
	s_wait_xcnt 0x0
	v_cmpx_lt_u32_e32 40, v0
	s_cbranch_execz .LBB54_263
; %bb.262:
	scratch_load_b64 v[112:113], off, off offset:320
	v_mov_b64_e32 v[114:115], 0
	scratch_store_b64 off, v[114:115], off offset:320
	s_wait_loadcnt 0x0
	ds_store_b64 v1, v[112:113]
.LBB54_263:
	s_wait_xcnt 0x0
	s_or_b32 exec_lo, exec_lo, s0
	s_wait_storecnt_dscnt 0x0
	s_barrier_signal -1
	s_barrier_wait -1
	s_clause 0x7
	scratch_load_b128 v[112:115], off, off offset:328
	scratch_load_b128 v[116:119], off, off offset:344
	;; [unrolled: 1-line block ×7, first 2 shown]
	scratch_load_b64 v[168:169], off, off offset:320
	ds_load_2addr_b64 v[140:143], v5 offset0:103 offset1:104
	ds_load_2addr_b64 v[144:147], v5 offset0:105 offset1:106
	;; [unrolled: 1-line block ×7, first 2 shown]
	s_mov_b32 s0, exec_lo
	s_wait_dscnt 0x6
	v_dual_mov_b32 v170, v143 :: v_dual_mov_b32 v171, v142
	s_wait_dscnt 0x5
	v_dual_mov_b32 v172, v147 :: v_dual_mov_b32 v173, v146
	;; [unrolled: 2-line block ×4, first 2 shown]
	s_wait_loadcnt_dscnt 0x702
	v_dual_mul_f32 v5, v156, v113 :: v_dual_mul_f32 v9, v158, v115
	v_dual_mul_f32 v15, v157, v113 :: v_dual_mul_f32 v17, v159, v115
	s_wait_loadcnt_dscnt 0x601
	v_dual_mul_f32 v11, v160, v117 :: v_dual_mul_f32 v13, v162, v119
	s_delay_alu instid0(VALU_DEP_2) | instskip(SKIP_1) | instid1(VALU_DEP_2)
	v_dual_fmac_f32 v5, v157, v112 :: v_dual_fma_f32 v15, v156, v112, -v15
	v_dual_mul_f32 v19, v161, v117 :: v_dual_mul_f32 v21, v163, v119
	v_dual_fmac_f32 v9, v159, v114 :: v_dual_add_f32 v5, 0, v5
	s_delay_alu instid0(VALU_DEP_3) | instskip(SKIP_2) | instid1(VALU_DEP_3)
	v_dual_fma_f32 v17, v158, v114, -v17 :: v_dual_add_f32 v15, 0, v15
	s_wait_loadcnt 0x4
	v_dual_mov_b32 v114, v127 :: v_dual_fmac_f32 v11, v161, v116
	v_dual_fma_f32 v19, v160, v116, -v19 :: v_dual_add_f32 v5, v5, v9
	s_delay_alu instid0(VALU_DEP_3)
	v_dual_add_f32 v9, v15, v17 :: v_dual_fma_f32 v15, v162, v118, -v21
	s_wait_dscnt 0x0
	v_dual_mul_f32 v179, v164, v121 :: v_dual_mul_f32 v181, v166, v123
	v_dual_mul_f32 v23, v165, v121 :: v_dual_mul_f32 v25, v167, v123
	v_dual_fmac_f32 v13, v163, v118 :: v_dual_add_f32 v5, v5, v11
	s_wait_loadcnt 0x3
	v_dual_add_f32 v9, v9, v19 :: v_dual_mov_b32 v118, v131
	v_pk_mul_f32 v[112:113], v[140:141], v[124:125] op_sel:[1,1] op_sel_hi:[0,1]
	v_dual_fmac_f32 v179, v165, v120 :: v_dual_fmac_f32 v181, v167, v122
	v_dual_fma_f32 v178, v164, v120, -v23 :: v_dual_add_f32 v121, v5, v13
	s_delay_alu instid0(VALU_DEP_4) | instskip(NEXT) | instid1(VALU_DEP_4)
	v_dual_add_f32 v120, v9, v15 :: v_dual_fma_f32 v180, v166, v122, -v25
	v_pk_fma_f32 v[122:123], v[140:141], v[124:125], v[112:113] op_sel_hi:[1,0,1]
	v_pk_mul_f32 v[114:115], v[170:171], v[114:115] op_sel_hi:[1,0]
	v_pk_fma_f32 v[112:113], v[140:141], v[124:125], v[112:113] neg_lo:[0,0,1] neg_hi:[0,0,1]
	s_delay_alu instid0(VALU_DEP_4)
	v_pk_add_f32 v[120:121], v[120:121], v[178:179]
	v_pk_mul_f32 v[116:117], v[144:145], v[128:129] op_sel:[1,1] op_sel_hi:[0,1]
	v_mov_b32_e32 v113, v123
	v_pk_fma_f32 v[122:123], v[142:143], v[126:127], v[114:115] op_sel_hi:[1,0,1]
	v_pk_fma_f32 v[114:115], v[142:143], v[126:127], v[114:115] neg_lo:[0,0,1] neg_hi:[0,0,1]
	v_pk_add_f32 v[120:121], v[120:121], v[180:181]
	v_pk_fma_f32 v[124:125], v[144:145], v[128:129], v[116:117] op_sel_hi:[1,0,1]
	v_pk_mul_f32 v[118:119], v[172:173], v[118:119] op_sel_hi:[1,0]
	v_mov_b32_e32 v115, v123
	s_wait_loadcnt 0x2
	v_pk_mul_f32 v[156:157], v[148:149], v[132:133] op_sel:[1,1] op_sel_hi:[0,1]
	v_pk_add_f32 v[112:113], v[120:121], v[112:113]
	v_mov_b32_e32 v120, v135
	v_pk_fma_f32 v[116:117], v[144:145], v[128:129], v[116:117] neg_lo:[0,0,1] neg_hi:[0,0,1]
	v_mov_b32_e32 v117, v125
	v_pk_fma_f32 v[122:123], v[146:147], v[130:131], v[118:119] op_sel_hi:[1,0,1]
	v_pk_add_f32 v[112:113], v[112:113], v[114:115]
	v_pk_fma_f32 v[114:115], v[148:149], v[132:133], v[156:157] op_sel_hi:[1,0,1]
	v_pk_mul_f32 v[120:121], v[174:175], v[120:121] op_sel_hi:[1,0]
	v_pk_fma_f32 v[118:119], v[146:147], v[130:131], v[118:119] neg_lo:[0,0,1] neg_hi:[0,0,1]
	v_mov_b32_e32 v119, v123
	v_pk_add_f32 v[112:113], v[112:113], v[116:117]
	v_pk_fma_f32 v[122:123], v[148:149], v[132:133], v[156:157] neg_lo:[0,0,1] neg_hi:[0,0,1]
	v_mov_b32_e32 v123, v115
	v_pk_fma_f32 v[114:115], v[150:151], v[134:135], v[120:121] op_sel_hi:[1,0,1]
	s_wait_loadcnt 0x1
	v_pk_mul_f32 v[116:117], v[152:153], v[136:137] op_sel:[1,1] op_sel_hi:[0,1]
	v_pk_add_f32 v[112:113], v[112:113], v[118:119]
	v_mov_b32_e32 v114, v139
	v_pk_fma_f32 v[120:121], v[150:151], v[134:135], v[120:121] neg_lo:[0,0,1] neg_hi:[0,0,1]
	v_mov_b32_e32 v121, v115
	v_pk_fma_f32 v[118:119], v[152:153], v[136:137], v[116:117] op_sel_hi:[1,0,1]
	v_pk_add_f32 v[112:113], v[112:113], v[122:123]
	v_pk_mul_f32 v[114:115], v[176:177], v[114:115] op_sel_hi:[1,0]
	v_pk_fma_f32 v[116:117], v[152:153], v[136:137], v[116:117] neg_lo:[0,0,1] neg_hi:[0,0,1]
	s_delay_alu instid0(VALU_DEP_4) | instskip(NEXT) | instid1(VALU_DEP_4)
	v_mov_b32_e32 v117, v119
	v_pk_add_f32 v[112:113], v[112:113], v[120:121]
	s_delay_alu instid0(VALU_DEP_4) | instskip(SKIP_1) | instid1(VALU_DEP_2)
	v_pk_fma_f32 v[118:119], v[154:155], v[138:139], v[114:115] op_sel_hi:[1,0,1]
	v_pk_fma_f32 v[114:115], v[154:155], v[138:139], v[114:115] neg_lo:[0,0,1] neg_hi:[0,0,1]
	v_mov_b32_e32 v115, v119
	s_delay_alu instid0(VALU_DEP_4) | instskip(NEXT) | instid1(VALU_DEP_1)
	v_pk_add_f32 v[112:113], v[112:113], v[116:117]
	v_pk_add_f32 v[112:113], v[112:113], v[114:115]
	s_wait_loadcnt 0x0
	s_delay_alu instid0(VALU_DEP_1)
	v_pk_add_f32 v[112:113], v[168:169], v[112:113] neg_lo:[0,1] neg_hi:[0,1]
	scratch_store_b64 off, v[112:113], off offset:320
	s_wait_xcnt 0x0
	v_cmpx_lt_u32_e32 39, v0
	s_cbranch_execz .LBB54_265
; %bb.264:
	scratch_load_b64 v[112:113], off, off offset:312
	v_mov_b64_e32 v[114:115], 0
	scratch_store_b64 off, v[114:115], off offset:312
	s_wait_loadcnt 0x0
	ds_store_b64 v1, v[112:113]
.LBB54_265:
	s_wait_xcnt 0x0
	s_or_b32 exec_lo, exec_lo, s0
	s_wait_storecnt_dscnt 0x0
	s_barrier_signal -1
	s_barrier_wait -1
	s_clause 0x8
	scratch_load_b128 v[112:115], off, off offset:320
	scratch_load_b128 v[116:119], off, off offset:336
	;; [unrolled: 1-line block ×7, first 2 shown]
	scratch_load_b64 v[168:169], off, off offset:432
	scratch_load_b64 v[170:171], off, off offset:312
	v_mov_b32_e32 v5, 0
	ds_load_b128 v[140:143], v5 offset:816
	ds_load_b128 v[144:147], v5 offset:832
	;; [unrolled: 1-line block ×7, first 2 shown]
	ds_load_b64 v[172:173], v5 offset:880
	s_mov_b32 s0, exec_lo
	s_wait_dscnt 0x7
	v_dual_mov_b32 v174, v143 :: v_dual_mov_b32 v175, v142
	s_wait_dscnt 0x4
	v_dual_mov_b32 v176, v147 :: v_dual_mov_b32 v181, v154
	v_dual_mov_b32 v177, v146 :: v_dual_mov_b32 v178, v151
	;; [unrolled: 1-line block ×3, first 2 shown]
	s_wait_loadcnt_dscnt 0x803
	v_dual_mul_f32 v9, v156, v113 :: v_dual_mul_f32 v19, v157, v113
	v_dual_mul_f32 v21, v159, v115 :: v_dual_mul_f32 v11, v158, v115
	s_wait_loadcnt_dscnt 0x702
	v_mul_f32_e32 v13, v160, v117
	s_wait_loadcnt 0x5
	v_dual_mul_f32 v31, v141, v125 :: v_dual_fma_f32 v19, v156, v112, -v19
	v_dual_fmac_f32 v9, v157, v112 :: v_dual_mov_b32 v112, v127
	v_dual_mul_f32 v23, v161, v117 :: v_dual_mul_f32 v25, v163, v119
	v_dual_fmac_f32 v11, v159, v114 :: v_dual_fma_f32 v21, v158, v114, -v21
	s_delay_alu instid0(VALU_DEP_3) | instskip(SKIP_3) | instid1(VALU_DEP_3)
	v_dual_add_f32 v9, 0, v9 :: v_dual_add_f32 v19, 0, v19
	s_wait_dscnt 0x1
	v_dual_mul_f32 v15, v162, v119 :: v_dual_mul_f32 v17, v164, v121
	v_dual_fmac_f32 v13, v161, v116 :: v_dual_fma_f32 v23, v160, v116, -v23
	v_dual_add_f32 v9, v9, v11 :: v_dual_add_f32 v11, v19, v21
	v_dual_mul_f32 v27, v165, v121 :: v_dual_mul_f32 v29, v167, v123
	s_wait_loadcnt 0x4
	v_dual_mov_b32 v116, v131 :: v_dual_fma_f32 v19, v162, v118, -v25
	s_delay_alu instid0(VALU_DEP_3) | instskip(SKIP_2) | instid1(VALU_DEP_3)
	v_dual_fmac_f32 v15, v163, v118 :: v_dual_add_f32 v9, v9, v13
	v_dual_add_f32 v11, v11, v23 :: v_dual_fmac_f32 v17, v165, v120
	v_dual_mul_f32 v183, v166, v123 :: v_dual_mul_f32 v185, v140, v125
	v_dual_fma_f32 v13, v164, v120, -v27 :: v_dual_add_f32 v9, v9, v15
	s_delay_alu instid0(VALU_DEP_3) | instskip(NEXT) | instid1(VALU_DEP_3)
	v_dual_add_f32 v11, v11, v19 :: v_dual_fma_f32 v182, v166, v122, -v29
	v_fmac_f32_e32 v183, v167, v122
	v_pk_mul_f32 v[112:113], v[174:175], v[112:113] op_sel_hi:[1,0]
	s_delay_alu instid0(VALU_DEP_4) | instskip(NEXT) | instid1(VALU_DEP_4)
	v_add_f32_e32 v121, v9, v17
	v_dual_add_f32 v120, v11, v13 :: v_dual_fmac_f32 v185, v141, v124
	v_pk_mul_f32 v[114:115], v[144:145], v[128:129] op_sel:[1,1] op_sel_hi:[0,1]
	s_wait_loadcnt 0x3
	v_dual_mov_b32 v122, v135 :: v_dual_fma_f32 v184, v140, v124, -v31
	v_pk_fma_f32 v[124:125], v[142:143], v[126:127], v[112:113] op_sel_hi:[1,0,1]
	v_pk_add_f32 v[120:121], v[120:121], v[182:183]
	v_pk_fma_f32 v[112:113], v[142:143], v[126:127], v[112:113] neg_lo:[0,0,1] neg_hi:[0,0,1]
	v_pk_fma_f32 v[140:141], v[144:145], v[128:129], v[114:115] op_sel_hi:[1,0,1]
	v_pk_mul_f32 v[116:117], v[176:177], v[116:117] op_sel_hi:[1,0]
	v_mov_b32_e32 v113, v125
	v_pk_add_f32 v[120:121], v[120:121], v[184:185]
	v_pk_fma_f32 v[114:115], v[144:145], v[128:129], v[114:115] neg_lo:[0,0,1] neg_hi:[0,0,1]
	v_pk_mul_f32 v[118:119], v[148:149], v[132:133] op_sel:[1,1] op_sel_hi:[0,1]
	v_mov_b32_e32 v115, v141
	v_pk_fma_f32 v[126:127], v[146:147], v[130:131], v[116:117] op_sel_hi:[1,0,1]
	v_pk_add_f32 v[112:113], v[120:121], v[112:113]
	v_pk_fma_f32 v[116:117], v[146:147], v[130:131], v[116:117] neg_lo:[0,0,1] neg_hi:[0,0,1]
	v_pk_fma_f32 v[120:121], v[148:149], v[132:133], v[118:119] op_sel_hi:[1,0,1]
	v_pk_mul_f32 v[122:123], v[178:179], v[122:123] op_sel_hi:[1,0]
	v_mov_b32_e32 v117, v127
	v_pk_add_f32 v[112:113], v[112:113], v[114:115]
	v_pk_fma_f32 v[118:119], v[148:149], v[132:133], v[118:119] neg_lo:[0,0,1] neg_hi:[0,0,1]
	s_wait_loadcnt 0x2
	v_pk_mul_f32 v[124:125], v[152:153], v[136:137] op_sel:[1,1] op_sel_hi:[0,1]
	v_dual_mov_b32 v114, v139 :: v_dual_mov_b32 v119, v121
	v_pk_fma_f32 v[120:121], v[150:151], v[134:135], v[122:123] op_sel_hi:[1,0,1]
	v_pk_add_f32 v[112:113], v[112:113], v[116:117]
	v_pk_fma_f32 v[122:123], v[150:151], v[134:135], v[122:123] neg_lo:[0,0,1] neg_hi:[0,0,1]
	v_pk_fma_f32 v[116:117], v[152:153], v[136:137], v[124:125] op_sel_hi:[1,0,1]
	v_pk_mul_f32 v[114:115], v[180:181], v[114:115] op_sel_hi:[1,0]
	v_mov_b32_e32 v123, v121
	v_pk_add_f32 v[112:113], v[112:113], v[118:119]
	v_pk_fma_f32 v[118:119], v[152:153], v[136:137], v[124:125] neg_lo:[0,0,1] neg_hi:[0,0,1]
	v_mov_b32_e32 v119, v117
	v_pk_fma_f32 v[116:117], v[154:155], v[138:139], v[114:115] op_sel_hi:[1,0,1]
	s_wait_loadcnt_dscnt 0x100
	v_pk_mul_f32 v[120:121], v[172:173], v[168:169] op_sel:[1,1] op_sel_hi:[0,1]
	v_pk_add_f32 v[112:113], v[112:113], v[122:123]
	v_pk_fma_f32 v[114:115], v[154:155], v[138:139], v[114:115] neg_lo:[0,0,1] neg_hi:[0,0,1]
	v_mov_b32_e32 v115, v117
	s_delay_alu instid0(VALU_DEP_4) | instskip(NEXT) | instid1(VALU_DEP_4)
	v_pk_fma_f32 v[116:117], v[172:173], v[168:169], v[120:121] op_sel_hi:[1,0,1]
	v_pk_add_f32 v[112:113], v[112:113], v[118:119]
	v_pk_fma_f32 v[118:119], v[172:173], v[168:169], v[120:121] neg_lo:[0,0,1] neg_hi:[0,0,1]
	s_delay_alu instid0(VALU_DEP_3) | instskip(NEXT) | instid1(VALU_DEP_3)
	v_mov_b32_e32 v119, v117
	v_pk_add_f32 v[112:113], v[112:113], v[114:115]
	s_delay_alu instid0(VALU_DEP_1) | instskip(SKIP_1) | instid1(VALU_DEP_1)
	v_pk_add_f32 v[112:113], v[112:113], v[118:119]
	s_wait_loadcnt 0x0
	v_pk_add_f32 v[112:113], v[170:171], v[112:113] neg_lo:[0,1] neg_hi:[0,1]
	scratch_store_b64 off, v[112:113], off offset:312
	s_wait_xcnt 0x0
	v_cmpx_lt_u32_e32 38, v0
	s_cbranch_execz .LBB54_267
; %bb.266:
	scratch_load_b64 v[112:113], off, off offset:304
	v_mov_b64_e32 v[114:115], 0
	scratch_store_b64 off, v[114:115], off offset:304
	s_wait_loadcnt 0x0
	ds_store_b64 v1, v[112:113]
.LBB54_267:
	s_wait_xcnt 0x0
	s_or_b32 exec_lo, exec_lo, s0
	s_wait_storecnt_dscnt 0x0
	s_barrier_signal -1
	s_barrier_wait -1
	s_clause 0x8
	scratch_load_b128 v[112:115], off, off offset:312
	scratch_load_b128 v[116:119], off, off offset:328
	;; [unrolled: 1-line block ×8, first 2 shown]
	scratch_load_b64 v[176:177], off, off offset:304
	ds_load_2addr_b64 v[144:147], v5 offset0:103 offset1:104
	ds_load_2addr_b64 v[148:151], v5 offset0:105 offset1:106
	;; [unrolled: 1-line block ×8, first 2 shown]
	s_mov_b32 s0, exec_lo
	s_wait_dscnt 0x7
	v_dual_mov_b32 v178, v147 :: v_dual_mov_b32 v179, v146
	s_wait_dscnt 0x6
	v_dual_mov_b32 v180, v151 :: v_dual_mov_b32 v181, v150
	;; [unrolled: 2-line block ×4, first 2 shown]
	s_wait_loadcnt_dscnt 0x803
	v_dual_mul_f32 v5, v160, v113 :: v_dual_mul_f32 v9, v162, v115
	v_dual_mul_f32 v19, v161, v113 :: v_dual_mul_f32 v21, v163, v115
	s_wait_loadcnt_dscnt 0x702
	v_dual_mul_f32 v11, v164, v117 :: v_dual_mul_f32 v13, v166, v119
	s_delay_alu instid0(VALU_DEP_2) | instskip(SKIP_3) | instid1(VALU_DEP_3)
	v_dual_fmac_f32 v5, v161, v112 :: v_dual_fma_f32 v19, v160, v112, -v19
	v_dual_mul_f32 v23, v165, v117 :: v_dual_mul_f32 v25, v167, v119
	s_wait_loadcnt_dscnt 0x500
	v_dual_mul_f32 v31, v173, v125 :: v_dual_fmac_f32 v9, v163, v114
	v_dual_fma_f32 v21, v162, v114, -v21 :: v_dual_add_f32 v5, 0, v5
	v_dual_add_f32 v19, 0, v19 :: v_dual_fmac_f32 v11, v165, v116
	v_dual_mul_f32 v33, v175, v127 :: v_dual_fma_f32 v23, v164, v116, -v23
	s_delay_alu instid0(VALU_DEP_3) | instskip(NEXT) | instid1(VALU_DEP_3)
	v_dual_add_f32 v5, v5, v9 :: v_dual_fmac_f32 v13, v167, v118
	v_dual_add_f32 v9, v19, v21 :: v_dual_fma_f32 v19, v166, v118, -v25
	v_dual_mul_f32 v15, v168, v121 :: v_dual_mul_f32 v17, v170, v123
	v_dual_mul_f32 v27, v169, v121 :: v_dual_mul_f32 v29, v171, v123
	s_wait_loadcnt 0x4
	v_dual_add_f32 v5, v5, v11 :: v_dual_mov_b32 v114, v131
	s_delay_alu instid0(VALU_DEP_2) | instskip(SKIP_2) | instid1(VALU_DEP_4)
	v_dual_add_f32 v9, v9, v23 :: v_dual_fma_f32 v11, v168, v120, -v27
	v_pk_mul_f32 v[112:113], v[144:145], v[128:129] op_sel:[1,1] op_sel_hi:[0,1]
	v_dual_fmac_f32 v15, v169, v120 :: v_dual_fmac_f32 v17, v171, v122
	v_dual_add_f32 v5, v5, v13 :: v_dual_fma_f32 v13, v170, v122, -v29
	s_wait_loadcnt 0x3
	v_dual_add_f32 v9, v9, v19 :: v_dual_mov_b32 v118, v135
	v_dual_mul_f32 v187, v172, v125 :: v_dual_mul_f32 v189, v174, v127
	s_delay_alu instid0(VALU_DEP_3) | instskip(NEXT) | instid1(VALU_DEP_3)
	v_dual_add_f32 v5, v5, v15 :: v_dual_fma_f32 v186, v172, v124, -v31
	v_add_f32_e32 v9, v9, v11
	v_pk_fma_f32 v[122:123], v[144:145], v[128:129], v[112:113] op_sel_hi:[1,0,1]
	v_pk_mul_f32 v[114:115], v[178:179], v[114:115] op_sel_hi:[1,0]
	v_pk_fma_f32 v[112:113], v[144:145], v[128:129], v[112:113] neg_lo:[0,0,1] neg_hi:[0,0,1]
	v_dual_fmac_f32 v187, v173, v124 :: v_dual_fma_f32 v188, v174, v126, -v33
	s_delay_alu instid0(VALU_DEP_4)
	v_dual_add_f32 v121, v5, v17 :: v_dual_mov_b32 v113, v123
	v_fmac_f32_e32 v189, v175, v126
	v_pk_fma_f32 v[122:123], v[146:147], v[130:131], v[114:115] op_sel_hi:[1,0,1]
	v_add_f32_e32 v120, v9, v13
	v_pk_fma_f32 v[114:115], v[146:147], v[130:131], v[114:115] neg_lo:[0,0,1] neg_hi:[0,0,1]
	v_pk_mul_f32 v[116:117], v[148:149], v[132:133] op_sel:[1,1] op_sel_hi:[0,1]
	v_pk_mul_f32 v[118:119], v[180:181], v[118:119] op_sel_hi:[1,0]
	v_mov_b32_e32 v115, v123
	v_pk_add_f32 v[120:121], v[120:121], v[186:187]
	s_wait_loadcnt 0x2
	v_pk_mul_f32 v[124:125], v[152:153], v[136:137] op_sel:[1,1] op_sel_hi:[0,1]
	v_pk_fma_f32 v[126:127], v[148:149], v[132:133], v[116:117] op_sel_hi:[1,0,1]
	v_pk_fma_f32 v[116:117], v[148:149], v[132:133], v[116:117] neg_lo:[0,0,1] neg_hi:[0,0,1]
	v_pk_fma_f32 v[122:123], v[150:151], v[134:135], v[118:119] op_sel_hi:[1,0,1]
	v_pk_add_f32 v[120:121], v[120:121], v[188:189]
	v_pk_fma_f32 v[118:119], v[150:151], v[134:135], v[118:119] neg_lo:[0,0,1] neg_hi:[0,0,1]
	v_mov_b32_e32 v117, v127
	s_delay_alu instid0(VALU_DEP_3) | instskip(SKIP_1) | instid1(VALU_DEP_2)
	v_pk_add_f32 v[112:113], v[120:121], v[112:113]
	v_mov_b32_e32 v120, v139
	v_pk_add_f32 v[112:113], v[112:113], v[114:115]
	v_pk_fma_f32 v[114:115], v[152:153], v[136:137], v[124:125] op_sel_hi:[1,0,1]
	s_delay_alu instid0(VALU_DEP_3)
	v_pk_mul_f32 v[120:121], v[182:183], v[120:121] op_sel_hi:[1,0]
	v_mov_b32_e32 v119, v123
	v_pk_fma_f32 v[122:123], v[152:153], v[136:137], v[124:125] neg_lo:[0,0,1] neg_hi:[0,0,1]
	v_pk_add_f32 v[112:113], v[112:113], v[116:117]
	v_mov_b32_e32 v123, v115
	v_pk_fma_f32 v[114:115], v[154:155], v[138:139], v[120:121] op_sel_hi:[1,0,1]
	s_wait_loadcnt 0x1
	v_pk_mul_f32 v[116:117], v[156:157], v[140:141] op_sel:[1,1] op_sel_hi:[0,1]
	v_mov_b32_e32 v114, v143
	v_pk_add_f32 v[112:113], v[112:113], v[118:119]
	v_pk_fma_f32 v[120:121], v[154:155], v[138:139], v[120:121] neg_lo:[0,0,1] neg_hi:[0,0,1]
	v_mov_b32_e32 v121, v115
	v_pk_fma_f32 v[118:119], v[156:157], v[140:141], v[116:117] op_sel_hi:[1,0,1]
	v_pk_mul_f32 v[114:115], v[184:185], v[114:115] op_sel_hi:[1,0]
	v_pk_add_f32 v[112:113], v[112:113], v[122:123]
	v_pk_fma_f32 v[116:117], v[156:157], v[140:141], v[116:117] neg_lo:[0,0,1] neg_hi:[0,0,1]
	s_delay_alu instid0(VALU_DEP_4) | instskip(NEXT) | instid1(VALU_DEP_4)
	v_mov_b32_e32 v117, v119
	v_pk_fma_f32 v[118:119], v[158:159], v[142:143], v[114:115] op_sel_hi:[1,0,1]
	s_delay_alu instid0(VALU_DEP_4) | instskip(SKIP_1) | instid1(VALU_DEP_3)
	v_pk_add_f32 v[112:113], v[112:113], v[120:121]
	v_pk_fma_f32 v[114:115], v[158:159], v[142:143], v[114:115] neg_lo:[0,0,1] neg_hi:[0,0,1]
	v_mov_b32_e32 v115, v119
	s_delay_alu instid0(VALU_DEP_3) | instskip(NEXT) | instid1(VALU_DEP_1)
	v_pk_add_f32 v[112:113], v[112:113], v[116:117]
	v_pk_add_f32 v[112:113], v[112:113], v[114:115]
	s_wait_loadcnt 0x0
	s_delay_alu instid0(VALU_DEP_1)
	v_pk_add_f32 v[112:113], v[176:177], v[112:113] neg_lo:[0,1] neg_hi:[0,1]
	scratch_store_b64 off, v[112:113], off offset:304
	s_wait_xcnt 0x0
	v_cmpx_lt_u32_e32 37, v0
	s_cbranch_execz .LBB54_269
; %bb.268:
	scratch_load_b64 v[112:113], off, off offset:296
	v_mov_b64_e32 v[114:115], 0
	scratch_store_b64 off, v[114:115], off offset:296
	s_wait_loadcnt 0x0
	ds_store_b64 v1, v[112:113]
.LBB54_269:
	s_wait_xcnt 0x0
	s_or_b32 exec_lo, exec_lo, s0
	s_wait_storecnt_dscnt 0x0
	s_barrier_signal -1
	s_barrier_wait -1
	s_clause 0x9
	scratch_load_b128 v[112:115], off, off offset:304
	scratch_load_b128 v[116:119], off, off offset:320
	;; [unrolled: 1-line block ×8, first 2 shown]
	scratch_load_b64 v[176:177], off, off offset:432
	scratch_load_b64 v[178:179], off, off offset:296
	v_mov_b32_e32 v5, 0
	ds_load_b128 v[144:147], v5 offset:816
	ds_load_b128 v[148:151], v5 offset:832
	;; [unrolled: 1-line block ×8, first 2 shown]
	ds_load_b64 v[180:181], v5 offset:880
	s_mov_b32 s0, exec_lo
	s_wait_dscnt 0x8
	v_dual_mov_b32 v182, v147 :: v_dual_mov_b32 v183, v146
	s_wait_dscnt 0x5
	v_dual_mov_b32 v184, v151 :: v_dual_mov_b32 v189, v158
	v_dual_mov_b32 v185, v150 :: v_dual_mov_b32 v186, v155
	;; [unrolled: 1-line block ×3, first 2 shown]
	s_wait_loadcnt_dscnt 0x904
	v_dual_mul_f32 v9, v160, v113 :: v_dual_mul_f32 v23, v161, v113
	v_dual_mul_f32 v25, v163, v115 :: v_dual_mul_f32 v11, v162, v115
	s_wait_loadcnt_dscnt 0x803
	v_mul_f32_e32 v13, v164, v117
	s_wait_loadcnt_dscnt 0x601
	v_dual_mul_f32 v35, v173, v125 :: v_dual_fma_f32 v23, v160, v112, -v23
	v_dual_fmac_f32 v9, v161, v112 :: v_dual_mul_f32 v37, v175, v127
	v_dual_mul_f32 v27, v165, v117 :: v_dual_mul_f32 v29, v167, v119
	v_dual_fmac_f32 v11, v163, v114 :: v_dual_fma_f32 v25, v162, v114, -v25
	s_delay_alu instid0(VALU_DEP_3)
	v_dual_add_f32 v9, 0, v9 :: v_dual_add_f32 v23, 0, v23
	v_dual_mul_f32 v15, v166, v119 :: v_dual_mul_f32 v17, v168, v121
	s_wait_loadcnt 0x5
	v_dual_mul_f32 v39, v145, v129 :: v_dual_fma_f32 v27, v164, v116, -v27
	v_fmac_f32_e32 v13, v165, v116
	v_dual_add_f32 v9, v9, v11 :: v_dual_mov_b32 v112, v131
	v_add_f32_e32 v11, v23, v25
	v_dual_mul_f32 v31, v169, v121 :: v_dual_mul_f32 v33, v171, v123
	v_dual_fmac_f32 v15, v167, v118 :: v_dual_fma_f32 v23, v166, v118, -v29
	s_delay_alu instid0(VALU_DEP_3) | instskip(SKIP_1) | instid1(VALU_DEP_4)
	v_dual_add_f32 v9, v9, v13 :: v_dual_add_f32 v11, v11, v27
	v_dual_mul_f32 v19, v170, v123 :: v_dual_mul_f32 v21, v172, v125
	v_dual_fmac_f32 v17, v169, v120 :: v_dual_fma_f32 v13, v168, v120, -v31
	s_wait_loadcnt 0x4
	s_delay_alu instid0(VALU_DEP_3) | instskip(SKIP_1) | instid1(VALU_DEP_2)
	v_dual_add_f32 v9, v9, v15 :: v_dual_mov_b32 v116, v135
	v_dual_add_f32 v11, v11, v23 :: v_dual_fma_f32 v15, v170, v122, -v33
	v_dual_fmac_f32 v19, v171, v122 :: v_dual_add_f32 v9, v9, v17
	v_dual_mul_f32 v191, v174, v127 :: v_dual_mul_f32 v193, v144, v129
	s_delay_alu instid0(VALU_DEP_3) | instskip(NEXT) | instid1(VALU_DEP_3)
	v_dual_add_f32 v11, v11, v13 :: v_dual_fmac_f32 v21, v173, v124
	v_dual_fma_f32 v13, v172, v124, -v35 :: v_dual_add_f32 v9, v9, v19
	s_delay_alu instid0(VALU_DEP_3) | instskip(NEXT) | instid1(VALU_DEP_3)
	v_fmac_f32_e32 v191, v175, v126
	v_dual_add_f32 v11, v11, v15 :: v_dual_fma_f32 v190, v174, v126, -v37
	v_pk_mul_f32 v[112:113], v[182:183], v[112:113] op_sel_hi:[1,0]
	s_delay_alu instid0(VALU_DEP_4) | instskip(SKIP_1) | instid1(VALU_DEP_4)
	v_add_f32_e32 v121, v9, v21
	v_pk_mul_f32 v[114:115], v[148:149], v[132:133] op_sel:[1,1] op_sel_hi:[0,1]
	v_dual_add_f32 v120, v11, v13 :: v_dual_fmac_f32 v193, v145, v128
	s_wait_loadcnt 0x3
	v_dual_mov_b32 v122, v139 :: v_dual_fma_f32 v192, v144, v128, -v39
	v_pk_fma_f32 v[124:125], v[146:147], v[130:131], v[112:113] op_sel_hi:[1,0,1]
	s_delay_alu instid0(VALU_DEP_3)
	v_pk_add_f32 v[120:121], v[120:121], v[190:191]
	v_pk_fma_f32 v[112:113], v[146:147], v[130:131], v[112:113] neg_lo:[0,0,1] neg_hi:[0,0,1]
	v_pk_fma_f32 v[126:127], v[148:149], v[132:133], v[114:115] op_sel_hi:[1,0,1]
	v_pk_mul_f32 v[116:117], v[184:185], v[116:117] op_sel_hi:[1,0]
	v_mov_b32_e32 v113, v125
	v_pk_add_f32 v[120:121], v[120:121], v[192:193]
	v_pk_fma_f32 v[114:115], v[148:149], v[132:133], v[114:115] neg_lo:[0,0,1] neg_hi:[0,0,1]
	v_pk_mul_f32 v[118:119], v[152:153], v[136:137] op_sel:[1,1] op_sel_hi:[0,1]
	v_mov_b32_e32 v115, v127
	v_pk_fma_f32 v[126:127], v[150:151], v[134:135], v[116:117] op_sel_hi:[1,0,1]
	v_pk_add_f32 v[112:113], v[120:121], v[112:113]
	v_pk_fma_f32 v[116:117], v[150:151], v[134:135], v[116:117] neg_lo:[0,0,1] neg_hi:[0,0,1]
	v_pk_fma_f32 v[120:121], v[152:153], v[136:137], v[118:119] op_sel_hi:[1,0,1]
	v_pk_mul_f32 v[122:123], v[186:187], v[122:123] op_sel_hi:[1,0]
	v_mov_b32_e32 v117, v127
	v_pk_add_f32 v[112:113], v[112:113], v[114:115]
	v_pk_fma_f32 v[118:119], v[152:153], v[136:137], v[118:119] neg_lo:[0,0,1] neg_hi:[0,0,1]
	s_wait_loadcnt 0x2
	v_pk_mul_f32 v[124:125], v[156:157], v[140:141] op_sel:[1,1] op_sel_hi:[0,1]
	v_dual_mov_b32 v114, v143 :: v_dual_mov_b32 v119, v121
	v_pk_fma_f32 v[120:121], v[154:155], v[138:139], v[122:123] op_sel_hi:[1,0,1]
	v_pk_add_f32 v[112:113], v[112:113], v[116:117]
	v_pk_fma_f32 v[122:123], v[154:155], v[138:139], v[122:123] neg_lo:[0,0,1] neg_hi:[0,0,1]
	v_pk_fma_f32 v[116:117], v[156:157], v[140:141], v[124:125] op_sel_hi:[1,0,1]
	v_pk_mul_f32 v[114:115], v[188:189], v[114:115] op_sel_hi:[1,0]
	v_mov_b32_e32 v123, v121
	v_pk_add_f32 v[112:113], v[112:113], v[118:119]
	v_pk_fma_f32 v[118:119], v[156:157], v[140:141], v[124:125] neg_lo:[0,0,1] neg_hi:[0,0,1]
	v_mov_b32_e32 v119, v117
	v_pk_fma_f32 v[116:117], v[158:159], v[142:143], v[114:115] op_sel_hi:[1,0,1]
	s_wait_loadcnt_dscnt 0x100
	v_pk_mul_f32 v[120:121], v[180:181], v[176:177] op_sel:[1,1] op_sel_hi:[0,1]
	v_pk_add_f32 v[112:113], v[112:113], v[122:123]
	v_pk_fma_f32 v[114:115], v[158:159], v[142:143], v[114:115] neg_lo:[0,0,1] neg_hi:[0,0,1]
	v_mov_b32_e32 v115, v117
	s_delay_alu instid0(VALU_DEP_4) | instskip(NEXT) | instid1(VALU_DEP_4)
	v_pk_fma_f32 v[116:117], v[180:181], v[176:177], v[120:121] op_sel_hi:[1,0,1]
	v_pk_add_f32 v[112:113], v[112:113], v[118:119]
	v_pk_fma_f32 v[118:119], v[180:181], v[176:177], v[120:121] neg_lo:[0,0,1] neg_hi:[0,0,1]
	s_delay_alu instid0(VALU_DEP_3) | instskip(NEXT) | instid1(VALU_DEP_3)
	v_mov_b32_e32 v119, v117
	v_pk_add_f32 v[112:113], v[112:113], v[114:115]
	s_delay_alu instid0(VALU_DEP_1) | instskip(SKIP_1) | instid1(VALU_DEP_1)
	v_pk_add_f32 v[112:113], v[112:113], v[118:119]
	s_wait_loadcnt 0x0
	v_pk_add_f32 v[112:113], v[178:179], v[112:113] neg_lo:[0,1] neg_hi:[0,1]
	scratch_store_b64 off, v[112:113], off offset:296
	s_wait_xcnt 0x0
	v_cmpx_lt_u32_e32 36, v0
	s_cbranch_execz .LBB54_271
; %bb.270:
	scratch_load_b64 v[112:113], off, off offset:288
	v_mov_b64_e32 v[114:115], 0
	scratch_store_b64 off, v[114:115], off offset:288
	s_wait_loadcnt 0x0
	ds_store_b64 v1, v[112:113]
.LBB54_271:
	s_wait_xcnt 0x0
	s_or_b32 exec_lo, exec_lo, s0
	s_wait_storecnt_dscnt 0x0
	s_barrier_signal -1
	s_barrier_wait -1
	s_clause 0x9
	scratch_load_b128 v[112:115], off, off offset:296
	scratch_load_b128 v[116:119], off, off offset:312
	;; [unrolled: 1-line block ×9, first 2 shown]
	scratch_load_b64 v[184:185], off, off offset:288
	ds_load_2addr_b64 v[148:151], v5 offset0:103 offset1:104
	ds_load_2addr_b64 v[152:155], v5 offset0:105 offset1:106
	;; [unrolled: 1-line block ×9, first 2 shown]
	s_mov_b32 s0, exec_lo
	s_wait_dscnt 0x8
	v_dual_mov_b32 v186, v151 :: v_dual_mov_b32 v187, v150
	s_wait_dscnt 0x7
	v_dual_mov_b32 v188, v155 :: v_dual_mov_b32 v189, v154
	;; [unrolled: 2-line block ×4, first 2 shown]
	s_wait_loadcnt_dscnt 0x904
	v_dual_mul_f32 v5, v164, v113 :: v_dual_mul_f32 v9, v166, v115
	v_dual_mul_f32 v23, v165, v113 :: v_dual_mul_f32 v25, v167, v115
	s_wait_loadcnt_dscnt 0x803
	v_dual_mul_f32 v11, v168, v117 :: v_dual_mul_f32 v13, v170, v119
	s_delay_alu instid0(VALU_DEP_2) | instskip(SKIP_3) | instid1(VALU_DEP_3)
	v_dual_fmac_f32 v5, v165, v112 :: v_dual_fma_f32 v23, v164, v112, -v23
	v_dual_mul_f32 v27, v169, v117 :: v_dual_mul_f32 v29, v171, v119
	s_wait_loadcnt_dscnt 0x601
	v_dual_mul_f32 v35, v177, v125 :: v_dual_fmac_f32 v9, v167, v114
	v_dual_fma_f32 v25, v166, v114, -v25 :: v_dual_add_f32 v5, 0, v5
	v_dual_add_f32 v23, 0, v23 :: v_dual_fmac_f32 v11, v169, v116
	v_dual_mul_f32 v37, v179, v127 :: v_dual_fma_f32 v27, v168, v116, -v27
	s_delay_alu instid0(VALU_DEP_3) | instskip(NEXT) | instid1(VALU_DEP_3)
	v_dual_add_f32 v5, v5, v9 :: v_dual_fmac_f32 v13, v171, v118
	v_dual_add_f32 v9, v23, v25 :: v_dual_fma_f32 v25, v170, v118, -v29
	v_dual_mul_f32 v15, v172, v121 :: v_dual_mul_f32 v17, v174, v123
	v_dual_mul_f32 v31, v173, v121 :: v_dual_mul_f32 v33, v175, v123
	s_delay_alu instid0(VALU_DEP_4) | instskip(NEXT) | instid1(VALU_DEP_3)
	v_add_f32_e32 v5, v5, v11
	v_dual_add_f32 v9, v9, v27 :: v_dual_fmac_f32 v17, v175, v122
	s_delay_alu instid0(VALU_DEP_4) | instskip(NEXT) | instid1(VALU_DEP_3)
	v_fmac_f32_e32 v15, v173, v120
	v_dual_fma_f32 v27, v172, v120, -v31 :: v_dual_add_f32 v5, v5, v13
	s_wait_loadcnt 0x4
	s_delay_alu instid0(VALU_DEP_3) | instskip(SKIP_1) | instid1(VALU_DEP_3)
	v_dual_mov_b32 v114, v135 :: v_dual_add_f32 v9, v9, v25
	v_dual_mul_f32 v19, v176, v125 :: v_dual_mul_f32 v21, v178, v127
	v_dual_fma_f32 v13, v174, v122, -v33 :: v_dual_add_f32 v5, v5, v15
	s_delay_alu instid0(VALU_DEP_3)
	v_dual_fma_f32 v15, v176, v124, -v35 :: v_dual_add_f32 v9, v9, v27
	s_wait_dscnt 0x0
	v_dual_mul_f32 v195, v180, v129 :: v_dual_mul_f32 v197, v182, v131
	v_dual_mul_f32 v23, v181, v129 :: v_dual_mul_f32 v11, v183, v131
	v_pk_mul_f32 v[112:113], v[148:149], v[132:133] op_sel:[1,1] op_sel_hi:[0,1]
	s_wait_loadcnt 0x3
	v_dual_fmac_f32 v19, v177, v124 :: v_dual_mov_b32 v118, v139
	v_dual_add_f32 v9, v9, v13 :: v_dual_fmac_f32 v197, v183, v130
	v_dual_fmac_f32 v21, v179, v126 :: v_dual_add_f32 v5, v5, v17
	v_fma_f32 v194, v180, v128, -v23
	v_pk_mul_f32 v[116:117], v[152:153], v[136:137] op_sel:[1,1] op_sel_hi:[0,1]
	v_fma_f32 v13, v178, v126, -v37
	v_pk_fma_f32 v[122:123], v[148:149], v[132:133], v[112:113] op_sel_hi:[1,0,1]
	v_dual_add_f32 v5, v5, v19 :: v_dual_fma_f32 v196, v182, v130, -v11
	v_add_f32_e32 v9, v9, v15
	v_pk_mul_f32 v[114:115], v[186:187], v[114:115] op_sel_hi:[1,0]
	v_pk_fma_f32 v[112:113], v[148:149], v[132:133], v[112:113] neg_lo:[0,0,1] neg_hi:[0,0,1]
	s_delay_alu instid0(VALU_DEP_4)
	v_dual_add_f32 v121, v5, v21 :: v_dual_mov_b32 v113, v123
	v_pk_fma_f32 v[126:127], v[152:153], v[136:137], v[116:117] op_sel_hi:[1,0,1]
	v_add_f32_e32 v120, v9, v13
	v_pk_fma_f32 v[122:123], v[150:151], v[134:135], v[114:115] op_sel_hi:[1,0,1]
	v_fmac_f32_e32 v195, v181, v128
	v_pk_fma_f32 v[114:115], v[150:151], v[134:135], v[114:115] neg_lo:[0,0,1] neg_hi:[0,0,1]
	v_pk_fma_f32 v[116:117], v[152:153], v[136:137], v[116:117] neg_lo:[0,0,1] neg_hi:[0,0,1]
	s_delay_alu instid0(VALU_DEP_4) | instskip(NEXT) | instid1(VALU_DEP_4)
	v_dual_mov_b32 v117, v127 :: v_dual_mov_b32 v115, v123
	v_pk_add_f32 v[120:121], v[120:121], v[194:195]
	v_pk_mul_f32 v[118:119], v[188:189], v[118:119] op_sel_hi:[1,0]
	s_wait_loadcnt 0x2
	v_pk_mul_f32 v[124:125], v[156:157], v[140:141] op_sel:[1,1] op_sel_hi:[0,1]
	s_delay_alu instid0(VALU_DEP_3) | instskip(NEXT) | instid1(VALU_DEP_3)
	v_pk_add_f32 v[120:121], v[120:121], v[196:197]
	v_pk_fma_f32 v[122:123], v[154:155], v[138:139], v[118:119] op_sel_hi:[1,0,1]
	v_pk_fma_f32 v[118:119], v[154:155], v[138:139], v[118:119] neg_lo:[0,0,1] neg_hi:[0,0,1]
	s_delay_alu instid0(VALU_DEP_3) | instskip(SKIP_1) | instid1(VALU_DEP_2)
	v_pk_add_f32 v[112:113], v[120:121], v[112:113]
	v_mov_b32_e32 v120, v143
	v_pk_add_f32 v[112:113], v[112:113], v[114:115]
	v_pk_fma_f32 v[114:115], v[156:157], v[140:141], v[124:125] op_sel_hi:[1,0,1]
	s_delay_alu instid0(VALU_DEP_3)
	v_pk_mul_f32 v[120:121], v[190:191], v[120:121] op_sel_hi:[1,0]
	v_mov_b32_e32 v119, v123
	v_pk_fma_f32 v[122:123], v[156:157], v[140:141], v[124:125] neg_lo:[0,0,1] neg_hi:[0,0,1]
	v_pk_add_f32 v[112:113], v[112:113], v[116:117]
	v_mov_b32_e32 v123, v115
	v_pk_fma_f32 v[114:115], v[158:159], v[142:143], v[120:121] op_sel_hi:[1,0,1]
	s_wait_loadcnt 0x1
	v_pk_mul_f32 v[116:117], v[160:161], v[144:145] op_sel:[1,1] op_sel_hi:[0,1]
	v_mov_b32_e32 v114, v147
	v_pk_add_f32 v[112:113], v[112:113], v[118:119]
	v_pk_fma_f32 v[120:121], v[158:159], v[142:143], v[120:121] neg_lo:[0,0,1] neg_hi:[0,0,1]
	v_mov_b32_e32 v121, v115
	v_pk_fma_f32 v[118:119], v[160:161], v[144:145], v[116:117] op_sel_hi:[1,0,1]
	v_pk_mul_f32 v[114:115], v[192:193], v[114:115] op_sel_hi:[1,0]
	v_pk_add_f32 v[112:113], v[112:113], v[122:123]
	v_pk_fma_f32 v[116:117], v[160:161], v[144:145], v[116:117] neg_lo:[0,0,1] neg_hi:[0,0,1]
	s_delay_alu instid0(VALU_DEP_4) | instskip(NEXT) | instid1(VALU_DEP_4)
	v_mov_b32_e32 v117, v119
	v_pk_fma_f32 v[118:119], v[162:163], v[146:147], v[114:115] op_sel_hi:[1,0,1]
	s_delay_alu instid0(VALU_DEP_4) | instskip(SKIP_1) | instid1(VALU_DEP_3)
	v_pk_add_f32 v[112:113], v[112:113], v[120:121]
	v_pk_fma_f32 v[114:115], v[162:163], v[146:147], v[114:115] neg_lo:[0,0,1] neg_hi:[0,0,1]
	v_mov_b32_e32 v115, v119
	s_delay_alu instid0(VALU_DEP_3) | instskip(NEXT) | instid1(VALU_DEP_1)
	v_pk_add_f32 v[112:113], v[112:113], v[116:117]
	v_pk_add_f32 v[112:113], v[112:113], v[114:115]
	s_wait_loadcnt 0x0
	s_delay_alu instid0(VALU_DEP_1)
	v_pk_add_f32 v[112:113], v[184:185], v[112:113] neg_lo:[0,1] neg_hi:[0,1]
	scratch_store_b64 off, v[112:113], off offset:288
	s_wait_xcnt 0x0
	v_cmpx_lt_u32_e32 35, v0
	s_cbranch_execz .LBB54_273
; %bb.272:
	scratch_load_b64 v[112:113], off, off offset:280
	v_mov_b64_e32 v[114:115], 0
	scratch_store_b64 off, v[114:115], off offset:280
	s_wait_loadcnt 0x0
	ds_store_b64 v1, v[112:113]
.LBB54_273:
	s_wait_xcnt 0x0
	s_or_b32 exec_lo, exec_lo, s0
	s_wait_storecnt_dscnt 0x0
	s_barrier_signal -1
	s_barrier_wait -1
	s_clause 0xa
	scratch_load_b128 v[112:115], off, off offset:288
	scratch_load_b128 v[116:119], off, off offset:304
	;; [unrolled: 1-line block ×9, first 2 shown]
	scratch_load_b64 v[184:185], off, off offset:432
	scratch_load_b64 v[186:187], off, off offset:280
	v_mov_b32_e32 v5, 0
	ds_load_b128 v[148:151], v5 offset:816
	ds_load_b128 v[152:155], v5 offset:832
	;; [unrolled: 1-line block ×9, first 2 shown]
	ds_load_b64 v[188:189], v5 offset:880
	s_mov_b32 s0, exec_lo
	s_wait_dscnt 0x9
	v_dual_mov_b32 v190, v151 :: v_dual_mov_b32 v191, v150
	s_wait_dscnt 0x6
	v_dual_mov_b32 v192, v155 :: v_dual_mov_b32 v197, v162
	v_dual_mov_b32 v193, v154 :: v_dual_mov_b32 v194, v159
	;; [unrolled: 1-line block ×3, first 2 shown]
	s_wait_loadcnt_dscnt 0xa05
	v_dual_mul_f32 v9, v164, v113 :: v_dual_mul_f32 v27, v165, v113
	v_dual_mul_f32 v29, v167, v115 :: v_dual_mul_f32 v11, v166, v115
	s_wait_loadcnt_dscnt 0x904
	v_mul_f32_e32 v13, v168, v117
	s_wait_loadcnt_dscnt 0x702
	v_dual_mul_f32 v39, v177, v125 :: v_dual_fma_f32 v27, v164, v112, -v27
	v_dual_fmac_f32 v9, v165, v112 :: v_dual_mul_f32 v41, v179, v127
	v_dual_mul_f32 v31, v169, v117 :: v_dual_mul_f32 v33, v171, v119
	v_dual_fmac_f32 v11, v167, v114 :: v_dual_fma_f32 v29, v166, v114, -v29
	s_delay_alu instid0(VALU_DEP_3) | instskip(SKIP_4) | instid1(VALU_DEP_3)
	v_dual_add_f32 v9, 0, v9 :: v_dual_add_f32 v27, 0, v27
	v_dual_mul_f32 v15, v170, v119 :: v_dual_mul_f32 v17, v172, v121
	s_wait_loadcnt_dscnt 0x601
	v_dual_mul_f32 v43, v181, v129 :: v_dual_fma_f32 v31, v168, v116, -v31
	v_fmac_f32_e32 v13, v169, v116
	v_dual_add_f32 v9, v9, v11 :: v_dual_fmac_f32 v15, v171, v118
	v_add_f32_e32 v11, v27, v29
	v_dual_mul_f32 v35, v173, v121 :: v_dual_mul_f32 v37, v175, v123
	v_dual_mul_f32 v27, v183, v131 :: v_dual_fma_f32 v29, v170, v118, -v33
	s_delay_alu instid0(VALU_DEP_3) | instskip(SKIP_3) | instid1(VALU_DEP_3)
	v_dual_add_f32 v9, v9, v13 :: v_dual_add_f32 v11, v11, v31
	v_dual_mul_f32 v19, v174, v123 :: v_dual_mul_f32 v21, v176, v125
	s_wait_loadcnt 0x5
	v_dual_mul_f32 v13, v149, v133 :: v_dual_fma_f32 v31, v172, v120, -v35
	v_dual_fmac_f32 v17, v173, v120 :: v_dual_add_f32 v11, v11, v29
	v_dual_add_f32 v9, v9, v15 :: v_dual_mov_b32 v112, v135
	v_dual_fmac_f32 v19, v175, v122 :: v_dual_fma_f32 v15, v174, v122, -v37
	s_delay_alu instid0(VALU_DEP_2) | instskip(SKIP_3) | instid1(VALU_DEP_3)
	v_dual_add_f32 v11, v11, v31 :: v_dual_add_f32 v9, v9, v17
	v_dual_mul_f32 v23, v178, v127 :: v_dual_mul_f32 v25, v180, v129
	v_dual_fmac_f32 v21, v177, v124 :: v_dual_fma_f32 v17, v176, v124, -v39
	s_wait_loadcnt 0x4
	v_dual_add_f32 v9, v9, v19 :: v_dual_mov_b32 v116, v139
	v_dual_add_f32 v11, v11, v15 :: v_dual_fma_f32 v15, v178, v126, -v41
	s_delay_alu instid0(VALU_DEP_2) | instskip(SKIP_1) | instid1(VALU_DEP_3)
	v_dual_fmac_f32 v23, v179, v126 :: v_dual_add_f32 v9, v9, v21
	v_dual_mul_f32 v199, v182, v131 :: v_dual_mul_f32 v201, v148, v133
	v_dual_add_f32 v11, v11, v17 :: v_dual_fmac_f32 v25, v181, v128
	s_delay_alu instid0(VALU_DEP_3) | instskip(NEXT) | instid1(VALU_DEP_3)
	v_dual_fma_f32 v17, v180, v128, -v43 :: v_dual_add_f32 v9, v9, v23
	v_fmac_f32_e32 v199, v183, v130
	s_delay_alu instid0(VALU_DEP_3) | instskip(SKIP_1) | instid1(VALU_DEP_4)
	v_dual_add_f32 v11, v11, v15 :: v_dual_fma_f32 v198, v182, v130, -v27
	v_pk_mul_f32 v[112:113], v[190:191], v[112:113] op_sel_hi:[1,0]
	v_add_f32_e32 v121, v9, v25
	v_pk_mul_f32 v[114:115], v[152:153], v[136:137] op_sel:[1,1] op_sel_hi:[0,1]
	s_delay_alu instid0(VALU_DEP_4) | instskip(SKIP_3) | instid1(VALU_DEP_3)
	v_dual_add_f32 v120, v11, v17 :: v_dual_fmac_f32 v201, v149, v132
	s_wait_loadcnt 0x3
	v_dual_mov_b32 v122, v143 :: v_dual_fma_f32 v200, v148, v132, -v13
	v_pk_fma_f32 v[124:125], v[150:151], v[134:135], v[112:113] op_sel_hi:[1,0,1]
	v_pk_add_f32 v[120:121], v[120:121], v[198:199]
	v_pk_fma_f32 v[112:113], v[150:151], v[134:135], v[112:113] neg_lo:[0,0,1] neg_hi:[0,0,1]
	v_pk_fma_f32 v[126:127], v[152:153], v[136:137], v[114:115] op_sel_hi:[1,0,1]
	v_pk_mul_f32 v[116:117], v[192:193], v[116:117] op_sel_hi:[1,0]
	v_mov_b32_e32 v113, v125
	v_pk_add_f32 v[120:121], v[120:121], v[200:201]
	v_pk_fma_f32 v[114:115], v[152:153], v[136:137], v[114:115] neg_lo:[0,0,1] neg_hi:[0,0,1]
	v_pk_mul_f32 v[118:119], v[156:157], v[140:141] op_sel:[1,1] op_sel_hi:[0,1]
	v_mov_b32_e32 v115, v127
	v_pk_fma_f32 v[126:127], v[154:155], v[138:139], v[116:117] op_sel_hi:[1,0,1]
	v_pk_add_f32 v[112:113], v[120:121], v[112:113]
	v_pk_fma_f32 v[116:117], v[154:155], v[138:139], v[116:117] neg_lo:[0,0,1] neg_hi:[0,0,1]
	v_pk_fma_f32 v[120:121], v[156:157], v[140:141], v[118:119] op_sel_hi:[1,0,1]
	v_pk_mul_f32 v[122:123], v[194:195], v[122:123] op_sel_hi:[1,0]
	v_mov_b32_e32 v117, v127
	v_pk_add_f32 v[112:113], v[112:113], v[114:115]
	v_pk_fma_f32 v[118:119], v[156:157], v[140:141], v[118:119] neg_lo:[0,0,1] neg_hi:[0,0,1]
	s_wait_loadcnt 0x2
	v_pk_mul_f32 v[124:125], v[160:161], v[144:145] op_sel:[1,1] op_sel_hi:[0,1]
	v_dual_mov_b32 v114, v147 :: v_dual_mov_b32 v119, v121
	v_pk_fma_f32 v[120:121], v[158:159], v[142:143], v[122:123] op_sel_hi:[1,0,1]
	v_pk_add_f32 v[112:113], v[112:113], v[116:117]
	v_pk_fma_f32 v[122:123], v[158:159], v[142:143], v[122:123] neg_lo:[0,0,1] neg_hi:[0,0,1]
	v_pk_fma_f32 v[116:117], v[160:161], v[144:145], v[124:125] op_sel_hi:[1,0,1]
	v_pk_mul_f32 v[114:115], v[196:197], v[114:115] op_sel_hi:[1,0]
	v_mov_b32_e32 v123, v121
	v_pk_add_f32 v[112:113], v[112:113], v[118:119]
	v_pk_fma_f32 v[118:119], v[160:161], v[144:145], v[124:125] neg_lo:[0,0,1] neg_hi:[0,0,1]
	v_mov_b32_e32 v119, v117
	v_pk_fma_f32 v[116:117], v[162:163], v[146:147], v[114:115] op_sel_hi:[1,0,1]
	s_wait_loadcnt_dscnt 0x100
	v_pk_mul_f32 v[120:121], v[188:189], v[184:185] op_sel:[1,1] op_sel_hi:[0,1]
	v_pk_add_f32 v[112:113], v[112:113], v[122:123]
	v_pk_fma_f32 v[114:115], v[162:163], v[146:147], v[114:115] neg_lo:[0,0,1] neg_hi:[0,0,1]
	v_mov_b32_e32 v115, v117
	s_delay_alu instid0(VALU_DEP_4) | instskip(NEXT) | instid1(VALU_DEP_4)
	v_pk_fma_f32 v[116:117], v[188:189], v[184:185], v[120:121] op_sel_hi:[1,0,1]
	v_pk_add_f32 v[112:113], v[112:113], v[118:119]
	v_pk_fma_f32 v[118:119], v[188:189], v[184:185], v[120:121] neg_lo:[0,0,1] neg_hi:[0,0,1]
	s_delay_alu instid0(VALU_DEP_3) | instskip(NEXT) | instid1(VALU_DEP_3)
	v_mov_b32_e32 v119, v117
	v_pk_add_f32 v[112:113], v[112:113], v[114:115]
	s_delay_alu instid0(VALU_DEP_1) | instskip(SKIP_1) | instid1(VALU_DEP_1)
	v_pk_add_f32 v[112:113], v[112:113], v[118:119]
	s_wait_loadcnt 0x0
	v_pk_add_f32 v[112:113], v[186:187], v[112:113] neg_lo:[0,1] neg_hi:[0,1]
	scratch_store_b64 off, v[112:113], off offset:280
	s_wait_xcnt 0x0
	v_cmpx_lt_u32_e32 34, v0
	s_cbranch_execz .LBB54_275
; %bb.274:
	scratch_load_b64 v[112:113], off, off offset:272
	v_mov_b64_e32 v[114:115], 0
	scratch_store_b64 off, v[114:115], off offset:272
	s_wait_loadcnt 0x0
	ds_store_b64 v1, v[112:113]
.LBB54_275:
	s_wait_xcnt 0x0
	s_or_b32 exec_lo, exec_lo, s0
	s_wait_storecnt_dscnt 0x0
	s_barrier_signal -1
	s_barrier_wait -1
	s_clause 0xa
	scratch_load_b128 v[112:115], off, off offset:280
	scratch_load_b128 v[116:119], off, off offset:296
	;; [unrolled: 1-line block ×10, first 2 shown]
	scratch_load_b64 v[192:193], off, off offset:272
	ds_load_2addr_b64 v[152:155], v5 offset0:103 offset1:104
	ds_load_2addr_b64 v[156:159], v5 offset0:105 offset1:106
	;; [unrolled: 1-line block ×10, first 2 shown]
	s_mov_b32 s0, exec_lo
	s_wait_dscnt 0x9
	v_dual_mov_b32 v194, v155 :: v_dual_mov_b32 v195, v154
	s_wait_dscnt 0x8
	v_dual_mov_b32 v196, v159 :: v_dual_mov_b32 v197, v158
	;; [unrolled: 2-line block ×4, first 2 shown]
	s_wait_loadcnt_dscnt 0xa05
	v_dual_mul_f32 v5, v168, v113 :: v_dual_mul_f32 v9, v170, v115
	v_dual_mul_f32 v27, v169, v113 :: v_dual_mul_f32 v29, v171, v115
	s_wait_loadcnt_dscnt 0x904
	v_dual_mul_f32 v11, v172, v117 :: v_dual_mul_f32 v13, v174, v119
	s_delay_alu instid0(VALU_DEP_2) | instskip(SKIP_3) | instid1(VALU_DEP_3)
	v_dual_fmac_f32 v5, v169, v112 :: v_dual_fma_f32 v27, v168, v112, -v27
	v_dual_mul_f32 v31, v173, v117 :: v_dual_mul_f32 v33, v175, v119
	s_wait_loadcnt_dscnt 0x702
	v_dual_mul_f32 v39, v181, v125 :: v_dual_fmac_f32 v9, v171, v114
	v_dual_fma_f32 v29, v170, v114, -v29 :: v_dual_add_f32 v5, 0, v5
	v_dual_add_f32 v27, 0, v27 :: v_dual_fmac_f32 v11, v173, v116
	v_dual_mul_f32 v41, v183, v127 :: v_dual_fma_f32 v31, v172, v116, -v31
	s_delay_alu instid0(VALU_DEP_3) | instskip(NEXT) | instid1(VALU_DEP_3)
	v_dual_add_f32 v5, v5, v9 :: v_dual_fmac_f32 v13, v175, v118
	v_dual_add_f32 v9, v27, v29 :: v_dual_fma_f32 v29, v174, v118, -v33
	v_dual_mul_f32 v15, v176, v121 :: v_dual_mul_f32 v17, v178, v123
	v_dual_mul_f32 v35, v177, v121 :: v_dual_mul_f32 v37, v179, v123
	s_delay_alu instid0(VALU_DEP_4) | instskip(NEXT) | instid1(VALU_DEP_3)
	v_add_f32_e32 v5, v5, v11
	v_dual_add_f32 v9, v9, v31 :: v_dual_fmac_f32 v17, v179, v122
	s_delay_alu instid0(VALU_DEP_4) | instskip(NEXT) | instid1(VALU_DEP_3)
	v_fmac_f32_e32 v15, v177, v120
	v_dual_fma_f32 v31, v176, v120, -v35 :: v_dual_add_f32 v5, v5, v13
	s_delay_alu instid0(VALU_DEP_3) | instskip(SKIP_1) | instid1(VALU_DEP_3)
	v_add_f32_e32 v9, v9, v29
	v_dual_mul_f32 v19, v180, v125 :: v_dual_mul_f32 v21, v182, v127
	v_dual_fma_f32 v29, v178, v122, -v37 :: v_dual_add_f32 v5, v5, v15
	s_wait_loadcnt 0x4
	s_delay_alu instid0(VALU_DEP_3)
	v_dual_add_f32 v9, v9, v31 :: v_dual_mov_b32 v114, v139
	s_wait_dscnt 0x1
	v_dual_mul_f32 v23, v184, v129 :: v_dual_mul_f32 v25, v186, v131
	v_dual_mul_f32 v27, v185, v129 :: v_dual_mul_f32 v11, v187, v131
	v_fmac_f32_e32 v19, v181, v124
	v_dual_fma_f32 v31, v180, v124, -v39 :: v_dual_add_f32 v5, v5, v17
	s_delay_alu instid0(VALU_DEP_3) | instskip(SKIP_3) | instid1(VALU_DEP_3)
	v_dual_add_f32 v9, v9, v29 :: v_dual_fma_f32 v11, v186, v130, -v11
	s_wait_dscnt 0x0
	v_dual_mul_f32 v13, v189, v133 :: v_dual_fmac_f32 v21, v183, v126
	v_pk_mul_f32 v[112:113], v[152:153], v[136:137] op_sel:[1,1] op_sel_hi:[0,1]
	v_dual_fma_f32 v17, v182, v126, -v41 :: v_dual_add_f32 v9, v9, v31
	s_delay_alu instid0(VALU_DEP_3)
	v_fma_f32 v202, v188, v132, -v13
	v_dual_fmac_f32 v25, v187, v130 :: v_dual_add_f32 v5, v5, v19
	s_wait_loadcnt 0x3
	v_dual_mov_b32 v118, v143 :: v_dual_mul_f32 v203, v188, v133
	v_dual_mul_f32 v205, v190, v135 :: v_dual_mul_f32 v15, v191, v135
	v_fmac_f32_e32 v23, v185, v128
	v_dual_fma_f32 v19, v184, v128, -v27 :: v_dual_add_f32 v5, v5, v21
	v_pk_fma_f32 v[122:123], v[152:153], v[136:137], v[112:113] op_sel_hi:[1,0,1]
	v_add_f32_e32 v9, v9, v17
	v_pk_mul_f32 v[114:115], v[194:195], v[114:115] op_sel_hi:[1,0]
	v_pk_fma_f32 v[112:113], v[152:153], v[136:137], v[112:113] neg_lo:[0,0,1] neg_hi:[0,0,1]
	v_pk_mul_f32 v[116:117], v[156:157], v[140:141] op_sel:[1,1] op_sel_hi:[0,1]
	v_dual_fmac_f32 v205, v191, v134 :: v_dual_fma_f32 v204, v190, v134, -v15
	v_dual_mov_b32 v113, v123 :: v_dual_add_f32 v9, v9, v19
	v_pk_fma_f32 v[122:123], v[154:155], v[138:139], v[114:115] op_sel_hi:[1,0,1]
	v_add_f32_e32 v5, v5, v23
	v_pk_mul_f32 v[118:119], v[196:197], v[118:119] op_sel_hi:[1,0]
	v_pk_fma_f32 v[114:115], v[154:155], v[138:139], v[114:115] neg_lo:[0,0,1] neg_hi:[0,0,1]
	v_add_f32_e32 v120, v9, v11
	v_pk_fma_f32 v[126:127], v[156:157], v[140:141], v[116:117] op_sel_hi:[1,0,1]
	v_dual_fmac_f32 v203, v189, v132 :: v_dual_mov_b32 v115, v123
	v_pk_fma_f32 v[122:123], v[158:159], v[142:143], v[118:119] op_sel_hi:[1,0,1]
	v_add_f32_e32 v121, v5, v25
	v_pk_fma_f32 v[116:117], v[156:157], v[140:141], v[116:117] neg_lo:[0,0,1] neg_hi:[0,0,1]
	v_pk_fma_f32 v[118:119], v[158:159], v[142:143], v[118:119] neg_lo:[0,0,1] neg_hi:[0,0,1]
	s_delay_alu instid0(VALU_DEP_4) | instskip(NEXT) | instid1(VALU_DEP_4)
	v_dual_mov_b32 v117, v127 :: v_dual_mov_b32 v119, v123
	v_pk_add_f32 v[120:121], v[120:121], v[202:203]
	s_wait_loadcnt 0x2
	v_pk_mul_f32 v[124:125], v[160:161], v[144:145] op_sel:[1,1] op_sel_hi:[0,1]
	s_delay_alu instid0(VALU_DEP_2) | instskip(NEXT) | instid1(VALU_DEP_2)
	v_pk_add_f32 v[120:121], v[120:121], v[204:205]
	v_pk_fma_f32 v[122:123], v[160:161], v[144:145], v[124:125] neg_lo:[0,0,1] neg_hi:[0,0,1]
	s_delay_alu instid0(VALU_DEP_2) | instskip(SKIP_1) | instid1(VALU_DEP_2)
	v_pk_add_f32 v[112:113], v[120:121], v[112:113]
	v_mov_b32_e32 v120, v147
	v_pk_add_f32 v[112:113], v[112:113], v[114:115]
	v_pk_fma_f32 v[114:115], v[160:161], v[144:145], v[124:125] op_sel_hi:[1,0,1]
	s_delay_alu instid0(VALU_DEP_3) | instskip(NEXT) | instid1(VALU_DEP_3)
	v_pk_mul_f32 v[120:121], v[198:199], v[120:121] op_sel_hi:[1,0]
	v_pk_add_f32 v[112:113], v[112:113], v[116:117]
	s_delay_alu instid0(VALU_DEP_3) | instskip(NEXT) | instid1(VALU_DEP_3)
	v_mov_b32_e32 v123, v115
	v_pk_fma_f32 v[114:115], v[162:163], v[146:147], v[120:121] op_sel_hi:[1,0,1]
	s_wait_loadcnt 0x1
	v_pk_mul_f32 v[116:117], v[164:165], v[148:149] op_sel:[1,1] op_sel_hi:[0,1]
	v_mov_b32_e32 v114, v151
	v_pk_add_f32 v[112:113], v[112:113], v[118:119]
	v_pk_fma_f32 v[120:121], v[162:163], v[146:147], v[120:121] neg_lo:[0,0,1] neg_hi:[0,0,1]
	v_mov_b32_e32 v121, v115
	v_pk_fma_f32 v[118:119], v[164:165], v[148:149], v[116:117] op_sel_hi:[1,0,1]
	v_pk_mul_f32 v[114:115], v[200:201], v[114:115] op_sel_hi:[1,0]
	v_pk_add_f32 v[112:113], v[112:113], v[122:123]
	v_pk_fma_f32 v[116:117], v[164:165], v[148:149], v[116:117] neg_lo:[0,0,1] neg_hi:[0,0,1]
	s_delay_alu instid0(VALU_DEP_4) | instskip(NEXT) | instid1(VALU_DEP_4)
	v_mov_b32_e32 v117, v119
	v_pk_fma_f32 v[118:119], v[166:167], v[150:151], v[114:115] op_sel_hi:[1,0,1]
	s_delay_alu instid0(VALU_DEP_4) | instskip(SKIP_1) | instid1(VALU_DEP_3)
	v_pk_add_f32 v[112:113], v[112:113], v[120:121]
	v_pk_fma_f32 v[114:115], v[166:167], v[150:151], v[114:115] neg_lo:[0,0,1] neg_hi:[0,0,1]
	v_mov_b32_e32 v115, v119
	s_delay_alu instid0(VALU_DEP_3) | instskip(NEXT) | instid1(VALU_DEP_1)
	v_pk_add_f32 v[112:113], v[112:113], v[116:117]
	v_pk_add_f32 v[112:113], v[112:113], v[114:115]
	s_wait_loadcnt 0x0
	s_delay_alu instid0(VALU_DEP_1)
	v_pk_add_f32 v[112:113], v[192:193], v[112:113] neg_lo:[0,1] neg_hi:[0,1]
	scratch_store_b64 off, v[112:113], off offset:272
	s_wait_xcnt 0x0
	v_cmpx_lt_u32_e32 33, v0
	s_cbranch_execz .LBB54_277
; %bb.276:
	scratch_load_b64 v[112:113], off, off offset:264
	v_mov_b64_e32 v[114:115], 0
	scratch_store_b64 off, v[114:115], off offset:264
	s_wait_loadcnt 0x0
	ds_store_b64 v1, v[112:113]
.LBB54_277:
	s_wait_xcnt 0x0
	s_or_b32 exec_lo, exec_lo, s0
	s_wait_storecnt_dscnt 0x0
	s_barrier_signal -1
	s_barrier_wait -1
	s_clause 0xb
	scratch_load_b128 v[112:115], off, off offset:272
	scratch_load_b128 v[116:119], off, off offset:288
	;; [unrolled: 1-line block ×10, first 2 shown]
	scratch_load_b64 v[192:193], off, off offset:432
	scratch_load_b64 v[194:195], off, off offset:264
	v_mov_b32_e32 v5, 0
	ds_load_b128 v[152:155], v5 offset:816
	ds_load_b128 v[156:159], v5 offset:832
	;; [unrolled: 1-line block ×10, first 2 shown]
	ds_load_b64 v[196:197], v5 offset:880
	s_mov_b32 s0, exec_lo
	s_wait_dscnt 0xa
	v_dual_mov_b32 v198, v155 :: v_dual_mov_b32 v199, v154
	s_wait_dscnt 0x7
	v_dual_mov_b32 v200, v159 :: v_dual_mov_b32 v205, v166
	v_dual_mov_b32 v201, v158 :: v_dual_mov_b32 v202, v163
	v_dual_mov_b32 v203, v162 :: v_dual_mov_b32 v204, v167
	s_wait_loadcnt_dscnt 0xb06
	v_dual_mul_f32 v9, v168, v113 :: v_dual_mul_f32 v31, v169, v113
	v_dual_mul_f32 v33, v171, v115 :: v_dual_mul_f32 v11, v170, v115
	s_wait_loadcnt_dscnt 0xa05
	v_mul_f32_e32 v13, v172, v117
	s_wait_loadcnt_dscnt 0x803
	v_dual_mul_f32 v43, v181, v125 :: v_dual_fma_f32 v31, v168, v112, -v31
	v_dual_fmac_f32 v9, v169, v112 :: v_dual_mul_f32 v45, v183, v127
	v_dual_mul_f32 v35, v173, v117 :: v_dual_mul_f32 v37, v175, v119
	v_dual_fmac_f32 v11, v171, v114 :: v_dual_fma_f32 v33, v170, v114, -v33
	s_delay_alu instid0(VALU_DEP_3) | instskip(SKIP_4) | instid1(VALU_DEP_3)
	v_dual_add_f32 v9, 0, v9 :: v_dual_add_f32 v31, 0, v31
	v_dual_mul_f32 v15, v174, v119 :: v_dual_mul_f32 v17, v176, v121
	s_wait_loadcnt_dscnt 0x702
	v_dual_mul_f32 v47, v185, v129 :: v_dual_fma_f32 v35, v172, v116, -v35
	v_fmac_f32_e32 v13, v173, v116
	v_dual_add_f32 v9, v9, v11 :: v_dual_fmac_f32 v15, v175, v118
	v_add_f32_e32 v11, v31, v33
	v_dual_mul_f32 v39, v177, v121 :: v_dual_mul_f32 v41, v179, v123
	v_dual_mul_f32 v31, v187, v131 :: v_dual_fma_f32 v33, v174, v118, -v37
	s_delay_alu instid0(VALU_DEP_3) | instskip(SKIP_3) | instid1(VALU_DEP_3)
	v_dual_add_f32 v9, v9, v13 :: v_dual_add_f32 v11, v11, v35
	v_dual_mul_f32 v19, v178, v123 :: v_dual_mul_f32 v21, v180, v125
	s_wait_loadcnt_dscnt 0x601
	v_dual_mul_f32 v13, v189, v133 :: v_dual_fma_f32 v35, v176, v120, -v39
	v_dual_fmac_f32 v17, v177, v120 :: v_dual_add_f32 v11, v11, v33
	s_delay_alu instid0(VALU_DEP_3) | instskip(SKIP_1) | instid1(VALU_DEP_2)
	v_dual_add_f32 v9, v9, v15 :: v_dual_fmac_f32 v19, v179, v122
	v_dual_mul_f32 v15, v191, v135 :: v_dual_fma_f32 v33, v178, v122, -v41
	v_dual_add_f32 v11, v11, v35 :: v_dual_add_f32 v9, v9, v17
	v_dual_mul_f32 v23, v182, v127 :: v_dual_mul_f32 v25, v184, v129
	s_wait_loadcnt 0x5
	v_dual_mul_f32 v17, v153, v137 :: v_dual_fma_f32 v35, v180, v124, -v43
	s_delay_alu instid0(VALU_DEP_3) | instskip(SKIP_2) | instid1(VALU_DEP_2)
	v_dual_fmac_f32 v21, v181, v124 :: v_dual_add_f32 v11, v11, v33
	v_dual_add_f32 v9, v9, v19 :: v_dual_mov_b32 v112, v139
	v_dual_fmac_f32 v23, v183, v126 :: v_dual_fma_f32 v19, v182, v126, -v45
	v_dual_add_f32 v11, v11, v35 :: v_dual_add_f32 v9, v9, v21
	v_dual_mul_f32 v27, v186, v131 :: v_dual_mul_f32 v29, v188, v133
	v_dual_fmac_f32 v25, v185, v128 :: v_dual_fma_f32 v21, v184, v128, -v47
	s_wait_loadcnt 0x4
	s_delay_alu instid0(VALU_DEP_3) | instskip(SKIP_1) | instid1(VALU_DEP_2)
	v_dual_add_f32 v9, v9, v23 :: v_dual_mov_b32 v116, v143
	v_dual_add_f32 v11, v11, v19 :: v_dual_fma_f32 v19, v186, v130, -v31
	v_dual_fmac_f32 v27, v187, v130 :: v_dual_add_f32 v9, v9, v25
	v_dual_mul_f32 v207, v190, v135 :: v_dual_mul_f32 v209, v152, v137
	s_delay_alu instid0(VALU_DEP_3) | instskip(NEXT) | instid1(VALU_DEP_3)
	v_dual_add_f32 v11, v11, v21 :: v_dual_fmac_f32 v29, v189, v132
	v_dual_fma_f32 v13, v188, v132, -v13 :: v_dual_add_f32 v9, v9, v27
	s_delay_alu instid0(VALU_DEP_3) | instskip(NEXT) | instid1(VALU_DEP_3)
	v_fmac_f32_e32 v207, v191, v134
	v_dual_add_f32 v11, v11, v19 :: v_dual_fma_f32 v206, v190, v134, -v15
	v_pk_mul_f32 v[112:113], v[198:199], v[112:113] op_sel_hi:[1,0]
	s_delay_alu instid0(VALU_DEP_4) | instskip(SKIP_1) | instid1(VALU_DEP_4)
	v_add_f32_e32 v121, v9, v29
	v_pk_mul_f32 v[114:115], v[156:157], v[140:141] op_sel:[1,1] op_sel_hi:[0,1]
	v_dual_add_f32 v120, v11, v13 :: v_dual_fmac_f32 v209, v153, v136
	s_wait_loadcnt 0x3
	v_dual_mov_b32 v122, v147 :: v_dual_fma_f32 v208, v152, v136, -v17
	v_pk_fma_f32 v[124:125], v[154:155], v[138:139], v[112:113] op_sel_hi:[1,0,1]
	s_delay_alu instid0(VALU_DEP_3)
	v_pk_add_f32 v[120:121], v[120:121], v[206:207]
	v_pk_fma_f32 v[112:113], v[154:155], v[138:139], v[112:113] neg_lo:[0,0,1] neg_hi:[0,0,1]
	v_pk_fma_f32 v[126:127], v[156:157], v[140:141], v[114:115] op_sel_hi:[1,0,1]
	v_pk_mul_f32 v[116:117], v[200:201], v[116:117] op_sel_hi:[1,0]
	v_mov_b32_e32 v113, v125
	v_pk_add_f32 v[120:121], v[120:121], v[208:209]
	v_pk_fma_f32 v[114:115], v[156:157], v[140:141], v[114:115] neg_lo:[0,0,1] neg_hi:[0,0,1]
	v_pk_mul_f32 v[118:119], v[160:161], v[144:145] op_sel:[1,1] op_sel_hi:[0,1]
	v_mov_b32_e32 v115, v127
	v_pk_fma_f32 v[126:127], v[158:159], v[142:143], v[116:117] op_sel_hi:[1,0,1]
	v_pk_add_f32 v[112:113], v[120:121], v[112:113]
	v_pk_fma_f32 v[116:117], v[158:159], v[142:143], v[116:117] neg_lo:[0,0,1] neg_hi:[0,0,1]
	v_pk_fma_f32 v[120:121], v[160:161], v[144:145], v[118:119] op_sel_hi:[1,0,1]
	v_pk_mul_f32 v[122:123], v[202:203], v[122:123] op_sel_hi:[1,0]
	v_mov_b32_e32 v117, v127
	v_pk_add_f32 v[112:113], v[112:113], v[114:115]
	v_pk_fma_f32 v[118:119], v[160:161], v[144:145], v[118:119] neg_lo:[0,0,1] neg_hi:[0,0,1]
	s_wait_loadcnt 0x2
	v_pk_mul_f32 v[124:125], v[164:165], v[148:149] op_sel:[1,1] op_sel_hi:[0,1]
	v_dual_mov_b32 v114, v151 :: v_dual_mov_b32 v119, v121
	v_pk_fma_f32 v[120:121], v[162:163], v[146:147], v[122:123] op_sel_hi:[1,0,1]
	v_pk_add_f32 v[112:113], v[112:113], v[116:117]
	v_pk_fma_f32 v[122:123], v[162:163], v[146:147], v[122:123] neg_lo:[0,0,1] neg_hi:[0,0,1]
	v_pk_fma_f32 v[116:117], v[164:165], v[148:149], v[124:125] op_sel_hi:[1,0,1]
	v_pk_mul_f32 v[114:115], v[204:205], v[114:115] op_sel_hi:[1,0]
	v_mov_b32_e32 v123, v121
	v_pk_add_f32 v[112:113], v[112:113], v[118:119]
	v_pk_fma_f32 v[118:119], v[164:165], v[148:149], v[124:125] neg_lo:[0,0,1] neg_hi:[0,0,1]
	v_mov_b32_e32 v119, v117
	v_pk_fma_f32 v[116:117], v[166:167], v[150:151], v[114:115] op_sel_hi:[1,0,1]
	s_wait_loadcnt_dscnt 0x100
	v_pk_mul_f32 v[120:121], v[196:197], v[192:193] op_sel:[1,1] op_sel_hi:[0,1]
	v_pk_add_f32 v[112:113], v[112:113], v[122:123]
	v_pk_fma_f32 v[114:115], v[166:167], v[150:151], v[114:115] neg_lo:[0,0,1] neg_hi:[0,0,1]
	v_mov_b32_e32 v115, v117
	s_delay_alu instid0(VALU_DEP_4) | instskip(NEXT) | instid1(VALU_DEP_4)
	v_pk_fma_f32 v[116:117], v[196:197], v[192:193], v[120:121] op_sel_hi:[1,0,1]
	v_pk_add_f32 v[112:113], v[112:113], v[118:119]
	v_pk_fma_f32 v[118:119], v[196:197], v[192:193], v[120:121] neg_lo:[0,0,1] neg_hi:[0,0,1]
	s_delay_alu instid0(VALU_DEP_3) | instskip(NEXT) | instid1(VALU_DEP_3)
	v_mov_b32_e32 v119, v117
	v_pk_add_f32 v[112:113], v[112:113], v[114:115]
	s_delay_alu instid0(VALU_DEP_1) | instskip(SKIP_1) | instid1(VALU_DEP_1)
	v_pk_add_f32 v[112:113], v[112:113], v[118:119]
	s_wait_loadcnt 0x0
	v_pk_add_f32 v[112:113], v[194:195], v[112:113] neg_lo:[0,1] neg_hi:[0,1]
	scratch_store_b64 off, v[112:113], off offset:264
	s_wait_xcnt 0x0
	v_cmpx_lt_u32_e32 32, v0
	s_cbranch_execz .LBB54_279
; %bb.278:
	scratch_load_b64 v[112:113], off, off offset:256
	v_mov_b64_e32 v[114:115], 0
	scratch_store_b64 off, v[114:115], off offset:256
	s_wait_loadcnt 0x0
	ds_store_b64 v1, v[112:113]
.LBB54_279:
	s_wait_xcnt 0x0
	s_or_b32 exec_lo, exec_lo, s0
	s_wait_storecnt_dscnt 0x0
	s_barrier_signal -1
	s_barrier_wait -1
	s_clause 0xb
	scratch_load_b128 v[112:115], off, off offset:264
	scratch_load_b128 v[116:119], off, off offset:280
	scratch_load_b128 v[120:123], off, off offset:296
	scratch_load_b128 v[124:127], off, off offset:312
	scratch_load_b128 v[128:131], off, off offset:328
	scratch_load_b128 v[132:135], off, off offset:344
	scratch_load_b128 v[136:139], off, off offset:360
	scratch_load_b128 v[140:143], off, off offset:376
	scratch_load_b128 v[144:147], off, off offset:392
	scratch_load_b128 v[148:151], off, off offset:408
	scratch_load_b128 v[152:155], off, off offset:424
	scratch_load_b64 v[200:201], off, off offset:256
	ds_load_2addr_b64 v[156:159], v5 offset0:103 offset1:104
	ds_load_2addr_b64 v[160:163], v5 offset0:105 offset1:106
	ds_load_2addr_b64 v[164:167], v5 offset0:107 offset1:108
	ds_load_2addr_b64 v[168:171], v5 offset0:109 offset1:110
	ds_load_2addr_b64 v[172:175], v5 offset0:89 offset1:90
	ds_load_2addr_b64 v[176:179], v5 offset0:91 offset1:92
	ds_load_2addr_b64 v[180:183], v5 offset0:93 offset1:94
	ds_load_2addr_b64 v[184:187], v5 offset0:95 offset1:96
	ds_load_2addr_b64 v[188:191], v5 offset0:97 offset1:98
	ds_load_2addr_b64 v[192:195], v5 offset0:99 offset1:100
	ds_load_2addr_b64 v[196:199], v5 offset0:101 offset1:102
	s_mov_b32 s0, exec_lo
	s_wait_dscnt 0xa
	v_dual_mov_b32 v202, v159 :: v_dual_mov_b32 v203, v158
	s_wait_dscnt 0x9
	v_dual_mov_b32 v204, v163 :: v_dual_mov_b32 v205, v162
	;; [unrolled: 2-line block ×4, first 2 shown]
	s_wait_loadcnt_dscnt 0xb06
	v_dual_mul_f32 v5, v172, v113 :: v_dual_mul_f32 v9, v174, v115
	v_dual_mul_f32 v31, v173, v113 :: v_dual_mul_f32 v33, v175, v115
	s_wait_loadcnt_dscnt 0xa05
	v_dual_mul_f32 v11, v176, v117 :: v_dual_mul_f32 v13, v178, v119
	s_delay_alu instid0(VALU_DEP_2) | instskip(SKIP_3) | instid1(VALU_DEP_3)
	v_dual_fmac_f32 v5, v173, v112 :: v_dual_fma_f32 v31, v172, v112, -v31
	v_dual_mul_f32 v35, v177, v117 :: v_dual_mul_f32 v37, v179, v119
	s_wait_loadcnt_dscnt 0x803
	v_dual_mul_f32 v43, v185, v125 :: v_dual_fmac_f32 v9, v175, v114
	v_dual_fma_f32 v33, v174, v114, -v33 :: v_dual_add_f32 v5, 0, v5
	v_dual_add_f32 v31, 0, v31 :: v_dual_fmac_f32 v11, v177, v116
	v_dual_mul_f32 v45, v187, v127 :: v_dual_fma_f32 v35, v176, v116, -v35
	s_delay_alu instid0(VALU_DEP_3) | instskip(NEXT) | instid1(VALU_DEP_3)
	v_dual_add_f32 v5, v5, v9 :: v_dual_fmac_f32 v13, v179, v118
	v_dual_add_f32 v9, v31, v33 :: v_dual_fma_f32 v33, v178, v118, -v37
	v_dual_mul_f32 v15, v180, v121 :: v_dual_mul_f32 v17, v182, v123
	v_dual_mul_f32 v39, v181, v121 :: v_dual_mul_f32 v41, v183, v123
	s_delay_alu instid0(VALU_DEP_3) | instskip(NEXT) | instid1(VALU_DEP_3)
	v_add_f32_e32 v9, v9, v35
	v_dual_add_f32 v5, v5, v11 :: v_dual_fmac_f32 v17, v183, v122
	s_wait_loadcnt_dscnt 0x702
	s_delay_alu instid0(VALU_DEP_3) | instskip(NEXT) | instid1(VALU_DEP_3)
	v_dual_fma_f32 v35, v180, v120, -v39 :: v_dual_mul_f32 v31, v189, v129
	v_dual_mul_f32 v11, v191, v131 :: v_dual_add_f32 v9, v9, v33
	v_dual_fmac_f32 v15, v181, v120 :: v_dual_fma_f32 v33, v182, v122, -v41
	v_add_f32_e32 v5, v5, v13
	v_dual_mul_f32 v19, v184, v125 :: v_dual_mul_f32 v21, v186, v127
	s_delay_alu instid0(VALU_DEP_4) | instskip(NEXT) | instid1(VALU_DEP_3)
	v_dual_add_f32 v9, v9, v35 :: v_dual_fma_f32 v31, v188, v128, -v31
	v_dual_add_f32 v5, v5, v15 :: v_dual_fma_f32 v35, v184, v124, -v43
	v_dual_mul_f32 v23, v188, v129 :: v_dual_mul_f32 v25, v190, v131
	s_delay_alu instid0(VALU_DEP_3) | instskip(SKIP_2) | instid1(VALU_DEP_3)
	v_dual_add_f32 v9, v9, v33 :: v_dual_fma_f32 v11, v190, v130, -v11
	s_wait_loadcnt_dscnt 0x601
	v_dual_mul_f32 v27, v192, v133 :: v_dual_mul_f32 v29, v194, v135
	v_dual_fmac_f32 v19, v185, v124 :: v_dual_fmac_f32 v25, v191, v130
	v_dual_fma_f32 v33, v186, v126, -v45 :: v_dual_add_f32 v5, v5, v17
	s_delay_alu instid0(VALU_DEP_3) | instskip(SKIP_3) | instid1(VALU_DEP_2)
	v_dual_add_f32 v9, v9, v35 :: v_dual_fmac_f32 v29, v195, v134
	v_dual_mul_f32 v13, v193, v133 :: v_dual_fmac_f32 v21, v187, v126
	s_wait_loadcnt_dscnt 0x400
	v_dual_mul_f32 v17, v197, v137 :: v_dual_mov_b32 v114, v143
	v_dual_add_f32 v5, v5, v19 :: v_dual_fma_f32 v13, v192, v132, -v13
	s_delay_alu instid0(VALU_DEP_2)
	v_dual_add_f32 v9, v9, v33 :: v_dual_fma_f32 v210, v196, v136, -v17
	v_mul_f32_e32 v15, v195, v135
	v_dual_mul_f32 v19, v199, v139 :: v_dual_fmac_f32 v23, v189, v128
	s_wait_loadcnt 0x3
	v_dual_mov_b32 v118, v147 :: v_dual_add_f32 v5, v5, v21
	v_pk_mul_f32 v[112:113], v[156:157], v[140:141] op_sel:[1,1] op_sel_hi:[0,1]
	s_delay_alu instid0(VALU_DEP_3) | instskip(SKIP_1) | instid1(VALU_DEP_3)
	v_dual_add_f32 v9, v9, v31 :: v_dual_fma_f32 v212, v198, v138, -v19
	v_dual_mul_f32 v211, v196, v137 :: v_dual_mul_f32 v213, v198, v139
	v_pk_fma_f32 v[122:123], v[156:157], v[140:141], v[112:113] op_sel_hi:[1,0,1]
	s_delay_alu instid0(VALU_DEP_3) | instskip(NEXT) | instid1(VALU_DEP_3)
	v_dual_add_f32 v9, v9, v11 :: v_dual_fma_f32 v11, v194, v134, -v15
	v_dual_add_f32 v5, v5, v23 :: v_dual_fmac_f32 v213, v199, v138
	v_pk_mul_f32 v[114:115], v[202:203], v[114:115] op_sel_hi:[1,0]
	v_pk_fma_f32 v[112:113], v[156:157], v[140:141], v[112:113] neg_lo:[0,0,1] neg_hi:[0,0,1]
	v_dual_fmac_f32 v27, v193, v132 :: v_dual_mov_b32 v113, v123
	v_pk_mul_f32 v[116:117], v[160:161], v[144:145] op_sel:[1,1] op_sel_hi:[0,1]
	s_delay_alu instid0(VALU_DEP_4) | instskip(SKIP_4) | instid1(VALU_DEP_4)
	v_pk_fma_f32 v[122:123], v[158:159], v[142:143], v[114:115] op_sel_hi:[1,0,1]
	v_add_f32_e32 v5, v5, v25
	v_pk_mul_f32 v[118:119], v[204:205], v[118:119] op_sel_hi:[1,0]
	v_pk_fma_f32 v[114:115], v[158:159], v[142:143], v[114:115] neg_lo:[0,0,1] neg_hi:[0,0,1]
	v_pk_fma_f32 v[126:127], v[160:161], v[144:145], v[116:117] op_sel_hi:[1,0,1]
	v_dual_mov_b32 v115, v123 :: v_dual_add_f32 v5, v5, v27
	s_delay_alu instid0(VALU_DEP_4)
	v_pk_fma_f32 v[122:123], v[162:163], v[146:147], v[118:119] op_sel_hi:[1,0,1]
	v_add_f32_e32 v9, v9, v13
	v_pk_fma_f32 v[116:117], v[160:161], v[144:145], v[116:117] neg_lo:[0,0,1] neg_hi:[0,0,1]
	v_pk_fma_f32 v[118:119], v[162:163], v[146:147], v[118:119] neg_lo:[0,0,1] neg_hi:[0,0,1]
	v_dual_fmac_f32 v211, v197, v136 :: v_dual_mov_b32 v117, v127
	v_dual_add_f32 v121, v5, v29 :: v_dual_mov_b32 v119, v123
	v_add_f32_e32 v120, v9, v11
	s_wait_loadcnt 0x2
	v_pk_mul_f32 v[124:125], v[164:165], v[148:149] op_sel:[1,1] op_sel_hi:[0,1]
	s_delay_alu instid0(VALU_DEP_2) | instskip(NEXT) | instid1(VALU_DEP_2)
	v_pk_add_f32 v[120:121], v[120:121], v[210:211]
	v_pk_fma_f32 v[122:123], v[164:165], v[148:149], v[124:125] neg_lo:[0,0,1] neg_hi:[0,0,1]
	s_delay_alu instid0(VALU_DEP_2) | instskip(NEXT) | instid1(VALU_DEP_1)
	v_pk_add_f32 v[120:121], v[120:121], v[212:213]
	v_pk_add_f32 v[112:113], v[120:121], v[112:113]
	v_mov_b32_e32 v120, v151
	s_delay_alu instid0(VALU_DEP_2) | instskip(SKIP_1) | instid1(VALU_DEP_3)
	v_pk_add_f32 v[112:113], v[112:113], v[114:115]
	v_pk_fma_f32 v[114:115], v[164:165], v[148:149], v[124:125] op_sel_hi:[1,0,1]
	v_pk_mul_f32 v[120:121], v[206:207], v[120:121] op_sel_hi:[1,0]
	s_delay_alu instid0(VALU_DEP_3) | instskip(NEXT) | instid1(VALU_DEP_3)
	v_pk_add_f32 v[112:113], v[112:113], v[116:117]
	v_mov_b32_e32 v123, v115
	s_delay_alu instid0(VALU_DEP_3)
	v_pk_fma_f32 v[114:115], v[166:167], v[150:151], v[120:121] op_sel_hi:[1,0,1]
	s_wait_loadcnt 0x1
	v_pk_mul_f32 v[116:117], v[168:169], v[152:153] op_sel:[1,1] op_sel_hi:[0,1]
	v_mov_b32_e32 v114, v155
	v_pk_add_f32 v[112:113], v[112:113], v[118:119]
	v_pk_fma_f32 v[120:121], v[166:167], v[150:151], v[120:121] neg_lo:[0,0,1] neg_hi:[0,0,1]
	v_mov_b32_e32 v121, v115
	v_pk_fma_f32 v[118:119], v[168:169], v[152:153], v[116:117] op_sel_hi:[1,0,1]
	v_pk_mul_f32 v[114:115], v[208:209], v[114:115] op_sel_hi:[1,0]
	v_pk_add_f32 v[112:113], v[112:113], v[122:123]
	v_pk_fma_f32 v[116:117], v[168:169], v[152:153], v[116:117] neg_lo:[0,0,1] neg_hi:[0,0,1]
	s_delay_alu instid0(VALU_DEP_4) | instskip(NEXT) | instid1(VALU_DEP_4)
	v_mov_b32_e32 v117, v119
	v_pk_fma_f32 v[118:119], v[170:171], v[154:155], v[114:115] op_sel_hi:[1,0,1]
	s_delay_alu instid0(VALU_DEP_4) | instskip(SKIP_1) | instid1(VALU_DEP_3)
	v_pk_add_f32 v[112:113], v[112:113], v[120:121]
	v_pk_fma_f32 v[114:115], v[170:171], v[154:155], v[114:115] neg_lo:[0,0,1] neg_hi:[0,0,1]
	v_mov_b32_e32 v115, v119
	s_delay_alu instid0(VALU_DEP_3) | instskip(NEXT) | instid1(VALU_DEP_1)
	v_pk_add_f32 v[112:113], v[112:113], v[116:117]
	v_pk_add_f32 v[112:113], v[112:113], v[114:115]
	s_wait_loadcnt 0x0
	s_delay_alu instid0(VALU_DEP_1)
	v_pk_add_f32 v[112:113], v[200:201], v[112:113] neg_lo:[0,1] neg_hi:[0,1]
	scratch_store_b64 off, v[112:113], off offset:256
	s_wait_xcnt 0x0
	v_cmpx_lt_u32_e32 31, v0
	s_cbranch_execz .LBB54_281
; %bb.280:
	scratch_load_b64 v[112:113], off, off offset:248
	v_mov_b64_e32 v[114:115], 0
	scratch_store_b64 off, v[114:115], off offset:248
	s_wait_loadcnt 0x0
	ds_store_b64 v1, v[112:113]
.LBB54_281:
	s_wait_xcnt 0x0
	s_or_b32 exec_lo, exec_lo, s0
	s_wait_storecnt_dscnt 0x0
	s_barrier_signal -1
	s_barrier_wait -1
	s_clause 0xc
	scratch_load_b128 v[112:115], off, off offset:256
	scratch_load_b128 v[116:119], off, off offset:272
	;; [unrolled: 1-line block ×11, first 2 shown]
	scratch_load_b64 v[200:201], off, off offset:432
	scratch_load_b64 v[202:203], off, off offset:248
	v_mov_b32_e32 v5, 0
	ds_load_b128 v[156:159], v5 offset:816
	ds_load_b128 v[160:163], v5 offset:832
	;; [unrolled: 1-line block ×11, first 2 shown]
	ds_load_b64 v[204:205], v5 offset:880
	s_mov_b32 s0, exec_lo
	s_wait_dscnt 0xb
	v_dual_mov_b32 v206, v159 :: v_dual_mov_b32 v207, v158
	s_wait_dscnt 0x8
	v_dual_mov_b32 v208, v163 :: v_dual_mov_b32 v213, v170
	v_dual_mov_b32 v209, v162 :: v_dual_mov_b32 v210, v167
	v_dual_mov_b32 v211, v166 :: v_dual_mov_b32 v212, v171
	s_wait_loadcnt_dscnt 0xc07
	v_dual_mul_f32 v9, v172, v113 :: v_dual_mul_f32 v35, v173, v113
	v_dual_mul_f32 v37, v175, v115 :: v_dual_mul_f32 v11, v174, v115
	s_wait_loadcnt_dscnt 0xb06
	v_mul_f32_e32 v13, v176, v117
	s_wait_loadcnt_dscnt 0x904
	v_dual_mul_f32 v47, v185, v125 :: v_dual_fma_f32 v35, v172, v112, -v35
	v_dual_fmac_f32 v9, v173, v112 :: v_dual_mul_f32 v49, v187, v127
	v_dual_mul_f32 v39, v177, v117 :: v_dual_mul_f32 v41, v179, v119
	v_dual_fmac_f32 v11, v175, v114 :: v_dual_fma_f32 v37, v174, v114, -v37
	s_delay_alu instid0(VALU_DEP_3) | instskip(SKIP_4) | instid1(VALU_DEP_3)
	v_dual_add_f32 v9, 0, v9 :: v_dual_add_f32 v35, 0, v35
	v_dual_mul_f32 v15, v178, v119 :: v_dual_mul_f32 v17, v180, v121
	s_wait_loadcnt_dscnt 0x803
	v_dual_mul_f32 v51, v189, v129 :: v_dual_fma_f32 v39, v176, v116, -v39
	v_fmac_f32_e32 v13, v177, v116
	v_dual_add_f32 v9, v9, v11 :: v_dual_fmac_f32 v15, v179, v118
	v_add_f32_e32 v11, v35, v37
	v_dual_mul_f32 v43, v181, v121 :: v_dual_mul_f32 v45, v183, v123
	v_dual_mul_f32 v35, v191, v131 :: v_dual_fma_f32 v37, v178, v118, -v41
	s_delay_alu instid0(VALU_DEP_3) | instskip(SKIP_3) | instid1(VALU_DEP_3)
	v_dual_add_f32 v9, v9, v13 :: v_dual_add_f32 v11, v11, v39
	v_dual_mul_f32 v19, v182, v123 :: v_dual_mul_f32 v21, v184, v125
	s_wait_loadcnt_dscnt 0x701
	v_dual_mul_f32 v13, v197, v133 :: v_dual_fma_f32 v39, v180, v120, -v43
	v_dual_fmac_f32 v17, v181, v120 :: v_dual_add_f32 v11, v11, v37
	s_delay_alu instid0(VALU_DEP_3) | instskip(SKIP_1) | instid1(VALU_DEP_2)
	v_dual_add_f32 v9, v9, v15 :: v_dual_fmac_f32 v19, v183, v122
	v_dual_mul_f32 v15, v199, v135 :: v_dual_fma_f32 v37, v182, v122, -v45
	v_dual_add_f32 v11, v11, v39 :: v_dual_add_f32 v9, v9, v17
	v_dual_mul_f32 v23, v186, v127 :: v_dual_mul_f32 v25, v188, v129
	s_wait_loadcnt 0x6
	v_dual_mul_f32 v17, v193, v137 :: v_dual_fma_f32 v39, v184, v124, -v47
	s_delay_alu instid0(VALU_DEP_3) | instskip(NEXT) | instid1(VALU_DEP_3)
	v_dual_fmac_f32 v21, v185, v124 :: v_dual_add_f32 v11, v11, v37
	v_dual_add_f32 v9, v9, v19 :: v_dual_fmac_f32 v23, v187, v126
	v_dual_mul_f32 v19, v195, v139 :: v_dual_fma_f32 v37, v186, v126, -v49
	s_delay_alu instid0(VALU_DEP_2) | instskip(SKIP_3) | instid1(VALU_DEP_3)
	v_dual_add_f32 v11, v11, v39 :: v_dual_add_f32 v9, v9, v21
	v_dual_mul_f32 v27, v190, v131 :: v_dual_mul_f32 v29, v196, v133
	s_wait_loadcnt 0x5
	v_dual_mul_f32 v21, v157, v141 :: v_dual_fma_f32 v39, v188, v128, -v51
	v_dual_fmac_f32 v25, v189, v128 :: v_dual_add_f32 v11, v11, v37
	v_dual_add_f32 v9, v9, v23 :: v_dual_mov_b32 v112, v143
	v_fmac_f32_e32 v27, v191, v130
	s_delay_alu instid0(VALU_DEP_3) | instskip(NEXT) | instid1(VALU_DEP_3)
	v_dual_fma_f32 v23, v190, v130, -v35 :: v_dual_add_f32 v11, v11, v39
	v_dual_add_f32 v9, v9, v25 :: v_dual_mul_f32 v31, v198, v135
	v_dual_mul_f32 v33, v192, v137 :: v_dual_fmac_f32 v29, v197, v132
	s_delay_alu instid0(VALU_DEP_3) | instskip(SKIP_1) | instid1(VALU_DEP_3)
	v_dual_add_f32 v11, v11, v23 :: v_dual_fma_f32 v13, v196, v132, -v13
	s_wait_loadcnt 0x4
	v_dual_add_f32 v9, v9, v27 :: v_dual_mov_b32 v116, v147
	v_fma_f32 v15, v198, v134, -v15
	v_fmac_f32_e32 v31, v199, v134
	v_dual_add_f32 v11, v11, v13 :: v_dual_fmac_f32 v33, v193, v136
	s_delay_alu instid0(VALU_DEP_4) | instskip(SKIP_1) | instid1(VALU_DEP_3)
	v_dual_add_f32 v9, v9, v29 :: v_dual_mul_f32 v215, v194, v139
	v_mul_f32_e32 v217, v156, v141
	v_dual_fma_f32 v13, v192, v136, -v17 :: v_dual_add_f32 v11, v11, v15
	s_delay_alu instid0(VALU_DEP_3) | instskip(NEXT) | instid1(VALU_DEP_4)
	v_dual_fma_f32 v214, v194, v138, -v19 :: v_dual_add_f32 v9, v9, v31
	v_fmac_f32_e32 v215, v195, v138
	v_pk_mul_f32 v[112:113], v[206:207], v[112:113] op_sel_hi:[1,0]
	s_delay_alu instid0(VALU_DEP_4) | instskip(NEXT) | instid1(VALU_DEP_4)
	v_dual_add_f32 v120, v11, v13 :: v_dual_fmac_f32 v217, v157, v140
	v_add_f32_e32 v121, v9, v33
	v_pk_mul_f32 v[114:115], v[160:161], v[144:145] op_sel:[1,1] op_sel_hi:[0,1]
	s_wait_loadcnt 0x3
	v_dual_mov_b32 v122, v151 :: v_dual_fma_f32 v216, v156, v140, -v21
	v_pk_fma_f32 v[124:125], v[158:159], v[142:143], v[112:113] op_sel_hi:[1,0,1]
	v_pk_add_f32 v[120:121], v[120:121], v[214:215]
	v_pk_fma_f32 v[112:113], v[158:159], v[142:143], v[112:113] neg_lo:[0,0,1] neg_hi:[0,0,1]
	v_pk_fma_f32 v[126:127], v[160:161], v[144:145], v[114:115] op_sel_hi:[1,0,1]
	v_pk_mul_f32 v[116:117], v[208:209], v[116:117] op_sel_hi:[1,0]
	v_mov_b32_e32 v113, v125
	v_pk_add_f32 v[120:121], v[120:121], v[216:217]
	v_pk_fma_f32 v[114:115], v[160:161], v[144:145], v[114:115] neg_lo:[0,0,1] neg_hi:[0,0,1]
	v_pk_mul_f32 v[118:119], v[164:165], v[148:149] op_sel:[1,1] op_sel_hi:[0,1]
	v_mov_b32_e32 v115, v127
	v_pk_fma_f32 v[126:127], v[162:163], v[146:147], v[116:117] op_sel_hi:[1,0,1]
	v_pk_add_f32 v[112:113], v[120:121], v[112:113]
	v_pk_fma_f32 v[116:117], v[162:163], v[146:147], v[116:117] neg_lo:[0,0,1] neg_hi:[0,0,1]
	v_pk_fma_f32 v[120:121], v[164:165], v[148:149], v[118:119] op_sel_hi:[1,0,1]
	v_pk_mul_f32 v[122:123], v[210:211], v[122:123] op_sel_hi:[1,0]
	v_mov_b32_e32 v117, v127
	v_pk_add_f32 v[112:113], v[112:113], v[114:115]
	v_pk_fma_f32 v[118:119], v[164:165], v[148:149], v[118:119] neg_lo:[0,0,1] neg_hi:[0,0,1]
	s_wait_loadcnt 0x2
	v_pk_mul_f32 v[124:125], v[168:169], v[152:153] op_sel:[1,1] op_sel_hi:[0,1]
	v_dual_mov_b32 v114, v155 :: v_dual_mov_b32 v119, v121
	v_pk_fma_f32 v[120:121], v[166:167], v[150:151], v[122:123] op_sel_hi:[1,0,1]
	v_pk_add_f32 v[112:113], v[112:113], v[116:117]
	v_pk_fma_f32 v[122:123], v[166:167], v[150:151], v[122:123] neg_lo:[0,0,1] neg_hi:[0,0,1]
	v_pk_fma_f32 v[116:117], v[168:169], v[152:153], v[124:125] op_sel_hi:[1,0,1]
	v_pk_mul_f32 v[114:115], v[212:213], v[114:115] op_sel_hi:[1,0]
	v_mov_b32_e32 v123, v121
	v_pk_add_f32 v[112:113], v[112:113], v[118:119]
	v_pk_fma_f32 v[118:119], v[168:169], v[152:153], v[124:125] neg_lo:[0,0,1] neg_hi:[0,0,1]
	v_mov_b32_e32 v119, v117
	v_pk_fma_f32 v[116:117], v[170:171], v[154:155], v[114:115] op_sel_hi:[1,0,1]
	s_wait_loadcnt_dscnt 0x100
	v_pk_mul_f32 v[120:121], v[204:205], v[200:201] op_sel:[1,1] op_sel_hi:[0,1]
	v_pk_add_f32 v[112:113], v[112:113], v[122:123]
	v_pk_fma_f32 v[114:115], v[170:171], v[154:155], v[114:115] neg_lo:[0,0,1] neg_hi:[0,0,1]
	v_mov_b32_e32 v115, v117
	s_delay_alu instid0(VALU_DEP_4) | instskip(NEXT) | instid1(VALU_DEP_4)
	v_pk_fma_f32 v[116:117], v[204:205], v[200:201], v[120:121] op_sel_hi:[1,0,1]
	v_pk_add_f32 v[112:113], v[112:113], v[118:119]
	v_pk_fma_f32 v[118:119], v[204:205], v[200:201], v[120:121] neg_lo:[0,0,1] neg_hi:[0,0,1]
	s_delay_alu instid0(VALU_DEP_3) | instskip(NEXT) | instid1(VALU_DEP_3)
	v_mov_b32_e32 v119, v117
	v_pk_add_f32 v[112:113], v[112:113], v[114:115]
	s_delay_alu instid0(VALU_DEP_1) | instskip(SKIP_1) | instid1(VALU_DEP_1)
	v_pk_add_f32 v[112:113], v[112:113], v[118:119]
	s_wait_loadcnt 0x0
	v_pk_add_f32 v[112:113], v[202:203], v[112:113] neg_lo:[0,1] neg_hi:[0,1]
	scratch_store_b64 off, v[112:113], off offset:248
	s_wait_xcnt 0x0
	v_cmpx_lt_u32_e32 30, v0
	s_cbranch_execz .LBB54_283
; %bb.282:
	scratch_load_b64 v[112:113], off, off offset:240
	v_mov_b64_e32 v[114:115], 0
	scratch_store_b64 off, v[114:115], off offset:240
	s_wait_loadcnt 0x0
	ds_store_b64 v1, v[112:113]
.LBB54_283:
	s_wait_xcnt 0x0
	s_or_b32 exec_lo, exec_lo, s0
	s_wait_storecnt_dscnt 0x0
	s_barrier_signal -1
	s_barrier_wait -1
	s_clause 0xc
	scratch_load_b128 v[112:115], off, off offset:248
	scratch_load_b128 v[116:119], off, off offset:264
	;; [unrolled: 1-line block ×12, first 2 shown]
	scratch_load_b64 v[208:209], off, off offset:240
	ds_load_2addr_b64 v[160:163], v5 offset0:103 offset1:104
	ds_load_2addr_b64 v[164:167], v5 offset0:105 offset1:106
	;; [unrolled: 1-line block ×12, first 2 shown]
	s_mov_b32 s0, exec_lo
	s_wait_dscnt 0xb
	v_dual_mov_b32 v210, v163 :: v_dual_mov_b32 v211, v162
	s_wait_dscnt 0xa
	v_dual_mov_b32 v212, v167 :: v_dual_mov_b32 v213, v166
	;; [unrolled: 2-line block ×4, first 2 shown]
	s_wait_loadcnt_dscnt 0xc07
	v_dual_mul_f32 v5, v176, v113 :: v_dual_mul_f32 v9, v178, v115
	v_dual_mul_f32 v35, v177, v113 :: v_dual_mul_f32 v37, v179, v115
	s_wait_loadcnt_dscnt 0xb06
	v_dual_mul_f32 v11, v180, v117 :: v_dual_mul_f32 v13, v182, v119
	s_delay_alu instid0(VALU_DEP_2) | instskip(SKIP_3) | instid1(VALU_DEP_3)
	v_dual_fmac_f32 v5, v177, v112 :: v_dual_fma_f32 v35, v176, v112, -v35
	v_dual_mul_f32 v39, v181, v117 :: v_dual_mul_f32 v41, v183, v119
	s_wait_loadcnt_dscnt 0x904
	v_dual_mul_f32 v47, v189, v125 :: v_dual_fmac_f32 v9, v179, v114
	v_dual_fma_f32 v37, v178, v114, -v37 :: v_dual_add_f32 v5, 0, v5
	v_dual_add_f32 v35, 0, v35 :: v_dual_fmac_f32 v11, v181, v116
	v_dual_mul_f32 v49, v191, v127 :: v_dual_fma_f32 v39, v180, v116, -v39
	s_delay_alu instid0(VALU_DEP_3) | instskip(NEXT) | instid1(VALU_DEP_3)
	v_dual_add_f32 v5, v5, v9 :: v_dual_fmac_f32 v13, v183, v118
	v_dual_add_f32 v9, v35, v37 :: v_dual_fma_f32 v37, v182, v118, -v41
	v_dual_mul_f32 v15, v184, v121 :: v_dual_mul_f32 v17, v186, v123
	v_dual_mul_f32 v43, v185, v121 :: v_dual_mul_f32 v45, v187, v123
	s_delay_alu instid0(VALU_DEP_3) | instskip(NEXT) | instid1(VALU_DEP_3)
	v_add_f32_e32 v9, v9, v39
	v_dual_add_f32 v5, v5, v11 :: v_dual_fmac_f32 v17, v187, v122
	s_wait_loadcnt_dscnt 0x803
	s_delay_alu instid0(VALU_DEP_3) | instskip(NEXT) | instid1(VALU_DEP_3)
	v_dual_fma_f32 v39, v184, v120, -v43 :: v_dual_mul_f32 v35, v193, v129
	v_dual_mul_f32 v11, v195, v131 :: v_dual_add_f32 v9, v9, v37
	v_dual_fmac_f32 v15, v185, v120 :: v_dual_fma_f32 v37, v186, v122, -v45
	v_add_f32_e32 v5, v5, v13
	v_dual_mul_f32 v19, v188, v125 :: v_dual_mul_f32 v21, v190, v127
	s_delay_alu instid0(VALU_DEP_4) | instskip(NEXT) | instid1(VALU_DEP_3)
	v_dual_add_f32 v9, v9, v39 :: v_dual_fma_f32 v35, v192, v128, -v35
	v_dual_add_f32 v5, v5, v15 :: v_dual_fma_f32 v39, v188, v124, -v47
	v_dual_mul_f32 v23, v192, v129 :: v_dual_mul_f32 v25, v194, v131
	s_delay_alu instid0(VALU_DEP_3) | instskip(SKIP_2) | instid1(VALU_DEP_3)
	v_dual_add_f32 v9, v9, v37 :: v_dual_fma_f32 v11, v194, v130, -v11
	s_wait_loadcnt_dscnt 0x702
	v_dual_mul_f32 v27, v196, v133 :: v_dual_mul_f32 v29, v198, v135
	v_dual_fmac_f32 v19, v189, v124 :: v_dual_fmac_f32 v25, v195, v130
	v_dual_fma_f32 v37, v190, v126, -v49 :: v_dual_add_f32 v5, v5, v17
	s_delay_alu instid0(VALU_DEP_3)
	v_dual_add_f32 v9, v9, v39 :: v_dual_fmac_f32 v29, v199, v134
	v_dual_mul_f32 v13, v197, v133 :: v_dual_fmac_f32 v21, v191, v126
	s_wait_loadcnt_dscnt 0x601
	v_mul_f32_e32 v17, v201, v137
	v_add_f32_e32 v5, v5, v19
	v_dual_add_f32 v9, v9, v37 :: v_dual_mul_f32 v15, v199, v135
	s_wait_loadcnt 0x4
	v_dual_fmac_f32 v23, v193, v128 :: v_dual_mov_b32 v114, v147
	s_delay_alu instid0(VALU_DEP_3) | instskip(SKIP_4) | instid1(VALU_DEP_3)
	v_dual_fma_f32 v13, v196, v132, -v13 :: v_dual_add_f32 v5, v5, v21
	s_wait_loadcnt 0x3
	v_dual_add_f32 v9, v9, v35 :: v_dual_mov_b32 v118, v151
	v_dual_mul_f32 v19, v203, v139 :: v_dual_mul_f32 v31, v200, v137
	v_mul_f32_e32 v33, v202, v139
	v_dual_add_f32 v9, v9, v11 :: v_dual_fma_f32 v11, v198, v134, -v15
	v_add_f32_e32 v5, v5, v23
	s_wait_dscnt 0x0
	v_mul_f32_e32 v23, v207, v143
	v_pk_mul_f32 v[112:113], v[160:161], v[144:145] op_sel:[1,1] op_sel_hi:[0,1]
	v_dual_mul_f32 v219, v204, v141 :: v_dual_mul_f32 v221, v206, v143
	v_dual_mul_f32 v21, v205, v141 :: v_dual_fmac_f32 v33, v203, v138
	s_delay_alu instid0(VALU_DEP_4) | instskip(NEXT) | instid1(VALU_DEP_3)
	v_dual_fma_f32 v220, v206, v142, -v23 :: v_dual_add_f32 v9, v9, v13
	v_dual_fmac_f32 v27, v197, v132 :: v_dual_fmac_f32 v221, v207, v142
	v_pk_fma_f32 v[122:123], v[160:161], v[144:145], v[112:113] op_sel_hi:[1,0,1]
	v_pk_mul_f32 v[114:115], v[210:211], v[114:115] op_sel_hi:[1,0]
	s_delay_alu instid0(VALU_DEP_4) | instskip(SKIP_3) | instid1(VALU_DEP_3)
	v_dual_add_f32 v9, v9, v11 :: v_dual_fma_f32 v11, v202, v138, -v19
	v_dual_add_f32 v5, v5, v25 :: v_dual_fma_f32 v218, v204, v140, -v21
	v_pk_fma_f32 v[112:113], v[160:161], v[144:145], v[112:113] neg_lo:[0,0,1] neg_hi:[0,0,1]
	v_pk_mul_f32 v[116:117], v[164:165], v[148:149] op_sel:[1,1] op_sel_hi:[0,1]
	v_dual_mov_b32 v113, v123 :: v_dual_add_f32 v5, v5, v27
	v_pk_fma_f32 v[122:123], v[162:163], v[146:147], v[114:115] op_sel_hi:[1,0,1]
	v_pk_mul_f32 v[118:119], v[212:213], v[118:119] op_sel_hi:[1,0]
	v_pk_fma_f32 v[114:115], v[162:163], v[146:147], v[114:115] neg_lo:[0,0,1] neg_hi:[0,0,1]
	v_dual_fmac_f32 v31, v201, v136 :: v_dual_fma_f32 v13, v200, v136, -v17
	v_pk_fma_f32 v[126:127], v[164:165], v[148:149], v[116:117] op_sel_hi:[1,0,1]
	v_dual_add_f32 v5, v5, v29 :: v_dual_mov_b32 v115, v123
	v_pk_fma_f32 v[122:123], v[166:167], v[150:151], v[118:119] op_sel_hi:[1,0,1]
	v_pk_fma_f32 v[116:117], v[164:165], v[148:149], v[116:117] neg_lo:[0,0,1] neg_hi:[0,0,1]
	v_pk_fma_f32 v[118:119], v[166:167], v[150:151], v[118:119] neg_lo:[0,0,1] neg_hi:[0,0,1]
	s_delay_alu instid0(VALU_DEP_4) | instskip(NEXT) | instid1(VALU_DEP_4)
	v_dual_mov_b32 v117, v127 :: v_dual_add_f32 v5, v5, v31
	v_dual_mov_b32 v119, v123 :: v_dual_add_f32 v9, v9, v13
	v_fmac_f32_e32 v219, v205, v140
	s_wait_loadcnt 0x2
	v_pk_mul_f32 v[124:125], v[168:169], v[152:153] op_sel:[1,1] op_sel_hi:[0,1]
	v_add_f32_e32 v121, v5, v33
	v_add_f32_e32 v120, v9, v11
	s_delay_alu instid0(VALU_DEP_3) | instskip(NEXT) | instid1(VALU_DEP_2)
	v_pk_fma_f32 v[122:123], v[168:169], v[152:153], v[124:125] neg_lo:[0,0,1] neg_hi:[0,0,1]
	v_pk_add_f32 v[120:121], v[120:121], v[218:219]
	s_delay_alu instid0(VALU_DEP_1) | instskip(NEXT) | instid1(VALU_DEP_1)
	v_pk_add_f32 v[120:121], v[120:121], v[220:221]
	v_pk_add_f32 v[112:113], v[120:121], v[112:113]
	v_mov_b32_e32 v120, v155
	s_delay_alu instid0(VALU_DEP_2) | instskip(SKIP_1) | instid1(VALU_DEP_3)
	v_pk_add_f32 v[112:113], v[112:113], v[114:115]
	v_pk_fma_f32 v[114:115], v[168:169], v[152:153], v[124:125] op_sel_hi:[1,0,1]
	v_pk_mul_f32 v[120:121], v[214:215], v[120:121] op_sel_hi:[1,0]
	s_delay_alu instid0(VALU_DEP_3) | instskip(NEXT) | instid1(VALU_DEP_3)
	v_pk_add_f32 v[112:113], v[112:113], v[116:117]
	v_mov_b32_e32 v123, v115
	s_delay_alu instid0(VALU_DEP_3)
	v_pk_fma_f32 v[114:115], v[170:171], v[154:155], v[120:121] op_sel_hi:[1,0,1]
	s_wait_loadcnt 0x1
	v_pk_mul_f32 v[116:117], v[172:173], v[156:157] op_sel:[1,1] op_sel_hi:[0,1]
	v_mov_b32_e32 v114, v159
	v_pk_add_f32 v[112:113], v[112:113], v[118:119]
	v_pk_fma_f32 v[120:121], v[170:171], v[154:155], v[120:121] neg_lo:[0,0,1] neg_hi:[0,0,1]
	v_mov_b32_e32 v121, v115
	v_pk_fma_f32 v[118:119], v[172:173], v[156:157], v[116:117] op_sel_hi:[1,0,1]
	v_pk_mul_f32 v[114:115], v[216:217], v[114:115] op_sel_hi:[1,0]
	v_pk_add_f32 v[112:113], v[112:113], v[122:123]
	v_pk_fma_f32 v[116:117], v[172:173], v[156:157], v[116:117] neg_lo:[0,0,1] neg_hi:[0,0,1]
	s_delay_alu instid0(VALU_DEP_4) | instskip(NEXT) | instid1(VALU_DEP_4)
	v_mov_b32_e32 v117, v119
	v_pk_fma_f32 v[118:119], v[174:175], v[158:159], v[114:115] op_sel_hi:[1,0,1]
	s_delay_alu instid0(VALU_DEP_4) | instskip(SKIP_1) | instid1(VALU_DEP_3)
	v_pk_add_f32 v[112:113], v[112:113], v[120:121]
	v_pk_fma_f32 v[114:115], v[174:175], v[158:159], v[114:115] neg_lo:[0,0,1] neg_hi:[0,0,1]
	v_mov_b32_e32 v115, v119
	s_delay_alu instid0(VALU_DEP_3) | instskip(NEXT) | instid1(VALU_DEP_1)
	v_pk_add_f32 v[112:113], v[112:113], v[116:117]
	v_pk_add_f32 v[112:113], v[112:113], v[114:115]
	s_wait_loadcnt 0x0
	s_delay_alu instid0(VALU_DEP_1)
	v_pk_add_f32 v[112:113], v[208:209], v[112:113] neg_lo:[0,1] neg_hi:[0,1]
	scratch_store_b64 off, v[112:113], off offset:240
	s_wait_xcnt 0x0
	v_cmpx_lt_u32_e32 29, v0
	s_cbranch_execz .LBB54_285
; %bb.284:
	scratch_load_b64 v[112:113], off, off offset:232
	v_mov_b64_e32 v[114:115], 0
	scratch_store_b64 off, v[114:115], off offset:232
	s_wait_loadcnt 0x0
	ds_store_b64 v1, v[112:113]
.LBB54_285:
	s_wait_xcnt 0x0
	s_or_b32 exec_lo, exec_lo, s0
	s_wait_storecnt_dscnt 0x0
	s_barrier_signal -1
	s_barrier_wait -1
	s_clause 0xd
	scratch_load_b128 v[112:115], off, off offset:240
	scratch_load_b128 v[116:119], off, off offset:256
	;; [unrolled: 1-line block ×12, first 2 shown]
	scratch_load_b64 v[208:209], off, off offset:432
	scratch_load_b64 v[210:211], off, off offset:232
	v_mov_b32_e32 v5, 0
	ds_load_b128 v[160:163], v5 offset:816
	ds_load_b128 v[164:167], v5 offset:832
	;; [unrolled: 1-line block ×12, first 2 shown]
	ds_load_b64 v[212:213], v5 offset:880
	s_mov_b32 s0, exec_lo
	s_wait_dscnt 0xc
	v_dual_mov_b32 v214, v163 :: v_dual_mov_b32 v215, v162
	s_wait_dscnt 0x9
	v_dual_mov_b32 v216, v167 :: v_dual_mov_b32 v221, v174
	v_dual_mov_b32 v217, v166 :: v_dual_mov_b32 v218, v171
	;; [unrolled: 1-line block ×3, first 2 shown]
	s_wait_loadcnt_dscnt 0xd08
	v_dual_mul_f32 v9, v176, v113 :: v_dual_mul_f32 v39, v177, v113
	v_dual_mul_f32 v41, v179, v115 :: v_dual_mul_f32 v11, v178, v115
	s_wait_loadcnt_dscnt 0xc07
	v_mul_f32_e32 v13, v180, v117
	s_wait_loadcnt_dscnt 0xa05
	v_dual_mul_f32 v51, v189, v125 :: v_dual_fma_f32 v39, v176, v112, -v39
	v_dual_fmac_f32 v9, v177, v112 :: v_dual_mul_f32 v53, v191, v127
	v_dual_mul_f32 v43, v181, v117 :: v_dual_mul_f32 v45, v183, v119
	v_dual_fmac_f32 v11, v179, v114 :: v_dual_fma_f32 v41, v178, v114, -v41
	s_delay_alu instid0(VALU_DEP_3) | instskip(SKIP_4) | instid1(VALU_DEP_3)
	v_dual_add_f32 v9, 0, v9 :: v_dual_add_f32 v39, 0, v39
	v_dual_mul_f32 v15, v182, v119 :: v_dual_mul_f32 v17, v184, v121
	s_wait_loadcnt_dscnt 0x904
	v_dual_mul_f32 v55, v193, v129 :: v_dual_fma_f32 v43, v180, v116, -v43
	v_fmac_f32_e32 v13, v181, v116
	v_dual_add_f32 v9, v9, v11 :: v_dual_fmac_f32 v15, v183, v118
	v_add_f32_e32 v11, v39, v41
	v_dual_mul_f32 v47, v185, v121 :: v_dual_mul_f32 v49, v187, v123
	v_dual_mul_f32 v39, v195, v131 :: v_dual_fma_f32 v41, v182, v118, -v45
	s_delay_alu instid0(VALU_DEP_3) | instskip(SKIP_3) | instid1(VALU_DEP_3)
	v_dual_add_f32 v9, v9, v13 :: v_dual_add_f32 v11, v11, v43
	v_dual_mul_f32 v19, v186, v123 :: v_dual_mul_f32 v21, v188, v125
	s_wait_loadcnt_dscnt 0x803
	v_dual_mul_f32 v13, v197, v133 :: v_dual_fma_f32 v43, v184, v120, -v47
	v_dual_fmac_f32 v17, v185, v120 :: v_dual_add_f32 v11, v11, v41
	s_delay_alu instid0(VALU_DEP_3) | instskip(SKIP_1) | instid1(VALU_DEP_2)
	v_dual_add_f32 v9, v9, v15 :: v_dual_fmac_f32 v19, v187, v122
	v_dual_mul_f32 v15, v199, v135 :: v_dual_fma_f32 v41, v186, v122, -v49
	v_dual_add_f32 v11, v11, v43 :: v_dual_add_f32 v9, v9, v17
	v_dual_mul_f32 v23, v190, v127 :: v_dual_mul_f32 v25, v192, v129
	s_wait_loadcnt_dscnt 0x702
	v_dual_mul_f32 v17, v201, v137 :: v_dual_fma_f32 v43, v188, v124, -v51
	s_delay_alu instid0(VALU_DEP_3) | instskip(NEXT) | instid1(VALU_DEP_3)
	v_dual_fmac_f32 v21, v189, v124 :: v_dual_add_f32 v11, v11, v41
	v_dual_add_f32 v9, v9, v19 :: v_dual_fmac_f32 v23, v191, v126
	v_dual_mul_f32 v19, v203, v139 :: v_dual_fma_f32 v41, v190, v126, -v53
	s_delay_alu instid0(VALU_DEP_2) | instskip(SKIP_3) | instid1(VALU_DEP_3)
	v_dual_add_f32 v11, v11, v43 :: v_dual_add_f32 v9, v9, v21
	v_dual_mul_f32 v27, v194, v131 :: v_dual_mul_f32 v29, v196, v133
	s_wait_loadcnt_dscnt 0x601
	v_dual_mul_f32 v21, v205, v141 :: v_dual_fma_f32 v43, v192, v128, -v55
	v_dual_fmac_f32 v25, v193, v128 :: v_dual_add_f32 v11, v11, v41
	s_delay_alu instid0(VALU_DEP_3) | instskip(SKIP_1) | instid1(VALU_DEP_2)
	v_dual_add_f32 v9, v9, v23 :: v_dual_fmac_f32 v27, v195, v130
	v_dual_mul_f32 v23, v207, v143 :: v_dual_fma_f32 v39, v194, v130, -v39
	v_dual_add_f32 v11, v11, v43 :: v_dual_add_f32 v9, v9, v25
	v_dual_mul_f32 v31, v198, v135 :: v_dual_mul_f32 v33, v200, v137
	s_wait_loadcnt 0x5
	v_dual_mul_f32 v25, v161, v145 :: v_dual_fma_f32 v13, v196, v132, -v13
	s_delay_alu instid0(VALU_DEP_3) | instskip(SKIP_2) | instid1(VALU_DEP_3)
	v_dual_fmac_f32 v29, v197, v132 :: v_dual_add_f32 v11, v11, v39
	v_dual_add_f32 v9, v9, v27 :: v_dual_mov_b32 v112, v147
	v_fmac_f32_e32 v31, v199, v134
	v_dual_fma_f32 v15, v198, v134, -v15 :: v_dual_add_f32 v11, v11, v13
	s_delay_alu instid0(VALU_DEP_3) | instskip(SKIP_1) | instid1(VALU_DEP_3)
	v_dual_add_f32 v9, v9, v29 :: v_dual_mul_f32 v35, v202, v139
	v_dual_mul_f32 v37, v204, v141 :: v_dual_fmac_f32 v33, v201, v136
	v_dual_add_f32 v11, v11, v15 :: v_dual_fma_f32 v13, v200, v136, -v17
	s_wait_loadcnt 0x4
	s_delay_alu instid0(VALU_DEP_3) | instskip(SKIP_3) | instid1(VALU_DEP_4)
	v_dual_add_f32 v9, v9, v31 :: v_dual_mov_b32 v116, v151
	v_fma_f32 v15, v202, v138, -v19
	v_fmac_f32_e32 v35, v203, v138
	v_dual_add_f32 v11, v11, v13 :: v_dual_fmac_f32 v37, v205, v140
	v_dual_add_f32 v9, v9, v33 :: v_dual_mul_f32 v223, v206, v143
	v_mul_f32_e32 v225, v160, v145
	s_delay_alu instid0(VALU_DEP_3) | instskip(NEXT) | instid1(VALU_DEP_3)
	v_dual_fma_f32 v13, v204, v140, -v21 :: v_dual_add_f32 v11, v11, v15
	v_dual_fma_f32 v222, v206, v142, -v23 :: v_dual_add_f32 v9, v9, v35
	s_delay_alu instid0(VALU_DEP_4) | instskip(SKIP_1) | instid1(VALU_DEP_4)
	v_fmac_f32_e32 v223, v207, v142
	v_pk_mul_f32 v[112:113], v[214:215], v[112:113] op_sel_hi:[1,0]
	v_dual_add_f32 v120, v11, v13 :: v_dual_fmac_f32 v225, v161, v144
	s_delay_alu instid0(VALU_DEP_4)
	v_add_f32_e32 v121, v9, v37
	v_pk_mul_f32 v[114:115], v[164:165], v[148:149] op_sel:[1,1] op_sel_hi:[0,1]
	s_wait_loadcnt 0x3
	v_dual_mov_b32 v122, v155 :: v_dual_fma_f32 v224, v160, v144, -v25
	v_pk_fma_f32 v[124:125], v[162:163], v[146:147], v[112:113] op_sel_hi:[1,0,1]
	v_pk_add_f32 v[120:121], v[120:121], v[222:223]
	v_pk_fma_f32 v[112:113], v[162:163], v[146:147], v[112:113] neg_lo:[0,0,1] neg_hi:[0,0,1]
	v_pk_fma_f32 v[126:127], v[164:165], v[148:149], v[114:115] op_sel_hi:[1,0,1]
	v_pk_mul_f32 v[116:117], v[216:217], v[116:117] op_sel_hi:[1,0]
	v_mov_b32_e32 v113, v125
	v_pk_add_f32 v[120:121], v[120:121], v[224:225]
	v_pk_fma_f32 v[114:115], v[164:165], v[148:149], v[114:115] neg_lo:[0,0,1] neg_hi:[0,0,1]
	v_pk_mul_f32 v[118:119], v[168:169], v[152:153] op_sel:[1,1] op_sel_hi:[0,1]
	v_mov_b32_e32 v115, v127
	v_pk_fma_f32 v[126:127], v[166:167], v[150:151], v[116:117] op_sel_hi:[1,0,1]
	v_pk_add_f32 v[112:113], v[120:121], v[112:113]
	v_pk_fma_f32 v[116:117], v[166:167], v[150:151], v[116:117] neg_lo:[0,0,1] neg_hi:[0,0,1]
	v_pk_fma_f32 v[120:121], v[168:169], v[152:153], v[118:119] op_sel_hi:[1,0,1]
	v_pk_mul_f32 v[122:123], v[218:219], v[122:123] op_sel_hi:[1,0]
	v_mov_b32_e32 v117, v127
	v_pk_add_f32 v[112:113], v[112:113], v[114:115]
	v_pk_fma_f32 v[118:119], v[168:169], v[152:153], v[118:119] neg_lo:[0,0,1] neg_hi:[0,0,1]
	s_wait_loadcnt 0x2
	v_pk_mul_f32 v[124:125], v[172:173], v[156:157] op_sel:[1,1] op_sel_hi:[0,1]
	v_dual_mov_b32 v114, v159 :: v_dual_mov_b32 v119, v121
	v_pk_fma_f32 v[120:121], v[170:171], v[154:155], v[122:123] op_sel_hi:[1,0,1]
	v_pk_add_f32 v[112:113], v[112:113], v[116:117]
	v_pk_fma_f32 v[122:123], v[170:171], v[154:155], v[122:123] neg_lo:[0,0,1] neg_hi:[0,0,1]
	v_pk_fma_f32 v[116:117], v[172:173], v[156:157], v[124:125] op_sel_hi:[1,0,1]
	v_pk_mul_f32 v[114:115], v[220:221], v[114:115] op_sel_hi:[1,0]
	v_mov_b32_e32 v123, v121
	v_pk_add_f32 v[112:113], v[112:113], v[118:119]
	v_pk_fma_f32 v[118:119], v[172:173], v[156:157], v[124:125] neg_lo:[0,0,1] neg_hi:[0,0,1]
	v_mov_b32_e32 v119, v117
	v_pk_fma_f32 v[116:117], v[174:175], v[158:159], v[114:115] op_sel_hi:[1,0,1]
	s_wait_loadcnt_dscnt 0x100
	v_pk_mul_f32 v[120:121], v[212:213], v[208:209] op_sel:[1,1] op_sel_hi:[0,1]
	v_pk_add_f32 v[112:113], v[112:113], v[122:123]
	v_pk_fma_f32 v[114:115], v[174:175], v[158:159], v[114:115] neg_lo:[0,0,1] neg_hi:[0,0,1]
	v_mov_b32_e32 v115, v117
	s_delay_alu instid0(VALU_DEP_4) | instskip(NEXT) | instid1(VALU_DEP_4)
	v_pk_fma_f32 v[116:117], v[212:213], v[208:209], v[120:121] op_sel_hi:[1,0,1]
	v_pk_add_f32 v[112:113], v[112:113], v[118:119]
	v_pk_fma_f32 v[118:119], v[212:213], v[208:209], v[120:121] neg_lo:[0,0,1] neg_hi:[0,0,1]
	s_delay_alu instid0(VALU_DEP_3) | instskip(NEXT) | instid1(VALU_DEP_3)
	v_mov_b32_e32 v119, v117
	v_pk_add_f32 v[112:113], v[112:113], v[114:115]
	s_delay_alu instid0(VALU_DEP_1) | instskip(SKIP_1) | instid1(VALU_DEP_1)
	v_pk_add_f32 v[112:113], v[112:113], v[118:119]
	s_wait_loadcnt 0x0
	v_pk_add_f32 v[112:113], v[210:211], v[112:113] neg_lo:[0,1] neg_hi:[0,1]
	scratch_store_b64 off, v[112:113], off offset:232
	s_wait_xcnt 0x0
	v_cmpx_lt_u32_e32 28, v0
	s_cbranch_execz .LBB54_287
; %bb.286:
	scratch_load_b64 v[112:113], off, off offset:224
	v_mov_b64_e32 v[114:115], 0
	scratch_store_b64 off, v[114:115], off offset:224
	s_wait_loadcnt 0x0
	ds_store_b64 v1, v[112:113]
.LBB54_287:
	s_wait_xcnt 0x0
	s_or_b32 exec_lo, exec_lo, s0
	s_wait_storecnt_dscnt 0x0
	s_barrier_signal -1
	s_barrier_wait -1
	s_clause 0xd
	scratch_load_b128 v[112:115], off, off offset:232
	scratch_load_b128 v[116:119], off, off offset:248
	;; [unrolled: 1-line block ×13, first 2 shown]
	scratch_load_b64 v[216:217], off, off offset:224
	ds_load_2addr_b64 v[164:167], v5 offset0:103 offset1:104
	ds_load_2addr_b64 v[168:171], v5 offset0:105 offset1:106
	;; [unrolled: 1-line block ×13, first 2 shown]
	s_mov_b32 s0, exec_lo
	s_wait_dscnt 0xc
	v_dual_mov_b32 v218, v167 :: v_dual_mov_b32 v219, v166
	s_wait_dscnt 0xb
	v_dual_mov_b32 v220, v171 :: v_dual_mov_b32 v221, v170
	;; [unrolled: 2-line block ×4, first 2 shown]
	s_wait_loadcnt_dscnt 0xd08
	v_dual_mul_f32 v5, v180, v113 :: v_dual_mul_f32 v9, v182, v115
	v_dual_mul_f32 v39, v181, v113 :: v_dual_mul_f32 v41, v183, v115
	s_wait_loadcnt_dscnt 0xc07
	v_dual_mul_f32 v11, v184, v117 :: v_dual_mul_f32 v13, v186, v119
	s_delay_alu instid0(VALU_DEP_2) | instskip(SKIP_3) | instid1(VALU_DEP_3)
	v_dual_fmac_f32 v5, v181, v112 :: v_dual_fma_f32 v39, v180, v112, -v39
	v_dual_mul_f32 v43, v185, v117 :: v_dual_mul_f32 v45, v187, v119
	s_wait_loadcnt_dscnt 0xa05
	v_dual_mul_f32 v51, v193, v125 :: v_dual_fmac_f32 v9, v183, v114
	v_dual_fma_f32 v41, v182, v114, -v41 :: v_dual_add_f32 v5, 0, v5
	v_dual_add_f32 v39, 0, v39 :: v_dual_fmac_f32 v11, v185, v116
	v_dual_mul_f32 v53, v195, v127 :: v_dual_fma_f32 v43, v184, v116, -v43
	s_delay_alu instid0(VALU_DEP_3) | instskip(NEXT) | instid1(VALU_DEP_3)
	v_dual_add_f32 v5, v5, v9 :: v_dual_fmac_f32 v13, v187, v118
	v_dual_add_f32 v9, v39, v41 :: v_dual_fma_f32 v41, v186, v118, -v45
	v_dual_mul_f32 v15, v188, v121 :: v_dual_mul_f32 v17, v190, v123
	v_dual_mul_f32 v47, v189, v121 :: v_dual_mul_f32 v49, v191, v123
	s_delay_alu instid0(VALU_DEP_3) | instskip(NEXT) | instid1(VALU_DEP_3)
	v_add_f32_e32 v9, v9, v43
	v_dual_add_f32 v5, v5, v11 :: v_dual_fmac_f32 v17, v191, v122
	s_wait_loadcnt_dscnt 0x903
	s_delay_alu instid0(VALU_DEP_3) | instskip(NEXT) | instid1(VALU_DEP_3)
	v_dual_fma_f32 v43, v188, v120, -v47 :: v_dual_mul_f32 v39, v201, v129
	v_dual_mul_f32 v11, v203, v131 :: v_dual_add_f32 v9, v9, v41
	v_dual_fmac_f32 v15, v189, v120 :: v_dual_fma_f32 v41, v190, v122, -v49
	s_delay_alu instid0(VALU_DEP_3) | instskip(NEXT) | instid1(VALU_DEP_3)
	v_dual_add_f32 v5, v5, v13 :: v_dual_fma_f32 v39, v200, v128, -v39
	v_dual_add_f32 v9, v9, v43 :: v_dual_fma_f32 v43, v192, v124, -v51
	v_dual_mul_f32 v19, v192, v125 :: v_dual_mul_f32 v21, v194, v127
	s_wait_loadcnt_dscnt 0x802
	v_dual_mul_f32 v27, v204, v133 :: v_dual_mul_f32 v29, v206, v135
	s_delay_alu instid0(VALU_DEP_3) | instskip(SKIP_2) | instid1(VALU_DEP_3)
	v_dual_add_f32 v9, v9, v41 :: v_dual_fma_f32 v11, v202, v130, -v11
	v_dual_add_f32 v5, v5, v15 :: v_dual_fma_f32 v41, v194, v126, -v53
	v_dual_mul_f32 v23, v200, v129 :: v_dual_mul_f32 v25, v202, v131
	v_dual_add_f32 v9, v9, v43 :: v_dual_fmac_f32 v29, v207, v134
	v_fmac_f32_e32 v19, v193, v124
	s_delay_alu instid0(VALU_DEP_4)
	v_add_f32_e32 v5, v5, v17
	s_wait_loadcnt_dscnt 0x701
	v_mul_f32_e32 v17, v209, v137
	v_add_f32_e32 v9, v9, v41
	v_dual_mul_f32 v13, v205, v133 :: v_dual_fmac_f32 v21, v195, v126
	v_dual_fmac_f32 v25, v203, v130 :: v_dual_add_f32 v5, v5, v19
	s_wait_loadcnt 0x4
	s_delay_alu instid0(VALU_DEP_3) | instskip(SKIP_1) | instid1(VALU_DEP_3)
	v_dual_add_f32 v9, v9, v39 :: v_dual_mov_b32 v114, v151
	v_dual_mul_f32 v15, v207, v135 :: v_dual_fmac_f32 v23, v201, v128
	v_dual_fma_f32 v13, v204, v132, -v13 :: v_dual_add_f32 v5, v5, v21
	s_delay_alu instid0(VALU_DEP_3) | instskip(SKIP_3) | instid1(VALU_DEP_4)
	v_dual_add_f32 v9, v9, v11 :: v_dual_mul_f32 v31, v208, v137
	v_dual_mul_f32 v33, v210, v139 :: v_dual_mul_f32 v227, v196, v145
	v_mul_f32_e32 v229, v198, v147
	v_dual_mul_f32 v19, v211, v139 :: v_dual_fma_f32 v15, v206, v134, -v15
	v_dual_add_f32 v9, v9, v13 :: v_dual_mul_f32 v13, v199, v147
	s_wait_dscnt 0x0
	v_dual_add_f32 v5, v5, v23 :: v_dual_mul_f32 v35, v212, v141
	v_dual_mul_f32 v37, v214, v143 :: v_dual_mul_f32 v21, v213, v141
	v_fmac_f32_e32 v33, v211, v138
	v_dual_mul_f32 v23, v215, v143 :: v_dual_fmac_f32 v27, v205, v132
	s_delay_alu instid0(VALU_DEP_3)
	v_fmac_f32_e32 v37, v215, v142
	v_fma_f32 v17, v208, v136, -v17
	s_wait_loadcnt 0x3
	v_pk_mul_f32 v[116:117], v[168:169], v[152:153] op_sel:[1,1] op_sel_hi:[0,1]
	v_dual_fmac_f32 v229, v199, v146 :: v_dual_add_f32 v9, v9, v15
	v_dual_fma_f32 v15, v210, v138, -v19 :: v_dual_add_f32 v5, v5, v25
	v_dual_mul_f32 v11, v197, v145 :: v_dual_mov_b32 v118, v155
	v_pk_mul_f32 v[112:113], v[164:165], v[148:149] op_sel:[1,1] op_sel_hi:[0,1]
	v_pk_fma_f32 v[126:127], v[168:169], v[152:153], v[116:117] op_sel_hi:[1,0,1]
	v_dual_add_f32 v9, v9, v17 :: v_dual_fma_f32 v17, v212, v140, -v21
	s_delay_alu instid0(VALU_DEP_4) | instskip(SKIP_2) | instid1(VALU_DEP_3)
	v_dual_add_f32 v5, v5, v27 :: v_dual_fma_f32 v226, v196, v144, -v11
	v_dual_fmac_f32 v31, v209, v136 :: v_dual_fma_f32 v228, v198, v146, -v13
	v_pk_fma_f32 v[122:123], v[164:165], v[148:149], v[112:113] op_sel_hi:[1,0,1]
	v_add_f32_e32 v5, v5, v29
	v_pk_mul_f32 v[114:115], v[218:219], v[114:115] op_sel_hi:[1,0]
	v_pk_fma_f32 v[112:113], v[164:165], v[148:149], v[112:113] neg_lo:[0,0,1] neg_hi:[0,0,1]
	v_pk_mul_f32 v[118:119], v[220:221], v[118:119] op_sel_hi:[1,0]
	s_delay_alu instid0(VALU_DEP_4) | instskip(NEXT) | instid1(VALU_DEP_4)
	v_dual_mov_b32 v113, v123 :: v_dual_add_f32 v5, v5, v31
	v_pk_fma_f32 v[122:123], v[166:167], v[150:151], v[114:115] op_sel_hi:[1,0,1]
	v_pk_fma_f32 v[114:115], v[166:167], v[150:151], v[114:115] neg_lo:[0,0,1] neg_hi:[0,0,1]
	v_pk_fma_f32 v[116:117], v[168:169], v[152:153], v[116:117] neg_lo:[0,0,1] neg_hi:[0,0,1]
	s_delay_alu instid0(VALU_DEP_4) | instskip(NEXT) | instid1(VALU_DEP_4)
	v_dual_mov_b32 v117, v127 :: v_dual_add_f32 v5, v5, v33
	v_dual_add_f32 v9, v9, v15 :: v_dual_mov_b32 v115, v123
	v_pk_fma_f32 v[122:123], v[170:171], v[154:155], v[118:119] op_sel_hi:[1,0,1]
	v_fmac_f32_e32 v35, v213, v140
	v_pk_fma_f32 v[118:119], v[170:171], v[154:155], v[118:119] neg_lo:[0,0,1] neg_hi:[0,0,1]
	s_delay_alu instid0(VALU_DEP_4) | instskip(NEXT) | instid1(VALU_DEP_3)
	v_dual_fma_f32 v15, v214, v142, -v23 :: v_dual_add_f32 v9, v9, v17
	v_dual_mov_b32 v119, v123 :: v_dual_add_f32 v5, v5, v35
	v_fmac_f32_e32 v227, v197, v144
	s_wait_loadcnt 0x2
	v_pk_mul_f32 v[124:125], v[172:173], v[156:157] op_sel:[1,1] op_sel_hi:[0,1]
	v_add_f32_e32 v120, v9, v15
	v_add_f32_e32 v121, v5, v37
	s_delay_alu instid0(VALU_DEP_3) | instskip(NEXT) | instid1(VALU_DEP_2)
	v_pk_fma_f32 v[122:123], v[172:173], v[156:157], v[124:125] neg_lo:[0,0,1] neg_hi:[0,0,1]
	v_pk_add_f32 v[120:121], v[120:121], v[226:227]
	s_delay_alu instid0(VALU_DEP_1) | instskip(NEXT) | instid1(VALU_DEP_1)
	v_pk_add_f32 v[120:121], v[120:121], v[228:229]
	v_pk_add_f32 v[112:113], v[120:121], v[112:113]
	v_mov_b32_e32 v120, v159
	s_delay_alu instid0(VALU_DEP_2) | instskip(SKIP_1) | instid1(VALU_DEP_3)
	v_pk_add_f32 v[112:113], v[112:113], v[114:115]
	v_pk_fma_f32 v[114:115], v[172:173], v[156:157], v[124:125] op_sel_hi:[1,0,1]
	v_pk_mul_f32 v[120:121], v[222:223], v[120:121] op_sel_hi:[1,0]
	s_delay_alu instid0(VALU_DEP_3) | instskip(NEXT) | instid1(VALU_DEP_3)
	v_pk_add_f32 v[112:113], v[112:113], v[116:117]
	v_mov_b32_e32 v123, v115
	s_delay_alu instid0(VALU_DEP_3)
	v_pk_fma_f32 v[114:115], v[174:175], v[158:159], v[120:121] op_sel_hi:[1,0,1]
	s_wait_loadcnt 0x1
	v_pk_mul_f32 v[116:117], v[176:177], v[160:161] op_sel:[1,1] op_sel_hi:[0,1]
	v_mov_b32_e32 v114, v163
	v_pk_add_f32 v[112:113], v[112:113], v[118:119]
	v_pk_fma_f32 v[120:121], v[174:175], v[158:159], v[120:121] neg_lo:[0,0,1] neg_hi:[0,0,1]
	v_mov_b32_e32 v121, v115
	v_pk_fma_f32 v[118:119], v[176:177], v[160:161], v[116:117] op_sel_hi:[1,0,1]
	v_pk_mul_f32 v[114:115], v[224:225], v[114:115] op_sel_hi:[1,0]
	v_pk_add_f32 v[112:113], v[112:113], v[122:123]
	v_pk_fma_f32 v[116:117], v[176:177], v[160:161], v[116:117] neg_lo:[0,0,1] neg_hi:[0,0,1]
	s_delay_alu instid0(VALU_DEP_4) | instskip(NEXT) | instid1(VALU_DEP_4)
	v_mov_b32_e32 v117, v119
	v_pk_fma_f32 v[118:119], v[178:179], v[162:163], v[114:115] op_sel_hi:[1,0,1]
	s_delay_alu instid0(VALU_DEP_4) | instskip(SKIP_1) | instid1(VALU_DEP_3)
	v_pk_add_f32 v[112:113], v[112:113], v[120:121]
	v_pk_fma_f32 v[114:115], v[178:179], v[162:163], v[114:115] neg_lo:[0,0,1] neg_hi:[0,0,1]
	v_mov_b32_e32 v115, v119
	s_delay_alu instid0(VALU_DEP_3) | instskip(NEXT) | instid1(VALU_DEP_1)
	v_pk_add_f32 v[112:113], v[112:113], v[116:117]
	v_pk_add_f32 v[112:113], v[112:113], v[114:115]
	s_wait_loadcnt 0x0
	s_delay_alu instid0(VALU_DEP_1)
	v_pk_add_f32 v[112:113], v[216:217], v[112:113] neg_lo:[0,1] neg_hi:[0,1]
	scratch_store_b64 off, v[112:113], off offset:224
	s_wait_xcnt 0x0
	v_cmpx_lt_u32_e32 27, v0
	s_cbranch_execz .LBB54_289
; %bb.288:
	scratch_load_b64 v[112:113], off, off offset:216
	v_mov_b64_e32 v[114:115], 0
	scratch_store_b64 off, v[114:115], off offset:216
	s_wait_loadcnt 0x0
	ds_store_b64 v1, v[112:113]
.LBB54_289:
	s_wait_xcnt 0x0
	s_or_b32 exec_lo, exec_lo, s0
	s_wait_storecnt_dscnt 0x0
	s_barrier_signal -1
	s_barrier_wait -1
	s_clause 0xe
	scratch_load_b128 v[112:115], off, off offset:224
	scratch_load_b128 v[116:119], off, off offset:240
	;; [unrolled: 1-line block ×13, first 2 shown]
	scratch_load_b64 v[216:217], off, off offset:432
	scratch_load_b64 v[218:219], off, off offset:216
	v_mov_b32_e32 v5, 0
	ds_load_b128 v[164:167], v5 offset:816
	ds_load_b128 v[168:171], v5 offset:832
	;; [unrolled: 1-line block ×13, first 2 shown]
	ds_load_b64 v[220:221], v5 offset:880
	s_mov_b32 s0, exec_lo
	s_wait_dscnt 0xd
	v_dual_mov_b32 v222, v167 :: v_dual_mov_b32 v223, v166
	s_wait_dscnt 0xa
	v_dual_mov_b32 v224, v171 :: v_dual_mov_b32 v229, v178
	v_dual_mov_b32 v225, v170 :: v_dual_mov_b32 v226, v175
	;; [unrolled: 1-line block ×3, first 2 shown]
	s_wait_loadcnt_dscnt 0xe09
	v_dual_mul_f32 v9, v180, v113 :: v_dual_mul_f32 v43, v181, v113
	v_dual_mul_f32 v45, v183, v115 :: v_dual_mul_f32 v11, v182, v115
	s_wait_loadcnt_dscnt 0xd08
	v_mul_f32_e32 v13, v184, v117
	s_wait_loadcnt_dscnt 0xb05
	v_dual_mul_f32 v55, v197, v125 :: v_dual_fma_f32 v43, v180, v112, -v43
	v_dual_fmac_f32 v9, v181, v112 :: v_dual_mul_f32 v57, v199, v127
	v_dual_mul_f32 v47, v185, v117 :: v_dual_mul_f32 v49, v187, v119
	v_dual_fmac_f32 v11, v183, v114 :: v_dual_fma_f32 v45, v182, v114, -v45
	s_delay_alu instid0(VALU_DEP_3) | instskip(SKIP_4) | instid1(VALU_DEP_3)
	v_dual_add_f32 v9, 0, v9 :: v_dual_add_f32 v43, 0, v43
	v_dual_mul_f32 v15, v186, v119 :: v_dual_mul_f32 v17, v188, v121
	s_wait_loadcnt_dscnt 0xa04
	v_dual_mul_f32 v59, v201, v129 :: v_dual_fma_f32 v47, v184, v116, -v47
	v_fmac_f32_e32 v13, v185, v116
	v_dual_add_f32 v9, v9, v11 :: v_dual_fmac_f32 v15, v187, v118
	v_add_f32_e32 v11, v43, v45
	v_dual_mul_f32 v51, v189, v121 :: v_dual_mul_f32 v53, v191, v123
	v_dual_mul_f32 v43, v203, v131 :: v_dual_fma_f32 v45, v186, v118, -v49
	s_delay_alu instid0(VALU_DEP_3) | instskip(SKIP_3) | instid1(VALU_DEP_3)
	v_dual_add_f32 v9, v9, v13 :: v_dual_add_f32 v11, v11, v47
	v_dual_mul_f32 v19, v190, v123 :: v_dual_mul_f32 v21, v196, v125
	s_wait_loadcnt_dscnt 0x903
	v_dual_mul_f32 v13, v205, v133 :: v_dual_fma_f32 v47, v188, v120, -v51
	v_dual_fmac_f32 v17, v189, v120 :: v_dual_add_f32 v11, v11, v45
	s_delay_alu instid0(VALU_DEP_3) | instskip(SKIP_1) | instid1(VALU_DEP_2)
	v_dual_add_f32 v9, v9, v15 :: v_dual_fmac_f32 v19, v191, v122
	v_dual_mul_f32 v15, v207, v135 :: v_dual_fma_f32 v45, v190, v122, -v53
	v_dual_add_f32 v11, v11, v47 :: v_dual_add_f32 v9, v9, v17
	v_dual_mul_f32 v23, v198, v127 :: v_dual_mul_f32 v25, v200, v129
	s_wait_loadcnt_dscnt 0x802
	v_dual_mul_f32 v17, v209, v137 :: v_dual_fma_f32 v47, v196, v124, -v55
	s_delay_alu instid0(VALU_DEP_3) | instskip(NEXT) | instid1(VALU_DEP_3)
	v_dual_fmac_f32 v21, v197, v124 :: v_dual_add_f32 v11, v11, v45
	v_dual_add_f32 v9, v9, v19 :: v_dual_fmac_f32 v23, v199, v126
	v_dual_mul_f32 v19, v211, v139 :: v_dual_fma_f32 v45, v198, v126, -v57
	s_delay_alu instid0(VALU_DEP_2) | instskip(SKIP_3) | instid1(VALU_DEP_3)
	v_dual_add_f32 v11, v11, v47 :: v_dual_add_f32 v9, v9, v21
	v_dual_mul_f32 v27, v202, v131 :: v_dual_mul_f32 v29, v204, v133
	s_wait_loadcnt_dscnt 0x701
	v_dual_mul_f32 v21, v213, v141 :: v_dual_fma_f32 v47, v200, v128, -v59
	v_dual_fmac_f32 v25, v201, v128 :: v_dual_add_f32 v11, v11, v45
	s_delay_alu instid0(VALU_DEP_3) | instskip(SKIP_1) | instid1(VALU_DEP_2)
	v_dual_add_f32 v9, v9, v23 :: v_dual_fmac_f32 v27, v203, v130
	v_dual_mul_f32 v23, v215, v143 :: v_dual_fma_f32 v43, v202, v130, -v43
	v_dual_add_f32 v11, v11, v47 :: v_dual_add_f32 v9, v9, v25
	v_dual_mul_f32 v31, v206, v135 :: v_dual_mul_f32 v33, v208, v137
	s_wait_loadcnt 0x6
	v_dual_mul_f32 v25, v193, v145 :: v_dual_fma_f32 v13, v204, v132, -v13
	s_delay_alu instid0(VALU_DEP_3) | instskip(NEXT) | instid1(VALU_DEP_3)
	v_dual_fmac_f32 v29, v205, v132 :: v_dual_add_f32 v11, v11, v43
	v_dual_add_f32 v9, v9, v27 :: v_dual_fmac_f32 v31, v207, v134
	v_dual_mul_f32 v27, v195, v147 :: v_dual_fma_f32 v15, v206, v134, -v15
	s_delay_alu instid0(VALU_DEP_3) | instskip(NEXT) | instid1(VALU_DEP_3)
	v_dual_add_f32 v11, v11, v13 :: v_dual_fmac_f32 v33, v209, v136
	v_dual_add_f32 v9, v9, v29 :: v_dual_fma_f32 v17, v208, v136, -v17
	v_dual_mul_f32 v35, v210, v139 :: v_dual_mul_f32 v37, v212, v141
	s_wait_loadcnt 0x5
	s_delay_alu instid0(VALU_DEP_3) | instskip(NEXT) | instid1(VALU_DEP_3)
	v_dual_mul_f32 v13, v165, v149 :: v_dual_add_f32 v11, v11, v15
	v_dual_add_f32 v9, v9, v31 :: v_dual_mov_b32 v112, v151
	s_delay_alu instid0(VALU_DEP_3) | instskip(NEXT) | instid1(VALU_DEP_3)
	v_fmac_f32_e32 v35, v211, v138
	v_dual_fma_f32 v15, v210, v138, -v19 :: v_dual_add_f32 v11, v11, v17
	s_delay_alu instid0(VALU_DEP_3) | instskip(SKIP_1) | instid1(VALU_DEP_3)
	v_dual_add_f32 v9, v9, v33 :: v_dual_mul_f32 v39, v214, v143
	v_dual_mul_f32 v41, v192, v145 :: v_dual_fmac_f32 v37, v213, v140
	v_dual_add_f32 v11, v11, v15 :: v_dual_fma_f32 v17, v212, v140, -v21
	s_wait_loadcnt 0x4
	s_delay_alu instid0(VALU_DEP_3) | instskip(SKIP_3) | instid1(VALU_DEP_4)
	v_dual_add_f32 v9, v9, v35 :: v_dual_mov_b32 v116, v155
	v_fma_f32 v15, v214, v142, -v23
	v_fmac_f32_e32 v39, v215, v142
	v_dual_add_f32 v11, v11, v17 :: v_dual_fmac_f32 v41, v193, v144
	v_dual_add_f32 v9, v9, v37 :: v_dual_mul_f32 v231, v194, v147
	v_mul_f32_e32 v233, v164, v149
	s_delay_alu instid0(VALU_DEP_3) | instskip(NEXT) | instid1(VALU_DEP_3)
	v_dual_fma_f32 v17, v192, v144, -v25 :: v_dual_add_f32 v11, v11, v15
	v_dual_fma_f32 v230, v194, v146, -v27 :: v_dual_add_f32 v9, v9, v39
	s_delay_alu instid0(VALU_DEP_4) | instskip(SKIP_1) | instid1(VALU_DEP_4)
	v_fmac_f32_e32 v231, v195, v146
	v_pk_mul_f32 v[112:113], v[222:223], v[112:113] op_sel_hi:[1,0]
	v_dual_add_f32 v120, v11, v17 :: v_dual_fmac_f32 v233, v165, v148
	s_delay_alu instid0(VALU_DEP_4)
	v_add_f32_e32 v121, v9, v41
	v_pk_mul_f32 v[114:115], v[168:169], v[152:153] op_sel:[1,1] op_sel_hi:[0,1]
	s_wait_loadcnt 0x3
	v_dual_mov_b32 v122, v159 :: v_dual_fma_f32 v232, v164, v148, -v13
	v_pk_fma_f32 v[124:125], v[166:167], v[150:151], v[112:113] op_sel_hi:[1,0,1]
	v_pk_add_f32 v[120:121], v[120:121], v[230:231]
	v_pk_fma_f32 v[112:113], v[166:167], v[150:151], v[112:113] neg_lo:[0,0,1] neg_hi:[0,0,1]
	v_pk_fma_f32 v[126:127], v[168:169], v[152:153], v[114:115] op_sel_hi:[1,0,1]
	v_pk_mul_f32 v[116:117], v[224:225], v[116:117] op_sel_hi:[1,0]
	v_mov_b32_e32 v113, v125
	v_pk_add_f32 v[120:121], v[120:121], v[232:233]
	v_pk_fma_f32 v[114:115], v[168:169], v[152:153], v[114:115] neg_lo:[0,0,1] neg_hi:[0,0,1]
	v_pk_mul_f32 v[118:119], v[172:173], v[156:157] op_sel:[1,1] op_sel_hi:[0,1]
	v_mov_b32_e32 v115, v127
	v_pk_fma_f32 v[126:127], v[170:171], v[154:155], v[116:117] op_sel_hi:[1,0,1]
	v_pk_add_f32 v[112:113], v[120:121], v[112:113]
	v_pk_fma_f32 v[116:117], v[170:171], v[154:155], v[116:117] neg_lo:[0,0,1] neg_hi:[0,0,1]
	v_pk_fma_f32 v[120:121], v[172:173], v[156:157], v[118:119] op_sel_hi:[1,0,1]
	v_pk_mul_f32 v[122:123], v[226:227], v[122:123] op_sel_hi:[1,0]
	v_mov_b32_e32 v117, v127
	v_pk_add_f32 v[112:113], v[112:113], v[114:115]
	v_pk_fma_f32 v[118:119], v[172:173], v[156:157], v[118:119] neg_lo:[0,0,1] neg_hi:[0,0,1]
	s_wait_loadcnt 0x2
	v_pk_mul_f32 v[124:125], v[176:177], v[160:161] op_sel:[1,1] op_sel_hi:[0,1]
	v_dual_mov_b32 v114, v163 :: v_dual_mov_b32 v119, v121
	v_pk_fma_f32 v[120:121], v[174:175], v[158:159], v[122:123] op_sel_hi:[1,0,1]
	v_pk_add_f32 v[112:113], v[112:113], v[116:117]
	v_pk_fma_f32 v[122:123], v[174:175], v[158:159], v[122:123] neg_lo:[0,0,1] neg_hi:[0,0,1]
	v_pk_fma_f32 v[116:117], v[176:177], v[160:161], v[124:125] op_sel_hi:[1,0,1]
	v_pk_mul_f32 v[114:115], v[228:229], v[114:115] op_sel_hi:[1,0]
	v_mov_b32_e32 v123, v121
	v_pk_add_f32 v[112:113], v[112:113], v[118:119]
	v_pk_fma_f32 v[118:119], v[176:177], v[160:161], v[124:125] neg_lo:[0,0,1] neg_hi:[0,0,1]
	v_mov_b32_e32 v119, v117
	v_pk_fma_f32 v[116:117], v[178:179], v[162:163], v[114:115] op_sel_hi:[1,0,1]
	s_wait_loadcnt_dscnt 0x100
	v_pk_mul_f32 v[120:121], v[220:221], v[216:217] op_sel:[1,1] op_sel_hi:[0,1]
	v_pk_add_f32 v[112:113], v[112:113], v[122:123]
	v_pk_fma_f32 v[114:115], v[178:179], v[162:163], v[114:115] neg_lo:[0,0,1] neg_hi:[0,0,1]
	v_mov_b32_e32 v115, v117
	s_delay_alu instid0(VALU_DEP_4) | instskip(NEXT) | instid1(VALU_DEP_4)
	v_pk_fma_f32 v[116:117], v[220:221], v[216:217], v[120:121] op_sel_hi:[1,0,1]
	v_pk_add_f32 v[112:113], v[112:113], v[118:119]
	v_pk_fma_f32 v[118:119], v[220:221], v[216:217], v[120:121] neg_lo:[0,0,1] neg_hi:[0,0,1]
	s_delay_alu instid0(VALU_DEP_3) | instskip(NEXT) | instid1(VALU_DEP_3)
	v_mov_b32_e32 v119, v117
	v_pk_add_f32 v[112:113], v[112:113], v[114:115]
	s_delay_alu instid0(VALU_DEP_1) | instskip(SKIP_1) | instid1(VALU_DEP_1)
	v_pk_add_f32 v[112:113], v[112:113], v[118:119]
	s_wait_loadcnt 0x0
	v_pk_add_f32 v[112:113], v[218:219], v[112:113] neg_lo:[0,1] neg_hi:[0,1]
	scratch_store_b64 off, v[112:113], off offset:216
	s_wait_xcnt 0x0
	v_cmpx_lt_u32_e32 26, v0
	s_cbranch_execz .LBB54_291
; %bb.290:
	scratch_load_b64 v[112:113], off, off offset:208
	v_mov_b64_e32 v[114:115], 0
	scratch_store_b64 off, v[114:115], off offset:208
	s_wait_loadcnt 0x0
	ds_store_b64 v1, v[112:113]
.LBB54_291:
	s_wait_xcnt 0x0
	s_or_b32 exec_lo, exec_lo, s0
	s_wait_storecnt_dscnt 0x0
	s_barrier_signal -1
	s_barrier_wait -1
	s_clause 0xe
	scratch_load_b128 v[112:115], off, off offset:216
	scratch_load_b128 v[116:119], off, off offset:232
	;; [unrolled: 1-line block ×14, first 2 shown]
	scratch_load_b64 v[224:225], off, off offset:208
	ds_load_2addr_b64 v[168:171], v5 offset0:103 offset1:104
	ds_load_2addr_b64 v[172:175], v5 offset0:105 offset1:106
	;; [unrolled: 1-line block ×14, first 2 shown]
	s_mov_b32 s0, exec_lo
	s_wait_dscnt 0xd
	v_dual_mov_b32 v226, v171 :: v_dual_mov_b32 v227, v170
	s_wait_dscnt 0xc
	v_dual_mov_b32 v228, v175 :: v_dual_mov_b32 v229, v174
	;; [unrolled: 2-line block ×4, first 2 shown]
	s_wait_loadcnt_dscnt 0xe09
	v_dual_mul_f32 v5, v184, v113 :: v_dual_mul_f32 v9, v186, v115
	v_dual_mul_f32 v43, v185, v113 :: v_dual_mul_f32 v45, v187, v115
	s_wait_loadcnt_dscnt 0xd08
	v_dual_mul_f32 v11, v188, v117 :: v_dual_mul_f32 v13, v190, v119
	s_delay_alu instid0(VALU_DEP_2) | instskip(SKIP_3) | instid1(VALU_DEP_3)
	v_dual_fmac_f32 v5, v185, v112 :: v_dual_fma_f32 v43, v184, v112, -v43
	v_dual_mul_f32 v47, v189, v117 :: v_dual_mul_f32 v49, v191, v119
	s_wait_loadcnt_dscnt 0xb06
	v_dual_mul_f32 v55, v197, v125 :: v_dual_fmac_f32 v9, v187, v114
	v_dual_fma_f32 v45, v186, v114, -v45 :: v_dual_add_f32 v5, 0, v5
	v_dual_add_f32 v43, 0, v43 :: v_dual_fmac_f32 v11, v189, v116
	v_dual_mul_f32 v57, v199, v127 :: v_dual_fma_f32 v47, v188, v116, -v47
	s_delay_alu instid0(VALU_DEP_3) | instskip(NEXT) | instid1(VALU_DEP_3)
	v_dual_add_f32 v5, v5, v9 :: v_dual_fmac_f32 v13, v191, v118
	v_dual_add_f32 v9, v43, v45 :: v_dual_fma_f32 v45, v190, v118, -v49
	v_dual_mul_f32 v15, v192, v121 :: v_dual_mul_f32 v17, v194, v123
	v_dual_mul_f32 v51, v193, v121 :: v_dual_mul_f32 v53, v195, v123
	s_delay_alu instid0(VALU_DEP_3) | instskip(NEXT) | instid1(VALU_DEP_3)
	v_add_f32_e32 v9, v9, v47
	v_dual_add_f32 v5, v5, v11 :: v_dual_fmac_f32 v17, v195, v122
	s_wait_loadcnt_dscnt 0xa05
	s_delay_alu instid0(VALU_DEP_3) | instskip(NEXT) | instid1(VALU_DEP_3)
	v_dual_fma_f32 v47, v192, v120, -v51 :: v_dual_mul_f32 v43, v201, v129
	v_dual_mul_f32 v11, v203, v131 :: v_dual_add_f32 v9, v9, v45
	v_dual_fmac_f32 v15, v193, v120 :: v_dual_fma_f32 v45, v194, v122, -v53
	v_add_f32_e32 v5, v5, v13
	v_dual_mul_f32 v19, v196, v125 :: v_dual_mul_f32 v21, v198, v127
	s_delay_alu instid0(VALU_DEP_4) | instskip(NEXT) | instid1(VALU_DEP_3)
	v_dual_add_f32 v9, v9, v47 :: v_dual_fma_f32 v43, v200, v128, -v43
	v_dual_add_f32 v5, v5, v15 :: v_dual_fma_f32 v47, v196, v124, -v55
	v_dual_mul_f32 v23, v200, v129 :: v_dual_mul_f32 v25, v202, v131
	s_delay_alu instid0(VALU_DEP_3) | instskip(SKIP_2) | instid1(VALU_DEP_3)
	v_dual_add_f32 v9, v9, v45 :: v_dual_fma_f32 v11, v202, v130, -v11
	s_wait_loadcnt_dscnt 0x904
	v_dual_mul_f32 v27, v204, v133 :: v_dual_mul_f32 v29, v206, v135
	v_dual_fmac_f32 v19, v197, v124 :: v_dual_fmac_f32 v25, v203, v130
	v_dual_fma_f32 v45, v198, v126, -v57 :: v_dual_add_f32 v5, v5, v17
	s_delay_alu instid0(VALU_DEP_3)
	v_dual_add_f32 v9, v9, v47 :: v_dual_fmac_f32 v29, v207, v134
	s_wait_loadcnt_dscnt 0x803
	v_dual_mul_f32 v31, v208, v137 :: v_dual_mul_f32 v33, v210, v139
	v_dual_mul_f32 v13, v205, v133 :: v_dual_fmac_f32 v21, v199, v126
	v_mul_f32_e32 v17, v209, v137
	v_add_f32_e32 v5, v5, v19
	v_dual_add_f32 v9, v9, v45 :: v_dual_mul_f32 v15, v207, v135
	s_delay_alu instid0(VALU_DEP_4) | instskip(NEXT) | instid1(VALU_DEP_3)
	v_fma_f32 v13, v204, v132, -v13
	v_dual_fmac_f32 v33, v211, v138 :: v_dual_add_f32 v5, v5, v21
	s_wait_loadcnt_dscnt 0x702
	v_mul_f32_e32 v21, v213, v141
	v_add_f32_e32 v9, v9, v43
	s_wait_loadcnt_dscnt 0x601
	v_dual_fmac_f32 v23, v201, v128 :: v_dual_mul_f32 v39, v216, v145
	s_delay_alu instid0(VALU_DEP_3) | instskip(NEXT) | instid1(VALU_DEP_3)
	v_dual_mul_f32 v41, v218, v147 :: v_dual_fma_f32 v21, v212, v140, -v21
	v_add_f32_e32 v9, v9, v11
	v_dual_mul_f32 v19, v211, v139 :: v_dual_fma_f32 v15, v206, v134, -v15
	v_dual_mul_f32 v35, v212, v141 :: v_dual_mul_f32 v37, v214, v143
	s_delay_alu instid0(VALU_DEP_3) | instskip(SKIP_1) | instid1(VALU_DEP_4)
	v_dual_add_f32 v9, v9, v13 :: v_dual_fmac_f32 v41, v219, v146
	v_mul_f32_e32 v13, v219, v147
	v_dual_add_f32 v5, v5, v23 :: v_dual_fma_f32 v19, v210, v138, -v19
	s_wait_loadcnt_dscnt 0x500
	v_dual_mul_f32 v235, v220, v149 :: v_dual_mul_f32 v237, v222, v151
	v_dual_mul_f32 v23, v215, v143 :: v_dual_fmac_f32 v27, v205, v132
	s_delay_alu instid0(VALU_DEP_3) | instskip(SKIP_1) | instid1(VALU_DEP_4)
	v_dual_add_f32 v5, v5, v25 :: v_dual_fmac_f32 v37, v215, v142
	v_dual_fma_f32 v17, v208, v136, -v17 :: v_dual_add_f32 v9, v9, v15
	v_dual_mul_f32 v15, v221, v149 :: v_dual_fmac_f32 v235, v221, v148
	s_wait_loadcnt 0x4
	v_dual_mul_f32 v11, v217, v145 :: v_dual_mov_b32 v114, v155
	v_dual_fmac_f32 v31, v209, v136 :: v_dual_fma_f32 v13, v218, v146, -v13
	s_delay_alu instid0(VALU_DEP_3) | instskip(SKIP_1) | instid1(VALU_DEP_4)
	v_dual_fma_f32 v234, v220, v148, -v15 :: v_dual_add_f32 v9, v9, v17
	v_mul_f32_e32 v17, v223, v151
	v_dual_add_f32 v5, v5, v27 :: v_dual_fma_f32 v11, v216, v144, -v11
	v_pk_mul_f32 v[112:113], v[168:169], v[152:153] op_sel:[1,1] op_sel_hi:[0,1]
	s_wait_loadcnt 0x3
	v_mov_b32_e32 v118, v159
	v_pk_mul_f32 v[114:115], v[226:227], v[114:115] op_sel_hi:[1,0]
	v_add_f32_e32 v5, v5, v29
	v_pk_mul_f32 v[116:117], v[172:173], v[156:157] op_sel:[1,1] op_sel_hi:[0,1]
	v_pk_fma_f32 v[122:123], v[168:169], v[152:153], v[112:113] op_sel_hi:[1,0,1]
	v_pk_fma_f32 v[112:113], v[168:169], v[152:153], v[112:113] neg_lo:[0,0,1] neg_hi:[0,0,1]
	v_fmac_f32_e32 v35, v213, v140
	v_dual_add_f32 v5, v5, v31 :: v_dual_fmac_f32 v237, v223, v150
	v_dual_fma_f32 v236, v222, v150, -v17 :: v_dual_add_f32 v9, v9, v19
	v_mov_b32_e32 v113, v123
	v_pk_fma_f32 v[122:123], v[170:171], v[154:155], v[114:115] op_sel_hi:[1,0,1]
	s_delay_alu instid0(VALU_DEP_4)
	v_add_f32_e32 v5, v5, v33
	v_pk_mul_f32 v[118:119], v[228:229], v[118:119] op_sel_hi:[1,0]
	v_pk_fma_f32 v[114:115], v[170:171], v[154:155], v[114:115] neg_lo:[0,0,1] neg_hi:[0,0,1]
	v_fma_f32 v19, v214, v142, -v23
	v_pk_fma_f32 v[126:127], v[172:173], v[156:157], v[116:117] op_sel_hi:[1,0,1]
	v_dual_mov_b32 v115, v123 :: v_dual_add_f32 v5, v5, v35
	v_pk_fma_f32 v[122:123], v[174:175], v[158:159], v[118:119] op_sel_hi:[1,0,1]
	v_add_f32_e32 v9, v9, v21
	v_pk_fma_f32 v[116:117], v[172:173], v[156:157], v[116:117] neg_lo:[0,0,1] neg_hi:[0,0,1]
	v_pk_fma_f32 v[118:119], v[174:175], v[158:159], v[118:119] neg_lo:[0,0,1] neg_hi:[0,0,1]
	v_dual_fmac_f32 v39, v217, v144 :: v_dual_mov_b32 v117, v127
	v_dual_add_f32 v5, v5, v37 :: v_dual_mov_b32 v119, v123
	v_add_f32_e32 v9, v9, v19
	s_wait_loadcnt 0x2
	v_pk_mul_f32 v[124:125], v[176:177], v[160:161] op_sel:[1,1] op_sel_hi:[0,1]
	s_delay_alu instid0(VALU_DEP_3) | instskip(NEXT) | instid1(VALU_DEP_3)
	v_add_f32_e32 v5, v5, v39
	v_add_f32_e32 v9, v9, v11
	s_delay_alu instid0(VALU_DEP_3) | instskip(NEXT) | instid1(VALU_DEP_3)
	v_pk_fma_f32 v[122:123], v[176:177], v[160:161], v[124:125] neg_lo:[0,0,1] neg_hi:[0,0,1]
	v_add_f32_e32 v121, v5, v41
	s_delay_alu instid0(VALU_DEP_3) | instskip(NEXT) | instid1(VALU_DEP_1)
	v_add_f32_e32 v120, v9, v13
	v_pk_add_f32 v[120:121], v[120:121], v[234:235]
	s_delay_alu instid0(VALU_DEP_1) | instskip(NEXT) | instid1(VALU_DEP_1)
	v_pk_add_f32 v[120:121], v[120:121], v[236:237]
	v_pk_add_f32 v[112:113], v[120:121], v[112:113]
	v_mov_b32_e32 v120, v163
	s_delay_alu instid0(VALU_DEP_2) | instskip(SKIP_1) | instid1(VALU_DEP_3)
	v_pk_add_f32 v[112:113], v[112:113], v[114:115]
	v_pk_fma_f32 v[114:115], v[176:177], v[160:161], v[124:125] op_sel_hi:[1,0,1]
	v_pk_mul_f32 v[120:121], v[230:231], v[120:121] op_sel_hi:[1,0]
	s_delay_alu instid0(VALU_DEP_3) | instskip(NEXT) | instid1(VALU_DEP_3)
	v_pk_add_f32 v[112:113], v[112:113], v[116:117]
	v_mov_b32_e32 v123, v115
	s_delay_alu instid0(VALU_DEP_3)
	v_pk_fma_f32 v[114:115], v[178:179], v[162:163], v[120:121] op_sel_hi:[1,0,1]
	s_wait_loadcnt 0x1
	v_pk_mul_f32 v[116:117], v[180:181], v[164:165] op_sel:[1,1] op_sel_hi:[0,1]
	v_mov_b32_e32 v114, v167
	v_pk_add_f32 v[112:113], v[112:113], v[118:119]
	v_pk_fma_f32 v[120:121], v[178:179], v[162:163], v[120:121] neg_lo:[0,0,1] neg_hi:[0,0,1]
	v_mov_b32_e32 v121, v115
	v_pk_fma_f32 v[118:119], v[180:181], v[164:165], v[116:117] op_sel_hi:[1,0,1]
	v_pk_mul_f32 v[114:115], v[232:233], v[114:115] op_sel_hi:[1,0]
	v_pk_add_f32 v[112:113], v[112:113], v[122:123]
	v_pk_fma_f32 v[116:117], v[180:181], v[164:165], v[116:117] neg_lo:[0,0,1] neg_hi:[0,0,1]
	s_delay_alu instid0(VALU_DEP_4) | instskip(NEXT) | instid1(VALU_DEP_4)
	v_mov_b32_e32 v117, v119
	v_pk_fma_f32 v[118:119], v[182:183], v[166:167], v[114:115] op_sel_hi:[1,0,1]
	s_delay_alu instid0(VALU_DEP_4) | instskip(SKIP_1) | instid1(VALU_DEP_3)
	v_pk_add_f32 v[112:113], v[112:113], v[120:121]
	v_pk_fma_f32 v[114:115], v[182:183], v[166:167], v[114:115] neg_lo:[0,0,1] neg_hi:[0,0,1]
	v_mov_b32_e32 v115, v119
	s_delay_alu instid0(VALU_DEP_3) | instskip(NEXT) | instid1(VALU_DEP_1)
	v_pk_add_f32 v[112:113], v[112:113], v[116:117]
	v_pk_add_f32 v[112:113], v[112:113], v[114:115]
	s_wait_loadcnt 0x0
	s_delay_alu instid0(VALU_DEP_1)
	v_pk_add_f32 v[112:113], v[224:225], v[112:113] neg_lo:[0,1] neg_hi:[0,1]
	scratch_store_b64 off, v[112:113], off offset:208
	s_wait_xcnt 0x0
	v_cmpx_lt_u32_e32 25, v0
	s_cbranch_execz .LBB54_293
; %bb.292:
	scratch_load_b64 v[112:113], off, off offset:200
	v_mov_b64_e32 v[114:115], 0
	scratch_store_b64 off, v[114:115], off offset:200
	s_wait_loadcnt 0x0
	ds_store_b64 v1, v[112:113]
.LBB54_293:
	s_wait_xcnt 0x0
	s_or_b32 exec_lo, exec_lo, s0
	s_wait_storecnt_dscnt 0x0
	s_barrier_signal -1
	s_barrier_wait -1
	s_clause 0xf
	scratch_load_b128 v[112:115], off, off offset:208
	scratch_load_b128 v[116:119], off, off offset:224
	;; [unrolled: 1-line block ×14, first 2 shown]
	scratch_load_b64 v[224:225], off, off offset:432
	scratch_load_b64 v[226:227], off, off offset:200
	v_mov_b32_e32 v5, 0
	ds_load_b128 v[168:171], v5 offset:816
	ds_load_b128 v[172:175], v5 offset:832
	;; [unrolled: 1-line block ×14, first 2 shown]
	ds_load_b64 v[228:229], v5 offset:880
	s_mov_b32 s0, exec_lo
	s_wait_dscnt 0xe
	v_dual_mov_b32 v230, v171 :: v_dual_mov_b32 v231, v170
	s_wait_dscnt 0xb
	v_dual_mov_b32 v232, v175 :: v_dual_mov_b32 v237, v182
	v_dual_mov_b32 v233, v174 :: v_dual_mov_b32 v234, v179
	;; [unrolled: 1-line block ×3, first 2 shown]
	s_wait_loadcnt_dscnt 0xf0a
	v_dual_mul_f32 v9, v184, v113 :: v_dual_mul_f32 v47, v185, v113
	v_dual_mul_f32 v49, v187, v115 :: v_dual_mul_f32 v11, v186, v115
	s_wait_loadcnt_dscnt 0xe09
	v_mul_f32_e32 v13, v188, v117
	s_wait_loadcnt_dscnt 0xc07
	v_dual_mul_f32 v59, v197, v125 :: v_dual_fma_f32 v47, v184, v112, -v47
	v_dual_fmac_f32 v9, v185, v112 :: v_dual_mul_f32 v61, v199, v127
	v_dual_mul_f32 v51, v189, v117 :: v_dual_mul_f32 v53, v191, v119
	v_dual_fmac_f32 v11, v187, v114 :: v_dual_fma_f32 v49, v186, v114, -v49
	s_delay_alu instid0(VALU_DEP_3) | instskip(SKIP_4) | instid1(VALU_DEP_3)
	v_dual_add_f32 v9, 0, v9 :: v_dual_add_f32 v47, 0, v47
	v_dual_mul_f32 v15, v190, v119 :: v_dual_mul_f32 v17, v192, v121
	s_wait_loadcnt_dscnt 0xb06
	v_dual_mul_f32 v63, v201, v129 :: v_dual_fma_f32 v51, v188, v116, -v51
	v_fmac_f32_e32 v13, v189, v116
	v_dual_add_f32 v9, v9, v11 :: v_dual_fmac_f32 v15, v191, v118
	v_add_f32_e32 v11, v47, v49
	v_dual_mul_f32 v55, v193, v121 :: v_dual_mul_f32 v57, v195, v123
	v_dual_mul_f32 v47, v203, v131 :: v_dual_fma_f32 v49, v190, v118, -v53
	s_delay_alu instid0(VALU_DEP_3) | instskip(SKIP_3) | instid1(VALU_DEP_3)
	v_dual_add_f32 v9, v9, v13 :: v_dual_add_f32 v11, v11, v51
	v_dual_mul_f32 v19, v194, v123 :: v_dual_mul_f32 v21, v196, v125
	s_wait_loadcnt_dscnt 0xa05
	v_dual_mul_f32 v13, v205, v133 :: v_dual_fma_f32 v51, v192, v120, -v55
	v_dual_fmac_f32 v17, v193, v120 :: v_dual_add_f32 v11, v11, v49
	s_delay_alu instid0(VALU_DEP_3) | instskip(SKIP_1) | instid1(VALU_DEP_2)
	v_dual_add_f32 v9, v9, v15 :: v_dual_fmac_f32 v19, v195, v122
	v_dual_mul_f32 v15, v207, v135 :: v_dual_fma_f32 v49, v194, v122, -v57
	v_dual_add_f32 v11, v11, v51 :: v_dual_add_f32 v9, v9, v17
	v_dual_mul_f32 v23, v198, v127 :: v_dual_mul_f32 v25, v200, v129
	s_wait_loadcnt_dscnt 0x904
	v_dual_mul_f32 v17, v209, v137 :: v_dual_fma_f32 v51, v196, v124, -v59
	s_delay_alu instid0(VALU_DEP_3) | instskip(NEXT) | instid1(VALU_DEP_3)
	v_dual_fmac_f32 v21, v197, v124 :: v_dual_add_f32 v11, v11, v49
	v_dual_add_f32 v9, v9, v19 :: v_dual_fmac_f32 v23, v199, v126
	v_dual_mul_f32 v19, v211, v139 :: v_dual_fma_f32 v49, v198, v126, -v61
	s_delay_alu instid0(VALU_DEP_2) | instskip(SKIP_3) | instid1(VALU_DEP_3)
	v_dual_add_f32 v11, v11, v51 :: v_dual_add_f32 v9, v9, v21
	v_dual_mul_f32 v27, v202, v131 :: v_dual_mul_f32 v29, v204, v133
	s_wait_loadcnt_dscnt 0x803
	v_dual_mul_f32 v21, v213, v141 :: v_dual_fma_f32 v51, v200, v128, -v63
	v_dual_fmac_f32 v25, v201, v128 :: v_dual_add_f32 v11, v11, v49
	s_delay_alu instid0(VALU_DEP_3) | instskip(SKIP_1) | instid1(VALU_DEP_2)
	v_dual_add_f32 v9, v9, v23 :: v_dual_fmac_f32 v27, v203, v130
	v_dual_mul_f32 v23, v215, v143 :: v_dual_fma_f32 v47, v202, v130, -v47
	v_dual_add_f32 v11, v11, v51 :: v_dual_add_f32 v9, v9, v25
	v_dual_mul_f32 v31, v206, v135 :: v_dual_mul_f32 v33, v208, v137
	s_wait_loadcnt_dscnt 0x702
	v_dual_mul_f32 v25, v217, v145 :: v_dual_fma_f32 v13, v204, v132, -v13
	s_delay_alu instid0(VALU_DEP_3) | instskip(NEXT) | instid1(VALU_DEP_3)
	v_dual_fmac_f32 v29, v205, v132 :: v_dual_add_f32 v11, v11, v47
	v_dual_add_f32 v9, v9, v27 :: v_dual_fmac_f32 v31, v207, v134
	v_dual_mul_f32 v27, v219, v147 :: v_dual_fma_f32 v15, v206, v134, -v15
	s_delay_alu instid0(VALU_DEP_3) | instskip(NEXT) | instid1(VALU_DEP_3)
	v_dual_add_f32 v11, v11, v13 :: v_dual_fmac_f32 v33, v209, v136
	v_dual_add_f32 v9, v9, v29 :: v_dual_fma_f32 v17, v208, v136, -v17
	v_dual_mul_f32 v35, v210, v139 :: v_dual_mul_f32 v37, v212, v141
	s_wait_loadcnt_dscnt 0x601
	s_delay_alu instid0(VALU_DEP_3) | instskip(NEXT) | instid1(VALU_DEP_2)
	v_dual_mul_f32 v13, v221, v149 :: v_dual_add_f32 v11, v11, v15
	v_dual_add_f32 v9, v9, v31 :: v_dual_fmac_f32 v35, v211, v138
	v_dual_mul_f32 v15, v223, v151 :: v_dual_fma_f32 v19, v210, v138, -v19
	s_delay_alu instid0(VALU_DEP_3) | instskip(NEXT) | instid1(VALU_DEP_3)
	v_dual_add_f32 v11, v11, v17 :: v_dual_fmac_f32 v37, v213, v140
	v_dual_add_f32 v9, v9, v33 :: v_dual_fma_f32 v21, v212, v140, -v21
	v_dual_mul_f32 v39, v214, v143 :: v_dual_mul_f32 v41, v216, v145
	s_wait_loadcnt 0x5
	s_delay_alu instid0(VALU_DEP_3) | instskip(NEXT) | instid1(VALU_DEP_3)
	v_dual_mul_f32 v17, v169, v153 :: v_dual_add_f32 v11, v11, v19
	v_dual_add_f32 v9, v9, v35 :: v_dual_mov_b32 v112, v155
	s_delay_alu instid0(VALU_DEP_3) | instskip(NEXT) | instid1(VALU_DEP_3)
	v_fmac_f32_e32 v39, v215, v142
	v_dual_fma_f32 v19, v214, v142, -v23 :: v_dual_add_f32 v11, v11, v21
	s_delay_alu instid0(VALU_DEP_3) | instskip(SKIP_1) | instid1(VALU_DEP_3)
	v_dual_add_f32 v9, v9, v37 :: v_dual_mul_f32 v43, v218, v147
	v_dual_mul_f32 v45, v220, v149 :: v_dual_fmac_f32 v41, v217, v144
	v_dual_add_f32 v11, v11, v19 :: v_dual_fma_f32 v21, v216, v144, -v25
	s_wait_loadcnt 0x4
	s_delay_alu instid0(VALU_DEP_3) | instskip(SKIP_3) | instid1(VALU_DEP_4)
	v_dual_add_f32 v9, v9, v39 :: v_dual_mov_b32 v116, v159
	v_fma_f32 v19, v218, v146, -v27
	v_fmac_f32_e32 v43, v219, v146
	v_dual_add_f32 v11, v11, v21 :: v_dual_fmac_f32 v45, v221, v148
	v_dual_add_f32 v9, v9, v41 :: v_dual_mul_f32 v239, v222, v151
	v_mul_f32_e32 v241, v168, v153
	s_delay_alu instid0(VALU_DEP_3) | instskip(NEXT) | instid1(VALU_DEP_3)
	v_dual_fma_f32 v13, v220, v148, -v13 :: v_dual_add_f32 v11, v11, v19
	v_dual_fma_f32 v238, v222, v150, -v15 :: v_dual_add_f32 v9, v9, v43
	s_delay_alu instid0(VALU_DEP_4) | instskip(SKIP_1) | instid1(VALU_DEP_4)
	v_fmac_f32_e32 v239, v223, v150
	v_pk_mul_f32 v[112:113], v[230:231], v[112:113] op_sel_hi:[1,0]
	v_dual_add_f32 v120, v11, v13 :: v_dual_fmac_f32 v241, v169, v152
	s_delay_alu instid0(VALU_DEP_4)
	v_add_f32_e32 v121, v9, v45
	v_pk_mul_f32 v[114:115], v[172:173], v[156:157] op_sel:[1,1] op_sel_hi:[0,1]
	s_wait_loadcnt 0x3
	v_dual_mov_b32 v122, v163 :: v_dual_fma_f32 v240, v168, v152, -v17
	v_pk_fma_f32 v[124:125], v[170:171], v[154:155], v[112:113] op_sel_hi:[1,0,1]
	v_pk_add_f32 v[120:121], v[120:121], v[238:239]
	v_pk_fma_f32 v[112:113], v[170:171], v[154:155], v[112:113] neg_lo:[0,0,1] neg_hi:[0,0,1]
	v_pk_fma_f32 v[126:127], v[172:173], v[156:157], v[114:115] op_sel_hi:[1,0,1]
	v_pk_mul_f32 v[116:117], v[232:233], v[116:117] op_sel_hi:[1,0]
	v_mov_b32_e32 v113, v125
	v_pk_add_f32 v[120:121], v[120:121], v[240:241]
	v_pk_fma_f32 v[114:115], v[172:173], v[156:157], v[114:115] neg_lo:[0,0,1] neg_hi:[0,0,1]
	v_pk_mul_f32 v[118:119], v[176:177], v[160:161] op_sel:[1,1] op_sel_hi:[0,1]
	v_mov_b32_e32 v115, v127
	v_pk_fma_f32 v[126:127], v[174:175], v[158:159], v[116:117] op_sel_hi:[1,0,1]
	v_pk_add_f32 v[112:113], v[120:121], v[112:113]
	v_pk_fma_f32 v[116:117], v[174:175], v[158:159], v[116:117] neg_lo:[0,0,1] neg_hi:[0,0,1]
	v_pk_fma_f32 v[120:121], v[176:177], v[160:161], v[118:119] op_sel_hi:[1,0,1]
	v_pk_mul_f32 v[122:123], v[234:235], v[122:123] op_sel_hi:[1,0]
	v_mov_b32_e32 v117, v127
	v_pk_add_f32 v[112:113], v[112:113], v[114:115]
	v_pk_fma_f32 v[118:119], v[176:177], v[160:161], v[118:119] neg_lo:[0,0,1] neg_hi:[0,0,1]
	s_wait_loadcnt 0x2
	v_pk_mul_f32 v[124:125], v[180:181], v[164:165] op_sel:[1,1] op_sel_hi:[0,1]
	v_dual_mov_b32 v114, v167 :: v_dual_mov_b32 v119, v121
	v_pk_fma_f32 v[120:121], v[178:179], v[162:163], v[122:123] op_sel_hi:[1,0,1]
	v_pk_add_f32 v[112:113], v[112:113], v[116:117]
	v_pk_fma_f32 v[122:123], v[178:179], v[162:163], v[122:123] neg_lo:[0,0,1] neg_hi:[0,0,1]
	v_pk_fma_f32 v[116:117], v[180:181], v[164:165], v[124:125] op_sel_hi:[1,0,1]
	v_pk_mul_f32 v[114:115], v[236:237], v[114:115] op_sel_hi:[1,0]
	v_mov_b32_e32 v123, v121
	v_pk_add_f32 v[112:113], v[112:113], v[118:119]
	v_pk_fma_f32 v[118:119], v[180:181], v[164:165], v[124:125] neg_lo:[0,0,1] neg_hi:[0,0,1]
	v_mov_b32_e32 v119, v117
	v_pk_fma_f32 v[116:117], v[182:183], v[166:167], v[114:115] op_sel_hi:[1,0,1]
	s_wait_loadcnt_dscnt 0x100
	v_pk_mul_f32 v[120:121], v[228:229], v[224:225] op_sel:[1,1] op_sel_hi:[0,1]
	v_pk_add_f32 v[112:113], v[112:113], v[122:123]
	v_pk_fma_f32 v[114:115], v[182:183], v[166:167], v[114:115] neg_lo:[0,0,1] neg_hi:[0,0,1]
	v_mov_b32_e32 v115, v117
	s_delay_alu instid0(VALU_DEP_4) | instskip(NEXT) | instid1(VALU_DEP_4)
	v_pk_fma_f32 v[116:117], v[228:229], v[224:225], v[120:121] op_sel_hi:[1,0,1]
	v_pk_add_f32 v[112:113], v[112:113], v[118:119]
	v_pk_fma_f32 v[118:119], v[228:229], v[224:225], v[120:121] neg_lo:[0,0,1] neg_hi:[0,0,1]
	s_delay_alu instid0(VALU_DEP_3) | instskip(NEXT) | instid1(VALU_DEP_3)
	v_mov_b32_e32 v119, v117
	v_pk_add_f32 v[112:113], v[112:113], v[114:115]
	s_delay_alu instid0(VALU_DEP_1) | instskip(SKIP_1) | instid1(VALU_DEP_1)
	v_pk_add_f32 v[112:113], v[112:113], v[118:119]
	s_wait_loadcnt 0x0
	v_pk_add_f32 v[112:113], v[226:227], v[112:113] neg_lo:[0,1] neg_hi:[0,1]
	scratch_store_b64 off, v[112:113], off offset:200
	s_wait_xcnt 0x0
	v_cmpx_lt_u32_e32 24, v0
	s_cbranch_execz .LBB54_295
; %bb.294:
	scratch_load_b64 v[112:113], off, off offset:192
	v_mov_b64_e32 v[114:115], 0
	scratch_store_b64 off, v[114:115], off offset:192
	s_wait_loadcnt 0x0
	ds_store_b64 v1, v[112:113]
.LBB54_295:
	s_wait_xcnt 0x0
	s_or_b32 exec_lo, exec_lo, s0
	s_wait_storecnt_dscnt 0x0
	s_barrier_signal -1
	s_barrier_wait -1
	s_clause 0xf
	scratch_load_b128 v[112:115], off, off offset:200
	scratch_load_b128 v[116:119], off, off offset:216
	;; [unrolled: 1-line block ×15, first 2 shown]
	scratch_load_b64 v[232:233], off, off offset:192
	ds_load_2addr_b64 v[172:175], v5 offset0:103 offset1:104
	ds_load_2addr_b64 v[176:179], v5 offset0:105 offset1:106
	;; [unrolled: 1-line block ×15, first 2 shown]
	s_mov_b32 s0, exec_lo
	s_wait_dscnt 0xe
	v_dual_mov_b32 v234, v175 :: v_dual_mov_b32 v235, v174
	s_wait_dscnt 0xd
	v_dual_mov_b32 v236, v179 :: v_dual_mov_b32 v237, v178
	;; [unrolled: 2-line block ×4, first 2 shown]
	s_wait_loadcnt_dscnt 0xf0a
	v_dual_mul_f32 v5, v188, v113 :: v_dual_mul_f32 v9, v190, v115
	v_dual_mul_f32 v47, v189, v113 :: v_dual_mul_f32 v49, v191, v115
	s_wait_loadcnt_dscnt 0xe09
	v_dual_mul_f32 v11, v192, v117 :: v_dual_mul_f32 v13, v194, v119
	s_delay_alu instid0(VALU_DEP_2) | instskip(SKIP_3) | instid1(VALU_DEP_3)
	v_dual_fmac_f32 v5, v189, v112 :: v_dual_fma_f32 v47, v188, v112, -v47
	v_dual_mul_f32 v51, v193, v117 :: v_dual_mul_f32 v53, v195, v119
	s_wait_loadcnt_dscnt 0xc06
	v_dual_mul_f32 v59, v205, v125 :: v_dual_fmac_f32 v9, v191, v114
	v_dual_fma_f32 v49, v190, v114, -v49 :: v_dual_add_f32 v5, 0, v5
	v_dual_add_f32 v47, 0, v47 :: v_dual_fmac_f32 v11, v193, v116
	v_dual_mul_f32 v61, v207, v127 :: v_dual_fma_f32 v51, v192, v116, -v51
	s_delay_alu instid0(VALU_DEP_3) | instskip(NEXT) | instid1(VALU_DEP_3)
	v_dual_add_f32 v5, v5, v9 :: v_dual_fmac_f32 v13, v195, v118
	v_dual_add_f32 v9, v47, v49 :: v_dual_fma_f32 v49, v194, v118, -v53
	v_dual_mul_f32 v15, v200, v121 :: v_dual_mul_f32 v17, v202, v123
	v_dual_mul_f32 v55, v201, v121 :: v_dual_mul_f32 v57, v203, v123
	s_delay_alu instid0(VALU_DEP_3) | instskip(NEXT) | instid1(VALU_DEP_3)
	v_add_f32_e32 v9, v9, v51
	v_dual_add_f32 v5, v5, v11 :: v_dual_fmac_f32 v17, v203, v122
	s_wait_loadcnt_dscnt 0xb05
	s_delay_alu instid0(VALU_DEP_3) | instskip(NEXT) | instid1(VALU_DEP_3)
	v_dual_fma_f32 v51, v200, v120, -v55 :: v_dual_mul_f32 v47, v209, v129
	v_dual_mul_f32 v11, v211, v131 :: v_dual_add_f32 v9, v9, v49
	v_dual_fmac_f32 v15, v201, v120 :: v_dual_fma_f32 v49, v202, v122, -v57
	v_add_f32_e32 v5, v5, v13
	v_dual_mul_f32 v19, v204, v125 :: v_dual_mul_f32 v21, v206, v127
	s_delay_alu instid0(VALU_DEP_4) | instskip(NEXT) | instid1(VALU_DEP_3)
	v_dual_add_f32 v9, v9, v51 :: v_dual_fma_f32 v47, v208, v128, -v47
	v_dual_add_f32 v5, v5, v15 :: v_dual_fma_f32 v51, v204, v124, -v59
	v_dual_mul_f32 v23, v208, v129 :: v_dual_mul_f32 v25, v210, v131
	s_delay_alu instid0(VALU_DEP_3) | instskip(SKIP_2) | instid1(VALU_DEP_3)
	v_dual_add_f32 v9, v9, v49 :: v_dual_fma_f32 v11, v210, v130, -v11
	s_wait_loadcnt_dscnt 0xa04
	v_dual_mul_f32 v27, v212, v133 :: v_dual_mul_f32 v29, v214, v135
	v_dual_fmac_f32 v19, v205, v124 :: v_dual_fmac_f32 v25, v211, v130
	v_dual_fma_f32 v49, v206, v126, -v61 :: v_dual_add_f32 v5, v5, v17
	s_delay_alu instid0(VALU_DEP_3)
	v_dual_add_f32 v9, v9, v51 :: v_dual_fmac_f32 v29, v215, v134
	s_wait_loadcnt_dscnt 0x903
	v_dual_mul_f32 v31, v216, v137 :: v_dual_mul_f32 v33, v218, v139
	v_dual_mul_f32 v13, v213, v133 :: v_dual_fmac_f32 v21, v207, v126
	v_mul_f32_e32 v17, v217, v137
	v_add_f32_e32 v5, v5, v19
	v_dual_add_f32 v9, v9, v49 :: v_dual_mul_f32 v15, v215, v135
	s_delay_alu instid0(VALU_DEP_4) | instskip(NEXT) | instid1(VALU_DEP_3)
	v_fma_f32 v13, v212, v132, -v13
	v_dual_fmac_f32 v33, v219, v138 :: v_dual_add_f32 v5, v5, v21
	s_wait_loadcnt_dscnt 0x802
	v_mul_f32_e32 v21, v221, v141
	s_wait_loadcnt_dscnt 0x701
	v_dual_add_f32 v9, v9, v47 :: v_dual_mul_f32 v39, v224, v145
	v_dual_mul_f32 v41, v226, v147 :: v_dual_fmac_f32 v23, v209, v128
	s_delay_alu instid0(VALU_DEP_2) | instskip(SKIP_1) | instid1(VALU_DEP_3)
	v_dual_fma_f32 v21, v220, v140, -v21 :: v_dual_add_f32 v9, v9, v11
	v_dual_fma_f32 v15, v214, v134, -v15 :: v_dual_mul_f32 v19, v219, v139
	v_dual_fmac_f32 v41, v227, v146 :: v_dual_mul_f32 v35, v220, v141
	s_delay_alu instid0(VALU_DEP_3) | instskip(SKIP_1) | instid1(VALU_DEP_4)
	v_dual_mul_f32 v37, v222, v143 :: v_dual_add_f32 v9, v9, v13
	v_mul_f32_e32 v13, v227, v147
	v_dual_add_f32 v5, v5, v23 :: v_dual_fma_f32 v19, v218, v138, -v19
	v_dual_mul_f32 v23, v223, v143 :: v_dual_fma_f32 v17, v216, v136, -v17
	s_wait_loadcnt 0x5
	v_dual_add_f32 v9, v9, v15 :: v_dual_mul_f32 v243, v196, v153
	v_dual_mul_f32 v245, v198, v155 :: v_dual_fmac_f32 v27, v213, v132
	v_dual_add_f32 v5, v5, v25 :: v_dual_fmac_f32 v37, v223, v142
	s_delay_alu instid0(VALU_DEP_3)
	v_add_f32_e32 v9, v9, v17
	s_wait_loadcnt 0x4
	v_pk_mul_f32 v[112:113], v[172:173], v[156:157] op_sel:[1,1] op_sel_hi:[0,1]
	s_wait_dscnt 0x0
	v_dual_mul_f32 v11, v225, v145 :: v_dual_mul_f32 v17, v231, v151
	v_dual_fmac_f32 v245, v199, v154 :: v_dual_add_f32 v9, v9, v19
	s_delay_alu instid0(VALU_DEP_3) | instskip(SKIP_2) | instid1(VALU_DEP_4)
	v_pk_fma_f32 v[122:123], v[172:173], v[156:157], v[112:113] op_sel_hi:[1,0,1]
	v_dual_fmac_f32 v31, v217, v136 :: v_dual_fma_f32 v13, v226, v146, -v13
	v_dual_mul_f32 v43, v228, v149 :: v_dual_mul_f32 v45, v230, v151
	v_dual_add_f32 v9, v9, v21 :: v_dual_mul_f32 v21, v199, v155
	v_dual_add_f32 v5, v5, v27 :: v_dual_fma_f32 v11, v224, v144, -v11
	v_dual_mov_b32 v114, v159 :: v_dual_fmac_f32 v35, v221, v140
	s_wait_loadcnt 0x3
	s_delay_alu instid0(VALU_DEP_2) | instskip(SKIP_2) | instid1(VALU_DEP_3)
	v_dual_mov_b32 v118, v163 :: v_dual_add_f32 v5, v5, v29
	v_dual_mul_f32 v19, v197, v153 :: v_dual_fmac_f32 v243, v197, v152
	v_fmac_f32_e32 v45, v231, v150
	v_dual_fma_f32 v23, v222, v142, -v23 :: v_dual_add_f32 v5, v5, v31
	v_pk_mul_f32 v[116:117], v[176:177], v[160:161] op_sel:[1,1] op_sel_hi:[0,1]
	s_delay_alu instid0(VALU_DEP_4) | instskip(SKIP_4) | instid1(VALU_DEP_4)
	v_fma_f32 v242, v196, v152, -v19
	v_pk_mul_f32 v[114:115], v[234:235], v[114:115] op_sel_hi:[1,0]
	v_pk_fma_f32 v[112:113], v[172:173], v[156:157], v[112:113] neg_lo:[0,0,1] neg_hi:[0,0,1]
	v_dual_add_f32 v5, v5, v33 :: v_dual_fma_f32 v244, v198, v154, -v21
	v_mov_b32_e32 v113, v123
	v_pk_fma_f32 v[122:123], v[174:175], v[158:159], v[114:115] op_sel_hi:[1,0,1]
	v_fmac_f32_e32 v39, v225, v144
	s_delay_alu instid0(VALU_DEP_4)
	v_add_f32_e32 v5, v5, v35
	v_pk_fma_f32 v[126:127], v[176:177], v[160:161], v[116:117] op_sel_hi:[1,0,1]
	v_add_f32_e32 v9, v9, v23
	v_pk_mul_f32 v[118:119], v[236:237], v[118:119] op_sel_hi:[1,0]
	v_pk_fma_f32 v[114:115], v[174:175], v[158:159], v[114:115] neg_lo:[0,0,1] neg_hi:[0,0,1]
	v_add_f32_e32 v5, v5, v37
	v_pk_fma_f32 v[116:117], v[176:177], v[160:161], v[116:117] neg_lo:[0,0,1] neg_hi:[0,0,1]
	v_dual_mul_f32 v15, v229, v149 :: v_dual_fmac_f32 v43, v229, v148
	v_dual_mov_b32 v115, v123 :: v_dual_mov_b32 v117, v127
	v_add_f32_e32 v9, v9, v11
	v_pk_fma_f32 v[122:123], v[178:179], v[162:163], v[118:119] op_sel_hi:[1,0,1]
	v_add_f32_e32 v5, v5, v39
	v_pk_fma_f32 v[118:119], v[178:179], v[162:163], v[118:119] neg_lo:[0,0,1] neg_hi:[0,0,1]
	s_delay_alu instid0(VALU_DEP_4) | instskip(NEXT) | instid1(VALU_DEP_3)
	v_dual_fma_f32 v11, v228, v148, -v15 :: v_dual_add_f32 v9, v9, v13
	v_dual_mov_b32 v119, v123 :: v_dual_add_f32 v5, v5, v41
	v_fma_f32 v13, v230, v150, -v17
	s_wait_loadcnt 0x2
	v_pk_mul_f32 v[124:125], v[180:181], v[164:165] op_sel:[1,1] op_sel_hi:[0,1]
	v_add_f32_e32 v9, v9, v11
	v_add_f32_e32 v5, v5, v43
	s_delay_alu instid0(VALU_DEP_3) | instskip(NEXT) | instid1(VALU_DEP_3)
	v_pk_fma_f32 v[122:123], v[180:181], v[164:165], v[124:125] neg_lo:[0,0,1] neg_hi:[0,0,1]
	v_add_f32_e32 v120, v9, v13
	s_delay_alu instid0(VALU_DEP_3) | instskip(NEXT) | instid1(VALU_DEP_1)
	v_add_f32_e32 v121, v5, v45
	v_pk_add_f32 v[120:121], v[120:121], v[242:243]
	s_delay_alu instid0(VALU_DEP_1) | instskip(NEXT) | instid1(VALU_DEP_1)
	v_pk_add_f32 v[120:121], v[120:121], v[244:245]
	v_pk_add_f32 v[112:113], v[120:121], v[112:113]
	v_mov_b32_e32 v120, v167
	s_delay_alu instid0(VALU_DEP_2) | instskip(SKIP_1) | instid1(VALU_DEP_3)
	v_pk_add_f32 v[112:113], v[112:113], v[114:115]
	v_pk_fma_f32 v[114:115], v[180:181], v[164:165], v[124:125] op_sel_hi:[1,0,1]
	v_pk_mul_f32 v[120:121], v[238:239], v[120:121] op_sel_hi:[1,0]
	s_delay_alu instid0(VALU_DEP_3) | instskip(NEXT) | instid1(VALU_DEP_3)
	v_pk_add_f32 v[112:113], v[112:113], v[116:117]
	v_mov_b32_e32 v123, v115
	s_delay_alu instid0(VALU_DEP_3)
	v_pk_fma_f32 v[114:115], v[182:183], v[166:167], v[120:121] op_sel_hi:[1,0,1]
	s_wait_loadcnt 0x1
	v_pk_mul_f32 v[116:117], v[184:185], v[168:169] op_sel:[1,1] op_sel_hi:[0,1]
	v_mov_b32_e32 v114, v171
	v_pk_add_f32 v[112:113], v[112:113], v[118:119]
	v_pk_fma_f32 v[120:121], v[182:183], v[166:167], v[120:121] neg_lo:[0,0,1] neg_hi:[0,0,1]
	v_mov_b32_e32 v121, v115
	v_pk_fma_f32 v[118:119], v[184:185], v[168:169], v[116:117] op_sel_hi:[1,0,1]
	v_pk_mul_f32 v[114:115], v[240:241], v[114:115] op_sel_hi:[1,0]
	v_pk_add_f32 v[112:113], v[112:113], v[122:123]
	v_pk_fma_f32 v[116:117], v[184:185], v[168:169], v[116:117] neg_lo:[0,0,1] neg_hi:[0,0,1]
	s_delay_alu instid0(VALU_DEP_4) | instskip(NEXT) | instid1(VALU_DEP_4)
	v_mov_b32_e32 v117, v119
	v_pk_fma_f32 v[118:119], v[186:187], v[170:171], v[114:115] op_sel_hi:[1,0,1]
	s_delay_alu instid0(VALU_DEP_4) | instskip(SKIP_1) | instid1(VALU_DEP_3)
	v_pk_add_f32 v[112:113], v[112:113], v[120:121]
	v_pk_fma_f32 v[114:115], v[186:187], v[170:171], v[114:115] neg_lo:[0,0,1] neg_hi:[0,0,1]
	v_mov_b32_e32 v115, v119
	s_delay_alu instid0(VALU_DEP_3) | instskip(NEXT) | instid1(VALU_DEP_1)
	v_pk_add_f32 v[112:113], v[112:113], v[116:117]
	v_pk_add_f32 v[112:113], v[112:113], v[114:115]
	s_wait_loadcnt 0x0
	s_delay_alu instid0(VALU_DEP_1)
	v_pk_add_f32 v[112:113], v[232:233], v[112:113] neg_lo:[0,1] neg_hi:[0,1]
	scratch_store_b64 off, v[112:113], off offset:192
	s_wait_xcnt 0x0
	v_cmpx_lt_u32_e32 23, v0
	s_cbranch_execz .LBB54_297
; %bb.296:
	scratch_load_b64 v[112:113], off, off offset:184
	v_mov_b64_e32 v[114:115], 0
	scratch_store_b64 off, v[114:115], off offset:184
	s_wait_loadcnt 0x0
	ds_store_b64 v1, v[112:113]
.LBB54_297:
	s_wait_xcnt 0x0
	s_or_b32 exec_lo, exec_lo, s0
	s_wait_storecnt_dscnt 0x0
	s_barrier_signal -1
	s_barrier_wait -1
	s_clause 0x10
	scratch_load_b128 v[112:115], off, off offset:192
	scratch_load_b128 v[116:119], off, off offset:208
	;; [unrolled: 1-line block ×15, first 2 shown]
	scratch_load_b64 v[232:233], off, off offset:432
	scratch_load_b64 v[234:235], off, off offset:184
	v_mov_b32_e32 v5, 0
	ds_load_b128 v[172:175], v5 offset:816
	ds_load_b128 v[176:179], v5 offset:832
	ds_load_b128 v[180:183], v5 offset:848
	ds_load_b128 v[184:187], v5 offset:864
	ds_load_b128 v[188:191], v5 offset:640
	ds_load_b128 v[192:195], v5 offset:800
	ds_load_b128 v[196:199], v5 offset:656
	ds_load_b128 v[200:203], v5 offset:672
	ds_load_b128 v[204:207], v5 offset:688
	ds_load_b128 v[208:211], v5 offset:704
	ds_load_b128 v[212:215], v5 offset:720
	ds_load_b128 v[216:219], v5 offset:736
	ds_load_b128 v[220:223], v5 offset:752
	ds_load_b128 v[224:227], v5 offset:768
	ds_load_b128 v[228:231], v5 offset:784
	ds_load_b64 v[236:237], v5 offset:880
	s_mov_b32 s0, exec_lo
	s_wait_dscnt 0xf
	v_dual_mov_b32 v238, v175 :: v_dual_mov_b32 v239, v174
	s_wait_dscnt 0xc
	v_dual_mov_b32 v240, v179 :: v_dual_mov_b32 v245, v186
	v_dual_mov_b32 v241, v178 :: v_dual_mov_b32 v242, v183
	;; [unrolled: 1-line block ×3, first 2 shown]
	s_wait_loadcnt_dscnt 0x100b
	v_dual_mul_f32 v9, v188, v113 :: v_dual_mul_f32 v51, v189, v113
	v_dual_mul_f32 v53, v191, v115 :: v_dual_mul_f32 v11, v190, v115
	s_wait_loadcnt_dscnt 0xf09
	v_mul_f32_e32 v13, v196, v117
	s_wait_loadcnt_dscnt 0xd07
	v_dual_mul_f32 v63, v205, v125 :: v_dual_fma_f32 v51, v188, v112, -v51
	v_dual_fmac_f32 v9, v189, v112 :: v_dual_mul_f32 v65, v207, v127
	v_dual_mul_f32 v55, v197, v117 :: v_dual_mul_f32 v57, v199, v119
	v_dual_fmac_f32 v11, v191, v114 :: v_dual_fma_f32 v53, v190, v114, -v53
	s_delay_alu instid0(VALU_DEP_3) | instskip(SKIP_4) | instid1(VALU_DEP_3)
	v_dual_add_f32 v9, 0, v9 :: v_dual_add_f32 v51, 0, v51
	v_dual_mul_f32 v15, v198, v119 :: v_dual_mul_f32 v17, v200, v121
	s_wait_loadcnt_dscnt 0xc06
	v_dual_mul_f32 v67, v209, v129 :: v_dual_fma_f32 v55, v196, v116, -v55
	v_fmac_f32_e32 v13, v197, v116
	v_dual_add_f32 v9, v9, v11 :: v_dual_fmac_f32 v15, v199, v118
	v_add_f32_e32 v11, v51, v53
	v_dual_mul_f32 v59, v201, v121 :: v_dual_mul_f32 v61, v203, v123
	v_dual_mul_f32 v51, v211, v131 :: v_dual_fma_f32 v53, v198, v118, -v57
	s_delay_alu instid0(VALU_DEP_3) | instskip(SKIP_3) | instid1(VALU_DEP_3)
	v_dual_add_f32 v9, v9, v13 :: v_dual_add_f32 v11, v11, v55
	v_dual_mul_f32 v19, v202, v123 :: v_dual_mul_f32 v21, v204, v125
	s_wait_loadcnt_dscnt 0xb05
	v_dual_mul_f32 v13, v213, v133 :: v_dual_fma_f32 v55, v200, v120, -v59
	v_dual_fmac_f32 v17, v201, v120 :: v_dual_add_f32 v11, v11, v53
	s_delay_alu instid0(VALU_DEP_3) | instskip(SKIP_1) | instid1(VALU_DEP_2)
	v_dual_add_f32 v9, v9, v15 :: v_dual_fmac_f32 v19, v203, v122
	v_dual_mul_f32 v15, v215, v135 :: v_dual_fma_f32 v53, v202, v122, -v61
	v_dual_add_f32 v11, v11, v55 :: v_dual_add_f32 v9, v9, v17
	v_dual_mul_f32 v23, v206, v127 :: v_dual_mul_f32 v25, v208, v129
	s_wait_loadcnt_dscnt 0xa04
	v_dual_mul_f32 v17, v217, v137 :: v_dual_fma_f32 v55, v204, v124, -v63
	s_delay_alu instid0(VALU_DEP_3) | instskip(NEXT) | instid1(VALU_DEP_3)
	v_dual_fmac_f32 v21, v205, v124 :: v_dual_add_f32 v11, v11, v53
	v_dual_add_f32 v9, v9, v19 :: v_dual_fmac_f32 v23, v207, v126
	v_dual_mul_f32 v19, v219, v139 :: v_dual_fma_f32 v53, v206, v126, -v65
	s_delay_alu instid0(VALU_DEP_2) | instskip(SKIP_3) | instid1(VALU_DEP_3)
	v_dual_add_f32 v11, v11, v55 :: v_dual_add_f32 v9, v9, v21
	v_dual_mul_f32 v27, v210, v131 :: v_dual_mul_f32 v29, v212, v133
	s_wait_loadcnt_dscnt 0x903
	v_dual_mul_f32 v21, v221, v141 :: v_dual_fma_f32 v55, v208, v128, -v67
	v_dual_fmac_f32 v25, v209, v128 :: v_dual_add_f32 v11, v11, v53
	s_delay_alu instid0(VALU_DEP_3) | instskip(SKIP_1) | instid1(VALU_DEP_2)
	v_dual_add_f32 v9, v9, v23 :: v_dual_fmac_f32 v27, v211, v130
	v_dual_mul_f32 v23, v223, v143 :: v_dual_fma_f32 v51, v210, v130, -v51
	v_dual_add_f32 v11, v11, v55 :: v_dual_add_f32 v9, v9, v25
	v_dual_mul_f32 v31, v214, v135 :: v_dual_mul_f32 v33, v216, v137
	s_wait_loadcnt_dscnt 0x802
	v_dual_mul_f32 v25, v225, v145 :: v_dual_fma_f32 v13, v212, v132, -v13
	s_delay_alu instid0(VALU_DEP_3) | instskip(NEXT) | instid1(VALU_DEP_3)
	v_dual_fmac_f32 v29, v213, v132 :: v_dual_add_f32 v11, v11, v51
	v_dual_add_f32 v9, v9, v27 :: v_dual_fmac_f32 v31, v215, v134
	v_dual_mul_f32 v27, v227, v147 :: v_dual_fma_f32 v15, v214, v134, -v15
	s_delay_alu instid0(VALU_DEP_3) | instskip(NEXT) | instid1(VALU_DEP_3)
	v_dual_add_f32 v11, v11, v13 :: v_dual_fmac_f32 v33, v217, v136
	v_dual_add_f32 v9, v9, v29 :: v_dual_fma_f32 v17, v216, v136, -v17
	v_dual_mul_f32 v35, v218, v139 :: v_dual_mul_f32 v37, v220, v141
	s_wait_loadcnt_dscnt 0x701
	s_delay_alu instid0(VALU_DEP_3) | instskip(NEXT) | instid1(VALU_DEP_2)
	v_dual_mul_f32 v13, v229, v149 :: v_dual_add_f32 v11, v11, v15
	v_dual_add_f32 v9, v9, v31 :: v_dual_fmac_f32 v35, v219, v138
	v_dual_mul_f32 v15, v231, v151 :: v_dual_fma_f32 v19, v218, v138, -v19
	s_delay_alu instid0(VALU_DEP_3) | instskip(NEXT) | instid1(VALU_DEP_3)
	v_dual_add_f32 v11, v11, v17 :: v_dual_fmac_f32 v37, v221, v140
	v_dual_add_f32 v9, v9, v33 :: v_dual_fma_f32 v21, v220, v140, -v21
	v_dual_mul_f32 v39, v222, v143 :: v_dual_mul_f32 v41, v224, v145
	s_wait_loadcnt 0x6
	s_delay_alu instid0(VALU_DEP_3) | instskip(NEXT) | instid1(VALU_DEP_2)
	v_dual_mul_f32 v17, v193, v153 :: v_dual_add_f32 v11, v11, v19
	v_dual_add_f32 v9, v9, v35 :: v_dual_fmac_f32 v39, v223, v142
	v_dual_mul_f32 v19, v195, v155 :: v_dual_fma_f32 v23, v222, v142, -v23
	s_delay_alu instid0(VALU_DEP_3) | instskip(NEXT) | instid1(VALU_DEP_3)
	v_dual_add_f32 v11, v11, v21 :: v_dual_fmac_f32 v41, v225, v144
	v_dual_add_f32 v9, v9, v37 :: v_dual_fma_f32 v25, v224, v144, -v25
	v_dual_mul_f32 v43, v226, v147 :: v_dual_mul_f32 v45, v228, v149
	s_wait_loadcnt 0x5
	s_delay_alu instid0(VALU_DEP_3) | instskip(NEXT) | instid1(VALU_DEP_3)
	v_dual_mul_f32 v21, v173, v157 :: v_dual_add_f32 v11, v11, v23
	v_dual_add_f32 v9, v9, v39 :: v_dual_mov_b32 v112, v159
	s_delay_alu instid0(VALU_DEP_3) | instskip(NEXT) | instid1(VALU_DEP_3)
	v_fmac_f32_e32 v43, v227, v146
	v_dual_fma_f32 v23, v226, v146, -v27 :: v_dual_add_f32 v11, v11, v25
	s_delay_alu instid0(VALU_DEP_3) | instskip(SKIP_1) | instid1(VALU_DEP_3)
	v_dual_add_f32 v9, v9, v41 :: v_dual_mul_f32 v47, v230, v151
	v_dual_mul_f32 v49, v192, v153 :: v_dual_fmac_f32 v45, v229, v148
	v_dual_add_f32 v11, v11, v23 :: v_dual_fma_f32 v13, v228, v148, -v13
	s_wait_loadcnt 0x4
	s_delay_alu instid0(VALU_DEP_3) | instskip(SKIP_3) | instid1(VALU_DEP_4)
	v_dual_add_f32 v9, v9, v43 :: v_dual_mov_b32 v116, v163
	v_fma_f32 v15, v230, v150, -v15
	v_fmac_f32_e32 v47, v231, v150
	v_dual_add_f32 v11, v11, v13 :: v_dual_fmac_f32 v49, v193, v152
	v_dual_add_f32 v9, v9, v45 :: v_dual_mul_f32 v247, v194, v155
	v_mul_f32_e32 v249, v172, v157
	s_delay_alu instid0(VALU_DEP_3) | instskip(NEXT) | instid1(VALU_DEP_3)
	v_dual_fma_f32 v13, v192, v152, -v17 :: v_dual_add_f32 v11, v11, v15
	v_dual_fma_f32 v246, v194, v154, -v19 :: v_dual_add_f32 v9, v9, v47
	s_delay_alu instid0(VALU_DEP_4) | instskip(SKIP_1) | instid1(VALU_DEP_4)
	v_fmac_f32_e32 v247, v195, v154
	v_pk_mul_f32 v[112:113], v[238:239], v[112:113] op_sel_hi:[1,0]
	v_dual_add_f32 v120, v11, v13 :: v_dual_fmac_f32 v249, v173, v156
	s_delay_alu instid0(VALU_DEP_4)
	v_add_f32_e32 v121, v9, v49
	v_pk_mul_f32 v[114:115], v[176:177], v[160:161] op_sel:[1,1] op_sel_hi:[0,1]
	s_wait_loadcnt 0x3
	v_dual_mov_b32 v122, v167 :: v_dual_fma_f32 v248, v172, v156, -v21
	v_pk_fma_f32 v[124:125], v[174:175], v[158:159], v[112:113] op_sel_hi:[1,0,1]
	v_pk_add_f32 v[120:121], v[120:121], v[246:247]
	v_pk_fma_f32 v[112:113], v[174:175], v[158:159], v[112:113] neg_lo:[0,0,1] neg_hi:[0,0,1]
	v_pk_fma_f32 v[126:127], v[176:177], v[160:161], v[114:115] op_sel_hi:[1,0,1]
	v_pk_mul_f32 v[116:117], v[240:241], v[116:117] op_sel_hi:[1,0]
	v_mov_b32_e32 v113, v125
	v_pk_add_f32 v[120:121], v[120:121], v[248:249]
	v_pk_fma_f32 v[114:115], v[176:177], v[160:161], v[114:115] neg_lo:[0,0,1] neg_hi:[0,0,1]
	v_pk_mul_f32 v[118:119], v[180:181], v[164:165] op_sel:[1,1] op_sel_hi:[0,1]
	v_mov_b32_e32 v115, v127
	v_pk_fma_f32 v[126:127], v[178:179], v[162:163], v[116:117] op_sel_hi:[1,0,1]
	v_pk_add_f32 v[112:113], v[120:121], v[112:113]
	v_pk_fma_f32 v[116:117], v[178:179], v[162:163], v[116:117] neg_lo:[0,0,1] neg_hi:[0,0,1]
	v_pk_fma_f32 v[120:121], v[180:181], v[164:165], v[118:119] op_sel_hi:[1,0,1]
	v_pk_mul_f32 v[122:123], v[242:243], v[122:123] op_sel_hi:[1,0]
	v_mov_b32_e32 v117, v127
	v_pk_add_f32 v[112:113], v[112:113], v[114:115]
	v_pk_fma_f32 v[118:119], v[180:181], v[164:165], v[118:119] neg_lo:[0,0,1] neg_hi:[0,0,1]
	s_wait_loadcnt 0x2
	v_pk_mul_f32 v[124:125], v[184:185], v[168:169] op_sel:[1,1] op_sel_hi:[0,1]
	v_dual_mov_b32 v114, v171 :: v_dual_mov_b32 v119, v121
	v_pk_fma_f32 v[120:121], v[182:183], v[166:167], v[122:123] op_sel_hi:[1,0,1]
	v_pk_add_f32 v[112:113], v[112:113], v[116:117]
	v_pk_fma_f32 v[122:123], v[182:183], v[166:167], v[122:123] neg_lo:[0,0,1] neg_hi:[0,0,1]
	v_pk_fma_f32 v[116:117], v[184:185], v[168:169], v[124:125] op_sel_hi:[1,0,1]
	v_pk_mul_f32 v[114:115], v[244:245], v[114:115] op_sel_hi:[1,0]
	v_mov_b32_e32 v123, v121
	v_pk_add_f32 v[112:113], v[112:113], v[118:119]
	v_pk_fma_f32 v[118:119], v[184:185], v[168:169], v[124:125] neg_lo:[0,0,1] neg_hi:[0,0,1]
	v_mov_b32_e32 v119, v117
	v_pk_fma_f32 v[116:117], v[186:187], v[170:171], v[114:115] op_sel_hi:[1,0,1]
	s_wait_loadcnt_dscnt 0x100
	v_pk_mul_f32 v[120:121], v[236:237], v[232:233] op_sel:[1,1] op_sel_hi:[0,1]
	v_pk_add_f32 v[112:113], v[112:113], v[122:123]
	v_pk_fma_f32 v[114:115], v[186:187], v[170:171], v[114:115] neg_lo:[0,0,1] neg_hi:[0,0,1]
	v_mov_b32_e32 v115, v117
	s_delay_alu instid0(VALU_DEP_4) | instskip(NEXT) | instid1(VALU_DEP_4)
	v_pk_fma_f32 v[116:117], v[236:237], v[232:233], v[120:121] op_sel_hi:[1,0,1]
	v_pk_add_f32 v[112:113], v[112:113], v[118:119]
	v_pk_fma_f32 v[118:119], v[236:237], v[232:233], v[120:121] neg_lo:[0,0,1] neg_hi:[0,0,1]
	s_delay_alu instid0(VALU_DEP_3) | instskip(NEXT) | instid1(VALU_DEP_3)
	v_mov_b32_e32 v119, v117
	v_pk_add_f32 v[112:113], v[112:113], v[114:115]
	s_delay_alu instid0(VALU_DEP_1) | instskip(SKIP_1) | instid1(VALU_DEP_1)
	v_pk_add_f32 v[112:113], v[112:113], v[118:119]
	s_wait_loadcnt 0x0
	v_pk_add_f32 v[112:113], v[234:235], v[112:113] neg_lo:[0,1] neg_hi:[0,1]
	scratch_store_b64 off, v[112:113], off offset:184
	s_wait_xcnt 0x0
	v_cmpx_lt_u32_e32 22, v0
	s_cbranch_execz .LBB54_299
; %bb.298:
	scratch_load_b64 v[112:113], off, off offset:176
	v_mov_b64_e32 v[114:115], 0
	scratch_store_b64 off, v[114:115], off offset:176
	s_wait_loadcnt 0x0
	ds_store_b64 v1, v[112:113]
.LBB54_299:
	s_wait_xcnt 0x0
	s_or_b32 exec_lo, exec_lo, s0
	s_wait_storecnt_dscnt 0x0
	s_barrier_signal -1
	s_barrier_wait -1
	s_clause 0x10
	scratch_load_b128 v[112:115], off, off offset:184
	scratch_load_b128 v[116:119], off, off offset:200
	;; [unrolled: 1-line block ×16, first 2 shown]
	scratch_load_b64 v[240:241], off, off offset:176
	ds_load_2addr_b64 v[176:179], v5 offset0:103 offset1:104
	ds_load_2addr_b64 v[180:183], v5 offset0:105 offset1:106
	;; [unrolled: 1-line block ×16, first 2 shown]
	s_mov_b32 s0, exec_lo
	s_wait_dscnt 0xf
	v_dual_mov_b32 v242, v179 :: v_dual_mov_b32 v243, v178
	s_wait_dscnt 0xe
	v_dual_mov_b32 v244, v183 :: v_dual_mov_b32 v245, v182
	;; [unrolled: 2-line block ×4, first 2 shown]
	s_wait_loadcnt_dscnt 0x100b
	v_dual_mul_f32 v5, v192, v113 :: v_dual_mul_f32 v9, v194, v115
	v_dual_mul_f32 v51, v193, v113 :: v_dual_mul_f32 v53, v195, v115
	s_wait_loadcnt_dscnt 0xf0a
	v_dual_mul_f32 v11, v196, v117 :: v_dual_mul_f32 v13, v198, v119
	s_delay_alu instid0(VALU_DEP_2) | instskip(SKIP_3) | instid1(VALU_DEP_3)
	v_dual_fmac_f32 v5, v193, v112 :: v_dual_fma_f32 v51, v192, v112, -v51
	v_dual_mul_f32 v55, v197, v117 :: v_dual_mul_f32 v57, v199, v119
	s_wait_loadcnt_dscnt 0xd08
	v_dual_mul_f32 v63, v205, v125 :: v_dual_fmac_f32 v9, v195, v114
	v_dual_fma_f32 v53, v194, v114, -v53 :: v_dual_add_f32 v5, 0, v5
	v_dual_add_f32 v51, 0, v51 :: v_dual_fmac_f32 v11, v197, v116
	v_dual_mul_f32 v65, v207, v127 :: v_dual_fma_f32 v55, v196, v116, -v55
	s_delay_alu instid0(VALU_DEP_3) | instskip(NEXT) | instid1(VALU_DEP_3)
	v_dual_add_f32 v5, v5, v9 :: v_dual_fmac_f32 v13, v199, v118
	v_dual_add_f32 v9, v51, v53 :: v_dual_fma_f32 v53, v198, v118, -v57
	v_dual_mul_f32 v15, v200, v121 :: v_dual_mul_f32 v17, v202, v123
	v_dual_mul_f32 v59, v201, v121 :: v_dual_mul_f32 v61, v203, v123
	s_delay_alu instid0(VALU_DEP_3) | instskip(NEXT) | instid1(VALU_DEP_3)
	v_add_f32_e32 v9, v9, v55
	v_dual_add_f32 v5, v5, v11 :: v_dual_fmac_f32 v17, v203, v122
	s_wait_loadcnt_dscnt 0xc07
	s_delay_alu instid0(VALU_DEP_3) | instskip(NEXT) | instid1(VALU_DEP_3)
	v_dual_fma_f32 v55, v200, v120, -v59 :: v_dual_mul_f32 v51, v209, v129
	v_dual_mul_f32 v11, v211, v131 :: v_dual_add_f32 v9, v9, v53
	v_dual_fmac_f32 v15, v201, v120 :: v_dual_fma_f32 v53, v202, v122, -v61
	v_add_f32_e32 v5, v5, v13
	v_dual_mul_f32 v19, v204, v125 :: v_dual_mul_f32 v21, v206, v127
	s_delay_alu instid0(VALU_DEP_4) | instskip(NEXT) | instid1(VALU_DEP_3)
	v_dual_add_f32 v9, v9, v55 :: v_dual_fma_f32 v51, v208, v128, -v51
	v_dual_add_f32 v5, v5, v15 :: v_dual_fma_f32 v55, v204, v124, -v63
	v_dual_mul_f32 v23, v208, v129 :: v_dual_mul_f32 v25, v210, v131
	s_delay_alu instid0(VALU_DEP_3) | instskip(SKIP_2) | instid1(VALU_DEP_3)
	v_dual_add_f32 v9, v9, v53 :: v_dual_fma_f32 v11, v210, v130, -v11
	s_wait_loadcnt_dscnt 0xb06
	v_dual_mul_f32 v27, v212, v133 :: v_dual_mul_f32 v29, v214, v135
	v_dual_fmac_f32 v19, v205, v124 :: v_dual_fmac_f32 v25, v211, v130
	v_dual_fma_f32 v53, v206, v126, -v65 :: v_dual_add_f32 v5, v5, v17
	s_delay_alu instid0(VALU_DEP_3)
	v_dual_add_f32 v9, v9, v55 :: v_dual_fmac_f32 v29, v215, v134
	s_wait_loadcnt_dscnt 0xa05
	v_dual_mul_f32 v31, v216, v137 :: v_dual_mul_f32 v33, v218, v139
	v_dual_mul_f32 v13, v213, v133 :: v_dual_fmac_f32 v21, v207, v126
	v_mul_f32_e32 v17, v217, v137
	v_add_f32_e32 v5, v5, v19
	v_dual_add_f32 v9, v9, v53 :: v_dual_mul_f32 v15, v215, v135
	s_delay_alu instid0(VALU_DEP_4) | instskip(NEXT) | instid1(VALU_DEP_3)
	v_fma_f32 v13, v212, v132, -v13
	v_dual_fmac_f32 v33, v219, v138 :: v_dual_add_f32 v5, v5, v21
	s_wait_loadcnt_dscnt 0x904
	v_mul_f32_e32 v21, v221, v141
	s_wait_loadcnt_dscnt 0x803
	v_dual_add_f32 v9, v9, v51 :: v_dual_mul_f32 v39, v224, v145
	v_dual_mul_f32 v41, v226, v147 :: v_dual_fmac_f32 v23, v209, v128
	s_delay_alu instid0(VALU_DEP_2) | instskip(SKIP_3) | instid1(VALU_DEP_3)
	v_dual_fma_f32 v21, v220, v140, -v21 :: v_dual_add_f32 v9, v9, v11
	s_wait_loadcnt_dscnt 0x702
	v_dual_fma_f32 v15, v214, v134, -v15 :: v_dual_mul_f32 v43, v228, v149
	v_mul_f32_e32 v45, v230, v151
	v_dual_mul_f32 v19, v219, v139 :: v_dual_add_f32 v9, v9, v13
	v_dual_fmac_f32 v41, v227, v146 :: v_dual_mul_f32 v13, v227, v147
	s_delay_alu instid0(VALU_DEP_2) | instskip(SKIP_1) | instid1(VALU_DEP_4)
	v_dual_add_f32 v5, v5, v23 :: v_dual_fma_f32 v19, v218, v138, -v19
	v_dual_mul_f32 v23, v223, v143 :: v_dual_fma_f32 v17, v216, v136, -v17
	v_add_f32_e32 v9, v9, v15
	v_dual_mul_f32 v15, v229, v149 :: v_dual_fmac_f32 v43, v229, v148
	v_dual_mul_f32 v35, v220, v141 :: v_dual_mul_f32 v37, v222, v143
	s_wait_loadcnt_dscnt 0x601
	v_dual_mul_f32 v47, v232, v153 :: v_dual_mul_f32 v49, v234, v155
	s_delay_alu instid0(VALU_DEP_3) | instskip(SKIP_2) | instid1(VALU_DEP_3)
	v_dual_fma_f32 v15, v228, v148, -v15 :: v_dual_add_f32 v9, v9, v17
	v_dual_fmac_f32 v27, v213, v132 :: v_dual_mul_f32 v17, v231, v151
	v_dual_add_f32 v5, v5, v25 :: v_dual_fmac_f32 v37, v223, v142
	v_dual_add_f32 v9, v9, v19 :: v_dual_fmac_f32 v49, v235, v154
	v_dual_mul_f32 v11, v225, v145 :: v_dual_fma_f32 v23, v222, v142, -v23
	v_dual_fmac_f32 v31, v217, v136 :: v_dual_fma_f32 v13, v226, v146, -v13
	s_wait_loadcnt 0x3
	s_delay_alu instid0(VALU_DEP_3) | instskip(SKIP_2) | instid1(VALU_DEP_3)
	v_dual_add_f32 v9, v9, v21 :: v_dual_mov_b32 v118, v167
	v_mul_f32_e32 v21, v235, v155
	v_dual_add_f32 v5, v5, v27 :: v_dual_fma_f32 v11, v224, v144, -v11
	v_add_f32_e32 v9, v9, v23
	v_pk_mul_f32 v[116:117], v[180:181], v[164:165] op_sel:[1,1] op_sel_hi:[0,1]
	v_dual_fmac_f32 v35, v221, v140 :: v_dual_mov_b32 v114, v163
	s_delay_alu instid0(VALU_DEP_4) | instskip(NEXT) | instid1(VALU_DEP_4)
	v_add_f32_e32 v5, v5, v29
	v_add_f32_e32 v9, v9, v11
	s_wait_dscnt 0x0
	v_dual_mul_f32 v11, v239, v159 :: v_dual_mul_f32 v19, v233, v153
	v_fmac_f32_e32 v47, v233, v152
	v_dual_add_f32 v5, v5, v31 :: v_dual_fmac_f32 v45, v231, v150
	v_pk_fma_f32 v[126:127], v[180:181], v[164:165], v[116:117] op_sel_hi:[1,0,1]
	v_add_f32_e32 v9, v9, v13
	v_pk_fma_f32 v[116:117], v[180:181], v[164:165], v[116:117] neg_lo:[0,0,1] neg_hi:[0,0,1]
	s_delay_alu instid0(VALU_DEP_4) | instskip(SKIP_3) | instid1(VALU_DEP_4)
	v_add_f32_e32 v5, v5, v33
	v_dual_mul_f32 v251, v236, v157 :: v_dual_mul_f32 v253, v238, v159
	v_dual_fma_f32 v13, v230, v150, -v17 :: v_dual_mov_b32 v117, v127
	v_dual_add_f32 v9, v9, v15 :: v_dual_fma_f32 v15, v232, v152, -v19
	v_add_f32_e32 v5, v5, v35
	s_delay_alu instid0(VALU_DEP_4) | instskip(SKIP_3) | instid1(VALU_DEP_3)
	v_dual_fmac_f32 v39, v225, v144 :: v_dual_fmac_f32 v253, v239, v158
	v_dual_mul_f32 v23, v237, v157 :: v_dual_fmac_f32 v251, v237, v156
	v_pk_mul_f32 v[112:113], v[176:177], v[160:161] op_sel:[1,1] op_sel_hi:[0,1]
	v_dual_add_f32 v9, v9, v13 :: v_dual_fma_f32 v13, v234, v154, -v21
	v_dual_add_f32 v5, v5, v37 :: v_dual_fma_f32 v250, v236, v156, -v23
	s_delay_alu instid0(VALU_DEP_3) | instskip(SKIP_2) | instid1(VALU_DEP_4)
	v_pk_fma_f32 v[122:123], v[176:177], v[160:161], v[112:113] op_sel_hi:[1,0,1]
	v_pk_mul_f32 v[114:115], v[242:243], v[114:115] op_sel_hi:[1,0]
	v_pk_fma_f32 v[112:113], v[176:177], v[160:161], v[112:113] neg_lo:[0,0,1] neg_hi:[0,0,1]
	v_add_f32_e32 v5, v5, v39
	v_pk_mul_f32 v[118:119], v[244:245], v[118:119] op_sel_hi:[1,0]
	v_mov_b32_e32 v113, v123
	v_pk_fma_f32 v[122:123], v[178:179], v[162:163], v[114:115] op_sel_hi:[1,0,1]
	v_pk_fma_f32 v[114:115], v[178:179], v[162:163], v[114:115] neg_lo:[0,0,1] neg_hi:[0,0,1]
	v_add_f32_e32 v5, v5, v41
	v_dual_add_f32 v9, v9, v15 :: v_dual_fma_f32 v252, v238, v158, -v11
	s_delay_alu instid0(VALU_DEP_4) | instskip(SKIP_1) | instid1(VALU_DEP_4)
	v_mov_b32_e32 v115, v123
	v_pk_fma_f32 v[122:123], v[182:183], v[166:167], v[118:119] op_sel_hi:[1,0,1]
	v_add_f32_e32 v5, v5, v43
	v_pk_fma_f32 v[118:119], v[182:183], v[166:167], v[118:119] neg_lo:[0,0,1] neg_hi:[0,0,1]
	v_add_f32_e32 v120, v9, v13
	s_wait_loadcnt 0x2
	v_pk_mul_f32 v[124:125], v[184:185], v[168:169] op_sel:[1,1] op_sel_hi:[0,1]
	v_dual_mov_b32 v119, v123 :: v_dual_add_f32 v5, v5, v45
	s_delay_alu instid0(VALU_DEP_2) | instskip(NEXT) | instid1(VALU_DEP_2)
	v_pk_fma_f32 v[122:123], v[184:185], v[168:169], v[124:125] neg_lo:[0,0,1] neg_hi:[0,0,1]
	v_add_f32_e32 v5, v5, v47
	s_delay_alu instid0(VALU_DEP_1) | instskip(NEXT) | instid1(VALU_DEP_1)
	v_add_f32_e32 v121, v5, v49
	v_pk_add_f32 v[120:121], v[120:121], v[250:251]
	s_delay_alu instid0(VALU_DEP_1) | instskip(NEXT) | instid1(VALU_DEP_1)
	v_pk_add_f32 v[120:121], v[120:121], v[252:253]
	v_pk_add_f32 v[112:113], v[120:121], v[112:113]
	v_mov_b32_e32 v120, v171
	s_delay_alu instid0(VALU_DEP_2) | instskip(SKIP_1) | instid1(VALU_DEP_3)
	v_pk_add_f32 v[112:113], v[112:113], v[114:115]
	v_pk_fma_f32 v[114:115], v[184:185], v[168:169], v[124:125] op_sel_hi:[1,0,1]
	v_pk_mul_f32 v[120:121], v[246:247], v[120:121] op_sel_hi:[1,0]
	s_delay_alu instid0(VALU_DEP_3) | instskip(NEXT) | instid1(VALU_DEP_3)
	v_pk_add_f32 v[112:113], v[112:113], v[116:117]
	v_mov_b32_e32 v123, v115
	s_delay_alu instid0(VALU_DEP_3)
	v_pk_fma_f32 v[114:115], v[186:187], v[170:171], v[120:121] op_sel_hi:[1,0,1]
	s_wait_loadcnt 0x1
	v_pk_mul_f32 v[116:117], v[188:189], v[172:173] op_sel:[1,1] op_sel_hi:[0,1]
	v_mov_b32_e32 v114, v175
	v_pk_add_f32 v[112:113], v[112:113], v[118:119]
	v_pk_fma_f32 v[120:121], v[186:187], v[170:171], v[120:121] neg_lo:[0,0,1] neg_hi:[0,0,1]
	v_mov_b32_e32 v121, v115
	v_pk_fma_f32 v[118:119], v[188:189], v[172:173], v[116:117] op_sel_hi:[1,0,1]
	v_pk_mul_f32 v[114:115], v[248:249], v[114:115] op_sel_hi:[1,0]
	v_pk_add_f32 v[112:113], v[112:113], v[122:123]
	v_pk_fma_f32 v[116:117], v[188:189], v[172:173], v[116:117] neg_lo:[0,0,1] neg_hi:[0,0,1]
	s_delay_alu instid0(VALU_DEP_4) | instskip(NEXT) | instid1(VALU_DEP_4)
	v_mov_b32_e32 v117, v119
	v_pk_fma_f32 v[118:119], v[190:191], v[174:175], v[114:115] op_sel_hi:[1,0,1]
	s_delay_alu instid0(VALU_DEP_4) | instskip(SKIP_1) | instid1(VALU_DEP_3)
	v_pk_add_f32 v[112:113], v[112:113], v[120:121]
	v_pk_fma_f32 v[114:115], v[190:191], v[174:175], v[114:115] neg_lo:[0,0,1] neg_hi:[0,0,1]
	v_mov_b32_e32 v115, v119
	s_delay_alu instid0(VALU_DEP_3) | instskip(NEXT) | instid1(VALU_DEP_1)
	v_pk_add_f32 v[112:113], v[112:113], v[116:117]
	v_pk_add_f32 v[112:113], v[112:113], v[114:115]
	s_wait_loadcnt 0x0
	s_delay_alu instid0(VALU_DEP_1)
	v_pk_add_f32 v[112:113], v[240:241], v[112:113] neg_lo:[0,1] neg_hi:[0,1]
	scratch_store_b64 off, v[112:113], off offset:176
	s_wait_xcnt 0x0
	v_cmpx_lt_u32_e32 21, v0
	s_cbranch_execz .LBB54_301
; %bb.300:
	scratch_load_b64 v[112:113], off, off offset:168
	v_mov_b64_e32 v[114:115], 0
	scratch_store_b64 off, v[114:115], off offset:168
	s_wait_loadcnt 0x0
	ds_store_b64 v1, v[112:113]
.LBB54_301:
	s_wait_xcnt 0x0
	s_or_b32 exec_lo, exec_lo, s0
	s_wait_storecnt_dscnt 0x0
	s_barrier_signal -1
	s_barrier_wait -1
	s_clause 0x11
	scratch_load_b128 v[112:115], off, off offset:176
	scratch_load_b128 v[116:119], off, off offset:192
	;; [unrolled: 1-line block ×16, first 2 shown]
	scratch_load_b64 v[240:241], off, off offset:432
	scratch_load_b64 v[242:243], off, off offset:168
	v_mov_b32_e32 v5, 0
	ds_load_b128 v[176:179], v5 offset:816
	ds_load_b128 v[180:183], v5 offset:832
	;; [unrolled: 1-line block ×16, first 2 shown]
	ds_load_b64 v[244:245], v5 offset:880
	s_mov_b32 s0, exec_lo
	s_wait_dscnt 0x10
	v_dual_mov_b32 v246, v179 :: v_dual_mov_b32 v247, v178
	s_wait_dscnt 0xd
	v_dual_mov_b32 v248, v183 :: v_dual_mov_b32 v253, v190
	v_dual_mov_b32 v249, v182 :: v_dual_mov_b32 v250, v187
	;; [unrolled: 1-line block ×3, first 2 shown]
	s_wait_loadcnt_dscnt 0x110c
	v_dual_mul_f32 v9, v192, v113 :: v_dual_mul_f32 v11, v194, v115
	s_wait_loadcnt_dscnt 0x100b
	v_dual_mul_f32 v13, v196, v117 :: v_dual_mul_f32 v57, v195, v115
	;; [unrolled: 2-line block ×3, first 2 shown]
	v_dual_mul_f32 v15, v198, v119 :: v_dual_mul_f32 v17, v200, v121
	v_dual_mul_f32 v55, v193, v113 :: v_dual_fmac_f32 v9, v193, v112
	v_fma_f32 v57, v194, v114, -v57
	s_wait_loadcnt_dscnt 0x601
	v_mul_f32_e32 v255, v238, v159
	v_dual_mul_f32 v61, v199, v119 :: v_dual_mul_f32 v63, v201, v121
	v_fma_f32 v55, v192, v112, -v55
	v_dual_fmac_f32 v11, v195, v114 :: v_dual_add_f32 v9, 0, v9
	v_mul_f32_e32 v71, v209, v129
	v_dual_fmac_f32 v13, v197, v116 :: v_dual_fma_f32 v59, v196, v116, -v59
	s_delay_alu instid0(VALU_DEP_4) | instskip(NEXT) | instid1(VALU_DEP_4)
	v_add_f32_e32 v55, 0, v55
	v_add_f32_e32 v9, v9, v11
	v_dual_mul_f32 v19, v202, v123 :: v_dual_mul_f32 v21, v204, v125
	v_dual_mul_f32 v65, v203, v123 :: v_dual_mul_f32 v67, v205, v125
	s_delay_alu instid0(VALU_DEP_4) | instskip(SKIP_2) | instid1(VALU_DEP_3)
	v_add_f32_e32 v11, v55, v57
	v_dual_mul_f32 v55, v211, v131 :: v_dual_fma_f32 v57, v198, v118, -v61
	v_dual_fmac_f32 v15, v199, v118 :: v_dual_add_f32 v9, v9, v13
	v_dual_add_f32 v11, v11, v59 :: v_dual_mul_f32 v13, v213, v133
	v_dual_fmac_f32 v17, v201, v120 :: v_dual_fma_f32 v59, v200, v120, -v63
	s_delay_alu instid0(VALU_DEP_2) | instskip(SKIP_1) | instid1(VALU_DEP_2)
	v_dual_add_f32 v9, v9, v15 :: v_dual_add_f32 v11, v11, v57
	v_dual_mul_f32 v15, v215, v135 :: v_dual_fma_f32 v57, v202, v122, -v65
	v_dual_fmac_f32 v19, v203, v122 :: v_dual_add_f32 v9, v9, v17
	s_delay_alu instid0(VALU_DEP_3) | instskip(SKIP_2) | instid1(VALU_DEP_3)
	v_dual_add_f32 v11, v11, v59 :: v_dual_mul_f32 v17, v217, v137
	v_dual_mul_f32 v23, v206, v127 :: v_dual_mul_f32 v25, v208, v129
	v_dual_fmac_f32 v21, v205, v124 :: v_dual_fma_f32 v59, v204, v124, -v67
	v_dual_add_f32 v9, v9, v19 :: v_dual_add_f32 v11, v11, v57
	v_dual_mul_f32 v19, v219, v139 :: v_dual_fma_f32 v57, v206, v126, -v69
	s_delay_alu instid0(VALU_DEP_2) | instskip(NEXT) | instid1(VALU_DEP_3)
	v_dual_fmac_f32 v23, v207, v126 :: v_dual_add_f32 v9, v9, v21
	v_dual_add_f32 v11, v11, v59 :: v_dual_mul_f32 v21, v221, v141
	v_dual_mul_f32 v27, v210, v131 :: v_dual_mul_f32 v29, v212, v133
	v_dual_fmac_f32 v25, v209, v128 :: v_dual_fma_f32 v59, v208, v128, -v71
	s_delay_alu instid0(VALU_DEP_3) | instskip(SKIP_1) | instid1(VALU_DEP_2)
	v_dual_add_f32 v9, v9, v23 :: v_dual_add_f32 v11, v11, v57
	v_dual_mul_f32 v23, v223, v143 :: v_dual_fma_f32 v55, v210, v130, -v55
	v_dual_fmac_f32 v27, v211, v130 :: v_dual_add_f32 v9, v9, v25
	s_delay_alu instid0(VALU_DEP_3) | instskip(SKIP_1) | instid1(VALU_DEP_2)
	v_dual_add_f32 v11, v11, v59 :: v_dual_mul_f32 v25, v225, v145
	v_dual_mul_f32 v31, v214, v135 :: v_dual_mul_f32 v33, v216, v137
	v_dual_fmac_f32 v29, v213, v132 :: v_dual_add_f32 v11, v11, v55
	s_delay_alu instid0(VALU_DEP_4) | instskip(SKIP_1) | instid1(VALU_DEP_4)
	v_dual_fma_f32 v13, v212, v132, -v13 :: v_dual_add_f32 v9, v9, v27
	v_dual_mul_f32 v27, v227, v147 :: v_dual_fma_f32 v15, v214, v134, -v15
	v_fmac_f32_e32 v31, v215, v134
	s_delay_alu instid0(VALU_DEP_3) | instskip(NEXT) | instid1(VALU_DEP_4)
	v_dual_add_f32 v11, v11, v13 :: v_dual_fmac_f32 v33, v217, v136
	v_dual_add_f32 v9, v9, v29 :: v_dual_mul_f32 v35, v218, v139
	v_mul_f32_e32 v37, v220, v141
	v_dual_mul_f32 v13, v229, v149 :: v_dual_fma_f32 v17, v216, v136, -v17
	s_delay_alu instid0(VALU_DEP_3) | instskip(SKIP_1) | instid1(VALU_DEP_2)
	v_dual_add_f32 v9, v9, v31 :: v_dual_fmac_f32 v35, v219, v138
	v_dual_add_f32 v11, v11, v15 :: v_dual_fma_f32 v19, v218, v138, -v19
	v_dual_mul_f32 v15, v231, v151 :: v_dual_add_f32 v9, v9, v33
	v_dual_mul_f32 v39, v222, v143 :: v_dual_mul_f32 v41, v224, v145
	s_delay_alu instid0(VALU_DEP_3) | instskip(SKIP_1) | instid1(VALU_DEP_3)
	v_dual_add_f32 v11, v11, v17 :: v_dual_fmac_f32 v37, v221, v140
	v_dual_mul_f32 v17, v233, v153 :: v_dual_fma_f32 v21, v220, v140, -v21
	v_dual_add_f32 v9, v9, v35 :: v_dual_fmac_f32 v39, v223, v142
	s_delay_alu instid0(VALU_DEP_3) | instskip(NEXT) | instid1(VALU_DEP_2)
	v_dual_add_f32 v11, v11, v19 :: v_dual_fma_f32 v23, v222, v142, -v23
	v_dual_mul_f32 v19, v235, v155 :: v_dual_add_f32 v9, v9, v37
	v_dual_mul_f32 v43, v226, v147 :: v_dual_mul_f32 v45, v228, v149
	s_delay_alu instid0(VALU_DEP_3) | instskip(SKIP_1) | instid1(VALU_DEP_3)
	v_dual_add_f32 v11, v11, v21 :: v_dual_fmac_f32 v41, v225, v144
	v_dual_mul_f32 v21, v237, v157 :: v_dual_fma_f32 v25, v224, v144, -v25
	v_dual_add_f32 v9, v9, v39 :: v_dual_fmac_f32 v43, v227, v146
	s_delay_alu instid0(VALU_DEP_3) | instskip(NEXT) | instid1(VALU_DEP_2)
	v_dual_add_f32 v11, v11, v23 :: v_dual_fma_f32 v27, v226, v146, -v27
	v_dual_mul_f32 v23, v239, v159 :: v_dual_add_f32 v9, v9, v41
	v_dual_mul_f32 v47, v230, v151 :: v_dual_mul_f32 v49, v232, v153
	s_delay_alu instid0(VALU_DEP_3) | instskip(SKIP_3) | instid1(VALU_DEP_3)
	v_dual_add_f32 v11, v11, v25 :: v_dual_fmac_f32 v45, v229, v148
	s_wait_loadcnt 0x5
	v_dual_mul_f32 v25, v177, v161 :: v_dual_fma_f32 v13, v228, v148, -v13
	v_dual_add_f32 v9, v9, v43 :: v_dual_mov_b32 v112, v163
	v_dual_add_f32 v11, v11, v27 :: v_dual_fma_f32 v15, v230, v150, -v15
	s_delay_alu instid0(VALU_DEP_2) | instskip(SKIP_1) | instid1(VALU_DEP_3)
	v_dual_fmac_f32 v47, v231, v150 :: v_dual_add_f32 v9, v9, v45
	v_dual_mul_f32 v51, v234, v155 :: v_dual_mul_f32 v53, v236, v157
	v_dual_add_f32 v11, v11, v13 :: v_dual_fmac_f32 v49, v233, v152
	s_delay_alu instid0(VALU_DEP_3) | instskip(SKIP_2) | instid1(VALU_DEP_3)
	v_dual_fma_f32 v13, v232, v152, -v17 :: v_dual_add_f32 v9, v9, v47
	s_wait_loadcnt 0x4
	v_mov_b32_e32 v116, v167
	v_dual_add_f32 v11, v11, v15 :: v_dual_fma_f32 v15, v234, v154, -v19
	v_dual_fmac_f32 v51, v235, v154 :: v_dual_fmac_f32 v53, v237, v156
	v_add_f32_e32 v9, v9, v49
	s_delay_alu instid0(VALU_DEP_3)
	v_dual_add_f32 v11, v11, v13 :: v_dual_fma_f32 v13, v236, v156, -v21
	v_pk_mul_f32 v[112:113], v[246:247], v[112:113] op_sel_hi:[1,0]
	s_set_vgpr_msb 64                       ;  msbs: dst=1 src0=0 src1=0 src2=0
	v_dual_mul_f32 v1 /*v257*/, v176, v161 :: v_dual_fma_f32 v0 /*v256*/, v176, v160, -v25
	s_set_vgpr_msb 0                        ;  msbs: dst=0 src0=0 src1=0 src2=0
	v_dual_add_f32 v9, v9, v51 :: v_dual_fmac_f32 v255, v239, v158
	v_dual_add_f32 v11, v11, v15 :: v_dual_fma_f32 v254, v238, v158, -v23
	v_pk_fma_f32 v[124:125], v[178:179], v[162:163], v[112:113] op_sel_hi:[1,0,1]
	s_wait_loadcnt 0x3
	s_delay_alu instid0(VALU_DEP_3) | instskip(NEXT) | instid1(VALU_DEP_3)
	v_dual_add_f32 v121, v9, v53 :: v_dual_mov_b32 v122, v171
	v_add_f32_e32 v120, v11, v13
	v_pk_fma_f32 v[112:113], v[178:179], v[162:163], v[112:113] neg_lo:[0,0,1] neg_hi:[0,0,1]
	v_pk_mul_f32 v[114:115], v[180:181], v[164:165] op_sel:[1,1] op_sel_hi:[0,1]
	s_set_vgpr_msb 64                       ;  msbs: dst=1 src0=0 src1=0 src2=0
	v_fmac_f32_e32 v1 /*v257*/, v177, v160
	s_set_vgpr_msb 0                        ;  msbs: dst=0 src0=0 src1=0 src2=0
	v_mov_b32_e32 v113, v125
	v_pk_add_f32 v[120:121], v[120:121], v[254:255]
	v_pk_mul_f32 v[116:117], v[248:249], v[116:117] op_sel_hi:[1,0]
	v_pk_fma_f32 v[126:127], v[180:181], v[164:165], v[114:115] op_sel_hi:[1,0,1]
	v_pk_fma_f32 v[114:115], v[180:181], v[164:165], v[114:115] neg_lo:[0,0,1] neg_hi:[0,0,1]
	v_pk_mul_f32 v[118:119], v[184:185], v[168:169] op_sel:[1,1] op_sel_hi:[0,1]
	s_set_vgpr_msb 4                        ;  msbs: dst=0 src0=0 src1=1 src2=0
	v_pk_add_f32 v[120:121], v[120:121], v[0:1] /*v[256:257]*/
	s_set_vgpr_msb 0                        ;  msbs: dst=0 src0=0 src1=0 src2=0
	v_pk_mul_f32 v[122:123], v[250:251], v[122:123] op_sel_hi:[1,0]
	v_mov_b32_e32 v115, v127
	v_pk_fma_f32 v[126:127], v[182:183], v[166:167], v[116:117] op_sel_hi:[1,0,1]
	v_pk_fma_f32 v[116:117], v[182:183], v[166:167], v[116:117] neg_lo:[0,0,1] neg_hi:[0,0,1]
	v_pk_add_f32 v[112:113], v[120:121], v[112:113]
	v_pk_fma_f32 v[120:121], v[184:185], v[168:169], v[118:119] op_sel_hi:[1,0,1]
	v_pk_fma_f32 v[118:119], v[184:185], v[168:169], v[118:119] neg_lo:[0,0,1] neg_hi:[0,0,1]
	v_mov_b32_e32 v117, v127
	s_wait_loadcnt 0x2
	v_pk_mul_f32 v[124:125], v[188:189], v[172:173] op_sel:[1,1] op_sel_hi:[0,1]
	v_pk_add_f32 v[112:113], v[112:113], v[114:115]
	v_dual_mov_b32 v114, v175 :: v_dual_mov_b32 v119, v121
	v_pk_fma_f32 v[120:121], v[186:187], v[170:171], v[122:123] op_sel_hi:[1,0,1]
	v_pk_fma_f32 v[122:123], v[186:187], v[170:171], v[122:123] neg_lo:[0,0,1] neg_hi:[0,0,1]
	s_delay_alu instid0(VALU_DEP_4)
	v_pk_add_f32 v[112:113], v[112:113], v[116:117]
	v_pk_fma_f32 v[116:117], v[188:189], v[172:173], v[124:125] op_sel_hi:[1,0,1]
	v_pk_mul_f32 v[114:115], v[252:253], v[114:115] op_sel_hi:[1,0]
	v_mov_b32_e32 v123, v121
	s_wait_loadcnt_dscnt 0x100
	v_pk_mul_f32 v[120:121], v[244:245], v[240:241] op_sel:[1,1] op_sel_hi:[0,1]
	v_pk_add_f32 v[112:113], v[112:113], v[118:119]
	v_pk_fma_f32 v[118:119], v[188:189], v[172:173], v[124:125] neg_lo:[0,0,1] neg_hi:[0,0,1]
	v_mov_b32_e32 v119, v117
	v_pk_fma_f32 v[116:117], v[190:191], v[174:175], v[114:115] op_sel_hi:[1,0,1]
	v_pk_fma_f32 v[114:115], v[190:191], v[174:175], v[114:115] neg_lo:[0,0,1] neg_hi:[0,0,1]
	v_pk_add_f32 v[112:113], v[112:113], v[122:123]
	s_delay_alu instid0(VALU_DEP_3) | instskip(SKIP_1) | instid1(VALU_DEP_3)
	v_mov_b32_e32 v115, v117
	v_pk_fma_f32 v[116:117], v[244:245], v[240:241], v[120:121] op_sel_hi:[1,0,1]
	v_pk_add_f32 v[112:113], v[112:113], v[118:119]
	v_pk_fma_f32 v[118:119], v[244:245], v[240:241], v[120:121] neg_lo:[0,0,1] neg_hi:[0,0,1]
	s_delay_alu instid0(VALU_DEP_3) | instskip(NEXT) | instid1(VALU_DEP_3)
	v_mov_b32_e32 v119, v117
	v_pk_add_f32 v[112:113], v[112:113], v[114:115]
	s_delay_alu instid0(VALU_DEP_1) | instskip(SKIP_1) | instid1(VALU_DEP_1)
	v_pk_add_f32 v[112:113], v[112:113], v[118:119]
	s_wait_loadcnt 0x0
	v_pk_add_f32 v[112:113], v[242:243], v[112:113] neg_lo:[0,1] neg_hi:[0,1]
	scratch_store_b64 off, v[112:113], off offset:168
	s_wait_xcnt 0x0
	v_cmpx_lt_u32_e32 20, v0
	s_cbranch_execz .LBB54_303
; %bb.302:
	scratch_load_b64 v[112:113], off, off offset:160
	v_mov_b64_e32 v[114:115], 0
	scratch_store_b64 off, v[114:115], off offset:160
	s_wait_loadcnt 0x0
	ds_store_b64 v1, v[112:113]
.LBB54_303:
	s_wait_xcnt 0x0
	s_or_b32 exec_lo, exec_lo, s0
	s_wait_storecnt_dscnt 0x0
	s_barrier_signal -1
	s_barrier_wait -1
	s_clause 0x11
	scratch_load_b128 v[112:115], off, off offset:168
	scratch_load_b128 v[116:119], off, off offset:184
	;; [unrolled: 1-line block ×17, first 2 shown]
	scratch_load_b64 v[248:249], off, off offset:160
	ds_load_2addr_b64 v[180:183], v5 offset0:103 offset1:104
	ds_load_2addr_b64 v[184:187], v5 offset0:105 offset1:106
	;; [unrolled: 1-line block ×17, first 2 shown]
	s_mov_b32 s0, exec_lo
	s_wait_dscnt 0x10
	v_dual_mov_b32 v250, v183 :: v_dual_mov_b32 v251, v182
	s_wait_dscnt 0xf
	v_dual_mov_b32 v252, v187 :: v_dual_mov_b32 v253, v186
	;; [unrolled: 2-line block ×3, first 2 shown]
	s_wait_dscnt 0xd
	s_set_vgpr_msb 64                       ;  msbs: dst=1 src0=0 src1=0 src2=0
	v_dual_mov_b32 v0 /*v256*/, v195 :: v_dual_mov_b32 v1 /*v257*/, v194
	s_wait_loadcnt_dscnt 0x110b
	s_set_vgpr_msb 0                        ;  msbs: dst=0 src0=0 src1=0 src2=0
	v_dual_mul_f32 v5, v200, v113 :: v_dual_mul_f32 v9, v202, v115
	v_dual_mul_f32 v55, v201, v113 :: v_dual_mul_f32 v57, v203, v115
	s_wait_loadcnt_dscnt 0x100a
	v_dual_mul_f32 v11, v204, v117 :: v_dual_mul_f32 v13, v206, v119
	s_delay_alu instid0(VALU_DEP_2) | instskip(SKIP_3) | instid1(VALU_DEP_3)
	v_dual_fmac_f32 v5, v201, v112 :: v_dual_fma_f32 v55, v200, v112, -v55
	v_dual_mul_f32 v59, v205, v117 :: v_dual_mul_f32 v61, v207, v119
	s_wait_loadcnt_dscnt 0xe08
	v_dual_mul_f32 v67, v213, v125 :: v_dual_fmac_f32 v9, v203, v114
	v_dual_fma_f32 v57, v202, v114, -v57 :: v_dual_add_f32 v5, 0, v5
	v_dual_add_f32 v55, 0, v55 :: v_dual_fmac_f32 v11, v205, v116
	v_dual_mul_f32 v69, v215, v127 :: v_dual_fma_f32 v59, v204, v116, -v59
	s_delay_alu instid0(VALU_DEP_3) | instskip(NEXT) | instid1(VALU_DEP_3)
	v_dual_add_f32 v5, v5, v9 :: v_dual_fmac_f32 v13, v207, v118
	v_dual_add_f32 v9, v55, v57 :: v_dual_fma_f32 v57, v206, v118, -v61
	v_dual_mul_f32 v15, v208, v121 :: v_dual_mul_f32 v17, v210, v123
	v_dual_mul_f32 v63, v209, v121 :: v_dual_mul_f32 v65, v211, v123
	s_delay_alu instid0(VALU_DEP_3) | instskip(NEXT) | instid1(VALU_DEP_3)
	v_add_f32_e32 v9, v9, v59
	v_dual_add_f32 v5, v5, v11 :: v_dual_fmac_f32 v17, v211, v122
	s_wait_loadcnt_dscnt 0xd07
	s_delay_alu instid0(VALU_DEP_3) | instskip(NEXT) | instid1(VALU_DEP_3)
	v_dual_fma_f32 v59, v208, v120, -v63 :: v_dual_mul_f32 v55, v217, v129
	v_dual_mul_f32 v11, v219, v131 :: v_dual_add_f32 v9, v9, v57
	v_dual_fmac_f32 v15, v209, v120 :: v_dual_fma_f32 v57, v210, v122, -v65
	v_add_f32_e32 v5, v5, v13
	v_dual_mul_f32 v19, v212, v125 :: v_dual_mul_f32 v21, v214, v127
	s_delay_alu instid0(VALU_DEP_4) | instskip(NEXT) | instid1(VALU_DEP_3)
	v_dual_add_f32 v9, v9, v59 :: v_dual_fma_f32 v55, v216, v128, -v55
	v_dual_add_f32 v5, v5, v15 :: v_dual_fma_f32 v59, v212, v124, -v67
	v_dual_mul_f32 v23, v216, v129 :: v_dual_mul_f32 v25, v218, v131
	s_delay_alu instid0(VALU_DEP_3) | instskip(SKIP_2) | instid1(VALU_DEP_3)
	v_dual_add_f32 v9, v9, v57 :: v_dual_fma_f32 v11, v218, v130, -v11
	s_wait_loadcnt_dscnt 0xc06
	v_dual_mul_f32 v27, v220, v133 :: v_dual_mul_f32 v29, v222, v135
	v_dual_fmac_f32 v19, v213, v124 :: v_dual_fmac_f32 v25, v219, v130
	v_dual_fma_f32 v57, v214, v126, -v69 :: v_dual_add_f32 v5, v5, v17
	s_delay_alu instid0(VALU_DEP_3)
	v_dual_add_f32 v9, v9, v59 :: v_dual_fmac_f32 v29, v223, v134
	s_wait_loadcnt_dscnt 0xb05
	v_dual_mul_f32 v31, v224, v137 :: v_dual_mul_f32 v33, v226, v139
	v_dual_mul_f32 v13, v221, v133 :: v_dual_fmac_f32 v21, v215, v126
	v_mul_f32_e32 v17, v225, v137
	v_add_f32_e32 v5, v5, v19
	v_dual_add_f32 v9, v9, v57 :: v_dual_mul_f32 v15, v223, v135
	s_delay_alu instid0(VALU_DEP_4) | instskip(NEXT) | instid1(VALU_DEP_3)
	v_fma_f32 v13, v220, v132, -v13
	v_dual_fmac_f32 v33, v227, v138 :: v_dual_add_f32 v5, v5, v21
	s_wait_loadcnt_dscnt 0xa04
	v_mul_f32_e32 v21, v229, v141
	s_wait_loadcnt_dscnt 0x903
	v_dual_add_f32 v9, v9, v55 :: v_dual_mul_f32 v39, v232, v145
	v_dual_mul_f32 v41, v234, v147 :: v_dual_fmac_f32 v23, v217, v128
	s_delay_alu instid0(VALU_DEP_2) | instskip(SKIP_3) | instid1(VALU_DEP_3)
	v_dual_fma_f32 v21, v228, v140, -v21 :: v_dual_add_f32 v9, v9, v11
	s_wait_loadcnt_dscnt 0x802
	v_dual_fma_f32 v15, v222, v134, -v15 :: v_dual_mul_f32 v43, v236, v149
	v_mul_f32_e32 v45, v238, v151
	v_dual_mul_f32 v19, v227, v139 :: v_dual_add_f32 v9, v9, v13
	v_dual_fmac_f32 v41, v235, v146 :: v_dual_mul_f32 v13, v235, v147
	s_delay_alu instid0(VALU_DEP_2) | instskip(SKIP_1) | instid1(VALU_DEP_4)
	v_dual_add_f32 v5, v5, v23 :: v_dual_fma_f32 v19, v226, v138, -v19
	v_dual_mul_f32 v23, v231, v143 :: v_dual_fma_f32 v17, v224, v136, -v17
	v_add_f32_e32 v9, v9, v15
	v_dual_mul_f32 v15, v237, v149 :: v_dual_fmac_f32 v43, v237, v148
	v_dual_fmac_f32 v27, v221, v132 :: v_dual_mul_f32 v35, v228, v141
	s_delay_alu instid0(VALU_DEP_2) | instskip(NEXT) | instid1(VALU_DEP_4)
	v_dual_mul_f32 v37, v230, v143 :: v_dual_fma_f32 v15, v236, v148, -v15
	v_dual_add_f32 v9, v9, v17 :: v_dual_mul_f32 v17, v239, v151
	s_wait_loadcnt_dscnt 0x701
	v_dual_mul_f32 v47, v240, v153 :: v_dual_mul_f32 v49, v242, v155
	s_delay_alu instid0(VALU_DEP_3) | instskip(NEXT) | instid1(VALU_DEP_3)
	v_dual_add_f32 v5, v5, v25 :: v_dual_fmac_f32 v37, v231, v142
	v_dual_fma_f32 v17, v238, v150, -v17 :: v_dual_add_f32 v9, v9, v19
	s_delay_alu instid0(VALU_DEP_3)
	v_dual_fmac_f32 v49, v243, v154 :: v_dual_mul_f32 v11, v233, v145
	v_fma_f32 v23, v230, v142, -v23
	v_dual_fmac_f32 v31, v225, v136 :: v_dual_fma_f32 v13, v234, v146, -v13
	s_wait_loadcnt 0x4
	v_dual_add_f32 v9, v9, v21 :: v_dual_mov_b32 v114, v167
	v_mul_f32_e32 v21, v243, v155
	v_dual_add_f32 v5, v5, v27 :: v_dual_fma_f32 v11, v232, v144, -v11
	s_delay_alu instid0(VALU_DEP_3) | instskip(SKIP_2) | instid1(VALU_DEP_4)
	v_add_f32_e32 v9, v9, v23
	v_pk_mul_f32 v[112:113], v[180:181], v[164:165] op_sel:[1,1] op_sel_hi:[0,1]
	v_fmac_f32_e32 v35, v229, v140
	v_add_f32_e32 v5, v5, v29
	v_dual_mul_f32 v19, v241, v153 :: v_dual_fmac_f32 v47, v241, v152
	s_delay_alu instid0(VALU_DEP_4)
	v_pk_fma_f32 v[122:123], v[180:181], v[164:165], v[112:113] op_sel_hi:[1,0,1]
	v_add_f32_e32 v9, v9, v11
	s_wait_dscnt 0x0
	v_mul_f32_e32 v11, v247, v159
	v_dual_add_f32 v5, v5, v31 :: v_dual_fmac_f32 v45, v239, v150
	v_pk_fma_f32 v[112:113], v[180:181], v[164:165], v[112:113] neg_lo:[0,0,1] neg_hi:[0,0,1]
	v_dual_mov_b32 v113, v123 :: v_dual_add_f32 v9, v9, v13
	s_delay_alu instid0(VALU_DEP_3) | instskip(SKIP_1) | instid1(VALU_DEP_3)
	v_dual_add_f32 v5, v5, v33 :: v_dual_fma_f32 v19, v240, v152, -v19
	v_dual_mul_f32 v51, v244, v157 :: v_dual_mul_f32 v53, v246, v159
	v_add_f32_e32 v9, v9, v15
	v_mul_f32_e32 v15, v199, v163
	s_delay_alu instid0(VALU_DEP_4) | instskip(NEXT) | instid1(VALU_DEP_4)
	v_add_f32_e32 v5, v5, v35
	v_dual_fmac_f32 v39, v233, v144 :: v_dual_fmac_f32 v53, v247, v158
	v_dual_mul_f32 v23, v245, v157 :: v_dual_fmac_f32 v51, v245, v156
	v_dual_add_f32 v9, v9, v17 :: v_dual_fma_f32 v17, v242, v154, -v21
	s_wait_loadcnt 0x3
	v_dual_add_f32 v5, v5, v37 :: v_dual_mov_b32 v118, v171
	v_pk_mul_f32 v[114:115], v[250:251], v[114:115] op_sel_hi:[1,0]
	s_delay_alu instid0(VALU_DEP_3) | instskip(NEXT) | instid1(VALU_DEP_3)
	v_dual_add_f32 v9, v9, v19 :: v_dual_fma_f32 v19, v244, v156, -v23
	v_add_f32_e32 v5, v5, v39
	s_delay_alu instid0(VALU_DEP_4) | instskip(NEXT) | instid1(VALU_DEP_4)
	v_pk_mul_f32 v[118:119], v[252:253], v[118:119] op_sel_hi:[1,0]
	v_pk_fma_f32 v[122:123], v[182:183], v[166:167], v[114:115] op_sel_hi:[1,0,1]
	v_pk_fma_f32 v[114:115], v[182:183], v[166:167], v[114:115] neg_lo:[0,0,1] neg_hi:[0,0,1]
	v_add_f32_e32 v9, v9, v17
	v_add_f32_e32 v5, v5, v41
	v_pk_mul_f32 v[116:117], v[184:185], v[168:169] op_sel:[1,1] op_sel_hi:[0,1]
	v_mov_b32_e32 v115, v123
	v_pk_fma_f32 v[122:123], v[186:187], v[170:171], v[118:119] op_sel_hi:[1,0,1]
	v_pk_fma_f32 v[118:119], v[186:187], v[170:171], v[118:119] neg_lo:[0,0,1] neg_hi:[0,0,1]
	v_add_f32_e32 v5, v5, v43
	s_set_vgpr_msb 64                       ;  msbs: dst=1 src0=0 src1=0 src2=0
	v_dual_mul_f32 v3 /*v259*/, v196, v161 :: v_dual_mul_f32 v5 /*v261*/, v198, v163
	s_set_vgpr_msb 0                        ;  msbs: dst=0 src0=0 src1=0 src2=0
	v_dual_mov_b32 v119, v123 :: v_dual_fma_f32 v11, v246, v158, -v11
	v_add_f32_e32 v5, v5, v45
	v_add_f32_e32 v9, v9, v19
	v_pk_fma_f32 v[126:127], v[184:185], v[168:169], v[116:117] op_sel_hi:[1,0,1]
	v_mul_f32_e32 v13, v197, v161
	v_pk_fma_f32 v[116:117], v[184:185], v[168:169], v[116:117] neg_lo:[0,0,1] neg_hi:[0,0,1]
	v_add_f32_e32 v5, v5, v47
	s_set_vgpr_msb 64                       ;  msbs: dst=1 src0=0 src1=0 src2=0
	v_dual_fmac_f32 v3 /*v259*/, v197, v160 :: v_dual_fmac_f32 v5 /*v261*/, v199, v162
	s_set_vgpr_msb 0                        ;  msbs: dst=0 src0=0 src1=0 src2=0
	v_dual_add_f32 v120, v9, v11 :: v_dual_mov_b32 v117, v127
	v_add_f32_e32 v5, v5, v49
	s_set_vgpr_msb 64                       ;  msbs: dst=1 src0=0 src1=0 src2=0
	v_dual_fma_f32 v2 /*v258*/, v196, v160, -v13 :: v_dual_fma_f32 v4 /*v260*/, v198, v162, -v15
	s_wait_loadcnt 0x2
	s_set_vgpr_msb 0                        ;  msbs: dst=0 src0=0 src1=0 src2=0
	v_pk_mul_f32 v[124:125], v[188:189], v[172:173] op_sel:[1,1] op_sel_hi:[0,1]
	v_add_f32_e32 v5, v5, v51
	s_delay_alu instid0(VALU_DEP_2) | instskip(NEXT) | instid1(VALU_DEP_2)
	v_pk_fma_f32 v[122:123], v[188:189], v[172:173], v[124:125] neg_lo:[0,0,1] neg_hi:[0,0,1]
	v_add_f32_e32 v121, v5, v53
	s_set_vgpr_msb 4                        ;  msbs: dst=0 src0=0 src1=1 src2=0
	s_delay_alu instid0(VALU_DEP_1) | instskip(NEXT) | instid1(VALU_DEP_1)
	v_pk_add_f32 v[120:121], v[120:121], v[2:3] /*v[258:259]*/
	v_pk_add_f32 v[120:121], v[120:121], v[4:5] /*v[260:261]*/
	s_set_vgpr_msb 0                        ;  msbs: dst=0 src0=0 src1=0 src2=0
	s_delay_alu instid0(VALU_DEP_1) | instskip(SKIP_1) | instid1(VALU_DEP_2)
	v_pk_add_f32 v[112:113], v[120:121], v[112:113]
	v_mov_b32_e32 v120, v175
	v_pk_add_f32 v[112:113], v[112:113], v[114:115]
	v_pk_fma_f32 v[114:115], v[188:189], v[172:173], v[124:125] op_sel_hi:[1,0,1]
	s_delay_alu instid0(VALU_DEP_3) | instskip(NEXT) | instid1(VALU_DEP_3)
	v_pk_mul_f32 v[120:121], v[254:255], v[120:121] op_sel_hi:[1,0]
	v_pk_add_f32 v[112:113], v[112:113], v[116:117]
	s_delay_alu instid0(VALU_DEP_3) | instskip(NEXT) | instid1(VALU_DEP_3)
	v_mov_b32_e32 v123, v115
	v_pk_fma_f32 v[114:115], v[190:191], v[174:175], v[120:121] op_sel_hi:[1,0,1]
	s_wait_loadcnt 0x1
	v_pk_mul_f32 v[116:117], v[192:193], v[176:177] op_sel:[1,1] op_sel_hi:[0,1]
	v_mov_b32_e32 v114, v179
	v_pk_add_f32 v[112:113], v[112:113], v[118:119]
	v_pk_fma_f32 v[120:121], v[190:191], v[174:175], v[120:121] neg_lo:[0,0,1] neg_hi:[0,0,1]
	v_mov_b32_e32 v121, v115
	v_pk_fma_f32 v[118:119], v[192:193], v[176:177], v[116:117] op_sel_hi:[1,0,1]
	s_set_vgpr_msb 1                        ;  msbs: dst=0 src0=1 src1=0 src2=0
	v_pk_mul_f32 v[114:115], v[0:1] /*v[256:257]*/, v[114:115] op_sel_hi:[1,0]
	s_set_vgpr_msb 0                        ;  msbs: dst=0 src0=0 src1=0 src2=0
	v_pk_add_f32 v[112:113], v[112:113], v[122:123]
	v_pk_fma_f32 v[116:117], v[192:193], v[176:177], v[116:117] neg_lo:[0,0,1] neg_hi:[0,0,1]
	v_mov_b32_e32 v117, v119
	v_pk_fma_f32 v[118:119], v[194:195], v[178:179], v[114:115] op_sel_hi:[1,0,1]
	s_delay_alu instid0(VALU_DEP_4) | instskip(SKIP_1) | instid1(VALU_DEP_3)
	v_pk_add_f32 v[112:113], v[112:113], v[120:121]
	v_pk_fma_f32 v[114:115], v[194:195], v[178:179], v[114:115] neg_lo:[0,0,1] neg_hi:[0,0,1]
	v_mov_b32_e32 v115, v119
	s_delay_alu instid0(VALU_DEP_3) | instskip(NEXT) | instid1(VALU_DEP_1)
	v_pk_add_f32 v[112:113], v[112:113], v[116:117]
	v_pk_add_f32 v[112:113], v[112:113], v[114:115]
	s_wait_loadcnt 0x0
	s_delay_alu instid0(VALU_DEP_1)
	v_pk_add_f32 v[112:113], v[248:249], v[112:113] neg_lo:[0,1] neg_hi:[0,1]
	scratch_store_b64 off, v[112:113], off offset:160
	s_wait_xcnt 0x0
	v_cmpx_lt_u32_e32 19, v0
	s_cbranch_execz .LBB54_305
; %bb.304:
	scratch_load_b64 v[112:113], off, off offset:152
	v_mov_b64_e32 v[114:115], 0
	scratch_store_b64 off, v[114:115], off offset:152
	s_wait_loadcnt 0x0
	ds_store_b64 v1, v[112:113]
.LBB54_305:
	s_wait_xcnt 0x0
	s_or_b32 exec_lo, exec_lo, s0
	s_wait_storecnt_dscnt 0x0
	s_barrier_signal -1
	s_barrier_wait -1
	s_clause 0x12
	scratch_load_b128 v[112:115], off, off offset:160
	scratch_load_b128 v[116:119], off, off offset:176
	;; [unrolled: 1-line block ×17, first 2 shown]
	scratch_load_b64 v[248:249], off, off offset:432
	scratch_load_b64 v[250:251], off, off offset:152
	v_mov_b32_e32 v5, 0
	ds_load_b128 v[180:183], v5 offset:816
	ds_load_b128 v[184:187], v5 offset:832
	;; [unrolled: 1-line block ×17, first 2 shown]
	ds_load_b64 v[252:253], v5 offset:880
	s_mov_b32 s0, exec_lo
	s_wait_dscnt 0x11
	v_dual_mov_b32 v255, v182 :: v_dual_mov_b32 v254, v183
	s_wait_dscnt 0x10
	s_set_vgpr_msb 64                       ;  msbs: dst=1 src0=0 src1=0 src2=0
	v_dual_mov_b32 v0 /*v256*/, v187 :: v_dual_mov_b32 v1 /*v257*/, v186
	s_wait_dscnt 0xf
	v_dual_mov_b32 v2 /*v258*/, v191 :: v_dual_mov_b32 v3 /*v259*/, v190
	s_wait_dscnt 0xd
	v_dual_mov_b32 v4 /*v260*/, v199 :: v_dual_mov_b32 v5 /*v261*/, v198
	s_wait_loadcnt_dscnt 0x120c
	s_set_vgpr_msb 0                        ;  msbs: dst=0 src0=0 src1=0 src2=0
	v_dual_mul_f32 v9, v200, v113 :: v_dual_mul_f32 v59, v201, v113
	v_dual_mul_f32 v61, v203, v115 :: v_dual_mul_f32 v11, v202, v115
	s_wait_loadcnt_dscnt 0x110b
	v_mul_f32_e32 v13, v204, v117
	s_wait_loadcnt_dscnt 0xf09
	v_dual_mul_f32 v71, v213, v125 :: v_dual_fma_f32 v59, v200, v112, -v59
	v_dual_fmac_f32 v9, v201, v112 :: v_dual_mul_f32 v73, v215, v127
	v_dual_mul_f32 v63, v205, v117 :: v_dual_mul_f32 v65, v207, v119
	v_dual_fmac_f32 v11, v203, v114 :: v_dual_fma_f32 v61, v202, v114, -v61
	s_delay_alu instid0(VALU_DEP_3) | instskip(SKIP_4) | instid1(VALU_DEP_3)
	v_dual_add_f32 v9, 0, v9 :: v_dual_add_f32 v59, 0, v59
	v_dual_mul_f32 v15, v206, v119 :: v_dual_mul_f32 v17, v208, v121
	s_wait_loadcnt_dscnt 0xe08
	v_dual_mul_f32 v75, v217, v129 :: v_dual_fma_f32 v63, v204, v116, -v63
	v_fmac_f32_e32 v13, v205, v116
	v_dual_add_f32 v9, v9, v11 :: v_dual_fmac_f32 v15, v207, v118
	v_add_f32_e32 v11, v59, v61
	v_dual_mul_f32 v67, v209, v121 :: v_dual_mul_f32 v69, v211, v123
	v_dual_mul_f32 v59, v219, v131 :: v_dual_fma_f32 v61, v206, v118, -v65
	s_delay_alu instid0(VALU_DEP_3) | instskip(SKIP_3) | instid1(VALU_DEP_3)
	v_dual_add_f32 v9, v9, v13 :: v_dual_add_f32 v11, v11, v63
	v_dual_mul_f32 v19, v210, v123 :: v_dual_mul_f32 v21, v212, v125
	s_wait_loadcnt_dscnt 0xd07
	v_dual_mul_f32 v13, v221, v133 :: v_dual_fma_f32 v63, v208, v120, -v67
	v_dual_fmac_f32 v17, v209, v120 :: v_dual_add_f32 v11, v11, v61
	s_delay_alu instid0(VALU_DEP_3) | instskip(SKIP_1) | instid1(VALU_DEP_2)
	v_dual_add_f32 v9, v9, v15 :: v_dual_fmac_f32 v19, v211, v122
	v_dual_mul_f32 v15, v223, v135 :: v_dual_fma_f32 v61, v210, v122, -v69
	v_dual_add_f32 v11, v11, v63 :: v_dual_add_f32 v9, v9, v17
	v_dual_mul_f32 v23, v214, v127 :: v_dual_mul_f32 v25, v216, v129
	s_wait_loadcnt_dscnt 0xc06
	v_dual_mul_f32 v17, v225, v137 :: v_dual_fma_f32 v63, v212, v124, -v71
	s_delay_alu instid0(VALU_DEP_3) | instskip(NEXT) | instid1(VALU_DEP_3)
	v_dual_fmac_f32 v21, v213, v124 :: v_dual_add_f32 v11, v11, v61
	v_dual_add_f32 v9, v9, v19 :: v_dual_fmac_f32 v23, v215, v126
	v_dual_mul_f32 v19, v227, v139 :: v_dual_fma_f32 v61, v214, v126, -v73
	s_delay_alu instid0(VALU_DEP_2) | instskip(SKIP_3) | instid1(VALU_DEP_3)
	v_dual_add_f32 v11, v11, v63 :: v_dual_add_f32 v9, v9, v21
	v_dual_mul_f32 v27, v218, v131 :: v_dual_mul_f32 v29, v220, v133
	s_wait_loadcnt_dscnt 0xb05
	v_dual_mul_f32 v21, v229, v141 :: v_dual_fma_f32 v63, v216, v128, -v75
	v_dual_fmac_f32 v25, v217, v128 :: v_dual_add_f32 v11, v11, v61
	s_delay_alu instid0(VALU_DEP_3) | instskip(SKIP_1) | instid1(VALU_DEP_2)
	v_dual_add_f32 v9, v9, v23 :: v_dual_fmac_f32 v27, v219, v130
	v_dual_mul_f32 v23, v231, v143 :: v_dual_fma_f32 v59, v218, v130, -v59
	v_dual_add_f32 v11, v11, v63 :: v_dual_add_f32 v9, v9, v25
	v_dual_mul_f32 v31, v222, v135 :: v_dual_mul_f32 v33, v224, v137
	s_wait_loadcnt_dscnt 0xa04
	v_dual_mul_f32 v25, v233, v145 :: v_dual_fma_f32 v13, v220, v132, -v13
	s_delay_alu instid0(VALU_DEP_3) | instskip(NEXT) | instid1(VALU_DEP_3)
	v_dual_fmac_f32 v29, v221, v132 :: v_dual_add_f32 v11, v11, v59
	v_dual_add_f32 v9, v9, v27 :: v_dual_fmac_f32 v31, v223, v134
	v_dual_mul_f32 v27, v235, v147 :: v_dual_fma_f32 v15, v222, v134, -v15
	s_delay_alu instid0(VALU_DEP_3) | instskip(NEXT) | instid1(VALU_DEP_3)
	v_dual_add_f32 v11, v11, v13 :: v_dual_fmac_f32 v33, v225, v136
	v_dual_add_f32 v9, v9, v29 :: v_dual_fma_f32 v17, v224, v136, -v17
	v_dual_mul_f32 v35, v226, v139 :: v_dual_mul_f32 v37, v228, v141
	s_wait_loadcnt_dscnt 0x903
	s_delay_alu instid0(VALU_DEP_3) | instskip(NEXT) | instid1(VALU_DEP_2)
	v_dual_mul_f32 v13, v237, v149 :: v_dual_add_f32 v11, v11, v15
	v_dual_add_f32 v9, v9, v31 :: v_dual_fmac_f32 v35, v227, v138
	v_dual_mul_f32 v15, v239, v151 :: v_dual_fma_f32 v19, v226, v138, -v19
	s_delay_alu instid0(VALU_DEP_3) | instskip(NEXT) | instid1(VALU_DEP_3)
	v_dual_add_f32 v11, v11, v17 :: v_dual_fmac_f32 v37, v229, v140
	v_dual_add_f32 v9, v9, v33 :: v_dual_fma_f32 v21, v228, v140, -v21
	v_dual_mul_f32 v39, v230, v143 :: v_dual_mul_f32 v41, v232, v145
	s_wait_loadcnt_dscnt 0x802
	s_delay_alu instid0(VALU_DEP_3) | instskip(NEXT) | instid1(VALU_DEP_2)
	v_dual_mul_f32 v17, v241, v153 :: v_dual_add_f32 v11, v11, v19
	;; [unrolled: 9-line block ×3, first 2 shown]
	v_dual_add_f32 v9, v9, v39 :: v_dual_fmac_f32 v43, v235, v146
	v_dual_mul_f32 v23, v247, v159 :: v_dual_fma_f32 v27, v234, v146, -v27
	s_delay_alu instid0(VALU_DEP_3) | instskip(NEXT) | instid1(VALU_DEP_3)
	v_dual_add_f32 v11, v11, v25 :: v_dual_fmac_f32 v45, v237, v148
	v_dual_add_f32 v9, v9, v41 :: v_dual_fma_f32 v13, v236, v148, -v13
	v_dual_mul_f32 v47, v238, v151 :: v_dual_mul_f32 v49, v240, v153
	s_wait_loadcnt 0x6
	s_delay_alu instid0(VALU_DEP_3) | instskip(NEXT) | instid1(VALU_DEP_2)
	v_dual_mul_f32 v25, v193, v161 :: v_dual_add_f32 v11, v11, v27
	v_dual_add_f32 v9, v9, v43 :: v_dual_fmac_f32 v47, v239, v150
	v_dual_mul_f32 v27, v195, v163 :: v_dual_fma_f32 v15, v238, v150, -v15
	s_delay_alu instid0(VALU_DEP_3) | instskip(NEXT) | instid1(VALU_DEP_3)
	v_dual_add_f32 v11, v11, v13 :: v_dual_fmac_f32 v49, v241, v152
	v_dual_add_f32 v9, v9, v45 :: v_dual_fma_f32 v17, v240, v152, -v17
	v_dual_mul_f32 v51, v242, v155 :: v_dual_mul_f32 v53, v244, v157
	s_wait_loadcnt 0x5
	s_delay_alu instid0(VALU_DEP_3) | instskip(NEXT) | instid1(VALU_DEP_3)
	v_dual_mul_f32 v13, v181, v165 :: v_dual_add_f32 v11, v11, v15
	v_dual_add_f32 v9, v9, v47 :: v_dual_mov_b32 v112, v167
	s_delay_alu instid0(VALU_DEP_3) | instskip(NEXT) | instid1(VALU_DEP_3)
	v_fmac_f32_e32 v51, v243, v154
	v_dual_fma_f32 v15, v242, v154, -v19 :: v_dual_add_f32 v11, v11, v17
	s_delay_alu instid0(VALU_DEP_3) | instskip(SKIP_1) | instid1(VALU_DEP_3)
	v_dual_add_f32 v9, v9, v49 :: v_dual_mul_f32 v55, v246, v159
	v_dual_mul_f32 v57, v192, v161 :: v_dual_fmac_f32 v53, v245, v156
	v_dual_add_f32 v11, v11, v15 :: v_dual_fma_f32 v17, v244, v156, -v21
	s_wait_loadcnt 0x4
	s_delay_alu instid0(VALU_DEP_3) | instskip(SKIP_3) | instid1(VALU_DEP_4)
	v_dual_add_f32 v9, v9, v51 :: v_dual_mov_b32 v116, v171
	v_fma_f32 v15, v246, v158, -v23
	v_fmac_f32_e32 v55, v247, v158
	v_dual_add_f32 v11, v11, v17 :: v_dual_fmac_f32 v57, v193, v160
	v_add_f32_e32 v9, v9, v53
	s_set_vgpr_msb 64                       ;  msbs: dst=1 src0=0 src1=0 src2=0
	v_dual_mul_f32 v7 /*v263*/, v194, v163 :: v_dual_mul_f32 v9 /*v265*/, v180, v165
	s_set_vgpr_msb 0                        ;  msbs: dst=0 src0=0 src1=0 src2=0
	v_fma_f32 v17, v192, v160, -v25
	v_pk_mul_f32 v[112:113], v[254:255], v[112:113] op_sel_hi:[1,0]
	v_add_f32_e32 v9, v9, v55
	v_add_f32_e32 v11, v11, v15
	s_set_vgpr_msb 64                       ;  msbs: dst=1 src0=0 src1=0 src2=0
	v_dual_fmac_f32 v7 /*v263*/, v195, v162 :: v_dual_fmac_f32 v9 /*v265*/, v181, v164
	v_dual_fma_f32 v6 /*v262*/, v194, v162, -v27 :: v_dual_fma_f32 v8 /*v264*/, v180, v164, -v13
	s_set_vgpr_msb 0                        ;  msbs: dst=0 src0=0 src1=0 src2=0
	v_add_f32_e32 v121, v9, v57
	v_pk_fma_f32 v[124:125], v[182:183], v[166:167], v[112:113] op_sel_hi:[1,0,1]
	v_add_f32_e32 v120, v11, v17
	v_pk_fma_f32 v[112:113], v[182:183], v[166:167], v[112:113] neg_lo:[0,0,1] neg_hi:[0,0,1]
	v_pk_mul_f32 v[114:115], v[184:185], v[168:169] op_sel:[1,1] op_sel_hi:[0,1]
	s_set_vgpr_msb 1                        ;  msbs: dst=0 src0=1 src1=0 src2=0
	v_pk_mul_f32 v[116:117], v[0:1] /*v[256:257]*/, v[116:117] op_sel_hi:[1,0]
	s_set_vgpr_msb 4                        ;  msbs: dst=0 src0=0 src1=1 src2=0
	v_mov_b32_e32 v113, v125
	v_pk_add_f32 v[120:121], v[120:121], v[6:7] /*v[262:263]*/
	s_wait_loadcnt 0x3
	s_set_vgpr_msb 0                        ;  msbs: dst=0 src0=0 src1=0 src2=0
	v_pk_mul_f32 v[118:119], v[188:189], v[172:173] op_sel:[1,1] op_sel_hi:[0,1]
	v_pk_fma_f32 v[126:127], v[184:185], v[168:169], v[114:115] op_sel_hi:[1,0,1]
	v_pk_fma_f32 v[114:115], v[184:185], v[168:169], v[114:115] neg_lo:[0,0,1] neg_hi:[0,0,1]
	v_mov_b32_e32 v122, v175
	s_set_vgpr_msb 4                        ;  msbs: dst=0 src0=0 src1=1 src2=0
	v_pk_add_f32 v[120:121], v[120:121], v[8:9] /*v[264:265]*/
	s_wait_loadcnt 0x2
	s_set_vgpr_msb 0                        ;  msbs: dst=0 src0=0 src1=0 src2=0
	v_pk_mul_f32 v[124:125], v[196:197], v[176:177] op_sel:[1,1] op_sel_hi:[0,1]
	v_mov_b32_e32 v115, v127
	v_pk_fma_f32 v[126:127], v[186:187], v[170:171], v[116:117] op_sel_hi:[1,0,1]
	v_pk_fma_f32 v[116:117], v[186:187], v[170:171], v[116:117] neg_lo:[0,0,1] neg_hi:[0,0,1]
	v_pk_add_f32 v[112:113], v[120:121], v[112:113]
	v_pk_fma_f32 v[120:121], v[188:189], v[172:173], v[118:119] op_sel_hi:[1,0,1]
	s_set_vgpr_msb 1                        ;  msbs: dst=0 src0=1 src1=0 src2=0
	v_pk_mul_f32 v[122:123], v[2:3] /*v[258:259]*/, v[122:123] op_sel_hi:[1,0]
	s_set_vgpr_msb 0                        ;  msbs: dst=0 src0=0 src1=0 src2=0
	v_mov_b32_e32 v117, v127
	v_pk_fma_f32 v[118:119], v[188:189], v[172:173], v[118:119] neg_lo:[0,0,1] neg_hi:[0,0,1]
	v_pk_add_f32 v[112:113], v[112:113], v[114:115]
	v_dual_mov_b32 v114, v179 :: v_dual_mov_b32 v119, v121
	v_pk_fma_f32 v[120:121], v[190:191], v[174:175], v[122:123] op_sel_hi:[1,0,1]
	v_pk_fma_f32 v[122:123], v[190:191], v[174:175], v[122:123] neg_lo:[0,0,1] neg_hi:[0,0,1]
	s_delay_alu instid0(VALU_DEP_4)
	v_pk_add_f32 v[112:113], v[112:113], v[116:117]
	v_pk_fma_f32 v[116:117], v[196:197], v[176:177], v[124:125] op_sel_hi:[1,0,1]
	s_set_vgpr_msb 1                        ;  msbs: dst=0 src0=1 src1=0 src2=0
	v_pk_mul_f32 v[114:115], v[4:5] /*v[260:261]*/, v[114:115] op_sel_hi:[1,0]
	s_set_vgpr_msb 0                        ;  msbs: dst=0 src0=0 src1=0 src2=0
	v_mov_b32_e32 v123, v121
	s_wait_loadcnt_dscnt 0x100
	v_pk_mul_f32 v[120:121], v[252:253], v[248:249] op_sel:[1,1] op_sel_hi:[0,1]
	v_pk_add_f32 v[112:113], v[112:113], v[118:119]
	v_pk_fma_f32 v[118:119], v[196:197], v[176:177], v[124:125] neg_lo:[0,0,1] neg_hi:[0,0,1]
	v_mov_b32_e32 v119, v117
	v_pk_fma_f32 v[116:117], v[198:199], v[178:179], v[114:115] op_sel_hi:[1,0,1]
	v_pk_fma_f32 v[114:115], v[198:199], v[178:179], v[114:115] neg_lo:[0,0,1] neg_hi:[0,0,1]
	v_pk_add_f32 v[112:113], v[112:113], v[122:123]
	s_delay_alu instid0(VALU_DEP_3) | instskip(SKIP_1) | instid1(VALU_DEP_3)
	v_mov_b32_e32 v115, v117
	v_pk_fma_f32 v[116:117], v[252:253], v[248:249], v[120:121] op_sel_hi:[1,0,1]
	v_pk_add_f32 v[112:113], v[112:113], v[118:119]
	v_pk_fma_f32 v[118:119], v[252:253], v[248:249], v[120:121] neg_lo:[0,0,1] neg_hi:[0,0,1]
	s_delay_alu instid0(VALU_DEP_3) | instskip(NEXT) | instid1(VALU_DEP_3)
	v_mov_b32_e32 v119, v117
	v_pk_add_f32 v[112:113], v[112:113], v[114:115]
	s_delay_alu instid0(VALU_DEP_1) | instskip(SKIP_1) | instid1(VALU_DEP_1)
	v_pk_add_f32 v[112:113], v[112:113], v[118:119]
	s_wait_loadcnt 0x0
	v_pk_add_f32 v[112:113], v[250:251], v[112:113] neg_lo:[0,1] neg_hi:[0,1]
	scratch_store_b64 off, v[112:113], off offset:152
	s_wait_xcnt 0x0
	v_cmpx_lt_u32_e32 18, v0
	s_cbranch_execz .LBB54_307
; %bb.306:
	scratch_load_b64 v[112:113], off, off offset:144
	v_mov_b64_e32 v[114:115], 0
	scratch_store_b64 off, v[114:115], off offset:144
	s_wait_loadcnt 0x0
	ds_store_b64 v1, v[112:113]
.LBB54_307:
	s_wait_xcnt 0x0
	s_or_b32 exec_lo, exec_lo, s0
	s_wait_storecnt_dscnt 0x0
	s_barrier_signal -1
	s_barrier_wait -1
	s_clause 0x13
	scratch_load_b128 v[112:115], off, off offset:152
	scratch_load_b128 v[116:119], off, off offset:168
	;; [unrolled: 1-line block ×18, first 2 shown]
	s_set_vgpr_msb 64                       ;  msbs: dst=1 src0=0 src1=0 src2=0
	scratch_load_b64 v[0:1] /*v[256:257]*/, off, off offset:144
	s_set_vgpr_msb 0                        ;  msbs: dst=0 src0=0 src1=0 src2=0
	ds_load_2addr_b64 v[184:187], v5 offset0:103 offset1:104
	ds_load_2addr_b64 v[188:191], v5 offset0:105 offset1:106
	;; [unrolled: 1-line block ×18, first 2 shown]
	s_mov_b32 s0, exec_lo
	s_wait_dscnt 0x11
	s_set_vgpr_msb 64                       ;  msbs: dst=1 src0=0 src1=0 src2=0
	v_dual_mov_b32 v2 /*v258*/, v187 :: v_dual_mov_b32 v3 /*v259*/, v186
	s_wait_dscnt 0x10
	v_dual_mov_b32 v4 /*v260*/, v191 :: v_dual_mov_b32 v5 /*v261*/, v190
	s_wait_dscnt 0xf
	;; [unrolled: 2-line block ×3, first 2 shown]
	v_dual_mov_b32 v8 /*v264*/, v199 :: v_dual_mov_b32 v9 /*v265*/, v198
	s_wait_loadcnt_dscnt 0x120d
	s_set_vgpr_msb 0                        ;  msbs: dst=0 src0=0 src1=0 src2=0
	v_dual_mul_f32 v5, v200, v113 :: v_dual_mul_f32 v9, v202, v115
	v_dual_mul_f32 v59, v201, v113 :: v_dual_mul_f32 v61, v203, v115
	s_wait_loadcnt_dscnt 0x110c
	v_dual_mul_f32 v11, v204, v117 :: v_dual_mul_f32 v13, v206, v119
	s_delay_alu instid0(VALU_DEP_2) | instskip(SKIP_3) | instid1(VALU_DEP_3)
	v_dual_fmac_f32 v5, v201, v112 :: v_dual_fma_f32 v59, v200, v112, -v59
	v_dual_mul_f32 v63, v205, v117 :: v_dual_mul_f32 v65, v207, v119
	s_wait_loadcnt_dscnt 0xf0a
	v_dual_mul_f32 v71, v213, v125 :: v_dual_fmac_f32 v9, v203, v114
	v_dual_fma_f32 v61, v202, v114, -v61 :: v_dual_add_f32 v5, 0, v5
	v_dual_add_f32 v59, 0, v59 :: v_dual_fmac_f32 v11, v205, v116
	v_dual_mul_f32 v73, v215, v127 :: v_dual_fma_f32 v63, v204, v116, -v63
	s_delay_alu instid0(VALU_DEP_3) | instskip(NEXT) | instid1(VALU_DEP_3)
	v_dual_add_f32 v5, v5, v9 :: v_dual_fmac_f32 v13, v207, v118
	v_dual_add_f32 v9, v59, v61 :: v_dual_fma_f32 v61, v206, v118, -v65
	v_dual_mul_f32 v15, v208, v121 :: v_dual_mul_f32 v17, v210, v123
	v_dual_mul_f32 v67, v209, v121 :: v_dual_mul_f32 v69, v211, v123
	s_delay_alu instid0(VALU_DEP_3) | instskip(NEXT) | instid1(VALU_DEP_3)
	v_add_f32_e32 v9, v9, v63
	v_dual_add_f32 v5, v5, v11 :: v_dual_fmac_f32 v17, v211, v122
	s_wait_loadcnt_dscnt 0xe09
	s_delay_alu instid0(VALU_DEP_3) | instskip(NEXT) | instid1(VALU_DEP_3)
	v_dual_fma_f32 v63, v208, v120, -v67 :: v_dual_mul_f32 v59, v217, v129
	v_dual_mul_f32 v11, v219, v131 :: v_dual_add_f32 v9, v9, v61
	v_dual_fmac_f32 v15, v209, v120 :: v_dual_fma_f32 v61, v210, v122, -v69
	v_add_f32_e32 v5, v5, v13
	v_dual_mul_f32 v19, v212, v125 :: v_dual_mul_f32 v21, v214, v127
	s_delay_alu instid0(VALU_DEP_4) | instskip(NEXT) | instid1(VALU_DEP_3)
	v_dual_add_f32 v9, v9, v63 :: v_dual_fma_f32 v59, v216, v128, -v59
	v_dual_add_f32 v5, v5, v15 :: v_dual_fma_f32 v63, v212, v124, -v71
	v_dual_mul_f32 v23, v216, v129 :: v_dual_mul_f32 v25, v218, v131
	s_delay_alu instid0(VALU_DEP_3) | instskip(SKIP_2) | instid1(VALU_DEP_3)
	v_dual_add_f32 v9, v9, v61 :: v_dual_fma_f32 v11, v218, v130, -v11
	s_wait_loadcnt_dscnt 0xd08
	v_dual_mul_f32 v27, v220, v133 :: v_dual_mul_f32 v29, v222, v135
	v_dual_fmac_f32 v19, v213, v124 :: v_dual_fmac_f32 v25, v219, v130
	v_dual_fma_f32 v61, v214, v126, -v73 :: v_dual_add_f32 v5, v5, v17
	s_delay_alu instid0(VALU_DEP_3)
	v_dual_add_f32 v9, v9, v63 :: v_dual_fmac_f32 v29, v223, v134
	s_wait_loadcnt_dscnt 0xc07
	v_dual_mul_f32 v31, v224, v137 :: v_dual_mul_f32 v33, v226, v139
	v_dual_mul_f32 v13, v221, v133 :: v_dual_fmac_f32 v21, v215, v126
	v_mul_f32_e32 v17, v225, v137
	v_add_f32_e32 v5, v5, v19
	v_dual_add_f32 v9, v9, v61 :: v_dual_mul_f32 v15, v223, v135
	s_delay_alu instid0(VALU_DEP_4) | instskip(NEXT) | instid1(VALU_DEP_3)
	v_fma_f32 v13, v220, v132, -v13
	v_dual_fmac_f32 v33, v227, v138 :: v_dual_add_f32 v5, v5, v21
	s_wait_loadcnt_dscnt 0xb06
	v_mul_f32_e32 v21, v229, v141
	s_wait_loadcnt_dscnt 0xa05
	v_dual_add_f32 v9, v9, v59 :: v_dual_mul_f32 v39, v232, v145
	v_dual_mul_f32 v41, v234, v147 :: v_dual_fmac_f32 v23, v217, v128
	s_delay_alu instid0(VALU_DEP_2) | instskip(SKIP_3) | instid1(VALU_DEP_3)
	v_dual_fma_f32 v21, v228, v140, -v21 :: v_dual_add_f32 v9, v9, v11
	s_wait_loadcnt_dscnt 0x904
	v_dual_fma_f32 v15, v222, v134, -v15 :: v_dual_mul_f32 v43, v236, v149
	v_mul_f32_e32 v45, v238, v151
	v_dual_mul_f32 v19, v227, v139 :: v_dual_add_f32 v9, v9, v13
	v_dual_fmac_f32 v41, v235, v146 :: v_dual_mul_f32 v13, v235, v147
	s_delay_alu instid0(VALU_DEP_2) | instskip(SKIP_1) | instid1(VALU_DEP_4)
	v_dual_add_f32 v5, v5, v23 :: v_dual_fma_f32 v19, v226, v138, -v19
	v_dual_mul_f32 v23, v231, v143 :: v_dual_fma_f32 v17, v224, v136, -v17
	v_add_f32_e32 v9, v9, v15
	v_dual_mul_f32 v15, v237, v149 :: v_dual_fmac_f32 v43, v237, v148
	v_dual_fmac_f32 v27, v221, v132 :: v_dual_mul_f32 v35, v228, v141
	s_delay_alu instid0(VALU_DEP_2) | instskip(NEXT) | instid1(VALU_DEP_4)
	v_dual_mul_f32 v37, v230, v143 :: v_dual_fma_f32 v15, v236, v148, -v15
	v_dual_add_f32 v9, v9, v17 :: v_dual_mul_f32 v17, v239, v151
	s_wait_loadcnt_dscnt 0x803
	v_dual_mul_f32 v47, v240, v153 :: v_dual_mul_f32 v49, v242, v155
	s_delay_alu instid0(VALU_DEP_3) | instskip(NEXT) | instid1(VALU_DEP_3)
	v_dual_add_f32 v5, v5, v25 :: v_dual_fmac_f32 v37, v231, v142
	v_dual_fma_f32 v17, v238, v150, -v17 :: v_dual_add_f32 v9, v9, v19
	s_delay_alu instid0(VALU_DEP_3) | instskip(SKIP_2) | instid1(VALU_DEP_4)
	v_dual_fmac_f32 v49, v243, v154 :: v_dual_mul_f32 v11, v233, v145
	v_fma_f32 v23, v230, v142, -v23
	v_dual_fmac_f32 v31, v225, v136 :: v_dual_fma_f32 v13, v234, v146, -v13
	v_dual_add_f32 v9, v9, v21 :: v_dual_mul_f32 v21, v243, v155
	s_delay_alu instid0(VALU_DEP_4) | instskip(SKIP_1) | instid1(VALU_DEP_3)
	v_dual_add_f32 v5, v5, v27 :: v_dual_fma_f32 v11, v232, v144, -v11
	v_fmac_f32_e32 v35, v229, v140
	v_add_f32_e32 v9, v9, v23
	v_dual_mul_f32 v19, v241, v153 :: v_dual_fmac_f32 v47, v241, v152
	s_delay_alu instid0(VALU_DEP_4) | instskip(NEXT) | instid1(VALU_DEP_3)
	v_dual_add_f32 v5, v5, v29 :: v_dual_fmac_f32 v45, v239, v150
	v_add_f32_e32 v9, v9, v11
	s_wait_loadcnt_dscnt 0x702
	v_mul_f32_e32 v11, v247, v159
	s_wait_loadcnt 0x4
	v_pk_mul_f32 v[112:113], v[184:185], v[168:169] op_sel:[1,1] op_sel_hi:[0,1]
	v_dual_add_f32 v5, v5, v31 :: v_dual_mul_f32 v51, v244, v157
	v_dual_mul_f32 v53, v246, v159 :: v_dual_add_f32 v9, v9, v13
	s_delay_alu instid0(VALU_DEP_2) | instskip(NEXT) | instid1(VALU_DEP_4)
	v_dual_fma_f32 v19, v240, v152, -v19 :: v_dual_add_f32 v5, v5, v33
	v_pk_fma_f32 v[122:123], v[184:185], v[168:169], v[112:113] op_sel_hi:[1,0,1]
	s_delay_alu instid0(VALU_DEP_3) | instskip(NEXT) | instid1(VALU_DEP_4)
	v_dual_fmac_f32 v39, v233, v144 :: v_dual_fmac_f32 v53, v247, v158
	v_add_f32_e32 v9, v9, v15
	s_wait_dscnt 0x1
	v_mul_f32_e32 v15, v251, v163
	v_dual_add_f32 v5, v5, v35 :: v_dual_fma_f32 v21, v242, v154, -v21
	v_dual_mul_f32 v23, v245, v157 :: v_dual_fmac_f32 v51, v245, v156
	v_dual_mul_f32 v55, v248, v161 :: v_dual_mul_f32 v57, v250, v163
	s_delay_alu instid0(VALU_DEP_2) | instskip(SKIP_2) | instid1(VALU_DEP_2)
	v_dual_add_f32 v5, v5, v37 :: v_dual_fma_f32 v23, v244, v156, -v23
	s_wait_loadcnt 0x3
	v_dual_mov_b32 v114, v171 :: v_dual_mov_b32 v118, v175
	v_dual_fmac_f32 v57, v251, v162 :: v_dual_add_f32 v5, v5, v39
	v_pk_fma_f32 v[112:113], v[184:185], v[168:169], v[112:113] neg_lo:[0,0,1] neg_hi:[0,0,1]
	s_set_vgpr_msb 1                        ;  msbs: dst=0 src0=1 src1=0 src2=0
	s_delay_alu instid0(VALU_DEP_3)
	v_pk_mul_f32 v[114:115], v[2:3] /*v[258:259]*/, v[114:115] op_sel_hi:[1,0]
	s_set_vgpr_msb 0                        ;  msbs: dst=0 src0=0 src1=0 src2=0
	v_dual_mov_b32 v113, v123 :: v_dual_add_f32 v9, v9, v17
	v_add_f32_e32 v5, v5, v41
	s_set_vgpr_msb 1                        ;  msbs: dst=0 src0=1 src1=0 src2=0
	v_pk_mul_f32 v[118:119], v[4:5] /*v[260:261]*/, v[118:119] op_sel_hi:[1,0]
	s_set_vgpr_msb 0                        ;  msbs: dst=0 src0=0 src1=0 src2=0
	v_pk_fma_f32 v[122:123], v[186:187], v[170:171], v[114:115] op_sel_hi:[1,0,1]
	v_pk_fma_f32 v[114:115], v[186:187], v[170:171], v[114:115] neg_lo:[0,0,1] neg_hi:[0,0,1]
	v_add_f32_e32 v9, v9, v19
	v_add_f32_e32 v5, v5, v43
	v_dual_mul_f32 v13, v249, v161 :: v_dual_fmac_f32 v55, v249, v160
	v_mov_b32_e32 v115, v123
	v_pk_fma_f32 v[122:123], v[190:191], v[174:175], v[118:119] op_sel_hi:[1,0,1]
	s_delay_alu instid0(VALU_DEP_4) | instskip(SKIP_2) | instid1(VALU_DEP_3)
	v_add_f32_e32 v5, v5, v45
	v_pk_fma_f32 v[118:119], v[190:191], v[174:175], v[118:119] neg_lo:[0,0,1] neg_hi:[0,0,1]
	v_dual_add_f32 v9, v9, v21 :: v_dual_fma_f32 v11, v246, v158, -v11
	v_dual_mov_b32 v119, v123 :: v_dual_add_f32 v5, v5, v47
	s_delay_alu instid0(VALU_DEP_2)
	v_dual_fma_f32 v13, v248, v160, -v13 :: v_dual_add_f32 v9, v9, v23
	v_pk_mul_f32 v[116:117], v[188:189], v[172:173] op_sel:[1,1] op_sel_hi:[0,1]
	s_wait_dscnt 0x0
	s_set_vgpr_msb 64                       ;  msbs: dst=1 src0=0 src1=0 src2=0
	v_dual_mul_f32 v11 /*v267*/, v252, v165 :: v_dual_mul_f32 v13 /*v269*/, v254, v167
	s_set_vgpr_msb 0                        ;  msbs: dst=0 src0=0 src1=0 src2=0
	v_add_f32_e32 v5, v5, v49
	v_dual_add_f32 v9, v9, v11 :: v_dual_fma_f32 v11, v250, v162, -v15
	v_pk_fma_f32 v[126:127], v[188:189], v[172:173], v[116:117] op_sel_hi:[1,0,1]
	v_mul_f32_e32 v17, v253, v165
	s_delay_alu instid0(VALU_DEP_4) | instskip(NEXT) | instid1(VALU_DEP_4)
	v_add_f32_e32 v5, v5, v51
	v_add_f32_e32 v9, v9, v13
	v_pk_fma_f32 v[116:117], v[188:189], v[172:173], v[116:117] neg_lo:[0,0,1] neg_hi:[0,0,1]
	v_mul_f32_e32 v19, v255, v167
	s_set_vgpr_msb 64                       ;  msbs: dst=1 src0=0 src1=0 src2=0
	v_dual_fmac_f32 v11 /*v267*/, v253, v164 :: v_dual_fmac_f32 v13 /*v269*/, v255, v166
	s_set_vgpr_msb 0                        ;  msbs: dst=0 src0=0 src1=0 src2=0
	v_add_f32_e32 v5, v5, v53
	v_dual_add_f32 v120, v9, v11 :: v_dual_mov_b32 v117, v127
	s_set_vgpr_msb 64                       ;  msbs: dst=1 src0=0 src1=0 src2=0
	v_dual_fma_f32 v10 /*v266*/, v252, v164, -v17 :: v_dual_fma_f32 v12 /*v268*/, v254, v166, -v19
	s_set_vgpr_msb 0                        ;  msbs: dst=0 src0=0 src1=0 src2=0
	v_add_f32_e32 v5, v5, v55
	s_wait_loadcnt 0x2
	v_pk_mul_f32 v[124:125], v[192:193], v[176:177] op_sel:[1,1] op_sel_hi:[0,1]
	s_delay_alu instid0(VALU_DEP_2) | instskip(NEXT) | instid1(VALU_DEP_2)
	v_add_f32_e32 v121, v5, v57
	v_pk_fma_f32 v[122:123], v[192:193], v[176:177], v[124:125] neg_lo:[0,0,1] neg_hi:[0,0,1]
	s_set_vgpr_msb 4                        ;  msbs: dst=0 src0=0 src1=1 src2=0
	s_delay_alu instid0(VALU_DEP_2) | instskip(NEXT) | instid1(VALU_DEP_1)
	v_pk_add_f32 v[120:121], v[120:121], v[10:11] /*v[266:267]*/
	v_pk_add_f32 v[120:121], v[120:121], v[12:13] /*v[268:269]*/
	s_set_vgpr_msb 0                        ;  msbs: dst=0 src0=0 src1=0 src2=0
	s_delay_alu instid0(VALU_DEP_1) | instskip(SKIP_1) | instid1(VALU_DEP_2)
	v_pk_add_f32 v[112:113], v[120:121], v[112:113]
	v_mov_b32_e32 v120, v179
	v_pk_add_f32 v[112:113], v[112:113], v[114:115]
	v_pk_fma_f32 v[114:115], v[192:193], v[176:177], v[124:125] op_sel_hi:[1,0,1]
	s_set_vgpr_msb 1                        ;  msbs: dst=0 src0=1 src1=0 src2=0
	s_delay_alu instid0(VALU_DEP_3) | instskip(SKIP_3) | instid1(VALU_DEP_3)
	v_pk_mul_f32 v[120:121], v[6:7] /*v[262:263]*/, v[120:121] op_sel_hi:[1,0]
	s_set_vgpr_msb 0                        ;  msbs: dst=0 src0=0 src1=0 src2=0
	v_pk_add_f32 v[112:113], v[112:113], v[116:117]
	v_mov_b32_e32 v123, v115
	v_pk_fma_f32 v[114:115], v[194:195], v[178:179], v[120:121] op_sel_hi:[1,0,1]
	s_wait_loadcnt 0x1
	v_pk_mul_f32 v[116:117], v[196:197], v[180:181] op_sel:[1,1] op_sel_hi:[0,1]
	v_mov_b32_e32 v114, v183
	v_pk_add_f32 v[112:113], v[112:113], v[118:119]
	v_pk_fma_f32 v[120:121], v[194:195], v[178:179], v[120:121] neg_lo:[0,0,1] neg_hi:[0,0,1]
	v_mov_b32_e32 v121, v115
	v_pk_fma_f32 v[118:119], v[196:197], v[180:181], v[116:117] op_sel_hi:[1,0,1]
	s_set_vgpr_msb 1                        ;  msbs: dst=0 src0=1 src1=0 src2=0
	v_pk_mul_f32 v[114:115], v[8:9] /*v[264:265]*/, v[114:115] op_sel_hi:[1,0]
	s_set_vgpr_msb 0                        ;  msbs: dst=0 src0=0 src1=0 src2=0
	v_pk_add_f32 v[112:113], v[112:113], v[122:123]
	v_pk_fma_f32 v[116:117], v[196:197], v[180:181], v[116:117] neg_lo:[0,0,1] neg_hi:[0,0,1]
	v_mov_b32_e32 v117, v119
	v_pk_fma_f32 v[118:119], v[198:199], v[182:183], v[114:115] op_sel_hi:[1,0,1]
	s_delay_alu instid0(VALU_DEP_4) | instskip(SKIP_1) | instid1(VALU_DEP_3)
	v_pk_add_f32 v[112:113], v[112:113], v[120:121]
	v_pk_fma_f32 v[114:115], v[198:199], v[182:183], v[114:115] neg_lo:[0,0,1] neg_hi:[0,0,1]
	v_mov_b32_e32 v115, v119
	s_delay_alu instid0(VALU_DEP_3) | instskip(NEXT) | instid1(VALU_DEP_1)
	v_pk_add_f32 v[112:113], v[112:113], v[116:117]
	v_pk_add_f32 v[112:113], v[112:113], v[114:115]
	s_wait_loadcnt 0x0
	s_set_vgpr_msb 1                        ;  msbs: dst=0 src0=1 src1=0 src2=0
	s_delay_alu instid0(VALU_DEP_1)
	v_pk_add_f32 v[112:113], v[0:1] /*v[256:257]*/, v[112:113] neg_lo:[0,1] neg_hi:[0,1]
	scratch_store_b64 off, v[112:113], off offset:144
	s_wait_xcnt 0x0
	v_cmpx_lt_u32_e32 17, v0
	s_set_vgpr_msb 0                        ;  msbs: dst=0 src0=0 src1=0 src2=0
	s_cbranch_execz .LBB54_309
; %bb.308:
	scratch_load_b64 v[112:113], off, off offset:136
	v_mov_b64_e32 v[114:115], 0
	scratch_store_b64 off, v[114:115], off offset:136
	s_wait_loadcnt 0x0
	ds_store_b64 v1, v[112:113]
.LBB54_309:
	s_wait_xcnt 0x0
	s_or_b32 exec_lo, exec_lo, s0
	s_wait_storecnt_dscnt 0x0
	s_barrier_signal -1
	s_barrier_wait -1
	s_clause 0x14
	scratch_load_b128 v[112:115], off, off offset:144
	scratch_load_b128 v[116:119], off, off offset:160
	;; [unrolled: 1-line block ×18, first 2 shown]
	s_set_vgpr_msb 64                       ;  msbs: dst=1 src0=0 src1=0 src2=0
	scratch_load_b64 v[0:1] /*v[256:257]*/, off, off offset:432
	scratch_load_b64 v[2:3] /*v[258:259]*/, off, off offset:136
	s_set_vgpr_msb 0                        ;  msbs: dst=0 src0=0 src1=0 src2=0
	v_mov_b32_e32 v5, 0
	ds_load_b128 v[184:187], v5 offset:816
	ds_load_b128 v[188:191], v5 offset:832
	;; [unrolled: 1-line block ×18, first 2 shown]
	s_set_vgpr_msb 64                       ;  msbs: dst=1 src0=0 src1=0 src2=0
	ds_load_b64 v[4:5] /*v[260:261]*/, v5 offset:880
	s_mov_b32 s0, exec_lo
	s_wait_dscnt 0x12
	v_dual_mov_b32 v6 /*v262*/, v187 :: v_dual_mov_b32 v7 /*v263*/, v186
	s_wait_dscnt 0x11
	v_dual_mov_b32 v8 /*v264*/, v191 :: v_dual_mov_b32 v9 /*v265*/, v190
	;; [unrolled: 2-line block ×4, first 2 shown]
	s_wait_loadcnt 0x13
	s_set_vgpr_msb 0                        ;  msbs: dst=0 src0=0 src1=0 src2=0
	v_dual_mul_f32 v9, v196, v113 :: v_dual_mul_f32 v63, v197, v113
	v_dual_mul_f32 v65, v199, v115 :: v_dual_mul_f32 v11, v198, v115
	s_wait_loadcnt 0x12
	v_mul_f32_e32 v13, v200, v117
	s_wait_loadcnt_dscnt 0x100b
	v_dual_mul_f32 v75, v213, v125 :: v_dual_fma_f32 v63, v196, v112, -v63
	v_dual_fmac_f32 v9, v197, v112 :: v_dual_mul_f32 v77, v215, v127
	v_dual_mul_f32 v67, v201, v117 :: v_dual_mul_f32 v69, v203, v119
	v_dual_fmac_f32 v11, v199, v114 :: v_dual_fma_f32 v65, v198, v114, -v65
	s_delay_alu instid0(VALU_DEP_3) | instskip(SKIP_4) | instid1(VALU_DEP_3)
	v_dual_add_f32 v9, 0, v9 :: v_dual_add_f32 v63, 0, v63
	v_dual_mul_f32 v15, v202, v119 :: v_dual_mul_f32 v17, v208, v121
	s_wait_loadcnt_dscnt 0xf0a
	v_dual_mul_f32 v79, v217, v129 :: v_dual_fma_f32 v67, v200, v116, -v67
	v_fmac_f32_e32 v13, v201, v116
	v_dual_add_f32 v9, v9, v11 :: v_dual_fmac_f32 v15, v203, v118
	v_add_f32_e32 v11, v63, v65
	v_dual_mul_f32 v71, v209, v121 :: v_dual_mul_f32 v73, v211, v123
	v_dual_mul_f32 v63, v219, v131 :: v_dual_fma_f32 v65, v202, v118, -v69
	s_delay_alu instid0(VALU_DEP_3) | instskip(SKIP_3) | instid1(VALU_DEP_3)
	v_dual_add_f32 v9, v9, v13 :: v_dual_add_f32 v11, v11, v67
	v_dual_mul_f32 v19, v210, v123 :: v_dual_mul_f32 v21, v212, v125
	s_wait_loadcnt_dscnt 0xe09
	v_dual_mul_f32 v13, v221, v133 :: v_dual_fma_f32 v67, v208, v120, -v71
	v_dual_fmac_f32 v17, v209, v120 :: v_dual_add_f32 v11, v11, v65
	s_delay_alu instid0(VALU_DEP_3) | instskip(SKIP_1) | instid1(VALU_DEP_2)
	v_dual_add_f32 v9, v9, v15 :: v_dual_fmac_f32 v19, v211, v122
	v_dual_mul_f32 v15, v223, v135 :: v_dual_fma_f32 v65, v210, v122, -v73
	v_dual_add_f32 v11, v11, v67 :: v_dual_add_f32 v9, v9, v17
	v_dual_mul_f32 v23, v214, v127 :: v_dual_mul_f32 v25, v216, v129
	s_wait_loadcnt_dscnt 0xd08
	v_dual_mul_f32 v17, v225, v137 :: v_dual_fma_f32 v67, v212, v124, -v75
	s_delay_alu instid0(VALU_DEP_3) | instskip(NEXT) | instid1(VALU_DEP_3)
	v_dual_fmac_f32 v21, v213, v124 :: v_dual_add_f32 v11, v11, v65
	v_dual_add_f32 v9, v9, v19 :: v_dual_fmac_f32 v23, v215, v126
	v_dual_mul_f32 v19, v227, v139 :: v_dual_fma_f32 v65, v214, v126, -v77
	s_delay_alu instid0(VALU_DEP_2) | instskip(SKIP_3) | instid1(VALU_DEP_3)
	v_dual_add_f32 v11, v11, v67 :: v_dual_add_f32 v9, v9, v21
	v_dual_mul_f32 v27, v218, v131 :: v_dual_mul_f32 v29, v220, v133
	s_wait_loadcnt_dscnt 0xc07
	v_dual_mul_f32 v21, v229, v141 :: v_dual_fma_f32 v67, v216, v128, -v79
	v_dual_fmac_f32 v25, v217, v128 :: v_dual_add_f32 v11, v11, v65
	s_delay_alu instid0(VALU_DEP_3) | instskip(SKIP_1) | instid1(VALU_DEP_2)
	v_dual_add_f32 v9, v9, v23 :: v_dual_fmac_f32 v27, v219, v130
	v_dual_mul_f32 v23, v231, v143 :: v_dual_fma_f32 v63, v218, v130, -v63
	v_dual_add_f32 v11, v11, v67 :: v_dual_add_f32 v9, v9, v25
	v_dual_mul_f32 v31, v222, v135 :: v_dual_mul_f32 v33, v224, v137
	s_wait_loadcnt_dscnt 0xb06
	v_dual_mul_f32 v25, v233, v145 :: v_dual_fma_f32 v13, v220, v132, -v13
	s_delay_alu instid0(VALU_DEP_3) | instskip(NEXT) | instid1(VALU_DEP_3)
	v_dual_fmac_f32 v29, v221, v132 :: v_dual_add_f32 v11, v11, v63
	v_dual_add_f32 v9, v9, v27 :: v_dual_fmac_f32 v31, v223, v134
	v_dual_mul_f32 v27, v235, v147 :: v_dual_fma_f32 v15, v222, v134, -v15
	s_delay_alu instid0(VALU_DEP_3) | instskip(NEXT) | instid1(VALU_DEP_3)
	v_dual_add_f32 v11, v11, v13 :: v_dual_fmac_f32 v33, v225, v136
	v_dual_add_f32 v9, v9, v29 :: v_dual_fma_f32 v17, v224, v136, -v17
	v_dual_mul_f32 v35, v226, v139 :: v_dual_mul_f32 v37, v228, v141
	s_wait_loadcnt_dscnt 0xa05
	s_delay_alu instid0(VALU_DEP_3) | instskip(NEXT) | instid1(VALU_DEP_2)
	v_dual_mul_f32 v13, v237, v149 :: v_dual_add_f32 v11, v11, v15
	v_dual_add_f32 v9, v9, v31 :: v_dual_fmac_f32 v35, v227, v138
	v_dual_mul_f32 v15, v239, v151 :: v_dual_fma_f32 v19, v226, v138, -v19
	s_delay_alu instid0(VALU_DEP_3) | instskip(NEXT) | instid1(VALU_DEP_3)
	v_dual_add_f32 v11, v11, v17 :: v_dual_fmac_f32 v37, v229, v140
	v_dual_add_f32 v9, v9, v33 :: v_dual_fma_f32 v21, v228, v140, -v21
	v_dual_mul_f32 v39, v230, v143 :: v_dual_mul_f32 v41, v232, v145
	s_wait_loadcnt_dscnt 0x904
	s_delay_alu instid0(VALU_DEP_3) | instskip(NEXT) | instid1(VALU_DEP_2)
	v_dual_mul_f32 v17, v241, v153 :: v_dual_add_f32 v11, v11, v19
	v_dual_add_f32 v9, v9, v35 :: v_dual_fmac_f32 v39, v231, v142
	v_dual_mul_f32 v19, v243, v155 :: v_dual_fma_f32 v23, v230, v142, -v23
	s_delay_alu instid0(VALU_DEP_3) | instskip(NEXT) | instid1(VALU_DEP_3)
	v_dual_add_f32 v11, v11, v21 :: v_dual_fmac_f32 v41, v233, v144
	v_dual_add_f32 v9, v9, v37 :: v_dual_fma_f32 v25, v232, v144, -v25
	v_dual_mul_f32 v43, v234, v147 :: v_dual_mul_f32 v45, v236, v149
	s_wait_loadcnt_dscnt 0x803
	s_delay_alu instid0(VALU_DEP_3) | instskip(NEXT) | instid1(VALU_DEP_2)
	v_dual_mul_f32 v21, v245, v157 :: v_dual_add_f32 v11, v11, v23
	v_dual_add_f32 v9, v9, v39 :: v_dual_fmac_f32 v43, v235, v146
	v_dual_mul_f32 v23, v247, v159 :: v_dual_fma_f32 v27, v234, v146, -v27
	s_delay_alu instid0(VALU_DEP_3) | instskip(NEXT) | instid1(VALU_DEP_3)
	v_dual_add_f32 v11, v11, v25 :: v_dual_fmac_f32 v45, v237, v148
	v_dual_add_f32 v9, v9, v41 :: v_dual_fma_f32 v13, v236, v148, -v13
	v_dual_mul_f32 v47, v238, v151 :: v_dual_mul_f32 v49, v240, v153
	s_wait_loadcnt_dscnt 0x702
	s_delay_alu instid0(VALU_DEP_3) | instskip(NEXT) | instid1(VALU_DEP_2)
	v_dual_mul_f32 v25, v249, v161 :: v_dual_add_f32 v11, v11, v27
	v_dual_add_f32 v9, v9, v43 :: v_dual_fmac_f32 v47, v239, v150
	v_dual_mul_f32 v27, v251, v163 :: v_dual_fma_f32 v15, v238, v150, -v15
	s_delay_alu instid0(VALU_DEP_3) | instskip(NEXT) | instid1(VALU_DEP_3)
	v_dual_add_f32 v11, v11, v13 :: v_dual_fmac_f32 v49, v241, v152
	v_dual_add_f32 v9, v9, v45 :: v_dual_fma_f32 v17, v240, v152, -v17
	v_dual_mul_f32 v51, v242, v155 :: v_dual_mul_f32 v53, v244, v157
	s_wait_loadcnt_dscnt 0x601
	s_delay_alu instid0(VALU_DEP_3) | instskip(NEXT) | instid1(VALU_DEP_2)
	v_dual_mul_f32 v13, v253, v165 :: v_dual_add_f32 v11, v11, v15
	v_dual_add_f32 v9, v9, v47 :: v_dual_fmac_f32 v51, v243, v154
	v_dual_mul_f32 v15, v255, v167 :: v_dual_fma_f32 v19, v242, v154, -v19
	s_delay_alu instid0(VALU_DEP_3) | instskip(NEXT) | instid1(VALU_DEP_3)
	v_dual_add_f32 v11, v11, v17 :: v_dual_fmac_f32 v53, v245, v156
	v_dual_add_f32 v9, v9, v49 :: v_dual_fma_f32 v21, v244, v156, -v21
	v_dual_mul_f32 v55, v246, v159 :: v_dual_mul_f32 v57, v248, v161
	s_wait_loadcnt 0x5
	s_delay_alu instid0(VALU_DEP_3) | instskip(NEXT) | instid1(VALU_DEP_3)
	v_dual_mul_f32 v17, v185, v169 :: v_dual_add_f32 v11, v11, v19
	v_dual_add_f32 v9, v9, v51 :: v_dual_mov_b32 v112, v171
	s_delay_alu instid0(VALU_DEP_3) | instskip(NEXT) | instid1(VALU_DEP_3)
	v_fmac_f32_e32 v55, v247, v158
	v_dual_fma_f32 v19, v246, v158, -v23 :: v_dual_add_f32 v11, v11, v21
	s_delay_alu instid0(VALU_DEP_3) | instskip(SKIP_1) | instid1(VALU_DEP_3)
	v_dual_add_f32 v9, v9, v53 :: v_dual_mul_f32 v59, v250, v163
	v_dual_mul_f32 v61, v252, v165 :: v_dual_fmac_f32 v57, v249, v160
	v_dual_add_f32 v11, v11, v19 :: v_dual_fma_f32 v21, v248, v160, -v25
	s_wait_loadcnt 0x4
	s_delay_alu instid0(VALU_DEP_3) | instskip(SKIP_3) | instid1(VALU_DEP_4)
	v_dual_add_f32 v9, v9, v55 :: v_dual_mov_b32 v116, v175
	v_fma_f32 v19, v250, v162, -v27
	v_fmac_f32_e32 v59, v251, v162
	v_dual_add_f32 v11, v11, v21 :: v_dual_fmac_f32 v61, v253, v164
	v_add_f32_e32 v9, v9, v57
	s_set_vgpr_msb 64                       ;  msbs: dst=1 src0=0 src1=0 src2=0
	v_dual_mul_f32 v15 /*v271*/, v254, v167 :: v_dual_mul_f32 v17 /*v273*/, v184, v169
	s_set_vgpr_msb 0                        ;  msbs: dst=0 src0=0 src1=0 src2=0
	v_fma_f32 v13, v252, v164, -v13
	s_set_vgpr_msb 1                        ;  msbs: dst=0 src0=1 src1=0 src2=0
	v_pk_mul_f32 v[112:113], v[6:7] /*v[262:263]*/, v[112:113] op_sel_hi:[1,0]
	s_set_vgpr_msb 0                        ;  msbs: dst=0 src0=0 src1=0 src2=0
	v_add_f32_e32 v9, v9, v59
	v_add_f32_e32 v11, v11, v19
	s_set_vgpr_msb 64                       ;  msbs: dst=1 src0=0 src1=0 src2=0
	v_dual_fmac_f32 v15 /*v271*/, v255, v166 :: v_dual_fmac_f32 v17 /*v273*/, v185, v168
	v_dual_fma_f32 v14 /*v270*/, v254, v166, -v15 :: v_dual_fma_f32 v16 /*v272*/, v184, v168, -v17
	s_set_vgpr_msb 0                        ;  msbs: dst=0 src0=0 src1=0 src2=0
	v_add_f32_e32 v121, v9, v61
	v_pk_fma_f32 v[124:125], v[186:187], v[170:171], v[112:113] op_sel_hi:[1,0,1]
	v_add_f32_e32 v120, v11, v13
	v_pk_fma_f32 v[112:113], v[186:187], v[170:171], v[112:113] neg_lo:[0,0,1] neg_hi:[0,0,1]
	v_pk_mul_f32 v[114:115], v[188:189], v[172:173] op_sel:[1,1] op_sel_hi:[0,1]
	s_set_vgpr_msb 1                        ;  msbs: dst=0 src0=1 src1=0 src2=0
	v_pk_mul_f32 v[116:117], v[8:9] /*v[264:265]*/, v[116:117] op_sel_hi:[1,0]
	s_set_vgpr_msb 4                        ;  msbs: dst=0 src0=0 src1=1 src2=0
	v_mov_b32_e32 v113, v125
	v_pk_add_f32 v[120:121], v[120:121], v[14:15] /*v[270:271]*/
	s_wait_loadcnt 0x3
	s_set_vgpr_msb 0                        ;  msbs: dst=0 src0=0 src1=0 src2=0
	v_pk_mul_f32 v[118:119], v[192:193], v[176:177] op_sel:[1,1] op_sel_hi:[0,1]
	v_pk_fma_f32 v[126:127], v[188:189], v[172:173], v[114:115] op_sel_hi:[1,0,1]
	v_pk_fma_f32 v[114:115], v[188:189], v[172:173], v[114:115] neg_lo:[0,0,1] neg_hi:[0,0,1]
	v_mov_b32_e32 v122, v179
	s_set_vgpr_msb 4                        ;  msbs: dst=0 src0=0 src1=1 src2=0
	v_pk_add_f32 v[120:121], v[120:121], v[16:17] /*v[272:273]*/
	s_wait_loadcnt 0x2
	s_set_vgpr_msb 0                        ;  msbs: dst=0 src0=0 src1=0 src2=0
	v_pk_mul_f32 v[124:125], v[204:205], v[180:181] op_sel:[1,1] op_sel_hi:[0,1]
	v_mov_b32_e32 v115, v127
	v_pk_fma_f32 v[126:127], v[190:191], v[174:175], v[116:117] op_sel_hi:[1,0,1]
	v_pk_fma_f32 v[116:117], v[190:191], v[174:175], v[116:117] neg_lo:[0,0,1] neg_hi:[0,0,1]
	v_pk_add_f32 v[112:113], v[120:121], v[112:113]
	v_pk_fma_f32 v[120:121], v[192:193], v[176:177], v[118:119] op_sel_hi:[1,0,1]
	s_set_vgpr_msb 1                        ;  msbs: dst=0 src0=1 src1=0 src2=0
	v_pk_mul_f32 v[122:123], v[10:11] /*v[266:267]*/, v[122:123] op_sel_hi:[1,0]
	s_set_vgpr_msb 0                        ;  msbs: dst=0 src0=0 src1=0 src2=0
	v_mov_b32_e32 v117, v127
	v_pk_fma_f32 v[118:119], v[192:193], v[176:177], v[118:119] neg_lo:[0,0,1] neg_hi:[0,0,1]
	v_pk_add_f32 v[112:113], v[112:113], v[114:115]
	v_dual_mov_b32 v114, v183 :: v_dual_mov_b32 v119, v121
	v_pk_fma_f32 v[120:121], v[194:195], v[178:179], v[122:123] op_sel_hi:[1,0,1]
	v_pk_fma_f32 v[122:123], v[194:195], v[178:179], v[122:123] neg_lo:[0,0,1] neg_hi:[0,0,1]
	s_delay_alu instid0(VALU_DEP_4)
	v_pk_add_f32 v[112:113], v[112:113], v[116:117]
	v_pk_fma_f32 v[116:117], v[204:205], v[180:181], v[124:125] op_sel_hi:[1,0,1]
	s_set_vgpr_msb 1                        ;  msbs: dst=0 src0=1 src1=0 src2=0
	v_pk_mul_f32 v[114:115], v[12:13] /*v[268:269]*/, v[114:115] op_sel_hi:[1,0]
	s_set_vgpr_msb 0                        ;  msbs: dst=0 src0=0 src1=0 src2=0
	v_mov_b32_e32 v123, v121
	s_wait_loadcnt_dscnt 0x100
	s_set_vgpr_msb 5                        ;  msbs: dst=0 src0=1 src1=1 src2=0
	v_pk_mul_f32 v[120:121], v[4:5] /*v[260:261]*/, v[0:1] /*v[256:257]*/ op_sel:[1,1] op_sel_hi:[0,1]
	s_set_vgpr_msb 0                        ;  msbs: dst=0 src0=0 src1=0 src2=0
	v_pk_add_f32 v[112:113], v[112:113], v[118:119]
	v_pk_fma_f32 v[118:119], v[204:205], v[180:181], v[124:125] neg_lo:[0,0,1] neg_hi:[0,0,1]
	v_mov_b32_e32 v119, v117
	v_pk_fma_f32 v[116:117], v[206:207], v[182:183], v[114:115] op_sel_hi:[1,0,1]
	v_pk_fma_f32 v[114:115], v[206:207], v[182:183], v[114:115] neg_lo:[0,0,1] neg_hi:[0,0,1]
	v_pk_add_f32 v[112:113], v[112:113], v[122:123]
	s_delay_alu instid0(VALU_DEP_3)
	v_mov_b32_e32 v115, v117
	s_set_vgpr_msb 5                        ;  msbs: dst=0 src0=1 src1=1 src2=0
	v_pk_fma_f32 v[116:117], v[4:5] /*v[260:261]*/, v[0:1] /*v[256:257]*/, v[120:121] op_sel_hi:[1,0,1]
	s_set_vgpr_msb 0                        ;  msbs: dst=0 src0=0 src1=0 src2=0
	v_pk_add_f32 v[112:113], v[112:113], v[118:119]
	s_set_vgpr_msb 5                        ;  msbs: dst=0 src0=1 src1=1 src2=0
	v_pk_fma_f32 v[118:119], v[4:5] /*v[260:261]*/, v[0:1] /*v[256:257]*/, v[120:121] neg_lo:[0,0,1] neg_hi:[0,0,1]
	s_set_vgpr_msb 0                        ;  msbs: dst=0 src0=0 src1=0 src2=0
	v_mov_b32_e32 v119, v117
	v_pk_add_f32 v[112:113], v[112:113], v[114:115]
	s_delay_alu instid0(VALU_DEP_1) | instskip(SKIP_2) | instid1(VALU_DEP_1)
	v_pk_add_f32 v[112:113], v[112:113], v[118:119]
	s_wait_loadcnt 0x0
	s_set_vgpr_msb 1                        ;  msbs: dst=0 src0=1 src1=0 src2=0
	v_pk_add_f32 v[112:113], v[2:3] /*v[258:259]*/, v[112:113] neg_lo:[0,1] neg_hi:[0,1]
	scratch_store_b64 off, v[112:113], off offset:136
	s_wait_xcnt 0x0
	v_cmpx_lt_u32_e32 16, v0
	s_set_vgpr_msb 0                        ;  msbs: dst=0 src0=0 src1=0 src2=0
	s_cbranch_execz .LBB54_311
; %bb.310:
	scratch_load_b64 v[112:113], off, off offset:128
	v_mov_b64_e32 v[114:115], 0
	scratch_store_b64 off, v[114:115], off offset:128
	s_wait_loadcnt 0x0
	ds_store_b64 v1, v[112:113]
.LBB54_311:
	s_wait_xcnt 0x0
	s_or_b32 exec_lo, exec_lo, s0
	s_wait_storecnt_dscnt 0x0
	s_barrier_signal -1
	s_barrier_wait -1
	s_clause 0x14
	scratch_load_b128 v[112:115], off, off offset:136
	scratch_load_b128 v[116:119], off, off offset:152
	;; [unrolled: 1-line block ×19, first 2 shown]
	s_set_vgpr_msb 64                       ;  msbs: dst=1 src0=0 src1=0 src2=0
	scratch_load_b64 v[8:9] /*v[264:265]*/, off, off offset:128
	s_set_vgpr_msb 0                        ;  msbs: dst=0 src0=0 src1=0 src2=0
	ds_load_2addr_b64 v[188:191], v5 offset0:103 offset1:104
	ds_load_2addr_b64 v[192:195], v5 offset0:105 offset1:106
	;; [unrolled: 1-line block ×17, first 2 shown]
	s_set_vgpr_msb 64                       ;  msbs: dst=1 src0=0 src1=0 src2=0
	ds_load_2addr_b64 v[0:3] /*v[256:259]*/, v5 offset0:97 offset1:98
	ds_load_2addr_b64 v[4:7] /*v[260:263]*/, v5 offset0:99 offset1:100
	s_mov_b32 s0, exec_lo
	s_wait_dscnt 0x12
	v_dual_mov_b32 v10 /*v266*/, v191 :: v_dual_mov_b32 v11 /*v267*/, v190
	s_wait_dscnt 0x11
	v_dual_mov_b32 v12 /*v268*/, v195 :: v_dual_mov_b32 v13 /*v269*/, v194
	;; [unrolled: 2-line block ×4, first 2 shown]
	s_wait_loadcnt_dscnt 0x130d
	s_set_vgpr_msb 0                        ;  msbs: dst=0 src0=0 src1=0 src2=0
	v_dual_mul_f32 v5, v208, v113 :: v_dual_mul_f32 v9, v210, v115
	v_dual_mul_f32 v63, v209, v113 :: v_dual_mul_f32 v65, v211, v115
	s_wait_loadcnt_dscnt 0x120c
	v_dual_mul_f32 v11, v212, v117 :: v_dual_mul_f32 v13, v214, v119
	s_delay_alu instid0(VALU_DEP_2) | instskip(SKIP_3) | instid1(VALU_DEP_3)
	v_dual_fmac_f32 v5, v209, v112 :: v_dual_fma_f32 v63, v208, v112, -v63
	v_dual_mul_f32 v67, v213, v117 :: v_dual_mul_f32 v69, v215, v119
	s_wait_loadcnt_dscnt 0x100a
	v_dual_mul_f32 v75, v221, v125 :: v_dual_fmac_f32 v9, v211, v114
	v_dual_fma_f32 v65, v210, v114, -v65 :: v_dual_add_f32 v5, 0, v5
	v_dual_add_f32 v63, 0, v63 :: v_dual_fmac_f32 v11, v213, v116
	v_dual_mul_f32 v77, v223, v127 :: v_dual_fma_f32 v67, v212, v116, -v67
	s_delay_alu instid0(VALU_DEP_3) | instskip(NEXT) | instid1(VALU_DEP_3)
	v_dual_add_f32 v5, v5, v9 :: v_dual_fmac_f32 v13, v215, v118
	v_dual_add_f32 v9, v63, v65 :: v_dual_fma_f32 v65, v214, v118, -v69
	v_dual_mul_f32 v15, v216, v121 :: v_dual_mul_f32 v17, v218, v123
	v_dual_mul_f32 v71, v217, v121 :: v_dual_mul_f32 v73, v219, v123
	s_delay_alu instid0(VALU_DEP_3) | instskip(NEXT) | instid1(VALU_DEP_3)
	v_add_f32_e32 v9, v9, v67
	v_dual_add_f32 v5, v5, v11 :: v_dual_fmac_f32 v17, v219, v122
	s_wait_loadcnt_dscnt 0xf09
	s_delay_alu instid0(VALU_DEP_3) | instskip(NEXT) | instid1(VALU_DEP_3)
	v_dual_fma_f32 v67, v216, v120, -v71 :: v_dual_mul_f32 v63, v225, v129
	v_dual_mul_f32 v11, v227, v131 :: v_dual_add_f32 v9, v9, v65
	v_dual_fmac_f32 v15, v217, v120 :: v_dual_fma_f32 v65, v218, v122, -v73
	v_add_f32_e32 v5, v5, v13
	v_dual_mul_f32 v19, v220, v125 :: v_dual_mul_f32 v21, v222, v127
	s_delay_alu instid0(VALU_DEP_4) | instskip(NEXT) | instid1(VALU_DEP_3)
	v_dual_add_f32 v9, v9, v67 :: v_dual_fma_f32 v63, v224, v128, -v63
	v_dual_add_f32 v5, v5, v15 :: v_dual_fma_f32 v67, v220, v124, -v75
	v_dual_mul_f32 v23, v224, v129 :: v_dual_mul_f32 v25, v226, v131
	s_delay_alu instid0(VALU_DEP_3) | instskip(SKIP_2) | instid1(VALU_DEP_3)
	v_dual_add_f32 v9, v9, v65 :: v_dual_fma_f32 v11, v226, v130, -v11
	s_wait_loadcnt_dscnt 0xe08
	v_dual_mul_f32 v27, v228, v133 :: v_dual_mul_f32 v29, v230, v135
	v_dual_fmac_f32 v19, v221, v124 :: v_dual_fmac_f32 v25, v227, v130
	v_dual_fma_f32 v65, v222, v126, -v77 :: v_dual_add_f32 v5, v5, v17
	s_delay_alu instid0(VALU_DEP_3)
	v_dual_add_f32 v9, v9, v67 :: v_dual_fmac_f32 v29, v231, v134
	s_wait_loadcnt_dscnt 0xd07
	v_dual_mul_f32 v31, v232, v137 :: v_dual_mul_f32 v33, v234, v139
	v_dual_mul_f32 v13, v229, v133 :: v_dual_fmac_f32 v21, v223, v126
	v_mul_f32_e32 v17, v233, v137
	v_add_f32_e32 v5, v5, v19
	v_dual_add_f32 v9, v9, v65 :: v_dual_mul_f32 v15, v231, v135
	s_delay_alu instid0(VALU_DEP_4) | instskip(NEXT) | instid1(VALU_DEP_3)
	v_fma_f32 v13, v228, v132, -v13
	v_dual_fmac_f32 v33, v235, v138 :: v_dual_add_f32 v5, v5, v21
	s_wait_loadcnt_dscnt 0xc06
	v_mul_f32_e32 v21, v237, v141
	s_wait_loadcnt_dscnt 0xb05
	v_dual_add_f32 v9, v9, v63 :: v_dual_mul_f32 v39, v240, v145
	v_dual_mul_f32 v41, v242, v147 :: v_dual_fmac_f32 v23, v225, v128
	s_delay_alu instid0(VALU_DEP_2) | instskip(SKIP_3) | instid1(VALU_DEP_3)
	v_dual_fma_f32 v21, v236, v140, -v21 :: v_dual_add_f32 v9, v9, v11
	s_wait_loadcnt_dscnt 0xa04
	v_dual_fma_f32 v15, v230, v134, -v15 :: v_dual_mul_f32 v43, v244, v149
	v_mul_f32_e32 v45, v246, v151
	v_dual_mul_f32 v19, v235, v139 :: v_dual_add_f32 v9, v9, v13
	v_dual_fmac_f32 v41, v243, v146 :: v_dual_mul_f32 v13, v243, v147
	s_delay_alu instid0(VALU_DEP_2) | instskip(SKIP_1) | instid1(VALU_DEP_4)
	v_dual_add_f32 v5, v5, v23 :: v_dual_fma_f32 v19, v234, v138, -v19
	v_dual_mul_f32 v23, v239, v143 :: v_dual_fma_f32 v17, v232, v136, -v17
	v_add_f32_e32 v9, v9, v15
	v_dual_mul_f32 v15, v245, v149 :: v_dual_fmac_f32 v43, v245, v148
	v_dual_fmac_f32 v27, v229, v132 :: v_dual_mul_f32 v35, v236, v141
	s_delay_alu instid0(VALU_DEP_2) | instskip(NEXT) | instid1(VALU_DEP_4)
	v_dual_mul_f32 v37, v238, v143 :: v_dual_fma_f32 v15, v244, v148, -v15
	v_dual_add_f32 v9, v9, v17 :: v_dual_mul_f32 v17, v247, v151
	s_wait_loadcnt_dscnt 0x802
	v_dual_mul_f32 v51, v252, v157 :: v_dual_mul_f32 v53, v254, v159
	s_delay_alu instid0(VALU_DEP_3) | instskip(NEXT) | instid1(VALU_DEP_3)
	v_dual_add_f32 v5, v5, v25 :: v_dual_fmac_f32 v37, v239, v142
	v_dual_fma_f32 v17, v246, v150, -v17 :: v_dual_add_f32 v9, v9, v19
	v_dual_mul_f32 v11, v241, v145 :: v_dual_fma_f32 v23, v238, v142, -v23
	s_delay_alu instid0(VALU_DEP_4)
	v_fmac_f32_e32 v53, v255, v158
	s_wait_loadcnt 0x4
	v_pk_mul_f32 v[112:113], v[188:189], v[172:173] op_sel:[1,1] op_sel_hi:[0,1]
	v_dual_add_f32 v9, v9, v21 :: v_dual_mul_f32 v21, v251, v155
	v_dual_add_f32 v5, v5, v27 :: v_dual_fma_f32 v11, v240, v144, -v11
	v_dual_fmac_f32 v31, v233, v136 :: v_dual_fma_f32 v13, v242, v146, -v13
	s_delay_alu instid0(VALU_DEP_3) | instskip(SKIP_3) | instid1(VALU_DEP_4)
	v_dual_add_f32 v9, v9, v23 :: v_dual_mov_b32 v114, v175
	v_pk_fma_f32 v[122:123], v[188:189], v[172:173], v[112:113] op_sel_hi:[1,0,1]
	v_pk_fma_f32 v[112:113], v[188:189], v[172:173], v[112:113] neg_lo:[0,0,1] neg_hi:[0,0,1]
	v_add_f32_e32 v5, v5, v29
	v_dual_add_f32 v9, v9, v11 :: v_dual_mul_f32 v47, v248, v153
	s_delay_alu instid0(VALU_DEP_4) | instskip(SKIP_1) | instid1(VALU_DEP_3)
	v_dual_mul_f32 v49, v250, v155 :: v_dual_mov_b32 v113, v123
	v_mul_f32_e32 v19, v249, v153
	v_dual_add_f32 v9, v9, v13 :: v_dual_mul_f32 v11, v255, v159
	v_dual_add_f32 v5, v5, v31 :: v_dual_fmac_f32 v45, v247, v150
	s_delay_alu instid0(VALU_DEP_4) | instskip(NEXT) | instid1(VALU_DEP_3)
	v_dual_fmac_f32 v35, v237, v140 :: v_dual_fmac_f32 v49, v251, v154
	v_add_f32_e32 v9, v9, v15
	v_fmac_f32_e32 v47, v249, v152
	s_delay_alu instid0(VALU_DEP_4) | instskip(SKIP_1) | instid1(VALU_DEP_4)
	v_dual_add_f32 v5, v5, v33 :: v_dual_fma_f32 v19, v248, v152, -v19
	v_dual_mul_f32 v23, v253, v157 :: v_dual_fmac_f32 v51, v253, v156
	v_add_f32_e32 v9, v9, v17
	s_delay_alu instid0(VALU_DEP_3) | instskip(SKIP_1) | instid1(VALU_DEP_3)
	v_dual_add_f32 v5, v5, v35 :: v_dual_fma_f32 v21, v250, v154, -v21
	v_fmac_f32_e32 v39, v241, v144
	v_dual_fma_f32 v23, v252, v156, -v23 :: v_dual_add_f32 v9, v9, v19
	s_delay_alu instid0(VALU_DEP_3)
	v_dual_add_f32 v5, v5, v37 :: v_dual_fma_f32 v11, v254, v158, -v11
	s_set_vgpr_msb 1                        ;  msbs: dst=0 src0=1 src1=0 src2=0
	v_pk_mul_f32 v[114:115], v[10:11] /*v[266:267]*/, v[114:115] op_sel_hi:[1,0]
	s_wait_loadcnt 0x3
	s_set_vgpr_msb 0                        ;  msbs: dst=0 src0=0 src1=0 src2=0
	v_pk_mul_f32 v[116:117], v[192:193], v[176:177] op_sel:[1,1] op_sel_hi:[0,1]
	v_dual_add_f32 v9, v9, v21 :: v_dual_mov_b32 v118, v179
	s_wait_dscnt 0x1
	s_set_vgpr_msb 1                        ;  msbs: dst=0 src0=1 src1=0 src2=0
	v_dual_mul_f32 v55, v0 /*v256*/, v161 :: v_dual_mul_f32 v57, v2 /*v258*/, v163
	s_set_vgpr_msb 0                        ;  msbs: dst=0 src0=0 src1=0 src2=0
	v_pk_fma_f32 v[122:123], v[190:191], v[174:175], v[114:115] op_sel_hi:[1,0,1]
	v_add_f32_e32 v9, v9, v23
	v_mul_f32_e32 v23, v199, v171
	v_add_f32_e32 v5, v5, v39
	v_pk_fma_f32 v[114:115], v[190:191], v[174:175], v[114:115] neg_lo:[0,0,1] neg_hi:[0,0,1]
	v_pk_fma_f32 v[126:127], v[192:193], v[176:177], v[116:117] op_sel_hi:[1,0,1]
	v_mov_b32_e32 v115, v123
	v_pk_fma_f32 v[116:117], v[192:193], v[176:177], v[116:117] neg_lo:[0,0,1] neg_hi:[0,0,1]
	v_add_f32_e32 v5, v5, v41
	s_set_vgpr_msb 1                        ;  msbs: dst=0 src0=1 src1=0 src2=0
	v_dual_mul_f32 v13, v1 /*v257*/, v161 :: v_dual_mul_f32 v15, v3 /*v259*/, v163
	s_set_vgpr_msb 0                        ;  msbs: dst=0 src0=0 src1=0 src2=0
	v_mov_b32_e32 v117, v127
	s_set_vgpr_msb 1                        ;  msbs: dst=0 src0=1 src1=0 src2=0
	v_fmac_f32_e32 v55, v1 /*v257*/, v160
	s_set_vgpr_msb 0                        ;  msbs: dst=0 src0=0 src1=0 src2=0
	v_add_f32_e32 v5, v5, v43
	s_set_vgpr_msb 1                        ;  msbs: dst=0 src0=1 src1=0 src2=0
	v_fma_f32 v13, v0 /*v256*/, v160, -v13
	s_set_vgpr_msb 0                        ;  msbs: dst=0 src0=0 src1=0 src2=0
	v_add_f32_e32 v9, v9, v11
	s_wait_dscnt 0x0
	s_set_vgpr_msb 1                        ;  msbs: dst=0 src0=1 src1=0 src2=0
	v_dual_mul_f32 v59, v4 /*v260*/, v165 :: v_dual_mul_f32 v61, v6 /*v262*/, v167
	s_set_vgpr_msb 0                        ;  msbs: dst=0 src0=0 src1=0 src2=0
	v_add_f32_e32 v5, v5, v45
	s_set_vgpr_msb 1                        ;  msbs: dst=0 src0=1 src1=0 src2=0
	v_dual_mul_f32 v17, v5 /*v261*/, v165 :: v_dual_mul_f32 v19, v7 /*v263*/, v167
	v_dual_fmac_f32 v57, v3 /*v259*/, v162 :: v_dual_fma_f32 v11, v2 /*v258*/, v162, -v15
	s_set_vgpr_msb 0                        ;  msbs: dst=0 src0=0 src1=0 src2=0
	v_add_f32_e32 v5, v5, v47
	v_add_f32_e32 v9, v9, v13
	s_set_vgpr_msb 1                        ;  msbs: dst=0 src0=1 src1=0 src2=0
	v_dual_fmac_f32 v59, v5 /*v261*/, v164 :: v_dual_fma_f32 v13, v4 /*v260*/, v164, -v17
	s_set_vgpr_msb 64                       ;  msbs: dst=1 src0=0 src1=0 src2=0
	v_dual_mul_f32 v19 /*v275*/, v196, v169 :: v_dual_mul_f32 v21 /*v277*/, v198, v171
	s_set_vgpr_msb 0                        ;  msbs: dst=0 src0=0 src1=0 src2=0
	v_add_f32_e32 v5, v5, v49
	v_add_f32_e32 v9, v9, v11
	v_mul_f32_e32 v21, v197, v169
	s_set_vgpr_msb 1                        ;  msbs: dst=0 src0=1 src1=0 src2=0
	v_dual_fmac_f32 v61, v7 /*v263*/, v166 :: v_dual_fma_f32 v11, v6 /*v262*/, v166, -v19
	s_set_vgpr_msb 0                        ;  msbs: dst=0 src0=0 src1=0 src2=0
	v_add_f32_e32 v5, v5, v51
	v_add_f32_e32 v9, v9, v13
	s_set_vgpr_msb 64                       ;  msbs: dst=1 src0=0 src1=0 src2=0
	v_dual_fmac_f32 v19 /*v275*/, v197, v168 :: v_dual_fmac_f32 v21 /*v277*/, v199, v170
	v_dual_fma_f32 v18 /*v274*/, v196, v168, -v21 :: v_dual_fma_f32 v20 /*v276*/, v198, v170, -v23
	s_set_vgpr_msb 0                        ;  msbs: dst=0 src0=0 src1=0 src2=0
	v_add_f32_e32 v5, v5, v53
	v_add_f32_e32 v120, v9, v11
	s_set_vgpr_msb 1                        ;  msbs: dst=0 src0=1 src1=0 src2=0
	v_pk_mul_f32 v[118:119], v[12:13] /*v[268:269]*/, v[118:119] op_sel_hi:[1,0]
	s_wait_loadcnt 0x2
	s_set_vgpr_msb 0                        ;  msbs: dst=0 src0=0 src1=0 src2=0
	v_pk_mul_f32 v[124:125], v[200:201], v[180:181] op_sel:[1,1] op_sel_hi:[0,1]
	v_add_f32_e32 v5, v5, v55
	v_pk_fma_f32 v[122:123], v[194:195], v[178:179], v[118:119] op_sel_hi:[1,0,1]
	v_pk_fma_f32 v[118:119], v[194:195], v[178:179], v[118:119] neg_lo:[0,0,1] neg_hi:[0,0,1]
	s_delay_alu instid0(VALU_DEP_2) | instskip(SKIP_1) | instid1(VALU_DEP_2)
	v_dual_add_f32 v5, v5, v57 :: v_dual_mov_b32 v119, v123
	v_pk_fma_f32 v[122:123], v[200:201], v[180:181], v[124:125] neg_lo:[0,0,1] neg_hi:[0,0,1]
	v_add_f32_e32 v5, v5, v59
	s_delay_alu instid0(VALU_DEP_1) | instskip(SKIP_1) | instid1(VALU_DEP_1)
	v_add_f32_e32 v121, v5, v61
	s_set_vgpr_msb 4                        ;  msbs: dst=0 src0=0 src1=1 src2=0
	v_pk_add_f32 v[120:121], v[120:121], v[18:19] /*v[274:275]*/
	s_delay_alu instid0(VALU_DEP_1) | instskip(SKIP_1) | instid1(VALU_DEP_1)
	v_pk_add_f32 v[120:121], v[120:121], v[20:21] /*v[276:277]*/
	s_set_vgpr_msb 0                        ;  msbs: dst=0 src0=0 src1=0 src2=0
	v_pk_add_f32 v[112:113], v[120:121], v[112:113]
	v_mov_b32_e32 v120, v183
	s_delay_alu instid0(VALU_DEP_2) | instskip(SKIP_2) | instid1(VALU_DEP_3)
	v_pk_add_f32 v[112:113], v[112:113], v[114:115]
	v_pk_fma_f32 v[114:115], v[200:201], v[180:181], v[124:125] op_sel_hi:[1,0,1]
	s_set_vgpr_msb 1                        ;  msbs: dst=0 src0=1 src1=0 src2=0
	v_pk_mul_f32 v[120:121], v[14:15] /*v[270:271]*/, v[120:121] op_sel_hi:[1,0]
	s_set_vgpr_msb 0                        ;  msbs: dst=0 src0=0 src1=0 src2=0
	v_pk_add_f32 v[112:113], v[112:113], v[116:117]
	v_mov_b32_e32 v123, v115
	s_delay_alu instid0(VALU_DEP_3)
	v_pk_fma_f32 v[114:115], v[202:203], v[182:183], v[120:121] op_sel_hi:[1,0,1]
	s_wait_loadcnt 0x1
	v_pk_mul_f32 v[116:117], v[204:205], v[184:185] op_sel:[1,1] op_sel_hi:[0,1]
	v_mov_b32_e32 v114, v187
	v_pk_add_f32 v[112:113], v[112:113], v[118:119]
	v_pk_fma_f32 v[120:121], v[202:203], v[182:183], v[120:121] neg_lo:[0,0,1] neg_hi:[0,0,1]
	v_mov_b32_e32 v121, v115
	v_pk_fma_f32 v[118:119], v[204:205], v[184:185], v[116:117] op_sel_hi:[1,0,1]
	s_set_vgpr_msb 1                        ;  msbs: dst=0 src0=1 src1=0 src2=0
	v_pk_mul_f32 v[114:115], v[16:17] /*v[272:273]*/, v[114:115] op_sel_hi:[1,0]
	s_set_vgpr_msb 0                        ;  msbs: dst=0 src0=0 src1=0 src2=0
	v_pk_add_f32 v[112:113], v[112:113], v[122:123]
	v_pk_fma_f32 v[116:117], v[204:205], v[184:185], v[116:117] neg_lo:[0,0,1] neg_hi:[0,0,1]
	v_mov_b32_e32 v117, v119
	v_pk_fma_f32 v[118:119], v[206:207], v[186:187], v[114:115] op_sel_hi:[1,0,1]
	s_delay_alu instid0(VALU_DEP_4) | instskip(SKIP_1) | instid1(VALU_DEP_3)
	v_pk_add_f32 v[112:113], v[112:113], v[120:121]
	v_pk_fma_f32 v[114:115], v[206:207], v[186:187], v[114:115] neg_lo:[0,0,1] neg_hi:[0,0,1]
	v_mov_b32_e32 v115, v119
	s_delay_alu instid0(VALU_DEP_3) | instskip(NEXT) | instid1(VALU_DEP_1)
	v_pk_add_f32 v[112:113], v[112:113], v[116:117]
	v_pk_add_f32 v[112:113], v[112:113], v[114:115]
	s_wait_loadcnt 0x0
	s_set_vgpr_msb 1                        ;  msbs: dst=0 src0=1 src1=0 src2=0
	s_delay_alu instid0(VALU_DEP_1)
	v_pk_add_f32 v[112:113], v[8:9] /*v[264:265]*/, v[112:113] neg_lo:[0,1] neg_hi:[0,1]
	scratch_store_b64 off, v[112:113], off offset:128
	s_wait_xcnt 0x0
	v_cmpx_lt_u32_e32 15, v0
	s_set_vgpr_msb 0                        ;  msbs: dst=0 src0=0 src1=0 src2=0
	s_cbranch_execz .LBB54_313
; %bb.312:
	scratch_load_b64 v[112:113], off, off offset:120
	v_mov_b64_e32 v[114:115], 0
	scratch_store_b64 off, v[114:115], off offset:120
	s_wait_loadcnt 0x0
	ds_store_b64 v1, v[112:113]
.LBB54_313:
	s_wait_xcnt 0x0
	s_or_b32 exec_lo, exec_lo, s0
	v_mov_b32_e32 v5, 0
	s_wait_storecnt_dscnt 0x0
	s_barrier_signal -1
	s_barrier_wait -1
	ds_load_b128 v[112:115], v5 offset:576
	ds_load_b128 v[116:119], v5 offset:592
	;; [unrolled: 1-line block ×4, first 2 shown]
	s_clause 0xf
	scratch_load_b128 v[128:131], off, off offset:128
	scratch_load_b128 v[132:135], off, off offset:144
	;; [unrolled: 1-line block ×16, first 2 shown]
	s_mov_b32 s0, exec_lo
	s_wait_loadcnt_dscnt 0xf03
	v_mul_f32_e32 v9, v112, v129
	ds_load_b128 v[224:227], v5 offset:800
	ds_load_b128 v[232:235], v5 offset:816
	;; [unrolled: 1-line block ×4, first 2 shown]
	v_dual_fmac_f32 v9, v113, v128 :: v_dual_mul_f32 v11, v114, v131
	ds_load_b128 v[160:163], v5 offset:672
	ds_load_b128 v[168:171], v5 offset:688
	;; [unrolled: 1-line block ×4, first 2 shown]
	v_dual_add_f32 v9, 0, v9 :: v_dual_fmac_f32 v11, v115, v130
	ds_load_b128 v[192:195], v5 offset:736
	ds_load_b128 v[200:203], v5 offset:752
	ds_load_b128 v[208:211], v5 offset:768
	ds_load_b128 v[216:219], v5 offset:784
	s_wait_loadcnt_dscnt 0xe0e
	v_dual_add_f32 v9, v9, v11 :: v_dual_mul_f32 v11, v116, v133
	s_clause 0x4
	scratch_load_b128 v[240:243], off, off offset:384
	scratch_load_b128 v[244:247], off, off offset:400
	;; [unrolled: 1-line block ×3, first 2 shown]
	s_set_vgpr_msb 64                       ;  msbs: dst=1 src0=0 src1=0 src2=0
	scratch_load_b64 v[2:3] /*v[258:259]*/, off, off offset:432
	s_wait_loadcnt_dscnt 0x110b
	s_set_vgpr_msb 0                        ;  msbs: dst=0 src0=0 src1=0 src2=0
	v_dual_mul_f32 v255, v226, v231 :: v_dual_fmac_f32 v11, v117, v132
	s_delay_alu instid0(VALU_DEP_1) | instskip(SKIP_1) | instid1(VALU_DEP_1)
	v_dual_fmac_f32 v255, v227, v230 :: v_dual_add_f32 v9, v9, v11
	v_mul_f32_e32 v11, v118, v135
	v_fmac_f32_e32 v11, v119, v134
	s_wait_loadcnt 0xf
	s_delay_alu instid0(VALU_DEP_1) | instskip(NEXT) | instid1(VALU_DEP_1)
	v_dual_add_f32 v9, v9, v11 :: v_dual_mul_f32 v11, v120, v137
	v_fmac_f32_e32 v11, v121, v136
	s_delay_alu instid0(VALU_DEP_1) | instskip(SKIP_1) | instid1(VALU_DEP_1)
	v_add_f32_e32 v9, v9, v11
	v_mul_f32_e32 v11, v122, v139
	v_fmac_f32_e32 v11, v123, v138
	s_wait_loadcnt 0xe
	s_delay_alu instid0(VALU_DEP_1) | instskip(NEXT) | instid1(VALU_DEP_1)
	v_dual_add_f32 v9, v9, v11 :: v_dual_mul_f32 v11, v124, v141
	v_fmac_f32_e32 v11, v125, v140
	s_delay_alu instid0(VALU_DEP_1) | instskip(SKIP_1) | instid1(VALU_DEP_1)
	v_add_f32_e32 v9, v9, v11
	v_mul_f32_e32 v11, v126, v143
	v_fmac_f32_e32 v11, v127, v142
	s_wait_loadcnt_dscnt 0xd09
	s_delay_alu instid0(VALU_DEP_1) | instskip(NEXT) | instid1(VALU_DEP_1)
	v_dual_add_f32 v9, v9, v11 :: v_dual_mul_f32 v11, v144, v149
	v_fmac_f32_e32 v11, v145, v148
	s_delay_alu instid0(VALU_DEP_1) | instskip(SKIP_1) | instid1(VALU_DEP_1)
	v_add_f32_e32 v9, v9, v11
	v_mul_f32_e32 v11, v146, v151
	v_fmac_f32_e32 v11, v147, v150
	s_wait_loadcnt_dscnt 0xc08
	;; [unrolled: 8-line block ×10, first 2 shown]
	s_delay_alu instid0(VALU_DEP_1) | instskip(NEXT) | instid1(VALU_DEP_1)
	v_dual_add_f32 v9, v9, v11 :: v_dual_mul_f32 v11, v216, v221
	v_fmac_f32_e32 v11, v217, v220
	s_delay_alu instid0(VALU_DEP_1) | instskip(SKIP_1) | instid1(VALU_DEP_1)
	v_add_f32_e32 v9, v9, v11
	v_mul_f32_e32 v11, v218, v223
	v_fmac_f32_e32 v11, v219, v222
	s_delay_alu instid0(VALU_DEP_1) | instskip(NEXT) | instid1(VALU_DEP_1)
	v_dual_add_f32 v9, v9, v11 :: v_dual_mul_f32 v11, v224, v229
	v_fmac_f32_e32 v11, v225, v228
	s_delay_alu instid0(VALU_DEP_1) | instskip(SKIP_1) | instid1(VALU_DEP_1)
	v_add_f32_e32 v253, v9, v11
	v_dual_mul_f32 v9, v113, v129 :: v_dual_mul_f32 v11, v115, v131
	v_dual_mov_b32 v129, v234 :: v_dual_fma_f32 v9, v112, v128, -v9
	s_delay_alu instid0(VALU_DEP_2) | instskip(NEXT) | instid1(VALU_DEP_2)
	v_dual_fma_f32 v11, v114, v130, -v11 :: v_dual_mov_b32 v128, v235
	v_dual_mov_b32 v130, v239 :: v_dual_add_f32 v9, 0, v9
	s_delay_alu instid0(VALU_DEP_1) | instskip(NEXT) | instid1(VALU_DEP_2)
	v_pk_mul_f32 v[128:129], v[128:129], v[130:131] op_sel_hi:[1,0]
	v_add_f32_e32 v9, v9, v11
	v_mul_f32_e32 v11, v117, v133
	s_delay_alu instid0(VALU_DEP_3) | instskip(SKIP_1) | instid1(VALU_DEP_1)
	v_pk_fma_f32 v[130:131], v[234:235], v[238:239], v[128:129] neg_lo:[0,0,1] neg_hi:[0,0,1]
	v_pk_fma_f32 v[128:129], v[234:235], v[238:239], v[128:129] op_sel_hi:[1,0,1]
	v_dual_fma_f32 v11, v116, v132, -v11 :: v_dual_mov_b32 v131, v129
	s_delay_alu instid0(VALU_DEP_1) | instskip(SKIP_1) | instid1(VALU_DEP_1)
	v_add_f32_e32 v9, v9, v11
	v_mul_f32_e32 v11, v119, v135
	v_fma_f32 v11, v118, v134, -v11
	s_delay_alu instid0(VALU_DEP_1) | instskip(SKIP_1) | instid1(VALU_DEP_1)
	v_add_f32_e32 v9, v9, v11
	v_mul_f32_e32 v11, v121, v137
	v_fma_f32 v11, v120, v136, -v11
	;; [unrolled: 4-line block ×4, first 2 shown]
	ds_load_b128 v[112:115], v5 offset:832
	ds_load_b128 v[116:119], v5 offset:848
	;; [unrolled: 1-line block ×3, first 2 shown]
	ds_load_b64 v[124:125], v5 offset:880
	v_add_f32_e32 v9, v9, v11
	v_mul_f32_e32 v11, v127, v143
	s_delay_alu instid0(VALU_DEP_1) | instskip(NEXT) | instid1(VALU_DEP_1)
	v_fma_f32 v11, v126, v142, -v11
	v_add_f32_e32 v9, v9, v11
	v_mul_f32_e32 v11, v145, v149
	s_wait_loadcnt_dscnt 0x303
	v_pk_mul_f32 v[128:129], v[112:113], v[240:241] op_sel:[1,1] op_sel_hi:[0,1]
	s_delay_alu instid0(VALU_DEP_2) | instskip(NEXT) | instid1(VALU_DEP_1)
	v_fma_f32 v11, v144, v148, -v11
	v_add_f32_e32 v9, v9, v11
	v_mul_f32_e32 v11, v147, v151
	s_delay_alu instid0(VALU_DEP_1) | instskip(NEXT) | instid1(VALU_DEP_1)
	v_fma_f32 v11, v146, v150, -v11
	v_add_f32_e32 v9, v9, v11
	v_mul_f32_e32 v11, v153, v157
	s_delay_alu instid0(VALU_DEP_1) | instskip(NEXT) | instid1(VALU_DEP_1)
	;; [unrolled: 4-line block ×20, first 2 shown]
	v_fma_f32 v11, v224, v228, -v11
	v_add_f32_e32 v252, v9, v11
	v_mul_f32_e32 v9, v227, v231
	s_delay_alu instid0(VALU_DEP_1) | instskip(SKIP_3) | instid1(VALU_DEP_2)
	v_dual_fma_f32 v254, v226, v230, -v9 :: v_dual_mul_f32 v9, v233, v237
	s_set_vgpr_msb 64                       ;  msbs: dst=1 src0=0 src1=0 src2=0
	v_mul_f32_e32 v1 /*v257*/, v232, v237
	s_set_vgpr_msb 0                        ;  msbs: dst=0 src0=0 src1=0 src2=0
	v_pk_add_f32 v[126:127], v[252:253], v[254:255]
	s_set_vgpr_msb 64                       ;  msbs: dst=1 src0=0 src1=0 src2=0
	v_fma_f32 v0 /*v256*/, v232, v236, -v9
	v_fmac_f32_e32 v1 /*v257*/, v233, v236
	s_set_vgpr_msb 4                        ;  msbs: dst=0 src0=0 src1=1 src2=0
	s_delay_alu instid0(VALU_DEP_1) | instskip(SKIP_1) | instid1(VALU_DEP_1)
	v_pk_add_f32 v[126:127], v[126:127], v[0:1] /*v[256:257]*/
	s_set_vgpr_msb 0                        ;  msbs: dst=0 src0=0 src1=0 src2=0
	v_pk_add_f32 v[126:127], v[126:127], v[130:131]
	v_pk_fma_f32 v[130:131], v[112:113], v[240:241], v[128:129] neg_lo:[0,0,1] neg_hi:[0,0,1]
	v_pk_fma_f32 v[112:113], v[112:113], v[240:241], v[128:129] op_sel_hi:[1,0,1]
	s_delay_alu instid0(VALU_DEP_1) | instskip(NEXT) | instid1(VALU_DEP_1)
	v_dual_mov_b32 v128, v243 :: v_dual_mov_b32 v131, v113
	v_pk_add_f32 v[112:113], v[126:127], v[130:131]
	v_dual_mov_b32 v126, v115 :: v_dual_mov_b32 v127, v114
	s_delay_alu instid0(VALU_DEP_1) | instskip(NEXT) | instid1(VALU_DEP_1)
	v_pk_mul_f32 v[126:127], v[126:127], v[128:129] op_sel_hi:[1,0]
	v_pk_fma_f32 v[128:129], v[114:115], v[242:243], v[126:127] neg_lo:[0,0,1] neg_hi:[0,0,1]
	v_pk_fma_f32 v[114:115], v[114:115], v[242:243], v[126:127] op_sel_hi:[1,0,1]
	s_delay_alu instid0(VALU_DEP_1) | instskip(SKIP_2) | instid1(VALU_DEP_2)
	v_mov_b32_e32 v129, v115
	s_wait_loadcnt_dscnt 0x202
	v_pk_mul_f32 v[114:115], v[116:117], v[244:245] op_sel:[1,1] op_sel_hi:[0,1]
	v_pk_add_f32 v[112:113], v[112:113], v[128:129]
	s_delay_alu instid0(VALU_DEP_2) | instskip(SKIP_2) | instid1(VALU_DEP_2)
	v_pk_fma_f32 v[126:127], v[116:117], v[244:245], v[114:115] neg_lo:[0,0,1] neg_hi:[0,0,1]
	v_pk_fma_f32 v[114:115], v[116:117], v[244:245], v[114:115] op_sel_hi:[1,0,1]
	v_dual_mov_b32 v114, v119 :: v_dual_mov_b32 v116, v247
	v_dual_mov_b32 v127, v115 :: v_dual_mov_b32 v115, v118
	s_delay_alu instid0(VALU_DEP_1) | instskip(NEXT) | instid1(VALU_DEP_2)
	v_pk_add_f32 v[112:113], v[112:113], v[126:127]
	v_pk_mul_f32 v[114:115], v[114:115], v[116:117] op_sel_hi:[1,0]
	s_delay_alu instid0(VALU_DEP_1) | instskip(SKIP_1) | instid1(VALU_DEP_1)
	v_pk_fma_f32 v[116:117], v[118:119], v[246:247], v[114:115] neg_lo:[0,0,1] neg_hi:[0,0,1]
	v_pk_fma_f32 v[114:115], v[118:119], v[246:247], v[114:115] op_sel_hi:[1,0,1]
	v_mov_b32_e32 v117, v115
	s_wait_loadcnt_dscnt 0x101
	v_pk_mul_f32 v[114:115], v[120:121], v[248:249] op_sel:[1,1] op_sel_hi:[0,1]
	s_delay_alu instid0(VALU_DEP_2) | instskip(NEXT) | instid1(VALU_DEP_2)
	v_pk_add_f32 v[112:113], v[112:113], v[116:117]
	v_pk_fma_f32 v[116:117], v[120:121], v[248:249], v[114:115] neg_lo:[0,0,1] neg_hi:[0,0,1]
	v_pk_fma_f32 v[114:115], v[120:121], v[248:249], v[114:115] op_sel_hi:[1,0,1]
	s_delay_alu instid0(VALU_DEP_1) | instskip(SKIP_1) | instid1(VALU_DEP_2)
	v_dual_mov_b32 v114, v123 :: v_dual_mov_b32 v117, v115
	v_mov_b32_e32 v115, v122
	v_pk_add_f32 v[112:113], v[112:113], v[116:117]
	v_mov_b32_e32 v116, v251
	s_delay_alu instid0(VALU_DEP_1) | instskip(NEXT) | instid1(VALU_DEP_1)
	v_pk_mul_f32 v[114:115], v[114:115], v[116:117] op_sel_hi:[1,0]
	v_pk_fma_f32 v[116:117], v[122:123], v[250:251], v[114:115] neg_lo:[0,0,1] neg_hi:[0,0,1]
	v_pk_fma_f32 v[114:115], v[122:123], v[250:251], v[114:115] op_sel_hi:[1,0,1]
	s_delay_alu instid0(VALU_DEP_1)
	v_mov_b32_e32 v117, v115
	s_wait_loadcnt_dscnt 0x0
	s_set_vgpr_msb 4                        ;  msbs: dst=0 src0=0 src1=1 src2=0
	v_pk_mul_f32 v[114:115], v[124:125], v[2:3] /*v[258:259]*/ op_sel:[1,1] op_sel_hi:[0,1]
	s_set_vgpr_msb 0                        ;  msbs: dst=0 src0=0 src1=0 src2=0
	v_pk_add_f32 v[112:113], v[112:113], v[116:117]
	s_set_vgpr_msb 4                        ;  msbs: dst=0 src0=0 src1=1 src2=0
	s_delay_alu instid0(VALU_DEP_2) | instskip(SKIP_1) | instid1(VALU_DEP_1)
	v_pk_fma_f32 v[116:117], v[124:125], v[2:3] /*v[258:259]*/, v[114:115] neg_lo:[0,0,1] neg_hi:[0,0,1]
	v_pk_fma_f32 v[114:115], v[124:125], v[2:3] /*v[258:259]*/, v[114:115] op_sel_hi:[1,0,1]
	v_mov_b32_e32 v117, v115
	scratch_load_b64 v[114:115], off, off offset:120
	s_set_vgpr_msb 0                        ;  msbs: dst=0 src0=0 src1=0 src2=0
	v_pk_add_f32 v[112:113], v[112:113], v[116:117]
	s_wait_loadcnt 0x0
	s_delay_alu instid0(VALU_DEP_1)
	v_pk_add_f32 v[112:113], v[114:115], v[112:113] neg_lo:[0,1] neg_hi:[0,1]
	scratch_store_b64 off, v[112:113], off offset:120
	s_wait_xcnt 0x0
	v_cmpx_lt_u32_e32 14, v0
	s_cbranch_execz .LBB54_315
; %bb.314:
	scratch_load_b64 v[112:113], off, off offset:112
	v_mov_b64_e32 v[114:115], 0
	scratch_store_b64 off, v[114:115], off offset:112
	s_wait_loadcnt 0x0
	ds_store_b64 v1, v[112:113]
.LBB54_315:
	s_wait_xcnt 0x0
	s_or_b32 exec_lo, exec_lo, s0
	s_wait_storecnt_dscnt 0x0
	s_barrier_signal -1
	s_barrier_wait -1
	s_clause 0xf
	scratch_load_b128 v[116:119], off, off offset:120
	scratch_load_b128 v[124:127], off, off offset:136
	;; [unrolled: 1-line block ×16, first 2 shown]
	ds_load_2addr_b64 v[112:115], v5 offset0:71 offset1:72
	ds_load_2addr_b64 v[120:123], v5 offset0:73 offset1:74
	;; [unrolled: 1-line block ×16, first 2 shown]
	s_clause 0x3
	scratch_load_b128 v[240:243], off, off offset:376
	scratch_load_b128 v[244:247], off, off offset:392
	;; [unrolled: 1-line block ×4, first 2 shown]
	s_mov_b32 s0, exec_lo
	s_wait_loadcnt_dscnt 0x130f
	v_dual_mul_f32 v9, v112, v117 :: v_dual_mul_f32 v11, v114, v119
	s_delay_alu instid0(VALU_DEP_1) | instskip(NEXT) | instid1(VALU_DEP_1)
	v_dual_fmac_f32 v9, v113, v116 :: v_dual_fmac_f32 v11, v115, v118
	v_add_f32_e32 v9, 0, v9
	s_wait_loadcnt_dscnt 0x120e
	s_delay_alu instid0(VALU_DEP_1)
	v_dual_add_f32 v9, v9, v11 :: v_dual_mul_f32 v11, v120, v125
	s_wait_loadcnt_dscnt 0x408
	s_set_vgpr_msb 64                       ;  msbs: dst=1 src0=0 src1=0 src2=0
	v_dual_mul_f32 v3 /*v259*/, v232, v237 :: v_dual_mul_f32 v5 /*v261*/, v234, v239
	s_set_vgpr_msb 0                        ;  msbs: dst=0 src0=0 src1=0 src2=0
	v_fmac_f32_e32 v11, v121, v124
	s_set_vgpr_msb 64                       ;  msbs: dst=1 src0=0 src1=0 src2=0
	s_delay_alu instid0(VALU_DEP_2) | instskip(SKIP_1) | instid1(VALU_DEP_2)
	v_fmac_f32_e32 v3 /*v259*/, v233, v236
	s_set_vgpr_msb 0                        ;  msbs: dst=0 src0=0 src1=0 src2=0
	v_add_f32_e32 v9, v9, v11
	v_mul_f32_e32 v11, v122, v127
	s_delay_alu instid0(VALU_DEP_1) | instskip(NEXT) | instid1(VALU_DEP_1)
	v_fmac_f32_e32 v11, v123, v126
	v_dual_add_f32 v9, v9, v11 :: v_dual_mul_f32 v11, v128, v133
	s_delay_alu instid0(VALU_DEP_1) | instskip(NEXT) | instid1(VALU_DEP_1)
	v_fmac_f32_e32 v11, v129, v132
	v_add_f32_e32 v9, v9, v11
	v_mul_f32_e32 v11, v130, v135
	s_delay_alu instid0(VALU_DEP_1) | instskip(NEXT) | instid1(VALU_DEP_1)
	v_fmac_f32_e32 v11, v131, v134
	v_dual_add_f32 v9, v9, v11 :: v_dual_mul_f32 v11, v136, v141
	s_delay_alu instid0(VALU_DEP_1) | instskip(NEXT) | instid1(VALU_DEP_1)
	v_fmac_f32_e32 v11, v137, v140
	;; [unrolled: 7-line block ×4, first 2 shown]
	v_add_f32_e32 v9, v9, v11
	v_mul_f32_e32 v11, v154, v159
	s_delay_alu instid0(VALU_DEP_1) | instskip(SKIP_1) | instid1(VALU_DEP_1)
	v_fmac_f32_e32 v11, v155, v158
	s_wait_dscnt 0x7
	v_dual_add_f32 v9, v9, v11 :: v_dual_mul_f32 v11, v160, v165
	s_delay_alu instid0(VALU_DEP_1) | instskip(NEXT) | instid1(VALU_DEP_1)
	v_fmac_f32_e32 v11, v161, v164
	v_add_f32_e32 v9, v9, v11
	v_mul_f32_e32 v11, v162, v167
	s_delay_alu instid0(VALU_DEP_1) | instskip(SKIP_1) | instid1(VALU_DEP_1)
	v_fmac_f32_e32 v11, v163, v166
	s_wait_dscnt 0x6
	v_dual_add_f32 v9, v9, v11 :: v_dual_mul_f32 v11, v168, v173
	s_delay_alu instid0(VALU_DEP_1) | instskip(NEXT) | instid1(VALU_DEP_1)
	v_fmac_f32_e32 v11, v169, v172
	;; [unrolled: 8-line block ×8, first 2 shown]
	v_add_f32_e32 v9, v9, v11
	v_mul_f32_e32 v11, v218, v223
	s_delay_alu instid0(VALU_DEP_1) | instskip(NEXT) | instid1(VALU_DEP_1)
	v_fmac_f32_e32 v11, v219, v222
	v_dual_add_f32 v9, v9, v11 :: v_dual_mul_f32 v11, v224, v229
	s_delay_alu instid0(VALU_DEP_1) | instskip(NEXT) | instid1(VALU_DEP_1)
	v_fmac_f32_e32 v11, v225, v228
	v_add_f32_e32 v9, v9, v11
	v_mul_f32_e32 v11, v226, v231
	s_delay_alu instid0(VALU_DEP_1) | instskip(SKIP_1) | instid1(VALU_DEP_1)
	v_fmac_f32_e32 v11, v227, v230
	s_set_vgpr_msb 64                       ;  msbs: dst=1 src0=0 src1=0 src2=0
	v_add_f32_e32 v1 /*v257*/, v9, v11
	s_set_vgpr_msb 0                        ;  msbs: dst=0 src0=0 src1=0 src2=0
	v_dual_mul_f32 v9, v113, v117 :: v_dual_mul_f32 v11, v115, v119
	s_delay_alu instid0(VALU_DEP_1) | instskip(NEXT) | instid1(VALU_DEP_1)
	v_dual_fma_f32 v9, v112, v116, -v9 :: v_dual_fma_f32 v11, v114, v118, -v11
	v_add_f32_e32 v9, 0, v9
	s_delay_alu instid0(VALU_DEP_1) | instskip(SKIP_1) | instid1(VALU_DEP_1)
	v_add_f32_e32 v9, v9, v11
	v_mul_f32_e32 v11, v121, v125
	v_fma_f32 v11, v120, v124, -v11
	s_delay_alu instid0(VALU_DEP_1) | instskip(SKIP_1) | instid1(VALU_DEP_1)
	v_add_f32_e32 v9, v9, v11
	v_mul_f32_e32 v11, v123, v127
	v_fma_f32 v11, v122, v126, -v11
	ds_load_2addr_b64 v[112:115], v5 offset0:103 offset1:104
	ds_load_2addr_b64 v[116:119], v5 offset0:105 offset1:106
	;; [unrolled: 1-line block ×4, first 2 shown]
	v_add_f32_e32 v9, v9, v11
	v_mul_f32_e32 v11, v129, v133
	s_delay_alu instid0(VALU_DEP_1) | instskip(NEXT) | instid1(VALU_DEP_1)
	v_fma_f32 v11, v128, v132, -v11
	v_add_f32_e32 v9, v9, v11
	v_mul_f32_e32 v11, v131, v135
	s_delay_alu instid0(VALU_DEP_1) | instskip(SKIP_2) | instid1(VALU_DEP_2)
	v_fma_f32 v11, v130, v134, -v11
	s_wait_loadcnt_dscnt 0x303
	v_pk_mul_f32 v[130:131], v[112:113], v[240:241] op_sel:[1,1] op_sel_hi:[0,1]
	v_add_f32_e32 v9, v9, v11
	v_mul_f32_e32 v11, v137, v141
	s_delay_alu instid0(VALU_DEP_3) | instskip(SKIP_1) | instid1(VALU_DEP_3)
	v_pk_fma_f32 v[132:133], v[112:113], v[240:241], v[130:131] neg_lo:[0,0,1] neg_hi:[0,0,1]
	v_pk_fma_f32 v[112:113], v[112:113], v[240:241], v[130:131] op_sel_hi:[1,0,1]
	v_dual_mov_b32 v130, v243 :: v_dual_fma_f32 v11, v136, v140, -v11
	s_delay_alu instid0(VALU_DEP_2) | instskip(NEXT) | instid1(VALU_DEP_2)
	v_mov_b32_e32 v133, v113
	v_add_f32_e32 v9, v9, v11
	v_mul_f32_e32 v11, v139, v143
	s_delay_alu instid0(VALU_DEP_1) | instskip(NEXT) | instid1(VALU_DEP_1)
	v_fma_f32 v11, v138, v142, -v11
	v_add_f32_e32 v9, v9, v11
	v_mul_f32_e32 v11, v145, v149
	s_delay_alu instid0(VALU_DEP_1) | instskip(NEXT) | instid1(VALU_DEP_1)
	v_fma_f32 v11, v144, v148, -v11
	;; [unrolled: 4-line block ×22, first 2 shown]
	v_add_f32_e32 v9, v9, v11
	v_mul_f32_e32 v11, v227, v231
	s_delay_alu instid0(VALU_DEP_1) | instskip(SKIP_1) | instid1(VALU_DEP_1)
	v_fma_f32 v11, v226, v230, -v11
	s_set_vgpr_msb 64                       ;  msbs: dst=1 src0=0 src1=0 src2=0
	v_dual_fmac_f32 v5 /*v261*/, v235, v238 :: v_dual_add_f32 v0 /*v256*/, v9, v11
	s_set_vgpr_msb 0                        ;  msbs: dst=0 src0=0 src1=0 src2=0
	v_mul_f32_e32 v9, v233, v237
	s_set_vgpr_msb 64                       ;  msbs: dst=1 src0=0 src1=0 src2=0
	s_delay_alu instid0(VALU_DEP_1) | instskip(SKIP_3) | instid1(VALU_DEP_1)
	v_fma_f32 v2 /*v258*/, v232, v236, -v9
	s_set_vgpr_msb 0                        ;  msbs: dst=0 src0=0 src1=0 src2=0
	v_mul_f32_e32 v9, v235, v239
	s_set_vgpr_msb 64                       ;  msbs: dst=1 src0=0 src1=0 src2=0
	v_fma_f32 v4 /*v260*/, v234, v238, -v9
	s_set_vgpr_msb 5                        ;  msbs: dst=0 src0=1 src1=1 src2=0
	v_pk_add_f32 v[128:129], v[0:1] /*v[256:257]*/, v[2:3] /*v[258:259]*/
	s_set_vgpr_msb 4                        ;  msbs: dst=0 src0=0 src1=1 src2=0
	s_delay_alu instid0(VALU_DEP_1) | instskip(SKIP_1) | instid1(VALU_DEP_1)
	v_pk_add_f32 v[128:129], v[128:129], v[4:5] /*v[260:261]*/
	s_set_vgpr_msb 0                        ;  msbs: dst=0 src0=0 src1=0 src2=0
	v_pk_add_f32 v[112:113], v[128:129], v[132:133]
	v_dual_mov_b32 v128, v115 :: v_dual_mov_b32 v129, v114
	s_delay_alu instid0(VALU_DEP_1) | instskip(NEXT) | instid1(VALU_DEP_1)
	v_pk_mul_f32 v[128:129], v[128:129], v[130:131] op_sel_hi:[1,0]
	v_pk_fma_f32 v[130:131], v[114:115], v[242:243], v[128:129] neg_lo:[0,0,1] neg_hi:[0,0,1]
	v_pk_fma_f32 v[114:115], v[114:115], v[242:243], v[128:129] op_sel_hi:[1,0,1]
	s_delay_alu instid0(VALU_DEP_1) | instskip(SKIP_2) | instid1(VALU_DEP_2)
	v_mov_b32_e32 v131, v115
	s_wait_loadcnt_dscnt 0x202
	v_pk_mul_f32 v[114:115], v[116:117], v[244:245] op_sel:[1,1] op_sel_hi:[0,1]
	v_pk_add_f32 v[112:113], v[112:113], v[130:131]
	s_delay_alu instid0(VALU_DEP_2) | instskip(SKIP_2) | instid1(VALU_DEP_2)
	v_pk_fma_f32 v[128:129], v[116:117], v[244:245], v[114:115] neg_lo:[0,0,1] neg_hi:[0,0,1]
	v_pk_fma_f32 v[114:115], v[116:117], v[244:245], v[114:115] op_sel_hi:[1,0,1]
	v_dual_mov_b32 v114, v119 :: v_dual_mov_b32 v116, v247
	v_dual_mov_b32 v129, v115 :: v_dual_mov_b32 v115, v118
	s_delay_alu instid0(VALU_DEP_1) | instskip(NEXT) | instid1(VALU_DEP_2)
	v_pk_add_f32 v[112:113], v[112:113], v[128:129]
	v_pk_mul_f32 v[114:115], v[114:115], v[116:117] op_sel_hi:[1,0]
	s_delay_alu instid0(VALU_DEP_1) | instskip(SKIP_1) | instid1(VALU_DEP_1)
	v_pk_fma_f32 v[116:117], v[118:119], v[246:247], v[114:115] neg_lo:[0,0,1] neg_hi:[0,0,1]
	v_pk_fma_f32 v[114:115], v[118:119], v[246:247], v[114:115] op_sel_hi:[1,0,1]
	v_mov_b32_e32 v117, v115
	s_wait_loadcnt_dscnt 0x101
	v_pk_mul_f32 v[114:115], v[120:121], v[248:249] op_sel:[1,1] op_sel_hi:[0,1]
	s_delay_alu instid0(VALU_DEP_2) | instskip(NEXT) | instid1(VALU_DEP_2)
	v_pk_add_f32 v[112:113], v[112:113], v[116:117]
	v_pk_fma_f32 v[116:117], v[120:121], v[248:249], v[114:115] neg_lo:[0,0,1] neg_hi:[0,0,1]
	v_pk_fma_f32 v[114:115], v[120:121], v[248:249], v[114:115] op_sel_hi:[1,0,1]
	s_delay_alu instid0(VALU_DEP_1) | instskip(SKIP_1) | instid1(VALU_DEP_2)
	v_dual_mov_b32 v114, v123 :: v_dual_mov_b32 v117, v115
	v_mov_b32_e32 v115, v122
	v_pk_add_f32 v[112:113], v[112:113], v[116:117]
	v_mov_b32_e32 v116, v251
	s_delay_alu instid0(VALU_DEP_1) | instskip(NEXT) | instid1(VALU_DEP_1)
	v_pk_mul_f32 v[114:115], v[114:115], v[116:117] op_sel_hi:[1,0]
	v_pk_fma_f32 v[116:117], v[122:123], v[250:251], v[114:115] neg_lo:[0,0,1] neg_hi:[0,0,1]
	v_pk_fma_f32 v[114:115], v[122:123], v[250:251], v[114:115] op_sel_hi:[1,0,1]
	s_delay_alu instid0(VALU_DEP_1) | instskip(SKIP_2) | instid1(VALU_DEP_2)
	v_mov_b32_e32 v117, v115
	s_wait_loadcnt_dscnt 0x0
	v_pk_mul_f32 v[114:115], v[124:125], v[252:253] op_sel:[1,1] op_sel_hi:[0,1]
	v_pk_add_f32 v[112:113], v[112:113], v[116:117]
	s_delay_alu instid0(VALU_DEP_2) | instskip(SKIP_1) | instid1(VALU_DEP_1)
	v_pk_fma_f32 v[116:117], v[124:125], v[252:253], v[114:115] neg_lo:[0,0,1] neg_hi:[0,0,1]
	v_pk_fma_f32 v[114:115], v[124:125], v[252:253], v[114:115] op_sel_hi:[1,0,1]
	v_dual_mov_b32 v114, v127 :: v_dual_mov_b32 v117, v115
	v_mov_b32_e32 v115, v126
	s_delay_alu instid0(VALU_DEP_2) | instskip(SKIP_1) | instid1(VALU_DEP_1)
	v_pk_add_f32 v[112:113], v[112:113], v[116:117]
	v_mov_b32_e32 v116, v255
	v_pk_mul_f32 v[114:115], v[114:115], v[116:117] op_sel_hi:[1,0]
	s_delay_alu instid0(VALU_DEP_1) | instskip(SKIP_1) | instid1(VALU_DEP_1)
	v_pk_fma_f32 v[116:117], v[126:127], v[254:255], v[114:115] neg_lo:[0,0,1] neg_hi:[0,0,1]
	v_pk_fma_f32 v[114:115], v[126:127], v[254:255], v[114:115] op_sel_hi:[1,0,1]
	v_mov_b32_e32 v117, v115
	scratch_load_b64 v[114:115], off, off offset:112
	v_pk_add_f32 v[112:113], v[112:113], v[116:117]
	s_wait_loadcnt 0x0
	s_delay_alu instid0(VALU_DEP_1)
	v_pk_add_f32 v[112:113], v[114:115], v[112:113] neg_lo:[0,1] neg_hi:[0,1]
	scratch_store_b64 off, v[112:113], off offset:112
	s_wait_xcnt 0x0
	v_cmpx_lt_u32_e32 13, v0
	s_cbranch_execz .LBB54_317
; %bb.316:
	scratch_load_b64 v[112:113], off, off offset:104
	v_mov_b64_e32 v[114:115], 0
	scratch_store_b64 off, v[114:115], off offset:104
	s_wait_loadcnt 0x0
	ds_store_b64 v1, v[112:113]
.LBB54_317:
	s_wait_xcnt 0x0
	s_or_b32 exec_lo, exec_lo, s0
	v_mov_b32_e32 v5, 0
	s_wait_storecnt_dscnt 0x0
	s_barrier_signal -1
	s_barrier_wait -1
	ds_load_b128 v[112:115], v5 offset:560
	ds_load_b128 v[116:119], v5 offset:576
	;; [unrolled: 1-line block ×4, first 2 shown]
	s_clause 0x10
	scratch_load_b128 v[128:131], off, off offset:112
	scratch_load_b128 v[132:135], off, off offset:128
	;; [unrolled: 1-line block ×17, first 2 shown]
	s_mov_b32 s0, exec_lo
	s_wait_loadcnt_dscnt 0x1003
	v_mul_f32_e32 v9, v112, v129
	ds_load_b128 v[224:227], v5 offset:784
	ds_load_b128 v[232:235], v5 offset:800
	;; [unrolled: 1-line block ×4, first 2 shown]
	v_dual_fmac_f32 v9, v113, v128 :: v_dual_mul_f32 v11, v114, v131
	ds_load_b128 v[240:243], v5 offset:816
	ds_load_b128 v[160:163], v5 offset:656
	;; [unrolled: 1-line block ×3, first 2 shown]
	v_dual_add_f32 v9, 0, v9 :: v_dual_fmac_f32 v11, v115, v130
	ds_load_b128 v[176:179], v5 offset:688
	ds_load_b128 v[184:187], v5 offset:704
	;; [unrolled: 1-line block ×4, first 2 shown]
	s_wait_loadcnt_dscnt 0xf0d
	v_dual_add_f32 v9, v9, v11 :: v_dual_mul_f32 v11, v116, v133
	ds_load_b128 v[208:211], v5 offset:752
	ds_load_b128 v[216:219], v5 offset:768
	s_clause 0x4
	scratch_load_b128 v[248:251], off, off offset:384
	scratch_load_b128 v[252:255], off, off offset:400
	s_set_vgpr_msb 64                       ;  msbs: dst=1 src0=0 src1=0 src2=0
	scratch_load_b128 v[0:3] /*v[256:259]*/, off, off offset:416
	scratch_load_b64 v[10:11] /*v[266:267]*/, off, off offset:432
	s_set_vgpr_msb 0                        ;  msbs: dst=0 src0=0 src1=0 src2=0
	v_fmac_f32_e32 v11, v117, v132
	s_wait_loadcnt_dscnt 0x408
	s_set_vgpr_msb 64                       ;  msbs: dst=1 src0=0 src1=0 src2=0
	v_dual_mul_f32 v7 /*v263*/, v234, v239 :: v_dual_mul_f32 v9 /*v265*/, v240, v245
	s_set_vgpr_msb 0                        ;  msbs: dst=0 src0=0 src1=0 src2=0
	v_add_f32_e32 v9, v9, v11
	v_mul_f32_e32 v11, v118, v135
	s_set_vgpr_msb 64                       ;  msbs: dst=1 src0=0 src1=0 src2=0
	v_dual_fmac_f32 v7 /*v263*/, v235, v238 :: v_dual_fmac_f32 v9 /*v265*/, v241, v244
	s_set_vgpr_msb 0                        ;  msbs: dst=0 src0=0 src1=0 src2=0
	s_delay_alu instid0(VALU_DEP_2) | instskip(NEXT) | instid1(VALU_DEP_1)
	v_fmac_f32_e32 v11, v119, v134
	v_dual_add_f32 v9, v9, v11 :: v_dual_mul_f32 v11, v120, v137
	s_delay_alu instid0(VALU_DEP_1) | instskip(NEXT) | instid1(VALU_DEP_1)
	v_fmac_f32_e32 v11, v121, v136
	v_add_f32_e32 v9, v9, v11
	v_mul_f32_e32 v11, v122, v139
	s_delay_alu instid0(VALU_DEP_1) | instskip(NEXT) | instid1(VALU_DEP_1)
	v_fmac_f32_e32 v11, v123, v138
	v_dual_add_f32 v9, v9, v11 :: v_dual_mul_f32 v11, v124, v141
	s_delay_alu instid0(VALU_DEP_1) | instskip(NEXT) | instid1(VALU_DEP_1)
	v_fmac_f32_e32 v11, v125, v140
	v_add_f32_e32 v9, v9, v11
	v_mul_f32_e32 v11, v126, v143
	s_delay_alu instid0(VALU_DEP_1) | instskip(NEXT) | instid1(VALU_DEP_1)
	v_fmac_f32_e32 v11, v127, v142
	v_dual_add_f32 v9, v9, v11 :: v_dual_mul_f32 v11, v144, v149
	s_delay_alu instid0(VALU_DEP_1) | instskip(NEXT) | instid1(VALU_DEP_1)
	v_fmac_f32_e32 v11, v145, v148
	v_add_f32_e32 v9, v9, v11
	v_mul_f32_e32 v11, v146, v151
	s_delay_alu instid0(VALU_DEP_1) | instskip(NEXT) | instid1(VALU_DEP_1)
	v_fmac_f32_e32 v11, v147, v150
	v_dual_add_f32 v9, v9, v11 :: v_dual_mul_f32 v11, v152, v157
	s_delay_alu instid0(VALU_DEP_1) | instskip(NEXT) | instid1(VALU_DEP_1)
	v_fmac_f32_e32 v11, v153, v156
	v_add_f32_e32 v9, v9, v11
	v_mul_f32_e32 v11, v154, v159
	s_delay_alu instid0(VALU_DEP_1) | instskip(SKIP_1) | instid1(VALU_DEP_1)
	v_fmac_f32_e32 v11, v155, v158
	s_wait_dscnt 0x7
	v_dual_add_f32 v9, v9, v11 :: v_dual_mul_f32 v11, v160, v165
	s_delay_alu instid0(VALU_DEP_1) | instskip(NEXT) | instid1(VALU_DEP_1)
	v_fmac_f32_e32 v11, v161, v164
	v_add_f32_e32 v9, v9, v11
	v_mul_f32_e32 v11, v162, v167
	s_delay_alu instid0(VALU_DEP_1) | instskip(SKIP_1) | instid1(VALU_DEP_1)
	v_fmac_f32_e32 v11, v163, v166
	s_wait_dscnt 0x6
	;; [unrolled: 8-line block ×8, first 2 shown]
	v_dual_add_f32 v9, v9, v11 :: v_dual_mul_f32 v11, v216, v221
	s_delay_alu instid0(VALU_DEP_1) | instskip(NEXT) | instid1(VALU_DEP_1)
	v_fmac_f32_e32 v11, v217, v220
	v_add_f32_e32 v9, v9, v11
	v_mul_f32_e32 v11, v218, v223
	s_delay_alu instid0(VALU_DEP_1) | instskip(NEXT) | instid1(VALU_DEP_1)
	v_fmac_f32_e32 v11, v219, v222
	v_dual_add_f32 v9, v9, v11 :: v_dual_mul_f32 v11, v224, v229
	s_delay_alu instid0(VALU_DEP_1) | instskip(NEXT) | instid1(VALU_DEP_1)
	v_fmac_f32_e32 v11, v225, v228
	v_add_f32_e32 v9, v9, v11
	v_mul_f32_e32 v11, v226, v231
	s_delay_alu instid0(VALU_DEP_1) | instskip(NEXT) | instid1(VALU_DEP_1)
	v_fmac_f32_e32 v11, v227, v230
	v_dual_add_f32 v9, v9, v11 :: v_dual_mul_f32 v11, v232, v237
	s_delay_alu instid0(VALU_DEP_1) | instskip(SKIP_1) | instid1(VALU_DEP_1)
	v_fmac_f32_e32 v11, v233, v236
	s_set_vgpr_msb 64                       ;  msbs: dst=1 src0=0 src1=0 src2=0
	v_add_f32_e32 v5 /*v261*/, v9, v11
	s_set_vgpr_msb 0                        ;  msbs: dst=0 src0=0 src1=0 src2=0
	v_dual_mul_f32 v9, v113, v129 :: v_dual_mul_f32 v11, v115, v131
	s_delay_alu instid0(VALU_DEP_1) | instskip(NEXT) | instid1(VALU_DEP_2)
	v_dual_mov_b32 v129, v242 :: v_dual_fma_f32 v9, v112, v128, -v9
	v_dual_fma_f32 v11, v114, v130, -v11 :: v_dual_mov_b32 v128, v243
	s_delay_alu instid0(VALU_DEP_2) | instskip(NEXT) | instid1(VALU_DEP_1)
	v_dual_mov_b32 v130, v247 :: v_dual_add_f32 v9, 0, v9
	v_pk_mul_f32 v[128:129], v[128:129], v[130:131] op_sel_hi:[1,0]
	s_delay_alu instid0(VALU_DEP_2) | instskip(SKIP_1) | instid1(VALU_DEP_3)
	v_add_f32_e32 v9, v9, v11
	v_mul_f32_e32 v11, v117, v133
	v_pk_fma_f32 v[130:131], v[242:243], v[246:247], v[128:129] neg_lo:[0,0,1] neg_hi:[0,0,1]
	v_pk_fma_f32 v[128:129], v[242:243], v[246:247], v[128:129] op_sel_hi:[1,0,1]
	s_delay_alu instid0(VALU_DEP_1) | instskip(NEXT) | instid1(VALU_DEP_1)
	v_dual_fma_f32 v11, v116, v132, -v11 :: v_dual_mov_b32 v131, v129
	v_add_f32_e32 v9, v9, v11
	v_mul_f32_e32 v11, v119, v135
	s_delay_alu instid0(VALU_DEP_1) | instskip(NEXT) | instid1(VALU_DEP_1)
	v_fma_f32 v11, v118, v134, -v11
	v_add_f32_e32 v9, v9, v11
	v_mul_f32_e32 v11, v121, v137
	s_delay_alu instid0(VALU_DEP_1) | instskip(NEXT) | instid1(VALU_DEP_1)
	v_fma_f32 v11, v120, v136, -v11
	;; [unrolled: 4-line block ×3, first 2 shown]
	v_add_f32_e32 v9, v9, v11
	v_mul_f32_e32 v11, v125, v141
	s_delay_alu instid0(VALU_DEP_1)
	v_fma_f32 v11, v124, v140, -v11
	ds_load_b128 v[112:115], v5 offset:832
	ds_load_b128 v[116:119], v5 offset:848
	;; [unrolled: 1-line block ×3, first 2 shown]
	ds_load_b64 v[124:125], v5 offset:880
	v_add_f32_e32 v9, v9, v11
	v_mul_f32_e32 v11, v127, v143
	s_delay_alu instid0(VALU_DEP_1) | instskip(NEXT) | instid1(VALU_DEP_1)
	v_fma_f32 v11, v126, v142, -v11
	v_add_f32_e32 v9, v9, v11
	v_mul_f32_e32 v11, v145, v149
	s_wait_loadcnt_dscnt 0x303
	v_pk_mul_f32 v[128:129], v[112:113], v[248:249] op_sel:[1,1] op_sel_hi:[0,1]
	s_delay_alu instid0(VALU_DEP_2) | instskip(NEXT) | instid1(VALU_DEP_1)
	v_fma_f32 v11, v144, v148, -v11
	v_add_f32_e32 v9, v9, v11
	v_mul_f32_e32 v11, v147, v151
	s_delay_alu instid0(VALU_DEP_1) | instskip(NEXT) | instid1(VALU_DEP_1)
	v_fma_f32 v11, v146, v150, -v11
	v_add_f32_e32 v9, v9, v11
	v_mul_f32_e32 v11, v153, v157
	s_delay_alu instid0(VALU_DEP_1) | instskip(NEXT) | instid1(VALU_DEP_1)
	;; [unrolled: 4-line block ×21, first 2 shown]
	v_fma_f32 v11, v226, v230, -v11
	v_add_f32_e32 v9, v9, v11
	v_mul_f32_e32 v11, v233, v237
	s_delay_alu instid0(VALU_DEP_1) | instskip(SKIP_1) | instid1(VALU_DEP_1)
	v_fma_f32 v11, v232, v236, -v11
	s_set_vgpr_msb 64                       ;  msbs: dst=1 src0=0 src1=0 src2=0
	v_add_f32_e32 v4 /*v260*/, v9, v11
	s_set_vgpr_msb 0                        ;  msbs: dst=0 src0=0 src1=0 src2=0
	v_mul_f32_e32 v9, v235, v239
	s_set_vgpr_msb 64                       ;  msbs: dst=1 src0=0 src1=0 src2=0
	s_delay_alu instid0(VALU_DEP_1) | instskip(SKIP_3) | instid1(VALU_DEP_2)
	v_fma_f32 v6 /*v262*/, v234, v238, -v9
	s_set_vgpr_msb 0                        ;  msbs: dst=0 src0=0 src1=0 src2=0
	v_mul_f32_e32 v9, v241, v245
	s_set_vgpr_msb 5                        ;  msbs: dst=0 src0=1 src1=1 src2=0
	v_pk_add_f32 v[126:127], v[4:5] /*v[260:261]*/, v[6:7] /*v[262:263]*/
	s_set_vgpr_msb 64                       ;  msbs: dst=1 src0=0 src1=0 src2=0
	s_delay_alu instid0(VALU_DEP_2) | instskip(SKIP_1) | instid1(VALU_DEP_1)
	v_fma_f32 v8 /*v264*/, v240, v244, -v9
	s_set_vgpr_msb 4                        ;  msbs: dst=0 src0=0 src1=1 src2=0
	v_pk_add_f32 v[126:127], v[126:127], v[8:9] /*v[264:265]*/
	s_set_vgpr_msb 0                        ;  msbs: dst=0 src0=0 src1=0 src2=0
	s_delay_alu instid0(VALU_DEP_1) | instskip(SKIP_2) | instid1(VALU_DEP_1)
	v_pk_add_f32 v[126:127], v[126:127], v[130:131]
	v_pk_fma_f32 v[130:131], v[112:113], v[248:249], v[128:129] neg_lo:[0,0,1] neg_hi:[0,0,1]
	v_pk_fma_f32 v[112:113], v[112:113], v[248:249], v[128:129] op_sel_hi:[1,0,1]
	v_dual_mov_b32 v128, v251 :: v_dual_mov_b32 v131, v113
	s_delay_alu instid0(VALU_DEP_1) | instskip(SKIP_1) | instid1(VALU_DEP_1)
	v_pk_add_f32 v[112:113], v[126:127], v[130:131]
	v_dual_mov_b32 v126, v115 :: v_dual_mov_b32 v127, v114
	v_pk_mul_f32 v[126:127], v[126:127], v[128:129] op_sel_hi:[1,0]
	s_delay_alu instid0(VALU_DEP_1) | instskip(SKIP_1) | instid1(VALU_DEP_1)
	v_pk_fma_f32 v[128:129], v[114:115], v[250:251], v[126:127] neg_lo:[0,0,1] neg_hi:[0,0,1]
	v_pk_fma_f32 v[114:115], v[114:115], v[250:251], v[126:127] op_sel_hi:[1,0,1]
	v_mov_b32_e32 v129, v115
	s_wait_loadcnt_dscnt 0x202
	v_pk_mul_f32 v[114:115], v[116:117], v[252:253] op_sel:[1,1] op_sel_hi:[0,1]
	s_delay_alu instid0(VALU_DEP_2) | instskip(NEXT) | instid1(VALU_DEP_2)
	v_pk_add_f32 v[112:113], v[112:113], v[128:129]
	v_pk_fma_f32 v[126:127], v[116:117], v[252:253], v[114:115] neg_lo:[0,0,1] neg_hi:[0,0,1]
	v_pk_fma_f32 v[114:115], v[116:117], v[252:253], v[114:115] op_sel_hi:[1,0,1]
	v_dual_mov_b32 v114, v119 :: v_dual_mov_b32 v116, v255
	s_delay_alu instid0(VALU_DEP_2) | instskip(NEXT) | instid1(VALU_DEP_1)
	v_dual_mov_b32 v127, v115 :: v_dual_mov_b32 v115, v118
	v_pk_add_f32 v[112:113], v[112:113], v[126:127]
	s_delay_alu instid0(VALU_DEP_2) | instskip(NEXT) | instid1(VALU_DEP_1)
	v_pk_mul_f32 v[114:115], v[114:115], v[116:117] op_sel_hi:[1,0]
	v_pk_fma_f32 v[116:117], v[118:119], v[254:255], v[114:115] neg_lo:[0,0,1] neg_hi:[0,0,1]
	v_pk_fma_f32 v[114:115], v[118:119], v[254:255], v[114:115] op_sel_hi:[1,0,1]
	s_delay_alu instid0(VALU_DEP_1)
	v_mov_b32_e32 v117, v115
	s_wait_loadcnt_dscnt 0x101
	s_set_vgpr_msb 4                        ;  msbs: dst=0 src0=0 src1=1 src2=0
	v_pk_mul_f32 v[114:115], v[120:121], v[0:1] /*v[256:257]*/ op_sel:[1,1] op_sel_hi:[0,1]
	s_set_vgpr_msb 0                        ;  msbs: dst=0 src0=0 src1=0 src2=0
	v_pk_add_f32 v[112:113], v[112:113], v[116:117]
	s_set_vgpr_msb 4                        ;  msbs: dst=0 src0=0 src1=1 src2=0
	s_delay_alu instid0(VALU_DEP_2) | instskip(SKIP_1) | instid1(VALU_DEP_1)
	v_pk_fma_f32 v[116:117], v[120:121], v[0:1] /*v[256:257]*/, v[114:115] neg_lo:[0,0,1] neg_hi:[0,0,1]
	v_pk_fma_f32 v[114:115], v[120:121], v[0:1] /*v[256:257]*/, v[114:115] op_sel_hi:[1,0,1]
	v_dual_mov_b32 v114, v123 :: v_dual_mov_b32 v117, v115
	v_mov_b32_e32 v115, v122
	s_set_vgpr_msb 0                        ;  msbs: dst=0 src0=0 src1=0 src2=0
	s_delay_alu instid0(VALU_DEP_2) | instskip(SKIP_3) | instid1(VALU_DEP_1)
	v_pk_add_f32 v[112:113], v[112:113], v[116:117]
	s_set_vgpr_msb 1                        ;  msbs: dst=0 src0=1 src1=0 src2=0
	v_mov_b32_e32 v116, v3 /*v259*/
	s_set_vgpr_msb 0                        ;  msbs: dst=0 src0=0 src1=0 src2=0
	v_pk_mul_f32 v[114:115], v[114:115], v[116:117] op_sel_hi:[1,0]
	s_set_vgpr_msb 4                        ;  msbs: dst=0 src0=0 src1=1 src2=0
	s_delay_alu instid0(VALU_DEP_1) | instskip(SKIP_1) | instid1(VALU_DEP_1)
	v_pk_fma_f32 v[116:117], v[122:123], v[2:3] /*v[258:259]*/, v[114:115] neg_lo:[0,0,1] neg_hi:[0,0,1]
	v_pk_fma_f32 v[114:115], v[122:123], v[2:3] /*v[258:259]*/, v[114:115] op_sel_hi:[1,0,1]
	v_mov_b32_e32 v117, v115
	s_wait_loadcnt_dscnt 0x0
	v_pk_mul_f32 v[114:115], v[124:125], v[10:11] /*v[266:267]*/ op_sel:[1,1] op_sel_hi:[0,1]
	s_set_vgpr_msb 0                        ;  msbs: dst=0 src0=0 src1=0 src2=0
	s_delay_alu instid0(VALU_DEP_2) | instskip(SKIP_1) | instid1(VALU_DEP_2)
	v_pk_add_f32 v[112:113], v[112:113], v[116:117]
	s_set_vgpr_msb 4                        ;  msbs: dst=0 src0=0 src1=1 src2=0
	v_pk_fma_f32 v[116:117], v[124:125], v[10:11] /*v[266:267]*/, v[114:115] neg_lo:[0,0,1] neg_hi:[0,0,1]
	v_pk_fma_f32 v[114:115], v[124:125], v[10:11] /*v[266:267]*/, v[114:115] op_sel_hi:[1,0,1]
	s_delay_alu instid0(VALU_DEP_1) | instskip(SKIP_4) | instid1(VALU_DEP_1)
	v_mov_b32_e32 v117, v115
	scratch_load_b64 v[114:115], off, off offset:104
	s_set_vgpr_msb 0                        ;  msbs: dst=0 src0=0 src1=0 src2=0
	v_pk_add_f32 v[112:113], v[112:113], v[116:117]
	s_wait_loadcnt 0x0
	v_pk_add_f32 v[112:113], v[114:115], v[112:113] neg_lo:[0,1] neg_hi:[0,1]
	scratch_store_b64 off, v[112:113], off offset:104
	s_wait_xcnt 0x0
	v_cmpx_lt_u32_e32 12, v0
	s_cbranch_execz .LBB54_319
; %bb.318:
	scratch_load_b64 v[112:113], off, off offset:96
	v_mov_b64_e32 v[114:115], 0
	scratch_store_b64 off, v[114:115], off offset:96
	s_wait_loadcnt 0x0
	ds_store_b64 v1, v[112:113]
.LBB54_319:
	s_wait_xcnt 0x0
	s_or_b32 exec_lo, exec_lo, s0
	s_wait_storecnt_dscnt 0x0
	s_barrier_signal -1
	s_barrier_wait -1
	s_clause 0xf
	scratch_load_b128 v[116:119], off, off offset:104
	scratch_load_b128 v[124:127], off, off offset:120
	;; [unrolled: 1-line block ×16, first 2 shown]
	ds_load_2addr_b64 v[112:115], v5 offset0:69 offset1:70
	ds_load_2addr_b64 v[120:123], v5 offset0:71 offset1:72
	;; [unrolled: 1-line block ×7, first 2 shown]
	scratch_load_b128 v[244:247], off, off offset:360
	ds_load_2addr_b64 v[160:163], v5 offset0:81 offset1:82
	ds_load_2addr_b64 v[168:171], v5 offset0:83 offset1:84
	;; [unrolled: 1-line block ×10, first 2 shown]
	s_clause 0x4
	scratch_load_b128 v[248:251], off, off offset:376
	scratch_load_b128 v[252:255], off, off offset:392
	s_set_vgpr_msb 64                       ;  msbs: dst=1 src0=0 src1=0 src2=0
	scratch_load_b128 v[0:3] /*v[256:259]*/, off, off offset:408
	scratch_load_b128 v[4:7] /*v[260:263]*/, off, off offset:424
	s_mov_b32 s0, exec_lo
	s_wait_loadcnt_dscnt 0x1410
	s_set_vgpr_msb 0                        ;  msbs: dst=0 src0=0 src1=0 src2=0
	v_dual_mul_f32 v9, v112, v117 :: v_dual_mul_f32 v11, v114, v119
	s_delay_alu instid0(VALU_DEP_1) | instskip(NEXT) | instid1(VALU_DEP_1)
	v_dual_fmac_f32 v9, v113, v116 :: v_dual_fmac_f32 v11, v115, v118
	v_add_f32_e32 v9, 0, v9
	s_wait_loadcnt_dscnt 0x130f
	s_delay_alu instid0(VALU_DEP_1) | instskip(NEXT) | instid1(VALU_DEP_1)
	v_dual_add_f32 v9, v9, v11 :: v_dual_mul_f32 v11, v120, v125
	v_fmac_f32_e32 v11, v121, v124
	s_wait_loadcnt_dscnt 0x40a
	s_set_vgpr_msb 64                       ;  msbs: dst=1 src0=0 src1=0 src2=0
	v_dual_mul_f32 v11 /*v267*/, v240, v245 :: v_dual_mul_f32 v13 /*v269*/, v242, v247
	s_set_vgpr_msb 0                        ;  msbs: dst=0 src0=0 src1=0 src2=0
	v_add_f32_e32 v9, v9, v11
	v_mul_f32_e32 v11, v122, v127
	s_set_vgpr_msb 64                       ;  msbs: dst=1 src0=0 src1=0 src2=0
	v_fmac_f32_e32 v11 /*v267*/, v241, v244
	s_set_vgpr_msb 0                        ;  msbs: dst=0 src0=0 src1=0 src2=0
	s_delay_alu instid0(VALU_DEP_2) | instskip(NEXT) | instid1(VALU_DEP_1)
	v_fmac_f32_e32 v11, v123, v126
	v_dual_add_f32 v9, v9, v11 :: v_dual_mul_f32 v11, v128, v133
	s_delay_alu instid0(VALU_DEP_1) | instskip(NEXT) | instid1(VALU_DEP_1)
	v_fmac_f32_e32 v11, v129, v132
	v_add_f32_e32 v9, v9, v11
	v_mul_f32_e32 v11, v130, v135
	s_delay_alu instid0(VALU_DEP_1) | instskip(NEXT) | instid1(VALU_DEP_1)
	v_fmac_f32_e32 v11, v131, v134
	v_dual_add_f32 v9, v9, v11 :: v_dual_mul_f32 v11, v136, v141
	s_delay_alu instid0(VALU_DEP_1) | instskip(NEXT) | instid1(VALU_DEP_1)
	v_fmac_f32_e32 v11, v137, v140
	v_add_f32_e32 v9, v9, v11
	v_mul_f32_e32 v11, v138, v143
	s_delay_alu instid0(VALU_DEP_1) | instskip(NEXT) | instid1(VALU_DEP_1)
	;; [unrolled: 7-line block ×3, first 2 shown]
	v_fmac_f32_e32 v11, v147, v150
	v_dual_add_f32 v9, v9, v11 :: v_dual_mul_f32 v11, v152, v157
	s_delay_alu instid0(VALU_DEP_1) | instskip(NEXT) | instid1(VALU_DEP_1)
	v_fmac_f32_e32 v11, v153, v156
	v_add_f32_e32 v9, v9, v11
	v_mul_f32_e32 v11, v154, v159
	s_delay_alu instid0(VALU_DEP_1) | instskip(SKIP_1) | instid1(VALU_DEP_1)
	v_fmac_f32_e32 v11, v155, v158
	s_wait_dscnt 0x9
	v_dual_add_f32 v9, v9, v11 :: v_dual_mul_f32 v11, v160, v165
	s_delay_alu instid0(VALU_DEP_1) | instskip(NEXT) | instid1(VALU_DEP_1)
	v_fmac_f32_e32 v11, v161, v164
	v_add_f32_e32 v9, v9, v11
	v_mul_f32_e32 v11, v162, v167
	s_delay_alu instid0(VALU_DEP_1) | instskip(SKIP_1) | instid1(VALU_DEP_1)
	v_fmac_f32_e32 v11, v163, v166
	s_wait_dscnt 0x8
	;; [unrolled: 8-line block ×10, first 2 shown]
	v_dual_add_f32 v9, v9, v11 :: v_dual_mul_f32 v11, v232, v237
	s_delay_alu instid0(VALU_DEP_1) | instskip(NEXT) | instid1(VALU_DEP_1)
	v_fmac_f32_e32 v11, v233, v236
	v_add_f32_e32 v9, v9, v11
	v_mul_f32_e32 v11, v234, v239
	s_delay_alu instid0(VALU_DEP_1) | instskip(SKIP_1) | instid1(VALU_DEP_1)
	v_fmac_f32_e32 v11, v235, v238
	s_set_vgpr_msb 64                       ;  msbs: dst=1 src0=0 src1=0 src2=0
	v_add_f32_e32 v9 /*v265*/, v9, v11
	s_set_vgpr_msb 0                        ;  msbs: dst=0 src0=0 src1=0 src2=0
	v_dual_mul_f32 v9, v113, v117 :: v_dual_mul_f32 v11, v115, v119
	s_delay_alu instid0(VALU_DEP_1) | instskip(NEXT) | instid1(VALU_DEP_1)
	v_dual_fma_f32 v9, v112, v116, -v9 :: v_dual_fma_f32 v11, v114, v118, -v11
	v_add_f32_e32 v9, 0, v9
	s_delay_alu instid0(VALU_DEP_1) | instskip(SKIP_1) | instid1(VALU_DEP_1)
	v_add_f32_e32 v9, v9, v11
	v_mul_f32_e32 v11, v121, v125
	v_fma_f32 v11, v120, v124, -v11
	s_delay_alu instid0(VALU_DEP_1) | instskip(SKIP_1) | instid1(VALU_DEP_1)
	v_add_f32_e32 v9, v9, v11
	v_mul_f32_e32 v11, v123, v127
	v_fma_f32 v11, v122, v126, -v11
	ds_load_2addr_b64 v[112:115], v5 offset0:103 offset1:104
	ds_load_2addr_b64 v[116:119], v5 offset0:105 offset1:106
	;; [unrolled: 1-line block ×4, first 2 shown]
	v_add_f32_e32 v9, v9, v11
	v_mul_f32_e32 v11, v129, v133
	s_delay_alu instid0(VALU_DEP_1) | instskip(NEXT) | instid1(VALU_DEP_1)
	v_fma_f32 v11, v128, v132, -v11
	v_add_f32_e32 v9, v9, v11
	v_mul_f32_e32 v11, v131, v135
	s_delay_alu instid0(VALU_DEP_1) | instskip(SKIP_2) | instid1(VALU_DEP_2)
	v_fma_f32 v11, v130, v134, -v11
	s_wait_loadcnt_dscnt 0x303
	v_pk_mul_f32 v[130:131], v[112:113], v[248:249] op_sel:[1,1] op_sel_hi:[0,1]
	v_add_f32_e32 v9, v9, v11
	v_mul_f32_e32 v11, v137, v141
	s_delay_alu instid0(VALU_DEP_3) | instskip(SKIP_1) | instid1(VALU_DEP_3)
	v_pk_fma_f32 v[132:133], v[112:113], v[248:249], v[130:131] neg_lo:[0,0,1] neg_hi:[0,0,1]
	v_pk_fma_f32 v[112:113], v[112:113], v[248:249], v[130:131] op_sel_hi:[1,0,1]
	v_dual_mov_b32 v130, v251 :: v_dual_fma_f32 v11, v136, v140, -v11
	s_delay_alu instid0(VALU_DEP_2) | instskip(NEXT) | instid1(VALU_DEP_2)
	v_mov_b32_e32 v133, v113
	v_add_f32_e32 v9, v9, v11
	v_mul_f32_e32 v11, v139, v143
	s_delay_alu instid0(VALU_DEP_1) | instskip(NEXT) | instid1(VALU_DEP_1)
	v_fma_f32 v11, v138, v142, -v11
	v_add_f32_e32 v9, v9, v11
	v_mul_f32_e32 v11, v145, v149
	s_delay_alu instid0(VALU_DEP_1) | instskip(NEXT) | instid1(VALU_DEP_1)
	v_fma_f32 v11, v144, v148, -v11
	v_add_f32_e32 v9, v9, v11
	v_mul_f32_e32 v11, v147, v151
	s_delay_alu instid0(VALU_DEP_1) | instskip(NEXT) | instid1(VALU_DEP_1)
	v_fma_f32 v11, v146, v150, -v11
	v_add_f32_e32 v9, v9, v11
	v_mul_f32_e32 v11, v153, v157
	s_delay_alu instid0(VALU_DEP_1) | instskip(NEXT) | instid1(VALU_DEP_1)
	v_fma_f32 v11, v152, v156, -v11
	v_add_f32_e32 v9, v9, v11
	v_mul_f32_e32 v11, v155, v159
	s_delay_alu instid0(VALU_DEP_1) | instskip(NEXT) | instid1(VALU_DEP_1)
	v_fma_f32 v11, v154, v158, -v11
	v_add_f32_e32 v9, v9, v11
	v_mul_f32_e32 v11, v161, v165
	s_delay_alu instid0(VALU_DEP_1) | instskip(NEXT) | instid1(VALU_DEP_1)
	v_fma_f32 v11, v160, v164, -v11
	v_add_f32_e32 v9, v9, v11
	v_mul_f32_e32 v11, v163, v167
	s_delay_alu instid0(VALU_DEP_1) | instskip(NEXT) | instid1(VALU_DEP_1)
	v_fma_f32 v11, v162, v166, -v11
	v_add_f32_e32 v9, v9, v11
	v_mul_f32_e32 v11, v169, v173
	s_delay_alu instid0(VALU_DEP_1) | instskip(NEXT) | instid1(VALU_DEP_1)
	v_fma_f32 v11, v168, v172, -v11
	v_add_f32_e32 v9, v9, v11
	v_mul_f32_e32 v11, v171, v175
	s_delay_alu instid0(VALU_DEP_1) | instskip(NEXT) | instid1(VALU_DEP_1)
	v_fma_f32 v11, v170, v174, -v11
	v_add_f32_e32 v9, v9, v11
	v_mul_f32_e32 v11, v177, v181
	s_delay_alu instid0(VALU_DEP_1) | instskip(NEXT) | instid1(VALU_DEP_1)
	v_fma_f32 v11, v176, v180, -v11
	v_add_f32_e32 v9, v9, v11
	v_mul_f32_e32 v11, v179, v183
	s_delay_alu instid0(VALU_DEP_1) | instskip(NEXT) | instid1(VALU_DEP_1)
	v_fma_f32 v11, v178, v182, -v11
	v_add_f32_e32 v9, v9, v11
	v_mul_f32_e32 v11, v185, v189
	s_delay_alu instid0(VALU_DEP_1) | instskip(NEXT) | instid1(VALU_DEP_1)
	v_fma_f32 v11, v184, v188, -v11
	v_add_f32_e32 v9, v9, v11
	v_mul_f32_e32 v11, v187, v191
	s_delay_alu instid0(VALU_DEP_1) | instskip(NEXT) | instid1(VALU_DEP_1)
	v_fma_f32 v11, v186, v190, -v11
	v_add_f32_e32 v9, v9, v11
	v_mul_f32_e32 v11, v193, v197
	s_delay_alu instid0(VALU_DEP_1) | instskip(NEXT) | instid1(VALU_DEP_1)
	v_fma_f32 v11, v192, v196, -v11
	v_add_f32_e32 v9, v9, v11
	v_mul_f32_e32 v11, v195, v199
	s_delay_alu instid0(VALU_DEP_1) | instskip(NEXT) | instid1(VALU_DEP_1)
	v_fma_f32 v11, v194, v198, -v11
	v_add_f32_e32 v9, v9, v11
	v_mul_f32_e32 v11, v201, v205
	s_delay_alu instid0(VALU_DEP_1) | instskip(NEXT) | instid1(VALU_DEP_1)
	v_fma_f32 v11, v200, v204, -v11
	v_add_f32_e32 v9, v9, v11
	v_mul_f32_e32 v11, v203, v207
	s_delay_alu instid0(VALU_DEP_1) | instskip(NEXT) | instid1(VALU_DEP_1)
	v_fma_f32 v11, v202, v206, -v11
	v_add_f32_e32 v9, v9, v11
	v_mul_f32_e32 v11, v209, v213
	s_delay_alu instid0(VALU_DEP_1) | instskip(NEXT) | instid1(VALU_DEP_1)
	v_fma_f32 v11, v208, v212, -v11
	v_add_f32_e32 v9, v9, v11
	v_mul_f32_e32 v11, v211, v215
	s_delay_alu instid0(VALU_DEP_1) | instskip(NEXT) | instid1(VALU_DEP_1)
	v_fma_f32 v11, v210, v214, -v11
	v_add_f32_e32 v9, v9, v11
	v_mul_f32_e32 v11, v217, v221
	s_delay_alu instid0(VALU_DEP_1) | instskip(NEXT) | instid1(VALU_DEP_1)
	v_fma_f32 v11, v216, v220, -v11
	v_add_f32_e32 v9, v9, v11
	v_mul_f32_e32 v11, v219, v223
	s_delay_alu instid0(VALU_DEP_1) | instskip(NEXT) | instid1(VALU_DEP_1)
	v_fma_f32 v11, v218, v222, -v11
	v_add_f32_e32 v9, v9, v11
	v_mul_f32_e32 v11, v225, v229
	s_delay_alu instid0(VALU_DEP_1) | instskip(NEXT) | instid1(VALU_DEP_1)
	v_fma_f32 v11, v224, v228, -v11
	v_add_f32_e32 v9, v9, v11
	v_mul_f32_e32 v11, v227, v231
	s_delay_alu instid0(VALU_DEP_1) | instskip(NEXT) | instid1(VALU_DEP_1)
	v_fma_f32 v11, v226, v230, -v11
	v_add_f32_e32 v9, v9, v11
	v_mul_f32_e32 v11, v233, v237
	s_delay_alu instid0(VALU_DEP_1) | instskip(NEXT) | instid1(VALU_DEP_1)
	v_fma_f32 v11, v232, v236, -v11
	v_add_f32_e32 v9, v9, v11
	v_mul_f32_e32 v11, v235, v239
	s_delay_alu instid0(VALU_DEP_1) | instskip(SKIP_1) | instid1(VALU_DEP_1)
	v_fma_f32 v11, v234, v238, -v11
	s_set_vgpr_msb 64                       ;  msbs: dst=1 src0=0 src1=0 src2=0
	v_dual_fmac_f32 v13 /*v269*/, v243, v246 :: v_dual_add_f32 v8 /*v264*/, v9, v11
	s_set_vgpr_msb 0                        ;  msbs: dst=0 src0=0 src1=0 src2=0
	v_mul_f32_e32 v9, v241, v245
	s_set_vgpr_msb 64                       ;  msbs: dst=1 src0=0 src1=0 src2=0
	s_delay_alu instid0(VALU_DEP_1) | instskip(SKIP_3) | instid1(VALU_DEP_1)
	v_fma_f32 v10 /*v266*/, v240, v244, -v9
	s_set_vgpr_msb 0                        ;  msbs: dst=0 src0=0 src1=0 src2=0
	v_mul_f32_e32 v9, v243, v247
	s_set_vgpr_msb 64                       ;  msbs: dst=1 src0=0 src1=0 src2=0
	v_fma_f32 v12 /*v268*/, v242, v246, -v9
	s_set_vgpr_msb 5                        ;  msbs: dst=0 src0=1 src1=1 src2=0
	v_pk_add_f32 v[128:129], v[8:9] /*v[264:265]*/, v[10:11] /*v[266:267]*/
	s_set_vgpr_msb 4                        ;  msbs: dst=0 src0=0 src1=1 src2=0
	s_delay_alu instid0(VALU_DEP_1) | instskip(SKIP_1) | instid1(VALU_DEP_1)
	v_pk_add_f32 v[128:129], v[128:129], v[12:13] /*v[268:269]*/
	s_set_vgpr_msb 0                        ;  msbs: dst=0 src0=0 src1=0 src2=0
	v_pk_add_f32 v[112:113], v[128:129], v[132:133]
	v_dual_mov_b32 v128, v115 :: v_dual_mov_b32 v129, v114
	s_delay_alu instid0(VALU_DEP_1) | instskip(NEXT) | instid1(VALU_DEP_1)
	v_pk_mul_f32 v[128:129], v[128:129], v[130:131] op_sel_hi:[1,0]
	v_pk_fma_f32 v[130:131], v[114:115], v[250:251], v[128:129] neg_lo:[0,0,1] neg_hi:[0,0,1]
	v_pk_fma_f32 v[114:115], v[114:115], v[250:251], v[128:129] op_sel_hi:[1,0,1]
	s_delay_alu instid0(VALU_DEP_1) | instskip(SKIP_2) | instid1(VALU_DEP_2)
	v_mov_b32_e32 v131, v115
	s_wait_loadcnt_dscnt 0x202
	v_pk_mul_f32 v[114:115], v[116:117], v[252:253] op_sel:[1,1] op_sel_hi:[0,1]
	v_pk_add_f32 v[112:113], v[112:113], v[130:131]
	s_delay_alu instid0(VALU_DEP_2) | instskip(SKIP_2) | instid1(VALU_DEP_2)
	v_pk_fma_f32 v[128:129], v[116:117], v[252:253], v[114:115] neg_lo:[0,0,1] neg_hi:[0,0,1]
	v_pk_fma_f32 v[114:115], v[116:117], v[252:253], v[114:115] op_sel_hi:[1,0,1]
	v_dual_mov_b32 v114, v119 :: v_dual_mov_b32 v116, v255
	v_dual_mov_b32 v129, v115 :: v_dual_mov_b32 v115, v118
	s_delay_alu instid0(VALU_DEP_1) | instskip(NEXT) | instid1(VALU_DEP_2)
	v_pk_add_f32 v[112:113], v[112:113], v[128:129]
	v_pk_mul_f32 v[114:115], v[114:115], v[116:117] op_sel_hi:[1,0]
	s_delay_alu instid0(VALU_DEP_1) | instskip(SKIP_1) | instid1(VALU_DEP_1)
	v_pk_fma_f32 v[116:117], v[118:119], v[254:255], v[114:115] neg_lo:[0,0,1] neg_hi:[0,0,1]
	v_pk_fma_f32 v[114:115], v[118:119], v[254:255], v[114:115] op_sel_hi:[1,0,1]
	v_mov_b32_e32 v117, v115
	s_wait_loadcnt_dscnt 0x101
	s_set_vgpr_msb 4                        ;  msbs: dst=0 src0=0 src1=1 src2=0
	v_pk_mul_f32 v[114:115], v[120:121], v[0:1] /*v[256:257]*/ op_sel:[1,1] op_sel_hi:[0,1]
	s_set_vgpr_msb 0                        ;  msbs: dst=0 src0=0 src1=0 src2=0
	v_pk_add_f32 v[112:113], v[112:113], v[116:117]
	s_set_vgpr_msb 4                        ;  msbs: dst=0 src0=0 src1=1 src2=0
	s_delay_alu instid0(VALU_DEP_2) | instskip(SKIP_1) | instid1(VALU_DEP_1)
	v_pk_fma_f32 v[116:117], v[120:121], v[0:1] /*v[256:257]*/, v[114:115] neg_lo:[0,0,1] neg_hi:[0,0,1]
	v_pk_fma_f32 v[114:115], v[120:121], v[0:1] /*v[256:257]*/, v[114:115] op_sel_hi:[1,0,1]
	v_dual_mov_b32 v114, v123 :: v_dual_mov_b32 v117, v115
	v_mov_b32_e32 v115, v122
	s_set_vgpr_msb 0                        ;  msbs: dst=0 src0=0 src1=0 src2=0
	s_delay_alu instid0(VALU_DEP_2) | instskip(SKIP_3) | instid1(VALU_DEP_1)
	v_pk_add_f32 v[112:113], v[112:113], v[116:117]
	s_set_vgpr_msb 1                        ;  msbs: dst=0 src0=1 src1=0 src2=0
	v_mov_b32_e32 v116, v3 /*v259*/
	s_set_vgpr_msb 0                        ;  msbs: dst=0 src0=0 src1=0 src2=0
	v_pk_mul_f32 v[114:115], v[114:115], v[116:117] op_sel_hi:[1,0]
	s_set_vgpr_msb 4                        ;  msbs: dst=0 src0=0 src1=1 src2=0
	s_delay_alu instid0(VALU_DEP_1) | instskip(SKIP_1) | instid1(VALU_DEP_1)
	v_pk_fma_f32 v[116:117], v[122:123], v[2:3] /*v[258:259]*/, v[114:115] neg_lo:[0,0,1] neg_hi:[0,0,1]
	v_pk_fma_f32 v[114:115], v[122:123], v[2:3] /*v[258:259]*/, v[114:115] op_sel_hi:[1,0,1]
	v_mov_b32_e32 v117, v115
	s_wait_loadcnt_dscnt 0x0
	v_pk_mul_f32 v[114:115], v[124:125], v[4:5] /*v[260:261]*/ op_sel:[1,1] op_sel_hi:[0,1]
	s_set_vgpr_msb 0                        ;  msbs: dst=0 src0=0 src1=0 src2=0
	s_delay_alu instid0(VALU_DEP_2) | instskip(SKIP_1) | instid1(VALU_DEP_2)
	v_pk_add_f32 v[112:113], v[112:113], v[116:117]
	s_set_vgpr_msb 4                        ;  msbs: dst=0 src0=0 src1=1 src2=0
	v_pk_fma_f32 v[116:117], v[124:125], v[4:5] /*v[260:261]*/, v[114:115] neg_lo:[0,0,1] neg_hi:[0,0,1]
	v_pk_fma_f32 v[114:115], v[124:125], v[4:5] /*v[260:261]*/, v[114:115] op_sel_hi:[1,0,1]
	s_delay_alu instid0(VALU_DEP_1) | instskip(SKIP_2) | instid1(VALU_DEP_2)
	v_dual_mov_b32 v114, v127 :: v_dual_mov_b32 v117, v115
	v_mov_b32_e32 v115, v126
	s_set_vgpr_msb 0                        ;  msbs: dst=0 src0=0 src1=0 src2=0
	v_pk_add_f32 v[112:113], v[112:113], v[116:117]
	s_set_vgpr_msb 1                        ;  msbs: dst=0 src0=1 src1=0 src2=0
	v_mov_b32_e32 v116, v7 /*v263*/
	s_set_vgpr_msb 0                        ;  msbs: dst=0 src0=0 src1=0 src2=0
	s_delay_alu instid0(VALU_DEP_1) | instskip(SKIP_1) | instid1(VALU_DEP_1)
	v_pk_mul_f32 v[114:115], v[114:115], v[116:117] op_sel_hi:[1,0]
	s_set_vgpr_msb 4                        ;  msbs: dst=0 src0=0 src1=1 src2=0
	v_pk_fma_f32 v[116:117], v[126:127], v[6:7] /*v[262:263]*/, v[114:115] neg_lo:[0,0,1] neg_hi:[0,0,1]
	v_pk_fma_f32 v[114:115], v[126:127], v[6:7] /*v[262:263]*/, v[114:115] op_sel_hi:[1,0,1]
	s_delay_alu instid0(VALU_DEP_1) | instskip(SKIP_4) | instid1(VALU_DEP_1)
	v_mov_b32_e32 v117, v115
	scratch_load_b64 v[114:115], off, off offset:96
	s_set_vgpr_msb 0                        ;  msbs: dst=0 src0=0 src1=0 src2=0
	v_pk_add_f32 v[112:113], v[112:113], v[116:117]
	s_wait_loadcnt 0x0
	v_pk_add_f32 v[112:113], v[114:115], v[112:113] neg_lo:[0,1] neg_hi:[0,1]
	scratch_store_b64 off, v[112:113], off offset:96
	s_wait_xcnt 0x0
	v_cmpx_lt_u32_e32 11, v0
	s_cbranch_execz .LBB54_321
; %bb.320:
	scratch_load_b64 v[112:113], off, off offset:88
	v_mov_b64_e32 v[114:115], 0
	scratch_store_b64 off, v[114:115], off offset:88
	s_wait_loadcnt 0x0
	ds_store_b64 v1, v[112:113]
.LBB54_321:
	s_wait_xcnt 0x0
	s_or_b32 exec_lo, exec_lo, s0
	v_mov_b32_e32 v5, 0
	s_wait_storecnt_dscnt 0x0
	s_barrier_signal -1
	s_barrier_wait -1
	ds_load_b128 v[112:115], v5 offset:544
	ds_load_b128 v[116:119], v5 offset:560
	;; [unrolled: 1-line block ×4, first 2 shown]
	s_clause 0x11
	scratch_load_b128 v[128:131], off, off offset:96
	scratch_load_b128 v[132:135], off, off offset:112
	;; [unrolled: 1-line block ×18, first 2 shown]
	s_mov_b32 s0, exec_lo
	s_wait_loadcnt_dscnt 0x1103
	v_mul_f32_e32 v9, v112, v129
	ds_load_b128 v[240:243], v5 offset:800
	ds_load_b128 v[248:251], v5 offset:816
	;; [unrolled: 1-line block ×4, first 2 shown]
	v_dual_fmac_f32 v9, v113, v128 :: v_dual_mul_f32 v11, v114, v131
	ds_load_b128 v[160:163], v5 offset:640
	ds_load_b128 v[168:171], v5 offset:656
	ds_load_b128 v[176:179], v5 offset:672
	ds_load_b128 v[184:187], v5 offset:688
	v_dual_add_f32 v9, 0, v9 :: v_dual_fmac_f32 v11, v115, v130
	ds_load_b128 v[192:195], v5 offset:704
	ds_load_b128 v[200:203], v5 offset:720
	;; [unrolled: 1-line block ×4, first 2 shown]
	s_wait_loadcnt_dscnt 0x100e
	v_dual_add_f32 v9, v9, v11 :: v_dual_mul_f32 v11, v116, v133
	ds_load_b128 v[224:227], v5 offset:768
	ds_load_b128 v[232:235], v5 offset:784
	s_wait_loadcnt_dscnt 0xc
	s_set_vgpr_msb 64                       ;  msbs: dst=1 src0=0 src1=0 src2=0
	v_dual_mul_f32 v15 /*v271*/, v242, v247 :: v_dual_mul_f32 v17 /*v273*/, v248, v253
	s_set_vgpr_msb 0                        ;  msbs: dst=0 src0=0 src1=0 src2=0
	v_fmac_f32_e32 v11, v117, v132
	s_set_vgpr_msb 64                       ;  msbs: dst=1 src0=0 src1=0 src2=0
	s_clause 0x3
	scratch_load_b128 v[0:3] /*v[256:259]*/, off, off offset:384
	scratch_load_b128 v[4:7] /*v[260:263]*/, off, off offset:400
	scratch_load_b128 v[8:11] /*v[264:267]*/, off, off offset:416
	scratch_load_b64 v[18:19] /*v[274:275]*/, off, off offset:432
	v_dual_fmac_f32 v15 /*v271*/, v243, v246 :: v_dual_fmac_f32 v17 /*v273*/, v249, v252
	s_set_vgpr_msb 0                        ;  msbs: dst=0 src0=0 src1=0 src2=0
	v_add_f32_e32 v9, v9, v11
	v_mul_f32_e32 v11, v118, v135
	s_delay_alu instid0(VALU_DEP_1) | instskip(NEXT) | instid1(VALU_DEP_1)
	v_fmac_f32_e32 v11, v119, v134
	v_dual_add_f32 v9, v9, v11 :: v_dual_mul_f32 v11, v120, v137
	s_delay_alu instid0(VALU_DEP_1) | instskip(NEXT) | instid1(VALU_DEP_1)
	v_fmac_f32_e32 v11, v121, v136
	v_add_f32_e32 v9, v9, v11
	v_mul_f32_e32 v11, v122, v139
	s_delay_alu instid0(VALU_DEP_1) | instskip(NEXT) | instid1(VALU_DEP_1)
	v_fmac_f32_e32 v11, v123, v138
	v_dual_add_f32 v9, v9, v11 :: v_dual_mul_f32 v11, v124, v141
	s_delay_alu instid0(VALU_DEP_1) | instskip(NEXT) | instid1(VALU_DEP_1)
	v_fmac_f32_e32 v11, v125, v140
	v_add_f32_e32 v9, v9, v11
	v_mul_f32_e32 v11, v126, v143
	s_delay_alu instid0(VALU_DEP_1) | instskip(SKIP_1) | instid1(VALU_DEP_1)
	v_fmac_f32_e32 v11, v127, v142
	s_wait_dscnt 0xb
	v_dual_add_f32 v9, v9, v11 :: v_dual_mul_f32 v11, v144, v149
	s_delay_alu instid0(VALU_DEP_1) | instskip(NEXT) | instid1(VALU_DEP_1)
	v_fmac_f32_e32 v11, v145, v148
	v_add_f32_e32 v9, v9, v11
	v_mul_f32_e32 v11, v146, v151
	s_delay_alu instid0(VALU_DEP_1) | instskip(SKIP_1) | instid1(VALU_DEP_1)
	v_fmac_f32_e32 v11, v147, v150
	s_wait_dscnt 0xa
	;; [unrolled: 8-line block ×12, first 2 shown]
	v_dual_add_f32 v9, v9, v11 :: v_dual_mul_f32 v11, v232, v237
	s_delay_alu instid0(VALU_DEP_1) | instskip(NEXT) | instid1(VALU_DEP_1)
	v_fmac_f32_e32 v11, v233, v236
	v_add_f32_e32 v9, v9, v11
	v_mul_f32_e32 v11, v234, v239
	s_delay_alu instid0(VALU_DEP_1) | instskip(NEXT) | instid1(VALU_DEP_1)
	v_fmac_f32_e32 v11, v235, v238
	v_dual_add_f32 v9, v9, v11 :: v_dual_mul_f32 v11, v240, v245
	s_delay_alu instid0(VALU_DEP_1) | instskip(SKIP_1) | instid1(VALU_DEP_1)
	v_fmac_f32_e32 v11, v241, v244
	s_set_vgpr_msb 64                       ;  msbs: dst=1 src0=0 src1=0 src2=0
	v_add_f32_e32 v13 /*v269*/, v9, v11
	s_set_vgpr_msb 0                        ;  msbs: dst=0 src0=0 src1=0 src2=0
	v_dual_mul_f32 v9, v113, v129 :: v_dual_mul_f32 v11, v115, v131
	s_delay_alu instid0(VALU_DEP_1) | instskip(NEXT) | instid1(VALU_DEP_2)
	v_dual_mov_b32 v129, v250 :: v_dual_fma_f32 v9, v112, v128, -v9
	v_dual_fma_f32 v11, v114, v130, -v11 :: v_dual_mov_b32 v128, v251
	s_delay_alu instid0(VALU_DEP_2) | instskip(NEXT) | instid1(VALU_DEP_1)
	v_dual_mov_b32 v130, v255 :: v_dual_add_f32 v9, 0, v9
	v_pk_mul_f32 v[128:129], v[128:129], v[130:131] op_sel_hi:[1,0]
	s_delay_alu instid0(VALU_DEP_2) | instskip(SKIP_1) | instid1(VALU_DEP_3)
	v_add_f32_e32 v9, v9, v11
	v_mul_f32_e32 v11, v117, v133
	v_pk_fma_f32 v[130:131], v[250:251], v[254:255], v[128:129] neg_lo:[0,0,1] neg_hi:[0,0,1]
	v_pk_fma_f32 v[128:129], v[250:251], v[254:255], v[128:129] op_sel_hi:[1,0,1]
	s_delay_alu instid0(VALU_DEP_1) | instskip(NEXT) | instid1(VALU_DEP_1)
	v_dual_fma_f32 v11, v116, v132, -v11 :: v_dual_mov_b32 v131, v129
	v_add_f32_e32 v9, v9, v11
	v_mul_f32_e32 v11, v119, v135
	s_delay_alu instid0(VALU_DEP_1) | instskip(NEXT) | instid1(VALU_DEP_1)
	v_fma_f32 v11, v118, v134, -v11
	v_add_f32_e32 v9, v9, v11
	v_mul_f32_e32 v11, v121, v137
	s_delay_alu instid0(VALU_DEP_1) | instskip(NEXT) | instid1(VALU_DEP_1)
	v_fma_f32 v11, v120, v136, -v11
	;; [unrolled: 4-line block ×3, first 2 shown]
	v_add_f32_e32 v9, v9, v11
	v_mul_f32_e32 v11, v125, v141
	s_delay_alu instid0(VALU_DEP_1)
	v_fma_f32 v11, v124, v140, -v11
	ds_load_b128 v[112:115], v5 offset:832
	ds_load_b128 v[116:119], v5 offset:848
	;; [unrolled: 1-line block ×3, first 2 shown]
	ds_load_b64 v[124:125], v5 offset:880
	v_add_f32_e32 v9, v9, v11
	v_mul_f32_e32 v11, v127, v143
	s_delay_alu instid0(VALU_DEP_1) | instskip(NEXT) | instid1(VALU_DEP_1)
	v_fma_f32 v11, v126, v142, -v11
	v_add_f32_e32 v9, v9, v11
	v_mul_f32_e32 v11, v145, v149
	s_wait_loadcnt_dscnt 0x303
	s_set_vgpr_msb 4                        ;  msbs: dst=0 src0=0 src1=1 src2=0
	v_pk_mul_f32 v[128:129], v[112:113], v[0:1] /*v[256:257]*/ op_sel:[1,1] op_sel_hi:[0,1]
	s_set_vgpr_msb 0                        ;  msbs: dst=0 src0=0 src1=0 src2=0
	v_fma_f32 v11, v144, v148, -v11
	s_delay_alu instid0(VALU_DEP_1) | instskip(SKIP_1) | instid1(VALU_DEP_1)
	v_add_f32_e32 v9, v9, v11
	v_mul_f32_e32 v11, v147, v151
	v_fma_f32 v11, v146, v150, -v11
	s_delay_alu instid0(VALU_DEP_1) | instskip(SKIP_1) | instid1(VALU_DEP_1)
	v_add_f32_e32 v9, v9, v11
	v_mul_f32_e32 v11, v153, v157
	;; [unrolled: 4-line block ×24, first 2 shown]
	v_fma_f32 v11, v240, v244, -v11
	s_set_vgpr_msb 64                       ;  msbs: dst=1 src0=0 src1=0 src2=0
	s_delay_alu instid0(VALU_DEP_1) | instskip(SKIP_3) | instid1(VALU_DEP_1)
	v_add_f32_e32 v12 /*v268*/, v9, v11
	s_set_vgpr_msb 0                        ;  msbs: dst=0 src0=0 src1=0 src2=0
	v_mul_f32_e32 v9, v243, v247
	s_set_vgpr_msb 64                       ;  msbs: dst=1 src0=0 src1=0 src2=0
	v_fma_f32 v14 /*v270*/, v242, v246, -v9
	s_set_vgpr_msb 0                        ;  msbs: dst=0 src0=0 src1=0 src2=0
	v_mul_f32_e32 v9, v249, v253
	s_set_vgpr_msb 5                        ;  msbs: dst=0 src0=1 src1=1 src2=0
	s_delay_alu instid0(VALU_DEP_2) | instskip(SKIP_1) | instid1(VALU_DEP_2)
	v_pk_add_f32 v[126:127], v[12:13] /*v[268:269]*/, v[14:15] /*v[270:271]*/
	s_set_vgpr_msb 64                       ;  msbs: dst=1 src0=0 src1=0 src2=0
	v_fma_f32 v16 /*v272*/, v248, v252, -v9
	s_set_vgpr_msb 4                        ;  msbs: dst=0 src0=0 src1=1 src2=0
	s_delay_alu instid0(VALU_DEP_1) | instskip(SKIP_1) | instid1(VALU_DEP_1)
	v_pk_add_f32 v[126:127], v[126:127], v[16:17] /*v[272:273]*/
	s_set_vgpr_msb 0                        ;  msbs: dst=0 src0=0 src1=0 src2=0
	v_pk_add_f32 v[126:127], v[126:127], v[130:131]
	s_set_vgpr_msb 4                        ;  msbs: dst=0 src0=0 src1=1 src2=0
	v_pk_fma_f32 v[130:131], v[112:113], v[0:1] /*v[256:257]*/, v[128:129] neg_lo:[0,0,1] neg_hi:[0,0,1]
	v_pk_fma_f32 v[112:113], v[112:113], v[0:1] /*v[256:257]*/, v[128:129] op_sel_hi:[1,0,1]
	s_set_vgpr_msb 1                        ;  msbs: dst=0 src0=1 src1=0 src2=0
	v_mov_b32_e32 v128, v3 /*v259*/
	s_set_vgpr_msb 0                        ;  msbs: dst=0 src0=0 src1=0 src2=0
	s_delay_alu instid0(VALU_DEP_2) | instskip(NEXT) | instid1(VALU_DEP_1)
	v_mov_b32_e32 v131, v113
	v_pk_add_f32 v[112:113], v[126:127], v[130:131]
	v_dual_mov_b32 v126, v115 :: v_dual_mov_b32 v127, v114
	s_delay_alu instid0(VALU_DEP_1) | instskip(SKIP_1) | instid1(VALU_DEP_1)
	v_pk_mul_f32 v[126:127], v[126:127], v[128:129] op_sel_hi:[1,0]
	s_set_vgpr_msb 4                        ;  msbs: dst=0 src0=0 src1=1 src2=0
	v_pk_fma_f32 v[128:129], v[114:115], v[2:3] /*v[258:259]*/, v[126:127] neg_lo:[0,0,1] neg_hi:[0,0,1]
	v_pk_fma_f32 v[114:115], v[114:115], v[2:3] /*v[258:259]*/, v[126:127] op_sel_hi:[1,0,1]
	s_delay_alu instid0(VALU_DEP_1) | instskip(SKIP_3) | instid1(VALU_DEP_2)
	v_mov_b32_e32 v129, v115
	s_wait_loadcnt_dscnt 0x202
	v_pk_mul_f32 v[114:115], v[116:117], v[4:5] /*v[260:261]*/ op_sel:[1,1] op_sel_hi:[0,1]
	s_set_vgpr_msb 0                        ;  msbs: dst=0 src0=0 src1=0 src2=0
	v_pk_add_f32 v[112:113], v[112:113], v[128:129]
	s_set_vgpr_msb 4                        ;  msbs: dst=0 src0=0 src1=1 src2=0
	s_delay_alu instid0(VALU_DEP_2)
	v_pk_fma_f32 v[126:127], v[116:117], v[4:5] /*v[260:261]*/, v[114:115] neg_lo:[0,0,1] neg_hi:[0,0,1]
	v_pk_fma_f32 v[114:115], v[116:117], v[4:5] /*v[260:261]*/, v[114:115] op_sel_hi:[1,0,1]
	v_mov_b32_e32 v114, v119
	s_set_vgpr_msb 1                        ;  msbs: dst=0 src0=1 src1=0 src2=0
	v_mov_b32_e32 v116, v7 /*v263*/
	s_set_vgpr_msb 0                        ;  msbs: dst=0 src0=0 src1=0 src2=0
	v_dual_mov_b32 v127, v115 :: v_dual_mov_b32 v115, v118
	s_delay_alu instid0(VALU_DEP_1) | instskip(NEXT) | instid1(VALU_DEP_2)
	v_pk_add_f32 v[112:113], v[112:113], v[126:127]
	v_pk_mul_f32 v[114:115], v[114:115], v[116:117] op_sel_hi:[1,0]
	s_set_vgpr_msb 4                        ;  msbs: dst=0 src0=0 src1=1 src2=0
	s_delay_alu instid0(VALU_DEP_1) | instskip(SKIP_1) | instid1(VALU_DEP_1)
	v_pk_fma_f32 v[116:117], v[118:119], v[6:7] /*v[262:263]*/, v[114:115] neg_lo:[0,0,1] neg_hi:[0,0,1]
	v_pk_fma_f32 v[114:115], v[118:119], v[6:7] /*v[262:263]*/, v[114:115] op_sel_hi:[1,0,1]
	v_mov_b32_e32 v117, v115
	s_wait_loadcnt_dscnt 0x101
	v_pk_mul_f32 v[114:115], v[120:121], v[8:9] /*v[264:265]*/ op_sel:[1,1] op_sel_hi:[0,1]
	s_set_vgpr_msb 0                        ;  msbs: dst=0 src0=0 src1=0 src2=0
	s_delay_alu instid0(VALU_DEP_2) | instskip(SKIP_1) | instid1(VALU_DEP_2)
	v_pk_add_f32 v[112:113], v[112:113], v[116:117]
	s_set_vgpr_msb 4                        ;  msbs: dst=0 src0=0 src1=1 src2=0
	v_pk_fma_f32 v[116:117], v[120:121], v[8:9] /*v[264:265]*/, v[114:115] neg_lo:[0,0,1] neg_hi:[0,0,1]
	v_pk_fma_f32 v[114:115], v[120:121], v[8:9] /*v[264:265]*/, v[114:115] op_sel_hi:[1,0,1]
	s_delay_alu instid0(VALU_DEP_1) | instskip(SKIP_2) | instid1(VALU_DEP_2)
	v_dual_mov_b32 v114, v123 :: v_dual_mov_b32 v117, v115
	v_mov_b32_e32 v115, v122
	s_set_vgpr_msb 0                        ;  msbs: dst=0 src0=0 src1=0 src2=0
	v_pk_add_f32 v[112:113], v[112:113], v[116:117]
	s_set_vgpr_msb 1                        ;  msbs: dst=0 src0=1 src1=0 src2=0
	v_mov_b32_e32 v116, v11 /*v267*/
	s_set_vgpr_msb 0                        ;  msbs: dst=0 src0=0 src1=0 src2=0
	s_delay_alu instid0(VALU_DEP_1) | instskip(SKIP_1) | instid1(VALU_DEP_1)
	v_pk_mul_f32 v[114:115], v[114:115], v[116:117] op_sel_hi:[1,0]
	s_set_vgpr_msb 4                        ;  msbs: dst=0 src0=0 src1=1 src2=0
	v_pk_fma_f32 v[116:117], v[122:123], v[10:11] /*v[266:267]*/, v[114:115] neg_lo:[0,0,1] neg_hi:[0,0,1]
	v_pk_fma_f32 v[114:115], v[122:123], v[10:11] /*v[266:267]*/, v[114:115] op_sel_hi:[1,0,1]
	s_delay_alu instid0(VALU_DEP_1) | instskip(SKIP_3) | instid1(VALU_DEP_2)
	v_mov_b32_e32 v117, v115
	s_wait_loadcnt_dscnt 0x0
	v_pk_mul_f32 v[114:115], v[124:125], v[18:19] /*v[274:275]*/ op_sel:[1,1] op_sel_hi:[0,1]
	s_set_vgpr_msb 0                        ;  msbs: dst=0 src0=0 src1=0 src2=0
	v_pk_add_f32 v[112:113], v[112:113], v[116:117]
	s_set_vgpr_msb 4                        ;  msbs: dst=0 src0=0 src1=1 src2=0
	s_delay_alu instid0(VALU_DEP_2) | instskip(SKIP_1) | instid1(VALU_DEP_1)
	v_pk_fma_f32 v[116:117], v[124:125], v[18:19] /*v[274:275]*/, v[114:115] neg_lo:[0,0,1] neg_hi:[0,0,1]
	v_pk_fma_f32 v[114:115], v[124:125], v[18:19] /*v[274:275]*/, v[114:115] op_sel_hi:[1,0,1]
	v_mov_b32_e32 v117, v115
	scratch_load_b64 v[114:115], off, off offset:88
	s_set_vgpr_msb 0                        ;  msbs: dst=0 src0=0 src1=0 src2=0
	v_pk_add_f32 v[112:113], v[112:113], v[116:117]
	s_wait_loadcnt 0x0
	s_delay_alu instid0(VALU_DEP_1)
	v_pk_add_f32 v[112:113], v[114:115], v[112:113] neg_lo:[0,1] neg_hi:[0,1]
	scratch_store_b64 off, v[112:113], off offset:88
	s_wait_xcnt 0x0
	v_cmpx_lt_u32_e32 10, v0
	s_cbranch_execz .LBB54_323
; %bb.322:
	scratch_load_b64 v[112:113], off, off offset:80
	v_mov_b64_e32 v[114:115], 0
	scratch_store_b64 off, v[114:115], off offset:80
	s_wait_loadcnt 0x0
	ds_store_b64 v1, v[112:113]
.LBB54_323:
	s_wait_xcnt 0x0
	s_or_b32 exec_lo, exec_lo, s0
	s_wait_storecnt_dscnt 0x0
	s_barrier_signal -1
	s_barrier_wait -1
	s_clause 0xf
	scratch_load_b128 v[116:119], off, off offset:88
	scratch_load_b128 v[124:127], off, off offset:104
	;; [unrolled: 1-line block ×16, first 2 shown]
	ds_load_2addr_b64 v[112:115], v5 offset0:67 offset1:68
	ds_load_2addr_b64 v[120:123], v5 offset0:69 offset1:70
	s_clause 0x1
	scratch_load_b128 v[244:247], off, off offset:344
	scratch_load_b128 v[252:255], off, off offset:360
	ds_load_2addr_b64 v[128:131], v5 offset0:71 offset1:72
	ds_load_2addr_b64 v[136:139], v5 offset0:73 offset1:74
	;; [unrolled: 1-line block ×16, first 2 shown]
	s_set_vgpr_msb 64                       ;  msbs: dst=1 src0=0 src1=0 src2=0
	s_clause 0x3
	scratch_load_b128 v[0:3] /*v[256:259]*/, off, off offset:376
	scratch_load_b128 v[4:7] /*v[260:263]*/, off, off offset:392
	;; [unrolled: 1-line block ×4, first 2 shown]
	s_mov_b32 s0, exec_lo
	s_wait_loadcnt_dscnt 0x1511
	s_set_vgpr_msb 0                        ;  msbs: dst=0 src0=0 src1=0 src2=0
	v_dual_mul_f32 v9, v112, v117 :: v_dual_mul_f32 v11, v114, v119
	s_delay_alu instid0(VALU_DEP_1) | instskip(NEXT) | instid1(VALU_DEP_1)
	v_dual_fmac_f32 v9, v113, v116 :: v_dual_fmac_f32 v11, v115, v118
	v_add_f32_e32 v9, 0, v9
	s_wait_loadcnt_dscnt 0x1410
	s_delay_alu instid0(VALU_DEP_1)
	v_dual_add_f32 v9, v9, v11 :: v_dual_mul_f32 v11, v120, v125
	s_wait_loadcnt_dscnt 0x40a
	s_set_vgpr_msb 64                       ;  msbs: dst=1 src0=0 src1=0 src2=0
	v_dual_mul_f32 v19 /*v275*/, v248, v253 :: v_dual_mul_f32 v21 /*v277*/, v250, v255
	s_set_vgpr_msb 0                        ;  msbs: dst=0 src0=0 src1=0 src2=0
	v_fmac_f32_e32 v11, v121, v124
	s_set_vgpr_msb 64                       ;  msbs: dst=1 src0=0 src1=0 src2=0
	s_delay_alu instid0(VALU_DEP_2) | instskip(SKIP_1) | instid1(VALU_DEP_2)
	v_fmac_f32_e32 v19 /*v275*/, v249, v252
	s_set_vgpr_msb 0                        ;  msbs: dst=0 src0=0 src1=0 src2=0
	v_add_f32_e32 v9, v9, v11
	v_mul_f32_e32 v11, v122, v127
	s_delay_alu instid0(VALU_DEP_1) | instskip(NEXT) | instid1(VALU_DEP_1)
	v_fmac_f32_e32 v11, v123, v126
	v_dual_add_f32 v9, v9, v11 :: v_dual_mul_f32 v11, v128, v133
	s_delay_alu instid0(VALU_DEP_1) | instskip(NEXT) | instid1(VALU_DEP_1)
	v_fmac_f32_e32 v11, v129, v132
	v_add_f32_e32 v9, v9, v11
	v_mul_f32_e32 v11, v130, v135
	s_delay_alu instid0(VALU_DEP_1) | instskip(NEXT) | instid1(VALU_DEP_1)
	v_fmac_f32_e32 v11, v131, v134
	v_dual_add_f32 v9, v9, v11 :: v_dual_mul_f32 v11, v136, v141
	s_delay_alu instid0(VALU_DEP_1) | instskip(NEXT) | instid1(VALU_DEP_1)
	v_fmac_f32_e32 v11, v137, v140
	;; [unrolled: 7-line block ×4, first 2 shown]
	v_add_f32_e32 v9, v9, v11
	v_mul_f32_e32 v11, v154, v159
	s_delay_alu instid0(VALU_DEP_1) | instskip(SKIP_1) | instid1(VALU_DEP_1)
	v_fmac_f32_e32 v11, v155, v158
	s_wait_dscnt 0x9
	v_dual_add_f32 v9, v9, v11 :: v_dual_mul_f32 v11, v160, v165
	s_delay_alu instid0(VALU_DEP_1) | instskip(NEXT) | instid1(VALU_DEP_1)
	v_fmac_f32_e32 v11, v161, v164
	v_add_f32_e32 v9, v9, v11
	v_mul_f32_e32 v11, v162, v167
	s_delay_alu instid0(VALU_DEP_1) | instskip(SKIP_1) | instid1(VALU_DEP_1)
	v_fmac_f32_e32 v11, v163, v166
	s_wait_dscnt 0x8
	v_dual_add_f32 v9, v9, v11 :: v_dual_mul_f32 v11, v168, v173
	s_delay_alu instid0(VALU_DEP_1) | instskip(NEXT) | instid1(VALU_DEP_1)
	v_fmac_f32_e32 v11, v169, v172
	;; [unrolled: 8-line block ×10, first 2 shown]
	v_add_f32_e32 v9, v9, v11
	v_mul_f32_e32 v11, v234, v239
	s_delay_alu instid0(VALU_DEP_1) | instskip(NEXT) | instid1(VALU_DEP_1)
	v_fmac_f32_e32 v11, v235, v238
	v_dual_add_f32 v9, v9, v11 :: v_dual_mul_f32 v11, v240, v245
	s_delay_alu instid0(VALU_DEP_1) | instskip(NEXT) | instid1(VALU_DEP_1)
	v_fmac_f32_e32 v11, v241, v244
	v_add_f32_e32 v9, v9, v11
	v_mul_f32_e32 v11, v242, v247
	s_delay_alu instid0(VALU_DEP_1) | instskip(SKIP_1) | instid1(VALU_DEP_1)
	v_fmac_f32_e32 v11, v243, v246
	s_set_vgpr_msb 64                       ;  msbs: dst=1 src0=0 src1=0 src2=0
	v_add_f32_e32 v17 /*v273*/, v9, v11
	s_set_vgpr_msb 0                        ;  msbs: dst=0 src0=0 src1=0 src2=0
	v_dual_mul_f32 v9, v113, v117 :: v_dual_mul_f32 v11, v115, v119
	s_delay_alu instid0(VALU_DEP_1) | instskip(NEXT) | instid1(VALU_DEP_1)
	v_dual_fma_f32 v9, v112, v116, -v9 :: v_dual_fma_f32 v11, v114, v118, -v11
	v_add_f32_e32 v9, 0, v9
	s_delay_alu instid0(VALU_DEP_1) | instskip(SKIP_1) | instid1(VALU_DEP_1)
	v_add_f32_e32 v9, v9, v11
	v_mul_f32_e32 v11, v121, v125
	v_fma_f32 v11, v120, v124, -v11
	s_delay_alu instid0(VALU_DEP_1) | instskip(SKIP_1) | instid1(VALU_DEP_1)
	v_add_f32_e32 v9, v9, v11
	v_mul_f32_e32 v11, v123, v127
	v_fma_f32 v11, v122, v126, -v11
	ds_load_2addr_b64 v[112:115], v5 offset0:103 offset1:104
	ds_load_2addr_b64 v[116:119], v5 offset0:105 offset1:106
	;; [unrolled: 1-line block ×4, first 2 shown]
	v_add_f32_e32 v9, v9, v11
	v_mul_f32_e32 v11, v129, v133
	s_delay_alu instid0(VALU_DEP_1) | instskip(NEXT) | instid1(VALU_DEP_1)
	v_fma_f32 v11, v128, v132, -v11
	v_add_f32_e32 v9, v9, v11
	v_mul_f32_e32 v11, v131, v135
	s_delay_alu instid0(VALU_DEP_1)
	v_fma_f32 v11, v130, v134, -v11
	s_wait_loadcnt_dscnt 0x303
	s_set_vgpr_msb 4                        ;  msbs: dst=0 src0=0 src1=1 src2=0
	v_pk_mul_f32 v[130:131], v[112:113], v[0:1] /*v[256:257]*/ op_sel:[1,1] op_sel_hi:[0,1]
	s_set_vgpr_msb 0                        ;  msbs: dst=0 src0=0 src1=0 src2=0
	v_add_f32_e32 v9, v9, v11
	v_mul_f32_e32 v11, v137, v141
	s_set_vgpr_msb 4                        ;  msbs: dst=0 src0=0 src1=1 src2=0
	v_pk_fma_f32 v[132:133], v[112:113], v[0:1] /*v[256:257]*/, v[130:131] neg_lo:[0,0,1] neg_hi:[0,0,1]
	v_pk_fma_f32 v[112:113], v[112:113], v[0:1] /*v[256:257]*/, v[130:131] op_sel_hi:[1,0,1]
	s_set_vgpr_msb 1                        ;  msbs: dst=0 src0=1 src1=0 src2=0
	v_mov_b32_e32 v130, v3 /*v259*/
	s_set_vgpr_msb 0                        ;  msbs: dst=0 src0=0 src1=0 src2=0
	s_delay_alu instid0(VALU_DEP_2) | instskip(NEXT) | instid1(VALU_DEP_1)
	v_dual_fma_f32 v11, v136, v140, -v11 :: v_dual_mov_b32 v133, v113
	v_add_f32_e32 v9, v9, v11
	v_mul_f32_e32 v11, v139, v143
	s_delay_alu instid0(VALU_DEP_1) | instskip(NEXT) | instid1(VALU_DEP_1)
	v_fma_f32 v11, v138, v142, -v11
	v_add_f32_e32 v9, v9, v11
	v_mul_f32_e32 v11, v145, v149
	s_delay_alu instid0(VALU_DEP_1) | instskip(NEXT) | instid1(VALU_DEP_1)
	v_fma_f32 v11, v144, v148, -v11
	;; [unrolled: 4-line block ×26, first 2 shown]
	v_add_f32_e32 v9, v9, v11
	v_mul_f32_e32 v11, v243, v247
	s_delay_alu instid0(VALU_DEP_1) | instskip(SKIP_1) | instid1(VALU_DEP_1)
	v_fma_f32 v11, v242, v246, -v11
	s_set_vgpr_msb 64                       ;  msbs: dst=1 src0=0 src1=0 src2=0
	v_dual_fmac_f32 v21 /*v277*/, v251, v254 :: v_dual_add_f32 v16 /*v272*/, v9, v11
	s_set_vgpr_msb 0                        ;  msbs: dst=0 src0=0 src1=0 src2=0
	v_mul_f32_e32 v9, v249, v253
	s_set_vgpr_msb 64                       ;  msbs: dst=1 src0=0 src1=0 src2=0
	s_delay_alu instid0(VALU_DEP_1) | instskip(SKIP_3) | instid1(VALU_DEP_1)
	v_fma_f32 v18 /*v274*/, v248, v252, -v9
	s_set_vgpr_msb 0                        ;  msbs: dst=0 src0=0 src1=0 src2=0
	v_mul_f32_e32 v9, v251, v255
	s_set_vgpr_msb 64                       ;  msbs: dst=1 src0=0 src1=0 src2=0
	v_fma_f32 v20 /*v276*/, v250, v254, -v9
	s_set_vgpr_msb 5                        ;  msbs: dst=0 src0=1 src1=1 src2=0
	v_pk_add_f32 v[128:129], v[16:17] /*v[272:273]*/, v[18:19] /*v[274:275]*/
	s_set_vgpr_msb 4                        ;  msbs: dst=0 src0=0 src1=1 src2=0
	s_delay_alu instid0(VALU_DEP_1) | instskip(SKIP_1) | instid1(VALU_DEP_1)
	v_pk_add_f32 v[128:129], v[128:129], v[20:21] /*v[276:277]*/
	s_set_vgpr_msb 0                        ;  msbs: dst=0 src0=0 src1=0 src2=0
	v_pk_add_f32 v[112:113], v[128:129], v[132:133]
	v_dual_mov_b32 v128, v115 :: v_dual_mov_b32 v129, v114
	s_delay_alu instid0(VALU_DEP_1) | instskip(SKIP_1) | instid1(VALU_DEP_1)
	v_pk_mul_f32 v[128:129], v[128:129], v[130:131] op_sel_hi:[1,0]
	s_set_vgpr_msb 4                        ;  msbs: dst=0 src0=0 src1=1 src2=0
	v_pk_fma_f32 v[130:131], v[114:115], v[2:3] /*v[258:259]*/, v[128:129] neg_lo:[0,0,1] neg_hi:[0,0,1]
	v_pk_fma_f32 v[114:115], v[114:115], v[2:3] /*v[258:259]*/, v[128:129] op_sel_hi:[1,0,1]
	s_delay_alu instid0(VALU_DEP_1) | instskip(SKIP_3) | instid1(VALU_DEP_2)
	v_mov_b32_e32 v131, v115
	s_wait_loadcnt_dscnt 0x202
	v_pk_mul_f32 v[114:115], v[116:117], v[4:5] /*v[260:261]*/ op_sel:[1,1] op_sel_hi:[0,1]
	s_set_vgpr_msb 0                        ;  msbs: dst=0 src0=0 src1=0 src2=0
	v_pk_add_f32 v[112:113], v[112:113], v[130:131]
	s_set_vgpr_msb 4                        ;  msbs: dst=0 src0=0 src1=1 src2=0
	s_delay_alu instid0(VALU_DEP_2)
	v_pk_fma_f32 v[128:129], v[116:117], v[4:5] /*v[260:261]*/, v[114:115] neg_lo:[0,0,1] neg_hi:[0,0,1]
	v_pk_fma_f32 v[114:115], v[116:117], v[4:5] /*v[260:261]*/, v[114:115] op_sel_hi:[1,0,1]
	v_mov_b32_e32 v114, v119
	s_set_vgpr_msb 1                        ;  msbs: dst=0 src0=1 src1=0 src2=0
	v_mov_b32_e32 v116, v7 /*v263*/
	s_set_vgpr_msb 0                        ;  msbs: dst=0 src0=0 src1=0 src2=0
	v_dual_mov_b32 v129, v115 :: v_dual_mov_b32 v115, v118
	s_delay_alu instid0(VALU_DEP_1) | instskip(NEXT) | instid1(VALU_DEP_2)
	v_pk_add_f32 v[112:113], v[112:113], v[128:129]
	v_pk_mul_f32 v[114:115], v[114:115], v[116:117] op_sel_hi:[1,0]
	s_set_vgpr_msb 4                        ;  msbs: dst=0 src0=0 src1=1 src2=0
	s_delay_alu instid0(VALU_DEP_1) | instskip(SKIP_1) | instid1(VALU_DEP_1)
	v_pk_fma_f32 v[116:117], v[118:119], v[6:7] /*v[262:263]*/, v[114:115] neg_lo:[0,0,1] neg_hi:[0,0,1]
	v_pk_fma_f32 v[114:115], v[118:119], v[6:7] /*v[262:263]*/, v[114:115] op_sel_hi:[1,0,1]
	v_mov_b32_e32 v117, v115
	s_wait_loadcnt_dscnt 0x101
	v_pk_mul_f32 v[114:115], v[120:121], v[8:9] /*v[264:265]*/ op_sel:[1,1] op_sel_hi:[0,1]
	s_set_vgpr_msb 0                        ;  msbs: dst=0 src0=0 src1=0 src2=0
	s_delay_alu instid0(VALU_DEP_2) | instskip(SKIP_1) | instid1(VALU_DEP_2)
	v_pk_add_f32 v[112:113], v[112:113], v[116:117]
	s_set_vgpr_msb 4                        ;  msbs: dst=0 src0=0 src1=1 src2=0
	v_pk_fma_f32 v[116:117], v[120:121], v[8:9] /*v[264:265]*/, v[114:115] neg_lo:[0,0,1] neg_hi:[0,0,1]
	v_pk_fma_f32 v[114:115], v[120:121], v[8:9] /*v[264:265]*/, v[114:115] op_sel_hi:[1,0,1]
	s_delay_alu instid0(VALU_DEP_1) | instskip(SKIP_2) | instid1(VALU_DEP_2)
	v_dual_mov_b32 v114, v123 :: v_dual_mov_b32 v117, v115
	v_mov_b32_e32 v115, v122
	s_set_vgpr_msb 0                        ;  msbs: dst=0 src0=0 src1=0 src2=0
	v_pk_add_f32 v[112:113], v[112:113], v[116:117]
	s_set_vgpr_msb 1                        ;  msbs: dst=0 src0=1 src1=0 src2=0
	v_mov_b32_e32 v116, v11 /*v267*/
	s_set_vgpr_msb 0                        ;  msbs: dst=0 src0=0 src1=0 src2=0
	s_delay_alu instid0(VALU_DEP_1) | instskip(SKIP_1) | instid1(VALU_DEP_1)
	v_pk_mul_f32 v[114:115], v[114:115], v[116:117] op_sel_hi:[1,0]
	s_set_vgpr_msb 4                        ;  msbs: dst=0 src0=0 src1=1 src2=0
	v_pk_fma_f32 v[116:117], v[122:123], v[10:11] /*v[266:267]*/, v[114:115] neg_lo:[0,0,1] neg_hi:[0,0,1]
	v_pk_fma_f32 v[114:115], v[122:123], v[10:11] /*v[266:267]*/, v[114:115] op_sel_hi:[1,0,1]
	s_delay_alu instid0(VALU_DEP_1) | instskip(SKIP_3) | instid1(VALU_DEP_2)
	v_mov_b32_e32 v117, v115
	s_wait_loadcnt_dscnt 0x0
	v_pk_mul_f32 v[114:115], v[124:125], v[12:13] /*v[268:269]*/ op_sel:[1,1] op_sel_hi:[0,1]
	s_set_vgpr_msb 0                        ;  msbs: dst=0 src0=0 src1=0 src2=0
	v_pk_add_f32 v[112:113], v[112:113], v[116:117]
	s_set_vgpr_msb 4                        ;  msbs: dst=0 src0=0 src1=1 src2=0
	s_delay_alu instid0(VALU_DEP_2) | instskip(SKIP_1) | instid1(VALU_DEP_1)
	v_pk_fma_f32 v[116:117], v[124:125], v[12:13] /*v[268:269]*/, v[114:115] neg_lo:[0,0,1] neg_hi:[0,0,1]
	v_pk_fma_f32 v[114:115], v[124:125], v[12:13] /*v[268:269]*/, v[114:115] op_sel_hi:[1,0,1]
	v_dual_mov_b32 v114, v127 :: v_dual_mov_b32 v117, v115
	v_mov_b32_e32 v115, v126
	s_set_vgpr_msb 0                        ;  msbs: dst=0 src0=0 src1=0 src2=0
	s_delay_alu instid0(VALU_DEP_2) | instskip(SKIP_3) | instid1(VALU_DEP_1)
	v_pk_add_f32 v[112:113], v[112:113], v[116:117]
	s_set_vgpr_msb 1                        ;  msbs: dst=0 src0=1 src1=0 src2=0
	v_mov_b32_e32 v116, v15 /*v271*/
	s_set_vgpr_msb 0                        ;  msbs: dst=0 src0=0 src1=0 src2=0
	v_pk_mul_f32 v[114:115], v[114:115], v[116:117] op_sel_hi:[1,0]
	s_set_vgpr_msb 4                        ;  msbs: dst=0 src0=0 src1=1 src2=0
	s_delay_alu instid0(VALU_DEP_1) | instskip(SKIP_1) | instid1(VALU_DEP_1)
	v_pk_fma_f32 v[116:117], v[126:127], v[14:15] /*v[270:271]*/, v[114:115] neg_lo:[0,0,1] neg_hi:[0,0,1]
	v_pk_fma_f32 v[114:115], v[126:127], v[14:15] /*v[270:271]*/, v[114:115] op_sel_hi:[1,0,1]
	v_mov_b32_e32 v117, v115
	scratch_load_b64 v[114:115], off, off offset:80
	s_set_vgpr_msb 0                        ;  msbs: dst=0 src0=0 src1=0 src2=0
	v_pk_add_f32 v[112:113], v[112:113], v[116:117]
	s_wait_loadcnt 0x0
	s_delay_alu instid0(VALU_DEP_1)
	v_pk_add_f32 v[112:113], v[114:115], v[112:113] neg_lo:[0,1] neg_hi:[0,1]
	scratch_store_b64 off, v[112:113], off offset:80
	s_wait_xcnt 0x0
	v_cmpx_lt_u32_e32 9, v0
	s_cbranch_execz .LBB54_325
; %bb.324:
	scratch_load_b64 v[112:113], off, off offset:72
	v_mov_b64_e32 v[114:115], 0
	scratch_store_b64 off, v[114:115], off offset:72
	s_wait_loadcnt 0x0
	ds_store_b64 v1, v[112:113]
.LBB54_325:
	s_wait_xcnt 0x0
	s_or_b32 exec_lo, exec_lo, s0
	v_mov_b32_e32 v5, 0
	s_wait_storecnt_dscnt 0x0
	s_barrier_signal -1
	s_barrier_wait -1
	ds_load_b128 v[112:115], v5 offset:528
	ds_load_b128 v[116:119], v5 offset:544
	;; [unrolled: 1-line block ×4, first 2 shown]
	s_clause 0x13
	scratch_load_b128 v[128:131], off, off offset:80
	scratch_load_b128 v[132:135], off, off offset:96
	;; [unrolled: 1-line block ×18, first 2 shown]
	s_set_vgpr_msb 64                       ;  msbs: dst=1 src0=0 src1=0 src2=0
	scratch_load_b128 v[4:7] /*v[260:263]*/, off, off offset:368
	s_mov_b32 s0, exec_lo
	s_wait_loadcnt_dscnt 0x1203
	s_set_vgpr_msb 0                        ;  msbs: dst=0 src0=0 src1=0 src2=0
	v_mul_f32_e32 v9, v112, v129
	ds_load_b128 v[240:243], v5 offset:784
	ds_load_b128 v[248:251], v5 offset:800
	;; [unrolled: 1-line block ×4, first 2 shown]
	v_dual_fmac_f32 v9, v113, v128 :: v_dual_mul_f32 v11, v114, v131
	ds_load_b128 v[160:163], v5 offset:624
	ds_load_b128 v[168:171], v5 offset:640
	ds_load_b128 v[176:179], v5 offset:656
	ds_load_b128 v[184:187], v5 offset:672
	v_dual_add_f32 v9, 0, v9 :: v_dual_fmac_f32 v11, v115, v130
	ds_load_b128 v[192:195], v5 offset:688
	ds_load_b128 v[200:203], v5 offset:704
	;; [unrolled: 1-line block ×4, first 2 shown]
	s_wait_loadcnt_dscnt 0x110e
	v_dual_add_f32 v9, v9, v11 :: v_dual_mul_f32 v11, v116, v133
	ds_load_b128 v[224:227], v5 offset:752
	ds_load_b128 v[232:235], v5 offset:768
	s_set_vgpr_msb 64                       ;  msbs: dst=1 src0=0 src1=0 src2=0
	ds_load_b128 v[0:3] /*v[256:259]*/, v5 offset:816
	s_wait_loadcnt_dscnt 0x10d
	v_mul_f32_e32 v23 /*v279*/, v250, v255
	s_set_vgpr_msb 0                        ;  msbs: dst=0 src0=0 src1=0 src2=0
	v_fmac_f32_e32 v11, v117, v132
	s_set_vgpr_msb 64                       ;  msbs: dst=1 src0=0 src1=0 src2=0
	s_clause 0x3
	scratch_load_b128 v[8:11] /*v[264:267]*/, off, off offset:384
	scratch_load_b128 v[12:15] /*v[268:271]*/, off, off offset:400
	;; [unrolled: 1-line block ×3, first 2 shown]
	scratch_load_b64 v[26:27] /*v[282:283]*/, off, off offset:432
	s_set_vgpr_msb 0                        ;  msbs: dst=0 src0=0 src1=0 src2=0
	v_add_f32_e32 v9, v9, v11
	v_mul_f32_e32 v11, v118, v135
	s_delay_alu instid0(VALU_DEP_1) | instskip(NEXT) | instid1(VALU_DEP_1)
	v_fmac_f32_e32 v11, v119, v134
	v_dual_add_f32 v9, v9, v11 :: v_dual_mul_f32 v11, v120, v137
	s_delay_alu instid0(VALU_DEP_1) | instskip(NEXT) | instid1(VALU_DEP_1)
	v_fmac_f32_e32 v11, v121, v136
	v_add_f32_e32 v9, v9, v11
	v_mul_f32_e32 v11, v122, v139
	s_delay_alu instid0(VALU_DEP_1) | instskip(NEXT) | instid1(VALU_DEP_1)
	v_fmac_f32_e32 v11, v123, v138
	v_dual_add_f32 v9, v9, v11 :: v_dual_mul_f32 v11, v124, v141
	s_delay_alu instid0(VALU_DEP_1) | instskip(NEXT) | instid1(VALU_DEP_1)
	v_fmac_f32_e32 v11, v125, v140
	v_add_f32_e32 v9, v9, v11
	v_mul_f32_e32 v11, v126, v143
	s_delay_alu instid0(VALU_DEP_1) | instskip(SKIP_1) | instid1(VALU_DEP_1)
	v_fmac_f32_e32 v11, v127, v142
	s_wait_dscnt 0xc
	v_dual_add_f32 v9, v9, v11 :: v_dual_mul_f32 v11, v144, v149
	s_delay_alu instid0(VALU_DEP_1) | instskip(NEXT) | instid1(VALU_DEP_1)
	v_fmac_f32_e32 v11, v145, v148
	v_add_f32_e32 v9, v9, v11
	v_mul_f32_e32 v11, v146, v151
	s_delay_alu instid0(VALU_DEP_1) | instskip(SKIP_1) | instid1(VALU_DEP_1)
	v_fmac_f32_e32 v11, v147, v150
	s_wait_dscnt 0xb
	;; [unrolled: 8-line block ×12, first 2 shown]
	v_dual_add_f32 v9, v9, v11 :: v_dual_mul_f32 v11, v232, v237
	s_delay_alu instid0(VALU_DEP_1) | instskip(NEXT) | instid1(VALU_DEP_1)
	v_fmac_f32_e32 v11, v233, v236
	v_add_f32_e32 v9, v9, v11
	v_mul_f32_e32 v11, v234, v239
	s_delay_alu instid0(VALU_DEP_1) | instskip(NEXT) | instid1(VALU_DEP_1)
	v_fmac_f32_e32 v11, v235, v238
	v_dual_add_f32 v9, v9, v11 :: v_dual_mul_f32 v11, v240, v245
	s_delay_alu instid0(VALU_DEP_1) | instskip(NEXT) | instid1(VALU_DEP_1)
	v_fmac_f32_e32 v11, v241, v244
	v_add_f32_e32 v9, v9, v11
	v_mul_f32_e32 v11, v242, v247
	s_delay_alu instid0(VALU_DEP_1) | instskip(NEXT) | instid1(VALU_DEP_1)
	v_fmac_f32_e32 v11, v243, v246
	v_dual_add_f32 v9, v9, v11 :: v_dual_mul_f32 v11, v248, v253
	s_delay_alu instid0(VALU_DEP_1) | instskip(SKIP_1) | instid1(VALU_DEP_1)
	v_fmac_f32_e32 v11, v249, v252
	s_set_vgpr_msb 64                       ;  msbs: dst=1 src0=0 src1=0 src2=0
	v_add_f32_e32 v21 /*v277*/, v9, v11
	s_set_vgpr_msb 0                        ;  msbs: dst=0 src0=0 src1=0 src2=0
	v_dual_mul_f32 v9, v113, v129 :: v_dual_mul_f32 v11, v115, v131
	s_wait_dscnt 0x0
	s_set_vgpr_msb 1                        ;  msbs: dst=0 src0=1 src1=0 src2=0
	v_mov_b32_e32 v129, v2 /*v258*/
	s_set_vgpr_msb 0                        ;  msbs: dst=0 src0=0 src1=0 src2=0
	v_dual_fma_f32 v9, v112, v128, -v9 :: v_dual_fma_f32 v11, v114, v130, -v11
	s_wait_loadcnt 0x4
	s_set_vgpr_msb 1                        ;  msbs: dst=0 src0=1 src1=0 src2=0
	v_dual_mov_b32 v130, v7 /*v263*/ :: v_dual_mov_b32 v128, v3 /*v259*/
	s_delay_alu instid0(VALU_DEP_2) | instskip(SKIP_1) | instid1(VALU_DEP_2)
	v_add_f32_e32 v9, 0, v9
	s_set_vgpr_msb 0                        ;  msbs: dst=0 src0=0 src1=0 src2=0
	v_pk_mul_f32 v[128:129], v[128:129], v[130:131] op_sel_hi:[1,0]
	s_delay_alu instid0(VALU_DEP_2) | instskip(SKIP_2) | instid1(VALU_DEP_3)
	v_add_f32_e32 v9, v9, v11
	v_mul_f32_e32 v11, v117, v133
	s_set_vgpr_msb 5                        ;  msbs: dst=0 src0=1 src1=1 src2=0
	v_pk_fma_f32 v[130:131], v[2:3] /*v[258:259]*/, v[6:7] /*v[262:263]*/, v[128:129] neg_lo:[0,0,1] neg_hi:[0,0,1]
	v_pk_fma_f32 v[128:129], v[2:3] /*v[258:259]*/, v[6:7] /*v[262:263]*/, v[128:129] op_sel_hi:[1,0,1]
	s_set_vgpr_msb 0                        ;  msbs: dst=0 src0=0 src1=0 src2=0
	s_delay_alu instid0(VALU_DEP_1) | instskip(NEXT) | instid1(VALU_DEP_1)
	v_dual_fma_f32 v11, v116, v132, -v11 :: v_dual_mov_b32 v131, v129
	v_add_f32_e32 v9, v9, v11
	v_mul_f32_e32 v11, v119, v135
	s_delay_alu instid0(VALU_DEP_1) | instskip(NEXT) | instid1(VALU_DEP_1)
	v_fma_f32 v11, v118, v134, -v11
	v_add_f32_e32 v9, v9, v11
	v_mul_f32_e32 v11, v121, v137
	s_delay_alu instid0(VALU_DEP_1) | instskip(NEXT) | instid1(VALU_DEP_1)
	v_fma_f32 v11, v120, v136, -v11
	;; [unrolled: 4-line block ×3, first 2 shown]
	v_add_f32_e32 v9, v9, v11
	v_mul_f32_e32 v11, v125, v141
	s_delay_alu instid0(VALU_DEP_1)
	v_fma_f32 v11, v124, v140, -v11
	ds_load_b128 v[112:115], v5 offset:832
	ds_load_b128 v[116:119], v5 offset:848
	;; [unrolled: 1-line block ×3, first 2 shown]
	ds_load_b64 v[124:125], v5 offset:880
	v_add_f32_e32 v9, v9, v11
	v_mul_f32_e32 v11, v127, v143
	s_delay_alu instid0(VALU_DEP_1) | instskip(NEXT) | instid1(VALU_DEP_1)
	v_fma_f32 v11, v126, v142, -v11
	v_add_f32_e32 v9, v9, v11
	v_mul_f32_e32 v11, v145, v149
	s_wait_loadcnt_dscnt 0x303
	s_set_vgpr_msb 4                        ;  msbs: dst=0 src0=0 src1=1 src2=0
	v_pk_mul_f32 v[128:129], v[112:113], v[8:9] /*v[264:265]*/ op_sel:[1,1] op_sel_hi:[0,1]
	s_set_vgpr_msb 0                        ;  msbs: dst=0 src0=0 src1=0 src2=0
	v_fma_f32 v11, v144, v148, -v11
	s_delay_alu instid0(VALU_DEP_1) | instskip(SKIP_1) | instid1(VALU_DEP_1)
	v_add_f32_e32 v9, v9, v11
	v_mul_f32_e32 v11, v147, v151
	v_fma_f32 v11, v146, v150, -v11
	s_delay_alu instid0(VALU_DEP_1) | instskip(SKIP_1) | instid1(VALU_DEP_1)
	v_add_f32_e32 v9, v9, v11
	v_mul_f32_e32 v11, v153, v157
	;; [unrolled: 4-line block ×26, first 2 shown]
	v_fma_f32 v11, v248, v252, -v11
	s_set_vgpr_msb 64                       ;  msbs: dst=1 src0=0 src1=0 src2=0
	s_delay_alu instid0(VALU_DEP_1) | instskip(SKIP_3) | instid1(VALU_DEP_1)
	v_add_f32_e32 v20 /*v276*/, v9, v11
	s_set_vgpr_msb 0                        ;  msbs: dst=0 src0=0 src1=0 src2=0
	v_mul_f32_e32 v9, v251, v255
	s_set_vgpr_msb 64                       ;  msbs: dst=1 src0=0 src1=0 src2=0
	v_fma_f32 v22 /*v278*/, v250, v254, -v9
	s_set_vgpr_msb 5                        ;  msbs: dst=0 src0=1 src1=1 src2=0
	v_mul_f32_e32 v9, v1 /*v257*/, v5 /*v261*/
	s_set_vgpr_msb 64                       ;  msbs: dst=1 src0=0 src1=0 src2=0
	v_fmac_f32_e32 v23 /*v279*/, v251, v254
	s_set_vgpr_msb 0x45                     ;  msbs: dst=1 src0=1 src1=1 src2=0
	s_delay_alu instid0(VALU_DEP_2) | instskip(SKIP_1) | instid1(VALU_DEP_2)
	v_dual_mul_f32 v25 /*v281*/, v0 /*v256*/, v5 /*v261*/ :: v_dual_fma_f32 v24 /*v280*/, v0 /*v256*/, v4 /*v260*/, -v9
	s_set_vgpr_msb 5                        ;  msbs: dst=0 src0=1 src1=1 src2=0
	v_pk_add_f32 v[126:127], v[20:21] /*v[276:277]*/, v[22:23] /*v[278:279]*/
	s_set_vgpr_msb 0x45                     ;  msbs: dst=1 src0=1 src1=1 src2=0
	s_delay_alu instid0(VALU_DEP_2) | instskip(SKIP_1) | instid1(VALU_DEP_1)
	v_fmac_f32_e32 v25 /*v281*/, v1 /*v257*/, v4 /*v260*/
	s_set_vgpr_msb 4                        ;  msbs: dst=0 src0=0 src1=1 src2=0
	v_pk_add_f32 v[126:127], v[126:127], v[24:25] /*v[280:281]*/
	s_set_vgpr_msb 0                        ;  msbs: dst=0 src0=0 src1=0 src2=0
	s_delay_alu instid0(VALU_DEP_1)
	v_pk_add_f32 v[126:127], v[126:127], v[130:131]
	s_set_vgpr_msb 4                        ;  msbs: dst=0 src0=0 src1=1 src2=0
	v_pk_fma_f32 v[130:131], v[112:113], v[8:9] /*v[264:265]*/, v[128:129] neg_lo:[0,0,1] neg_hi:[0,0,1]
	v_pk_fma_f32 v[112:113], v[112:113], v[8:9] /*v[264:265]*/, v[128:129] op_sel_hi:[1,0,1]
	s_set_vgpr_msb 1                        ;  msbs: dst=0 src0=1 src1=0 src2=0
	v_mov_b32_e32 v128, v11 /*v267*/
	s_set_vgpr_msb 0                        ;  msbs: dst=0 src0=0 src1=0 src2=0
	s_delay_alu instid0(VALU_DEP_2) | instskip(NEXT) | instid1(VALU_DEP_1)
	v_mov_b32_e32 v131, v113
	v_pk_add_f32 v[112:113], v[126:127], v[130:131]
	v_dual_mov_b32 v126, v115 :: v_dual_mov_b32 v127, v114
	s_delay_alu instid0(VALU_DEP_1) | instskip(SKIP_1) | instid1(VALU_DEP_1)
	v_pk_mul_f32 v[126:127], v[126:127], v[128:129] op_sel_hi:[1,0]
	s_set_vgpr_msb 4                        ;  msbs: dst=0 src0=0 src1=1 src2=0
	v_pk_fma_f32 v[128:129], v[114:115], v[10:11] /*v[266:267]*/, v[126:127] neg_lo:[0,0,1] neg_hi:[0,0,1]
	v_pk_fma_f32 v[114:115], v[114:115], v[10:11] /*v[266:267]*/, v[126:127] op_sel_hi:[1,0,1]
	s_delay_alu instid0(VALU_DEP_1) | instskip(SKIP_3) | instid1(VALU_DEP_2)
	v_mov_b32_e32 v129, v115
	s_wait_loadcnt_dscnt 0x202
	v_pk_mul_f32 v[114:115], v[116:117], v[12:13] /*v[268:269]*/ op_sel:[1,1] op_sel_hi:[0,1]
	s_set_vgpr_msb 0                        ;  msbs: dst=0 src0=0 src1=0 src2=0
	v_pk_add_f32 v[112:113], v[112:113], v[128:129]
	s_set_vgpr_msb 4                        ;  msbs: dst=0 src0=0 src1=1 src2=0
	s_delay_alu instid0(VALU_DEP_2)
	v_pk_fma_f32 v[126:127], v[116:117], v[12:13] /*v[268:269]*/, v[114:115] neg_lo:[0,0,1] neg_hi:[0,0,1]
	v_pk_fma_f32 v[114:115], v[116:117], v[12:13] /*v[268:269]*/, v[114:115] op_sel_hi:[1,0,1]
	v_mov_b32_e32 v114, v119
	s_set_vgpr_msb 1                        ;  msbs: dst=0 src0=1 src1=0 src2=0
	v_mov_b32_e32 v116, v15 /*v271*/
	s_set_vgpr_msb 0                        ;  msbs: dst=0 src0=0 src1=0 src2=0
	v_dual_mov_b32 v127, v115 :: v_dual_mov_b32 v115, v118
	s_delay_alu instid0(VALU_DEP_1) | instskip(NEXT) | instid1(VALU_DEP_2)
	v_pk_add_f32 v[112:113], v[112:113], v[126:127]
	v_pk_mul_f32 v[114:115], v[114:115], v[116:117] op_sel_hi:[1,0]
	s_set_vgpr_msb 4                        ;  msbs: dst=0 src0=0 src1=1 src2=0
	s_delay_alu instid0(VALU_DEP_1) | instskip(SKIP_1) | instid1(VALU_DEP_1)
	v_pk_fma_f32 v[116:117], v[118:119], v[14:15] /*v[270:271]*/, v[114:115] neg_lo:[0,0,1] neg_hi:[0,0,1]
	v_pk_fma_f32 v[114:115], v[118:119], v[14:15] /*v[270:271]*/, v[114:115] op_sel_hi:[1,0,1]
	v_mov_b32_e32 v117, v115
	s_wait_loadcnt_dscnt 0x101
	v_pk_mul_f32 v[114:115], v[120:121], v[16:17] /*v[272:273]*/ op_sel:[1,1] op_sel_hi:[0,1]
	s_set_vgpr_msb 0                        ;  msbs: dst=0 src0=0 src1=0 src2=0
	s_delay_alu instid0(VALU_DEP_2) | instskip(SKIP_1) | instid1(VALU_DEP_2)
	v_pk_add_f32 v[112:113], v[112:113], v[116:117]
	s_set_vgpr_msb 4                        ;  msbs: dst=0 src0=0 src1=1 src2=0
	v_pk_fma_f32 v[116:117], v[120:121], v[16:17] /*v[272:273]*/, v[114:115] neg_lo:[0,0,1] neg_hi:[0,0,1]
	v_pk_fma_f32 v[114:115], v[120:121], v[16:17] /*v[272:273]*/, v[114:115] op_sel_hi:[1,0,1]
	s_delay_alu instid0(VALU_DEP_1) | instskip(SKIP_2) | instid1(VALU_DEP_2)
	v_dual_mov_b32 v114, v123 :: v_dual_mov_b32 v117, v115
	v_mov_b32_e32 v115, v122
	s_set_vgpr_msb 0                        ;  msbs: dst=0 src0=0 src1=0 src2=0
	v_pk_add_f32 v[112:113], v[112:113], v[116:117]
	s_set_vgpr_msb 1                        ;  msbs: dst=0 src0=1 src1=0 src2=0
	v_mov_b32_e32 v116, v19 /*v275*/
	s_set_vgpr_msb 0                        ;  msbs: dst=0 src0=0 src1=0 src2=0
	s_delay_alu instid0(VALU_DEP_1) | instskip(SKIP_1) | instid1(VALU_DEP_1)
	v_pk_mul_f32 v[114:115], v[114:115], v[116:117] op_sel_hi:[1,0]
	s_set_vgpr_msb 4                        ;  msbs: dst=0 src0=0 src1=1 src2=0
	v_pk_fma_f32 v[116:117], v[122:123], v[18:19] /*v[274:275]*/, v[114:115] neg_lo:[0,0,1] neg_hi:[0,0,1]
	v_pk_fma_f32 v[114:115], v[122:123], v[18:19] /*v[274:275]*/, v[114:115] op_sel_hi:[1,0,1]
	s_delay_alu instid0(VALU_DEP_1) | instskip(SKIP_3) | instid1(VALU_DEP_2)
	v_mov_b32_e32 v117, v115
	s_wait_loadcnt_dscnt 0x0
	v_pk_mul_f32 v[114:115], v[124:125], v[26:27] /*v[282:283]*/ op_sel:[1,1] op_sel_hi:[0,1]
	s_set_vgpr_msb 0                        ;  msbs: dst=0 src0=0 src1=0 src2=0
	v_pk_add_f32 v[112:113], v[112:113], v[116:117]
	s_set_vgpr_msb 4                        ;  msbs: dst=0 src0=0 src1=1 src2=0
	s_delay_alu instid0(VALU_DEP_2) | instskip(SKIP_1) | instid1(VALU_DEP_1)
	v_pk_fma_f32 v[116:117], v[124:125], v[26:27] /*v[282:283]*/, v[114:115] neg_lo:[0,0,1] neg_hi:[0,0,1]
	v_pk_fma_f32 v[114:115], v[124:125], v[26:27] /*v[282:283]*/, v[114:115] op_sel_hi:[1,0,1]
	v_mov_b32_e32 v117, v115
	scratch_load_b64 v[114:115], off, off offset:72
	s_set_vgpr_msb 0                        ;  msbs: dst=0 src0=0 src1=0 src2=0
	v_pk_add_f32 v[112:113], v[112:113], v[116:117]
	s_wait_loadcnt 0x0
	s_delay_alu instid0(VALU_DEP_1)
	v_pk_add_f32 v[112:113], v[114:115], v[112:113] neg_lo:[0,1] neg_hi:[0,1]
	scratch_store_b64 off, v[112:113], off offset:72
	s_wait_xcnt 0x0
	v_cmpx_lt_u32_e32 8, v0
	s_cbranch_execz .LBB54_327
; %bb.326:
	scratch_load_b64 v[112:113], off, off offset:64
	v_mov_b64_e32 v[114:115], 0
	scratch_store_b64 off, v[114:115], off offset:64
	s_wait_loadcnt 0x0
	ds_store_b64 v1, v[112:113]
.LBB54_327:
	s_wait_xcnt 0x0
	s_or_b32 exec_lo, exec_lo, s0
	s_wait_storecnt_dscnt 0x0
	s_barrier_signal -1
	s_barrier_wait -1
	s_clause 0xf
	scratch_load_b128 v[116:119], off, off offset:72
	scratch_load_b128 v[124:127], off, off offset:88
	;; [unrolled: 1-line block ×16, first 2 shown]
	ds_load_2addr_b64 v[112:115], v5 offset0:65 offset1:66
	ds_load_2addr_b64 v[120:123], v5 offset0:67 offset1:68
	s_clause 0x1
	scratch_load_b128 v[244:247], off, off offset:328
	scratch_load_b128 v[252:255], off, off offset:344
	ds_load_2addr_b64 v[128:131], v5 offset0:69 offset1:70
	ds_load_2addr_b64 v[136:139], v5 offset0:71 offset1:72
	;; [unrolled: 1-line block ×16, first 2 shown]
	s_set_vgpr_msb 64                       ;  msbs: dst=1 src0=0 src1=0 src2=0
	scratch_load_b128 v[4:7] /*v[260:263]*/, off, off offset:360
	ds_load_2addr_b64 v[0:3] /*v[256:259]*/, v5 offset0:101 offset1:102
	s_clause 0x3
	scratch_load_b128 v[8:11] /*v[264:267]*/, off, off offset:376
	scratch_load_b128 v[12:15] /*v[268:271]*/, off, off offset:392
	;; [unrolled: 1-line block ×4, first 2 shown]
	s_mov_b32 s0, exec_lo
	s_wait_loadcnt_dscnt 0x1612
	s_set_vgpr_msb 0                        ;  msbs: dst=0 src0=0 src1=0 src2=0
	v_dual_mul_f32 v9, v112, v117 :: v_dual_mul_f32 v11, v114, v119
	s_delay_alu instid0(VALU_DEP_1) | instskip(NEXT) | instid1(VALU_DEP_1)
	v_dual_fmac_f32 v9, v113, v116 :: v_dual_fmac_f32 v11, v115, v118
	v_add_f32_e32 v9, 0, v9
	s_wait_loadcnt_dscnt 0x1511
	s_delay_alu instid0(VALU_DEP_1) | instskip(NEXT) | instid1(VALU_DEP_1)
	v_dual_add_f32 v9, v9, v11 :: v_dual_mul_f32 v11, v120, v125
	v_fmac_f32_e32 v11, v121, v124
	s_delay_alu instid0(VALU_DEP_1) | instskip(SKIP_1) | instid1(VALU_DEP_1)
	v_add_f32_e32 v9, v9, v11
	v_mul_f32_e32 v11, v122, v127
	v_fmac_f32_e32 v11, v123, v126
	s_wait_loadcnt_dscnt 0x400
	s_set_vgpr_msb 0x45                     ;  msbs: dst=1 src0=1 src1=1 src2=0
	v_dual_mul_f32 v27 /*v283*/, v0 /*v256*/, v5 /*v261*/ :: v_dual_mul_f32 v29 /*v285*/, v2 /*v258*/, v7 /*v263*/
	s_set_vgpr_msb 0                        ;  msbs: dst=0 src0=0 src1=0 src2=0
	v_dual_add_f32 v9, v9, v11 :: v_dual_mul_f32 v11, v128, v133
	s_set_vgpr_msb 0x45                     ;  msbs: dst=1 src0=1 src1=1 src2=0
	s_delay_alu instid0(VALU_DEP_2) | instskip(SKIP_1) | instid1(VALU_DEP_2)
	v_dual_fmac_f32 v27 /*v283*/, v1 /*v257*/, v4 /*v260*/ :: v_dual_fmac_f32 v29 /*v285*/, v3 /*v259*/, v6 /*v262*/
	s_set_vgpr_msb 0                        ;  msbs: dst=0 src0=0 src1=0 src2=0
	v_fmac_f32_e32 v11, v129, v132
	s_delay_alu instid0(VALU_DEP_1) | instskip(SKIP_1) | instid1(VALU_DEP_1)
	v_add_f32_e32 v9, v9, v11
	v_mul_f32_e32 v11, v130, v135
	v_fmac_f32_e32 v11, v131, v134
	s_delay_alu instid0(VALU_DEP_1) | instskip(NEXT) | instid1(VALU_DEP_1)
	v_dual_add_f32 v9, v9, v11 :: v_dual_mul_f32 v11, v136, v141
	v_fmac_f32_e32 v11, v137, v140
	s_delay_alu instid0(VALU_DEP_1) | instskip(SKIP_1) | instid1(VALU_DEP_1)
	v_add_f32_e32 v9, v9, v11
	v_mul_f32_e32 v11, v138, v143
	v_fmac_f32_e32 v11, v139, v142
	s_delay_alu instid0(VALU_DEP_1) | instskip(NEXT) | instid1(VALU_DEP_1)
	v_dual_add_f32 v9, v9, v11 :: v_dual_mul_f32 v11, v144, v149
	;; [unrolled: 7-line block ×15, first 2 shown]
	v_fmac_f32_e32 v11, v249, v252
	s_delay_alu instid0(VALU_DEP_1) | instskip(SKIP_1) | instid1(VALU_DEP_1)
	v_add_f32_e32 v9, v9, v11
	v_mul_f32_e32 v11, v250, v255
	v_fmac_f32_e32 v11, v251, v254
	s_set_vgpr_msb 64                       ;  msbs: dst=1 src0=0 src1=0 src2=0
	s_delay_alu instid0(VALU_DEP_1) | instskip(SKIP_2) | instid1(VALU_DEP_1)
	v_add_f32_e32 v25 /*v281*/, v9, v11
	s_set_vgpr_msb 0                        ;  msbs: dst=0 src0=0 src1=0 src2=0
	v_dual_mul_f32 v9, v113, v117 :: v_dual_mul_f32 v11, v115, v119
	v_dual_fma_f32 v9, v112, v116, -v9 :: v_dual_fma_f32 v11, v114, v118, -v11
	s_delay_alu instid0(VALU_DEP_1) | instskip(NEXT) | instid1(VALU_DEP_1)
	v_add_f32_e32 v9, 0, v9
	v_add_f32_e32 v9, v9, v11
	v_mul_f32_e32 v11, v121, v125
	s_delay_alu instid0(VALU_DEP_1) | instskip(NEXT) | instid1(VALU_DEP_1)
	v_fma_f32 v11, v120, v124, -v11
	v_add_f32_e32 v9, v9, v11
	v_mul_f32_e32 v11, v123, v127
	s_delay_alu instid0(VALU_DEP_1)
	v_fma_f32 v11, v122, v126, -v11
	ds_load_2addr_b64 v[112:115], v5 offset0:103 offset1:104
	ds_load_2addr_b64 v[116:119], v5 offset0:105 offset1:106
	;; [unrolled: 1-line block ×4, first 2 shown]
	v_add_f32_e32 v9, v9, v11
	v_mul_f32_e32 v11, v129, v133
	s_delay_alu instid0(VALU_DEP_1) | instskip(NEXT) | instid1(VALU_DEP_1)
	v_fma_f32 v11, v128, v132, -v11
	v_add_f32_e32 v9, v9, v11
	v_mul_f32_e32 v11, v131, v135
	s_delay_alu instid0(VALU_DEP_1)
	v_fma_f32 v11, v130, v134, -v11
	s_wait_loadcnt_dscnt 0x303
	s_set_vgpr_msb 4                        ;  msbs: dst=0 src0=0 src1=1 src2=0
	v_pk_mul_f32 v[130:131], v[112:113], v[8:9] /*v[264:265]*/ op_sel:[1,1] op_sel_hi:[0,1]
	s_set_vgpr_msb 0                        ;  msbs: dst=0 src0=0 src1=0 src2=0
	v_add_f32_e32 v9, v9, v11
	v_mul_f32_e32 v11, v137, v141
	s_set_vgpr_msb 4                        ;  msbs: dst=0 src0=0 src1=1 src2=0
	v_pk_fma_f32 v[132:133], v[112:113], v[8:9] /*v[264:265]*/, v[130:131] neg_lo:[0,0,1] neg_hi:[0,0,1]
	v_pk_fma_f32 v[112:113], v[112:113], v[8:9] /*v[264:265]*/, v[130:131] op_sel_hi:[1,0,1]
	s_set_vgpr_msb 1                        ;  msbs: dst=0 src0=1 src1=0 src2=0
	v_mov_b32_e32 v130, v11 /*v267*/
	s_set_vgpr_msb 0                        ;  msbs: dst=0 src0=0 src1=0 src2=0
	s_delay_alu instid0(VALU_DEP_2) | instskip(NEXT) | instid1(VALU_DEP_1)
	v_dual_fma_f32 v11, v136, v140, -v11 :: v_dual_mov_b32 v133, v113
	v_add_f32_e32 v9, v9, v11
	v_mul_f32_e32 v11, v139, v143
	s_delay_alu instid0(VALU_DEP_1) | instskip(NEXT) | instid1(VALU_DEP_1)
	v_fma_f32 v11, v138, v142, -v11
	v_add_f32_e32 v9, v9, v11
	v_mul_f32_e32 v11, v145, v149
	s_delay_alu instid0(VALU_DEP_1) | instskip(NEXT) | instid1(VALU_DEP_1)
	v_fma_f32 v11, v144, v148, -v11
	;; [unrolled: 4-line block ×28, first 2 shown]
	v_add_f32_e32 v9, v9, v11
	v_mul_f32_e32 v11, v251, v255
	s_delay_alu instid0(VALU_DEP_1) | instskip(SKIP_1) | instid1(VALU_DEP_1)
	v_fma_f32 v11, v250, v254, -v11
	s_set_vgpr_msb 64                       ;  msbs: dst=1 src0=0 src1=0 src2=0
	v_add_f32_e32 v24 /*v280*/, v9, v11
	s_set_vgpr_msb 5                        ;  msbs: dst=0 src0=1 src1=1 src2=0
	v_mul_f32_e32 v9, v1 /*v257*/, v5 /*v261*/
	s_set_vgpr_msb 0x45                     ;  msbs: dst=1 src0=1 src1=1 src2=0
	s_delay_alu instid0(VALU_DEP_1) | instskip(SKIP_3) | instid1(VALU_DEP_1)
	v_fma_f32 v26 /*v282*/, v0 /*v256*/, v4 /*v260*/, -v9
	s_set_vgpr_msb 5                        ;  msbs: dst=0 src0=1 src1=1 src2=0
	v_mul_f32_e32 v9, v3 /*v259*/, v7 /*v263*/
	s_set_vgpr_msb 0x45                     ;  msbs: dst=1 src0=1 src1=1 src2=0
	v_fma_f32 v28 /*v284*/, v2 /*v258*/, v6 /*v262*/, -v9
	s_set_vgpr_msb 5                        ;  msbs: dst=0 src0=1 src1=1 src2=0
	v_pk_add_f32 v[128:129], v[24:25] /*v[280:281]*/, v[26:27] /*v[282:283]*/
	s_set_vgpr_msb 4                        ;  msbs: dst=0 src0=0 src1=1 src2=0
	s_delay_alu instid0(VALU_DEP_1) | instskip(SKIP_1) | instid1(VALU_DEP_1)
	v_pk_add_f32 v[128:129], v[128:129], v[28:29] /*v[284:285]*/
	s_set_vgpr_msb 0                        ;  msbs: dst=0 src0=0 src1=0 src2=0
	v_pk_add_f32 v[112:113], v[128:129], v[132:133]
	v_dual_mov_b32 v128, v115 :: v_dual_mov_b32 v129, v114
	s_delay_alu instid0(VALU_DEP_1) | instskip(SKIP_1) | instid1(VALU_DEP_1)
	v_pk_mul_f32 v[128:129], v[128:129], v[130:131] op_sel_hi:[1,0]
	s_set_vgpr_msb 4                        ;  msbs: dst=0 src0=0 src1=1 src2=0
	v_pk_fma_f32 v[130:131], v[114:115], v[10:11] /*v[266:267]*/, v[128:129] neg_lo:[0,0,1] neg_hi:[0,0,1]
	v_pk_fma_f32 v[114:115], v[114:115], v[10:11] /*v[266:267]*/, v[128:129] op_sel_hi:[1,0,1]
	s_delay_alu instid0(VALU_DEP_1) | instskip(SKIP_3) | instid1(VALU_DEP_2)
	v_mov_b32_e32 v131, v115
	s_wait_loadcnt_dscnt 0x202
	v_pk_mul_f32 v[114:115], v[116:117], v[12:13] /*v[268:269]*/ op_sel:[1,1] op_sel_hi:[0,1]
	s_set_vgpr_msb 0                        ;  msbs: dst=0 src0=0 src1=0 src2=0
	v_pk_add_f32 v[112:113], v[112:113], v[130:131]
	s_set_vgpr_msb 4                        ;  msbs: dst=0 src0=0 src1=1 src2=0
	s_delay_alu instid0(VALU_DEP_2)
	v_pk_fma_f32 v[128:129], v[116:117], v[12:13] /*v[268:269]*/, v[114:115] neg_lo:[0,0,1] neg_hi:[0,0,1]
	v_pk_fma_f32 v[114:115], v[116:117], v[12:13] /*v[268:269]*/, v[114:115] op_sel_hi:[1,0,1]
	v_mov_b32_e32 v114, v119
	s_set_vgpr_msb 1                        ;  msbs: dst=0 src0=1 src1=0 src2=0
	v_mov_b32_e32 v116, v15 /*v271*/
	s_set_vgpr_msb 0                        ;  msbs: dst=0 src0=0 src1=0 src2=0
	v_dual_mov_b32 v129, v115 :: v_dual_mov_b32 v115, v118
	s_delay_alu instid0(VALU_DEP_1) | instskip(NEXT) | instid1(VALU_DEP_2)
	v_pk_add_f32 v[112:113], v[112:113], v[128:129]
	v_pk_mul_f32 v[114:115], v[114:115], v[116:117] op_sel_hi:[1,0]
	s_set_vgpr_msb 4                        ;  msbs: dst=0 src0=0 src1=1 src2=0
	s_delay_alu instid0(VALU_DEP_1) | instskip(SKIP_1) | instid1(VALU_DEP_1)
	v_pk_fma_f32 v[116:117], v[118:119], v[14:15] /*v[270:271]*/, v[114:115] neg_lo:[0,0,1] neg_hi:[0,0,1]
	v_pk_fma_f32 v[114:115], v[118:119], v[14:15] /*v[270:271]*/, v[114:115] op_sel_hi:[1,0,1]
	v_mov_b32_e32 v117, v115
	s_wait_loadcnt_dscnt 0x101
	v_pk_mul_f32 v[114:115], v[120:121], v[16:17] /*v[272:273]*/ op_sel:[1,1] op_sel_hi:[0,1]
	s_set_vgpr_msb 0                        ;  msbs: dst=0 src0=0 src1=0 src2=0
	s_delay_alu instid0(VALU_DEP_2) | instskip(SKIP_1) | instid1(VALU_DEP_2)
	v_pk_add_f32 v[112:113], v[112:113], v[116:117]
	s_set_vgpr_msb 4                        ;  msbs: dst=0 src0=0 src1=1 src2=0
	v_pk_fma_f32 v[116:117], v[120:121], v[16:17] /*v[272:273]*/, v[114:115] neg_lo:[0,0,1] neg_hi:[0,0,1]
	v_pk_fma_f32 v[114:115], v[120:121], v[16:17] /*v[272:273]*/, v[114:115] op_sel_hi:[1,0,1]
	s_delay_alu instid0(VALU_DEP_1) | instskip(SKIP_2) | instid1(VALU_DEP_2)
	v_dual_mov_b32 v114, v123 :: v_dual_mov_b32 v117, v115
	v_mov_b32_e32 v115, v122
	s_set_vgpr_msb 0                        ;  msbs: dst=0 src0=0 src1=0 src2=0
	v_pk_add_f32 v[112:113], v[112:113], v[116:117]
	s_set_vgpr_msb 1                        ;  msbs: dst=0 src0=1 src1=0 src2=0
	v_mov_b32_e32 v116, v19 /*v275*/
	s_set_vgpr_msb 0                        ;  msbs: dst=0 src0=0 src1=0 src2=0
	s_delay_alu instid0(VALU_DEP_1) | instskip(SKIP_1) | instid1(VALU_DEP_1)
	v_pk_mul_f32 v[114:115], v[114:115], v[116:117] op_sel_hi:[1,0]
	s_set_vgpr_msb 4                        ;  msbs: dst=0 src0=0 src1=1 src2=0
	v_pk_fma_f32 v[116:117], v[122:123], v[18:19] /*v[274:275]*/, v[114:115] neg_lo:[0,0,1] neg_hi:[0,0,1]
	v_pk_fma_f32 v[114:115], v[122:123], v[18:19] /*v[274:275]*/, v[114:115] op_sel_hi:[1,0,1]
	s_delay_alu instid0(VALU_DEP_1) | instskip(SKIP_3) | instid1(VALU_DEP_2)
	v_mov_b32_e32 v117, v115
	s_wait_loadcnt_dscnt 0x0
	v_pk_mul_f32 v[114:115], v[124:125], v[20:21] /*v[276:277]*/ op_sel:[1,1] op_sel_hi:[0,1]
	s_set_vgpr_msb 0                        ;  msbs: dst=0 src0=0 src1=0 src2=0
	v_pk_add_f32 v[112:113], v[112:113], v[116:117]
	s_set_vgpr_msb 4                        ;  msbs: dst=0 src0=0 src1=1 src2=0
	s_delay_alu instid0(VALU_DEP_2) | instskip(SKIP_1) | instid1(VALU_DEP_1)
	v_pk_fma_f32 v[116:117], v[124:125], v[20:21] /*v[276:277]*/, v[114:115] neg_lo:[0,0,1] neg_hi:[0,0,1]
	v_pk_fma_f32 v[114:115], v[124:125], v[20:21] /*v[276:277]*/, v[114:115] op_sel_hi:[1,0,1]
	v_dual_mov_b32 v114, v127 :: v_dual_mov_b32 v117, v115
	v_mov_b32_e32 v115, v126
	s_set_vgpr_msb 0                        ;  msbs: dst=0 src0=0 src1=0 src2=0
	s_delay_alu instid0(VALU_DEP_2) | instskip(SKIP_3) | instid1(VALU_DEP_1)
	v_pk_add_f32 v[112:113], v[112:113], v[116:117]
	s_set_vgpr_msb 1                        ;  msbs: dst=0 src0=1 src1=0 src2=0
	v_mov_b32_e32 v116, v23 /*v279*/
	s_set_vgpr_msb 0                        ;  msbs: dst=0 src0=0 src1=0 src2=0
	v_pk_mul_f32 v[114:115], v[114:115], v[116:117] op_sel_hi:[1,0]
	s_set_vgpr_msb 4                        ;  msbs: dst=0 src0=0 src1=1 src2=0
	s_delay_alu instid0(VALU_DEP_1) | instskip(SKIP_1) | instid1(VALU_DEP_1)
	v_pk_fma_f32 v[116:117], v[126:127], v[22:23] /*v[278:279]*/, v[114:115] neg_lo:[0,0,1] neg_hi:[0,0,1]
	v_pk_fma_f32 v[114:115], v[126:127], v[22:23] /*v[278:279]*/, v[114:115] op_sel_hi:[1,0,1]
	v_mov_b32_e32 v117, v115
	scratch_load_b64 v[114:115], off, off offset:64
	s_set_vgpr_msb 0                        ;  msbs: dst=0 src0=0 src1=0 src2=0
	v_pk_add_f32 v[112:113], v[112:113], v[116:117]
	s_wait_loadcnt 0x0
	s_delay_alu instid0(VALU_DEP_1)
	v_pk_add_f32 v[112:113], v[114:115], v[112:113] neg_lo:[0,1] neg_hi:[0,1]
	scratch_store_b64 off, v[112:113], off offset:64
	s_wait_xcnt 0x0
	v_cmpx_lt_u32_e32 7, v0
	s_cbranch_execz .LBB54_329
; %bb.328:
	scratch_load_b64 v[112:113], off, off offset:56
	v_mov_b64_e32 v[114:115], 0
	scratch_store_b64 off, v[114:115], off offset:56
	s_wait_loadcnt 0x0
	ds_store_b64 v1, v[112:113]
.LBB54_329:
	s_wait_xcnt 0x0
	s_or_b32 exec_lo, exec_lo, s0
	v_mov_b32_e32 v5, 0
	s_wait_storecnt_dscnt 0x0
	s_barrier_signal -1
	s_barrier_wait -1
	ds_load_b128 v[112:115], v5 offset:512
	ds_load_b128 v[116:119], v5 offset:528
	;; [unrolled: 1-line block ×4, first 2 shown]
	s_clause 0x14
	scratch_load_b128 v[128:131], off, off offset:64
	scratch_load_b128 v[132:135], off, off offset:80
	;; [unrolled: 1-line block ×18, first 2 shown]
	s_set_vgpr_msb 64                       ;  msbs: dst=1 src0=0 src1=0 src2=0
	scratch_load_b128 v[4:7] /*v[260:263]*/, off, off offset:352
	scratch_load_b128 v[12:15] /*v[268:271]*/, off, off offset:368
	s_mov_b32 s0, exec_lo
	s_wait_loadcnt_dscnt 0x1303
	s_set_vgpr_msb 0                        ;  msbs: dst=0 src0=0 src1=0 src2=0
	v_mul_f32_e32 v9, v112, v129
	ds_load_b128 v[144:147], v5 offset:576
	ds_load_b128 v[152:155], v5 offset:592
	;; [unrolled: 1-line block ×4, first 2 shown]
	v_dual_fmac_f32 v9, v113, v128 :: v_dual_mul_f32 v11, v114, v131
	ds_load_b128 v[176:179], v5 offset:640
	ds_load_b128 v[184:187], v5 offset:656
	;; [unrolled: 1-line block ×4, first 2 shown]
	v_dual_add_f32 v9, 0, v9 :: v_dual_fmac_f32 v11, v115, v130
	ds_load_b128 v[208:211], v5 offset:704
	ds_load_b128 v[216:219], v5 offset:720
	;; [unrolled: 1-line block ×4, first 2 shown]
	s_wait_loadcnt_dscnt 0x120e
	v_dual_add_f32 v9, v9, v11 :: v_dual_mul_f32 v11, v116, v133
	ds_load_b128 v[240:243], v5 offset:768
	ds_load_b128 v[248:251], v5 offset:784
	s_set_vgpr_msb 64                       ;  msbs: dst=1 src0=0 src1=0 src2=0
	ds_load_b128 v[0:3] /*v[256:259]*/, v5 offset:800
	ds_load_b128 v[8:11] /*v[264:267]*/, v5 offset:816
	s_set_vgpr_msb 0                        ;  msbs: dst=0 src0=0 src1=0 src2=0
	v_fmac_f32_e32 v11, v117, v132
	s_set_vgpr_msb 64                       ;  msbs: dst=1 src0=0 src1=0 src2=0
	s_clause 0x3
	scratch_load_b128 v[16:19] /*v[272:275]*/, off, off offset:384
	scratch_load_b128 v[20:23] /*v[276:279]*/, off, off offset:400
	;; [unrolled: 1-line block ×3, first 2 shown]
	scratch_load_b64 v[34:35] /*v[290:291]*/, off, off offset:432
	s_set_vgpr_msb 0                        ;  msbs: dst=0 src0=0 src1=0 src2=0
	v_add_f32_e32 v9, v9, v11
	v_mul_f32_e32 v11, v118, v135
	s_delay_alu instid0(VALU_DEP_1) | instskip(SKIP_1) | instid1(VALU_DEP_1)
	v_fmac_f32_e32 v11, v119, v134
	s_wait_loadcnt_dscnt 0x1511
	v_dual_add_f32 v9, v9, v11 :: v_dual_mul_f32 v11, v120, v137
	s_wait_loadcnt_dscnt 0x400
	s_set_vgpr_msb 0x45                     ;  msbs: dst=1 src0=1 src1=1 src2=0
	v_dual_mul_f32 v31 /*v287*/, v2 /*v258*/, v7 /*v263*/ :: v_dual_mul_f32 v33 /*v289*/, v8 /*v264*/, v13 /*v269*/
	s_set_vgpr_msb 0                        ;  msbs: dst=0 src0=0 src1=0 src2=0
	v_fmac_f32_e32 v11, v121, v136
	s_set_vgpr_msb 0x45                     ;  msbs: dst=1 src0=1 src1=1 src2=0
	s_delay_alu instid0(VALU_DEP_2) | instskip(SKIP_1) | instid1(VALU_DEP_2)
	v_dual_fmac_f32 v31 /*v287*/, v3 /*v259*/, v6 /*v262*/ :: v_dual_fmac_f32 v33 /*v289*/, v9 /*v265*/, v12 /*v268*/
	s_set_vgpr_msb 0                        ;  msbs: dst=0 src0=0 src1=0 src2=0
	v_add_f32_e32 v9, v9, v11
	v_mul_f32_e32 v11, v122, v139
	s_delay_alu instid0(VALU_DEP_1) | instskip(NEXT) | instid1(VALU_DEP_1)
	v_fmac_f32_e32 v11, v123, v138
	v_dual_add_f32 v9, v9, v11 :: v_dual_mul_f32 v11, v124, v141
	s_delay_alu instid0(VALU_DEP_1) | instskip(NEXT) | instid1(VALU_DEP_1)
	v_fmac_f32_e32 v11, v125, v140
	v_add_f32_e32 v9, v9, v11
	v_mul_f32_e32 v11, v126, v143
	s_delay_alu instid0(VALU_DEP_1) | instskip(NEXT) | instid1(VALU_DEP_1)
	v_fmac_f32_e32 v11, v127, v142
	v_dual_add_f32 v9, v9, v11 :: v_dual_mul_f32 v11, v144, v149
	s_delay_alu instid0(VALU_DEP_1) | instskip(NEXT) | instid1(VALU_DEP_1)
	v_fmac_f32_e32 v11, v145, v148
	;; [unrolled: 7-line block ×15, first 2 shown]
	v_add_f32_e32 v9, v9, v11
	v_mul_f32_e32 v11, v250, v255
	s_delay_alu instid0(VALU_DEP_1) | instskip(NEXT) | instid1(VALU_DEP_1)
	v_fmac_f32_e32 v11, v251, v254
	v_add_f32_e32 v9, v9, v11
	s_set_vgpr_msb 5                        ;  msbs: dst=0 src0=1 src1=1 src2=0
	v_mul_f32_e32 v11, v0 /*v256*/, v5 /*v261*/
	s_delay_alu instid0(VALU_DEP_1) | instskip(SKIP_1) | instid1(VALU_DEP_1)
	v_fmac_f32_e32 v11, v1 /*v257*/, v4 /*v260*/
	s_set_vgpr_msb 64                       ;  msbs: dst=1 src0=0 src1=0 src2=0
	v_add_f32_e32 v29 /*v285*/, v9, v11
	s_set_vgpr_msb 0                        ;  msbs: dst=0 src0=0 src1=0 src2=0
	v_dual_mul_f32 v9, v113, v129 :: v_dual_mul_f32 v11, v115, v131
	s_set_vgpr_msb 1                        ;  msbs: dst=0 src0=1 src1=0 src2=0
	v_mov_b32_e32 v129, v10 /*v266*/
	s_set_vgpr_msb 0                        ;  msbs: dst=0 src0=0 src1=0 src2=0
	s_delay_alu instid0(VALU_DEP_2) | instskip(SKIP_2) | instid1(VALU_DEP_2)
	v_dual_fma_f32 v9, v112, v128, -v9 :: v_dual_fma_f32 v11, v114, v130, -v11
	s_set_vgpr_msb 1                        ;  msbs: dst=0 src0=1 src1=0 src2=0
	v_dual_mov_b32 v128, v11 /*v267*/ :: v_dual_mov_b32 v130, v15 /*v271*/
	v_add_f32_e32 v9, 0, v9
	s_set_vgpr_msb 0                        ;  msbs: dst=0 src0=0 src1=0 src2=0
	s_delay_alu instid0(VALU_DEP_2) | instskip(NEXT) | instid1(VALU_DEP_2)
	v_pk_mul_f32 v[128:129], v[128:129], v[130:131] op_sel_hi:[1,0]
	v_add_f32_e32 v9, v9, v11
	v_mul_f32_e32 v11, v117, v133
	s_set_vgpr_msb 5                        ;  msbs: dst=0 src0=1 src1=1 src2=0
	s_delay_alu instid0(VALU_DEP_3) | instskip(SKIP_2) | instid1(VALU_DEP_1)
	v_pk_fma_f32 v[130:131], v[10:11] /*v[266:267]*/, v[14:15] /*v[270:271]*/, v[128:129] neg_lo:[0,0,1] neg_hi:[0,0,1]
	v_pk_fma_f32 v[128:129], v[10:11] /*v[266:267]*/, v[14:15] /*v[270:271]*/, v[128:129] op_sel_hi:[1,0,1]
	s_set_vgpr_msb 0                        ;  msbs: dst=0 src0=0 src1=0 src2=0
	v_dual_fma_f32 v11, v116, v132, -v11 :: v_dual_mov_b32 v131, v129
	s_delay_alu instid0(VALU_DEP_1) | instskip(SKIP_1) | instid1(VALU_DEP_1)
	v_add_f32_e32 v9, v9, v11
	v_mul_f32_e32 v11, v119, v135
	v_fma_f32 v11, v118, v134, -v11
	s_delay_alu instid0(VALU_DEP_1) | instskip(SKIP_1) | instid1(VALU_DEP_1)
	v_add_f32_e32 v9, v9, v11
	v_mul_f32_e32 v11, v121, v137
	v_fma_f32 v11, v120, v136, -v11
	;; [unrolled: 4-line block ×4, first 2 shown]
	ds_load_b128 v[112:115], v5 offset:832
	ds_load_b128 v[116:119], v5 offset:848
	;; [unrolled: 1-line block ×3, first 2 shown]
	ds_load_b64 v[124:125], v5 offset:880
	v_add_f32_e32 v9, v9, v11
	v_mul_f32_e32 v11, v127, v143
	s_delay_alu instid0(VALU_DEP_1) | instskip(NEXT) | instid1(VALU_DEP_1)
	v_fma_f32 v11, v126, v142, -v11
	v_add_f32_e32 v9, v9, v11
	v_mul_f32_e32 v11, v145, v149
	s_wait_loadcnt_dscnt 0x303
	s_set_vgpr_msb 4                        ;  msbs: dst=0 src0=0 src1=1 src2=0
	v_pk_mul_f32 v[128:129], v[112:113], v[16:17] /*v[272:273]*/ op_sel:[1,1] op_sel_hi:[0,1]
	s_set_vgpr_msb 0                        ;  msbs: dst=0 src0=0 src1=0 src2=0
	v_fma_f32 v11, v144, v148, -v11
	s_delay_alu instid0(VALU_DEP_1) | instskip(SKIP_1) | instid1(VALU_DEP_1)
	v_add_f32_e32 v9, v9, v11
	v_mul_f32_e32 v11, v147, v151
	v_fma_f32 v11, v146, v150, -v11
	s_delay_alu instid0(VALU_DEP_1) | instskip(SKIP_1) | instid1(VALU_DEP_1)
	v_add_f32_e32 v9, v9, v11
	v_mul_f32_e32 v11, v153, v157
	;; [unrolled: 4-line block ×27, first 2 shown]
	v_fma_f32 v11, v250, v254, -v11
	s_delay_alu instid0(VALU_DEP_1) | instskip(SKIP_2) | instid1(VALU_DEP_1)
	v_add_f32_e32 v9, v9, v11
	s_set_vgpr_msb 5                        ;  msbs: dst=0 src0=1 src1=1 src2=0
	v_mul_f32_e32 v11, v1 /*v257*/, v5 /*v261*/
	v_fma_f32 v11, v0 /*v256*/, v4 /*v260*/, -v11
	s_set_vgpr_msb 64                       ;  msbs: dst=1 src0=0 src1=0 src2=0
	s_delay_alu instid0(VALU_DEP_1) | instskip(SKIP_3) | instid1(VALU_DEP_1)
	v_add_f32_e32 v28 /*v284*/, v9, v11
	s_set_vgpr_msb 5                        ;  msbs: dst=0 src0=1 src1=1 src2=0
	v_mul_f32_e32 v9, v3 /*v259*/, v7 /*v263*/
	s_set_vgpr_msb 0x45                     ;  msbs: dst=1 src0=1 src1=1 src2=0
	v_fma_f32 v30 /*v286*/, v2 /*v258*/, v6 /*v262*/, -v9
	s_set_vgpr_msb 5                        ;  msbs: dst=0 src0=1 src1=1 src2=0
	v_mul_f32_e32 v9, v9 /*v265*/, v13 /*v269*/
	s_set_vgpr_msb 0x45                     ;  msbs: dst=1 src0=1 src1=1 src2=0
	s_delay_alu instid0(VALU_DEP_1) | instskip(SKIP_3) | instid1(VALU_DEP_1)
	v_fma_f32 v32 /*v288*/, v8 /*v264*/, v12 /*v268*/, -v9
	s_set_vgpr_msb 5                        ;  msbs: dst=0 src0=1 src1=1 src2=0
	v_pk_add_f32 v[126:127], v[28:29] /*v[284:285]*/, v[30:31] /*v[286:287]*/
	s_set_vgpr_msb 4                        ;  msbs: dst=0 src0=0 src1=1 src2=0
	v_pk_add_f32 v[126:127], v[126:127], v[32:33] /*v[288:289]*/
	s_set_vgpr_msb 0                        ;  msbs: dst=0 src0=0 src1=0 src2=0
	s_delay_alu instid0(VALU_DEP_1)
	v_pk_add_f32 v[126:127], v[126:127], v[130:131]
	s_set_vgpr_msb 4                        ;  msbs: dst=0 src0=0 src1=1 src2=0
	v_pk_fma_f32 v[130:131], v[112:113], v[16:17] /*v[272:273]*/, v[128:129] neg_lo:[0,0,1] neg_hi:[0,0,1]
	v_pk_fma_f32 v[112:113], v[112:113], v[16:17] /*v[272:273]*/, v[128:129] op_sel_hi:[1,0,1]
	s_set_vgpr_msb 1                        ;  msbs: dst=0 src0=1 src1=0 src2=0
	v_mov_b32_e32 v128, v19 /*v275*/
	s_set_vgpr_msb 0                        ;  msbs: dst=0 src0=0 src1=0 src2=0
	s_delay_alu instid0(VALU_DEP_2) | instskip(NEXT) | instid1(VALU_DEP_1)
	v_mov_b32_e32 v131, v113
	v_pk_add_f32 v[112:113], v[126:127], v[130:131]
	v_dual_mov_b32 v126, v115 :: v_dual_mov_b32 v127, v114
	s_delay_alu instid0(VALU_DEP_1) | instskip(SKIP_1) | instid1(VALU_DEP_1)
	v_pk_mul_f32 v[126:127], v[126:127], v[128:129] op_sel_hi:[1,0]
	s_set_vgpr_msb 4                        ;  msbs: dst=0 src0=0 src1=1 src2=0
	v_pk_fma_f32 v[128:129], v[114:115], v[18:19] /*v[274:275]*/, v[126:127] neg_lo:[0,0,1] neg_hi:[0,0,1]
	v_pk_fma_f32 v[114:115], v[114:115], v[18:19] /*v[274:275]*/, v[126:127] op_sel_hi:[1,0,1]
	s_delay_alu instid0(VALU_DEP_1) | instskip(SKIP_3) | instid1(VALU_DEP_2)
	v_mov_b32_e32 v129, v115
	s_wait_loadcnt_dscnt 0x202
	v_pk_mul_f32 v[114:115], v[116:117], v[20:21] /*v[276:277]*/ op_sel:[1,1] op_sel_hi:[0,1]
	s_set_vgpr_msb 0                        ;  msbs: dst=0 src0=0 src1=0 src2=0
	v_pk_add_f32 v[112:113], v[112:113], v[128:129]
	s_set_vgpr_msb 4                        ;  msbs: dst=0 src0=0 src1=1 src2=0
	s_delay_alu instid0(VALU_DEP_2)
	v_pk_fma_f32 v[126:127], v[116:117], v[20:21] /*v[276:277]*/, v[114:115] neg_lo:[0,0,1] neg_hi:[0,0,1]
	v_pk_fma_f32 v[114:115], v[116:117], v[20:21] /*v[276:277]*/, v[114:115] op_sel_hi:[1,0,1]
	v_mov_b32_e32 v114, v119
	s_set_vgpr_msb 1                        ;  msbs: dst=0 src0=1 src1=0 src2=0
	v_mov_b32_e32 v116, v23 /*v279*/
	s_set_vgpr_msb 0                        ;  msbs: dst=0 src0=0 src1=0 src2=0
	v_dual_mov_b32 v127, v115 :: v_dual_mov_b32 v115, v118
	s_delay_alu instid0(VALU_DEP_1) | instskip(NEXT) | instid1(VALU_DEP_2)
	v_pk_add_f32 v[112:113], v[112:113], v[126:127]
	v_pk_mul_f32 v[114:115], v[114:115], v[116:117] op_sel_hi:[1,0]
	s_set_vgpr_msb 4                        ;  msbs: dst=0 src0=0 src1=1 src2=0
	s_delay_alu instid0(VALU_DEP_1) | instskip(SKIP_1) | instid1(VALU_DEP_1)
	v_pk_fma_f32 v[116:117], v[118:119], v[22:23] /*v[278:279]*/, v[114:115] neg_lo:[0,0,1] neg_hi:[0,0,1]
	v_pk_fma_f32 v[114:115], v[118:119], v[22:23] /*v[278:279]*/, v[114:115] op_sel_hi:[1,0,1]
	v_mov_b32_e32 v117, v115
	s_wait_loadcnt_dscnt 0x101
	v_pk_mul_f32 v[114:115], v[120:121], v[24:25] /*v[280:281]*/ op_sel:[1,1] op_sel_hi:[0,1]
	s_set_vgpr_msb 0                        ;  msbs: dst=0 src0=0 src1=0 src2=0
	s_delay_alu instid0(VALU_DEP_2) | instskip(SKIP_1) | instid1(VALU_DEP_2)
	v_pk_add_f32 v[112:113], v[112:113], v[116:117]
	s_set_vgpr_msb 4                        ;  msbs: dst=0 src0=0 src1=1 src2=0
	v_pk_fma_f32 v[116:117], v[120:121], v[24:25] /*v[280:281]*/, v[114:115] neg_lo:[0,0,1] neg_hi:[0,0,1]
	v_pk_fma_f32 v[114:115], v[120:121], v[24:25] /*v[280:281]*/, v[114:115] op_sel_hi:[1,0,1]
	s_delay_alu instid0(VALU_DEP_1) | instskip(SKIP_2) | instid1(VALU_DEP_2)
	v_dual_mov_b32 v114, v123 :: v_dual_mov_b32 v117, v115
	v_mov_b32_e32 v115, v122
	s_set_vgpr_msb 0                        ;  msbs: dst=0 src0=0 src1=0 src2=0
	v_pk_add_f32 v[112:113], v[112:113], v[116:117]
	s_set_vgpr_msb 1                        ;  msbs: dst=0 src0=1 src1=0 src2=0
	v_mov_b32_e32 v116, v27 /*v283*/
	s_set_vgpr_msb 0                        ;  msbs: dst=0 src0=0 src1=0 src2=0
	s_delay_alu instid0(VALU_DEP_1) | instskip(SKIP_1) | instid1(VALU_DEP_1)
	v_pk_mul_f32 v[114:115], v[114:115], v[116:117] op_sel_hi:[1,0]
	s_set_vgpr_msb 4                        ;  msbs: dst=0 src0=0 src1=1 src2=0
	v_pk_fma_f32 v[116:117], v[122:123], v[26:27] /*v[282:283]*/, v[114:115] neg_lo:[0,0,1] neg_hi:[0,0,1]
	v_pk_fma_f32 v[114:115], v[122:123], v[26:27] /*v[282:283]*/, v[114:115] op_sel_hi:[1,0,1]
	s_delay_alu instid0(VALU_DEP_1) | instskip(SKIP_3) | instid1(VALU_DEP_2)
	v_mov_b32_e32 v117, v115
	s_wait_loadcnt_dscnt 0x0
	v_pk_mul_f32 v[114:115], v[124:125], v[34:35] /*v[290:291]*/ op_sel:[1,1] op_sel_hi:[0,1]
	s_set_vgpr_msb 0                        ;  msbs: dst=0 src0=0 src1=0 src2=0
	v_pk_add_f32 v[112:113], v[112:113], v[116:117]
	s_set_vgpr_msb 4                        ;  msbs: dst=0 src0=0 src1=1 src2=0
	s_delay_alu instid0(VALU_DEP_2) | instskip(SKIP_1) | instid1(VALU_DEP_1)
	v_pk_fma_f32 v[116:117], v[124:125], v[34:35] /*v[290:291]*/, v[114:115] neg_lo:[0,0,1] neg_hi:[0,0,1]
	v_pk_fma_f32 v[114:115], v[124:125], v[34:35] /*v[290:291]*/, v[114:115] op_sel_hi:[1,0,1]
	v_mov_b32_e32 v117, v115
	scratch_load_b64 v[114:115], off, off offset:56
	s_set_vgpr_msb 0                        ;  msbs: dst=0 src0=0 src1=0 src2=0
	v_pk_add_f32 v[112:113], v[112:113], v[116:117]
	s_wait_loadcnt 0x0
	s_delay_alu instid0(VALU_DEP_1)
	v_pk_add_f32 v[112:113], v[114:115], v[112:113] neg_lo:[0,1] neg_hi:[0,1]
	scratch_store_b64 off, v[112:113], off offset:56
	s_wait_xcnt 0x0
	v_cmpx_lt_u32_e32 6, v0
	s_cbranch_execz .LBB54_331
; %bb.330:
	scratch_load_b64 v[112:113], off, off offset:48
	v_mov_b64_e32 v[114:115], 0
	scratch_store_b64 off, v[114:115], off offset:48
	s_wait_loadcnt 0x0
	ds_store_b64 v1, v[112:113]
.LBB54_331:
	s_wait_xcnt 0x0
	s_or_b32 exec_lo, exec_lo, s0
	s_wait_storecnt_dscnt 0x0
	s_barrier_signal -1
	s_barrier_wait -1
	s_clause 0x17
	scratch_load_b128 v[112:115], off, off offset:56
	scratch_load_b128 v[116:119], off, off offset:72
	;; [unrolled: 1-line block ×24, first 2 shown]
	ds_load_2addr_b64 v[208:211], v5 offset0:63 offset1:64
	ds_load_2addr_b64 v[212:215], v5 offset0:65 offset1:66
	;; [unrolled: 1-line block ×6, first 2 shown]
	s_set_vgpr_msb 64                       ;  msbs: dst=1 src0=0 src1=0 src2=0
	scratch_load_b64 v[48:49] /*v[304:305]*/, off, off offset:48
	s_set_vgpr_msb 0                        ;  msbs: dst=0 src0=0 src1=0 src2=0
	ds_load_2addr_b64 v[232:235], v5 offset0:71 offset1:72
	ds_load_2addr_b64 v[236:239], v5 offset0:73 offset1:74
	;; [unrolled: 1-line block ×6, first 2 shown]
	s_set_vgpr_msb 64                       ;  msbs: dst=1 src0=0 src1=0 src2=0
	ds_load_2addr_b64 v[0:3] /*v[256:259]*/, v5 offset0:79 offset1:80
	ds_load_2addr_b64 v[4:7] /*v[260:263]*/, v5 offset0:81 offset1:82
	;; [unrolled: 1-line block ×12, first 2 shown]
	s_mov_b32 s0, exec_lo
	s_wait_dscnt 0xf
	v_dual_mov_b32 v54 /*v310*/, v243 :: v_dual_mov_b32 v55 /*v311*/, v242
	s_wait_dscnt 0xe
	v_dual_mov_b32 v56 /*v312*/, v247 :: v_dual_mov_b32 v57 /*v313*/, v246
	v_dual_mov_b32 v50 /*v306*/, v227 :: v_dual_mov_b32 v51 /*v307*/, v226
	;; [unrolled: 1-line block ×3, first 2 shown]
	s_wait_loadcnt 0x18
	s_set_vgpr_msb 0                        ;  msbs: dst=0 src0=0 src1=0 src2=0
	v_dual_mul_f32 v5, v208, v113 :: v_dual_mul_f32 v9, v210, v115
	v_dual_mul_f32 v83, v209, v113 :: v_dual_mul_f32 v85, v211, v115
	s_wait_loadcnt 0x17
	v_dual_mul_f32 v11, v212, v117 :: v_dual_mul_f32 v13, v214, v119
	s_delay_alu instid0(VALU_DEP_2) | instskip(SKIP_3) | instid1(VALU_DEP_3)
	v_dual_fmac_f32 v5, v209, v112 :: v_dual_fma_f32 v83, v208, v112, -v83
	v_dual_mul_f32 v87, v213, v117 :: v_dual_mul_f32 v89, v215, v119
	s_wait_loadcnt 0x15
	v_dual_mul_f32 v95, v221, v125 :: v_dual_fmac_f32 v9, v211, v114
	v_dual_fma_f32 v85, v210, v114, -v85 :: v_dual_add_f32 v5, 0, v5
	v_dual_add_f32 v83, 0, v83 :: v_dual_fmac_f32 v11, v213, v116
	v_dual_mul_f32 v97, v223, v127 :: v_dual_fma_f32 v87, v212, v116, -v87
	s_delay_alu instid0(VALU_DEP_3) | instskip(NEXT) | instid1(VALU_DEP_3)
	v_dual_add_f32 v5, v5, v9 :: v_dual_fmac_f32 v13, v215, v118
	v_dual_add_f32 v9, v83, v85 :: v_dual_fma_f32 v85, v214, v118, -v89
	v_dual_mul_f32 v15, v216, v121 :: v_dual_mul_f32 v17, v218, v123
	v_dual_mul_f32 v91, v217, v121 :: v_dual_mul_f32 v93, v219, v123
	s_delay_alu instid0(VALU_DEP_4) | instskip(NEXT) | instid1(VALU_DEP_3)
	v_add_f32_e32 v5, v5, v11
	v_dual_add_f32 v9, v9, v87 :: v_dual_fmac_f32 v17, v219, v122
	s_delay_alu instid0(VALU_DEP_4) | instskip(NEXT) | instid1(VALU_DEP_3)
	v_fmac_f32_e32 v15, v217, v120
	v_dual_fma_f32 v87, v216, v120, -v91 :: v_dual_add_f32 v5, v5, v13
	s_delay_alu instid0(VALU_DEP_3) | instskip(SKIP_4) | instid1(VALU_DEP_2)
	v_add_f32_e32 v9, v9, v85
	v_dual_mul_f32 v19, v220, v125 :: v_dual_mul_f32 v21, v222, v127
	s_wait_loadcnt 0x14
	v_dual_mul_f32 v83, v233, v129 :: v_dual_mul_f32 v11, v235, v131
	v_dual_fma_f32 v85, v218, v122, -v93 :: v_dual_add_f32 v5, v5, v15
	v_dual_add_f32 v9, v9, v87 :: v_dual_fma_f32 v83, v232, v128, -v83
	v_dual_mul_f32 v23, v232, v129 :: v_dual_mul_f32 v25, v234, v131
	v_fmac_f32_e32 v19, v221, v124
	s_delay_alu instid0(VALU_DEP_3) | instskip(SKIP_4) | instid1(VALU_DEP_2)
	v_dual_add_f32 v9, v9, v85 :: v_dual_fma_f32 v11, v234, v130, -v11
	v_dual_fma_f32 v85, v222, v126, -v97 :: v_dual_add_f32 v5, v5, v17
	s_wait_loadcnt 0x13
	v_dual_mul_f32 v13, v237, v133 :: v_dual_fmac_f32 v21, v223, v126
	v_dual_fma_f32 v87, v220, v124, -v95 :: v_dual_fmac_f32 v25, v235, v130
	v_dual_add_f32 v5, v5, v19 :: v_dual_fma_f32 v13, v236, v132, -v13
	v_dual_mul_f32 v27, v236, v133 :: v_dual_mul_f32 v29, v238, v135
	s_wait_loadcnt_dscnt 0x120d
	v_dual_mul_f32 v31, v248, v137 :: v_dual_mul_f32 v33, v250, v139
	v_mul_f32_e32 v15, v239, v135
	s_delay_alu instid0(VALU_DEP_3) | instskip(SKIP_1) | instid1(VALU_DEP_4)
	v_dual_add_f32 v9, v9, v87 :: v_dual_fmac_f32 v29, v239, v134
	v_dual_mul_f32 v19, v251, v139 :: v_dual_fmac_f32 v23, v233, v128
	v_dual_fmac_f32 v33, v251, v138 :: v_dual_add_f32 v5, v5, v21
	s_delay_alu instid0(VALU_DEP_4) | instskip(SKIP_1) | instid1(VALU_DEP_3)
	v_dual_fma_f32 v15, v238, v134, -v15 :: v_dual_mul_f32 v17, v249, v137
	s_wait_loadcnt_dscnt 0x110c
	v_dual_mul_f32 v21, v253, v141 :: v_dual_fma_f32 v19, v250, v138, -v19
	s_delay_alu instid0(VALU_DEP_3)
	v_add_f32_e32 v5, v5, v23
	v_dual_mul_f32 v23, v255, v143 :: v_dual_add_f32 v9, v9, v85
	v_fma_f32 v17, v248, v136, -v17
	v_dual_mul_f32 v35, v252, v141 :: v_dual_mul_f32 v37, v254, v143
	s_wait_loadcnt 0x4
	v_dual_fmac_f32 v27, v237, v132 :: v_dual_mov_b32 v114, v195
	v_add_f32_e32 v9, v9, v83
	v_pk_mul_f32 v[112:113], v[224:225], v[192:193] op_sel:[1,1] op_sel_hi:[0,1]
	v_dual_fma_f32 v21, v252, v140, -v21 :: v_dual_add_f32 v5, v5, v25
	v_dual_fma_f32 v23, v254, v142, -v23 :: v_dual_fmac_f32 v37, v255, v142
	s_wait_loadcnt 0x3
	v_dual_add_f32 v9, v9, v11 :: v_dual_mov_b32 v118, v199
	v_pk_fma_f32 v[122:123], v[224:225], v[192:193], v[112:113] op_sel_hi:[1,0,1]
	s_set_vgpr_msb 1                        ;  msbs: dst=0 src0=1 src1=0 src2=0
	v_pk_mul_f32 v[114:115], v[50:51] /*v[306:307]*/, v[114:115] op_sel_hi:[1,0]
	s_set_vgpr_msb 0                        ;  msbs: dst=0 src0=0 src1=0 src2=0
	v_pk_fma_f32 v[112:113], v[224:225], v[192:193], v[112:113] neg_lo:[0,0,1] neg_hi:[0,0,1]
	v_add_f32_e32 v5, v5, v27
	v_pk_mul_f32 v[116:117], v[228:229], v[196:197] op_sel:[1,1] op_sel_hi:[0,1]
	v_mov_b32_e32 v113, v123
	v_pk_fma_f32 v[122:123], v[226:227], v[194:195], v[114:115] op_sel_hi:[1,0,1]
	v_add_f32_e32 v9, v9, v13
	s_set_vgpr_msb 1                        ;  msbs: dst=0 src0=1 src1=0 src2=0
	v_pk_mul_f32 v[118:119], v[52:53] /*v[308:309]*/, v[118:119] op_sel_hi:[1,0]
	s_set_vgpr_msb 0                        ;  msbs: dst=0 src0=0 src1=0 src2=0
	v_pk_fma_f32 v[114:115], v[226:227], v[194:195], v[114:115] neg_lo:[0,0,1] neg_hi:[0,0,1]
	v_fmac_f32_e32 v31, v249, v136
	v_pk_fma_f32 v[126:127], v[228:229], v[196:197], v[116:117] op_sel_hi:[1,0,1]
	v_dual_add_f32 v5, v5, v29 :: v_dual_mov_b32 v115, v123
	v_pk_fma_f32 v[122:123], v[230:231], v[198:199], v[118:119] op_sel_hi:[1,0,1]
	v_add_f32_e32 v9, v9, v15
	v_pk_fma_f32 v[116:117], v[228:229], v[196:197], v[116:117] neg_lo:[0,0,1] neg_hi:[0,0,1]
	v_pk_fma_f32 v[118:119], v[230:231], v[198:199], v[118:119] neg_lo:[0,0,1] neg_hi:[0,0,1]
	v_dual_mov_b32 v117, v127 :: v_dual_add_f32 v5, v5, v31
	s_delay_alu instid0(VALU_DEP_4)
	v_dual_mov_b32 v119, v123 :: v_dual_add_f32 v9, v9, v17
	v_fmac_f32_e32 v35, v253, v140
	s_wait_dscnt 0xb
	s_set_vgpr_msb 1                        ;  msbs: dst=0 src0=1 src1=0 src2=0
	v_dual_mul_f32 v39, v0 /*v256*/, v145 :: v_dual_mul_f32 v41, v2 /*v258*/, v147
	s_set_vgpr_msb 0                        ;  msbs: dst=0 src0=0 src1=0 src2=0
	v_add_f32_e32 v5, v5, v33
	v_add_f32_e32 v9, v9, v19
	s_set_vgpr_msb 1                        ;  msbs: dst=0 src0=1 src1=0 src2=0
	v_dual_mul_f32 v11, v1 /*v257*/, v145 :: v_dual_mul_f32 v13, v3 /*v259*/, v147
	v_dual_fmac_f32 v39, v1 /*v257*/, v144 :: v_dual_fmac_f32 v41, v3 /*v259*/, v146
	s_set_vgpr_msb 0                        ;  msbs: dst=0 src0=0 src1=0 src2=0
	v_add_f32_e32 v5, v5, v35
	v_add_f32_e32 v9, v9, v21
	s_set_vgpr_msb 1                        ;  msbs: dst=0 src0=1 src1=0 src2=0
	v_fma_f32 v11, v0 /*v256*/, v144, -v11
	s_wait_dscnt 0xa
	v_dual_mul_f32 v43, v4 /*v260*/, v149 :: v_dual_mul_f32 v45, v6 /*v262*/, v151
	s_set_vgpr_msb 0                        ;  msbs: dst=0 src0=0 src1=0 src2=0
	v_add_f32_e32 v5, v5, v37
	v_add_f32_e32 v9, v9, v23
	s_set_vgpr_msb 1                        ;  msbs: dst=0 src0=1 src1=0 src2=0
	v_dual_mul_f32 v15, v5 /*v261*/, v149 :: v_dual_mul_f32 v17, v7 /*v263*/, v151
	s_wait_dscnt 0x8
	v_dual_mul_f32 v23, v13 /*v269*/, v157 :: v_dual_fma_f32 v13, v2 /*v258*/, v146, -v13
	s_set_vgpr_msb 0                        ;  msbs: dst=0 src0=0 src1=0 src2=0
	v_add_f32_e32 v5, v5, v39
	v_add_f32_e32 v9, v9, v11
	s_set_vgpr_msb 1                        ;  msbs: dst=0 src0=1 src1=0 src2=0
	v_dual_mul_f32 v11, v15 /*v271*/, v159 :: v_dual_fmac_f32 v43, v5 /*v261*/, v148
	v_dual_fmac_f32 v45, v7 /*v263*/, v150 :: v_dual_fma_f32 v15, v4 /*v260*/, v148, -v15
	s_set_vgpr_msb 0                        ;  msbs: dst=0 src0=0 src1=0 src2=0
	v_add_f32_e32 v5, v5, v41
	v_add_f32_e32 v9, v9, v13
	s_set_vgpr_msb 1                        ;  msbs: dst=0 src0=1 src1=0 src2=0
	v_dual_mul_f32 v47, v8 /*v264*/, v153 :: v_dual_mul_f32 v49, v10 /*v266*/, v155
	v_dual_mul_f32 v19, v9 /*v265*/, v153 :: v_dual_mul_f32 v21, v11 /*v267*/, v155
	s_wait_dscnt 0x7
	v_dual_mul_f32 v13, v17 /*v273*/, v161 :: v_dual_fma_f32 v17, v6 /*v262*/, v150, -v17
	s_set_vgpr_msb 0                        ;  msbs: dst=0 src0=0 src1=0 src2=0
	v_add_f32_e32 v5, v5, v43
	v_add_f32_e32 v9, v9, v15
	s_set_vgpr_msb 1                        ;  msbs: dst=0 src0=1 src1=0 src2=0
	v_dual_mul_f32 v15, v19 /*v275*/, v163 :: v_dual_fmac_f32 v47, v9 /*v265*/, v152
	v_dual_fmac_f32 v49, v11 /*v267*/, v154 :: v_dual_fma_f32 v19, v8 /*v264*/, v152, -v19
	s_set_vgpr_msb 0                        ;  msbs: dst=0 src0=0 src1=0 src2=0
	v_add_f32_e32 v5, v5, v45
	v_add_f32_e32 v9, v9, v17
	s_set_vgpr_msb 1                        ;  msbs: dst=0 src0=1 src1=0 src2=0
	v_dual_mul_f32 v51, v12 /*v268*/, v157 :: v_dual_mul_f32 v53, v14 /*v270*/, v159
	s_wait_dscnt 0x6
	v_dual_mul_f32 v17, v21 /*v277*/, v165 :: v_dual_fma_f32 v21, v10 /*v266*/, v154, -v21
	s_set_vgpr_msb 0                        ;  msbs: dst=0 src0=0 src1=0 src2=0
	v_add_f32_e32 v5, v5, v47
	v_add_f32_e32 v9, v9, v19
	s_set_vgpr_msb 1                        ;  msbs: dst=0 src0=1 src1=0 src2=0
	v_dual_mul_f32 v19, v23 /*v279*/, v167 :: v_dual_fmac_f32 v51, v13 /*v269*/, v156
	v_dual_fmac_f32 v53, v15 /*v271*/, v158 :: v_dual_fma_f32 v23, v12 /*v268*/, v156, -v23
	s_set_vgpr_msb 0                        ;  msbs: dst=0 src0=0 src1=0 src2=0
	v_add_f32_e32 v5, v5, v49
	v_add_f32_e32 v9, v9, v21
	s_set_vgpr_msb 1                        ;  msbs: dst=0 src0=1 src1=0 src2=0
	v_dual_mul_f32 v55, v16 /*v272*/, v161 :: v_dual_mul_f32 v57, v18 /*v274*/, v163
	s_wait_dscnt 0x5
	v_dual_mul_f32 v21, v25 /*v281*/, v169 :: v_dual_fma_f32 v11, v14 /*v270*/, v158, -v11
	s_set_vgpr_msb 0                        ;  msbs: dst=0 src0=0 src1=0 src2=0
	v_add_f32_e32 v5, v5, v51
	v_add_f32_e32 v9, v9, v23
	s_set_vgpr_msb 1                        ;  msbs: dst=0 src0=1 src1=0 src2=0
	v_dual_mul_f32 v23, v27 /*v283*/, v171 :: v_dual_fmac_f32 v55, v17 /*v273*/, v160
	v_fma_f32 v13, v16 /*v272*/, v160, -v13
	s_set_vgpr_msb 0                        ;  msbs: dst=0 src0=0 src1=0 src2=0
	v_add_f32_e32 v5, v5, v53
	v_add_f32_e32 v9, v9, v11
	s_set_vgpr_msb 1                        ;  msbs: dst=0 src0=1 src1=0 src2=0
	v_dual_mul_f32 v59, v20 /*v276*/, v165 :: v_dual_mul_f32 v61, v22 /*v278*/, v167
	s_wait_dscnt 0x4
	v_dual_mul_f32 v11, v29 /*v285*/, v173 :: v_dual_fmac_f32 v57, v19 /*v275*/, v162
	v_fma_f32 v15, v18 /*v274*/, v162, -v15
	s_set_vgpr_msb 0                        ;  msbs: dst=0 src0=0 src1=0 src2=0
	v_add_f32_e32 v5, v5, v55
	v_add_f32_e32 v9, v9, v13
	s_set_vgpr_msb 1                        ;  msbs: dst=0 src0=1 src1=0 src2=0
	v_dual_mul_f32 v13, v31 /*v287*/, v175 :: v_dual_fmac_f32 v59, v21 /*v277*/, v164
	v_fma_f32 v17, v20 /*v276*/, v164, -v17
	s_set_vgpr_msb 0                        ;  msbs: dst=0 src0=0 src1=0 src2=0
	v_add_f32_e32 v5, v5, v57
	v_add_f32_e32 v9, v9, v15
	s_set_vgpr_msb 1                        ;  msbs: dst=0 src0=1 src1=0 src2=0
	v_dual_mul_f32 v63, v24 /*v280*/, v169 :: v_dual_mul_f32 v65, v26 /*v282*/, v171
	s_wait_dscnt 0x3
	v_dual_mul_f32 v15, v33 /*v289*/, v177 :: v_dual_fmac_f32 v61, v23 /*v279*/, v166
	v_fma_f32 v19, v22 /*v278*/, v166, -v19
	;; [unrolled: 14-line block ×3, first 2 shown]
	s_set_vgpr_msb 0                        ;  msbs: dst=0 src0=0 src1=0 src2=0
	v_add_f32_e32 v5, v5, v63
	v_add_f32_e32 v9, v9, v21
	s_set_vgpr_msb 1                        ;  msbs: dst=0 src0=1 src1=0 src2=0
	v_dual_mul_f32 v21, v39 /*v295*/, v183 :: v_dual_fmac_f32 v67, v29 /*v285*/, v172
	v_dual_fmac_f32 v69, v31 /*v287*/, v174 :: v_dual_fma_f32 v11, v28 /*v284*/, v172, -v11
	s_set_vgpr_msb 0                        ;  msbs: dst=0 src0=0 src1=0 src2=0
	v_add_f32_e32 v5, v5, v65
	v_add_f32_e32 v9, v9, v23
	s_set_vgpr_msb 1                        ;  msbs: dst=0 src0=1 src1=0 src2=0
	v_dual_mul_f32 v71, v32 /*v288*/, v177 :: v_dual_mul_f32 v73, v34 /*v290*/, v179
	s_wait_dscnt 0x1
	v_dual_mul_f32 v23, v41 /*v297*/, v185 :: v_dual_fma_f32 v13, v30 /*v286*/, v174, -v13
	s_set_vgpr_msb 0                        ;  msbs: dst=0 src0=0 src1=0 src2=0
	v_add_f32_e32 v5, v5, v67
	v_add_f32_e32 v9, v9, v11
	s_set_vgpr_msb 1                        ;  msbs: dst=0 src0=1 src1=0 src2=0
	v_dual_mul_f32 v11, v43 /*v299*/, v187 :: v_dual_fmac_f32 v71, v33 /*v289*/, v176
	v_dual_fmac_f32 v73, v35 /*v291*/, v178 :: v_dual_fma_f32 v15, v32 /*v288*/, v176, -v15
	s_set_vgpr_msb 0                        ;  msbs: dst=0 src0=0 src1=0 src2=0
	v_add_f32_e32 v5, v5, v69
	v_add_f32_e32 v9, v9, v13
	s_set_vgpr_msb 1                        ;  msbs: dst=0 src0=1 src1=0 src2=0
	v_dual_mul_f32 v75, v36 /*v292*/, v181 :: v_dual_mul_f32 v77, v38 /*v294*/, v183
	s_wait_dscnt 0x0
	v_dual_mul_f32 v13, v45 /*v301*/, v189 :: v_dual_fma_f32 v17, v34 /*v290*/, v178, -v17
	s_set_vgpr_msb 0                        ;  msbs: dst=0 src0=0 src1=0 src2=0
	v_add_f32_e32 v5, v5, v71
	v_add_f32_e32 v9, v9, v15
	s_set_vgpr_msb 1                        ;  msbs: dst=0 src0=1 src1=0 src2=0
	v_dual_mul_f32 v15, v47 /*v303*/, v191 :: v_dual_fmac_f32 v75, v37 /*v293*/, v180
	v_dual_fmac_f32 v77, v39 /*v295*/, v182 :: v_dual_fma_f32 v19, v36 /*v292*/, v180, -v19
	s_set_vgpr_msb 0                        ;  msbs: dst=0 src0=0 src1=0 src2=0
	v_add_f32_e32 v5, v5, v73
	v_add_f32_e32 v9, v9, v17
	s_set_vgpr_msb 1                        ;  msbs: dst=0 src0=1 src1=0 src2=0
	v_dual_mul_f32 v79, v40 /*v296*/, v185 :: v_dual_mul_f32 v81, v42 /*v298*/, v187
	v_fma_f32 v17, v38 /*v294*/, v182, -v21
	s_set_vgpr_msb 0                        ;  msbs: dst=0 src0=0 src1=0 src2=0
	v_add_f32_e32 v5, v5, v75
	v_add_f32_e32 v9, v9, v19
	s_set_vgpr_msb 1                        ;  msbs: dst=0 src0=1 src1=0 src2=0
	v_dual_fmac_f32 v79, v41 /*v297*/, v184 :: v_dual_fmac_f32 v81, v43 /*v299*/, v186
	v_fma_f32 v19, v40 /*v296*/, v184, -v23
	s_set_vgpr_msb 0                        ;  msbs: dst=0 src0=0 src1=0 src2=0
	v_add_f32_e32 v5, v5, v77
	v_add_f32_e32 v9, v9, v17
	s_set_vgpr_msb 0x41                     ;  msbs: dst=1 src0=1 src1=0 src2=0
	v_dual_mul_f32 v59 /*v315*/, v44 /*v300*/, v189 :: v_dual_mul_f32 v61 /*v317*/, v46 /*v302*/, v191
	s_set_vgpr_msb 1                        ;  msbs: dst=0 src0=1 src1=0 src2=0
	v_fma_f32 v11, v42 /*v298*/, v186, -v11
	s_set_vgpr_msb 0                        ;  msbs: dst=0 src0=0 src1=0 src2=0
	v_add_f32_e32 v5, v5, v79
	v_add_f32_e32 v9, v9, v19
	s_set_vgpr_msb 0x41                     ;  msbs: dst=1 src0=1 src1=0 src2=0
	v_dual_fmac_f32 v59 /*v315*/, v45 /*v301*/, v188 :: v_dual_fmac_f32 v61 /*v317*/, v47 /*v303*/, v190
	v_dual_fma_f32 v58 /*v314*/, v44 /*v300*/, v188, -v13 :: v_dual_fma_f32 v60 /*v316*/, v46 /*v302*/, v190, -v15
	s_set_vgpr_msb 0                        ;  msbs: dst=0 src0=0 src1=0 src2=0
	v_add_f32_e32 v121, v5, v81
	v_add_f32_e32 v120, v9, v11
	s_wait_loadcnt 0x2
	v_pk_mul_f32 v[124:125], v[240:241], v[200:201] op_sel:[1,1] op_sel_hi:[0,1]
	s_set_vgpr_msb 4                        ;  msbs: dst=0 src0=0 src1=1 src2=0
	s_delay_alu instid0(VALU_DEP_2) | instskip(SKIP_1) | instid1(VALU_DEP_2)
	v_pk_add_f32 v[120:121], v[120:121], v[58:59] /*v[314:315]*/
	s_set_vgpr_msb 0                        ;  msbs: dst=0 src0=0 src1=0 src2=0
	v_pk_fma_f32 v[122:123], v[240:241], v[200:201], v[124:125] neg_lo:[0,0,1] neg_hi:[0,0,1]
	s_set_vgpr_msb 4                        ;  msbs: dst=0 src0=0 src1=1 src2=0
	s_delay_alu instid0(VALU_DEP_2) | instskip(SKIP_1) | instid1(VALU_DEP_1)
	v_pk_add_f32 v[120:121], v[120:121], v[60:61] /*v[316:317]*/
	s_set_vgpr_msb 0                        ;  msbs: dst=0 src0=0 src1=0 src2=0
	v_pk_add_f32 v[112:113], v[120:121], v[112:113]
	v_mov_b32_e32 v120, v203
	s_delay_alu instid0(VALU_DEP_2) | instskip(SKIP_2) | instid1(VALU_DEP_3)
	v_pk_add_f32 v[112:113], v[112:113], v[114:115]
	v_pk_fma_f32 v[114:115], v[240:241], v[200:201], v[124:125] op_sel_hi:[1,0,1]
	s_set_vgpr_msb 1                        ;  msbs: dst=0 src0=1 src1=0 src2=0
	v_pk_mul_f32 v[120:121], v[54:55] /*v[310:311]*/, v[120:121] op_sel_hi:[1,0]
	s_set_vgpr_msb 0                        ;  msbs: dst=0 src0=0 src1=0 src2=0
	v_pk_add_f32 v[112:113], v[112:113], v[116:117]
	v_mov_b32_e32 v123, v115
	s_delay_alu instid0(VALU_DEP_3)
	v_pk_fma_f32 v[114:115], v[242:243], v[202:203], v[120:121] op_sel_hi:[1,0,1]
	s_wait_loadcnt 0x1
	v_pk_mul_f32 v[116:117], v[244:245], v[204:205] op_sel:[1,1] op_sel_hi:[0,1]
	v_mov_b32_e32 v114, v207
	v_pk_add_f32 v[112:113], v[112:113], v[118:119]
	v_pk_fma_f32 v[120:121], v[242:243], v[202:203], v[120:121] neg_lo:[0,0,1] neg_hi:[0,0,1]
	v_mov_b32_e32 v121, v115
	v_pk_fma_f32 v[118:119], v[244:245], v[204:205], v[116:117] op_sel_hi:[1,0,1]
	s_set_vgpr_msb 1                        ;  msbs: dst=0 src0=1 src1=0 src2=0
	v_pk_mul_f32 v[114:115], v[56:57] /*v[312:313]*/, v[114:115] op_sel_hi:[1,0]
	s_set_vgpr_msb 0                        ;  msbs: dst=0 src0=0 src1=0 src2=0
	v_pk_add_f32 v[112:113], v[112:113], v[122:123]
	v_pk_fma_f32 v[116:117], v[244:245], v[204:205], v[116:117] neg_lo:[0,0,1] neg_hi:[0,0,1]
	v_mov_b32_e32 v117, v119
	v_pk_fma_f32 v[118:119], v[246:247], v[206:207], v[114:115] op_sel_hi:[1,0,1]
	s_delay_alu instid0(VALU_DEP_4) | instskip(SKIP_1) | instid1(VALU_DEP_3)
	v_pk_add_f32 v[112:113], v[112:113], v[120:121]
	v_pk_fma_f32 v[114:115], v[246:247], v[206:207], v[114:115] neg_lo:[0,0,1] neg_hi:[0,0,1]
	v_mov_b32_e32 v115, v119
	s_delay_alu instid0(VALU_DEP_3) | instskip(NEXT) | instid1(VALU_DEP_1)
	v_pk_add_f32 v[112:113], v[112:113], v[116:117]
	v_pk_add_f32 v[112:113], v[112:113], v[114:115]
	s_wait_loadcnt 0x0
	s_set_vgpr_msb 1                        ;  msbs: dst=0 src0=1 src1=0 src2=0
	s_delay_alu instid0(VALU_DEP_1)
	v_pk_add_f32 v[112:113], v[48:49] /*v[304:305]*/, v[112:113] neg_lo:[0,1] neg_hi:[0,1]
	scratch_store_b64 off, v[112:113], off offset:48
	s_wait_xcnt 0x0
	v_cmpx_lt_u32_e32 5, v0
	s_set_vgpr_msb 0                        ;  msbs: dst=0 src0=0 src1=0 src2=0
	s_cbranch_execz .LBB54_333
; %bb.332:
	scratch_load_b64 v[112:113], off, off offset:40
	v_mov_b64_e32 v[114:115], 0
	scratch_store_b64 off, v[114:115], off offset:40
	s_wait_loadcnt 0x0
	ds_store_b64 v1, v[112:113]
.LBB54_333:
	s_wait_xcnt 0x0
	s_or_b32 exec_lo, exec_lo, s0
	s_wait_storecnt_dscnt 0x0
	s_barrier_signal -1
	s_barrier_wait -1
	s_clause 0x1a
	scratch_load_b128 v[112:115], off, off offset:48
	scratch_load_b128 v[116:119], off, off offset:64
	;; [unrolled: 1-line block ×24, first 2 shown]
	s_set_vgpr_msb 64                       ;  msbs: dst=1 src0=0 src1=0 src2=0
	scratch_load_b64 v[48:49] /*v[304:305]*/, off, off offset:432
	scratch_load_b64 v[50:51] /*v[306:307]*/, off, off offset:40
	s_set_vgpr_msb 0                        ;  msbs: dst=0 src0=0 src1=0 src2=0
	v_mov_b32_e32 v5, 0
	ds_load_b128 v[208:211], v5 offset:496
	ds_load_b128 v[212:215], v5 offset:512
	;; [unrolled: 1-line block ×12, first 2 shown]
	s_set_vgpr_msb 64                       ;  msbs: dst=1 src0=0 src1=0 src2=0
	ds_load_b128 v[0:3] /*v[256:259]*/, v5 offset:624
	ds_load_b128 v[4:7] /*v[260:263]*/, v5 offset:640
	;; [unrolled: 1-line block ×12, first 2 shown]
	ds_load_b64 v[52:53] /*v[308:309]*/, v5 offset:880
	s_wait_dscnt 0x14
	v_dual_mov_b32 v54 /*v310*/, v227 :: v_dual_mov_b32 v55 /*v311*/, v226
	s_wait_dscnt 0x11
	v_dual_mov_b32 v56 /*v312*/, v239 :: v_dual_mov_b32 v57 /*v313*/, v238
	;; [unrolled: 2-line block ×4, first 2 shown]
	s_mov_b32 s0, exec_lo
	s_wait_loadcnt 0x19
	s_set_vgpr_msb 0                        ;  msbs: dst=0 src0=0 src1=0 src2=0
	v_dual_mul_f32 v9, v208, v113 :: v_dual_mul_f32 v11, v210, v115
	s_wait_loadcnt 0x18
	v_mul_f32_e32 v13, v212, v117
	v_dual_mul_f32 v87, v209, v113 :: v_dual_mul_f32 v89, v211, v115
	v_mul_f32_e32 v91, v213, v117
	s_wait_loadcnt 0x12
	v_dual_fmac_f32 v9, v209, v112 :: v_dual_mul_f32 v39, v250, v143
	s_delay_alu instid0(VALU_DEP_3) | instskip(SKIP_1) | instid1(VALU_DEP_3)
	v_dual_fma_f32 v87, v208, v112, -v87 :: v_dual_mul_f32 v101, v223, v127
	v_dual_fma_f32 v89, v210, v114, -v89 :: v_dual_fmac_f32 v11, v211, v114
	v_dual_add_f32 v9, 0, v9 :: v_dual_mul_f32 v15, v214, v119
	s_delay_alu instid0(VALU_DEP_3)
	v_dual_mul_f32 v17, v216, v121 :: v_dual_add_f32 v87, 0, v87
	v_dual_mul_f32 v93, v215, v119 :: v_dual_mul_f32 v95, v217, v121
	v_dual_mul_f32 v103, v229, v129 :: v_dual_fma_f32 v91, v212, v116, -v91
	s_wait_loadcnt_dscnt 0x601
	s_set_vgpr_msb 1                        ;  msbs: dst=0 src0=1 src1=0 src2=0
	v_mul_f32_e32 v85, v44 /*v300*/, v189
	s_set_vgpr_msb 0                        ;  msbs: dst=0 src0=0 src1=0 src2=0
	v_fmac_f32_e32 v13, v213, v116
	v_dual_add_f32 v9, v9, v11 :: v_dual_fmac_f32 v15, v215, v118
	v_add_f32_e32 v11, v87, v89
	v_dual_mul_f32 v87, v231, v131 :: v_dual_fma_f32 v89, v214, v118, -v93
	s_delay_alu instid0(VALU_DEP_3) | instskip(NEXT) | instid1(VALU_DEP_3)
	v_dual_add_f32 v9, v9, v13 :: v_dual_mul_f32 v19, v218, v123
	v_dual_mul_f32 v21, v220, v125 :: v_dual_add_f32 v11, v11, v91
	v_dual_mul_f32 v97, v219, v123 :: v_dual_mul_f32 v99, v221, v125
	v_dual_mul_f32 v13, v233, v133 :: v_dual_fma_f32 v91, v216, v120, -v95
	s_delay_alu instid0(VALU_DEP_3) | instskip(SKIP_1) | instid1(VALU_DEP_4)
	v_dual_fmac_f32 v17, v217, v120 :: v_dual_add_f32 v11, v11, v89
	v_dual_add_f32 v9, v9, v15 :: v_dual_fmac_f32 v19, v219, v122
	v_dual_mul_f32 v15, v235, v135 :: v_dual_fma_f32 v89, v218, v122, -v97
	s_delay_alu instid0(VALU_DEP_2) | instskip(SKIP_2) | instid1(VALU_DEP_3)
	v_dual_add_f32 v11, v11, v91 :: v_dual_add_f32 v9, v9, v17
	v_dual_mul_f32 v23, v222, v127 :: v_dual_mul_f32 v25, v228, v129
	v_dual_mul_f32 v17, v245, v137 :: v_dual_fma_f32 v91, v220, v124, -v99
	v_dual_fmac_f32 v21, v221, v124 :: v_dual_add_f32 v11, v11, v89
	s_delay_alu instid0(VALU_DEP_3) | instskip(SKIP_1) | instid1(VALU_DEP_2)
	v_dual_add_f32 v9, v9, v19 :: v_dual_fmac_f32 v23, v223, v126
	v_dual_mul_f32 v19, v247, v139 :: v_dual_fma_f32 v89, v222, v126, -v101
	v_dual_add_f32 v11, v11, v91 :: v_dual_add_f32 v9, v9, v21
	v_dual_mul_f32 v27, v230, v131 :: v_dual_mul_f32 v29, v232, v133
	v_dual_mul_f32 v21, v249, v141 :: v_dual_fma_f32 v91, v228, v128, -v103
	s_delay_alu instid0(VALU_DEP_3) | instskip(NEXT) | instid1(VALU_DEP_3)
	v_dual_fmac_f32 v25, v229, v128 :: v_dual_add_f32 v11, v11, v89
	v_dual_add_f32 v9, v9, v23 :: v_dual_fmac_f32 v27, v231, v130
	v_dual_mul_f32 v23, v251, v143 :: v_dual_fma_f32 v87, v230, v130, -v87
	s_delay_alu instid0(VALU_DEP_2) | instskip(SKIP_1) | instid1(VALU_DEP_2)
	v_dual_add_f32 v11, v11, v91 :: v_dual_add_f32 v9, v9, v25
	v_dual_mul_f32 v31, v234, v135 :: v_dual_mul_f32 v33, v244, v137
	v_dual_fmac_f32 v29, v233, v132 :: v_dual_add_f32 v11, v11, v87
	s_delay_alu instid0(VALU_DEP_3) | instskip(NEXT) | instid1(VALU_DEP_3)
	v_dual_fma_f32 v13, v232, v132, -v13 :: v_dual_add_f32 v9, v9, v27
	v_fmac_f32_e32 v31, v235, v134
	v_fma_f32 v15, v234, v134, -v15
	v_dual_mul_f32 v35, v246, v139 :: v_dual_mul_f32 v37, v248, v141
	s_delay_alu instid0(VALU_DEP_4)
	v_add_f32_e32 v9, v9, v29
	v_dual_add_f32 v11, v11, v13 :: v_dual_fmac_f32 v33, v245, v136
	v_fma_f32 v17, v244, v136, -v17
	s_set_vgpr_msb 1                        ;  msbs: dst=0 src0=1 src1=0 src2=0
	v_dual_mul_f32 v41, v0 /*v256*/, v145 :: v_dual_mul_f32 v43, v2 /*v258*/, v147
	s_set_vgpr_msb 0                        ;  msbs: dst=0 src0=0 src1=0 src2=0
	v_add_f32_e32 v9, v9, v31
	v_add_f32_e32 v11, v11, v15
	v_fmac_f32_e32 v35, v247, v138
	v_fma_f32 v19, v246, v138, -v19
	s_set_vgpr_msb 1                        ;  msbs: dst=0 src0=1 src1=0 src2=0
	v_dual_mul_f32 v25, v1 /*v257*/, v145 :: v_dual_mul_f32 v27, v3 /*v259*/, v147
	s_set_vgpr_msb 0                        ;  msbs: dst=0 src0=0 src1=0 src2=0
	v_add_f32_e32 v9, v9, v33
	v_dual_add_f32 v11, v11, v17 :: v_dual_fmac_f32 v37, v249, v140
	v_fma_f32 v21, v248, v140, -v21
	s_set_vgpr_msb 1                        ;  msbs: dst=0 src0=1 src1=0 src2=0
	v_fmac_f32_e32 v41, v1 /*v257*/, v144
	s_set_vgpr_msb 0                        ;  msbs: dst=0 src0=0 src1=0 src2=0
	v_add_f32_e32 v9, v9, v35
	v_add_f32_e32 v11, v11, v19
	v_fmac_f32_e32 v39, v251, v142
	v_fma_f32 v23, v250, v142, -v23
	s_set_vgpr_msb 1                        ;  msbs: dst=0 src0=1 src1=0 src2=0
	v_fma_f32 v25, v0 /*v256*/, v144, -v25
	s_set_vgpr_msb 0                        ;  msbs: dst=0 src0=0 src1=0 src2=0
	v_add_f32_e32 v9, v9, v37
	v_add_f32_e32 v11, v11, v21
	s_set_vgpr_msb 1                        ;  msbs: dst=0 src0=1 src1=0 src2=0
	v_mul_f32_e32 v21, v13 /*v269*/, v157
	v_dual_mul_f32 v45, v4 /*v260*/, v149 :: v_dual_mul_f32 v47, v6 /*v262*/, v151
	v_dual_mul_f32 v13, v5 /*v261*/, v149 :: v_dual_mul_f32 v15, v7 /*v263*/, v151
	s_set_vgpr_msb 0                        ;  msbs: dst=0 src0=0 src1=0 src2=0
	v_add_f32_e32 v11, v11, v23
	v_add_f32_e32 v9, v9, v39
	s_set_vgpr_msb 1                        ;  msbs: dst=0 src0=1 src1=0 src2=0
	v_mul_f32_e32 v23, v15 /*v271*/, v159
	v_fmac_f32_e32 v43, v3 /*v259*/, v146
	v_dual_fma_f32 v27, v2 /*v258*/, v146, -v27 :: v_dual_fmac_f32 v45, v5 /*v261*/, v148
	s_set_vgpr_msb 0                        ;  msbs: dst=0 src0=0 src1=0 src2=0
	v_add_f32_e32 v11, v11, v25
	v_add_f32_e32 v9, v9, v41
	s_set_vgpr_msb 1                        ;  msbs: dst=0 src0=1 src1=0 src2=0
	v_dual_mul_f32 v25, v17 /*v273*/, v161 :: v_dual_fma_f32 v13, v4 /*v260*/, v148, -v13
	v_dual_mul_f32 v49, v8 /*v264*/, v153 :: v_dual_mul_f32 v51, v10 /*v266*/, v155
	s_set_vgpr_msb 0                        ;  msbs: dst=0 src0=0 src1=0 src2=0
	v_add_f32_e32 v11, v11, v27
	s_set_vgpr_msb 1                        ;  msbs: dst=0 src0=1 src1=0 src2=0
	v_mul_f32_e32 v27, v19 /*v275*/, v163
	s_set_vgpr_msb 0                        ;  msbs: dst=0 src0=0 src1=0 src2=0
	v_add_f32_e32 v9, v9, v43
	s_set_vgpr_msb 1                        ;  msbs: dst=0 src0=1 src1=0 src2=0
	v_dual_mul_f32 v17, v9 /*v265*/, v153 :: v_dual_mul_f32 v19, v11 /*v267*/, v155
	v_fmac_f32_e32 v47, v7 /*v263*/, v150
	v_dual_fma_f32 v15, v6 /*v262*/, v150, -v15 :: v_dual_fmac_f32 v49, v9 /*v265*/, v152
	s_set_vgpr_msb 0                        ;  msbs: dst=0 src0=0 src1=0 src2=0
	v_add_f32_e32 v11, v11, v13
	v_add_f32_e32 v9, v9, v45
	s_set_vgpr_msb 1                        ;  msbs: dst=0 src0=1 src1=0 src2=0
	v_dual_mul_f32 v13, v21 /*v277*/, v165 :: v_dual_fma_f32 v17, v8 /*v264*/, v152, -v17
	v_dual_mul_f32 v53, v12 /*v268*/, v157 :: v_dual_mul_f32 v55, v14 /*v270*/, v159
	s_set_vgpr_msb 0                        ;  msbs: dst=0 src0=0 src1=0 src2=0
	v_add_f32_e32 v11, v11, v15
	s_set_vgpr_msb 1                        ;  msbs: dst=0 src0=1 src1=0 src2=0
	v_mul_f32_e32 v15, v23 /*v279*/, v167
	s_set_vgpr_msb 0                        ;  msbs: dst=0 src0=0 src1=0 src2=0
	v_add_f32_e32 v9, v9, v47
	s_set_vgpr_msb 1                        ;  msbs: dst=0 src0=1 src1=0 src2=0
	v_fmac_f32_e32 v51, v11 /*v267*/, v154
	v_dual_fma_f32 v19, v10 /*v266*/, v154, -v19 :: v_dual_fmac_f32 v53, v13 /*v269*/, v156
	s_set_vgpr_msb 0                        ;  msbs: dst=0 src0=0 src1=0 src2=0
	v_add_f32_e32 v11, v11, v17
	v_add_f32_e32 v9, v9, v49
	s_set_vgpr_msb 1                        ;  msbs: dst=0 src0=1 src1=0 src2=0
	v_dual_mul_f32 v17, v25 /*v281*/, v169 :: v_dual_fma_f32 v21, v12 /*v268*/, v156, -v21
	v_dual_mul_f32 v57, v16 /*v272*/, v161 :: v_dual_mul_f32 v59, v18 /*v274*/, v163
	s_set_vgpr_msb 0                        ;  msbs: dst=0 src0=0 src1=0 src2=0
	v_add_f32_e32 v11, v11, v19
	s_set_vgpr_msb 1                        ;  msbs: dst=0 src0=1 src1=0 src2=0
	v_mul_f32_e32 v19, v27 /*v283*/, v171
	s_set_vgpr_msb 0                        ;  msbs: dst=0 src0=0 src1=0 src2=0
	v_add_f32_e32 v9, v9, v51
	s_set_vgpr_msb 1                        ;  msbs: dst=0 src0=1 src1=0 src2=0
	;; [unrolled: 15-line block ×7, first 2 shown]
	v_dual_fmac_f32 v75, v35 /*v291*/, v178 :: v_dual_fmac_f32 v77, v37 /*v293*/, v180
	v_dual_fma_f32 v27, v34 /*v290*/, v178, -v27 :: v_dual_fma_f32 v13, v36 /*v292*/, v180, -v13
	s_set_vgpr_msb 0                        ;  msbs: dst=0 src0=0 src1=0 src2=0
	v_add_f32_e32 v11, v11, v25
	v_add_f32_e32 v9, v9, v73
	s_set_vgpr_msb 1                        ;  msbs: dst=0 src0=1 src1=0 src2=0
	v_dual_mul_f32 v81, v40 /*v296*/, v185 :: v_dual_mul_f32 v83, v42 /*v298*/, v187
	s_wait_loadcnt 0x5
	s_set_vgpr_msb 0                        ;  msbs: dst=0 src0=0 src1=0 src2=0
	v_dual_mul_f32 v25, v225, v193 :: v_dual_add_f32 v11, v11, v27
	v_dual_add_f32 v9, v9, v75 :: v_dual_mov_b32 v112, v195
	s_set_vgpr_msb 1                        ;  msbs: dst=0 src0=1 src1=0 src2=0
	v_dual_fmac_f32 v79, v39 /*v295*/, v182 :: v_dual_fmac_f32 v81, v41 /*v297*/, v184
	v_fma_f32 v15, v38 /*v294*/, v182, -v15
	s_set_vgpr_msb 0                        ;  msbs: dst=0 src0=0 src1=0 src2=0
	v_add_f32_e32 v11, v11, v13
	s_set_vgpr_msb 1                        ;  msbs: dst=0 src0=1 src1=0 src2=0
	v_fma_f32 v13, v40 /*v296*/, v184, -v17
	s_set_vgpr_msb 0                        ;  msbs: dst=0 src0=0 src1=0 src2=0
	v_add_f32_e32 v9, v9, v77
	s_set_vgpr_msb 1                        ;  msbs: dst=0 src0=1 src1=0 src2=0
	v_dual_fmac_f32 v83, v43 /*v299*/, v186 :: v_dual_fmac_f32 v85, v45 /*v301*/, v188
	s_set_vgpr_msb 0                        ;  msbs: dst=0 src0=0 src1=0 src2=0
	v_add_f32_e32 v11, v11, v15
	s_set_vgpr_msb 1                        ;  msbs: dst=0 src0=1 src1=0 src2=0
	v_fma_f32 v15, v42 /*v298*/, v186, -v19
	s_wait_loadcnt 0x4
	s_set_vgpr_msb 0                        ;  msbs: dst=0 src0=0 src1=0 src2=0
	v_dual_add_f32 v9, v9, v79 :: v_dual_mov_b32 v116, v199
	s_set_vgpr_msb 0x41                     ;  msbs: dst=1 src0=1 src1=0 src2=0
	v_dual_mul_f32 v63 /*v319*/, v46 /*v302*/, v191 :: v_dual_fma_f32 v62 /*v318*/, v46 /*v302*/, v190, -v23
	s_set_vgpr_msb 1                        ;  msbs: dst=0 src0=1 src1=0 src2=0
	v_pk_mul_f32 v[112:113], v[54:55] /*v[310:311]*/, v[112:113] op_sel_hi:[1,0]
	s_set_vgpr_msb 0                        ;  msbs: dst=0 src0=0 src1=0 src2=0
	v_add_f32_e32 v9, v9, v81
	v_add_f32_e32 v11, v11, v13
	s_set_vgpr_msb 1                        ;  msbs: dst=0 src0=1 src1=0 src2=0
	v_fma_f32 v13, v44 /*v300*/, v188, -v21
	s_set_vgpr_msb 64                       ;  msbs: dst=1 src0=0 src1=0 src2=0
	v_dual_mul_f32 v65 /*v321*/, v224, v193 :: v_dual_fma_f32 v64 /*v320*/, v224, v192, -v25
	s_set_vgpr_msb 0                        ;  msbs: dst=0 src0=0 src1=0 src2=0
	v_add_f32_e32 v9, v9, v83
	v_add_f32_e32 v11, v11, v15
	s_set_vgpr_msb 0x41                     ;  msbs: dst=1 src0=1 src1=0 src2=0
	v_fmac_f32_e32 v63 /*v319*/, v47 /*v303*/, v190
	s_set_vgpr_msb 0                        ;  msbs: dst=0 src0=0 src1=0 src2=0
	v_pk_fma_f32 v[124:125], v[226:227], v[194:195], v[112:113] op_sel_hi:[1,0,1]
	v_pk_fma_f32 v[112:113], v[226:227], v[194:195], v[112:113] neg_lo:[0,0,1] neg_hi:[0,0,1]
	v_add_f32_e32 v121, v9, v85
	v_add_f32_e32 v120, v11, v13
	v_pk_mul_f32 v[114:115], v[236:237], v[196:197] op_sel:[1,1] op_sel_hi:[0,1]
	s_set_vgpr_msb 64                       ;  msbs: dst=1 src0=0 src1=0 src2=0
	v_fmac_f32_e32 v65 /*v321*/, v225, v192
	s_set_vgpr_msb 0                        ;  msbs: dst=0 src0=0 src1=0 src2=0
	v_mov_b32_e32 v113, v125
	s_set_vgpr_msb 1                        ;  msbs: dst=0 src0=1 src1=0 src2=0
	v_pk_mul_f32 v[116:117], v[56:57] /*v[312:313]*/, v[116:117] op_sel_hi:[1,0]
	s_set_vgpr_msb 4                        ;  msbs: dst=0 src0=0 src1=1 src2=0
	v_pk_add_f32 v[120:121], v[120:121], v[62:63] /*v[318:319]*/
	s_set_vgpr_msb 0                        ;  msbs: dst=0 src0=0 src1=0 src2=0
	v_pk_fma_f32 v[126:127], v[236:237], v[196:197], v[114:115] op_sel_hi:[1,0,1]
	v_pk_fma_f32 v[114:115], v[236:237], v[196:197], v[114:115] neg_lo:[0,0,1] neg_hi:[0,0,1]
	s_wait_loadcnt 0x3
	v_pk_mul_f32 v[118:119], v[240:241], v[200:201] op_sel:[1,1] op_sel_hi:[0,1]
	v_mov_b32_e32 v122, v203
	s_set_vgpr_msb 4                        ;  msbs: dst=0 src0=0 src1=1 src2=0
	v_pk_add_f32 v[120:121], v[120:121], v[64:65] /*v[320:321]*/
	v_mov_b32_e32 v115, v127
	s_set_vgpr_msb 0                        ;  msbs: dst=0 src0=0 src1=0 src2=0
	v_pk_fma_f32 v[126:127], v[238:239], v[198:199], v[116:117] op_sel_hi:[1,0,1]
	v_pk_fma_f32 v[116:117], v[238:239], v[198:199], v[116:117] neg_lo:[0,0,1] neg_hi:[0,0,1]
	s_set_vgpr_msb 1                        ;  msbs: dst=0 src0=1 src1=0 src2=0
	v_pk_mul_f32 v[122:123], v[58:59] /*v[314:315]*/, v[122:123] op_sel_hi:[1,0]
	s_set_vgpr_msb 0                        ;  msbs: dst=0 src0=0 src1=0 src2=0
	v_pk_add_f32 v[112:113], v[120:121], v[112:113]
	v_pk_fma_f32 v[120:121], v[240:241], v[200:201], v[118:119] op_sel_hi:[1,0,1]
	v_mov_b32_e32 v117, v127
	v_pk_fma_f32 v[118:119], v[240:241], v[200:201], v[118:119] neg_lo:[0,0,1] neg_hi:[0,0,1]
	s_wait_loadcnt 0x2
	v_pk_mul_f32 v[124:125], v[252:253], v[204:205] op_sel:[1,1] op_sel_hi:[0,1]
	v_pk_add_f32 v[112:113], v[112:113], v[114:115]
	v_dual_mov_b32 v114, v207 :: v_dual_mov_b32 v119, v121
	v_pk_fma_f32 v[120:121], v[242:243], v[202:203], v[122:123] op_sel_hi:[1,0,1]
	v_pk_fma_f32 v[122:123], v[242:243], v[202:203], v[122:123] neg_lo:[0,0,1] neg_hi:[0,0,1]
	s_delay_alu instid0(VALU_DEP_4)
	v_pk_add_f32 v[112:113], v[112:113], v[116:117]
	v_pk_fma_f32 v[116:117], v[252:253], v[204:205], v[124:125] op_sel_hi:[1,0,1]
	s_set_vgpr_msb 1                        ;  msbs: dst=0 src0=1 src1=0 src2=0
	v_pk_mul_f32 v[114:115], v[60:61] /*v[316:317]*/, v[114:115] op_sel_hi:[1,0]
	s_set_vgpr_msb 0                        ;  msbs: dst=0 src0=0 src1=0 src2=0
	v_mov_b32_e32 v123, v121
	s_wait_loadcnt_dscnt 0x100
	s_set_vgpr_msb 5                        ;  msbs: dst=0 src0=1 src1=1 src2=0
	v_pk_mul_f32 v[120:121], v[52:53] /*v[308:309]*/, v[48:49] /*v[304:305]*/ op_sel:[1,1] op_sel_hi:[0,1]
	s_set_vgpr_msb 0                        ;  msbs: dst=0 src0=0 src1=0 src2=0
	v_pk_add_f32 v[112:113], v[112:113], v[118:119]
	v_pk_fma_f32 v[118:119], v[252:253], v[204:205], v[124:125] neg_lo:[0,0,1] neg_hi:[0,0,1]
	v_mov_b32_e32 v119, v117
	v_pk_fma_f32 v[116:117], v[254:255], v[206:207], v[114:115] op_sel_hi:[1,0,1]
	v_pk_fma_f32 v[114:115], v[254:255], v[206:207], v[114:115] neg_lo:[0,0,1] neg_hi:[0,0,1]
	v_pk_add_f32 v[112:113], v[112:113], v[122:123]
	s_delay_alu instid0(VALU_DEP_3)
	v_mov_b32_e32 v115, v117
	s_set_vgpr_msb 5                        ;  msbs: dst=0 src0=1 src1=1 src2=0
	v_pk_fma_f32 v[116:117], v[52:53] /*v[308:309]*/, v[48:49] /*v[304:305]*/, v[120:121] op_sel_hi:[1,0,1]
	s_set_vgpr_msb 0                        ;  msbs: dst=0 src0=0 src1=0 src2=0
	v_pk_add_f32 v[112:113], v[112:113], v[118:119]
	s_set_vgpr_msb 5                        ;  msbs: dst=0 src0=1 src1=1 src2=0
	v_pk_fma_f32 v[118:119], v[52:53] /*v[308:309]*/, v[48:49] /*v[304:305]*/, v[120:121] neg_lo:[0,0,1] neg_hi:[0,0,1]
	s_set_vgpr_msb 0                        ;  msbs: dst=0 src0=0 src1=0 src2=0
	v_mov_b32_e32 v119, v117
	v_pk_add_f32 v[112:113], v[112:113], v[114:115]
	s_delay_alu instid0(VALU_DEP_1) | instskip(SKIP_2) | instid1(VALU_DEP_1)
	v_pk_add_f32 v[112:113], v[112:113], v[118:119]
	s_wait_loadcnt 0x0
	s_set_vgpr_msb 1                        ;  msbs: dst=0 src0=1 src1=0 src2=0
	v_pk_add_f32 v[112:113], v[50:51] /*v[306:307]*/, v[112:113] neg_lo:[0,1] neg_hi:[0,1]
	scratch_store_b64 off, v[112:113], off offset:40
	s_wait_xcnt 0x0
	v_cmpx_lt_u32_e32 4, v0
	s_set_vgpr_msb 0                        ;  msbs: dst=0 src0=0 src1=0 src2=0
	s_cbranch_execz .LBB54_335
; %bb.334:
	scratch_load_b64 v[112:113], off, off offset:32
	v_mov_b64_e32 v[114:115], 0
	scratch_store_b64 off, v[114:115], off offset:32
	s_wait_loadcnt 0x0
	ds_store_b64 v1, v[112:113]
.LBB54_335:
	s_wait_xcnt 0x0
	s_or_b32 exec_lo, exec_lo, s0
	s_wait_storecnt_dscnt 0x0
	s_barrier_signal -1
	s_barrier_wait -1
	s_clause 0x18
	scratch_load_b128 v[112:115], off, off offset:40
	scratch_load_b128 v[116:119], off, off offset:56
	scratch_load_b128 v[120:123], off, off offset:72
	scratch_load_b128 v[124:127], off, off offset:88
	scratch_load_b128 v[128:131], off, off offset:104
	scratch_load_b128 v[132:135], off, off offset:120
	scratch_load_b128 v[136:139], off, off offset:136
	scratch_load_b128 v[140:143], off, off offset:152
	scratch_load_b128 v[144:147], off, off offset:168
	scratch_load_b128 v[148:151], off, off offset:184
	scratch_load_b128 v[152:155], off, off offset:200
	scratch_load_b128 v[156:159], off, off offset:216
	scratch_load_b128 v[160:163], off, off offset:232
	scratch_load_b128 v[164:167], off, off offset:248
	scratch_load_b128 v[168:171], off, off offset:264
	scratch_load_b128 v[172:175], off, off offset:280
	scratch_load_b128 v[176:179], off, off offset:296
	scratch_load_b128 v[180:183], off, off offset:312
	scratch_load_b128 v[184:187], off, off offset:328
	scratch_load_b128 v[188:191], off, off offset:344
	scratch_load_b128 v[192:195], off, off offset:360
	scratch_load_b128 v[196:199], off, off offset:376
	scratch_load_b128 v[200:203], off, off offset:392
	scratch_load_b128 v[204:207], off, off offset:408
	scratch_load_b128 v[208:211], off, off offset:424
	ds_load_2addr_b64 v[212:215], v5 offset0:61 offset1:62
	ds_load_2addr_b64 v[216:219], v5 offset0:63 offset1:64
	ds_load_2addr_b64 v[220:223], v5 offset0:65 offset1:66
	ds_load_2addr_b64 v[224:227], v5 offset0:67 offset1:68
	ds_load_2addr_b64 v[228:231], v5 offset0:101 offset1:102
	ds_load_2addr_b64 v[232:235], v5 offset0:103 offset1:104
	ds_load_2addr_b64 v[236:239], v5 offset0:69 offset1:70
	ds_load_2addr_b64 v[240:243], v5 offset0:71 offset1:72
	ds_load_2addr_b64 v[244:247], v5 offset0:105 offset1:106
	ds_load_2addr_b64 v[248:251], v5 offset0:107 offset1:108
	ds_load_2addr_b64 v[252:255], v5 offset0:73 offset1:74
	s_set_vgpr_msb 64                       ;  msbs: dst=1 src0=0 src1=0 src2=0
	ds_load_2addr_b64 v[0:3] /*v[256:259]*/, v5 offset0:75 offset1:76
	ds_load_2addr_b64 v[4:7] /*v[260:263]*/, v5 offset0:109 offset1:110
	;; [unrolled: 1-line block ×8, first 2 shown]
	scratch_load_b64 v[56:57] /*v[312:313]*/, off, off offset:32
	ds_load_2addr_b64 v[32:35] /*v[288:291]*/, v5 offset0:89 offset1:90
	ds_load_2addr_b64 v[36:39] /*v[292:295]*/, v5 offset0:91 offset1:92
	;; [unrolled: 1-line block ×6, first 2 shown]
	s_mov_b32 s0, exec_lo
	s_wait_dscnt 0x13
	v_dual_mov_b32 v58 /*v314*/, v235 :: v_dual_mov_b32 v59 /*v315*/, v234
	s_wait_dscnt 0x10
	v_dual_mov_b32 v60 /*v316*/, v247 :: v_dual_mov_b32 v61 /*v317*/, v246
	;; [unrolled: 2-line block ×3, first 2 shown]
	s_wait_dscnt 0xc
	s_set_vgpr_msb 0x41                     ;  msbs: dst=1 src0=1 src1=0 src2=0
	v_dual_mov_b32 v64 /*v320*/, v7 /*v263*/ :: v_dual_mov_b32 v65 /*v321*/, v6 /*v262*/
	s_wait_loadcnt 0x19
	s_set_vgpr_msb 0                        ;  msbs: dst=0 src0=0 src1=0 src2=0
	v_dual_mul_f32 v5, v212, v113 :: v_dual_mul_f32 v9, v214, v115
	v_dual_mul_f32 v87, v213, v113 :: v_dual_mul_f32 v89, v215, v115
	s_wait_loadcnt 0x18
	v_dual_mul_f32 v11, v216, v117 :: v_dual_mul_f32 v13, v218, v119
	s_delay_alu instid0(VALU_DEP_2) | instskip(SKIP_3) | instid1(VALU_DEP_3)
	v_dual_fmac_f32 v5, v213, v112 :: v_dual_fma_f32 v87, v212, v112, -v87
	v_dual_mul_f32 v91, v217, v117 :: v_dual_mul_f32 v93, v219, v119
	s_wait_loadcnt 0x16
	v_dual_mul_f32 v99, v225, v125 :: v_dual_fmac_f32 v9, v215, v114
	v_dual_fma_f32 v89, v214, v114, -v89 :: v_dual_add_f32 v5, 0, v5
	v_dual_add_f32 v87, 0, v87 :: v_dual_fmac_f32 v11, v217, v116
	v_dual_mul_f32 v101, v227, v127 :: v_dual_fma_f32 v91, v216, v116, -v91
	s_delay_alu instid0(VALU_DEP_3) | instskip(NEXT) | instid1(VALU_DEP_3)
	v_dual_add_f32 v5, v5, v9 :: v_dual_fmac_f32 v13, v219, v118
	v_dual_add_f32 v9, v87, v89 :: v_dual_fma_f32 v89, v218, v118, -v93
	v_dual_mul_f32 v15, v220, v121 :: v_dual_mul_f32 v17, v222, v123
	v_dual_mul_f32 v95, v221, v121 :: v_dual_mul_f32 v97, v223, v123
	s_delay_alu instid0(VALU_DEP_4) | instskip(NEXT) | instid1(VALU_DEP_3)
	v_add_f32_e32 v5, v5, v11
	v_dual_add_f32 v9, v9, v91 :: v_dual_fmac_f32 v17, v223, v122
	s_delay_alu instid0(VALU_DEP_4) | instskip(NEXT) | instid1(VALU_DEP_3)
	v_fmac_f32_e32 v15, v221, v120
	v_dual_fma_f32 v91, v220, v120, -v95 :: v_dual_add_f32 v5, v5, v13
	s_delay_alu instid0(VALU_DEP_3) | instskip(SKIP_4) | instid1(VALU_DEP_2)
	v_add_f32_e32 v9, v9, v89
	v_dual_mul_f32 v19, v224, v125 :: v_dual_mul_f32 v21, v226, v127
	s_wait_loadcnt 0x15
	v_dual_mul_f32 v87, v237, v129 :: v_dual_mul_f32 v11, v239, v131
	v_dual_fma_f32 v89, v222, v122, -v97 :: v_dual_add_f32 v5, v5, v15
	v_dual_add_f32 v9, v9, v91 :: v_dual_fma_f32 v87, v236, v128, -v87
	v_dual_mul_f32 v23, v236, v129 :: v_dual_mul_f32 v25, v238, v131
	v_fmac_f32_e32 v19, v225, v124
	s_delay_alu instid0(VALU_DEP_3)
	v_dual_add_f32 v9, v9, v89 :: v_dual_fma_f32 v11, v238, v130, -v11
	v_dual_fma_f32 v89, v226, v126, -v101 :: v_dual_add_f32 v5, v5, v17
	s_wait_loadcnt 0x14
	v_dual_mul_f32 v27, v240, v133 :: v_dual_mul_f32 v29, v242, v135
	v_dual_mul_f32 v13, v241, v133 :: v_dual_fmac_f32 v21, v227, v126
	v_dual_fma_f32 v91, v224, v124, -v99 :: v_dual_fmac_f32 v25, v239, v130
	s_delay_alu instid0(VALU_DEP_3) | instskip(SKIP_4) | instid1(VALU_DEP_3)
	v_dual_add_f32 v5, v5, v19 :: v_dual_fmac_f32 v29, v243, v134
	s_wait_loadcnt 0x13
	v_dual_mul_f32 v31, v252, v137 :: v_dual_mul_f32 v33, v254, v139
	v_dual_mul_f32 v15, v243, v135 :: v_dual_mul_f32 v17, v253, v137
	v_dual_fma_f32 v13, v240, v132, -v13 :: v_dual_add_f32 v9, v9, v91
	v_dual_fmac_f32 v23, v237, v128 :: v_dual_fmac_f32 v33, v255, v138
	s_delay_alu instid0(VALU_DEP_3) | instskip(NEXT) | instid1(VALU_DEP_4)
	v_dual_add_f32 v5, v5, v21 :: v_dual_fma_f32 v17, v252, v136, -v17
	v_dual_mul_f32 v19, v255, v139 :: v_dual_fma_f32 v15, v242, v134, -v15
	s_delay_alu instid0(VALU_DEP_4) | instskip(SKIP_1) | instid1(VALU_DEP_3)
	v_add_f32_e32 v9, v9, v89
	s_wait_loadcnt 0x4
	v_dual_add_f32 v5, v5, v23 :: v_dual_mov_b32 v114, v199
	v_pk_mul_f32 v[112:113], v[232:233], v[196:197] op_sel:[1,1] op_sel_hi:[0,1]
	s_delay_alu instid0(VALU_DEP_3)
	v_dual_fma_f32 v19, v254, v138, -v19 :: v_dual_add_f32 v9, v9, v87
	s_wait_loadcnt 0x3
	v_mov_b32_e32 v118, v203
	s_set_vgpr_msb 1                        ;  msbs: dst=0 src0=1 src1=0 src2=0
	v_pk_mul_f32 v[114:115], v[58:59] /*v[314:315]*/, v[114:115] op_sel_hi:[1,0]
	s_set_vgpr_msb 0                        ;  msbs: dst=0 src0=0 src1=0 src2=0
	v_pk_fma_f32 v[122:123], v[232:233], v[196:197], v[112:113] op_sel_hi:[1,0,1]
	v_pk_fma_f32 v[112:113], v[232:233], v[196:197], v[112:113] neg_lo:[0,0,1] neg_hi:[0,0,1]
	v_add_f32_e32 v5, v5, v25
	v_pk_mul_f32 v[116:117], v[244:245], v[200:201] op_sel:[1,1] op_sel_hi:[0,1]
	s_set_vgpr_msb 1                        ;  msbs: dst=0 src0=1 src1=0 src2=0
	v_dual_mul_f32 v35, v0 /*v256*/, v141 :: v_dual_mul_f32 v37, v2 /*v258*/, v143
	s_set_vgpr_msb 0                        ;  msbs: dst=0 src0=0 src1=0 src2=0
	v_mov_b32_e32 v113, v123
	v_pk_fma_f32 v[122:123], v[234:235], v[198:199], v[114:115] op_sel_hi:[1,0,1]
	v_add_f32_e32 v9, v9, v11
	v_pk_fma_f32 v[114:115], v[234:235], v[198:199], v[114:115] neg_lo:[0,0,1] neg_hi:[0,0,1]
	v_pk_fma_f32 v[126:127], v[244:245], v[200:201], v[116:117] op_sel_hi:[1,0,1]
	v_pk_fma_f32 v[116:117], v[244:245], v[200:201], v[116:117] neg_lo:[0,0,1] neg_hi:[0,0,1]
	s_delay_alu instid0(VALU_DEP_4)
	v_dual_mov_b32 v115, v123 :: v_dual_add_f32 v9, v9, v13
	s_set_vgpr_msb 1                        ;  msbs: dst=0 src0=1 src1=0 src2=0
	v_dual_mul_f32 v21, v1 /*v257*/, v141 :: v_dual_mul_f32 v23, v3 /*v259*/, v143
	s_set_vgpr_msb 0                        ;  msbs: dst=0 src0=0 src1=0 src2=0
	v_mov_b32_e32 v117, v127
	s_set_vgpr_msb 1                        ;  msbs: dst=0 src0=1 src1=0 src2=0
	v_fmac_f32_e32 v35, v1 /*v257*/, v140
	s_set_vgpr_msb 0                        ;  msbs: dst=0 src0=0 src1=0 src2=0
	v_add_f32_e32 v9, v9, v15
	s_wait_dscnt 0xb
	s_set_vgpr_msb 1                        ;  msbs: dst=0 src0=1 src1=0 src2=0
	v_dual_fma_f32 v21, v0 /*v256*/, v140, -v21 :: v_dual_mul_f32 v11, v9 /*v265*/, v145
	v_dual_mul_f32 v13, v11 /*v267*/, v147 :: v_dual_fma_f32 v23, v2 /*v258*/, v142, -v23
	s_set_vgpr_msb 0                        ;  msbs: dst=0 src0=0 src1=0 src2=0
	v_add_f32_e32 v9, v9, v17
	s_wait_dscnt 0xa
	s_set_vgpr_msb 1                        ;  msbs: dst=0 src0=1 src1=0 src2=0
	v_dual_mul_f32 v15, v13 /*v269*/, v149 :: v_dual_mul_f32 v17, v15 /*v271*/, v151
	v_dual_fma_f32 v11, v8 /*v264*/, v144, -v11 :: v_dual_fma_f32 v13, v10 /*v266*/, v146, -v13
	s_set_vgpr_msb 0                        ;  msbs: dst=0 src0=0 src1=0 src2=0
	v_add_f32_e32 v9, v9, v19
	s_wait_dscnt 0x9
	s_set_vgpr_msb 1                        ;  msbs: dst=0 src0=1 src1=0 src2=0
	v_dual_fma_f32 v15, v12 /*v268*/, v148, -v15 :: v_dual_mul_f32 v19, v17 /*v273*/, v153
	v_fmac_f32_e32 v37, v3 /*v259*/, v142
	v_fma_f32 v17, v14 /*v270*/, v150, -v17
	s_set_vgpr_msb 0                        ;  msbs: dst=0 src0=0 src1=0 src2=0
	v_add_f32_e32 v9, v9, v21
	s_set_vgpr_msb 1                        ;  msbs: dst=0 src0=1 src1=0 src2=0
	v_dual_mul_f32 v21, v19 /*v275*/, v155 :: v_dual_fma_f32 v19, v16 /*v272*/, v152, -v19
	s_wait_dscnt 0x7
	v_dual_mul_f32 v55, v24 /*v280*/, v161 :: v_dual_mul_f32 v57, v26 /*v282*/, v163
	s_set_vgpr_msb 0                        ;  msbs: dst=0 src0=0 src1=0 src2=0
	v_add_f32_e32 v9, v9, v23
	s_set_vgpr_msb 1                        ;  msbs: dst=0 src0=1 src1=0 src2=0
	v_dual_mul_f32 v23, v21 /*v277*/, v157 :: v_dual_fma_f32 v21, v18 /*v274*/, v154, -v21
	s_wait_dscnt 0x6
	v_dual_mul_f32 v59, v28 /*v284*/, v165 :: v_dual_mul_f32 v61, v30 /*v286*/, v167
	;; [unrolled: 6-line block ×3, first 2 shown]
	s_set_vgpr_msb 0                        ;  msbs: dst=0 src0=0 src1=0 src2=0
	v_add_f32_e32 v9, v9, v13
	s_set_vgpr_msb 1                        ;  msbs: dst=0 src0=1 src1=0 src2=0
	v_dual_mul_f32 v13, v25 /*v281*/, v161 :: v_dual_fma_f32 v11, v22 /*v278*/, v158, -v11
	v_dual_fmac_f32 v55, v25 /*v281*/, v160 :: v_dual_fmac_f32 v57, v27 /*v283*/, v162
	s_set_vgpr_msb 0                        ;  msbs: dst=0 src0=0 src1=0 src2=0
	v_add_f32_e32 v9, v9, v15
	s_set_vgpr_msb 1                        ;  msbs: dst=0 src0=1 src1=0 src2=0
	v_dual_mul_f32 v15, v27 /*v283*/, v163 :: v_dual_fma_f32 v13, v24 /*v280*/, v160, -v13
	s_set_vgpr_msb 0                        ;  msbs: dst=0 src0=0 src1=0 src2=0
	v_fmac_f32_e32 v27, v241, v132
	s_set_vgpr_msb 1                        ;  msbs: dst=0 src0=1 src1=0 src2=0
	v_pk_mul_f32 v[118:119], v[60:61] /*v[316:317]*/, v[118:119] op_sel_hi:[1,0]
	s_set_vgpr_msb 0                        ;  msbs: dst=0 src0=0 src1=0 src2=0
	v_add_f32_e32 v9, v9, v17
	s_set_vgpr_msb 1                        ;  msbs: dst=0 src0=1 src1=0 src2=0
	v_dual_mul_f32 v17, v29 /*v285*/, v165 :: v_dual_fma_f32 v15, v26 /*v282*/, v162, -v15
	v_dual_fmac_f32 v59, v29 /*v285*/, v164 :: v_dual_fmac_f32 v61, v31 /*v287*/, v166
	s_set_vgpr_msb 0                        ;  msbs: dst=0 src0=0 src1=0 src2=0
	v_add_f32_e32 v9, v9, v19
	s_set_vgpr_msb 1                        ;  msbs: dst=0 src0=1 src1=0 src2=0
	v_dual_mul_f32 v19, v31 /*v287*/, v167 :: v_dual_fma_f32 v17, v28 /*v284*/, v164, -v17
	s_set_vgpr_msb 0                        ;  msbs: dst=0 src0=0 src1=0 src2=0
	v_pk_fma_f32 v[122:123], v[246:247], v[202:203], v[118:119] op_sel_hi:[1,0,1]
	v_fmac_f32_e32 v31, v253, v136
	v_add_f32_e32 v9, v9, v21
	s_set_vgpr_msb 1                        ;  msbs: dst=0 src0=1 src1=0 src2=0
	v_dual_mul_f32 v21, v33 /*v289*/, v169 :: v_dual_fma_f32 v19, v30 /*v286*/, v166, -v19
	v_dual_fmac_f32 v63, v33 /*v289*/, v168 :: v_dual_fmac_f32 v65, v35 /*v291*/, v170
	s_set_vgpr_msb 0                        ;  msbs: dst=0 src0=0 src1=0 src2=0
	v_add_f32_e32 v9, v9, v23
	s_set_vgpr_msb 1                        ;  msbs: dst=0 src0=1 src1=0 src2=0
	v_dual_mul_f32 v23, v35 /*v291*/, v171 :: v_dual_fma_f32 v21, v32 /*v288*/, v168, -v21
	s_set_vgpr_msb 0                        ;  msbs: dst=0 src0=0 src1=0 src2=0
	v_pk_fma_f32 v[118:119], v[246:247], v[202:203], v[118:119] neg_lo:[0,0,1] neg_hi:[0,0,1]
	v_dual_mov_b32 v119, v123 :: v_dual_add_f32 v9, v9, v11
	s_wait_dscnt 0x4
	s_set_vgpr_msb 1                        ;  msbs: dst=0 src0=1 src1=0 src2=0
	v_dual_mul_f32 v11, v37 /*v293*/, v173 :: v_dual_fma_f32 v23, v34 /*v290*/, v170, -v23
	v_dual_mul_f32 v39, v8 /*v264*/, v145 :: v_dual_mul_f32 v41, v10 /*v266*/, v147
	s_set_vgpr_msb 0                        ;  msbs: dst=0 src0=0 src1=0 src2=0
	v_add_f32_e32 v9, v9, v13
	s_set_vgpr_msb 1                        ;  msbs: dst=0 src0=1 src1=0 src2=0
	v_dual_mul_f32 v13, v39 /*v295*/, v175 :: v_dual_fma_f32 v11, v36 /*v292*/, v172, -v11
	v_dual_fmac_f32 v39, v9 /*v265*/, v144 :: v_dual_fmac_f32 v41, v11 /*v267*/, v146
	s_set_vgpr_msb 0                        ;  msbs: dst=0 src0=0 src1=0 src2=0
	v_add_f32_e32 v9, v9, v15
	s_wait_dscnt 0x3
	s_set_vgpr_msb 1                        ;  msbs: dst=0 src0=1 src1=0 src2=0
	v_dual_mul_f32 v15, v41 /*v297*/, v177 :: v_dual_fma_f32 v13, v38 /*v294*/, v174, -v13
	v_dual_mul_f32 v43, v12 /*v268*/, v149 :: v_dual_mul_f32 v45, v14 /*v270*/, v151
	s_set_vgpr_msb 0                        ;  msbs: dst=0 src0=0 src1=0 src2=0
	v_add_f32_e32 v9, v9, v17
	s_set_vgpr_msb 1                        ;  msbs: dst=0 src0=1 src1=0 src2=0
	v_dual_mul_f32 v17, v43 /*v299*/, v179 :: v_dual_fma_f32 v15, v40 /*v296*/, v176, -v15
	v_dual_fmac_f32 v43, v13 /*v269*/, v148 :: v_dual_fmac_f32 v45, v15 /*v271*/, v150
	s_set_vgpr_msb 0                        ;  msbs: dst=0 src0=0 src1=0 src2=0
	v_add_f32_e32 v9, v9, v19
	;; [unrolled: 11-line block ×3, first 2 shown]
	s_wait_dscnt 0x1
	s_set_vgpr_msb 1                        ;  msbs: dst=0 src0=1 src1=0 src2=0
	v_dual_mul_f32 v23, v49 /*v305*/, v185 :: v_dual_fma_f32 v21, v46 /*v302*/, v182, -v21
	v_dual_mul_f32 v51, v20 /*v276*/, v157 :: v_dual_mul_f32 v53, v22 /*v278*/, v159
	s_set_vgpr_msb 0                        ;  msbs: dst=0 src0=0 src1=0 src2=0
	v_add_f32_e32 v9, v9, v11
	s_set_vgpr_msb 1                        ;  msbs: dst=0 src0=1 src1=0 src2=0
	v_dual_mul_f32 v11, v51 /*v307*/, v187 :: v_dual_mul_f32 v67, v36 /*v292*/, v173
	v_dual_mul_f32 v69, v38 /*v294*/, v175 :: v_dual_fmac_f32 v51, v21 /*v277*/, v156
	v_fmac_f32_e32 v53, v23 /*v279*/, v158
	s_set_vgpr_msb 0                        ;  msbs: dst=0 src0=0 src1=0 src2=0
	v_add_f32_e32 v9, v9, v13
	s_wait_dscnt 0x0
	s_set_vgpr_msb 1                        ;  msbs: dst=0 src0=1 src1=0 src2=0
	v_mul_f32_e32 v13, v53 /*v309*/, v189
	v_dual_fmac_f32 v67, v37 /*v293*/, v172 :: v_dual_fmac_f32 v69, v39 /*v295*/, v174
	v_dual_mul_f32 v71, v40 /*v296*/, v177 :: v_dual_mul_f32 v73, v42 /*v298*/, v179
	s_set_vgpr_msb 0                        ;  msbs: dst=0 src0=0 src1=0 src2=0
	v_add_f32_e32 v9, v9, v15
	s_set_vgpr_msb 1                        ;  msbs: dst=0 src0=1 src1=0 src2=0
	v_dual_mul_f32 v15, v55 /*v311*/, v191 :: v_dual_mul_f32 v75, v44 /*v300*/, v181
	v_dual_mul_f32 v77, v46 /*v302*/, v183 :: v_dual_fmac_f32 v71, v41 /*v297*/, v176
	v_fmac_f32_e32 v73, v43 /*v299*/, v178
	s_set_vgpr_msb 0                        ;  msbs: dst=0 src0=0 src1=0 src2=0
	v_add_f32_e32 v9, v9, v17
	s_set_vgpr_msb 1                        ;  msbs: dst=0 src0=1 src1=0 src2=0
	v_dual_fmac_f32 v75, v45 /*v301*/, v180 :: v_dual_fmac_f32 v77, v47 /*v303*/, v182
	v_dual_mul_f32 v79, v48 /*v304*/, v185 :: v_dual_mul_f32 v81, v50 /*v306*/, v187
	s_set_vgpr_msb 0                        ;  msbs: dst=0 src0=0 src1=0 src2=0
	v_add_f32_e32 v9, v9, v19
	v_mul_f32_e32 v19, v231, v195
	v_add_f32_e32 v5, v5, v27
	s_set_vgpr_msb 1                        ;  msbs: dst=0 src0=1 src1=0 src2=0
	v_dual_mul_f32 v83, v52 /*v308*/, v189 :: v_dual_mul_f32 v85, v54 /*v310*/, v191
	v_dual_fmac_f32 v79, v49 /*v305*/, v184 :: v_dual_fmac_f32 v81, v51 /*v307*/, v186
	s_set_vgpr_msb 0                        ;  msbs: dst=0 src0=0 src1=0 src2=0
	v_add_f32_e32 v5, v5, v29
	s_set_vgpr_msb 1                        ;  msbs: dst=0 src0=1 src1=0 src2=0
	v_dual_fma_f32 v23, v48 /*v304*/, v184, -v23 :: v_dual_fmac_f32 v85, v55 /*v311*/, v190
	s_set_vgpr_msb 0                        ;  msbs: dst=0 src0=0 src1=0 src2=0
	v_add_f32_e32 v9, v9, v21
	s_set_vgpr_msb 1                        ;  msbs: dst=0 src0=1 src1=0 src2=0
	v_dual_fma_f32 v11, v50 /*v306*/, v186, -v11 :: v_dual_fma_f32 v13, v52 /*v308*/, v188, -v13
	s_set_vgpr_msb 0                        ;  msbs: dst=0 src0=0 src1=0 src2=0
	v_add_f32_e32 v5, v5, v31
	s_set_vgpr_msb 1                        ;  msbs: dst=0 src0=1 src1=0 src2=0
	v_fmac_f32_e32 v83, v53 /*v309*/, v188
	s_set_vgpr_msb 0                        ;  msbs: dst=0 src0=0 src1=0 src2=0
	v_add_f32_e32 v9, v9, v23
	s_set_vgpr_msb 64                       ;  msbs: dst=1 src0=0 src1=0 src2=0
	v_dual_mul_f32 v67 /*v323*/, v228, v193 :: v_dual_mul_f32 v69 /*v325*/, v230, v195
	s_set_vgpr_msb 0                        ;  msbs: dst=0 src0=0 src1=0 src2=0
	v_add_f32_e32 v5, v5, v33
	v_mul_f32_e32 v17, v229, v193
	v_add_f32_e32 v9, v9, v11
	s_set_vgpr_msb 1                        ;  msbs: dst=0 src0=1 src1=0 src2=0
	v_fma_f32 v11, v54 /*v310*/, v190, -v15
	s_set_vgpr_msb 64                       ;  msbs: dst=1 src0=0 src1=0 src2=0
	v_dual_fmac_f32 v67 /*v323*/, v229, v192 :: v_dual_fmac_f32 v69 /*v325*/, v231, v194
	s_set_vgpr_msb 0                        ;  msbs: dst=0 src0=0 src1=0 src2=0
	v_add_f32_e32 v5, v5, v35
	v_add_f32_e32 v9, v9, v13
	s_set_vgpr_msb 64                       ;  msbs: dst=1 src0=0 src1=0 src2=0
	v_dual_fma_f32 v66 /*v322*/, v228, v192, -v17 :: v_dual_fma_f32 v68 /*v324*/, v230, v194, -v19
	s_wait_loadcnt 0x2
	s_set_vgpr_msb 0                        ;  msbs: dst=0 src0=0 src1=0 src2=0
	v_pk_mul_f32 v[124:125], v[248:249], v[204:205] op_sel:[1,1] op_sel_hi:[0,1]
	v_add_f32_e32 v5, v5, v37
	v_add_f32_e32 v120, v9, v11
	s_delay_alu instid0(VALU_DEP_3) | instskip(NEXT) | instid1(VALU_DEP_3)
	v_pk_fma_f32 v[122:123], v[248:249], v[204:205], v[124:125] neg_lo:[0,0,1] neg_hi:[0,0,1]
	v_add_f32_e32 v5, v5, v39
	s_delay_alu instid0(VALU_DEP_1) | instskip(NEXT) | instid1(VALU_DEP_1)
	v_add_f32_e32 v5, v5, v41
	v_add_f32_e32 v5, v5, v43
	s_delay_alu instid0(VALU_DEP_1) | instskip(NEXT) | instid1(VALU_DEP_1)
	v_add_f32_e32 v5, v5, v45
	;; [unrolled: 3-line block ×11, first 2 shown]
	v_add_f32_e32 v5, v5, v83
	s_delay_alu instid0(VALU_DEP_1) | instskip(SKIP_1) | instid1(VALU_DEP_1)
	v_add_f32_e32 v121, v5, v85
	s_set_vgpr_msb 4                        ;  msbs: dst=0 src0=0 src1=1 src2=0
	v_pk_add_f32 v[120:121], v[120:121], v[66:67] /*v[322:323]*/
	s_delay_alu instid0(VALU_DEP_1) | instskip(SKIP_1) | instid1(VALU_DEP_1)
	v_pk_add_f32 v[120:121], v[120:121], v[68:69] /*v[324:325]*/
	s_set_vgpr_msb 0                        ;  msbs: dst=0 src0=0 src1=0 src2=0
	v_pk_add_f32 v[112:113], v[120:121], v[112:113]
	v_mov_b32_e32 v120, v207
	s_delay_alu instid0(VALU_DEP_2) | instskip(SKIP_2) | instid1(VALU_DEP_3)
	v_pk_add_f32 v[112:113], v[112:113], v[114:115]
	v_pk_fma_f32 v[114:115], v[248:249], v[204:205], v[124:125] op_sel_hi:[1,0,1]
	s_set_vgpr_msb 1                        ;  msbs: dst=0 src0=1 src1=0 src2=0
	v_pk_mul_f32 v[120:121], v[62:63] /*v[318:319]*/, v[120:121] op_sel_hi:[1,0]
	s_set_vgpr_msb 0                        ;  msbs: dst=0 src0=0 src1=0 src2=0
	v_pk_add_f32 v[112:113], v[112:113], v[116:117]
	v_mov_b32_e32 v123, v115
	s_delay_alu instid0(VALU_DEP_3)
	v_pk_fma_f32 v[114:115], v[250:251], v[206:207], v[120:121] op_sel_hi:[1,0,1]
	s_wait_loadcnt 0x1
	s_set_vgpr_msb 1                        ;  msbs: dst=0 src0=1 src1=0 src2=0
	v_pk_mul_f32 v[116:117], v[4:5] /*v[260:261]*/, v[208:209] op_sel:[1,1] op_sel_hi:[0,1]
	s_set_vgpr_msb 0                        ;  msbs: dst=0 src0=0 src1=0 src2=0
	v_mov_b32_e32 v114, v211
	v_pk_add_f32 v[112:113], v[112:113], v[118:119]
	v_pk_fma_f32 v[120:121], v[250:251], v[206:207], v[120:121] neg_lo:[0,0,1] neg_hi:[0,0,1]
	v_mov_b32_e32 v121, v115
	s_set_vgpr_msb 1                        ;  msbs: dst=0 src0=1 src1=0 src2=0
	v_pk_fma_f32 v[118:119], v[4:5] /*v[260:261]*/, v[208:209], v[116:117] op_sel_hi:[1,0,1]
	v_pk_mul_f32 v[114:115], v[64:65] /*v[320:321]*/, v[114:115] op_sel_hi:[1,0]
	s_set_vgpr_msb 0                        ;  msbs: dst=0 src0=0 src1=0 src2=0
	v_pk_add_f32 v[112:113], v[112:113], v[122:123]
	s_set_vgpr_msb 1                        ;  msbs: dst=0 src0=1 src1=0 src2=0
	v_pk_fma_f32 v[116:117], v[4:5] /*v[260:261]*/, v[208:209], v[116:117] neg_lo:[0,0,1] neg_hi:[0,0,1]
	s_set_vgpr_msb 0                        ;  msbs: dst=0 src0=0 src1=0 src2=0
	v_mov_b32_e32 v117, v119
	s_set_vgpr_msb 1                        ;  msbs: dst=0 src0=1 src1=0 src2=0
	v_pk_fma_f32 v[118:119], v[6:7] /*v[262:263]*/, v[210:211], v[114:115] op_sel_hi:[1,0,1]
	s_set_vgpr_msb 0                        ;  msbs: dst=0 src0=0 src1=0 src2=0
	v_pk_add_f32 v[112:113], v[112:113], v[120:121]
	s_set_vgpr_msb 1                        ;  msbs: dst=0 src0=1 src1=0 src2=0
	v_pk_fma_f32 v[114:115], v[6:7] /*v[262:263]*/, v[210:211], v[114:115] neg_lo:[0,0,1] neg_hi:[0,0,1]
	s_set_vgpr_msb 0                        ;  msbs: dst=0 src0=0 src1=0 src2=0
	v_mov_b32_e32 v115, v119
	v_pk_add_f32 v[112:113], v[112:113], v[116:117]
	s_delay_alu instid0(VALU_DEP_1) | instskip(SKIP_2) | instid1(VALU_DEP_1)
	v_pk_add_f32 v[112:113], v[112:113], v[114:115]
	s_wait_loadcnt 0x0
	s_set_vgpr_msb 1                        ;  msbs: dst=0 src0=1 src1=0 src2=0
	v_pk_add_f32 v[112:113], v[56:57] /*v[312:313]*/, v[112:113] neg_lo:[0,1] neg_hi:[0,1]
	scratch_store_b64 off, v[112:113], off offset:32
	s_wait_xcnt 0x0
	v_cmpx_lt_u32_e32 3, v0
	s_set_vgpr_msb 0                        ;  msbs: dst=0 src0=0 src1=0 src2=0
	s_cbranch_execz .LBB54_337
; %bb.336:
	scratch_load_b64 v[112:113], off, off offset:24
	v_mov_b64_e32 v[114:115], 0
	scratch_store_b64 off, v[114:115], off offset:24
	s_wait_loadcnt 0x0
	ds_store_b64 v1, v[112:113]
.LBB54_337:
	s_wait_xcnt 0x0
	s_or_b32 exec_lo, exec_lo, s0
	s_wait_storecnt_dscnt 0x0
	s_barrier_signal -1
	s_barrier_wait -1
	s_clause 0x1b
	scratch_load_b128 v[112:115], off, off offset:32
	scratch_load_b128 v[116:119], off, off offset:48
	;; [unrolled: 1-line block ×25, first 2 shown]
	s_set_vgpr_msb 64                       ;  msbs: dst=1 src0=0 src1=0 src2=0
	scratch_load_b64 v[56:57] /*v[312:313]*/, off, off offset:432
	scratch_load_b64 v[58:59] /*v[314:315]*/, off, off offset:24
	s_set_vgpr_msb 0                        ;  msbs: dst=0 src0=0 src1=0 src2=0
	v_mov_b32_e32 v5, 0
	ds_load_b128 v[212:215], v5 offset:480
	ds_load_b128 v[216:219], v5 offset:496
	;; [unrolled: 1-line block ×11, first 2 shown]
	s_set_vgpr_msb 64                       ;  msbs: dst=1 src0=0 src1=0 src2=0
	ds_load_b128 v[0:3] /*v[256:259]*/, v5 offset:592
	ds_load_b128 v[4:7] /*v[260:263]*/, v5 offset:864
	;; [unrolled: 1-line block ×14, first 2 shown]
	ds_load_b64 v[60:61] /*v[316:317]*/, v5 offset:880
	s_wait_dscnt 0x14
	v_dual_mov_b32 v62 /*v318*/, v235 :: v_dual_mov_b32 v63 /*v319*/, v234
	s_wait_dscnt 0x11
	v_dual_mov_b32 v64 /*v320*/, v247 :: v_dual_mov_b32 v65 /*v321*/, v246
	;; [unrolled: 2-line block ×3, first 2 shown]
	s_wait_dscnt 0xd
	s_set_vgpr_msb 0x41                     ;  msbs: dst=1 src0=1 src1=0 src2=0
	v_dual_mov_b32 v68 /*v324*/, v7 /*v263*/ :: v_dual_mov_b32 v69 /*v325*/, v6 /*v262*/
	s_mov_b32 s0, exec_lo
	s_wait_loadcnt 0x1a
	s_set_vgpr_msb 0                        ;  msbs: dst=0 src0=0 src1=0 src2=0
	v_dual_mul_f32 v9, v212, v113 :: v_dual_mul_f32 v91, v213, v113
	v_dual_mul_f32 v93, v215, v115 :: v_dual_mul_f32 v11, v214, v115
	s_wait_loadcnt 0x19
	v_mul_f32_e32 v13, v216, v117
	s_wait_loadcnt 0x17
	v_dual_mul_f32 v103, v225, v125 :: v_dual_fma_f32 v91, v212, v112, -v91
	v_dual_fmac_f32 v9, v213, v112 :: v_dual_mul_f32 v105, v227, v127
	v_dual_mul_f32 v95, v217, v117 :: v_dual_mul_f32 v97, v219, v119
	v_dual_fmac_f32 v11, v215, v114 :: v_dual_fma_f32 v93, v214, v114, -v93
	s_delay_alu instid0(VALU_DEP_3) | instskip(SKIP_4) | instid1(VALU_DEP_3)
	v_dual_add_f32 v9, 0, v9 :: v_dual_add_f32 v91, 0, v91
	v_dual_mul_f32 v15, v218, v119 :: v_dual_mul_f32 v17, v220, v121
	s_wait_loadcnt 0x16
	v_dual_mul_f32 v107, v237, v129 :: v_dual_fma_f32 v95, v216, v116, -v95
	v_fmac_f32_e32 v13, v217, v116
	v_dual_add_f32 v9, v9, v11 :: v_dual_fmac_f32 v15, v219, v118
	v_add_f32_e32 v11, v91, v93
	v_dual_mul_f32 v99, v221, v121 :: v_dual_mul_f32 v101, v223, v123
	v_dual_mul_f32 v91, v239, v131 :: v_dual_fma_f32 v93, v218, v118, -v97
	s_delay_alu instid0(VALU_DEP_3) | instskip(SKIP_3) | instid1(VALU_DEP_3)
	v_dual_add_f32 v9, v9, v13 :: v_dual_add_f32 v11, v11, v95
	v_dual_mul_f32 v19, v222, v123 :: v_dual_mul_f32 v21, v224, v125
	s_wait_loadcnt 0x15
	v_dual_mul_f32 v13, v241, v133 :: v_dual_fma_f32 v95, v220, v120, -v99
	v_dual_fmac_f32 v17, v221, v120 :: v_dual_add_f32 v11, v11, v93
	s_delay_alu instid0(VALU_DEP_3) | instskip(SKIP_1) | instid1(VALU_DEP_2)
	v_dual_add_f32 v9, v9, v15 :: v_dual_fmac_f32 v19, v223, v122
	v_dual_mul_f32 v15, v243, v135 :: v_dual_fma_f32 v93, v222, v122, -v101
	v_dual_add_f32 v11, v11, v95 :: v_dual_add_f32 v9, v9, v17
	v_dual_mul_f32 v23, v226, v127 :: v_dual_mul_f32 v25, v236, v129
	s_wait_loadcnt 0x14
	v_dual_mul_f32 v17, v253, v137 :: v_dual_fma_f32 v95, v224, v124, -v103
	s_delay_alu instid0(VALU_DEP_3) | instskip(NEXT) | instid1(VALU_DEP_3)
	v_dual_fmac_f32 v21, v225, v124 :: v_dual_add_f32 v11, v11, v93
	v_dual_add_f32 v9, v9, v19 :: v_dual_fmac_f32 v23, v227, v126
	v_dual_mul_f32 v19, v255, v139 :: v_dual_fma_f32 v93, v226, v126, -v105
	s_delay_alu instid0(VALU_DEP_2) | instskip(SKIP_2) | instid1(VALU_DEP_3)
	v_dual_add_f32 v11, v11, v95 :: v_dual_add_f32 v9, v9, v21
	v_dual_mul_f32 v27, v238, v131 :: v_dual_mul_f32 v29, v240, v133
	v_dual_fmac_f32 v25, v237, v128 :: v_dual_fma_f32 v95, v236, v128, -v107
	v_dual_add_f32 v9, v9, v23 :: v_dual_add_f32 v11, v11, v93
	s_delay_alu instid0(VALU_DEP_3) | instskip(SKIP_2) | instid1(VALU_DEP_4)
	v_fmac_f32_e32 v27, v239, v130
	v_fma_f32 v91, v238, v130, -v91
	v_dual_mul_f32 v31, v242, v135 :: v_dual_mul_f32 v33, v252, v137
	v_dual_add_f32 v9, v9, v25 :: v_dual_add_f32 v11, v11, v95
	v_fmac_f32_e32 v29, v241, v132
	v_dual_fma_f32 v13, v240, v132, -v13 :: v_dual_mul_f32 v35, v254, v139
	s_wait_loadcnt 0x6
	s_delay_alu instid0(VALU_DEP_3)
	v_dual_mul_f32 v89, v228, v193 :: v_dual_add_f32 v9, v9, v27
	v_add_f32_e32 v11, v11, v91
	v_fmac_f32_e32 v31, v243, v134
	v_fma_f32 v15, v242, v134, -v15
	s_set_vgpr_msb 1                        ;  msbs: dst=0 src0=1 src1=0 src2=0
	v_dual_mul_f32 v37, v0 /*v256*/, v141 :: v_dual_mul_f32 v39, v2 /*v258*/, v143
	s_set_vgpr_msb 0                        ;  msbs: dst=0 src0=0 src1=0 src2=0
	v_add_f32_e32 v9, v9, v29
	v_dual_add_f32 v11, v11, v13 :: v_dual_fmac_f32 v33, v253, v136
	v_fma_f32 v17, v252, v136, -v17
	s_set_vgpr_msb 1                        ;  msbs: dst=0 src0=1 src1=0 src2=0
	v_dual_mul_f32 v21, v1 /*v257*/, v141 :: v_dual_mul_f32 v23, v3 /*v259*/, v143
	s_set_vgpr_msb 0                        ;  msbs: dst=0 src0=0 src1=0 src2=0
	v_add_f32_e32 v9, v9, v31
	v_add_f32_e32 v11, v11, v15
	v_fmac_f32_e32 v35, v255, v138
	v_fma_f32 v19, v254, v138, -v19
	s_set_vgpr_msb 1                        ;  msbs: dst=0 src0=1 src1=0 src2=0
	v_fmac_f32_e32 v37, v1 /*v257*/, v140
	s_set_vgpr_msb 0                        ;  msbs: dst=0 src0=0 src1=0 src2=0
	v_add_f32_e32 v9, v9, v33
	v_add_f32_e32 v11, v11, v17
	s_wait_dscnt 0xa
	s_set_vgpr_msb 1                        ;  msbs: dst=0 src0=1 src1=0 src2=0
	v_dual_mul_f32 v17, v17 /*v273*/, v153 :: v_dual_fma_f32 v21, v0 /*v256*/, v140, -v21
	v_dual_mul_f32 v41, v8 /*v264*/, v145 :: v_dual_mul_f32 v43, v10 /*v266*/, v147
	s_set_vgpr_msb 0                        ;  msbs: dst=0 src0=0 src1=0 src2=0
	v_add_f32_e32 v11, v11, v19
	v_add_f32_e32 v9, v9, v35
	s_set_vgpr_msb 1                        ;  msbs: dst=0 src0=1 src1=0 src2=0
	v_dual_mul_f32 v25, v9 /*v265*/, v145 :: v_dual_mul_f32 v27, v11 /*v267*/, v147
	v_mul_f32_e32 v19, v19 /*v275*/, v155
	v_fmac_f32_e32 v39, v3 /*v259*/, v142
	v_dual_fma_f32 v23, v2 /*v258*/, v142, -v23 :: v_dual_fmac_f32 v41, v9 /*v265*/, v144
	s_set_vgpr_msb 0                        ;  msbs: dst=0 src0=0 src1=0 src2=0
	v_add_f32_e32 v11, v11, v21
	v_add_f32_e32 v9, v9, v37
	s_wait_dscnt 0x9
	s_set_vgpr_msb 1                        ;  msbs: dst=0 src0=1 src1=0 src2=0
	v_dual_mul_f32 v21, v21 /*v277*/, v157 :: v_dual_fma_f32 v25, v8 /*v264*/, v144, -v25
	v_dual_mul_f32 v45, v12 /*v268*/, v149 :: v_dual_mul_f32 v47, v14 /*v270*/, v151
	s_set_vgpr_msb 0                        ;  msbs: dst=0 src0=0 src1=0 src2=0
	v_add_f32_e32 v11, v11, v23
	s_set_vgpr_msb 1                        ;  msbs: dst=0 src0=1 src1=0 src2=0
	v_mul_f32_e32 v23, v23 /*v279*/, v159
	s_set_vgpr_msb 0                        ;  msbs: dst=0 src0=0 src1=0 src2=0
	v_add_f32_e32 v9, v9, v39
	s_set_vgpr_msb 1                        ;  msbs: dst=0 src0=1 src1=0 src2=0
	v_dual_mul_f32 v13, v13 /*v269*/, v149 :: v_dual_mul_f32 v15, v15 /*v271*/, v151
	v_fmac_f32_e32 v43, v11 /*v267*/, v146
	v_dual_fma_f32 v27, v10 /*v266*/, v146, -v27 :: v_dual_fmac_f32 v45, v13 /*v269*/, v148
	s_set_vgpr_msb 0                        ;  msbs: dst=0 src0=0 src1=0 src2=0
	v_add_f32_e32 v11, v11, v25
	v_add_f32_e32 v9, v9, v41
	s_wait_dscnt 0x8
	s_set_vgpr_msb 1                        ;  msbs: dst=0 src0=1 src1=0 src2=0
	v_dual_mul_f32 v25, v25 /*v281*/, v161 :: v_dual_fma_f32 v13, v12 /*v268*/, v148, -v13
	v_dual_mul_f32 v49, v16 /*v272*/, v153 :: v_dual_mul_f32 v51, v18 /*v274*/, v155
	s_set_vgpr_msb 0                        ;  msbs: dst=0 src0=0 src1=0 src2=0
	v_add_f32_e32 v11, v11, v27
	s_set_vgpr_msb 1                        ;  msbs: dst=0 src0=1 src1=0 src2=0
	v_mul_f32_e32 v27, v27 /*v283*/, v163
	s_set_vgpr_msb 0                        ;  msbs: dst=0 src0=0 src1=0 src2=0
	v_add_f32_e32 v9, v9, v43
	s_set_vgpr_msb 1                        ;  msbs: dst=0 src0=1 src1=0 src2=0
	v_fmac_f32_e32 v47, v15 /*v271*/, v150
	v_dual_fma_f32 v15, v14 /*v270*/, v150, -v15 :: v_dual_fmac_f32 v49, v17 /*v273*/, v152
	s_set_vgpr_msb 0                        ;  msbs: dst=0 src0=0 src1=0 src2=0
	v_add_f32_e32 v11, v11, v13
	v_add_f32_e32 v9, v9, v45
	s_wait_dscnt 0x7
	s_set_vgpr_msb 1                        ;  msbs: dst=0 src0=1 src1=0 src2=0
	v_dual_mul_f32 v13, v29 /*v285*/, v165 :: v_dual_fma_f32 v17, v16 /*v272*/, v152, -v17
	v_dual_mul_f32 v53, v20 /*v276*/, v157 :: v_dual_mul_f32 v55, v22 /*v278*/, v159
	s_set_vgpr_msb 0                        ;  msbs: dst=0 src0=0 src1=0 src2=0
	v_add_f32_e32 v11, v11, v15
	s_set_vgpr_msb 1                        ;  msbs: dst=0 src0=1 src1=0 src2=0
	v_mul_f32_e32 v15, v31 /*v287*/, v167
	s_set_vgpr_msb 0                        ;  msbs: dst=0 src0=0 src1=0 src2=0
	v_add_f32_e32 v9, v9, v47
	s_set_vgpr_msb 1                        ;  msbs: dst=0 src0=1 src1=0 src2=0
	v_fmac_f32_e32 v51, v19 /*v275*/, v154
	v_dual_fma_f32 v19, v18 /*v274*/, v154, -v19 :: v_dual_fmac_f32 v53, v21 /*v277*/, v156
	s_set_vgpr_msb 0                        ;  msbs: dst=0 src0=0 src1=0 src2=0
	v_add_f32_e32 v11, v11, v17
	v_add_f32_e32 v9, v9, v49
	s_wait_dscnt 0x6
	s_set_vgpr_msb 1                        ;  msbs: dst=0 src0=1 src1=0 src2=0
	v_dual_mul_f32 v17, v33 /*v289*/, v169 :: v_dual_fma_f32 v21, v20 /*v276*/, v156, -v21
	v_dual_mul_f32 v57, v24 /*v280*/, v161 :: v_dual_mul_f32 v59, v26 /*v282*/, v163
	s_set_vgpr_msb 0                        ;  msbs: dst=0 src0=0 src1=0 src2=0
	v_add_f32_e32 v11, v11, v19
	s_set_vgpr_msb 1                        ;  msbs: dst=0 src0=1 src1=0 src2=0
	v_mul_f32_e32 v19, v35 /*v291*/, v171
	s_set_vgpr_msb 0                        ;  msbs: dst=0 src0=0 src1=0 src2=0
	v_add_f32_e32 v9, v9, v51
	s_set_vgpr_msb 1                        ;  msbs: dst=0 src0=1 src1=0 src2=0
	v_fmac_f32_e32 v55, v23 /*v279*/, v158
	v_dual_fma_f32 v23, v22 /*v278*/, v158, -v23 :: v_dual_fmac_f32 v57, v25 /*v281*/, v160
	s_set_vgpr_msb 0                        ;  msbs: dst=0 src0=0 src1=0 src2=0
	v_add_f32_e32 v11, v11, v21
	v_add_f32_e32 v9, v9, v53
	s_wait_dscnt 0x5
	s_set_vgpr_msb 1                        ;  msbs: dst=0 src0=1 src1=0 src2=0
	v_dual_mul_f32 v21, v37 /*v293*/, v173 :: v_dual_fma_f32 v25, v24 /*v280*/, v160, -v25
	v_dual_mul_f32 v61, v28 /*v284*/, v165 :: v_dual_mul_f32 v63, v30 /*v286*/, v167
	s_set_vgpr_msb 0                        ;  msbs: dst=0 src0=0 src1=0 src2=0
	v_add_f32_e32 v11, v11, v23
	s_set_vgpr_msb 1                        ;  msbs: dst=0 src0=1 src1=0 src2=0
	v_mul_f32_e32 v23, v39 /*v295*/, v175
	s_set_vgpr_msb 0                        ;  msbs: dst=0 src0=0 src1=0 src2=0
	v_add_f32_e32 v9, v9, v55
	s_set_vgpr_msb 1                        ;  msbs: dst=0 src0=1 src1=0 src2=0
	v_fmac_f32_e32 v59, v27 /*v283*/, v162
	v_dual_fma_f32 v27, v26 /*v282*/, v162, -v27 :: v_dual_fmac_f32 v61, v29 /*v285*/, v164
	s_set_vgpr_msb 0                        ;  msbs: dst=0 src0=0 src1=0 src2=0
	v_add_f32_e32 v11, v11, v25
	v_add_f32_e32 v9, v9, v57
	s_wait_dscnt 0x4
	s_set_vgpr_msb 1                        ;  msbs: dst=0 src0=1 src1=0 src2=0
	v_dual_mul_f32 v25, v41 /*v297*/, v177 :: v_dual_fma_f32 v13, v28 /*v284*/, v164, -v13
	v_dual_mul_f32 v65, v32 /*v288*/, v169 :: v_dual_mul_f32 v67, v34 /*v290*/, v171
	s_set_vgpr_msb 0                        ;  msbs: dst=0 src0=0 src1=0 src2=0
	v_add_f32_e32 v11, v11, v27
	s_set_vgpr_msb 1                        ;  msbs: dst=0 src0=1 src1=0 src2=0
	v_mul_f32_e32 v27, v43 /*v299*/, v179
	s_set_vgpr_msb 0                        ;  msbs: dst=0 src0=0 src1=0 src2=0
	v_add_f32_e32 v9, v9, v59
	s_set_vgpr_msb 1                        ;  msbs: dst=0 src0=1 src1=0 src2=0
	v_fmac_f32_e32 v63, v31 /*v287*/, v166
	v_dual_fma_f32 v15, v30 /*v286*/, v166, -v15 :: v_dual_fmac_f32 v65, v33 /*v289*/, v168
	s_set_vgpr_msb 0                        ;  msbs: dst=0 src0=0 src1=0 src2=0
	v_add_f32_e32 v11, v11, v13
	v_add_f32_e32 v9, v9, v61
	s_wait_dscnt 0x3
	s_set_vgpr_msb 1                        ;  msbs: dst=0 src0=1 src1=0 src2=0
	v_dual_mul_f32 v13, v45 /*v301*/, v181 :: v_dual_fma_f32 v17, v32 /*v288*/, v168, -v17
	v_dual_mul_f32 v69, v36 /*v292*/, v173 :: v_dual_mul_f32 v71, v38 /*v294*/, v175
	s_set_vgpr_msb 0                        ;  msbs: dst=0 src0=0 src1=0 src2=0
	v_add_f32_e32 v11, v11, v15
	s_set_vgpr_msb 1                        ;  msbs: dst=0 src0=1 src1=0 src2=0
	v_mul_f32_e32 v15, v47 /*v303*/, v183
	s_set_vgpr_msb 0                        ;  msbs: dst=0 src0=0 src1=0 src2=0
	v_add_f32_e32 v9, v9, v63
	s_set_vgpr_msb 1                        ;  msbs: dst=0 src0=1 src1=0 src2=0
	v_fmac_f32_e32 v67, v35 /*v291*/, v170
	v_dual_fma_f32 v19, v34 /*v290*/, v170, -v19 :: v_dual_fmac_f32 v69, v37 /*v293*/, v172
	s_set_vgpr_msb 0                        ;  msbs: dst=0 src0=0 src1=0 src2=0
	v_add_f32_e32 v11, v11, v17
	v_add_f32_e32 v9, v9, v65
	s_wait_dscnt 0x2
	s_set_vgpr_msb 1                        ;  msbs: dst=0 src0=1 src1=0 src2=0
	v_dual_mul_f32 v17, v49 /*v305*/, v185 :: v_dual_fma_f32 v21, v36 /*v292*/, v172, -v21
	v_dual_mul_f32 v73, v40 /*v296*/, v177 :: v_dual_mul_f32 v75, v42 /*v298*/, v179
	s_set_vgpr_msb 0                        ;  msbs: dst=0 src0=0 src1=0 src2=0
	v_add_f32_e32 v11, v11, v19
	s_set_vgpr_msb 1                        ;  msbs: dst=0 src0=1 src1=0 src2=0
	v_mul_f32_e32 v19, v51 /*v307*/, v187
	s_set_vgpr_msb 0                        ;  msbs: dst=0 src0=0 src1=0 src2=0
	v_add_f32_e32 v9, v9, v67
	s_set_vgpr_msb 1                        ;  msbs: dst=0 src0=1 src1=0 src2=0
	v_fmac_f32_e32 v71, v39 /*v295*/, v174
	v_dual_fma_f32 v23, v38 /*v294*/, v174, -v23 :: v_dual_fmac_f32 v73, v41 /*v297*/, v176
	s_set_vgpr_msb 0                        ;  msbs: dst=0 src0=0 src1=0 src2=0
	v_add_f32_e32 v11, v11, v21
	v_add_f32_e32 v9, v9, v69
	s_wait_dscnt 0x1
	s_set_vgpr_msb 1                        ;  msbs: dst=0 src0=1 src1=0 src2=0
	v_dual_mul_f32 v21, v53 /*v309*/, v189 :: v_dual_fma_f32 v25, v40 /*v296*/, v176, -v25
	v_dual_mul_f32 v77, v44 /*v300*/, v181 :: v_dual_mul_f32 v79, v46 /*v302*/, v183
	s_set_vgpr_msb 0                        ;  msbs: dst=0 src0=0 src1=0 src2=0
	v_add_f32_e32 v11, v11, v23
	s_set_vgpr_msb 1                        ;  msbs: dst=0 src0=1 src1=0 src2=0
	v_mul_f32_e32 v23, v55 /*v311*/, v191
	s_set_vgpr_msb 0                        ;  msbs: dst=0 src0=0 src1=0 src2=0
	v_add_f32_e32 v9, v9, v71
	s_set_vgpr_msb 1                        ;  msbs: dst=0 src0=1 src1=0 src2=0
	v_dual_fmac_f32 v75, v43 /*v299*/, v178 :: v_dual_fmac_f32 v77, v45 /*v301*/, v180
	v_dual_fma_f32 v27, v42 /*v298*/, v178, -v27 :: v_dual_fma_f32 v13, v44 /*v300*/, v180, -v13
	s_set_vgpr_msb 0                        ;  msbs: dst=0 src0=0 src1=0 src2=0
	v_add_f32_e32 v11, v11, v25
	v_add_f32_e32 v9, v9, v73
	v_mul_f32_e32 v25, v229, v193
	s_set_vgpr_msb 1                        ;  msbs: dst=0 src0=1 src1=0 src2=0
	v_dual_mul_f32 v81, v48 /*v304*/, v185 :: v_dual_mul_f32 v83, v50 /*v306*/, v187
	s_set_vgpr_msb 0                        ;  msbs: dst=0 src0=0 src1=0 src2=0
	v_add_f32_e32 v11, v11, v27
	v_add_f32_e32 v9, v9, v75
	s_set_vgpr_msb 1                        ;  msbs: dst=0 src0=1 src1=0 src2=0
	v_dual_fmac_f32 v79, v47 /*v303*/, v182 :: v_dual_fmac_f32 v81, v49 /*v305*/, v184
	v_dual_fma_f32 v15, v46 /*v302*/, v182, -v15 :: v_dual_fma_f32 v17, v48 /*v304*/, v184, -v17
	s_set_vgpr_msb 0                        ;  msbs: dst=0 src0=0 src1=0 src2=0
	v_add_f32_e32 v11, v11, v13
	v_dual_mul_f32 v27, v231, v195 :: v_dual_add_f32 v9, v9, v77
	s_set_vgpr_msb 1                        ;  msbs: dst=0 src0=1 src1=0 src2=0
	v_dual_mul_f32 v85, v52 /*v308*/, v189 :: v_dual_mul_f32 v87, v54 /*v310*/, v191
	s_wait_loadcnt 0x5
	s_set_vgpr_msb 0                        ;  msbs: dst=0 src0=0 src1=0 src2=0
	v_dual_mul_f32 v13, v233, v197 :: v_dual_add_f32 v11, v11, v15
	v_dual_add_f32 v9, v9, v79 :: v_dual_mov_b32 v112, v199
	s_set_vgpr_msb 1                        ;  msbs: dst=0 src0=1 src1=0 src2=0
	v_dual_fmac_f32 v83, v51 /*v307*/, v186 :: v_dual_fmac_f32 v85, v53 /*v309*/, v188
	v_fma_f32 v15, v50 /*v306*/, v186, -v19
	s_set_vgpr_msb 0                        ;  msbs: dst=0 src0=0 src1=0 src2=0
	v_add_f32_e32 v11, v11, v17
	s_set_vgpr_msb 1                        ;  msbs: dst=0 src0=1 src1=0 src2=0
	v_fma_f32 v17, v52 /*v308*/, v188, -v21
	s_set_vgpr_msb 0                        ;  msbs: dst=0 src0=0 src1=0 src2=0
	v_add_f32_e32 v9, v9, v81
	s_set_vgpr_msb 1                        ;  msbs: dst=0 src0=1 src1=0 src2=0
	v_fmac_f32_e32 v87, v55 /*v311*/, v190
	s_set_vgpr_msb 64                       ;  msbs: dst=1 src0=0 src1=0 src2=0
	v_dual_mul_f32 v71 /*v327*/, v230, v195 :: v_dual_mul_f32 v73 /*v329*/, v232, v197
	s_set_vgpr_msb 0                        ;  msbs: dst=0 src0=0 src1=0 src2=0
	v_add_f32_e32 v11, v11, v15
	s_wait_loadcnt 0x4
	v_dual_add_f32 v9, v9, v83 :: v_dual_mov_b32 v116, v203
	s_set_vgpr_msb 1                        ;  msbs: dst=0 src0=1 src1=0 src2=0
	v_fma_f32 v15, v54 /*v310*/, v190, -v23
	s_set_vgpr_msb 0                        ;  msbs: dst=0 src0=0 src1=0 src2=0
	v_dual_fmac_f32 v89, v229, v192 :: v_dual_add_f32 v11, v11, v17
	v_dual_add_f32 v9, v9, v85 :: v_dual_fma_f32 v17, v228, v192, -v25
	s_set_vgpr_msb 1                        ;  msbs: dst=0 src0=1 src1=0 src2=0
	v_pk_mul_f32 v[112:113], v[62:63] /*v[318:319]*/, v[112:113] op_sel_hi:[1,0]
	s_set_vgpr_msb 64                       ;  msbs: dst=1 src0=0 src1=0 src2=0
	v_dual_fmac_f32 v71 /*v327*/, v231, v194 :: v_dual_fmac_f32 v73 /*v329*/, v233, v196
	s_set_vgpr_msb 0                        ;  msbs: dst=0 src0=0 src1=0 src2=0
	v_add_f32_e32 v9, v9, v87
	v_add_f32_e32 v11, v11, v15
	s_set_vgpr_msb 64                       ;  msbs: dst=1 src0=0 src1=0 src2=0
	v_dual_fma_f32 v70 /*v326*/, v230, v194, -v27 :: v_dual_fma_f32 v72 /*v328*/, v232, v196, -v13
	s_set_vgpr_msb 0                        ;  msbs: dst=0 src0=0 src1=0 src2=0
	v_pk_fma_f32 v[124:125], v[234:235], v[198:199], v[112:113] op_sel_hi:[1,0,1]
	v_add_f32_e32 v121, v9, v89
	v_add_f32_e32 v120, v11, v17
	v_pk_fma_f32 v[112:113], v[234:235], v[198:199], v[112:113] neg_lo:[0,0,1] neg_hi:[0,0,1]
	v_pk_mul_f32 v[114:115], v[244:245], v[200:201] op_sel:[1,1] op_sel_hi:[0,1]
	v_mov_b32_e32 v113, v125
	s_set_vgpr_msb 1                        ;  msbs: dst=0 src0=1 src1=0 src2=0
	v_pk_mul_f32 v[116:117], v[64:65] /*v[320:321]*/, v[116:117] op_sel_hi:[1,0]
	s_set_vgpr_msb 4                        ;  msbs: dst=0 src0=0 src1=1 src2=0
	v_pk_add_f32 v[120:121], v[120:121], v[70:71] /*v[326:327]*/
	s_wait_loadcnt 0x3
	s_set_vgpr_msb 0                        ;  msbs: dst=0 src0=0 src1=0 src2=0
	v_pk_mul_f32 v[118:119], v[248:249], v[204:205] op_sel:[1,1] op_sel_hi:[0,1]
	v_pk_fma_f32 v[126:127], v[244:245], v[200:201], v[114:115] op_sel_hi:[1,0,1]
	v_pk_fma_f32 v[114:115], v[244:245], v[200:201], v[114:115] neg_lo:[0,0,1] neg_hi:[0,0,1]
	v_mov_b32_e32 v122, v207
	s_set_vgpr_msb 4                        ;  msbs: dst=0 src0=0 src1=1 src2=0
	v_pk_add_f32 v[120:121], v[120:121], v[72:73] /*v[328:329]*/
	s_wait_loadcnt 0x2
	s_set_vgpr_msb 1                        ;  msbs: dst=0 src0=1 src1=0 src2=0
	v_pk_mul_f32 v[124:125], v[4:5] /*v[260:261]*/, v[208:209] op_sel:[1,1] op_sel_hi:[0,1]
	s_set_vgpr_msb 0                        ;  msbs: dst=0 src0=0 src1=0 src2=0
	v_mov_b32_e32 v115, v127
	v_pk_fma_f32 v[126:127], v[246:247], v[202:203], v[116:117] op_sel_hi:[1,0,1]
	v_pk_fma_f32 v[116:117], v[246:247], v[202:203], v[116:117] neg_lo:[0,0,1] neg_hi:[0,0,1]
	v_pk_add_f32 v[112:113], v[120:121], v[112:113]
	v_pk_fma_f32 v[120:121], v[248:249], v[204:205], v[118:119] op_sel_hi:[1,0,1]
	s_set_vgpr_msb 1                        ;  msbs: dst=0 src0=1 src1=0 src2=0
	v_pk_mul_f32 v[122:123], v[66:67] /*v[322:323]*/, v[122:123] op_sel_hi:[1,0]
	s_set_vgpr_msb 0                        ;  msbs: dst=0 src0=0 src1=0 src2=0
	v_mov_b32_e32 v117, v127
	v_pk_fma_f32 v[118:119], v[248:249], v[204:205], v[118:119] neg_lo:[0,0,1] neg_hi:[0,0,1]
	v_pk_add_f32 v[112:113], v[112:113], v[114:115]
	v_dual_mov_b32 v114, v211 :: v_dual_mov_b32 v119, v121
	v_pk_fma_f32 v[120:121], v[250:251], v[206:207], v[122:123] op_sel_hi:[1,0,1]
	v_pk_fma_f32 v[122:123], v[250:251], v[206:207], v[122:123] neg_lo:[0,0,1] neg_hi:[0,0,1]
	s_delay_alu instid0(VALU_DEP_4)
	v_pk_add_f32 v[112:113], v[112:113], v[116:117]
	s_set_vgpr_msb 1                        ;  msbs: dst=0 src0=1 src1=0 src2=0
	v_pk_fma_f32 v[116:117], v[4:5] /*v[260:261]*/, v[208:209], v[124:125] op_sel_hi:[1,0,1]
	v_pk_mul_f32 v[114:115], v[68:69] /*v[324:325]*/, v[114:115] op_sel_hi:[1,0]
	s_set_vgpr_msb 0                        ;  msbs: dst=0 src0=0 src1=0 src2=0
	v_mov_b32_e32 v123, v121
	s_wait_loadcnt_dscnt 0x100
	s_set_vgpr_msb 5                        ;  msbs: dst=0 src0=1 src1=1 src2=0
	v_pk_mul_f32 v[120:121], v[60:61] /*v[316:317]*/, v[56:57] /*v[312:313]*/ op_sel:[1,1] op_sel_hi:[0,1]
	s_set_vgpr_msb 0                        ;  msbs: dst=0 src0=0 src1=0 src2=0
	v_pk_add_f32 v[112:113], v[112:113], v[118:119]
	s_set_vgpr_msb 1                        ;  msbs: dst=0 src0=1 src1=0 src2=0
	v_pk_fma_f32 v[118:119], v[4:5] /*v[260:261]*/, v[208:209], v[124:125] neg_lo:[0,0,1] neg_hi:[0,0,1]
	s_set_vgpr_msb 0                        ;  msbs: dst=0 src0=0 src1=0 src2=0
	v_mov_b32_e32 v119, v117
	s_set_vgpr_msb 1                        ;  msbs: dst=0 src0=1 src1=0 src2=0
	v_pk_fma_f32 v[116:117], v[6:7] /*v[262:263]*/, v[210:211], v[114:115] op_sel_hi:[1,0,1]
	v_pk_fma_f32 v[114:115], v[6:7] /*v[262:263]*/, v[210:211], v[114:115] neg_lo:[0,0,1] neg_hi:[0,0,1]
	s_set_vgpr_msb 0                        ;  msbs: dst=0 src0=0 src1=0 src2=0
	v_pk_add_f32 v[112:113], v[112:113], v[122:123]
	s_delay_alu instid0(VALU_DEP_3)
	v_mov_b32_e32 v115, v117
	s_set_vgpr_msb 5                        ;  msbs: dst=0 src0=1 src1=1 src2=0
	v_pk_fma_f32 v[116:117], v[60:61] /*v[316:317]*/, v[56:57] /*v[312:313]*/, v[120:121] op_sel_hi:[1,0,1]
	s_set_vgpr_msb 0                        ;  msbs: dst=0 src0=0 src1=0 src2=0
	v_pk_add_f32 v[112:113], v[112:113], v[118:119]
	s_set_vgpr_msb 5                        ;  msbs: dst=0 src0=1 src1=1 src2=0
	v_pk_fma_f32 v[118:119], v[60:61] /*v[316:317]*/, v[56:57] /*v[312:313]*/, v[120:121] neg_lo:[0,0,1] neg_hi:[0,0,1]
	s_set_vgpr_msb 0                        ;  msbs: dst=0 src0=0 src1=0 src2=0
	v_mov_b32_e32 v119, v117
	v_pk_add_f32 v[112:113], v[112:113], v[114:115]
	s_delay_alu instid0(VALU_DEP_1) | instskip(SKIP_2) | instid1(VALU_DEP_1)
	v_pk_add_f32 v[112:113], v[112:113], v[118:119]
	s_wait_loadcnt 0x0
	s_set_vgpr_msb 1                        ;  msbs: dst=0 src0=1 src1=0 src2=0
	v_pk_add_f32 v[112:113], v[58:59] /*v[314:315]*/, v[112:113] neg_lo:[0,1] neg_hi:[0,1]
	scratch_store_b64 off, v[112:113], off offset:24
	s_wait_xcnt 0x0
	v_cmpx_lt_u32_e32 2, v0
	s_set_vgpr_msb 0                        ;  msbs: dst=0 src0=0 src1=0 src2=0
	s_cbranch_execz .LBB54_339
; %bb.338:
	scratch_load_b64 v[112:113], off, off offset:16
	v_mov_b64_e32 v[114:115], 0
	scratch_store_b64 off, v[114:115], off offset:16
	s_wait_loadcnt 0x0
	ds_store_b64 v1, v[112:113]
.LBB54_339:
	s_wait_xcnt 0x0
	s_or_b32 exec_lo, exec_lo, s0
	s_wait_storecnt_dscnt 0x0
	s_barrier_signal -1
	s_barrier_wait -1
	s_clause 0x18
	scratch_load_b128 v[112:115], off, off offset:24
	scratch_load_b128 v[116:119], off, off offset:40
	;; [unrolled: 1-line block ×25, first 2 shown]
	ds_load_2addr_b64 v[212:215], v5 offset0:59 offset1:60
	ds_load_2addr_b64 v[216:219], v5 offset0:61 offset1:62
	scratch_load_b128 v[220:223], off, off offset:424
	ds_load_2addr_b64 v[224:227], v5 offset0:63 offset1:64
	ds_load_2addr_b64 v[228:231], v5 offset0:65 offset1:66
	;; [unrolled: 1-line block ×8, first 2 shown]
	s_set_vgpr_msb 64                       ;  msbs: dst=1 src0=0 src1=0 src2=0
	ds_load_2addr_b64 v[0:3] /*v[256:259]*/, v5 offset0:107 offset1:108
	ds_load_2addr_b64 v[4:7] /*v[260:263]*/, v5 offset0:75 offset1:76
	;; [unrolled: 1-line block ×16, first 2 shown]
	scratch_load_b64 v[64:65] /*v[320:321]*/, off, off offset:16
	s_wait_dscnt 0x13
	v_dual_mov_b32 v66 /*v322*/, v243 :: v_dual_mov_b32 v67 /*v323*/, v242
	s_wait_dscnt 0x10
	v_dual_mov_b32 v68 /*v324*/, v255 :: v_dual_mov_b32 v69 /*v325*/, v254
	s_wait_dscnt 0xf
	s_set_vgpr_msb 0x41                     ;  msbs: dst=1 src0=1 src1=0 src2=0
	v_dual_mov_b32 v70 /*v326*/, v3 /*v259*/ :: v_dual_mov_b32 v71 /*v327*/, v2 /*v258*/
	s_wait_dscnt 0xc
	v_dual_mov_b32 v72 /*v328*/, v15 /*v271*/ :: v_dual_mov_b32 v73 /*v329*/, v14 /*v270*/
	s_mov_b32 s0, exec_lo
	s_wait_loadcnt 0x1a
	s_set_vgpr_msb 0                        ;  msbs: dst=0 src0=0 src1=0 src2=0
	v_dual_mul_f32 v5, v212, v113 :: v_dual_mul_f32 v9, v214, v115
	v_dual_mul_f32 v91, v213, v113 :: v_dual_mul_f32 v93, v215, v115
	s_wait_loadcnt 0x19
	v_dual_mul_f32 v11, v216, v117 :: v_dual_mul_f32 v13, v218, v119
	s_delay_alu instid0(VALU_DEP_2) | instskip(SKIP_3) | instid1(VALU_DEP_3)
	v_dual_fmac_f32 v5, v213, v112 :: v_dual_fma_f32 v91, v212, v112, -v91
	v_dual_mul_f32 v95, v217, v117 :: v_dual_mul_f32 v97, v219, v119
	s_wait_loadcnt 0x17
	v_dual_mul_f32 v103, v229, v125 :: v_dual_fmac_f32 v9, v215, v114
	v_dual_fma_f32 v93, v214, v114, -v93 :: v_dual_add_f32 v5, 0, v5
	v_dual_add_f32 v91, 0, v91 :: v_dual_fmac_f32 v11, v217, v116
	v_dual_mul_f32 v105, v231, v127 :: v_dual_fma_f32 v95, v216, v116, -v95
	s_delay_alu instid0(VALU_DEP_3) | instskip(NEXT) | instid1(VALU_DEP_3)
	v_dual_add_f32 v5, v5, v9 :: v_dual_fmac_f32 v13, v219, v118
	v_dual_add_f32 v9, v91, v93 :: v_dual_fma_f32 v93, v218, v118, -v97
	v_dual_mul_f32 v15, v224, v121 :: v_dual_mul_f32 v17, v226, v123
	v_dual_mul_f32 v99, v225, v121 :: v_dual_mul_f32 v101, v227, v123
	s_delay_alu instid0(VALU_DEP_4) | instskip(NEXT) | instid1(VALU_DEP_3)
	v_add_f32_e32 v5, v5, v11
	v_dual_add_f32 v9, v9, v95 :: v_dual_fmac_f32 v17, v227, v122
	s_delay_alu instid0(VALU_DEP_4) | instskip(NEXT) | instid1(VALU_DEP_3)
	v_fmac_f32_e32 v15, v225, v120
	v_dual_fma_f32 v95, v224, v120, -v99 :: v_dual_add_f32 v5, v5, v13
	s_delay_alu instid0(VALU_DEP_3) | instskip(SKIP_4) | instid1(VALU_DEP_2)
	v_add_f32_e32 v9, v9, v93
	v_dual_mul_f32 v19, v228, v125 :: v_dual_mul_f32 v21, v230, v127
	s_wait_loadcnt 0x16
	v_dual_mul_f32 v91, v233, v129 :: v_dual_mul_f32 v11, v235, v131
	v_dual_fma_f32 v93, v226, v122, -v101 :: v_dual_add_f32 v5, v5, v15
	v_dual_add_f32 v9, v9, v95 :: v_dual_fma_f32 v91, v232, v128, -v91
	v_dual_mul_f32 v23, v232, v129 :: v_dual_mul_f32 v25, v234, v131
	v_fmac_f32_e32 v19, v229, v124
	s_delay_alu instid0(VALU_DEP_3) | instskip(SKIP_4) | instid1(VALU_DEP_2)
	v_dual_add_f32 v9, v9, v93 :: v_dual_fma_f32 v11, v234, v130, -v11
	v_dual_fma_f32 v93, v230, v126, -v105 :: v_dual_add_f32 v5, v5, v17
	s_wait_loadcnt 0x15
	v_dual_mul_f32 v13, v237, v133 :: v_dual_fmac_f32 v21, v231, v126
	v_dual_fma_f32 v95, v228, v124, -v103 :: v_dual_fmac_f32 v25, v235, v130
	v_dual_add_f32 v5, v5, v19 :: v_dual_fma_f32 v13, v236, v132, -v13
	v_dual_mul_f32 v27, v236, v133 :: v_dual_mul_f32 v29, v238, v135
	s_wait_loadcnt 0x14
	v_dual_mul_f32 v31, v244, v137 :: v_dual_mul_f32 v33, v246, v139
	v_mul_f32_e32 v15, v239, v135
	s_delay_alu instid0(VALU_DEP_3) | instskip(SKIP_1) | instid1(VALU_DEP_4)
	v_dual_add_f32 v9, v9, v95 :: v_dual_fmac_f32 v29, v239, v134
	v_dual_mul_f32 v19, v247, v139 :: v_dual_fmac_f32 v23, v233, v128
	v_dual_fmac_f32 v33, v247, v138 :: v_dual_add_f32 v5, v5, v21
	s_delay_alu instid0(VALU_DEP_4) | instskip(SKIP_1) | instid1(VALU_DEP_3)
	v_dual_fma_f32 v15, v238, v134, -v15 :: v_dual_mul_f32 v17, v245, v137
	s_wait_loadcnt 0x13
	v_dual_mul_f32 v21, v249, v141 :: v_dual_fma_f32 v19, v246, v138, -v19
	s_delay_alu instid0(VALU_DEP_3)
	v_add_f32_e32 v5, v5, v23
	v_dual_mul_f32 v23, v251, v143 :: v_dual_add_f32 v9, v9, v93
	v_fma_f32 v17, v244, v136, -v17
	v_dual_mul_f32 v35, v248, v141 :: v_dual_mul_f32 v37, v250, v143
	s_wait_loadcnt 0x4
	v_dual_fmac_f32 v27, v237, v132 :: v_dual_mov_b32 v114, v203
	v_add_f32_e32 v9, v9, v91
	v_pk_mul_f32 v[112:113], v[240:241], v[200:201] op_sel:[1,1] op_sel_hi:[0,1]
	v_dual_fma_f32 v21, v248, v140, -v21 :: v_dual_add_f32 v5, v5, v25
	v_dual_fma_f32 v23, v250, v142, -v23 :: v_dual_fmac_f32 v37, v251, v142
	s_wait_loadcnt 0x3
	v_dual_add_f32 v9, v9, v11 :: v_dual_mov_b32 v118, v207
	v_pk_fma_f32 v[122:123], v[240:241], v[200:201], v[112:113] op_sel_hi:[1,0,1]
	s_set_vgpr_msb 1                        ;  msbs: dst=0 src0=1 src1=0 src2=0
	v_pk_mul_f32 v[114:115], v[66:67] /*v[322:323]*/, v[114:115] op_sel_hi:[1,0]
	s_set_vgpr_msb 0                        ;  msbs: dst=0 src0=0 src1=0 src2=0
	v_pk_fma_f32 v[112:113], v[240:241], v[200:201], v[112:113] neg_lo:[0,0,1] neg_hi:[0,0,1]
	v_add_f32_e32 v5, v5, v27
	v_pk_mul_f32 v[116:117], v[252:253], v[204:205] op_sel:[1,1] op_sel_hi:[0,1]
	v_mov_b32_e32 v113, v123
	v_pk_fma_f32 v[122:123], v[242:243], v[202:203], v[114:115] op_sel_hi:[1,0,1]
	v_add_f32_e32 v9, v9, v13
	s_set_vgpr_msb 1                        ;  msbs: dst=0 src0=1 src1=0 src2=0
	v_pk_mul_f32 v[118:119], v[68:69] /*v[324:325]*/, v[118:119] op_sel_hi:[1,0]
	s_set_vgpr_msb 0                        ;  msbs: dst=0 src0=0 src1=0 src2=0
	v_pk_fma_f32 v[114:115], v[242:243], v[202:203], v[114:115] neg_lo:[0,0,1] neg_hi:[0,0,1]
	v_fmac_f32_e32 v31, v245, v136
	v_pk_fma_f32 v[126:127], v[252:253], v[204:205], v[116:117] op_sel_hi:[1,0,1]
	v_dual_add_f32 v5, v5, v29 :: v_dual_mov_b32 v115, v123
	v_pk_fma_f32 v[122:123], v[254:255], v[206:207], v[118:119] op_sel_hi:[1,0,1]
	v_add_f32_e32 v9, v9, v15
	v_pk_fma_f32 v[116:117], v[252:253], v[204:205], v[116:117] neg_lo:[0,0,1] neg_hi:[0,0,1]
	v_pk_fma_f32 v[118:119], v[254:255], v[206:207], v[118:119] neg_lo:[0,0,1] neg_hi:[0,0,1]
	v_dual_mov_b32 v117, v127 :: v_dual_add_f32 v5, v5, v31
	s_delay_alu instid0(VALU_DEP_4)
	v_dual_mov_b32 v119, v123 :: v_dual_add_f32 v9, v9, v17
	v_fmac_f32_e32 v35, v249, v140
	s_set_vgpr_msb 1                        ;  msbs: dst=0 src0=1 src1=0 src2=0
	v_dual_mul_f32 v39, v4 /*v260*/, v145 :: v_dual_mul_f32 v41, v6 /*v262*/, v147
	s_set_vgpr_msb 0                        ;  msbs: dst=0 src0=0 src1=0 src2=0
	v_add_f32_e32 v5, v5, v33
	v_add_f32_e32 v9, v9, v19
	s_set_vgpr_msb 1                        ;  msbs: dst=0 src0=1 src1=0 src2=0
	v_dual_mul_f32 v11, v5 /*v261*/, v145 :: v_dual_mul_f32 v13, v7 /*v263*/, v147
	v_dual_fmac_f32 v39, v5 /*v261*/, v144 :: v_dual_fmac_f32 v41, v7 /*v263*/, v146
	s_set_vgpr_msb 0                        ;  msbs: dst=0 src0=0 src1=0 src2=0
	v_add_f32_e32 v5, v5, v35
	v_add_f32_e32 v9, v9, v21
	s_set_vgpr_msb 1                        ;  msbs: dst=0 src0=1 src1=0 src2=0
	v_fma_f32 v11, v4 /*v260*/, v144, -v11
	v_dual_mul_f32 v43, v8 /*v264*/, v149 :: v_dual_mul_f32 v45, v10 /*v266*/, v151
	s_set_vgpr_msb 0                        ;  msbs: dst=0 src0=0 src1=0 src2=0
	v_add_f32_e32 v5, v5, v37
	v_add_f32_e32 v9, v9, v23
	s_set_vgpr_msb 1                        ;  msbs: dst=0 src0=1 src1=0 src2=0
	v_dual_mul_f32 v15, v9 /*v265*/, v149 :: v_dual_mul_f32 v17, v11 /*v267*/, v151
	s_wait_dscnt 0xa
	v_dual_mul_f32 v23, v21 /*v277*/, v157 :: v_dual_fma_f32 v13, v6 /*v262*/, v146, -v13
	s_set_vgpr_msb 0                        ;  msbs: dst=0 src0=0 src1=0 src2=0
	v_add_f32_e32 v5, v5, v39
	v_add_f32_e32 v9, v9, v11
	s_set_vgpr_msb 1                        ;  msbs: dst=0 src0=1 src1=0 src2=0
	v_dual_mul_f32 v11, v23 /*v279*/, v159 :: v_dual_fmac_f32 v43, v9 /*v265*/, v148
	v_dual_fmac_f32 v45, v11 /*v267*/, v150 :: v_dual_fma_f32 v15, v8 /*v264*/, v148, -v15
	s_set_vgpr_msb 0                        ;  msbs: dst=0 src0=0 src1=0 src2=0
	v_add_f32_e32 v5, v5, v41
	v_add_f32_e32 v9, v9, v13
	s_set_vgpr_msb 1                        ;  msbs: dst=0 src0=1 src1=0 src2=0
	v_dual_mul_f32 v47, v16 /*v272*/, v153 :: v_dual_mul_f32 v49, v18 /*v274*/, v155
	v_dual_mul_f32 v19, v17 /*v273*/, v153 :: v_dual_mul_f32 v21, v19 /*v275*/, v155
	s_wait_dscnt 0x9
	v_dual_mul_f32 v13, v25 /*v281*/, v161 :: v_dual_fma_f32 v17, v10 /*v266*/, v150, -v17
	s_set_vgpr_msb 0                        ;  msbs: dst=0 src0=0 src1=0 src2=0
	v_add_f32_e32 v5, v5, v43
	v_add_f32_e32 v9, v9, v15
	s_set_vgpr_msb 1                        ;  msbs: dst=0 src0=1 src1=0 src2=0
	v_dual_mul_f32 v15, v27 /*v283*/, v163 :: v_dual_fmac_f32 v47, v17 /*v273*/, v152
	v_dual_fmac_f32 v49, v19 /*v275*/, v154 :: v_dual_fma_f32 v19, v16 /*v272*/, v152, -v19
	s_set_vgpr_msb 0                        ;  msbs: dst=0 src0=0 src1=0 src2=0
	v_add_f32_e32 v5, v5, v45
	v_add_f32_e32 v9, v9, v17
	s_set_vgpr_msb 1                        ;  msbs: dst=0 src0=1 src1=0 src2=0
	v_dual_mul_f32 v51, v20 /*v276*/, v157 :: v_dual_mul_f32 v53, v22 /*v278*/, v159
	s_wait_dscnt 0x8
	v_dual_mul_f32 v17, v29 /*v285*/, v165 :: v_dual_fma_f32 v21, v18 /*v274*/, v154, -v21
	s_set_vgpr_msb 0                        ;  msbs: dst=0 src0=0 src1=0 src2=0
	v_add_f32_e32 v5, v5, v47
	v_add_f32_e32 v9, v9, v19
	s_set_vgpr_msb 1                        ;  msbs: dst=0 src0=1 src1=0 src2=0
	v_dual_mul_f32 v19, v31 /*v287*/, v167 :: v_dual_fmac_f32 v51, v21 /*v277*/, v156
	v_dual_fmac_f32 v53, v23 /*v279*/, v158 :: v_dual_fma_f32 v23, v20 /*v276*/, v156, -v23
	s_set_vgpr_msb 0                        ;  msbs: dst=0 src0=0 src1=0 src2=0
	v_add_f32_e32 v5, v5, v49
	v_add_f32_e32 v9, v9, v21
	s_set_vgpr_msb 1                        ;  msbs: dst=0 src0=1 src1=0 src2=0
	v_dual_mul_f32 v55, v24 /*v280*/, v161 :: v_dual_mul_f32 v57, v26 /*v282*/, v163
	s_wait_dscnt 0x7
	v_dual_mul_f32 v21, v33 /*v289*/, v169 :: v_dual_fma_f32 v11, v22 /*v278*/, v158, -v11
	s_set_vgpr_msb 0                        ;  msbs: dst=0 src0=0 src1=0 src2=0
	v_add_f32_e32 v5, v5, v51
	v_add_f32_e32 v9, v9, v23
	s_set_vgpr_msb 1                        ;  msbs: dst=0 src0=1 src1=0 src2=0
	v_dual_mul_f32 v23, v35 /*v291*/, v171 :: v_dual_fmac_f32 v55, v25 /*v281*/, v160
	v_fma_f32 v13, v24 /*v280*/, v160, -v13
	s_set_vgpr_msb 0                        ;  msbs: dst=0 src0=0 src1=0 src2=0
	v_add_f32_e32 v5, v5, v53
	v_add_f32_e32 v9, v9, v11
	s_set_vgpr_msb 1                        ;  msbs: dst=0 src0=1 src1=0 src2=0
	v_dual_mul_f32 v59, v28 /*v284*/, v165 :: v_dual_mul_f32 v61, v30 /*v286*/, v167
	s_wait_dscnt 0x6
	v_dual_mul_f32 v11, v37 /*v293*/, v173 :: v_dual_fmac_f32 v57, v27 /*v283*/, v162
	v_fma_f32 v15, v26 /*v282*/, v162, -v15
	s_set_vgpr_msb 0                        ;  msbs: dst=0 src0=0 src1=0 src2=0
	v_add_f32_e32 v5, v5, v55
	v_add_f32_e32 v9, v9, v13
	s_set_vgpr_msb 1                        ;  msbs: dst=0 src0=1 src1=0 src2=0
	v_dual_mul_f32 v13, v39 /*v295*/, v175 :: v_dual_fmac_f32 v59, v29 /*v285*/, v164
	v_fma_f32 v17, v28 /*v284*/, v164, -v17
	s_set_vgpr_msb 0                        ;  msbs: dst=0 src0=0 src1=0 src2=0
	v_add_f32_e32 v5, v5, v57
	v_add_f32_e32 v9, v9, v15
	s_set_vgpr_msb 1                        ;  msbs: dst=0 src0=1 src1=0 src2=0
	v_dual_mul_f32 v63, v32 /*v288*/, v169 :: v_dual_mul_f32 v65, v34 /*v290*/, v171
	s_wait_dscnt 0x5
	v_dual_mul_f32 v15, v41 /*v297*/, v177 :: v_dual_fmac_f32 v61, v31 /*v287*/, v166
	v_fma_f32 v19, v30 /*v286*/, v166, -v19
	;; [unrolled: 14-line block ×3, first 2 shown]
	s_set_vgpr_msb 0                        ;  msbs: dst=0 src0=0 src1=0 src2=0
	v_add_f32_e32 v5, v5, v63
	v_add_f32_e32 v9, v9, v21
	s_set_vgpr_msb 1                        ;  msbs: dst=0 src0=1 src1=0 src2=0
	v_dual_mul_f32 v21, v47 /*v303*/, v183 :: v_dual_fmac_f32 v67, v37 /*v293*/, v172
	v_dual_fmac_f32 v69, v39 /*v295*/, v174 :: v_dual_fma_f32 v11, v36 /*v292*/, v172, -v11
	s_set_vgpr_msb 0                        ;  msbs: dst=0 src0=0 src1=0 src2=0
	v_add_f32_e32 v5, v5, v65
	v_add_f32_e32 v9, v9, v23
	s_set_vgpr_msb 1                        ;  msbs: dst=0 src0=1 src1=0 src2=0
	v_dual_mul_f32 v71, v40 /*v296*/, v177 :: v_dual_mul_f32 v73, v42 /*v298*/, v179
	s_wait_dscnt 0x3
	v_dual_mul_f32 v23, v49 /*v305*/, v185 :: v_dual_fma_f32 v13, v38 /*v294*/, v174, -v13
	s_set_vgpr_msb 0                        ;  msbs: dst=0 src0=0 src1=0 src2=0
	v_add_f32_e32 v5, v5, v67
	v_add_f32_e32 v9, v9, v11
	s_set_vgpr_msb 1                        ;  msbs: dst=0 src0=1 src1=0 src2=0
	v_dual_mul_f32 v11, v51 /*v307*/, v187 :: v_dual_fmac_f32 v71, v41 /*v297*/, v176
	v_dual_fmac_f32 v73, v43 /*v299*/, v178 :: v_dual_fma_f32 v15, v40 /*v296*/, v176, -v15
	s_set_vgpr_msb 0                        ;  msbs: dst=0 src0=0 src1=0 src2=0
	v_add_f32_e32 v5, v5, v69
	v_add_f32_e32 v9, v9, v13
	s_set_vgpr_msb 1                        ;  msbs: dst=0 src0=1 src1=0 src2=0
	v_dual_mul_f32 v75, v44 /*v300*/, v181 :: v_dual_mul_f32 v77, v46 /*v302*/, v183
	s_wait_dscnt 0x2
	v_dual_mul_f32 v13, v53 /*v309*/, v189 :: v_dual_fma_f32 v17, v42 /*v298*/, v178, -v17
	s_set_vgpr_msb 0                        ;  msbs: dst=0 src0=0 src1=0 src2=0
	v_add_f32_e32 v5, v5, v71
	v_add_f32_e32 v9, v9, v15
	s_set_vgpr_msb 1                        ;  msbs: dst=0 src0=1 src1=0 src2=0
	v_dual_mul_f32 v15, v55 /*v311*/, v191 :: v_dual_fmac_f32 v75, v45 /*v301*/, v180
	v_dual_fmac_f32 v77, v47 /*v303*/, v182 :: v_dual_fma_f32 v19, v44 /*v300*/, v180, -v19
	s_set_vgpr_msb 0                        ;  msbs: dst=0 src0=0 src1=0 src2=0
	v_add_f32_e32 v5, v5, v73
	v_add_f32_e32 v9, v9, v17
	s_set_vgpr_msb 1                        ;  msbs: dst=0 src0=1 src1=0 src2=0
	v_dual_mul_f32 v79, v48 /*v304*/, v185 :: v_dual_mul_f32 v81, v50 /*v306*/, v187
	s_wait_dscnt 0x1
	v_dual_mul_f32 v17, v57 /*v313*/, v193 :: v_dual_fma_f32 v21, v46 /*v302*/, v182, -v21
	s_set_vgpr_msb 0                        ;  msbs: dst=0 src0=0 src1=0 src2=0
	v_add_f32_e32 v5, v5, v75
	v_add_f32_e32 v9, v9, v19
	s_set_vgpr_msb 1                        ;  msbs: dst=0 src0=1 src1=0 src2=0
	v_dual_mul_f32 v19, v59 /*v315*/, v195 :: v_dual_fmac_f32 v79, v49 /*v305*/, v184
	v_dual_fmac_f32 v81, v51 /*v307*/, v186 :: v_dual_fma_f32 v23, v48 /*v304*/, v184, -v23
	s_set_vgpr_msb 0                        ;  msbs: dst=0 src0=0 src1=0 src2=0
	v_add_f32_e32 v5, v5, v77
	v_add_f32_e32 v9, v9, v21
	s_set_vgpr_msb 1                        ;  msbs: dst=0 src0=1 src1=0 src2=0
	v_dual_mul_f32 v83, v52 /*v308*/, v189 :: v_dual_mul_f32 v85, v54 /*v310*/, v191
	s_wait_dscnt 0x0
	v_dual_mul_f32 v21, v61 /*v317*/, v197 :: v_dual_fma_f32 v11, v50 /*v306*/, v186, -v11
	s_set_vgpr_msb 0                        ;  msbs: dst=0 src0=0 src1=0 src2=0
	v_add_f32_e32 v5, v5, v79
	v_add_f32_e32 v9, v9, v23
	s_set_vgpr_msb 1                        ;  msbs: dst=0 src0=1 src1=0 src2=0
	v_dual_mul_f32 v23, v63 /*v319*/, v199 :: v_dual_fmac_f32 v83, v53 /*v309*/, v188
	v_fma_f32 v13, v52 /*v308*/, v188, -v13
	s_set_vgpr_msb 0                        ;  msbs: dst=0 src0=0 src1=0 src2=0
	v_add_f32_e32 v5, v5, v81
	v_add_f32_e32 v9, v9, v11
	s_set_vgpr_msb 1                        ;  msbs: dst=0 src0=1 src1=0 src2=0
	v_dual_mul_f32 v87, v56 /*v312*/, v193 :: v_dual_mul_f32 v89, v58 /*v314*/, v195
	v_dual_fmac_f32 v85, v55 /*v311*/, v190 :: v_dual_fma_f32 v11, v54 /*v310*/, v190, -v15
	s_set_vgpr_msb 0                        ;  msbs: dst=0 src0=0 src1=0 src2=0
	v_add_f32_e32 v5, v5, v83
	v_add_f32_e32 v9, v9, v13
	s_set_vgpr_msb 1                        ;  msbs: dst=0 src0=1 src1=0 src2=0
	v_dual_fmac_f32 v87, v57 /*v313*/, v192 :: v_dual_fma_f32 v13, v56 /*v312*/, v192, -v17
	s_set_vgpr_msb 0x41                     ;  msbs: dst=1 src0=1 src1=0 src2=0
	v_dual_mul_f32 v75 /*v331*/, v60 /*v316*/, v197 :: v_dual_mul_f32 v77 /*v333*/, v62 /*v318*/, v199
	s_set_vgpr_msb 0                        ;  msbs: dst=0 src0=0 src1=0 src2=0
	v_add_f32_e32 v5, v5, v85
	v_add_f32_e32 v9, v9, v11
	s_set_vgpr_msb 1                        ;  msbs: dst=0 src0=1 src1=0 src2=0
	v_dual_fmac_f32 v89, v59 /*v315*/, v194 :: v_dual_fma_f32 v11, v58 /*v314*/, v194, -v19
	s_set_vgpr_msb 0x41                     ;  msbs: dst=1 src0=1 src1=0 src2=0
	v_dual_fmac_f32 v75 /*v331*/, v61 /*v317*/, v196 :: v_dual_fmac_f32 v77 /*v333*/, v63 /*v319*/, v198
	s_set_vgpr_msb 0                        ;  msbs: dst=0 src0=0 src1=0 src2=0
	v_add_f32_e32 v5, v5, v87
	v_add_f32_e32 v9, v9, v13
	s_set_vgpr_msb 0x41                     ;  msbs: dst=1 src0=1 src1=0 src2=0
	v_dual_fma_f32 v74 /*v330*/, v60 /*v316*/, v196, -v21 :: v_dual_fma_f32 v76 /*v332*/, v62 /*v318*/, v198, -v23
	s_wait_loadcnt 0x2
	s_set_vgpr_msb 1                        ;  msbs: dst=0 src0=1 src1=0 src2=0
	v_pk_mul_f32 v[124:125], v[0:1] /*v[256:257]*/, v[208:209] op_sel:[1,1] op_sel_hi:[0,1]
	s_set_vgpr_msb 0                        ;  msbs: dst=0 src0=0 src1=0 src2=0
	v_add_f32_e32 v121, v5, v89
	v_add_f32_e32 v120, v9, v11
	s_set_vgpr_msb 1                        ;  msbs: dst=0 src0=1 src1=0 src2=0
	v_pk_fma_f32 v[122:123], v[0:1] /*v[256:257]*/, v[208:209], v[124:125] neg_lo:[0,0,1] neg_hi:[0,0,1]
	s_set_vgpr_msb 4                        ;  msbs: dst=0 src0=0 src1=1 src2=0
	s_delay_alu instid0(VALU_DEP_2) | instskip(NEXT) | instid1(VALU_DEP_1)
	v_pk_add_f32 v[120:121], v[120:121], v[74:75] /*v[330:331]*/
	v_pk_add_f32 v[120:121], v[120:121], v[76:77] /*v[332:333]*/
	s_set_vgpr_msb 0                        ;  msbs: dst=0 src0=0 src1=0 src2=0
	s_delay_alu instid0(VALU_DEP_1) | instskip(SKIP_1) | instid1(VALU_DEP_2)
	v_pk_add_f32 v[112:113], v[120:121], v[112:113]
	v_mov_b32_e32 v120, v211
	v_pk_add_f32 v[112:113], v[112:113], v[114:115]
	s_set_vgpr_msb 1                        ;  msbs: dst=0 src0=1 src1=0 src2=0
	v_pk_fma_f32 v[114:115], v[0:1] /*v[256:257]*/, v[208:209], v[124:125] op_sel_hi:[1,0,1]
	s_delay_alu instid0(VALU_DEP_3) | instskip(SKIP_2) | instid1(VALU_DEP_3)
	v_pk_mul_f32 v[120:121], v[70:71] /*v[326:327]*/, v[120:121] op_sel_hi:[1,0]
	s_set_vgpr_msb 0                        ;  msbs: dst=0 src0=0 src1=0 src2=0
	v_pk_add_f32 v[112:113], v[112:113], v[116:117]
	v_mov_b32_e32 v123, v115
	s_set_vgpr_msb 1                        ;  msbs: dst=0 src0=1 src1=0 src2=0
	v_pk_fma_f32 v[114:115], v[2:3] /*v[258:259]*/, v[210:211], v[120:121] op_sel_hi:[1,0,1]
	s_wait_loadcnt 0x1
	v_pk_mul_f32 v[116:117], v[12:13] /*v[268:269]*/, v[220:221] op_sel:[1,1] op_sel_hi:[0,1]
	s_set_vgpr_msb 0                        ;  msbs: dst=0 src0=0 src1=0 src2=0
	v_mov_b32_e32 v114, v223
	v_pk_add_f32 v[112:113], v[112:113], v[118:119]
	s_set_vgpr_msb 1                        ;  msbs: dst=0 src0=1 src1=0 src2=0
	v_pk_fma_f32 v[120:121], v[2:3] /*v[258:259]*/, v[210:211], v[120:121] neg_lo:[0,0,1] neg_hi:[0,0,1]
	s_set_vgpr_msb 0                        ;  msbs: dst=0 src0=0 src1=0 src2=0
	v_mov_b32_e32 v121, v115
	s_set_vgpr_msb 1                        ;  msbs: dst=0 src0=1 src1=0 src2=0
	v_pk_fma_f32 v[118:119], v[12:13] /*v[268:269]*/, v[220:221], v[116:117] op_sel_hi:[1,0,1]
	v_pk_mul_f32 v[114:115], v[72:73] /*v[328:329]*/, v[114:115] op_sel_hi:[1,0]
	s_set_vgpr_msb 0                        ;  msbs: dst=0 src0=0 src1=0 src2=0
	v_pk_add_f32 v[112:113], v[112:113], v[122:123]
	s_set_vgpr_msb 1                        ;  msbs: dst=0 src0=1 src1=0 src2=0
	v_pk_fma_f32 v[116:117], v[12:13] /*v[268:269]*/, v[220:221], v[116:117] neg_lo:[0,0,1] neg_hi:[0,0,1]
	s_set_vgpr_msb 0                        ;  msbs: dst=0 src0=0 src1=0 src2=0
	v_mov_b32_e32 v117, v119
	s_set_vgpr_msb 1                        ;  msbs: dst=0 src0=1 src1=0 src2=0
	v_pk_fma_f32 v[118:119], v[14:15] /*v[270:271]*/, v[222:223], v[114:115] op_sel_hi:[1,0,1]
	s_set_vgpr_msb 0                        ;  msbs: dst=0 src0=0 src1=0 src2=0
	v_pk_add_f32 v[112:113], v[112:113], v[120:121]
	s_set_vgpr_msb 1                        ;  msbs: dst=0 src0=1 src1=0 src2=0
	v_pk_fma_f32 v[114:115], v[14:15] /*v[270:271]*/, v[222:223], v[114:115] neg_lo:[0,0,1] neg_hi:[0,0,1]
	s_set_vgpr_msb 0                        ;  msbs: dst=0 src0=0 src1=0 src2=0
	v_mov_b32_e32 v115, v119
	v_pk_add_f32 v[112:113], v[112:113], v[116:117]
	s_delay_alu instid0(VALU_DEP_1) | instskip(SKIP_2) | instid1(VALU_DEP_1)
	v_pk_add_f32 v[112:113], v[112:113], v[114:115]
	s_wait_loadcnt 0x0
	s_set_vgpr_msb 1                        ;  msbs: dst=0 src0=1 src1=0 src2=0
	v_pk_add_f32 v[112:113], v[64:65] /*v[320:321]*/, v[112:113] neg_lo:[0,1] neg_hi:[0,1]
	scratch_store_b64 off, v[112:113], off offset:16
	s_wait_xcnt 0x0
	v_cmpx_lt_u32_e32 1, v0
	s_set_vgpr_msb 0                        ;  msbs: dst=0 src0=0 src1=0 src2=0
	s_cbranch_execz .LBB54_341
; %bb.340:
	scratch_load_b64 v[112:113], off, off offset:8
	v_mov_b64_e32 v[114:115], 0
	scratch_store_b64 off, v[114:115], off offset:8
	s_wait_loadcnt 0x0
	ds_store_b64 v1, v[112:113]
.LBB54_341:
	s_wait_xcnt 0x0
	s_or_b32 exec_lo, exec_lo, s0
	s_wait_storecnt_dscnt 0x0
	s_barrier_signal -1
	s_barrier_wait -1
	s_clause 0x16
	scratch_load_b128 v[114:117], off, off offset:16
	scratch_load_b128 v[118:121], off, off offset:32
	;; [unrolled: 1-line block ×23, first 2 shown]
	v_dual_mov_b32 v112, 0 :: v_dual_ashrrev_i32 v53, 31, v52
	s_clause 0x5
	scratch_load_b128 v[206:209], off, off offset:384
	scratch_load_b128 v[210:213], off, off offset:400
	;; [unrolled: 1-line block ×3, first 2 shown]
	s_set_vgpr_msb 64                       ;  msbs: dst=1 src0=0 src1=0 src2=0
	scratch_load_b64 v[66:67] /*v[322:323]*/, off, off offset:432
	scratch_load_b64 v[68:69] /*v[324:325]*/, off, off offset:8
	s_set_vgpr_msb 0                        ;  msbs: dst=0 src0=0 src1=0 src2=0
	ds_load_b128 v[218:221], v112 offset:464
	ds_load_b128 v[222:225], v112 offset:480
	;; [unrolled: 1-line block ×10, first 2 shown]
	s_set_vgpr_msb 64                       ;  msbs: dst=1 src0=0 src1=0 src2=0
	ds_load_b128 v[2:5] /*v[258:261]*/, v112 offset:848
	ds_load_b128 v[6:9] /*v[262:265]*/, v112 offset:592
	ds_load_b128 v[10:13] /*v[266:269]*/, v112 offset:608
	ds_load_b128 v[14:17] /*v[270:273]*/, v112 offset:624
	ds_load_b128 v[18:21] /*v[274:277]*/, v112 offset:640
	ds_load_b128 v[22:25] /*v[278:281]*/, v112 offset:656
	ds_load_b128 v[26:29] /*v[282:285]*/, v112 offset:672
	ds_load_b128 v[30:33] /*v[286:289]*/, v112 offset:688
	ds_load_b128 v[34:37] /*v[290:293]*/, v112 offset:704
	ds_load_b128 v[38:41] /*v[294:297]*/, v112 offset:720
	ds_load_b128 v[42:45] /*v[298:301]*/, v112 offset:736
	ds_load_b128 v[46:49] /*v[302:305]*/, v112 offset:864
	ds_load_b128 v[50:53] /*v[306:309]*/, v112 offset:752
	ds_load_b128 v[54:57] /*v[310:313]*/, v112 offset:768
	ds_load_b128 v[58:61] /*v[314:317]*/, v112 offset:784
	ds_load_b128 v[62:65] /*v[318:321]*/, v112 offset:800
	ds_load_b64 v[70:71] /*v[326:327]*/, v112 offset:880
	s_wait_dscnt 0x14
	v_dual_mov_b32 v72 /*v328*/, v245 :: v_dual_mov_b32 v73 /*v329*/, v244
	s_wait_dscnt 0x11
	s_set_vgpr_msb 0x41                     ;  msbs: dst=1 src0=1 src1=0 src2=0
	v_dual_mov_b32 v74 /*v330*/, v1 /*v257*/ :: v_dual_mov_b32 v75 /*v331*/, v0 /*v256*/
	s_wait_dscnt 0x10
	v_dual_mov_b32 v76 /*v332*/, v5 /*v261*/ :: v_dual_mov_b32 v77 /*v333*/, v4 /*v260*/
	s_set_vgpr_msb 0                        ;  msbs: dst=0 src0=0 src1=0 src2=0
	v_dual_ashrrev_i32 v5, 31, v4 :: v_dual_ashrrev_i32 v11, 31, v10
	v_dual_ashrrev_i32 v9, 31, v8 :: v_dual_ashrrev_i32 v15, 31, v14
	;; [unrolled: 1-line block ×20, first 2 shown]
	s_mov_b32 s0, exec_lo
	s_wait_loadcnt 0x1b
	v_dual_mul_f32 v89, v218, v115 :: v_dual_mul_f32 v91, v220, v117
	s_wait_loadcnt 0x19
	v_dual_mul_f32 v101, v226, v123 :: v_dual_mul_f32 v105, v225, v121
	v_dual_mul_f32 v109, v227, v123 :: v_dual_mul_f32 v111, v229, v125
	s_delay_alu instid0(VALU_DEP_3)
	v_dual_fmac_f32 v89, v219, v114 :: v_dual_fmac_f32 v91, v221, v116
	v_dual_mul_f32 v97, v222, v119 :: v_dual_mul_f32 v99, v224, v121
	v_dual_mul_f32 v103, v223, v119 :: v_dual_mul_f32 v107, v228, v125
	v_fmac_f32_e32 v101, v227, v122
	v_dual_fma_f32 v109, v226, v122, -v109 :: v_dual_fma_f32 v111, v228, v124, -v111
	s_wait_loadcnt 0x17
	v_dual_mul_f32 v121, v235, v131 :: v_dual_mul_f32 v122, v237, v133
	v_dual_add_f32 v89, 0, v89 :: v_dual_mul_f32 v93, v219, v115
	v_dual_mul_f32 v95, v221, v117 :: v_dual_fmac_f32 v97, v223, v118
	v_fmac_f32_e32 v99, v225, v120
	s_wait_loadcnt 0x16
	v_dual_fmac_f32 v107, v229, v124 :: v_dual_mul_f32 v123, v238, v135
	v_dual_mul_f32 v124, v240, v137 :: v_dual_fma_f32 v121, v234, v130, -v121
	v_dual_add_f32 v89, v89, v91 :: v_dual_fma_f32 v93, v218, v114, -v93
	v_fma_f32 v95, v220, v116, -v95
	v_dual_fma_f32 v103, v222, v118, -v103 :: v_dual_fma_f32 v105, v224, v120, -v105
	v_dual_mul_f32 v113, v230, v127 :: v_dual_mul_f32 v116, v232, v129
	v_dual_mul_f32 v119, v231, v127 :: v_dual_mul_f32 v120, v233, v129
	;; [unrolled: 1-line block ×3, first 2 shown]
	v_dual_fmac_f32 v123, v239, v134 :: v_dual_add_f32 v89, v89, v97
	s_delay_alu instid0(VALU_DEP_4) | instskip(NEXT) | instid1(VALU_DEP_4)
	v_dual_fmac_f32 v113, v231, v126 :: v_dual_fmac_f32 v116, v233, v128
	v_dual_fma_f32 v119, v230, v126, -v119 :: v_dual_fma_f32 v120, v232, v128, -v120
	s_wait_loadcnt 0x15
	v_dual_mul_f32 v126, v247, v139 :: v_dual_mul_f32 v128, v249, v141
	v_add_f32_e32 v89, v89, v99
	v_dual_mul_f32 v117, v234, v131 :: v_dual_mul_f32 v118, v236, v133
	s_wait_loadcnt 0x14
	v_dual_mul_f32 v133, v250, v143 :: v_dual_mul_f32 v135, v252, v145
	s_delay_alu instid0(VALU_DEP_3) | instskip(SKIP_1) | instid1(VALU_DEP_3)
	v_dual_add_f32 v89, v89, v101 :: v_dual_mul_f32 v129, v246, v139
	v_dual_mul_f32 v131, v248, v141 :: v_dual_mul_f32 v139, v251, v143
	v_dual_mul_f32 v141, v253, v145 :: v_dual_fmac_f32 v133, v251, v142
	s_delay_alu instid0(VALU_DEP_3) | instskip(SKIP_1) | instid1(VALU_DEP_2)
	v_dual_add_f32 v89, v89, v107 :: v_dual_fmac_f32 v117, v235, v130
	v_dual_fmac_f32 v118, v237, v132 :: v_dual_add_f32 v93, 0, v93
	v_dual_fma_f32 v122, v236, v132, -v122 :: v_dual_add_f32 v89, v89, v113
	v_dual_fmac_f32 v124, v241, v136 :: v_dual_fmac_f32 v129, v247, v138
	s_delay_alu instid0(VALU_DEP_3) | instskip(SKIP_1) | instid1(VALU_DEP_4)
	v_add_f32_e32 v93, v93, v95
	v_fmac_f32_e32 v131, v249, v140
	v_add_f32_e32 v89, v89, v116
	s_wait_loadcnt_dscnt 0x130f
	s_set_vgpr_msb 1                        ;  msbs: dst=0 src0=1 src1=0 src2=0
	v_dual_mul_f32 v137, v6 /*v262*/, v147 :: v_dual_mul_f32 v143, v8 /*v264*/, v149
	s_set_vgpr_msb 0                        ;  msbs: dst=0 src0=0 src1=0 src2=0
	v_fmac_f32_e32 v135, v253, v144
	s_set_vgpr_msb 1                        ;  msbs: dst=0 src0=1 src1=0 src2=0
	v_dual_mul_f32 v130, v7 /*v263*/, v147 :: v_dual_mul_f32 v91, v9 /*v265*/, v149
	s_set_vgpr_msb 0                        ;  msbs: dst=0 src0=0 src1=0 src2=0
	v_dual_add_f32 v89, v89, v117 :: v_dual_fma_f32 v117, v238, v134, -v125
	v_add_f32_e32 v93, v93, v103
	s_wait_loadcnt_dscnt 0x120e
	s_set_vgpr_msb 1                        ;  msbs: dst=0 src0=1 src1=0 src2=0
	v_dual_fmac_f32 v137, v7 /*v263*/, v146 :: v_dual_mul_f32 v95, v10 /*v266*/, v151
	v_mul_f32_e32 v132, v12 /*v268*/, v153
	s_set_vgpr_msb 0                        ;  msbs: dst=0 src0=0 src1=0 src2=0
	v_add_f32_e32 v89, v89, v118
	s_set_vgpr_msb 1                        ;  msbs: dst=0 src0=1 src1=0 src2=0
	v_dual_fmac_f32 v143, v9 /*v265*/, v148 :: v_dual_mul_f32 v103, v11 /*v267*/, v151
	s_wait_loadcnt_dscnt 0x110d
	v_dual_mul_f32 v99, v16 /*v272*/, v157 :: v_dual_fmac_f32 v95, v11 /*v267*/, v150
	s_set_vgpr_msb 0                        ;  msbs: dst=0 src0=0 src1=0 src2=0
	v_add_f32_e32 v89, v89, v123
	s_set_vgpr_msb 1                        ;  msbs: dst=0 src0=1 src1=0 src2=0
	v_dual_mul_f32 v97, v14 /*v270*/, v155 :: v_dual_mul_f32 v145, v13 /*v269*/, v153
	s_set_vgpr_msb 0                        ;  msbs: dst=0 src0=0 src1=0 src2=0
	v_add_f32_e32 v93, v93, v105
	s_set_vgpr_msb 1                        ;  msbs: dst=0 src0=1 src1=0 src2=0
	v_dual_fma_f32 v103, v10 /*v266*/, v150, -v103 :: v_dual_fmac_f32 v132, v13 /*v269*/, v152
	s_set_vgpr_msb 0                        ;  msbs: dst=0 src0=0 src1=0 src2=0
	v_add_f32_e32 v89, v89, v124
	s_set_vgpr_msb 1                        ;  msbs: dst=0 src0=1 src1=0 src2=0
	v_dual_mul_f32 v105, v15 /*v271*/, v155 :: v_dual_mul_f32 v147, v17 /*v273*/, v157
	s_set_vgpr_msb 0                        ;  msbs: dst=0 src0=0 src1=0 src2=0
	v_add_f32_e32 v93, v93, v109
	s_wait_loadcnt_dscnt 0x100c
	s_set_vgpr_msb 1                        ;  msbs: dst=0 src0=1 src1=0 src2=0
	v_dual_mul_f32 v149, v19 /*v275*/, v159 :: v_dual_mul_f32 v107, v21 /*v277*/, v161
	s_set_vgpr_msb 0                        ;  msbs: dst=0 src0=0 src1=0 src2=0
	v_add_f32_e32 v89, v89, v129
	s_set_vgpr_msb 1                        ;  msbs: dst=0 src0=1 src1=0 src2=0
	v_dual_fmac_f32 v97, v15 /*v271*/, v154 :: v_dual_mul_f32 v101, v18 /*v274*/, v159
	s_wait_loadcnt_dscnt 0xf0b
	v_dual_mul_f32 v109, v20 /*v276*/, v161 :: v_dual_mul_f32 v113, v23 /*v279*/, v163
	v_mul_f32_e32 v153, v25 /*v281*/, v165
	s_set_vgpr_msb 0                        ;  msbs: dst=0 src0=0 src1=0 src2=0
	v_add_f32_e32 v89, v89, v131
	s_wait_loadcnt_dscnt 0xe0a
	s_set_vgpr_msb 1                        ;  msbs: dst=0 src0=1 src1=0 src2=0
	v_mul_f32_e32 v131, v27 /*v283*/, v167
	v_dual_fmac_f32 v101, v19 /*v275*/, v158 :: v_dual_mul_f32 v155, v26 /*v282*/, v167
	v_mul_f32_e32 v116, v28 /*v284*/, v169
	s_set_vgpr_msb 0                        ;  msbs: dst=0 src0=0 src1=0 src2=0
	v_add_f32_e32 v89, v89, v133
	s_set_vgpr_msb 1                        ;  msbs: dst=0 src0=1 src1=0 src2=0
	v_dual_mul_f32 v151, v24 /*v280*/, v165 :: v_dual_fmac_f32 v109, v21 /*v277*/, v160
	s_wait_loadcnt_dscnt 0xc08
	v_mul_f32_e32 v159, v34 /*v290*/, v175
	s_wait_loadcnt_dscnt 0xb07
	v_mul_f32_e32 v125, v38 /*v294*/, v179
	s_set_vgpr_msb 0                        ;  msbs: dst=0 src0=0 src1=0 src2=0
	v_add_f32_e32 v89, v89, v135
	s_set_vgpr_msb 1                        ;  msbs: dst=0 src0=1 src1=0 src2=0
	v_fmac_f32_e32 v151, v25 /*v281*/, v164
	s_wait_loadcnt_dscnt 0xa06
	v_dual_fmac_f32 v155, v27 /*v283*/, v166 :: v_dual_mul_f32 v118, v42 /*v298*/, v183
	s_wait_loadcnt_dscnt 0x803
	v_mul_f32_e32 v124, v54 /*v310*/, v191
	s_set_vgpr_msb 0                        ;  msbs: dst=0 src0=0 src1=0 src2=0
	v_add_f32_e32 v89, v89, v137
	s_set_vgpr_msb 1                        ;  msbs: dst=0 src0=1 src1=0 src2=0
	v_dual_mul_f32 v157, v32 /*v288*/, v173 :: v_dual_mul_f32 v134, v50 /*v306*/, v187
	v_dual_mul_f32 v123, v52 /*v308*/, v189 :: v_dual_mov_b32 v114, v49 /*v305*/
	v_mov_b32_e32 v115, v48 /*v304*/
	s_set_vgpr_msb 0                        ;  msbs: dst=0 src0=0 src1=0 src2=0
	v_add_f32_e32 v89, v89, v143
	s_wait_loadcnt_dscnt 0x702
	s_set_vgpr_msb 1                        ;  msbs: dst=0 src0=1 src1=0 src2=0
	v_dual_fmac_f32 v134, v51 /*v307*/, v186 :: v_dual_mul_f32 v129, v60 /*v316*/, v197
	v_fma_f32 v91, v8 /*v264*/, v148, -v91
	v_fmac_f32_e32 v99, v17 /*v273*/, v156
	s_set_vgpr_msb 0                        ;  msbs: dst=0 src0=0 src1=0 src2=0
	v_add_f32_e32 v89, v89, v95
	s_set_vgpr_msb 1                        ;  msbs: dst=0 src0=1 src1=0 src2=0
	v_fma_f32 v95, v14 /*v270*/, v154, -v105
	v_fma_f32 v105, v24 /*v280*/, v164, -v153
	s_set_vgpr_msb 0                        ;  msbs: dst=0 src0=0 src1=0 src2=0
	v_add_f32_e32 v89, v89, v132
	s_delay_alu instid0(VALU_DEP_1)
	v_add_f32_e32 v89, v89, v97
	s_set_vgpr_msb 1                        ;  msbs: dst=0 src0=1 src1=0 src2=0
	v_fma_f32 v97, v18 /*v274*/, v158, -v149
	s_set_vgpr_msb 0                        ;  msbs: dst=0 src0=0 src1=0 src2=0
	v_add_f32_e32 v93, v93, v111
	s_set_vgpr_msb 1                        ;  msbs: dst=0 src0=1 src1=0 src2=0
	v_mul_f32_e32 v111, v22 /*v278*/, v163
	s_set_vgpr_msb 0                        ;  msbs: dst=0 src0=0 src1=0 src2=0
	v_add_f32_e32 v89, v89, v99
	s_set_vgpr_msb 1                        ;  msbs: dst=0 src0=1 src1=0 src2=0
	v_mul_f32_e32 v99, v33 /*v289*/, v173
	s_set_vgpr_msb 0                        ;  msbs: dst=0 src0=0 src1=0 src2=0
	v_dual_add_f32 v93, v93, v119 :: v_dual_fma_f32 v119, v240, v136, -v127
	s_set_vgpr_msb 1                        ;  msbs: dst=0 src0=1 src1=0 src2=0
	v_dual_fmac_f32 v111, v23 /*v279*/, v162 :: v_dual_fmac_f32 v157, v33 /*v289*/, v172
	v_fma_f32 v99, v32 /*v288*/, v172, -v99
	s_set_vgpr_msb 0                        ;  msbs: dst=0 src0=0 src1=0 src2=0
	v_add_f32_e32 v93, v93, v120
	s_set_vgpr_msb 1                        ;  msbs: dst=0 src0=1 src1=0 src2=0
	v_dual_mul_f32 v120, v30 /*v286*/, v171 :: v_dual_mul_f32 v127, v40 /*v296*/, v181
	v_fmac_f32_e32 v125, v39 /*v295*/, v178
	s_set_vgpr_msb 0                        ;  msbs: dst=0 src0=0 src1=0 src2=0
	v_add_f32_e32 v93, v93, v121
	s_set_vgpr_msb 1                        ;  msbs: dst=0 src0=1 src1=0 src2=0
	v_dual_mul_f32 v121, v36 /*v292*/, v177 :: v_dual_fmac_f32 v120, v31 /*v287*/, v170
	v_fmac_f32_e32 v159, v35 /*v291*/, v174
	s_set_vgpr_msb 0                        ;  msbs: dst=0 src0=0 src1=0 src2=0
	v_add_f32_e32 v93, v93, v122
	s_set_vgpr_msb 1                        ;  msbs: dst=0 src0=1 src1=0 src2=0
	v_dual_mul_f32 v122, v44 /*v300*/, v185 :: v_dual_fmac_f32 v118, v43 /*v299*/, v182
	s_set_vgpr_msb 0                        ;  msbs: dst=0 src0=0 src1=0 src2=0
	s_delay_alu instid0(VALU_DEP_2)
	v_dual_add_f32 v93, v93, v117 :: v_dual_fma_f32 v117, v246, v138, -v126
	s_set_vgpr_msb 1                        ;  msbs: dst=0 src0=1 src1=0 src2=0
	v_dual_mul_f32 v126, v56 /*v312*/, v193 :: v_dual_fmac_f32 v123, v53 /*v309*/, v188
	v_fmac_f32_e32 v124, v55 /*v311*/, v190
	s_set_vgpr_msb 0                        ;  msbs: dst=0 src0=0 src1=0 src2=0
	v_dual_add_f32 v93, v93, v119 :: v_dual_fma_f32 v119, v248, v140, -v128
	s_set_vgpr_msb 1                        ;  msbs: dst=0 src0=1 src1=0 src2=0
	v_mul_f32_e32 v128, v58 /*v314*/, v195
	s_set_vgpr_msb 0                        ;  msbs: dst=0 src0=0 src1=0 src2=0
	s_delay_alu instid0(VALU_DEP_2) | instskip(NEXT) | instid1(VALU_DEP_1)
	v_dual_add_f32 v93, v93, v117 :: v_dual_fma_f32 v117, v250, v142, -v139
	v_dual_add_f32 v93, v93, v119 :: v_dual_fma_f32 v119, v252, v144, -v141
	s_delay_alu instid0(VALU_DEP_1)
	v_add_f32_e32 v93, v93, v117
	s_set_vgpr_msb 1                        ;  msbs: dst=0 src0=1 src1=0 src2=0
	v_fma_f32 v117, v6 /*v262*/, v146, -v130
	s_wait_loadcnt_dscnt 0x601
	v_dual_mul_f32 v130, v62 /*v318*/, v199 :: v_dual_fmac_f32 v129, v61 /*v317*/, v196
	s_set_vgpr_msb 0                        ;  msbs: dst=0 src0=0 src1=0 src2=0
	v_add_f32_e32 v93, v93, v119
	s_set_vgpr_msb 1                        ;  msbs: dst=0 src0=1 src1=0 src2=0
	s_delay_alu instid0(VALU_DEP_2) | instskip(SKIP_1) | instid1(VALU_DEP_2)
	v_dual_fma_f32 v119, v12 /*v268*/, v152, -v145 :: v_dual_fmac_f32 v130, v63 /*v319*/, v198
	s_set_vgpr_msb 0                        ;  msbs: dst=0 src0=0 src1=0 src2=0
	v_add_f32_e32 v93, v93, v117
	s_set_vgpr_msb 1                        ;  msbs: dst=0 src0=1 src1=0 src2=0
	v_mul_f32_e32 v117, v64 /*v320*/, v201
	s_set_vgpr_msb 0                        ;  msbs: dst=0 src0=0 src1=0 src2=0
	s_delay_alu instid0(VALU_DEP_2)
	v_add_f32_e32 v91, v93, v91
	s_set_vgpr_msb 1                        ;  msbs: dst=0 src0=1 src1=0 src2=0
	v_dual_mul_f32 v93, v29 /*v285*/, v169 :: v_dual_fmac_f32 v116, v29 /*v285*/, v168
	v_fmac_f32_e32 v117, v65 /*v321*/, v200
	s_set_vgpr_msb 0                        ;  msbs: dst=0 src0=0 src1=0 src2=0
	v_add_f32_e32 v91, v91, v103
	s_set_vgpr_msb 1                        ;  msbs: dst=0 src0=1 src1=0 src2=0
	v_fma_f32 v103, v16 /*v272*/, v156, -v147
	v_fma_f32 v93, v28 /*v284*/, v168, -v93
	s_set_vgpr_msb 0                        ;  msbs: dst=0 src0=0 src1=0 src2=0
	v_add_f32_e32 v91, v91, v119
	s_wait_loadcnt 0x5
	v_mul_f32_e32 v119, v242, v203
	s_delay_alu instid0(VALU_DEP_2) | instskip(SKIP_3) | instid1(VALU_DEP_2)
	v_add_f32_e32 v91, v91, v95
	s_set_vgpr_msb 1                        ;  msbs: dst=0 src0=1 src1=0 src2=0
	v_mul_f32_e32 v95, v31 /*v287*/, v171
	s_set_vgpr_msb 0                        ;  msbs: dst=0 src0=0 src1=0 src2=0
	v_add_f32_e32 v91, v91, v103
	s_set_vgpr_msb 1                        ;  msbs: dst=0 src0=1 src1=0 src2=0
	v_fma_f32 v103, v20 /*v276*/, v160, -v107
	s_set_vgpr_msb 0                        ;  msbs: dst=0 src0=0 src1=0 src2=0
	v_add_f32_e32 v89, v89, v101
	s_set_vgpr_msb 1                        ;  msbs: dst=0 src0=1 src1=0 src2=0
	v_fma_f32 v101, v22 /*v278*/, v162, -v113
	v_fma_f32 v107, v26 /*v282*/, v166, -v131
	s_set_vgpr_msb 0                        ;  msbs: dst=0 src0=0 src1=0 src2=0
	v_add_f32_e32 v91, v91, v97
	s_set_vgpr_msb 1                        ;  msbs: dst=0 src0=1 src1=0 src2=0
	v_dual_fma_f32 v95, v30 /*v286*/, v170, -v95 :: v_dual_mul_f32 v97, v35 /*v291*/, v175
	s_set_vgpr_msb 0                        ;  msbs: dst=0 src0=0 src1=0 src2=0
	v_dual_add_f32 v89, v89, v109 :: v_dual_ashrrev_i32 v109, 31, v108
	v_add_f32_e32 v91, v91, v103
	s_set_vgpr_msb 1                        ;  msbs: dst=0 src0=1 src1=0 src2=0
	v_dual_mul_f32 v103, v37 /*v293*/, v177 :: v_dual_fma_f32 v97, v34 /*v290*/, v174, -v97
	v_fmac_f32_e32 v121, v37 /*v293*/, v176
	s_set_vgpr_msb 0                        ;  msbs: dst=0 src0=0 src1=0 src2=0
	v_dual_add_f32 v89, v89, v111 :: v_dual_add_f32 v91, v91, v101
	s_set_vgpr_msb 1                        ;  msbs: dst=0 src0=1 src1=0 src2=0
	v_dual_mul_f32 v101, v39 /*v295*/, v179 :: v_dual_fma_f32 v103, v36 /*v292*/, v176, -v103
	s_set_vgpr_msb 0                        ;  msbs: dst=0 src0=0 src1=0 src2=0
	s_delay_alu instid0(VALU_DEP_2)
	v_dual_ashrrev_i32 v111, 31, v110 :: v_dual_add_f32 v89, v89, v151
	v_add_f32_e32 v91, v91, v105
	s_set_vgpr_msb 1                        ;  msbs: dst=0 src0=1 src1=0 src2=0
	v_dual_mul_f32 v105, v41 /*v297*/, v181 :: v_dual_fma_f32 v101, v38 /*v294*/, v178, -v101
	v_fmac_f32_e32 v127, v41 /*v297*/, v180
	s_set_vgpr_msb 0                        ;  msbs: dst=0 src0=0 src1=0 src2=0
	v_add_f32_e32 v89, v89, v155
	v_add_f32_e32 v91, v91, v107
	s_set_vgpr_msb 1                        ;  msbs: dst=0 src0=1 src1=0 src2=0
	v_dual_mul_f32 v107, v43 /*v299*/, v183 :: v_dual_fma_f32 v105, v40 /*v296*/, v180, -v105
	s_set_vgpr_msb 0                        ;  msbs: dst=0 src0=0 src1=0 src2=0
	s_delay_alu instid0(VALU_DEP_2) | instskip(SKIP_1) | instid1(VALU_DEP_2)
	v_dual_add_f32 v89, v89, v116 :: v_dual_add_f32 v91, v91, v93
	s_set_vgpr_msb 1                        ;  msbs: dst=0 src0=1 src1=0 src2=0
	v_dual_mul_f32 v93, v45 /*v301*/, v185 :: v_dual_fma_f32 v107, v42 /*v298*/, v182, -v107
	v_fmac_f32_e32 v122, v45 /*v301*/, v184
	s_set_vgpr_msb 0                        ;  msbs: dst=0 src0=0 src1=0 src2=0
	v_add_f32_e32 v91, v91, v95
	s_set_vgpr_msb 1                        ;  msbs: dst=0 src0=1 src1=0 src2=0
	v_dual_mul_f32 v95, v51 /*v307*/, v187 :: v_dual_fma_f32 v93, v44 /*v300*/, v184, -v93
	s_set_vgpr_msb 0                        ;  msbs: dst=0 src0=0 src1=0 src2=0
	s_delay_alu instid0(VALU_DEP_2) | instskip(SKIP_1) | instid1(VALU_DEP_2)
	v_add_f32_e32 v91, v91, v99
	s_set_vgpr_msb 1                        ;  msbs: dst=0 src0=1 src1=0 src2=0
	v_dual_mul_f32 v99, v53 /*v309*/, v189 :: v_dual_fma_f32 v95, v50 /*v306*/, v186, -v95
	s_set_vgpr_msb 0                        ;  msbs: dst=0 src0=0 src1=0 src2=0
	s_delay_alu instid0(VALU_DEP_2) | instskip(SKIP_1) | instid1(VALU_DEP_2)
	;; [unrolled: 5-line block ×3, first 2 shown]
	v_add_f32_e32 v91, v91, v103
	s_set_vgpr_msb 1                        ;  msbs: dst=0 src0=1 src1=0 src2=0
	v_dual_mul_f32 v103, v57 /*v313*/, v193 :: v_dual_fma_f32 v97, v54 /*v310*/, v190, -v97
	v_fmac_f32_e32 v126, v57 /*v313*/, v192
	s_set_vgpr_msb 0                        ;  msbs: dst=0 src0=0 src1=0 src2=0
	v_add_f32_e32 v91, v91, v101
	s_set_vgpr_msb 1                        ;  msbs: dst=0 src0=1 src1=0 src2=0
	v_dual_mul_f32 v101, v59 /*v315*/, v195 :: v_dual_fmac_f32 v128, v59 /*v315*/, v194
	s_set_vgpr_msb 0                        ;  msbs: dst=0 src0=0 src1=0 src2=0
	s_delay_alu instid0(VALU_DEP_2) | instskip(SKIP_3) | instid1(VALU_DEP_2)
	v_add_f32_e32 v91, v91, v105
	s_set_vgpr_msb 1                        ;  msbs: dst=0 src0=1 src1=0 src2=0
	v_mul_f32_e32 v105, v61 /*v317*/, v197
	s_set_vgpr_msb 0                        ;  msbs: dst=0 src0=0 src1=0 src2=0
	v_add_f32_e32 v91, v91, v107
	s_set_vgpr_msb 1                        ;  msbs: dst=0 src0=1 src1=0 src2=0
	v_mul_f32_e32 v107, v63 /*v319*/, v199
	s_set_vgpr_msb 0                        ;  msbs: dst=0 src0=0 src1=0 src2=0
	s_delay_alu instid0(VALU_DEP_2) | instskip(SKIP_3) | instid1(VALU_DEP_2)
	v_add_f32_e32 v91, v91, v93
	s_set_vgpr_msb 1                        ;  msbs: dst=0 src0=1 src1=0 src2=0
	v_mul_f32_e32 v93, v65 /*v321*/, v201
	s_set_vgpr_msb 0                        ;  msbs: dst=0 src0=0 src1=0 src2=0
	v_add_f32_e32 v91, v91, v95
	v_mul_f32_e32 v95, v243, v203
	s_set_vgpr_msb 1                        ;  msbs: dst=0 src0=1 src1=0 src2=0
	v_fma_f32 v116, v64 /*v320*/, v200, -v93
	s_set_vgpr_msb 0                        ;  msbs: dst=0 src0=0 src1=0 src2=0
	v_dual_ashrrev_i32 v93, 31, v92 :: v_dual_add_f32 v91, v91, v99
	s_set_vgpr_msb 1                        ;  msbs: dst=0 src0=1 src1=0 src2=0
	v_dual_fma_f32 v99, v56 /*v312*/, v192, -v103 :: v_dual_ashrrev_i32 v103, 31, v102
	s_set_vgpr_msb 0                        ;  msbs: dst=0 src0=0 src1=0 src2=0
	s_delay_alu instid0(VALU_DEP_2) | instskip(SKIP_3) | instid1(VALU_DEP_2)
	v_add_f32_e32 v91, v91, v97
	s_set_vgpr_msb 1                        ;  msbs: dst=0 src0=1 src1=0 src2=0
	v_dual_fma_f32 v97, v58 /*v314*/, v194, -v101 :: v_dual_ashrrev_i32 v101, 31, v100
	s_set_vgpr_msb 0                        ;  msbs: dst=0 src0=0 src1=0 src2=0
	v_add_f32_e32 v91, v91, v99
	s_set_vgpr_msb 1                        ;  msbs: dst=0 src0=1 src1=0 src2=0
	v_fma_f32 v99, v60 /*v316*/, v196, -v105
	s_set_vgpr_msb 0                        ;  msbs: dst=0 src0=0 src1=0 src2=0
	s_delay_alu instid0(VALU_DEP_2) | instskip(SKIP_3) | instid1(VALU_DEP_2)
	v_dual_ashrrev_i32 v105, 31, v104 :: v_dual_add_f32 v91, v91, v97
	s_set_vgpr_msb 1                        ;  msbs: dst=0 src0=1 src1=0 src2=0
	v_fma_f32 v97, v62 /*v318*/, v198, -v107
	s_set_vgpr_msb 0                        ;  msbs: dst=0 src0=0 src1=0 src2=0
	v_dual_ashrrev_i32 v107, 31, v106 :: v_dual_add_f32 v91, v91, v99
	v_dual_ashrrev_i32 v99, 31, v98 :: v_dual_add_f32 v89, v89, v120
	s_delay_alu instid0(VALU_DEP_1) | instskip(NEXT) | instid1(VALU_DEP_1)
	v_add_f32_e32 v89, v89, v157
	v_add_f32_e32 v89, v89, v159
	s_delay_alu instid0(VALU_DEP_1) | instskip(SKIP_2) | instid1(VALU_DEP_2)
	v_add_f32_e32 v89, v89, v121
	s_wait_loadcnt 0x4
	v_pk_mul_f32 v[120:121], v[254:255], v[206:207] op_sel:[1,1] op_sel_hi:[0,1]
	v_add_f32_e32 v89, v89, v125
	s_delay_alu instid0(VALU_DEP_1) | instskip(NEXT) | instid1(VALU_DEP_1)
	v_add_f32_e32 v89, v89, v127
	v_add_f32_e32 v89, v89, v118
	v_mov_b32_e32 v118, v205
	s_delay_alu instid0(VALU_DEP_2) | instskip(SKIP_1) | instid1(VALU_DEP_2)
	v_add_f32_e32 v89, v89, v122
	v_mov_b32_e32 v122, v209
	v_add_f32_e32 v89, v89, v134
	s_delay_alu instid0(VALU_DEP_1) | instskip(SKIP_1) | instid1(VALU_DEP_3)
	v_add_f32_e32 v89, v89, v123
	s_set_vgpr_msb 1                        ;  msbs: dst=0 src0=1 src1=0 src2=0
	v_pk_mul_f32 v[122:123], v[74:75] /*v[330:331]*/, v[122:123] op_sel_hi:[1,0]
	s_set_vgpr_msb 0                        ;  msbs: dst=0 src0=0 src1=0 src2=0
	s_delay_alu instid0(VALU_DEP_2)
	v_add_f32_e32 v89, v89, v124
	s_wait_loadcnt 0x3
	s_set_vgpr_msb 1                        ;  msbs: dst=0 src0=1 src1=0 src2=0
	v_pk_mul_f32 v[124:125], v[2:3] /*v[258:259]*/, v[210:211] op_sel:[1,1] op_sel_hi:[0,1]
	s_set_vgpr_msb 0                        ;  msbs: dst=0 src0=0 src1=0 src2=0
	v_add_f32_e32 v89, v89, v126
	s_set_vgpr_msb 1                        ;  msbs: dst=0 src0=1 src1=0 src2=0
	v_pk_mul_f32 v[126:127], v[72:73] /*v[328:329]*/, v[118:119] op_sel_hi:[1,0]
	s_set_vgpr_msb 0                        ;  msbs: dst=0 src0=0 src1=0 src2=0
	v_fmac_f32_e32 v119, v243, v202
	v_fma_f32 v118, v242, v202, -v95
	v_dual_ashrrev_i32 v95, 31, v94 :: v_dual_add_f32 v89, v89, v128
	v_add_f32_e32 v128, v91, v97
	v_pk_fma_f32 v[132:133], v[244:245], v[204:205], v[126:127] op_sel_hi:[1,0,1]
	v_pk_fma_f32 v[126:127], v[244:245], v[204:205], v[126:127] neg_lo:[0,0,1] neg_hi:[0,0,1]
	s_delay_alu instid0(VALU_DEP_4) | instskip(NEXT) | instid1(VALU_DEP_3)
	v_dual_ashrrev_i32 v91, 31, v90 :: v_dual_add_f32 v89, v89, v129
	v_dual_ashrrev_i32 v97, 31, v96 :: v_dual_mov_b32 v127, v133
	s_delay_alu instid0(VALU_DEP_2) | instskip(SKIP_1) | instid1(VALU_DEP_2)
	v_dual_add_f32 v129, v89, v130 :: v_dual_ashrrev_i32 v89, 31, v88
	v_mov_b32_e32 v130, v213
	v_pk_add_f32 v[116:117], v[128:129], v[116:117]
	v_pk_fma_f32 v[128:129], v[254:255], v[206:207], v[120:121] op_sel_hi:[1,0,1]
	v_pk_fma_f32 v[120:121], v[254:255], v[206:207], v[120:121] neg_lo:[0,0,1] neg_hi:[0,0,1]
	s_set_vgpr_msb 1                        ;  msbs: dst=0 src0=1 src1=0 src2=0
	v_pk_mul_f32 v[130:131], v[76:77] /*v[332:333]*/, v[130:131] op_sel_hi:[1,0]
	s_set_vgpr_msb 0                        ;  msbs: dst=0 src0=0 src1=0 src2=0
	v_pk_add_f32 v[116:117], v[116:117], v[118:119]
	v_mov_b32_e32 v121, v129
	s_set_vgpr_msb 1                        ;  msbs: dst=0 src0=1 src1=0 src2=0
	v_pk_fma_f32 v[128:129], v[0:1] /*v[256:257]*/, v[208:209], v[122:123] op_sel_hi:[1,0,1]
	v_pk_fma_f32 v[122:123], v[0:1] /*v[256:257]*/, v[208:209], v[122:123] neg_lo:[0,0,1] neg_hi:[0,0,1]
	s_wait_loadcnt 0x2
	v_pk_mul_f32 v[118:119], v[46:47] /*v[302:303]*/, v[214:215] op_sel:[1,1] op_sel_hi:[0,1]
	s_set_vgpr_msb 0                        ;  msbs: dst=0 src0=0 src1=0 src2=0
	v_pk_add_f32 v[116:117], v[116:117], v[126:127]
	s_set_vgpr_msb 1                        ;  msbs: dst=0 src0=1 src1=0 src2=0
	v_pk_fma_f32 v[126:127], v[2:3] /*v[258:259]*/, v[210:211], v[124:125] op_sel_hi:[1,0,1]
	s_set_vgpr_msb 0                        ;  msbs: dst=0 src0=0 src1=0 src2=0
	v_mov_b32_e32 v123, v129
	s_set_vgpr_msb 1                        ;  msbs: dst=0 src0=1 src1=0 src2=0
	v_pk_fma_f32 v[124:125], v[2:3] /*v[258:259]*/, v[210:211], v[124:125] neg_lo:[0,0,1] neg_hi:[0,0,1]
	s_set_vgpr_msb 0                        ;  msbs: dst=0 src0=0 src1=0 src2=0
	v_pk_add_f32 v[116:117], v[116:117], v[120:121]
	v_dual_mov_b32 v120, v217 :: v_dual_mov_b32 v125, v127
	s_set_vgpr_msb 1                        ;  msbs: dst=0 src0=1 src1=0 src2=0
	v_pk_fma_f32 v[126:127], v[4:5] /*v[260:261]*/, v[212:213], v[130:131] op_sel_hi:[1,0,1]
	s_set_vgpr_msb 0                        ;  msbs: dst=0 src0=0 src1=0 src2=0
	v_pk_add_f32 v[116:117], v[116:117], v[122:123]
	v_pk_mul_f32 v[114:115], v[114:115], v[120:121] op_sel_hi:[1,0]
	s_set_vgpr_msb 1                        ;  msbs: dst=0 src0=1 src1=0 src2=0
	v_pk_fma_f32 v[120:121], v[4:5] /*v[260:261]*/, v[212:213], v[130:131] neg_lo:[0,0,1] neg_hi:[0,0,1]
	v_pk_fma_f32 v[122:123], v[46:47] /*v[302:303]*/, v[214:215], v[118:119] op_sel_hi:[1,0,1]
	s_set_vgpr_msb 0                        ;  msbs: dst=0 src0=0 src1=0 src2=0
	v_mov_b32_e32 v121, v127
	v_pk_add_f32 v[116:117], v[116:117], v[124:125]
	s_set_vgpr_msb 1                        ;  msbs: dst=0 src0=1 src1=0 src2=0
	v_pk_fma_f32 v[118:119], v[46:47] /*v[302:303]*/, v[214:215], v[118:119] neg_lo:[0,0,1] neg_hi:[0,0,1]
	s_set_vgpr_msb 0                        ;  msbs: dst=0 src0=0 src1=0 src2=0
	v_mov_b32_e32 v119, v123
	s_set_vgpr_msb 1                        ;  msbs: dst=0 src0=1 src1=0 src2=0
	v_pk_fma_f32 v[122:123], v[48:49] /*v[304:305]*/, v[216:217], v[114:115] op_sel_hi:[1,0,1]
	s_set_vgpr_msb 0                        ;  msbs: dst=0 src0=0 src1=0 src2=0
	v_pk_add_f32 v[116:117], v[116:117], v[120:121]
	s_wait_loadcnt_dscnt 0x100
	s_set_vgpr_msb 5                        ;  msbs: dst=0 src0=1 src1=1 src2=0
	v_pk_mul_f32 v[120:121], v[70:71] /*v[326:327]*/, v[66:67] /*v[322:323]*/ op_sel:[1,1] op_sel_hi:[0,1]
	s_set_vgpr_msb 1                        ;  msbs: dst=0 src0=1 src1=0 src2=0
	v_pk_fma_f32 v[114:115], v[48:49] /*v[304:305]*/, v[216:217], v[114:115] neg_lo:[0,0,1] neg_hi:[0,0,1]
	s_set_vgpr_msb 0                        ;  msbs: dst=0 src0=0 src1=0 src2=0
	v_mov_b32_e32 v115, v123
	v_pk_add_f32 v[116:117], v[116:117], v[118:119]
	s_set_vgpr_msb 5                        ;  msbs: dst=0 src0=1 src1=1 src2=0
	v_pk_fma_f32 v[118:119], v[70:71] /*v[326:327]*/, v[66:67] /*v[322:323]*/, v[120:121] op_sel_hi:[1,0,1]
	v_pk_fma_f32 v[120:121], v[70:71] /*v[326:327]*/, v[66:67] /*v[322:323]*/, v[120:121] neg_lo:[0,0,1] neg_hi:[0,0,1]
	s_set_vgpr_msb 0                        ;  msbs: dst=0 src0=0 src1=0 src2=0
	v_pk_add_f32 v[114:115], v[116:117], v[114:115]
	s_delay_alu instid0(VALU_DEP_3) | instskip(NEXT) | instid1(VALU_DEP_1)
	v_mov_b32_e32 v121, v119
	v_pk_add_f32 v[114:115], v[114:115], v[120:121]
	s_wait_loadcnt 0x0
	s_set_vgpr_msb 1                        ;  msbs: dst=0 src0=1 src1=0 src2=0
	s_delay_alu instid0(VALU_DEP_1)
	v_pk_add_f32 v[114:115], v[68:69] /*v[324:325]*/, v[114:115] neg_lo:[0,1] neg_hi:[0,1]
	scratch_store_b64 off, v[114:115], off offset:8
	s_wait_xcnt 0x0
	v_cmpx_ne_u32_e32 0, v0
	s_set_vgpr_msb 0                        ;  msbs: dst=0 src0=0 src1=0 src2=0
	s_cbranch_execz .LBB54_343
; %bb.342:
	scratch_load_b64 v[114:115], off, off
	v_mov_b64_e32 v[116:117], 0
	scratch_store_b64 off, v[116:117], off
	s_wait_loadcnt 0x0
	ds_store_b64 v1, v[114:115]
.LBB54_343:
	s_wait_xcnt 0x0
	s_or_b32 exec_lo, exec_lo, s0
	s_wait_storecnt_dscnt 0x0
	s_barrier_signal -1
	s_barrier_wait -1
	s_clause 0xf
	scratch_load_b128 v[118:121], off, off offset:8
	scratch_load_b128 v[126:129], off, off offset:24
	;; [unrolled: 1-line block ×16, first 2 shown]
	ds_load_2addr_b64 v[114:117], v112 offset0:57 offset1:58
	ds_load_2addr_b64 v[122:125], v112 offset0:59 offset1:60
	s_clause 0x1
	scratch_load_b128 v[246:249], off, off offset:264
	scratch_load_b128 v[254:257], off, off offset:280
	ds_load_2addr_b64 v[130:133], v112 offset0:61 offset1:62
	ds_load_2addr_b64 v[138:141], v112 offset0:63 offset1:64
	s_set_vgpr_msb 64                       ;  msbs: dst=1 src0=0 src1=0 src2=0
	s_clause 0x1
	scratch_load_b128 v[6:9] /*v[262:265]*/, off, off offset:296
	scratch_load_b128 v[14:17] /*v[270:273]*/, off, off offset:312
	s_set_vgpr_msb 0                        ;  msbs: dst=0 src0=0 src1=0 src2=0
	ds_load_2addr_b64 v[146:149], v112 offset0:65 offset1:66
	ds_load_2addr_b64 v[154:157], v112 offset0:67 offset1:68
	s_set_vgpr_msb 64                       ;  msbs: dst=1 src0=0 src1=0 src2=0
	s_clause 0x1
	scratch_load_b128 v[22:25] /*v[278:281]*/, off, off offset:328
	scratch_load_b128 v[30:33] /*v[286:289]*/, off, off offset:344
	s_set_vgpr_msb 0                        ;  msbs: dst=0 src0=0 src1=0 src2=0
	ds_load_2addr_b64 v[162:165], v112 offset0:69 offset1:70
	ds_load_2addr_b64 v[170:173], v112 offset0:71 offset1:72
	;; [unrolled: 1-line block ×12, first 2 shown]
	s_set_vgpr_msb 64                       ;  msbs: dst=1 src0=0 src1=0 src2=0
	ds_load_2addr_b64 v[2:5] /*v[258:261]*/, v112 offset0:93 offset1:94
	ds_load_2addr_b64 v[10:13] /*v[266:269]*/, v112 offset0:95 offset1:96
	;; [unrolled: 1-line block ×5, first 2 shown]
	s_clause 0x4
	scratch_load_b128 v[38:41] /*v[294:297]*/, off, off offset:360
	scratch_load_b128 v[42:45] /*v[298:301]*/, off, off offset:376
	;; [unrolled: 1-line block ×5, first 2 shown]
	s_and_b32 vcc_lo, exec_lo, s18
	s_wait_loadcnt_dscnt 0x1a16
	s_set_vgpr_msb 0                        ;  msbs: dst=0 src0=0 src1=0 src2=0
	v_dual_mul_f32 v0, v114, v119 :: v_dual_mul_f32 v1, v116, v121
	s_delay_alu instid0(VALU_DEP_1) | instskip(NEXT) | instid1(VALU_DEP_2)
	v_dual_mul_f32 v113, v117, v121 :: v_dual_fmac_f32 v0, v115, v118
	v_fmac_f32_e32 v1, v117, v120
	s_delay_alu instid0(VALU_DEP_2) | instskip(NEXT) | instid1(VALU_DEP_3)
	v_fma_f32 v113, v116, v120, -v113
	v_add_f32_e32 v0, 0, v0
	s_wait_loadcnt_dscnt 0x1915
	s_delay_alu instid0(VALU_DEP_1) | instskip(NEXT) | instid1(VALU_DEP_1)
	v_dual_add_f32 v0, v0, v1 :: v_dual_mul_f32 v1, v122, v127
	v_fmac_f32_e32 v1, v123, v126
	s_delay_alu instid0(VALU_DEP_1) | instskip(SKIP_1) | instid1(VALU_DEP_1)
	v_add_f32_e32 v0, v0, v1
	v_mul_f32_e32 v1, v124, v129
	v_fmac_f32_e32 v1, v125, v128
	s_wait_loadcnt_dscnt 0x1814
	s_delay_alu instid0(VALU_DEP_1) | instskip(NEXT) | instid1(VALU_DEP_1)
	v_dual_add_f32 v0, v0, v1 :: v_dual_mul_f32 v1, v130, v135
	v_fmac_f32_e32 v1, v131, v134
	s_wait_loadcnt_dscnt 0x400
	s_set_vgpr_msb 0x45                     ;  msbs: dst=1 src0=1 src1=1 src2=0
	v_dual_mul_f32 v59 /*v315*/, v34 /*v290*/, v39 /*v295*/ :: v_dual_mul_f32 v61 /*v317*/, v36 /*v292*/, v41 /*v297*/
	s_set_vgpr_msb 0                        ;  msbs: dst=0 src0=0 src1=0 src2=0
	v_add_f32_e32 v0, v0, v1
	v_mul_f32_e32 v1, v132, v137
	s_set_vgpr_msb 0x45                     ;  msbs: dst=1 src0=1 src1=1 src2=0
	v_dual_fmac_f32 v59 /*v315*/, v35 /*v291*/, v38 /*v294*/ :: v_dual_fmac_f32 v61 /*v317*/, v37 /*v293*/, v40 /*v296*/
	s_set_vgpr_msb 0                        ;  msbs: dst=0 src0=0 src1=0 src2=0
	s_delay_alu instid0(VALU_DEP_2) | instskip(NEXT) | instid1(VALU_DEP_1)
	v_fmac_f32_e32 v1, v133, v136
	v_dual_add_f32 v0, v0, v1 :: v_dual_mul_f32 v1, v138, v143
	s_delay_alu instid0(VALU_DEP_1) | instskip(NEXT) | instid1(VALU_DEP_1)
	v_fmac_f32_e32 v1, v139, v142
	v_add_f32_e32 v0, v0, v1
	v_mul_f32_e32 v1, v140, v145
	s_delay_alu instid0(VALU_DEP_1) | instskip(NEXT) | instid1(VALU_DEP_1)
	v_fmac_f32_e32 v1, v141, v144
	v_dual_add_f32 v0, v0, v1 :: v_dual_mul_f32 v1, v146, v151
	s_delay_alu instid0(VALU_DEP_1) | instskip(NEXT) | instid1(VALU_DEP_1)
	v_fmac_f32_e32 v1, v147, v150
	v_add_f32_e32 v0, v0, v1
	v_mul_f32_e32 v1, v148, v153
	s_delay_alu instid0(VALU_DEP_1) | instskip(NEXT) | instid1(VALU_DEP_1)
	;; [unrolled: 7-line block ×14, first 2 shown]
	v_fmac_f32_e32 v1, v245, v248
	v_dual_add_f32 v0, v0, v1 :: v_dual_mul_f32 v1, v250, v255
	s_delay_alu instid0(VALU_DEP_1) | instskip(NEXT) | instid1(VALU_DEP_1)
	v_fmac_f32_e32 v1, v251, v254
	v_add_f32_e32 v0, v0, v1
	s_set_vgpr_msb 4                        ;  msbs: dst=0 src0=0 src1=1 src2=0
	v_mul_f32_e32 v1, v252, v1 /*v257*/
	s_delay_alu instid0(VALU_DEP_1) | instskip(SKIP_1) | instid1(VALU_DEP_1)
	v_fmac_f32_e32 v1, v253, v0 /*v256*/
	s_set_vgpr_msb 0                        ;  msbs: dst=0 src0=0 src1=0 src2=0
	v_add_f32_e32 v0, v0, v1
	s_set_vgpr_msb 5                        ;  msbs: dst=0 src0=1 src1=1 src2=0
	v_mul_f32_e32 v1, v2 /*v258*/, v7 /*v263*/
	s_delay_alu instid0(VALU_DEP_1) | instskip(SKIP_1) | instid1(VALU_DEP_1)
	v_fmac_f32_e32 v1, v3 /*v259*/, v6 /*v262*/
	s_set_vgpr_msb 0                        ;  msbs: dst=0 src0=0 src1=0 src2=0
	v_add_f32_e32 v0, v0, v1
	s_set_vgpr_msb 5                        ;  msbs: dst=0 src0=1 src1=1 src2=0
	v_mul_f32_e32 v1, v4 /*v260*/, v9 /*v265*/
	s_delay_alu instid0(VALU_DEP_1) | instskip(SKIP_1) | instid1(VALU_DEP_1)
	v_fmac_f32_e32 v1, v5 /*v261*/, v8 /*v264*/
	s_set_vgpr_msb 0                        ;  msbs: dst=0 src0=0 src1=0 src2=0
	v_add_f32_e32 v0, v0, v1
	s_set_vgpr_msb 5                        ;  msbs: dst=0 src0=1 src1=1 src2=0
	v_mul_f32_e32 v1, v10 /*v266*/, v15 /*v271*/
	s_delay_alu instid0(VALU_DEP_1) | instskip(SKIP_1) | instid1(VALU_DEP_1)
	v_fmac_f32_e32 v1, v11 /*v267*/, v14 /*v270*/
	s_set_vgpr_msb 0                        ;  msbs: dst=0 src0=0 src1=0 src2=0
	v_add_f32_e32 v0, v0, v1
	s_set_vgpr_msb 5                        ;  msbs: dst=0 src0=1 src1=1 src2=0
	v_mul_f32_e32 v1, v12 /*v268*/, v17 /*v273*/
	s_delay_alu instid0(VALU_DEP_1) | instskip(SKIP_1) | instid1(VALU_DEP_1)
	v_fmac_f32_e32 v1, v13 /*v269*/, v16 /*v272*/
	s_set_vgpr_msb 0                        ;  msbs: dst=0 src0=0 src1=0 src2=0
	v_add_f32_e32 v0, v0, v1
	s_set_vgpr_msb 5                        ;  msbs: dst=0 src0=1 src1=1 src2=0
	v_mul_f32_e32 v1, v18 /*v274*/, v23 /*v279*/
	s_delay_alu instid0(VALU_DEP_1) | instskip(SKIP_1) | instid1(VALU_DEP_1)
	v_fmac_f32_e32 v1, v19 /*v275*/, v22 /*v278*/
	s_set_vgpr_msb 0                        ;  msbs: dst=0 src0=0 src1=0 src2=0
	v_add_f32_e32 v0, v0, v1
	s_set_vgpr_msb 5                        ;  msbs: dst=0 src0=1 src1=1 src2=0
	v_mul_f32_e32 v1, v20 /*v276*/, v25 /*v281*/
	s_delay_alu instid0(VALU_DEP_1) | instskip(SKIP_1) | instid1(VALU_DEP_1)
	v_fmac_f32_e32 v1, v21 /*v277*/, v24 /*v280*/
	s_set_vgpr_msb 0                        ;  msbs: dst=0 src0=0 src1=0 src2=0
	v_add_f32_e32 v0, v0, v1
	s_set_vgpr_msb 5                        ;  msbs: dst=0 src0=1 src1=1 src2=0
	v_mul_f32_e32 v1, v26 /*v282*/, v31 /*v287*/
	s_delay_alu instid0(VALU_DEP_1) | instskip(SKIP_1) | instid1(VALU_DEP_1)
	v_fmac_f32_e32 v1, v27 /*v283*/, v30 /*v286*/
	s_set_vgpr_msb 0                        ;  msbs: dst=0 src0=0 src1=0 src2=0
	v_add_f32_e32 v0, v0, v1
	s_set_vgpr_msb 5                        ;  msbs: dst=0 src0=1 src1=1 src2=0
	v_mul_f32_e32 v1, v28 /*v284*/, v33 /*v289*/
	s_delay_alu instid0(VALU_DEP_1) | instskip(SKIP_1) | instid1(VALU_DEP_1)
	v_fmac_f32_e32 v1, v29 /*v285*/, v32 /*v288*/
	s_set_vgpr_msb 0                        ;  msbs: dst=0 src0=0 src1=0 src2=0
	v_dual_add_f32 v1, v0, v1 :: v_dual_mul_f32 v0, v115, v119
	s_delay_alu instid0(VALU_DEP_1) | instskip(NEXT) | instid1(VALU_DEP_1)
	v_fma_f32 v0, v114, v118, -v0
	v_add_f32_e32 v0, 0, v0
	s_delay_alu instid0(VALU_DEP_1) | instskip(NEXT) | instid1(VALU_DEP_1)
	v_dual_add_f32 v0, v0, v113 :: v_dual_mul_f32 v113, v123, v127
	v_fma_f32 v113, v122, v126, -v113
	s_delay_alu instid0(VALU_DEP_1) | instskip(SKIP_1) | instid1(VALU_DEP_1)
	v_add_f32_e32 v0, v0, v113
	v_mul_f32_e32 v113, v125, v129
	v_fma_f32 v113, v124, v128, -v113
	ds_load_2addr_b64 v[114:117], v112 offset0:103 offset1:104
	ds_load_2addr_b64 v[118:121], v112 offset0:105 offset1:106
	;; [unrolled: 1-line block ×4, first 2 shown]
	v_dual_add_f32 v0, v0, v113 :: v_dual_mul_f32 v113, v131, v135
	s_delay_alu instid0(VALU_DEP_1) | instskip(NEXT) | instid1(VALU_DEP_1)
	v_fma_f32 v113, v130, v134, -v113
	v_add_f32_e32 v0, v0, v113
	v_mul_f32_e32 v113, v133, v137
	s_delay_alu instid0(VALU_DEP_1) | instskip(NEXT) | instid1(VALU_DEP_1)
	v_fma_f32 v113, v132, v136, -v113
	v_dual_add_f32 v0, v0, v113 :: v_dual_mul_f32 v113, v139, v143
	s_delay_alu instid0(VALU_DEP_1) | instskip(NEXT) | instid1(VALU_DEP_1)
	v_fma_f32 v113, v138, v142, -v113
	v_add_f32_e32 v0, v0, v113
	v_mul_f32_e32 v113, v141, v145
	s_delay_alu instid0(VALU_DEP_1) | instskip(NEXT) | instid1(VALU_DEP_1)
	v_fma_f32 v113, v140, v144, -v113
	;; [unrolled: 7-line block ×15, first 2 shown]
	v_dual_add_f32 v0, v0, v113 :: v_dual_mul_f32 v113, v251, v255
	s_delay_alu instid0(VALU_DEP_1) | instskip(NEXT) | instid1(VALU_DEP_1)
	v_fma_f32 v113, v250, v254, -v113
	v_add_f32_e32 v0, v0, v113
	s_set_vgpr_msb 4                        ;  msbs: dst=0 src0=0 src1=1 src2=0
	v_mul_f32_e32 v113, v253, v1 /*v257*/
	s_delay_alu instid0(VALU_DEP_1) | instskip(SKIP_1) | instid1(VALU_DEP_1)
	v_fma_f32 v113, v252, v0 /*v256*/, -v113
	s_set_vgpr_msb 0                        ;  msbs: dst=0 src0=0 src1=0 src2=0
	v_add_f32_e32 v0, v0, v113
	s_set_vgpr_msb 5                        ;  msbs: dst=0 src0=1 src1=1 src2=0
	v_mul_f32_e32 v113, v3 /*v259*/, v7 /*v263*/
	s_delay_alu instid0(VALU_DEP_1) | instskip(SKIP_1) | instid1(VALU_DEP_1)
	v_fma_f32 v113, v2 /*v258*/, v6 /*v262*/, -v113
	s_set_vgpr_msb 0                        ;  msbs: dst=0 src0=0 src1=0 src2=0
	v_add_f32_e32 v0, v0, v113
	s_set_vgpr_msb 5                        ;  msbs: dst=0 src0=1 src1=1 src2=0
	v_mul_f32_e32 v113, v5 /*v261*/, v9 /*v265*/
	s_delay_alu instid0(VALU_DEP_1) | instskip(SKIP_1) | instid1(VALU_DEP_1)
	v_fma_f32 v113, v4 /*v260*/, v8 /*v264*/, -v113
	;; [unrolled: 6-line block ×8, first 2 shown]
	s_set_vgpr_msb 0                        ;  msbs: dst=0 src0=0 src1=0 src2=0
	v_add_f32_e32 v0, v0, v113
	s_set_vgpr_msb 5                        ;  msbs: dst=0 src0=1 src1=1 src2=0
	v_mul_f32_e32 v113, v35 /*v291*/, v39 /*v295*/
	s_set_vgpr_msb 0x45                     ;  msbs: dst=1 src0=1 src1=1 src2=0
	s_delay_alu instid0(VALU_DEP_1) | instskip(SKIP_3) | instid1(VALU_DEP_1)
	v_fma_f32 v58 /*v314*/, v34 /*v290*/, v38 /*v294*/, -v113
	s_set_vgpr_msb 5                        ;  msbs: dst=0 src0=1 src1=1 src2=0
	v_mul_f32_e32 v113, v37 /*v293*/, v41 /*v297*/
	s_set_vgpr_msb 0x45                     ;  msbs: dst=1 src0=1 src1=1 src2=0
	v_fma_f32 v60 /*v316*/, v36 /*v292*/, v40 /*v296*/, -v113
	s_wait_loadcnt_dscnt 0x303
	s_set_vgpr_msb 4                        ;  msbs: dst=0 src0=0 src1=1 src2=0
	v_pk_mul_f32 v[112:113], v[114:115], v[42:43] /*v[298:299]*/ op_sel:[1,1] op_sel_hi:[0,1]
	v_pk_add_f32 v[0:1], v[0:1], v[58:59] /*v[314:315]*/
	s_delay_alu instid0(VALU_DEP_2)
	v_pk_fma_f32 v[130:131], v[114:115], v[42:43] /*v[298:299]*/, v[112:113] neg_lo:[0,0,1] neg_hi:[0,0,1]
	v_pk_fma_f32 v[112:113], v[114:115], v[42:43] /*v[298:299]*/, v[112:113] op_sel_hi:[1,0,1]
	v_mov_b32_e32 v112, v117
	s_set_vgpr_msb 1                        ;  msbs: dst=0 src0=1 src1=0 src2=0
	v_mov_b32_e32 v114, v45 /*v301*/
	s_set_vgpr_msb 4                        ;  msbs: dst=0 src0=0 src1=1 src2=0
	v_pk_add_f32 v[0:1], v[0:1], v[60:61] /*v[316:317]*/
	v_dual_mov_b32 v131, v113 :: v_dual_mov_b32 v113, v116
	s_set_vgpr_msb 0                        ;  msbs: dst=0 src0=0 src1=0 src2=0
	s_delay_alu instid0(VALU_DEP_1) | instskip(NEXT) | instid1(VALU_DEP_2)
	v_pk_add_f32 v[0:1], v[0:1], v[130:131]
	v_pk_mul_f32 v[112:113], v[112:113], v[114:115] op_sel_hi:[1,0]
	s_set_vgpr_msb 4                        ;  msbs: dst=0 src0=0 src1=1 src2=0
	s_delay_alu instid0(VALU_DEP_1) | instskip(SKIP_1) | instid1(VALU_DEP_1)
	v_pk_fma_f32 v[114:115], v[116:117], v[44:45] /*v[300:301]*/, v[112:113] neg_lo:[0,0,1] neg_hi:[0,0,1]
	v_pk_fma_f32 v[112:113], v[116:117], v[44:45] /*v[300:301]*/, v[112:113] op_sel_hi:[1,0,1]
	v_mov_b32_e32 v115, v113
	s_wait_loadcnt_dscnt 0x202
	v_pk_mul_f32 v[112:113], v[118:119], v[46:47] /*v[302:303]*/ op_sel:[1,1] op_sel_hi:[0,1]
	s_set_vgpr_msb 0                        ;  msbs: dst=0 src0=0 src1=0 src2=0
	s_delay_alu instid0(VALU_DEP_2) | instskip(SKIP_1) | instid1(VALU_DEP_2)
	v_pk_add_f32 v[0:1], v[0:1], v[114:115]
	s_set_vgpr_msb 4                        ;  msbs: dst=0 src0=0 src1=1 src2=0
	v_pk_fma_f32 v[114:115], v[118:119], v[46:47] /*v[302:303]*/, v[112:113] neg_lo:[0,0,1] neg_hi:[0,0,1]
	v_pk_fma_f32 v[112:113], v[118:119], v[46:47] /*v[302:303]*/, v[112:113] op_sel_hi:[1,0,1]
	s_delay_alu instid0(VALU_DEP_1) | instskip(SKIP_2) | instid1(VALU_DEP_2)
	v_dual_mov_b32 v112, v121 :: v_dual_mov_b32 v115, v113
	v_mov_b32_e32 v113, v120
	s_set_vgpr_msb 0                        ;  msbs: dst=0 src0=0 src1=0 src2=0
	v_pk_add_f32 v[0:1], v[0:1], v[114:115]
	s_set_vgpr_msb 1                        ;  msbs: dst=0 src0=1 src1=0 src2=0
	v_mov_b32_e32 v114, v49 /*v305*/
	s_set_vgpr_msb 0                        ;  msbs: dst=0 src0=0 src1=0 src2=0
	s_delay_alu instid0(VALU_DEP_1) | instskip(SKIP_1) | instid1(VALU_DEP_1)
	v_pk_mul_f32 v[112:113], v[112:113], v[114:115] op_sel_hi:[1,0]
	s_set_vgpr_msb 4                        ;  msbs: dst=0 src0=0 src1=1 src2=0
	v_pk_fma_f32 v[114:115], v[120:121], v[48:49] /*v[304:305]*/, v[112:113] neg_lo:[0,0,1] neg_hi:[0,0,1]
	v_pk_fma_f32 v[112:113], v[120:121], v[48:49] /*v[304:305]*/, v[112:113] op_sel_hi:[1,0,1]
	s_delay_alu instid0(VALU_DEP_1) | instskip(SKIP_3) | instid1(VALU_DEP_2)
	v_mov_b32_e32 v115, v113
	s_wait_loadcnt_dscnt 0x101
	v_pk_mul_f32 v[112:113], v[122:123], v[50:51] /*v[306:307]*/ op_sel:[1,1] op_sel_hi:[0,1]
	s_set_vgpr_msb 0                        ;  msbs: dst=0 src0=0 src1=0 src2=0
	v_pk_add_f32 v[0:1], v[0:1], v[114:115]
	s_set_vgpr_msb 4                        ;  msbs: dst=0 src0=0 src1=1 src2=0
	s_delay_alu instid0(VALU_DEP_2) | instskip(SKIP_1) | instid1(VALU_DEP_1)
	v_pk_fma_f32 v[114:115], v[122:123], v[50:51] /*v[306:307]*/, v[112:113] neg_lo:[0,0,1] neg_hi:[0,0,1]
	v_pk_fma_f32 v[112:113], v[122:123], v[50:51] /*v[306:307]*/, v[112:113] op_sel_hi:[1,0,1]
	v_dual_mov_b32 v112, v125 :: v_dual_mov_b32 v115, v113
	v_mov_b32_e32 v113, v124
	s_set_vgpr_msb 0                        ;  msbs: dst=0 src0=0 src1=0 src2=0
	s_delay_alu instid0(VALU_DEP_2) | instskip(SKIP_3) | instid1(VALU_DEP_1)
	v_pk_add_f32 v[0:1], v[0:1], v[114:115]
	s_set_vgpr_msb 1                        ;  msbs: dst=0 src0=1 src1=0 src2=0
	v_mov_b32_e32 v114, v53 /*v309*/
	s_set_vgpr_msb 0                        ;  msbs: dst=0 src0=0 src1=0 src2=0
	v_pk_mul_f32 v[112:113], v[112:113], v[114:115] op_sel_hi:[1,0]
	s_set_vgpr_msb 4                        ;  msbs: dst=0 src0=0 src1=1 src2=0
	s_delay_alu instid0(VALU_DEP_1) | instskip(SKIP_1) | instid1(VALU_DEP_1)
	v_pk_fma_f32 v[114:115], v[124:125], v[52:53] /*v[308:309]*/, v[112:113] neg_lo:[0,0,1] neg_hi:[0,0,1]
	v_pk_fma_f32 v[112:113], v[124:125], v[52:53] /*v[308:309]*/, v[112:113] op_sel_hi:[1,0,1]
	v_mov_b32_e32 v115, v113
	s_wait_loadcnt_dscnt 0x0
	v_pk_mul_f32 v[112:113], v[126:127], v[54:55] /*v[310:311]*/ op_sel:[1,1] op_sel_hi:[0,1]
	s_set_vgpr_msb 0                        ;  msbs: dst=0 src0=0 src1=0 src2=0
	s_delay_alu instid0(VALU_DEP_2) | instskip(SKIP_1) | instid1(VALU_DEP_2)
	v_pk_add_f32 v[0:1], v[0:1], v[114:115]
	s_set_vgpr_msb 4                        ;  msbs: dst=0 src0=0 src1=1 src2=0
	v_pk_fma_f32 v[114:115], v[126:127], v[54:55] /*v[310:311]*/, v[112:113] neg_lo:[0,0,1] neg_hi:[0,0,1]
	v_pk_fma_f32 v[112:113], v[126:127], v[54:55] /*v[310:311]*/, v[112:113] op_sel_hi:[1,0,1]
	s_delay_alu instid0(VALU_DEP_1) | instskip(SKIP_2) | instid1(VALU_DEP_2)
	v_dual_mov_b32 v112, v129 :: v_dual_mov_b32 v115, v113
	v_mov_b32_e32 v113, v128
	s_set_vgpr_msb 0                        ;  msbs: dst=0 src0=0 src1=0 src2=0
	v_pk_add_f32 v[0:1], v[0:1], v[114:115]
	s_set_vgpr_msb 1                        ;  msbs: dst=0 src0=1 src1=0 src2=0
	v_mov_b32_e32 v114, v57 /*v313*/
	s_set_vgpr_msb 0                        ;  msbs: dst=0 src0=0 src1=0 src2=0
	s_delay_alu instid0(VALU_DEP_1) | instskip(SKIP_1) | instid1(VALU_DEP_1)
	v_pk_mul_f32 v[112:113], v[112:113], v[114:115] op_sel_hi:[1,0]
	s_set_vgpr_msb 4                        ;  msbs: dst=0 src0=0 src1=1 src2=0
	v_pk_fma_f32 v[114:115], v[128:129], v[56:57] /*v[312:313]*/, v[112:113] neg_lo:[0,0,1] neg_hi:[0,0,1]
	v_pk_fma_f32 v[112:113], v[128:129], v[56:57] /*v[312:313]*/, v[112:113] op_sel_hi:[1,0,1]
	s_delay_alu instid0(VALU_DEP_1) | instskip(SKIP_4) | instid1(VALU_DEP_1)
	v_mov_b32_e32 v115, v113
	scratch_load_b64 v[112:113], off, off
	s_set_vgpr_msb 0                        ;  msbs: dst=0 src0=0 src1=0 src2=0
	v_pk_add_f32 v[0:1], v[0:1], v[114:115]
	s_wait_loadcnt 0x0
	v_pk_add_f32 v[0:1], v[112:113], v[0:1] neg_lo:[0,1] neg_hi:[0,1]
	scratch_store_b64 off, v[0:1], off
	s_cbranch_vccz .LBB54_452
; %bb.344:
	s_wait_xcnt 0x0
	v_mov_b32_e32 v0, 0
	global_load_b32 v1, v0, s[2:3] offset:212
	s_wait_loadcnt 0x0
	v_cmp_ne_u32_e32 vcc_lo, 54, v1
	s_cbranch_vccz .LBB54_346
; %bb.345:
	v_lshlrev_b32_e32 v1, 3, v1
	scratch_load_b64 v[112:113], v1, off offset:-8
	scratch_load_b64 v[114:115], off, off offset:424
	s_wait_loadcnt 0x1
	scratch_store_b64 off, v[112:113], off offset:424
	s_wait_loadcnt 0x0
	scratch_store_b64 v1, v[114:115], off offset:-8
.LBB54_346:
	global_load_b32 v0, v0, s[2:3] offset:208
	s_wait_loadcnt 0x0
	v_cmp_eq_u32_e32 vcc_lo, 53, v0
	s_cbranch_vccnz .LBB54_348
; %bb.347:
	s_wait_xcnt 0x0
	v_lshlrev_b32_e32 v0, 3, v0
	s_delay_alu instid0(VALU_DEP_1)
	v_mov_b32_e32 v114, v0
	scratch_load_b64 v[0:1], v114, off offset:-8
	scratch_load_b64 v[112:113], off, off offset:416
	s_wait_loadcnt 0x1
	scratch_store_b64 off, v[0:1], off offset:416
	s_wait_loadcnt 0x0
	scratch_store_b64 v114, v[112:113], off offset:-8
.LBB54_348:
	s_wait_xcnt 0x0
	v_mov_b32_e32 v0, 0
	global_load_b32 v1, v0, s[2:3] offset:204
	s_wait_loadcnt 0x0
	v_cmp_eq_u32_e32 vcc_lo, 52, v1
	s_cbranch_vccnz .LBB54_350
; %bb.349:
	v_lshlrev_b32_e32 v1, 3, v1
	scratch_load_b64 v[112:113], v1, off offset:-8
	scratch_load_b64 v[114:115], off, off offset:408
	s_wait_loadcnt 0x1
	scratch_store_b64 off, v[112:113], off offset:408
	s_wait_loadcnt 0x0
	scratch_store_b64 v1, v[114:115], off offset:-8
.LBB54_350:
	global_load_b32 v0, v0, s[2:3] offset:200
	s_wait_loadcnt 0x0
	v_cmp_eq_u32_e32 vcc_lo, 51, v0
	s_cbranch_vccnz .LBB54_352
; %bb.351:
	s_wait_xcnt 0x0
	v_lshlrev_b32_e32 v0, 3, v0
	s_delay_alu instid0(VALU_DEP_1)
	v_mov_b32_e32 v114, v0
	scratch_load_b64 v[0:1], v114, off offset:-8
	scratch_load_b64 v[112:113], off, off offset:400
	s_wait_loadcnt 0x1
	scratch_store_b64 off, v[0:1], off offset:400
	s_wait_loadcnt 0x0
	scratch_store_b64 v114, v[112:113], off offset:-8
.LBB54_352:
	s_wait_xcnt 0x0
	v_mov_b32_e32 v0, 0
	global_load_b32 v1, v0, s[2:3] offset:196
	s_wait_loadcnt 0x0
	v_cmp_eq_u32_e32 vcc_lo, 50, v1
	s_cbranch_vccnz .LBB54_354
; %bb.353:
	v_lshlrev_b32_e32 v1, 3, v1
	scratch_load_b64 v[112:113], v1, off offset:-8
	scratch_load_b64 v[114:115], off, off offset:392
	s_wait_loadcnt 0x1
	scratch_store_b64 off, v[112:113], off offset:392
	s_wait_loadcnt 0x0
	scratch_store_b64 v1, v[114:115], off offset:-8
.LBB54_354:
	;; [unrolled: 31-line block ×26, first 2 shown]
	global_load_b32 v112, v0, s[2:3]
	scratch_load_b64 v[0:1], off, off
	s_wait_loadcnt 0x1
	v_cmp_eq_u32_e32 vcc_lo, 1, v112
	s_cbranch_vccnz .LBB54_452
; %bb.451:
	v_lshlrev_b32_e32 v112, 3, v112
	s_delay_alu instid0(VALU_DEP_1)
	v_mov_b32_e32 v114, v112
	scratch_load_b64 v[112:113], v114, off offset:-8
	s_wait_loadcnt 0x0
	scratch_store_b64 off, v[112:113], off
	scratch_store_b64 v114, v[0:1], off offset:-8
	scratch_load_b64 v[0:1], off, off
.LBB54_452:
	v_lshl_add_u64 v[112:113], v[4:5], 3, s[4:5]
	v_lshl_add_u64 v[114:115], v[8:9], 3, s[4:5]
	;; [unrolled: 1-line block ×4, first 2 shown]
	s_clause 0x1a
	scratch_load_b128 v[108:111], off, off offset:8
	scratch_load_b128 v[116:119], off, off offset:24
	;; [unrolled: 1-line block ×27, first 2 shown]
	v_lshl_add_u64 v[10:11], v[10:11], 3, s[4:5]
	v_lshl_add_u64 v[12:13], v[12:13], 3, s[4:5]
	;; [unrolled: 1-line block ×49, first 2 shown]
	s_wait_loadcnt 0x1b
	global_store_b64 v[2:3], v[0:1], off
	s_wait_loadcnt 0x1a
	s_clause 0x1
	global_store_b64 v[6:7], v[108:109], off
	global_store_b64 v[112:113], v[110:111], off
	s_wait_loadcnt 0x19
	s_clause 0x1
	global_store_b64 v[114:115], v[116:117], off
	;; [unrolled: 4-line block ×27, first 2 shown]
	global_store_b64 v[8:9], v[218:219], off
	s_sendmsg sendmsg(MSG_DEALLOC_VGPRS)
	s_endpgm
	.section	.rodata,"a",@progbits
	.p2align	6, 0x0
	.amdhsa_kernel _ZN9rocsolver6v33100L18getri_kernel_smallILi55E19rocblas_complex_numIfEPS3_EEvT1_iilPiilS6_bb
		.amdhsa_group_segment_fixed_size 888
		.amdhsa_private_segment_fixed_size 448
		.amdhsa_kernarg_size 60
		.amdhsa_user_sgpr_count 2
		.amdhsa_user_sgpr_dispatch_ptr 0
		.amdhsa_user_sgpr_queue_ptr 0
		.amdhsa_user_sgpr_kernarg_segment_ptr 1
		.amdhsa_user_sgpr_dispatch_id 0
		.amdhsa_user_sgpr_kernarg_preload_length 0
		.amdhsa_user_sgpr_kernarg_preload_offset 0
		.amdhsa_user_sgpr_private_segment_size 0
		.amdhsa_wavefront_size32 1
		.amdhsa_uses_dynamic_stack 0
		.amdhsa_enable_private_segment 1
		.amdhsa_system_sgpr_workgroup_id_x 1
		.amdhsa_system_sgpr_workgroup_id_y 0
		.amdhsa_system_sgpr_workgroup_id_z 0
		.amdhsa_system_sgpr_workgroup_info 0
		.amdhsa_system_vgpr_workitem_id 0
		.amdhsa_next_free_vgpr 334
		.amdhsa_next_free_sgpr 19
		.amdhsa_named_barrier_count 0
		.amdhsa_reserve_vcc 1
		.amdhsa_float_round_mode_32 0
		.amdhsa_float_round_mode_16_64 0
		.amdhsa_float_denorm_mode_32 3
		.amdhsa_float_denorm_mode_16_64 3
		.amdhsa_fp16_overflow 0
		.amdhsa_memory_ordered 1
		.amdhsa_forward_progress 1
		.amdhsa_inst_pref_size 255
		.amdhsa_round_robin_scheduling 0
		.amdhsa_exception_fp_ieee_invalid_op 0
		.amdhsa_exception_fp_denorm_src 0
		.amdhsa_exception_fp_ieee_div_zero 0
		.amdhsa_exception_fp_ieee_overflow 0
		.amdhsa_exception_fp_ieee_underflow 0
		.amdhsa_exception_fp_ieee_inexact 0
		.amdhsa_exception_int_div_zero 0
	.end_amdhsa_kernel
	.section	.text._ZN9rocsolver6v33100L18getri_kernel_smallILi55E19rocblas_complex_numIfEPS3_EEvT1_iilPiilS6_bb,"axG",@progbits,_ZN9rocsolver6v33100L18getri_kernel_smallILi55E19rocblas_complex_numIfEPS3_EEvT1_iilPiilS6_bb,comdat
.Lfunc_end54:
	.size	_ZN9rocsolver6v33100L18getri_kernel_smallILi55E19rocblas_complex_numIfEPS3_EEvT1_iilPiilS6_bb, .Lfunc_end54-_ZN9rocsolver6v33100L18getri_kernel_smallILi55E19rocblas_complex_numIfEPS3_EEvT1_iilPiilS6_bb
                                        ; -- End function
	.set _ZN9rocsolver6v33100L18getri_kernel_smallILi55E19rocblas_complex_numIfEPS3_EEvT1_iilPiilS6_bb.num_vgpr, 334
	.set _ZN9rocsolver6v33100L18getri_kernel_smallILi55E19rocblas_complex_numIfEPS3_EEvT1_iilPiilS6_bb.num_agpr, 0
	.set _ZN9rocsolver6v33100L18getri_kernel_smallILi55E19rocblas_complex_numIfEPS3_EEvT1_iilPiilS6_bb.numbered_sgpr, 19
	.set _ZN9rocsolver6v33100L18getri_kernel_smallILi55E19rocblas_complex_numIfEPS3_EEvT1_iilPiilS6_bb.num_named_barrier, 0
	.set _ZN9rocsolver6v33100L18getri_kernel_smallILi55E19rocblas_complex_numIfEPS3_EEvT1_iilPiilS6_bb.private_seg_size, 448
	.set _ZN9rocsolver6v33100L18getri_kernel_smallILi55E19rocblas_complex_numIfEPS3_EEvT1_iilPiilS6_bb.uses_vcc, 1
	.set _ZN9rocsolver6v33100L18getri_kernel_smallILi55E19rocblas_complex_numIfEPS3_EEvT1_iilPiilS6_bb.uses_flat_scratch, 1
	.set _ZN9rocsolver6v33100L18getri_kernel_smallILi55E19rocblas_complex_numIfEPS3_EEvT1_iilPiilS6_bb.has_dyn_sized_stack, 0
	.set _ZN9rocsolver6v33100L18getri_kernel_smallILi55E19rocblas_complex_numIfEPS3_EEvT1_iilPiilS6_bb.has_recursion, 0
	.set _ZN9rocsolver6v33100L18getri_kernel_smallILi55E19rocblas_complex_numIfEPS3_EEvT1_iilPiilS6_bb.has_indirect_call, 0
	.section	.AMDGPU.csdata,"",@progbits
; Kernel info:
; codeLenInByte = 110908
; TotalNumSgprs: 21
; NumVgprs: 334
; ScratchSize: 448
; MemoryBound: 0
; FloatMode: 240
; IeeeMode: 1
; LDSByteSize: 888 bytes/workgroup (compile time only)
; SGPRBlocks: 0
; VGPRBlocks: 20
; NumSGPRsForWavesPerEU: 21
; NumVGPRsForWavesPerEU: 334
; NamedBarCnt: 0
; Occupancy: 3
; WaveLimiterHint : 1
; COMPUTE_PGM_RSRC2:SCRATCH_EN: 1
; COMPUTE_PGM_RSRC2:USER_SGPR: 2
; COMPUTE_PGM_RSRC2:TRAP_HANDLER: 0
; COMPUTE_PGM_RSRC2:TGID_X_EN: 1
; COMPUTE_PGM_RSRC2:TGID_Y_EN: 0
; COMPUTE_PGM_RSRC2:TGID_Z_EN: 0
; COMPUTE_PGM_RSRC2:TIDIG_COMP_CNT: 0
	.section	.text._ZN9rocsolver6v33100L18getri_kernel_smallILi56E19rocblas_complex_numIfEPS3_EEvT1_iilPiilS6_bb,"axG",@progbits,_ZN9rocsolver6v33100L18getri_kernel_smallILi56E19rocblas_complex_numIfEPS3_EEvT1_iilPiilS6_bb,comdat
	.globl	_ZN9rocsolver6v33100L18getri_kernel_smallILi56E19rocblas_complex_numIfEPS3_EEvT1_iilPiilS6_bb ; -- Begin function _ZN9rocsolver6v33100L18getri_kernel_smallILi56E19rocblas_complex_numIfEPS3_EEvT1_iilPiilS6_bb
	.p2align	8
	.type	_ZN9rocsolver6v33100L18getri_kernel_smallILi56E19rocblas_complex_numIfEPS3_EEvT1_iilPiilS6_bb,@function
_ZN9rocsolver6v33100L18getri_kernel_smallILi56E19rocblas_complex_numIfEPS3_EEvT1_iilPiilS6_bb: ; @_ZN9rocsolver6v33100L18getri_kernel_smallILi56E19rocblas_complex_numIfEPS3_EEvT1_iilPiilS6_bb
; %bb.0:
	s_mov_b32 s2, exec_lo
	v_cmpx_gt_u32_e32 56, v0
	s_cbranch_execz .LBB55_238
; %bb.1:
	s_clause 0x2
	s_load_b32 s2, s[0:1], 0x38
	s_load_b128 s[12:15], s[0:1], 0x10
	s_load_b128 s[4:7], s[0:1], 0x28
	s_getreg_b32 s9, hwreg(HW_REG_IB_STS2, 6, 4)
	s_wait_kmcnt 0x0
	s_bitcmp1_b32 s2, 8
	s_cselect_b32 s18, -1, 0
	s_bfe_u32 s3, ttmp6, 0x4000c
	s_and_b32 s8, ttmp6, 15
	s_add_co_i32 s3, s3, 1
	s_delay_alu instid0(SALU_CYCLE_1) | instskip(NEXT) | instid1(SALU_CYCLE_1)
	s_mul_i32 s3, ttmp9, s3
	s_add_co_i32 s8, s8, s3
	s_cmp_eq_u32 s9, 0
	s_cselect_b32 s16, ttmp9, s8
	s_bfe_u32 s2, s2, 0x10008
	s_ashr_i32 s17, s16, 31
	s_cmp_eq_u32 s2, 0
                                        ; implicit-def: $sgpr2_sgpr3
	s_cbranch_scc1 .LBB55_3
; %bb.2:
	s_load_b32 s2, s[0:1], 0x20
	s_mul_u64 s[4:5], s[4:5], s[16:17]
	s_delay_alu instid0(SALU_CYCLE_1) | instskip(NEXT) | instid1(SALU_CYCLE_1)
	s_lshl_b64 s[4:5], s[4:5], 2
	s_add_nc_u64 s[4:5], s[14:15], s[4:5]
	s_wait_kmcnt 0x0
	s_ashr_i32 s3, s2, 31
	s_delay_alu instid0(SALU_CYCLE_1) | instskip(NEXT) | instid1(SALU_CYCLE_1)
	s_lshl_b64 s[2:3], s[2:3], 2
	s_add_nc_u64 s[2:3], s[4:5], s[2:3]
.LBB55_3:
	s_clause 0x1
	s_load_b128 s[8:11], s[0:1], 0x0
	s_load_b32 s14, s[0:1], 0x38
	s_wait_xcnt 0x0
	s_mul_u64 s[0:1], s[12:13], s[16:17]
	v_lshlrev_b32_e32 v114, 3, v0
	s_lshl_b64 s[0:1], s[0:1], 3
	v_mov_b32_e32 v115, 0
	s_wait_kmcnt 0x0
	v_add3_u32 v6, s11, s11, v0
	s_ashr_i32 s5, s10, 31
	s_mov_b32 s4, s10
	s_add_nc_u64 s[0:1], s[8:9], s[0:1]
	s_lshl_b64 s[4:5], s[4:5], 3
	v_add_nc_u32_e32 v8, s11, v6
	s_add_nc_u64 s[4:5], s[0:1], s[4:5]
	s_ashr_i32 s1, s11, 31
	s_mov_b32 s0, s11
	s_bitcmp0_b32 s14, 0
	v_add_nc_u32_e32 v10, s11, v8
	v_add_nc_u64_e32 v[2:3], s[4:5], v[114:115]
	s_delay_alu instid0(VALU_DEP_2) | instskip(NEXT) | instid1(VALU_DEP_2)
	v_add_nc_u32_e32 v12, s11, v10
	v_lshl_add_u64 v[4:5], s[0:1], 3, v[2:3]
	s_mov_b32 s1, -1
	s_delay_alu instid0(VALU_DEP_2) | instskip(SKIP_4) | instid1(VALU_DEP_1)
	v_add_nc_u32_e32 v14, s11, v12
	s_clause 0x1
	global_load_b64 v[116:117], v0, s[4:5] scale_offset
	global_load_b64 v[118:119], v[4:5], off
	v_add_nc_u32_e32 v16, s11, v14
	v_add_nc_u32_e32 v18, s11, v16
	s_clause 0x3
	global_load_b64 v[120:121], v6, s[4:5] scale_offset
	global_load_b64 v[122:123], v8, s[4:5] scale_offset
	;; [unrolled: 1-line block ×4, first 2 shown]
	v_add_nc_u32_e32 v20, s11, v18
	s_delay_alu instid0(VALU_DEP_1) | instskip(NEXT) | instid1(VALU_DEP_1)
	v_add_nc_u32_e32 v22, s11, v20
	v_add_nc_u32_e32 v24, s11, v22
	s_delay_alu instid0(VALU_DEP_1)
	v_add_nc_u32_e32 v26, s11, v24
	s_clause 0x3
	global_load_b64 v[128:129], v14, s[4:5] scale_offset
	global_load_b64 v[130:131], v16, s[4:5] scale_offset
	;; [unrolled: 1-line block ×4, first 2 shown]
	v_add_nc_u32_e32 v28, s11, v26
	s_delay_alu instid0(VALU_DEP_1)
	v_add_nc_u32_e32 v30, s11, v28
	s_clause 0x3
	global_load_b64 v[136:137], v22, s[4:5] scale_offset
	global_load_b64 v[138:139], v24, s[4:5] scale_offset
	;; [unrolled: 1-line block ×4, first 2 shown]
	v_add_nc_u32_e32 v32, s11, v30
	s_delay_alu instid0(VALU_DEP_1) | instskip(NEXT) | instid1(VALU_DEP_1)
	v_add_nc_u32_e32 v34, s11, v32
	v_add_nc_u32_e32 v36, s11, v34
	s_delay_alu instid0(VALU_DEP_1) | instskip(NEXT) | instid1(VALU_DEP_1)
	v_add_nc_u32_e32 v38, s11, v36
	v_add_nc_u32_e32 v40, s11, v38
	s_delay_alu instid0(VALU_DEP_1)
	v_add_nc_u32_e32 v42, s11, v40
	s_clause 0x3
	global_load_b64 v[144:145], v30, s[4:5] scale_offset
	global_load_b64 v[146:147], v32, s[4:5] scale_offset
	;; [unrolled: 1-line block ×4, first 2 shown]
	v_add_nc_u32_e32 v44, s11, v42
	s_delay_alu instid0(VALU_DEP_1) | instskip(NEXT) | instid1(VALU_DEP_1)
	v_add_nc_u32_e32 v46, s11, v44
	v_add_nc_u32_e32 v48, s11, v46
	s_delay_alu instid0(VALU_DEP_1)
	v_add_nc_u32_e32 v50, s11, v48
	s_clause 0x3
	global_load_b64 v[152:153], v38, s[4:5] scale_offset
	global_load_b64 v[154:155], v40, s[4:5] scale_offset
	global_load_b64 v[156:157], v42, s[4:5] scale_offset
	global_load_b64 v[158:159], v44, s[4:5] scale_offset
	v_add_nc_u32_e32 v52, s11, v50
	s_delay_alu instid0(VALU_DEP_1)
	v_add_nc_u32_e32 v54, s11, v52
	s_clause 0x3
	global_load_b64 v[160:161], v46, s[4:5] scale_offset
	global_load_b64 v[162:163], v48, s[4:5] scale_offset
	;; [unrolled: 1-line block ×4, first 2 shown]
	v_add_nc_u32_e32 v56, s11, v54
	s_delay_alu instid0(VALU_DEP_1) | instskip(NEXT) | instid1(VALU_DEP_1)
	v_add_nc_u32_e32 v58, s11, v56
	v_add_nc_u32_e32 v60, s11, v58
	s_delay_alu instid0(VALU_DEP_1) | instskip(NEXT) | instid1(VALU_DEP_1)
	v_add_nc_u32_e32 v62, s11, v60
	v_add_nc_u32_e32 v64, s11, v62
	s_delay_alu instid0(VALU_DEP_1)
	v_add_nc_u32_e32 v66, s11, v64
	s_clause 0x3
	global_load_b64 v[168:169], v54, s[4:5] scale_offset
	global_load_b64 v[170:171], v56, s[4:5] scale_offset
	global_load_b64 v[172:173], v58, s[4:5] scale_offset
	global_load_b64 v[174:175], v60, s[4:5] scale_offset
	v_add_nc_u32_e32 v68, s11, v66
	s_delay_alu instid0(VALU_DEP_1) | instskip(NEXT) | instid1(VALU_DEP_1)
	v_add_nc_u32_e32 v70, s11, v68
	v_add_nc_u32_e32 v72, s11, v70
	s_delay_alu instid0(VALU_DEP_1)
	v_add_nc_u32_e32 v74, s11, v72
	s_clause 0x3
	global_load_b64 v[176:177], v62, s[4:5] scale_offset
	global_load_b64 v[178:179], v64, s[4:5] scale_offset
	;; [unrolled: 1-line block ×4, first 2 shown]
	v_add_nc_u32_e32 v76, s11, v74
	s_clause 0x3
	global_load_b64 v[184:185], v70, s[4:5] scale_offset
	global_load_b64 v[186:187], v72, s[4:5] scale_offset
	;; [unrolled: 1-line block ×4, first 2 shown]
	v_add_nc_u32_e32 v78, s11, v76
	s_delay_alu instid0(VALU_DEP_1) | instskip(NEXT) | instid1(VALU_DEP_1)
	v_add_nc_u32_e32 v80, s11, v78
	v_add_nc_u32_e32 v82, s11, v80
	s_delay_alu instid0(VALU_DEP_1) | instskip(NEXT) | instid1(VALU_DEP_1)
	v_add_nc_u32_e32 v84, s11, v82
	;; [unrolled: 3-line block ×3, first 2 shown]
	v_add_nc_u32_e32 v90, s11, v88
	s_clause 0x3
	global_load_b64 v[192:193], v78, s[4:5] scale_offset
	global_load_b64 v[194:195], v80, s[4:5] scale_offset
	;; [unrolled: 1-line block ×4, first 2 shown]
	v_add_nc_u32_e32 v92, s11, v90
	s_delay_alu instid0(VALU_DEP_1) | instskip(NEXT) | instid1(VALU_DEP_1)
	v_add_nc_u32_e32 v94, s11, v92
	v_add_nc_u32_e32 v96, s11, v94
	s_delay_alu instid0(VALU_DEP_1)
	v_add_nc_u32_e32 v98, s11, v96
	s_clause 0x3
	global_load_b64 v[200:201], v86, s[4:5] scale_offset
	global_load_b64 v[202:203], v88, s[4:5] scale_offset
	;; [unrolled: 1-line block ×4, first 2 shown]
	v_add_nc_u32_e32 v100, s11, v98
	s_delay_alu instid0(VALU_DEP_1)
	v_add_nc_u32_e32 v102, s11, v100
	s_clause 0x3
	global_load_b64 v[208:209], v94, s[4:5] scale_offset
	global_load_b64 v[210:211], v96, s[4:5] scale_offset
	;; [unrolled: 1-line block ×4, first 2 shown]
	v_add_nc_u32_e32 v104, s11, v102
	s_delay_alu instid0(VALU_DEP_1) | instskip(NEXT) | instid1(VALU_DEP_1)
	v_add_nc_u32_e32 v106, s11, v104
	v_add_nc_u32_e32 v108, s11, v106
	s_delay_alu instid0(VALU_DEP_1) | instskip(NEXT) | instid1(VALU_DEP_1)
	v_add_nc_u32_e32 v110, s11, v108
	v_add_nc_u32_e32 v112, s11, v110
	s_clause 0x5
	global_load_b64 v[216:217], v102, s[4:5] scale_offset
	global_load_b64 v[218:219], v104, s[4:5] scale_offset
	;; [unrolled: 1-line block ×6, first 2 shown]
	s_wait_loadcnt 0x36
	scratch_store_b128 off, v[116:119], off
	s_wait_loadcnt 0x34
	scratch_store_b128 off, v[120:123], off offset:16
	s_wait_loadcnt 0x32
	scratch_store_b128 off, v[124:127], off offset:32
	;; [unrolled: 2-line block ×27, first 2 shown]
	s_cbranch_scc1 .LBB55_236
; %bb.4:
	v_cmp_eq_u32_e64 s0, 0, v0
	s_wait_xcnt 0x0
	s_and_saveexec_b32 s1, s0
; %bb.5:
	v_mov_b32_e32 v1, 0
	ds_store_b32 v1, v1 offset:896
; %bb.6:
	s_or_b32 exec_lo, exec_lo, s1
	s_wait_storecnt_dscnt 0x0
	s_barrier_signal -1
	s_barrier_wait -1
	scratch_load_b64 v[116:117], v0, off scale_offset
	s_wait_loadcnt 0x0
	v_cmp_eq_f32_e32 vcc_lo, 0, v116
	v_cmp_eq_f32_e64 s1, 0, v117
	s_and_b32 s1, vcc_lo, s1
	s_delay_alu instid0(SALU_CYCLE_1)
	s_and_saveexec_b32 s8, s1
	s_cbranch_execz .LBB55_10
; %bb.7:
	v_mov_b32_e32 v1, 0
	s_mov_b32 s9, 0
	ds_load_b32 v7, v1 offset:896
	s_wait_dscnt 0x0
	v_readfirstlane_b32 s1, v7
	v_add_nc_u32_e32 v7, 1, v0
	s_cmp_eq_u32 s1, 0
	s_delay_alu instid0(VALU_DEP_1) | instskip(SKIP_1) | instid1(SALU_CYCLE_1)
	v_cmp_gt_i32_e32 vcc_lo, s1, v7
	s_cselect_b32 s10, -1, 0
	s_or_b32 s10, s10, vcc_lo
	s_delay_alu instid0(SALU_CYCLE_1)
	s_and_b32 exec_lo, exec_lo, s10
	s_cbranch_execz .LBB55_10
; %bb.8:
	v_mov_b32_e32 v9, s1
.LBB55_9:                               ; =>This Inner Loop Header: Depth=1
	ds_cmpstore_rtn_b32 v9, v1, v7, v9 offset:896
	s_wait_dscnt 0x0
	v_cmp_ne_u32_e32 vcc_lo, 0, v9
	v_cmp_le_i32_e64 s1, v9, v7
	s_and_b32 s1, vcc_lo, s1
	s_delay_alu instid0(SALU_CYCLE_1) | instskip(NEXT) | instid1(SALU_CYCLE_1)
	s_and_b32 s1, exec_lo, s1
	s_or_b32 s9, s1, s9
	s_delay_alu instid0(SALU_CYCLE_1)
	s_and_not1_b32 exec_lo, exec_lo, s9
	s_cbranch_execnz .LBB55_9
.LBB55_10:
	s_or_b32 exec_lo, exec_lo, s8
	v_mov_b32_e32 v1, 0
	s_barrier_signal -1
	s_barrier_wait -1
	ds_load_b32 v7, v1 offset:896
	s_and_saveexec_b32 s1, s0
	s_cbranch_execz .LBB55_12
; %bb.11:
	s_lshl_b64 s[8:9], s[16:17], 2
	s_delay_alu instid0(SALU_CYCLE_1)
	s_add_nc_u64 s[8:9], s[6:7], s[8:9]
	s_wait_dscnt 0x0
	global_store_b32 v1, v7, s[8:9]
.LBB55_12:
	s_wait_xcnt 0x0
	s_or_b32 exec_lo, exec_lo, s1
	s_wait_dscnt 0x0
	v_cmp_ne_u32_e32 vcc_lo, 0, v7
	s_mov_b32 s1, 0
	s_cbranch_vccnz .LBB55_236
; %bb.13:
	v_lshl_add_u32 v7, v0, 3, 0
                                        ; implicit-def: $vgpr119
                                        ; implicit-def: $vgpr120
	scratch_load_b64 v[116:117], v7, off
	s_wait_loadcnt 0x0
	v_cmp_ngt_f32_e64 s1, |v116|, |v117|
	s_wait_xcnt 0x0
	s_and_saveexec_b32 s8, s1
	s_delay_alu instid0(SALU_CYCLE_1)
	s_xor_b32 s1, exec_lo, s8
	s_cbranch_execz .LBB55_15
; %bb.14:
	v_div_scale_f32 v1, null, v117, v117, v116
	v_div_scale_f32 v13, vcc_lo, v116, v117, v116
	s_delay_alu instid0(VALU_DEP_2) | instskip(SKIP_1) | instid1(TRANS32_DEP_1)
	v_rcp_f32_e32 v9, v1
	v_nop
	v_fma_f32 v11, -v1, v9, 1.0
	s_delay_alu instid0(VALU_DEP_1) | instskip(NEXT) | instid1(VALU_DEP_1)
	v_fmac_f32_e32 v9, v11, v9
	v_mul_f32_e32 v11, v13, v9
	s_delay_alu instid0(VALU_DEP_1) | instskip(NEXT) | instid1(VALU_DEP_1)
	v_fma_f32 v15, -v1, v11, v13
	v_fmac_f32_e32 v11, v15, v9
	s_delay_alu instid0(VALU_DEP_1) | instskip(NEXT) | instid1(VALU_DEP_1)
	v_fma_f32 v1, -v1, v11, v13
	v_div_fmas_f32 v1, v1, v9, v11
	s_delay_alu instid0(VALU_DEP_1) | instskip(NEXT) | instid1(VALU_DEP_1)
	v_div_fixup_f32 v1, v1, v117, v116
	v_fmac_f32_e32 v117, v116, v1
	s_delay_alu instid0(VALU_DEP_1) | instskip(NEXT) | instid1(VALU_DEP_1)
	v_div_scale_f32 v9, null, v117, v117, -1.0
	v_rcp_f32_e32 v11, v9
	v_nop
	s_delay_alu instid0(TRANS32_DEP_1) | instskip(NEXT) | instid1(VALU_DEP_1)
	v_fma_f32 v13, -v9, v11, 1.0
	v_fmac_f32_e32 v11, v13, v11
	v_div_scale_f32 v13, vcc_lo, -1.0, v117, -1.0
	s_delay_alu instid0(VALU_DEP_1) | instskip(NEXT) | instid1(VALU_DEP_1)
	v_mul_f32_e32 v15, v13, v11
	v_fma_f32 v17, -v9, v15, v13
	s_delay_alu instid0(VALU_DEP_1) | instskip(NEXT) | instid1(VALU_DEP_1)
	v_fmac_f32_e32 v15, v17, v11
	v_fma_f32 v9, -v9, v15, v13
	s_delay_alu instid0(VALU_DEP_1) | instskip(NEXT) | instid1(VALU_DEP_1)
	v_div_fmas_f32 v9, v9, v11, v15
	v_div_fixup_f32 v119, v9, v117, -1.0
                                        ; implicit-def: $vgpr116_vgpr117
	s_delay_alu instid0(VALU_DEP_1) | instskip(NEXT) | instid1(VALU_DEP_1)
	v_mul_f32_e32 v120, v1, v119
	v_xor_b32_e32 v118, 0x80000000, v120
.LBB55_15:
	s_and_not1_saveexec_b32 s1, s1
	s_cbranch_execz .LBB55_17
; %bb.16:
	v_div_scale_f32 v1, null, v116, v116, v117
	v_div_scale_f32 v13, vcc_lo, v117, v116, v117
	s_delay_alu instid0(VALU_DEP_2) | instskip(SKIP_1) | instid1(TRANS32_DEP_1)
	v_rcp_f32_e32 v9, v1
	v_nop
	v_fma_f32 v11, -v1, v9, 1.0
	s_delay_alu instid0(VALU_DEP_1) | instskip(NEXT) | instid1(VALU_DEP_1)
	v_fmac_f32_e32 v9, v11, v9
	v_mul_f32_e32 v11, v13, v9
	s_delay_alu instid0(VALU_DEP_1) | instskip(NEXT) | instid1(VALU_DEP_1)
	v_fma_f32 v15, -v1, v11, v13
	v_fmac_f32_e32 v11, v15, v9
	s_delay_alu instid0(VALU_DEP_1) | instskip(NEXT) | instid1(VALU_DEP_1)
	v_fma_f32 v1, -v1, v11, v13
	v_div_fmas_f32 v1, v1, v9, v11
	s_delay_alu instid0(VALU_DEP_1) | instskip(NEXT) | instid1(VALU_DEP_1)
	v_div_fixup_f32 v1, v1, v116, v117
	v_fmac_f32_e32 v116, v117, v1
	s_delay_alu instid0(VALU_DEP_1) | instskip(SKIP_1) | instid1(VALU_DEP_2)
	v_div_scale_f32 v9, null, v116, v116, 1.0
	v_div_scale_f32 v15, vcc_lo, 1.0, v116, 1.0
	v_rcp_f32_e32 v11, v9
	v_nop
	s_delay_alu instid0(TRANS32_DEP_1) | instskip(NEXT) | instid1(VALU_DEP_1)
	v_fma_f32 v13, -v9, v11, 1.0
	v_fmac_f32_e32 v11, v13, v11
	s_delay_alu instid0(VALU_DEP_1) | instskip(NEXT) | instid1(VALU_DEP_1)
	v_mul_f32_e32 v13, v15, v11
	v_fma_f32 v17, -v9, v13, v15
	s_delay_alu instid0(VALU_DEP_1) | instskip(NEXT) | instid1(VALU_DEP_1)
	v_fmac_f32_e32 v13, v17, v11
	v_fma_f32 v9, -v9, v13, v15
	s_delay_alu instid0(VALU_DEP_1) | instskip(NEXT) | instid1(VALU_DEP_1)
	v_div_fmas_f32 v9, v9, v11, v13
	v_div_fixup_f32 v118, v9, v116, 1.0
	s_delay_alu instid0(VALU_DEP_1)
	v_xor_b32_e32 v120, 0x80000000, v118
	v_mul_f32_e64 v119, v1, -v118
.LBB55_17:
	s_or_b32 exec_lo, exec_lo, s1
	scratch_store_b64 v7, v[118:119], off
	scratch_load_b64 v[116:117], off, off offset:8
	v_xor_b32_e32 v121, 0x80000000, v119
	v_add_nc_u32_e32 v1, 0x1c0, v114
	s_wait_loadcnt 0x0
	ds_store_2addr_b64 v114, v[120:121], v[116:117] offset1:56
	s_wait_storecnt_dscnt 0x0
	s_barrier_signal -1
	s_barrier_wait -1
	s_wait_xcnt 0x0
	s_and_saveexec_b32 s1, s0
	s_cbranch_execz .LBB55_19
; %bb.18:
	scratch_load_b64 v[116:117], v7, off
	ds_load_b64 v[118:119], v1
	s_wait_loadcnt_dscnt 0x0
	v_pk_mul_f32 v[122:123], v[118:119], v[116:117] op_sel:[1,1] op_sel_hi:[0,1]
	s_delay_alu instid0(VALU_DEP_1) | instskip(SKIP_2) | instid1(VALU_DEP_3)
	v_pk_fma_f32 v[124:125], v[118:119], v[116:117], v[122:123] op_sel_hi:[1,0,1]
	v_mov_b32_e32 v9, 0
	v_pk_fma_f32 v[116:117], v[118:119], v[116:117], v[122:123] neg_lo:[0,0,1] neg_hi:[0,0,1]
	v_mov_b32_e32 v117, v125
	ds_load_b64 v[120:121], v9 offset:8
	v_pk_add_f32 v[116:117], v[116:117], 0 op_sel_hi:[1,0]
	s_wait_dscnt 0x0
	s_delay_alu instid0(VALU_DEP_1) | instskip(NEXT) | instid1(VALU_DEP_1)
	v_pk_mul_f32 v[118:119], v[116:117], v[120:121] op_sel:[1,1] op_sel_hi:[0,1]
	v_pk_fma_f32 v[122:123], v[116:117], v[120:121], v[118:119] op_sel_hi:[1,0,1]
	v_pk_fma_f32 v[116:117], v[116:117], v[120:121], v[118:119] neg_lo:[0,0,1] neg_hi:[0,0,1]
	s_delay_alu instid0(VALU_DEP_2)
	v_mov_b32_e32 v117, v123
	scratch_store_b64 off, v[116:117], off offset:8
.LBB55_19:
	s_wait_xcnt 0x0
	s_or_b32 exec_lo, exec_lo, s1
	s_wait_storecnt 0x0
	s_barrier_signal -1
	s_barrier_wait -1
	scratch_load_b64 v[116:117], off, off offset:16
	s_mov_b32 s1, exec_lo
	s_wait_loadcnt 0x0
	ds_store_b64 v1, v[116:117]
	s_wait_dscnt 0x0
	s_barrier_signal -1
	s_barrier_wait -1
	v_cmpx_gt_u32_e32 2, v0
	s_cbranch_execz .LBB55_23
; %bb.20:
	scratch_load_b64 v[116:117], v7, off
	ds_load_b64 v[118:119], v1
	s_wait_loadcnt_dscnt 0x0
	v_pk_mul_f32 v[120:121], v[118:119], v[116:117] op_sel:[1,1] op_sel_hi:[0,1]
	s_delay_alu instid0(VALU_DEP_1) | instskip(SKIP_1) | instid1(VALU_DEP_2)
	v_pk_fma_f32 v[122:123], v[118:119], v[116:117], v[120:121] op_sel_hi:[1,0,1]
	v_pk_fma_f32 v[116:117], v[118:119], v[116:117], v[120:121] neg_lo:[0,0,1] neg_hi:[0,0,1]
	v_mov_b32_e32 v117, v123
	s_delay_alu instid0(VALU_DEP_1)
	v_pk_add_f32 v[116:117], v[116:117], 0 op_sel_hi:[1,0]
	s_and_saveexec_b32 s8, s0
	s_cbranch_execz .LBB55_22
; %bb.21:
	scratch_load_b64 v[118:119], off, off offset:8
	v_mov_b32_e32 v7, 0
	ds_load_b64 v[120:121], v7 offset:456
	s_wait_loadcnt_dscnt 0x0
	v_pk_mul_f32 v[122:123], v[120:121], v[118:119] op_sel:[1,1] op_sel_hi:[0,1]
	s_delay_alu instid0(VALU_DEP_1) | instskip(SKIP_1) | instid1(VALU_DEP_2)
	v_pk_fma_f32 v[124:125], v[120:121], v[118:119], v[122:123] op_sel_hi:[1,0,1]
	v_pk_fma_f32 v[118:119], v[120:121], v[118:119], v[122:123] neg_lo:[0,0,1] neg_hi:[0,0,1]
	v_mov_b32_e32 v119, v125
	s_delay_alu instid0(VALU_DEP_1)
	v_pk_add_f32 v[116:117], v[116:117], v[118:119]
.LBB55_22:
	s_or_b32 exec_lo, exec_lo, s8
	v_mov_b32_e32 v7, 0
	ds_load_b64 v[118:119], v7 offset:16
	s_wait_dscnt 0x0
	v_pk_mul_f32 v[120:121], v[116:117], v[118:119] op_sel:[1,1] op_sel_hi:[0,1]
	s_delay_alu instid0(VALU_DEP_1) | instskip(SKIP_1) | instid1(VALU_DEP_2)
	v_pk_fma_f32 v[122:123], v[116:117], v[118:119], v[120:121] op_sel_hi:[1,0,1]
	v_pk_fma_f32 v[116:117], v[116:117], v[118:119], v[120:121] neg_lo:[0,0,1] neg_hi:[0,0,1]
	v_mov_b32_e32 v117, v123
	scratch_store_b64 off, v[116:117], off offset:16
.LBB55_23:
	s_wait_xcnt 0x0
	s_or_b32 exec_lo, exec_lo, s1
	s_wait_storecnt 0x0
	s_barrier_signal -1
	s_barrier_wait -1
	scratch_load_b64 v[116:117], off, off offset:24
	v_add_nc_u32_e32 v7, -1, v0
	s_mov_b32 s0, exec_lo
	s_wait_loadcnt 0x0
	ds_store_b64 v1, v[116:117]
	s_wait_dscnt 0x0
	s_barrier_signal -1
	s_barrier_wait -1
	v_cmpx_gt_u32_e32 3, v0
	s_cbranch_execz .LBB55_27
; %bb.24:
	v_dual_mov_b32 v116, 0 :: v_dual_add_nc_u32 v9, -1, v0
	v_add_nc_u32_e32 v11, 0x1c0, v114
	v_mov_b32_e32 v13, v114
	s_mov_b32 s1, 0
	s_delay_alu instid0(VALU_DEP_3)
	v_mov_b32_e32 v117, v116
.LBB55_25:                              ; =>This Inner Loop Header: Depth=1
	scratch_load_b64 v[118:119], v13, off
	ds_load_b64 v[120:121], v11
	s_wait_xcnt 0x0
	v_dual_add_nc_u32 v11, 8, v11 :: v_dual_add_nc_u32 v13, 8, v13
	s_wait_loadcnt_dscnt 0x0
	v_pk_mul_f32 v[122:123], v[120:121], v[118:119] op_sel:[1,1] op_sel_hi:[0,1]
	s_delay_alu instid0(VALU_DEP_1) | instskip(SKIP_2) | instid1(VALU_DEP_3)
	v_pk_fma_f32 v[124:125], v[120:121], v[118:119], v[122:123] op_sel_hi:[1,0,1]
	v_add_nc_u32_e32 v9, 1, v9
	v_pk_fma_f32 v[118:119], v[120:121], v[118:119], v[122:123] neg_lo:[0,0,1] neg_hi:[0,0,1]
	v_mov_b32_e32 v119, v125
	s_delay_alu instid0(VALU_DEP_3) | instskip(NEXT) | instid1(VALU_DEP_2)
	v_cmp_lt_u32_e32 vcc_lo, 1, v9
	v_pk_add_f32 v[116:117], v[116:117], v[118:119]
	s_or_b32 s1, vcc_lo, s1
	s_delay_alu instid0(SALU_CYCLE_1)
	s_and_not1_b32 exec_lo, exec_lo, s1
	s_cbranch_execnz .LBB55_25
; %bb.26:
	s_or_b32 exec_lo, exec_lo, s1
	v_mov_b32_e32 v9, 0
	ds_load_b64 v[118:119], v9 offset:24
	s_wait_dscnt 0x0
	v_pk_mul_f32 v[120:121], v[116:117], v[118:119] op_sel:[1,1] op_sel_hi:[0,1]
	s_delay_alu instid0(VALU_DEP_1) | instskip(SKIP_1) | instid1(VALU_DEP_2)
	v_pk_fma_f32 v[122:123], v[116:117], v[118:119], v[120:121] op_sel_hi:[1,0,1]
	v_pk_fma_f32 v[116:117], v[116:117], v[118:119], v[120:121] neg_lo:[0,0,1] neg_hi:[0,0,1]
	v_mov_b32_e32 v117, v123
	scratch_store_b64 off, v[116:117], off offset:24
.LBB55_27:
	s_wait_xcnt 0x0
	s_or_b32 exec_lo, exec_lo, s0
	s_wait_storecnt 0x0
	s_barrier_signal -1
	s_barrier_wait -1
	scratch_load_b64 v[116:117], off, off offset:32
	s_mov_b32 s0, exec_lo
	s_wait_loadcnt 0x0
	ds_store_b64 v1, v[116:117]
	s_wait_dscnt 0x0
	s_barrier_signal -1
	s_barrier_wait -1
	v_cmpx_gt_u32_e32 4, v0
	s_cbranch_execz .LBB55_31
; %bb.28:
	v_dual_mov_b32 v116, 0 :: v_dual_add_nc_u32 v9, -1, v0
	v_add_nc_u32_e32 v11, 0x1c0, v114
	v_mov_b32_e32 v13, v114
	s_mov_b32 s1, 0
	s_delay_alu instid0(VALU_DEP_3)
	v_mov_b32_e32 v117, v116
.LBB55_29:                              ; =>This Inner Loop Header: Depth=1
	scratch_load_b64 v[118:119], v13, off
	ds_load_b64 v[120:121], v11
	s_wait_xcnt 0x0
	v_dual_add_nc_u32 v11, 8, v11 :: v_dual_add_nc_u32 v13, 8, v13
	s_wait_loadcnt_dscnt 0x0
	v_pk_mul_f32 v[122:123], v[120:121], v[118:119] op_sel:[1,1] op_sel_hi:[0,1]
	s_delay_alu instid0(VALU_DEP_1) | instskip(SKIP_2) | instid1(VALU_DEP_3)
	v_pk_fma_f32 v[124:125], v[120:121], v[118:119], v[122:123] op_sel_hi:[1,0,1]
	v_add_nc_u32_e32 v9, 1, v9
	v_pk_fma_f32 v[118:119], v[120:121], v[118:119], v[122:123] neg_lo:[0,0,1] neg_hi:[0,0,1]
	v_mov_b32_e32 v119, v125
	s_delay_alu instid0(VALU_DEP_3) | instskip(NEXT) | instid1(VALU_DEP_2)
	v_cmp_lt_u32_e32 vcc_lo, 2, v9
	v_pk_add_f32 v[116:117], v[116:117], v[118:119]
	s_or_b32 s1, vcc_lo, s1
	s_delay_alu instid0(SALU_CYCLE_1)
	s_and_not1_b32 exec_lo, exec_lo, s1
	s_cbranch_execnz .LBB55_29
; %bb.30:
	s_or_b32 exec_lo, exec_lo, s1
	v_mov_b32_e32 v9, 0
	ds_load_b64 v[118:119], v9 offset:32
	s_wait_dscnt 0x0
	v_pk_mul_f32 v[120:121], v[116:117], v[118:119] op_sel:[1,1] op_sel_hi:[0,1]
	s_delay_alu instid0(VALU_DEP_1) | instskip(SKIP_1) | instid1(VALU_DEP_2)
	v_pk_fma_f32 v[122:123], v[116:117], v[118:119], v[120:121] op_sel_hi:[1,0,1]
	v_pk_fma_f32 v[116:117], v[116:117], v[118:119], v[120:121] neg_lo:[0,0,1] neg_hi:[0,0,1]
	v_mov_b32_e32 v117, v123
	scratch_store_b64 off, v[116:117], off offset:32
.LBB55_31:
	s_wait_xcnt 0x0
	s_or_b32 exec_lo, exec_lo, s0
	s_wait_storecnt 0x0
	s_barrier_signal -1
	s_barrier_wait -1
	scratch_load_b64 v[116:117], off, off offset:40
	;; [unrolled: 52-line block ×19, first 2 shown]
	s_mov_b32 s0, exec_lo
	s_wait_loadcnt 0x0
	ds_store_b64 v1, v[116:117]
	s_wait_dscnt 0x0
	s_barrier_signal -1
	s_barrier_wait -1
	v_cmpx_gt_u32_e32 22, v0
	s_cbranch_execz .LBB55_103
; %bb.100:
	v_dual_mov_b32 v116, 0 :: v_dual_add_nc_u32 v9, -1, v0
	v_add_nc_u32_e32 v11, 0x1c0, v114
	v_mov_b32_e32 v13, v114
	s_mov_b32 s1, 0
	s_delay_alu instid0(VALU_DEP_3)
	v_mov_b32_e32 v117, v116
.LBB55_101:                             ; =>This Inner Loop Header: Depth=1
	scratch_load_b64 v[118:119], v13, off
	ds_load_b64 v[120:121], v11
	s_wait_xcnt 0x0
	v_dual_add_nc_u32 v11, 8, v11 :: v_dual_add_nc_u32 v13, 8, v13
	s_wait_loadcnt_dscnt 0x0
	v_pk_mul_f32 v[122:123], v[120:121], v[118:119] op_sel:[1,1] op_sel_hi:[0,1]
	s_delay_alu instid0(VALU_DEP_1) | instskip(SKIP_2) | instid1(VALU_DEP_3)
	v_pk_fma_f32 v[124:125], v[120:121], v[118:119], v[122:123] op_sel_hi:[1,0,1]
	v_add_nc_u32_e32 v9, 1, v9
	v_pk_fma_f32 v[118:119], v[120:121], v[118:119], v[122:123] neg_lo:[0,0,1] neg_hi:[0,0,1]
	v_mov_b32_e32 v119, v125
	s_delay_alu instid0(VALU_DEP_3) | instskip(NEXT) | instid1(VALU_DEP_2)
	v_cmp_lt_u32_e32 vcc_lo, 20, v9
	v_pk_add_f32 v[116:117], v[116:117], v[118:119]
	s_or_b32 s1, vcc_lo, s1
	s_delay_alu instid0(SALU_CYCLE_1)
	s_and_not1_b32 exec_lo, exec_lo, s1
	s_cbranch_execnz .LBB55_101
; %bb.102:
	s_or_b32 exec_lo, exec_lo, s1
	v_mov_b32_e32 v9, 0
	ds_load_b64 v[118:119], v9 offset:176
	s_wait_dscnt 0x0
	v_pk_mul_f32 v[120:121], v[116:117], v[118:119] op_sel:[1,1] op_sel_hi:[0,1]
	s_delay_alu instid0(VALU_DEP_1) | instskip(SKIP_1) | instid1(VALU_DEP_2)
	v_pk_fma_f32 v[122:123], v[116:117], v[118:119], v[120:121] op_sel_hi:[1,0,1]
	v_pk_fma_f32 v[116:117], v[116:117], v[118:119], v[120:121] neg_lo:[0,0,1] neg_hi:[0,0,1]
	v_mov_b32_e32 v117, v123
	scratch_store_b64 off, v[116:117], off offset:176
.LBB55_103:
	s_wait_xcnt 0x0
	s_or_b32 exec_lo, exec_lo, s0
	s_wait_storecnt 0x0
	s_barrier_signal -1
	s_barrier_wait -1
	scratch_load_b64 v[116:117], off, off offset:184
	s_mov_b32 s0, exec_lo
	s_wait_loadcnt 0x0
	ds_store_b64 v1, v[116:117]
	s_wait_dscnt 0x0
	s_barrier_signal -1
	s_barrier_wait -1
	v_cmpx_gt_u32_e32 23, v0
	s_cbranch_execz .LBB55_107
; %bb.104:
	v_dual_mov_b32 v116, 0 :: v_dual_add_nc_u32 v9, -1, v0
	v_add_nc_u32_e32 v11, 0x1c0, v114
	v_mov_b32_e32 v13, v114
	s_mov_b32 s1, 0
	s_delay_alu instid0(VALU_DEP_3)
	v_mov_b32_e32 v117, v116
.LBB55_105:                             ; =>This Inner Loop Header: Depth=1
	scratch_load_b64 v[118:119], v13, off
	ds_load_b64 v[120:121], v11
	s_wait_xcnt 0x0
	v_dual_add_nc_u32 v11, 8, v11 :: v_dual_add_nc_u32 v13, 8, v13
	s_wait_loadcnt_dscnt 0x0
	v_pk_mul_f32 v[122:123], v[120:121], v[118:119] op_sel:[1,1] op_sel_hi:[0,1]
	s_delay_alu instid0(VALU_DEP_1) | instskip(SKIP_2) | instid1(VALU_DEP_3)
	v_pk_fma_f32 v[124:125], v[120:121], v[118:119], v[122:123] op_sel_hi:[1,0,1]
	v_add_nc_u32_e32 v9, 1, v9
	v_pk_fma_f32 v[118:119], v[120:121], v[118:119], v[122:123] neg_lo:[0,0,1] neg_hi:[0,0,1]
	v_mov_b32_e32 v119, v125
	s_delay_alu instid0(VALU_DEP_3) | instskip(NEXT) | instid1(VALU_DEP_2)
	v_cmp_lt_u32_e32 vcc_lo, 21, v9
	v_pk_add_f32 v[116:117], v[116:117], v[118:119]
	s_or_b32 s1, vcc_lo, s1
	s_delay_alu instid0(SALU_CYCLE_1)
	s_and_not1_b32 exec_lo, exec_lo, s1
	s_cbranch_execnz .LBB55_105
; %bb.106:
	s_or_b32 exec_lo, exec_lo, s1
	v_mov_b32_e32 v9, 0
	ds_load_b64 v[118:119], v9 offset:184
	s_wait_dscnt 0x0
	v_pk_mul_f32 v[120:121], v[116:117], v[118:119] op_sel:[1,1] op_sel_hi:[0,1]
	s_delay_alu instid0(VALU_DEP_1) | instskip(SKIP_1) | instid1(VALU_DEP_2)
	v_pk_fma_f32 v[122:123], v[116:117], v[118:119], v[120:121] op_sel_hi:[1,0,1]
	v_pk_fma_f32 v[116:117], v[116:117], v[118:119], v[120:121] neg_lo:[0,0,1] neg_hi:[0,0,1]
	v_mov_b32_e32 v117, v123
	scratch_store_b64 off, v[116:117], off offset:184
.LBB55_107:
	s_wait_xcnt 0x0
	s_or_b32 exec_lo, exec_lo, s0
	s_wait_storecnt 0x0
	s_barrier_signal -1
	s_barrier_wait -1
	scratch_load_b64 v[116:117], off, off offset:192
	;; [unrolled: 52-line block ×33, first 2 shown]
	s_mov_b32 s0, exec_lo
	s_wait_loadcnt 0x0
	ds_store_b64 v1, v[116:117]
	s_wait_dscnt 0x0
	s_barrier_signal -1
	s_barrier_wait -1
	v_cmpx_ne_u32_e32 55, v0
	s_cbranch_execz .LBB55_235
; %bb.232:
	v_dual_mov_b32 v116, 0 :: v_dual_mov_b32 v9, v114
	s_mov_b32 s1, 0
	s_delay_alu instid0(VALU_DEP_1)
	v_mov_b32_e32 v117, v116
.LBB55_233:                             ; =>This Inner Loop Header: Depth=1
	scratch_load_b64 v[114:115], v9, off
	ds_load_b64 v[118:119], v1
	v_add_nc_u32_e32 v1, 8, v1
	s_wait_xcnt 0x0
	v_add_nc_u32_e32 v9, 8, v9
	s_wait_loadcnt_dscnt 0x0
	v_pk_mul_f32 v[120:121], v[118:119], v[114:115] op_sel:[1,1] op_sel_hi:[0,1]
	s_delay_alu instid0(VALU_DEP_1) | instskip(SKIP_2) | instid1(VALU_DEP_3)
	v_pk_fma_f32 v[122:123], v[118:119], v[114:115], v[120:121] op_sel_hi:[1,0,1]
	v_add_nc_u32_e32 v7, 1, v7
	v_pk_fma_f32 v[114:115], v[118:119], v[114:115], v[120:121] neg_lo:[0,0,1] neg_hi:[0,0,1]
	v_mov_b32_e32 v115, v123
	s_delay_alu instid0(VALU_DEP_3) | instskip(NEXT) | instid1(VALU_DEP_2)
	v_cmp_lt_u32_e32 vcc_lo, 53, v7
	v_pk_add_f32 v[116:117], v[116:117], v[114:115]
	s_or_b32 s1, vcc_lo, s1
	s_delay_alu instid0(SALU_CYCLE_1)
	s_and_not1_b32 exec_lo, exec_lo, s1
	s_cbranch_execnz .LBB55_233
; %bb.234:
	s_or_b32 exec_lo, exec_lo, s1
	v_mov_b32_e32 v1, 0
	ds_load_b64 v[114:115], v1 offset:440
	s_wait_dscnt 0x0
	v_pk_mul_f32 v[118:119], v[116:117], v[114:115] op_sel:[1,1] op_sel_hi:[0,1]
	s_delay_alu instid0(VALU_DEP_1) | instskip(SKIP_1) | instid1(VALU_DEP_2)
	v_pk_fma_f32 v[120:121], v[116:117], v[114:115], v[118:119] op_sel_hi:[1,0,1]
	v_pk_fma_f32 v[114:115], v[116:117], v[114:115], v[118:119] neg_lo:[0,0,1] neg_hi:[0,0,1]
	v_mov_b32_e32 v115, v121
	scratch_store_b64 off, v[114:115], off offset:440
.LBB55_235:
	s_wait_xcnt 0x0
	s_or_b32 exec_lo, exec_lo, s0
	s_mov_b32 s1, -1
	s_wait_storecnt 0x0
	s_barrier_signal -1
	s_barrier_wait -1
.LBB55_236:
	s_and_b32 vcc_lo, exec_lo, s1
	s_cbranch_vccz .LBB55_238
; %bb.237:
	v_mov_b32_e32 v1, 0
	s_lshl_b64 s[0:1], s[16:17], 2
	s_delay_alu instid0(SALU_CYCLE_1)
	s_add_nc_u64 s[0:1], s[6:7], s[0:1]
	global_load_b32 v1, v1, s[0:1]
	s_wait_loadcnt 0x0
	v_cmp_ne_u32_e32 vcc_lo, 0, v1
	s_cbranch_vccz .LBB55_239
.LBB55_238:
	s_sendmsg sendmsg(MSG_DEALLOC_VGPRS)
	s_endpgm
.LBB55_239:
	s_wait_xcnt 0x0
	v_lshl_add_u32 v1, v0, 3, 0x1c0
	s_mov_b32 s0, exec_lo
	v_cmpx_eq_u32_e32 55, v0
	s_cbranch_execz .LBB55_241
; %bb.240:
	scratch_load_b64 v[114:115], off, off offset:432
	v_mov_b64_e32 v[116:117], 0
	scratch_store_b64 off, v[116:117], off offset:432
	s_wait_loadcnt 0x0
	ds_store_b64 v1, v[114:115]
.LBB55_241:
	s_wait_xcnt 0x0
	s_or_b32 exec_lo, exec_lo, s0
	s_wait_storecnt_dscnt 0x0
	s_barrier_signal -1
	s_barrier_wait -1
	s_clause 0x1
	scratch_load_b64 v[114:115], off, off offset:440
	scratch_load_b64 v[116:117], off, off offset:432
	v_mov_b32_e32 v7, 0
	s_mov_b32 s0, exec_lo
	ds_load_b64 v[118:119], v7 offset:888
	s_wait_loadcnt_dscnt 0x100
	v_pk_mul_f32 v[120:121], v[118:119], v[114:115] op_sel:[1,1] op_sel_hi:[0,1]
	s_delay_alu instid0(VALU_DEP_1) | instskip(SKIP_1) | instid1(VALU_DEP_2)
	v_pk_fma_f32 v[122:123], v[118:119], v[114:115], v[120:121] op_sel_hi:[1,0,1]
	v_pk_fma_f32 v[114:115], v[118:119], v[114:115], v[120:121] neg_lo:[0,0,1] neg_hi:[0,0,1]
	v_mov_b32_e32 v115, v123
	s_delay_alu instid0(VALU_DEP_1) | instskip(SKIP_1) | instid1(VALU_DEP_1)
	v_pk_add_f32 v[114:115], v[114:115], 0 op_sel_hi:[1,0]
	s_wait_loadcnt 0x0
	v_pk_add_f32 v[114:115], v[116:117], v[114:115] neg_lo:[0,1] neg_hi:[0,1]
	scratch_store_b64 off, v[114:115], off offset:432
	s_wait_xcnt 0x0
	v_cmpx_lt_u32_e32 53, v0
	s_cbranch_execz .LBB55_243
; %bb.242:
	scratch_load_b64 v[114:115], off, off offset:424
	v_mov_b64_e32 v[116:117], 0
	scratch_store_b64 off, v[116:117], off offset:424
	s_wait_loadcnt 0x0
	ds_store_b64 v1, v[114:115]
.LBB55_243:
	s_wait_xcnt 0x0
	s_or_b32 exec_lo, exec_lo, s0
	s_wait_storecnt_dscnt 0x0
	s_barrier_signal -1
	s_barrier_wait -1
	s_clause 0x1
	scratch_load_b128 v[114:117], off, off offset:432
	scratch_load_b64 v[122:123], off, off offset:424
	ds_load_b128 v[118:121], v7 offset:880
	s_mov_b32 s0, exec_lo
	s_wait_dscnt 0x0
	v_dual_mov_b32 v124, v121 :: v_dual_mov_b32 v125, v120
	s_wait_loadcnt 0x1
	v_pk_mul_f32 v[126:127], v[118:119], v[114:115] op_sel:[1,1] op_sel_hi:[0,1]
	s_delay_alu instid0(VALU_DEP_1) | instskip(SKIP_2) | instid1(VALU_DEP_3)
	v_pk_fma_f32 v[130:131], v[118:119], v[114:115], v[126:127] op_sel_hi:[1,0,1]
	v_mov_b32_e32 v128, v117
	v_pk_fma_f32 v[114:115], v[118:119], v[114:115], v[126:127] neg_lo:[0,0,1] neg_hi:[0,0,1]
	v_mov_b32_e32 v115, v131
	s_delay_alu instid0(VALU_DEP_3) | instskip(NEXT) | instid1(VALU_DEP_2)
	v_pk_mul_f32 v[124:125], v[124:125], v[128:129] op_sel_hi:[1,0]
	v_pk_add_f32 v[114:115], v[114:115], 0 op_sel_hi:[1,0]
	s_delay_alu instid0(VALU_DEP_2) | instskip(SKIP_1) | instid1(VALU_DEP_2)
	v_pk_fma_f32 v[118:119], v[120:121], v[116:117], v[124:125] op_sel_hi:[1,0,1]
	v_pk_fma_f32 v[116:117], v[120:121], v[116:117], v[124:125] neg_lo:[0,0,1] neg_hi:[0,0,1]
	v_mov_b32_e32 v117, v119
	s_delay_alu instid0(VALU_DEP_1) | instskip(SKIP_1) | instid1(VALU_DEP_1)
	v_pk_add_f32 v[114:115], v[114:115], v[116:117]
	s_wait_loadcnt 0x0
	v_pk_add_f32 v[114:115], v[122:123], v[114:115] neg_lo:[0,1] neg_hi:[0,1]
	scratch_store_b64 off, v[114:115], off offset:424
	s_wait_xcnt 0x0
	v_cmpx_lt_u32_e32 52, v0
	s_cbranch_execz .LBB55_245
; %bb.244:
	scratch_load_b64 v[114:115], off, off offset:416
	v_mov_b64_e32 v[116:117], 0
	scratch_store_b64 off, v[116:117], off offset:416
	s_wait_loadcnt 0x0
	ds_store_b64 v1, v[114:115]
.LBB55_245:
	s_wait_xcnt 0x0
	s_or_b32 exec_lo, exec_lo, s0
	s_wait_storecnt_dscnt 0x0
	s_barrier_signal -1
	s_barrier_wait -1
	s_clause 0x2
	scratch_load_b128 v[114:117], off, off offset:424
	scratch_load_b64 v[122:123], off, off offset:440
	scratch_load_b64 v[124:125], off, off offset:416
	v_mov_b32_e32 v7, 0
	ds_load_2addr_b64 v[118:121], v7 offset0:109 offset1:110
	ds_load_b64 v[126:127], v7 offset:888
	s_mov_b32 s0, exec_lo
	s_wait_dscnt 0x1
	v_dual_mov_b32 v128, v121 :: v_dual_mov_b32 v129, v120
	s_wait_loadcnt 0x2
	v_mov_b32_e32 v132, v117
	v_pk_mul_f32 v[130:131], v[118:119], v[114:115] op_sel:[1,1] op_sel_hi:[0,1]
	s_delay_alu instid0(VALU_DEP_2) | instskip(NEXT) | instid1(VALU_DEP_2)
	v_pk_mul_f32 v[128:129], v[128:129], v[132:133] op_sel_hi:[1,0]
	v_pk_fma_f32 v[134:135], v[118:119], v[114:115], v[130:131] op_sel_hi:[1,0,1]
	v_pk_fma_f32 v[114:115], v[118:119], v[114:115], v[130:131] neg_lo:[0,0,1] neg_hi:[0,0,1]
	s_wait_loadcnt_dscnt 0x100
	v_pk_mul_f32 v[130:131], v[126:127], v[122:123] op_sel:[1,1] op_sel_hi:[0,1]
	v_pk_fma_f32 v[118:119], v[120:121], v[116:117], v[128:129] op_sel_hi:[1,0,1]
	v_mov_b32_e32 v115, v135
	v_pk_fma_f32 v[116:117], v[120:121], v[116:117], v[128:129] neg_lo:[0,0,1] neg_hi:[0,0,1]
	s_delay_alu instid0(VALU_DEP_4) | instskip(NEXT) | instid1(VALU_DEP_4)
	v_pk_fma_f32 v[120:121], v[126:127], v[122:123], v[130:131] neg_lo:[0,0,1] neg_hi:[0,0,1]
	v_mov_b32_e32 v117, v119
	s_delay_alu instid0(VALU_DEP_4) | instskip(SKIP_1) | instid1(VALU_DEP_2)
	v_pk_add_f32 v[114:115], v[114:115], 0 op_sel_hi:[1,0]
	v_pk_fma_f32 v[118:119], v[126:127], v[122:123], v[130:131] op_sel_hi:[1,0,1]
	v_pk_add_f32 v[114:115], v[114:115], v[116:117]
	s_delay_alu instid0(VALU_DEP_2) | instskip(NEXT) | instid1(VALU_DEP_1)
	v_mov_b32_e32 v121, v119
	v_pk_add_f32 v[114:115], v[114:115], v[120:121]
	s_wait_loadcnt 0x0
	s_delay_alu instid0(VALU_DEP_1)
	v_pk_add_f32 v[114:115], v[124:125], v[114:115] neg_lo:[0,1] neg_hi:[0,1]
	scratch_store_b64 off, v[114:115], off offset:416
	s_wait_xcnt 0x0
	v_cmpx_lt_u32_e32 51, v0
	s_cbranch_execz .LBB55_247
; %bb.246:
	scratch_load_b64 v[114:115], off, off offset:408
	v_mov_b64_e32 v[116:117], 0
	scratch_store_b64 off, v[116:117], off offset:408
	s_wait_loadcnt 0x0
	ds_store_b64 v1, v[114:115]
.LBB55_247:
	s_wait_xcnt 0x0
	s_or_b32 exec_lo, exec_lo, s0
	s_wait_storecnt_dscnt 0x0
	s_barrier_signal -1
	s_barrier_wait -1
	s_clause 0x2
	scratch_load_b128 v[114:117], off, off offset:416
	scratch_load_b128 v[118:121], off, off offset:432
	scratch_load_b64 v[130:131], off, off offset:408
	ds_load_b128 v[122:125], v7 offset:864
	ds_load_b128 v[126:129], v7 offset:880
	s_mov_b32 s0, exec_lo
	s_wait_dscnt 0x1
	v_dual_mov_b32 v132, v125 :: v_dual_mov_b32 v133, v124
	s_wait_loadcnt_dscnt 0x200
	v_dual_mov_b32 v138, v129 :: v_dual_mov_b32 v136, v117
	v_pk_mul_f32 v[134:135], v[122:123], v[114:115] op_sel:[1,1] op_sel_hi:[0,1]
	s_delay_alu instid0(VALU_DEP_2) | instskip(NEXT) | instid1(VALU_DEP_2)
	v_pk_mul_f32 v[132:133], v[132:133], v[136:137] op_sel_hi:[1,0]
	v_pk_fma_f32 v[140:141], v[122:123], v[114:115], v[134:135] op_sel_hi:[1,0,1]
	v_pk_fma_f32 v[114:115], v[122:123], v[114:115], v[134:135] neg_lo:[0,0,1] neg_hi:[0,0,1]
	v_mov_b32_e32 v139, v128
	s_wait_loadcnt 0x1
	v_pk_mul_f32 v[136:137], v[126:127], v[118:119] op_sel:[1,1] op_sel_hi:[0,1]
	v_pk_fma_f32 v[122:123], v[124:125], v[116:117], v[132:133] op_sel_hi:[1,0,1]
	v_dual_mov_b32 v115, v141 :: v_dual_mov_b32 v122, v121
	v_pk_fma_f32 v[116:117], v[124:125], v[116:117], v[132:133] neg_lo:[0,0,1] neg_hi:[0,0,1]
	s_delay_alu instid0(VALU_DEP_4) | instskip(NEXT) | instid1(VALU_DEP_4)
	v_pk_fma_f32 v[134:135], v[126:127], v[118:119], v[136:137] op_sel_hi:[1,0,1]
	v_mov_b32_e32 v117, v123
	s_delay_alu instid0(VALU_DEP_4) | instskip(SKIP_2) | instid1(VALU_DEP_3)
	v_pk_add_f32 v[114:115], v[114:115], 0 op_sel_hi:[1,0]
	v_pk_mul_f32 v[122:123], v[138:139], v[122:123] op_sel_hi:[1,0]
	v_pk_fma_f32 v[118:119], v[126:127], v[118:119], v[136:137] neg_lo:[0,0,1] neg_hi:[0,0,1]
	v_pk_add_f32 v[114:115], v[114:115], v[116:117]
	s_delay_alu instid0(VALU_DEP_3) | instskip(SKIP_2) | instid1(VALU_DEP_3)
	v_pk_fma_f32 v[116:117], v[128:129], v[120:121], v[122:123] op_sel_hi:[1,0,1]
	v_mov_b32_e32 v119, v135
	v_pk_fma_f32 v[120:121], v[128:129], v[120:121], v[122:123] neg_lo:[0,0,1] neg_hi:[0,0,1]
	v_mov_b32_e32 v121, v117
	s_delay_alu instid0(VALU_DEP_3) | instskip(NEXT) | instid1(VALU_DEP_1)
	v_pk_add_f32 v[114:115], v[114:115], v[118:119]
	v_pk_add_f32 v[114:115], v[114:115], v[120:121]
	s_wait_loadcnt 0x0
	s_delay_alu instid0(VALU_DEP_1)
	v_pk_add_f32 v[114:115], v[130:131], v[114:115] neg_lo:[0,1] neg_hi:[0,1]
	scratch_store_b64 off, v[114:115], off offset:408
	s_wait_xcnt 0x0
	v_cmpx_lt_u32_e32 50, v0
	s_cbranch_execz .LBB55_249
; %bb.248:
	scratch_load_b64 v[114:115], off, off offset:400
	v_mov_b64_e32 v[116:117], 0
	scratch_store_b64 off, v[116:117], off offset:400
	s_wait_loadcnt 0x0
	ds_store_b64 v1, v[114:115]
.LBB55_249:
	s_wait_xcnt 0x0
	s_or_b32 exec_lo, exec_lo, s0
	s_wait_storecnt_dscnt 0x0
	s_barrier_signal -1
	s_barrier_wait -1
	s_clause 0x3
	scratch_load_b128 v[114:117], off, off offset:408
	scratch_load_b128 v[118:121], off, off offset:424
	scratch_load_b64 v[130:131], off, off offset:440
	scratch_load_b64 v[132:133], off, off offset:400
	v_mov_b32_e32 v7, 0
	ds_load_2addr_b64 v[122:125], v7 offset0:107 offset1:108
	ds_load_2addr_b64 v[126:129], v7 offset0:109 offset1:110
	s_mov_b32 s0, exec_lo
	s_wait_dscnt 0x1
	v_dual_mov_b32 v134, v125 :: v_dual_mov_b32 v135, v124
	ds_load_b64 v[140:141], v7 offset:888
	s_wait_dscnt 0x1
	v_dual_mov_b32 v142, v129 :: v_dual_mov_b32 v143, v128
	s_wait_loadcnt 0x3
	v_pk_mul_f32 v[136:137], v[122:123], v[114:115] op_sel:[1,1] op_sel_hi:[0,1]
	v_mov_b32_e32 v138, v117
	s_delay_alu instid0(VALU_DEP_2) | instskip(NEXT) | instid1(VALU_DEP_2)
	v_pk_fma_f32 v[144:145], v[122:123], v[114:115], v[136:137] op_sel_hi:[1,0,1]
	v_pk_mul_f32 v[134:135], v[134:135], v[138:139] op_sel_hi:[1,0]
	v_pk_fma_f32 v[114:115], v[122:123], v[114:115], v[136:137] neg_lo:[0,0,1] neg_hi:[0,0,1]
	s_wait_loadcnt 0x2
	v_pk_mul_f32 v[138:139], v[126:127], v[118:119] op_sel:[1,1] op_sel_hi:[0,1]
	v_dual_mov_b32 v144, v121 :: v_dual_mov_b32 v115, v145
	v_pk_fma_f32 v[122:123], v[124:125], v[116:117], v[134:135] op_sel_hi:[1,0,1]
	v_pk_fma_f32 v[116:117], v[124:125], v[116:117], v[134:135] neg_lo:[0,0,1] neg_hi:[0,0,1]
	s_delay_alu instid0(VALU_DEP_4) | instskip(NEXT) | instid1(VALU_DEP_4)
	v_pk_fma_f32 v[136:137], v[126:127], v[118:119], v[138:139] op_sel_hi:[1,0,1]
	v_pk_mul_f32 v[142:143], v[142:143], v[144:145] op_sel_hi:[1,0]
	v_pk_add_f32 v[114:115], v[114:115], 0 op_sel_hi:[1,0]
	v_mov_b32_e32 v117, v123
	v_pk_fma_f32 v[118:119], v[126:127], v[118:119], v[138:139] neg_lo:[0,0,1] neg_hi:[0,0,1]
	v_mov_b32_e32 v119, v137
	v_pk_fma_f32 v[122:123], v[128:129], v[120:121], v[142:143] op_sel_hi:[1,0,1]
	v_pk_fma_f32 v[120:121], v[128:129], v[120:121], v[142:143] neg_lo:[0,0,1] neg_hi:[0,0,1]
	v_pk_add_f32 v[114:115], v[114:115], v[116:117]
	s_wait_loadcnt_dscnt 0x100
	v_pk_mul_f32 v[116:117], v[140:141], v[130:131] op_sel:[1,1] op_sel_hi:[0,1]
	s_delay_alu instid0(VALU_DEP_2) | instskip(NEXT) | instid1(VALU_DEP_2)
	v_pk_add_f32 v[114:115], v[114:115], v[118:119]
	v_pk_fma_f32 v[118:119], v[140:141], v[130:131], v[116:117] op_sel_hi:[1,0,1]
	v_mov_b32_e32 v121, v123
	v_pk_fma_f32 v[116:117], v[140:141], v[130:131], v[116:117] neg_lo:[0,0,1] neg_hi:[0,0,1]
	s_delay_alu instid0(VALU_DEP_3) | instskip(NEXT) | instid1(VALU_DEP_3)
	v_mov_b32_e32 v117, v119
	v_pk_add_f32 v[114:115], v[114:115], v[120:121]
	s_delay_alu instid0(VALU_DEP_1) | instskip(SKIP_1) | instid1(VALU_DEP_1)
	v_pk_add_f32 v[114:115], v[114:115], v[116:117]
	s_wait_loadcnt 0x0
	v_pk_add_f32 v[114:115], v[132:133], v[114:115] neg_lo:[0,1] neg_hi:[0,1]
	scratch_store_b64 off, v[114:115], off offset:400
	s_wait_xcnt 0x0
	v_cmpx_lt_u32_e32 49, v0
	s_cbranch_execz .LBB55_251
; %bb.250:
	scratch_load_b64 v[114:115], off, off offset:392
	v_mov_b64_e32 v[116:117], 0
	scratch_store_b64 off, v[116:117], off offset:392
	s_wait_loadcnt 0x0
	ds_store_b64 v1, v[114:115]
.LBB55_251:
	s_wait_xcnt 0x0
	s_or_b32 exec_lo, exec_lo, s0
	s_wait_storecnt_dscnt 0x0
	s_barrier_signal -1
	s_barrier_wait -1
	s_clause 0x3
	scratch_load_b128 v[114:117], off, off offset:400
	scratch_load_b128 v[118:121], off, off offset:416
	;; [unrolled: 1-line block ×3, first 2 shown]
	scratch_load_b64 v[138:139], off, off offset:392
	ds_load_b128 v[126:129], v7 offset:848
	ds_load_b128 v[130:133], v7 offset:864
	;; [unrolled: 1-line block ×3, first 2 shown]
	s_mov_b32 s0, exec_lo
	s_wait_dscnt 0x2
	v_dual_mov_b32 v140, v129 :: v_dual_mov_b32 v141, v128
	s_wait_dscnt 0x1
	v_dual_mov_b32 v142, v133 :: v_dual_mov_b32 v143, v132
	;; [unrolled: 2-line block ×3, first 2 shown]
	s_wait_loadcnt 0x3
	v_pk_mul_f32 v[144:145], v[126:127], v[114:115] op_sel:[1,1] op_sel_hi:[0,1]
	v_mov_b32_e32 v146, v117
	s_delay_alu instid0(VALU_DEP_2) | instskip(NEXT) | instid1(VALU_DEP_2)
	v_pk_fma_f32 v[150:151], v[126:127], v[114:115], v[144:145] op_sel_hi:[1,0,1]
	v_pk_mul_f32 v[140:141], v[140:141], v[146:147] op_sel_hi:[1,0]
	v_pk_fma_f32 v[114:115], v[126:127], v[114:115], v[144:145] neg_lo:[0,0,1] neg_hi:[0,0,1]
	s_wait_loadcnt 0x2
	v_pk_mul_f32 v[146:147], v[130:131], v[118:119] op_sel:[1,1] op_sel_hi:[0,1]
	v_mov_b32_e32 v150, v121
	v_pk_fma_f32 v[126:127], v[128:129], v[116:117], v[140:141] op_sel_hi:[1,0,1]
	v_mov_b32_e32 v115, v151
	v_pk_fma_f32 v[116:117], v[128:129], v[116:117], v[140:141] neg_lo:[0,0,1] neg_hi:[0,0,1]
	v_pk_fma_f32 v[144:145], v[130:131], v[118:119], v[146:147] op_sel_hi:[1,0,1]
	v_pk_mul_f32 v[142:143], v[142:143], v[150:151] op_sel_hi:[1,0]
	v_mov_b32_e32 v117, v127
	v_pk_add_f32 v[114:115], v[114:115], 0 op_sel_hi:[1,0]
	v_pk_fma_f32 v[118:119], v[130:131], v[118:119], v[146:147] neg_lo:[0,0,1] neg_hi:[0,0,1]
	s_wait_loadcnt 0x1
	v_pk_mul_f32 v[126:127], v[134:135], v[122:123] op_sel:[1,1] op_sel_hi:[0,1]
	v_mov_b32_e32 v119, v145
	v_pk_fma_f32 v[128:129], v[132:133], v[120:121], v[142:143] op_sel_hi:[1,0,1]
	v_pk_add_f32 v[114:115], v[114:115], v[116:117]
	v_mov_b32_e32 v116, v125
	v_pk_fma_f32 v[120:121], v[132:133], v[120:121], v[142:143] neg_lo:[0,0,1] neg_hi:[0,0,1]
	v_pk_fma_f32 v[130:131], v[134:135], v[122:123], v[126:127] op_sel_hi:[1,0,1]
	v_mov_b32_e32 v121, v129
	v_pk_add_f32 v[114:115], v[114:115], v[118:119]
	v_pk_mul_f32 v[116:117], v[148:149], v[116:117] op_sel_hi:[1,0]
	v_pk_fma_f32 v[118:119], v[134:135], v[122:123], v[126:127] neg_lo:[0,0,1] neg_hi:[0,0,1]
	v_mov_b32_e32 v119, v131
	s_delay_alu instid0(VALU_DEP_4) | instskip(NEXT) | instid1(VALU_DEP_4)
	v_pk_add_f32 v[114:115], v[114:115], v[120:121]
	v_pk_fma_f32 v[120:121], v[136:137], v[124:125], v[116:117] op_sel_hi:[1,0,1]
	v_pk_fma_f32 v[116:117], v[136:137], v[124:125], v[116:117] neg_lo:[0,0,1] neg_hi:[0,0,1]
	s_delay_alu instid0(VALU_DEP_3) | instskip(NEXT) | instid1(VALU_DEP_3)
	v_pk_add_f32 v[114:115], v[114:115], v[118:119]
	v_mov_b32_e32 v117, v121
	s_delay_alu instid0(VALU_DEP_1) | instskip(SKIP_1) | instid1(VALU_DEP_1)
	v_pk_add_f32 v[114:115], v[114:115], v[116:117]
	s_wait_loadcnt 0x0
	v_pk_add_f32 v[114:115], v[138:139], v[114:115] neg_lo:[0,1] neg_hi:[0,1]
	scratch_store_b64 off, v[114:115], off offset:392
	s_wait_xcnt 0x0
	v_cmpx_lt_u32_e32 48, v0
	s_cbranch_execz .LBB55_253
; %bb.252:
	scratch_load_b64 v[114:115], off, off offset:384
	v_mov_b64_e32 v[116:117], 0
	scratch_store_b64 off, v[116:117], off offset:384
	s_wait_loadcnt 0x0
	ds_store_b64 v1, v[114:115]
.LBB55_253:
	s_wait_xcnt 0x0
	s_or_b32 exec_lo, exec_lo, s0
	s_wait_storecnt_dscnt 0x0
	s_barrier_signal -1
	s_barrier_wait -1
	s_clause 0x4
	scratch_load_b128 v[114:117], off, off offset:392
	scratch_load_b128 v[118:121], off, off offset:408
	;; [unrolled: 1-line block ×3, first 2 shown]
	scratch_load_b64 v[138:139], off, off offset:440
	scratch_load_b64 v[140:141], off, off offset:384
	v_mov_b32_e32 v7, 0
	ds_load_2addr_b64 v[126:129], v7 offset0:105 offset1:106
	ds_load_2addr_b64 v[130:133], v7 offset0:107 offset1:108
	ds_load_2addr_b64 v[134:137], v7 offset0:109 offset1:110
	ds_load_b64 v[142:143], v7 offset:888
	s_mov_b32 s0, exec_lo
	s_wait_dscnt 0x3
	v_dual_mov_b32 v144, v129 :: v_dual_mov_b32 v145, v128
	s_wait_dscnt 0x2
	v_dual_mov_b32 v146, v133 :: v_dual_mov_b32 v147, v132
	;; [unrolled: 2-line block ×3, first 2 shown]
	s_wait_loadcnt 0x4
	v_pk_mul_f32 v[148:149], v[126:127], v[114:115] op_sel:[1,1] op_sel_hi:[0,1]
	v_mov_b32_e32 v150, v117
	s_wait_loadcnt 0x3
	v_pk_mul_f32 v[154:155], v[130:131], v[118:119] op_sel:[1,1] op_sel_hi:[0,1]
	s_wait_loadcnt 0x2
	v_pk_mul_f32 v[158:159], v[134:135], v[122:123] op_sel:[1,1] op_sel_hi:[0,1]
	v_pk_fma_f32 v[156:157], v[126:127], v[114:115], v[148:149] op_sel_hi:[1,0,1]
	v_pk_mul_f32 v[144:145], v[144:145], v[150:151] op_sel_hi:[1,0]
	v_pk_fma_f32 v[114:115], v[126:127], v[114:115], v[148:149] neg_lo:[0,0,1] neg_hi:[0,0,1]
	v_mov_b32_e32 v150, v121
	v_pk_fma_f32 v[148:149], v[130:131], v[118:119], v[154:155] op_sel_hi:[1,0,1]
	v_mov_b32_e32 v115, v157
	v_pk_fma_f32 v[126:127], v[128:129], v[116:117], v[144:145] op_sel_hi:[1,0,1]
	v_pk_fma_f32 v[116:117], v[128:129], v[116:117], v[144:145] neg_lo:[0,0,1] neg_hi:[0,0,1]
	v_pk_mul_f32 v[146:147], v[146:147], v[150:151] op_sel_hi:[1,0]
	v_pk_fma_f32 v[118:119], v[130:131], v[118:119], v[154:155] neg_lo:[0,0,1] neg_hi:[0,0,1]
	v_pk_add_f32 v[114:115], v[114:115], 0 op_sel_hi:[1,0]
	v_dual_mov_b32 v117, v127 :: v_dual_mov_b32 v126, v125
	s_delay_alu instid0(VALU_DEP_4) | instskip(SKIP_2) | instid1(VALU_DEP_4)
	v_pk_fma_f32 v[128:129], v[132:133], v[120:121], v[146:147] op_sel_hi:[1,0,1]
	v_mov_b32_e32 v119, v149
	v_pk_fma_f32 v[120:121], v[132:133], v[120:121], v[146:147] neg_lo:[0,0,1] neg_hi:[0,0,1]
	v_pk_add_f32 v[114:115], v[114:115], v[116:117]
	v_pk_fma_f32 v[116:117], v[134:135], v[122:123], v[158:159] op_sel_hi:[1,0,1]
	v_pk_mul_f32 v[126:127], v[152:153], v[126:127] op_sel_hi:[1,0]
	v_mov_b32_e32 v121, v129
	s_delay_alu instid0(VALU_DEP_4)
	v_pk_add_f32 v[114:115], v[114:115], v[118:119]
	v_pk_fma_f32 v[118:119], v[134:135], v[122:123], v[158:159] neg_lo:[0,0,1] neg_hi:[0,0,1]
	v_mov_b32_e32 v119, v117
	v_pk_fma_f32 v[116:117], v[136:137], v[124:125], v[126:127] op_sel_hi:[1,0,1]
	v_pk_fma_f32 v[122:123], v[136:137], v[124:125], v[126:127] neg_lo:[0,0,1] neg_hi:[0,0,1]
	v_pk_add_f32 v[114:115], v[114:115], v[120:121]
	s_wait_loadcnt_dscnt 0x100
	v_pk_mul_f32 v[120:121], v[142:143], v[138:139] op_sel:[1,1] op_sel_hi:[0,1]
	v_mov_b32_e32 v123, v117
	s_delay_alu instid0(VALU_DEP_3) | instskip(NEXT) | instid1(VALU_DEP_3)
	v_pk_add_f32 v[114:115], v[114:115], v[118:119]
	v_pk_fma_f32 v[116:117], v[142:143], v[138:139], v[120:121] op_sel_hi:[1,0,1]
	v_pk_fma_f32 v[118:119], v[142:143], v[138:139], v[120:121] neg_lo:[0,0,1] neg_hi:[0,0,1]
	s_delay_alu instid0(VALU_DEP_3) | instskip(NEXT) | instid1(VALU_DEP_3)
	v_pk_add_f32 v[114:115], v[114:115], v[122:123]
	v_mov_b32_e32 v119, v117
	s_delay_alu instid0(VALU_DEP_1) | instskip(SKIP_1) | instid1(VALU_DEP_1)
	v_pk_add_f32 v[114:115], v[114:115], v[118:119]
	s_wait_loadcnt 0x0
	v_pk_add_f32 v[114:115], v[140:141], v[114:115] neg_lo:[0,1] neg_hi:[0,1]
	scratch_store_b64 off, v[114:115], off offset:384
	s_wait_xcnt 0x0
	v_cmpx_lt_u32_e32 47, v0
	s_cbranch_execz .LBB55_255
; %bb.254:
	scratch_load_b64 v[114:115], off, off offset:376
	v_mov_b64_e32 v[116:117], 0
	scratch_store_b64 off, v[116:117], off offset:376
	s_wait_loadcnt 0x0
	ds_store_b64 v1, v[114:115]
.LBB55_255:
	s_wait_xcnt 0x0
	s_or_b32 exec_lo, exec_lo, s0
	s_wait_storecnt_dscnt 0x0
	s_barrier_signal -1
	s_barrier_wait -1
	s_clause 0x4
	scratch_load_b128 v[114:117], off, off offset:384
	scratch_load_b128 v[118:121], off, off offset:400
	;; [unrolled: 1-line block ×4, first 2 shown]
	scratch_load_b64 v[146:147], off, off offset:376
	ds_load_b128 v[130:133], v7 offset:832
	ds_load_b128 v[134:137], v7 offset:848
	;; [unrolled: 1-line block ×4, first 2 shown]
	s_mov_b32 s0, exec_lo
	s_wait_dscnt 0x3
	v_dual_mov_b32 v148, v133 :: v_dual_mov_b32 v149, v132
	s_wait_dscnt 0x2
	v_dual_mov_b32 v150, v137 :: v_dual_mov_b32 v151, v136
	;; [unrolled: 2-line block ×3, first 2 shown]
	v_dual_mov_b32 v153, v140 :: v_dual_mov_b32 v158, v145
	s_wait_loadcnt 0x4
	v_mov_b32_e32 v156, v117
	v_pk_mul_f32 v[154:155], v[130:131], v[114:115] op_sel:[1,1] op_sel_hi:[0,1]
	s_wait_loadcnt 0x3
	v_pk_mul_f32 v[160:161], v[134:135], v[118:119] op_sel:[1,1] op_sel_hi:[0,1]
	s_wait_loadcnt 0x2
	v_pk_mul_f32 v[164:165], v[138:139], v[122:123] op_sel:[1,1] op_sel_hi:[0,1]
	v_pk_mul_f32 v[148:149], v[148:149], v[156:157] op_sel_hi:[1,0]
	v_pk_fma_f32 v[162:163], v[130:131], v[114:115], v[154:155] op_sel_hi:[1,0,1]
	v_pk_fma_f32 v[114:115], v[130:131], v[114:115], v[154:155] neg_lo:[0,0,1] neg_hi:[0,0,1]
	v_mov_b32_e32 v156, v121
	v_pk_fma_f32 v[154:155], v[134:135], v[118:119], v[160:161] op_sel_hi:[1,0,1]
	v_pk_fma_f32 v[130:131], v[132:133], v[116:117], v[148:149] op_sel_hi:[1,0,1]
	v_mov_b32_e32 v115, v163
	v_pk_fma_f32 v[116:117], v[132:133], v[116:117], v[148:149] neg_lo:[0,0,1] neg_hi:[0,0,1]
	v_pk_mul_f32 v[150:151], v[150:151], v[156:157] op_sel_hi:[1,0]
	s_delay_alu instid0(VALU_DEP_4) | instskip(NEXT) | instid1(VALU_DEP_4)
	v_dual_mov_b32 v130, v125 :: v_dual_mov_b32 v117, v131
	v_pk_add_f32 v[114:115], v[114:115], 0 op_sel_hi:[1,0]
	v_pk_fma_f32 v[118:119], v[134:135], v[118:119], v[160:161] neg_lo:[0,0,1] neg_hi:[0,0,1]
	v_mov_b32_e32 v119, v155
	v_pk_fma_f32 v[132:133], v[136:137], v[120:121], v[150:151] op_sel_hi:[1,0,1]
	v_pk_mul_f32 v[130:131], v[152:153], v[130:131] op_sel_hi:[1,0]
	v_pk_add_f32 v[114:115], v[114:115], v[116:117]
	v_pk_fma_f32 v[116:117], v[138:139], v[122:123], v[164:165] op_sel_hi:[1,0,1]
	v_pk_fma_f32 v[120:121], v[136:137], v[120:121], v[150:151] neg_lo:[0,0,1] neg_hi:[0,0,1]
	v_mov_b32_e32 v121, v133
	v_pk_fma_f32 v[122:123], v[138:139], v[122:123], v[164:165] neg_lo:[0,0,1] neg_hi:[0,0,1]
	v_pk_add_f32 v[114:115], v[114:115], v[118:119]
	v_mov_b32_e32 v123, v117
	v_pk_fma_f32 v[116:117], v[140:141], v[124:125], v[130:131] op_sel_hi:[1,0,1]
	s_wait_loadcnt 0x1
	v_pk_mul_f32 v[118:119], v[142:143], v[126:127] op_sel:[1,1] op_sel_hi:[0,1]
	v_mov_b32_e32 v116, v129
	v_pk_add_f32 v[114:115], v[114:115], v[120:121]
	v_pk_fma_f32 v[124:125], v[140:141], v[124:125], v[130:131] neg_lo:[0,0,1] neg_hi:[0,0,1]
	v_mov_b32_e32 v125, v117
	v_pk_fma_f32 v[120:121], v[142:143], v[126:127], v[118:119] op_sel_hi:[1,0,1]
	v_pk_mul_f32 v[116:117], v[158:159], v[116:117] op_sel_hi:[1,0]
	v_pk_add_f32 v[114:115], v[114:115], v[122:123]
	v_pk_fma_f32 v[118:119], v[142:143], v[126:127], v[118:119] neg_lo:[0,0,1] neg_hi:[0,0,1]
	s_delay_alu instid0(VALU_DEP_4) | instskip(NEXT) | instid1(VALU_DEP_4)
	v_mov_b32_e32 v119, v121
	v_pk_fma_f32 v[120:121], v[144:145], v[128:129], v[116:117] op_sel_hi:[1,0,1]
	s_delay_alu instid0(VALU_DEP_4) | instskip(SKIP_1) | instid1(VALU_DEP_3)
	v_pk_add_f32 v[114:115], v[114:115], v[124:125]
	v_pk_fma_f32 v[116:117], v[144:145], v[128:129], v[116:117] neg_lo:[0,0,1] neg_hi:[0,0,1]
	v_mov_b32_e32 v117, v121
	s_delay_alu instid0(VALU_DEP_3) | instskip(NEXT) | instid1(VALU_DEP_1)
	v_pk_add_f32 v[114:115], v[114:115], v[118:119]
	v_pk_add_f32 v[114:115], v[114:115], v[116:117]
	s_wait_loadcnt 0x0
	s_delay_alu instid0(VALU_DEP_1)
	v_pk_add_f32 v[114:115], v[146:147], v[114:115] neg_lo:[0,1] neg_hi:[0,1]
	scratch_store_b64 off, v[114:115], off offset:376
	s_wait_xcnt 0x0
	v_cmpx_lt_u32_e32 46, v0
	s_cbranch_execz .LBB55_257
; %bb.256:
	scratch_load_b64 v[114:115], off, off offset:368
	v_mov_b64_e32 v[116:117], 0
	scratch_store_b64 off, v[116:117], off offset:368
	s_wait_loadcnt 0x0
	ds_store_b64 v1, v[114:115]
.LBB55_257:
	s_wait_xcnt 0x0
	s_or_b32 exec_lo, exec_lo, s0
	s_wait_storecnt_dscnt 0x0
	s_barrier_signal -1
	s_barrier_wait -1
	s_clause 0x5
	scratch_load_b128 v[114:117], off, off offset:376
	scratch_load_b128 v[118:121], off, off offset:392
	;; [unrolled: 1-line block ×4, first 2 shown]
	scratch_load_b64 v[146:147], off, off offset:440
	scratch_load_b64 v[148:149], off, off offset:368
	v_mov_b32_e32 v7, 0
	ds_load_2addr_b64 v[130:133], v7 offset0:103 offset1:104
	ds_load_2addr_b64 v[134:137], v7 offset0:105 offset1:106
	;; [unrolled: 1-line block ×4, first 2 shown]
	ds_load_b64 v[150:151], v7 offset:888
	s_mov_b32 s0, exec_lo
	s_wait_dscnt 0x4
	v_dual_mov_b32 v152, v133 :: v_dual_mov_b32 v153, v132
	s_wait_dscnt 0x1
	v_dual_mov_b32 v154, v137 :: v_dual_mov_b32 v159, v144
	v_dual_mov_b32 v155, v136 :: v_dual_mov_b32 v156, v141
	;; [unrolled: 1-line block ×3, first 2 shown]
	s_wait_loadcnt 0x5
	v_dual_mov_b32 v160, v117 :: v_dual_mul_f32 v161, v130, v115
	v_mul_f32_e32 v9, v131, v115
	s_wait_loadcnt 0x4
	v_pk_mul_f32 v[162:163], v[134:135], v[118:119] op_sel:[1,1] op_sel_hi:[0,1]
	v_mov_b32_e32 v164, v121
	s_wait_loadcnt 0x3
	v_pk_mul_f32 v[166:167], v[138:139], v[122:123] op_sel:[1,1] op_sel_hi:[0,1]
	v_pk_mul_f32 v[152:153], v[152:153], v[160:161] op_sel_hi:[1,0]
	v_fmac_f32_e32 v161, v131, v114
	v_dual_fma_f32 v160, v130, v114, -v9 :: v_dual_mov_b32 v114, v125
	v_pk_fma_f32 v[168:169], v[134:135], v[118:119], v[162:163] op_sel_hi:[1,0,1]
	s_delay_alu instid0(VALU_DEP_4)
	v_pk_fma_f32 v[130:131], v[132:133], v[116:117], v[152:153] op_sel_hi:[1,0,1]
	v_pk_fma_f32 v[116:117], v[132:133], v[116:117], v[152:153] neg_lo:[0,0,1] neg_hi:[0,0,1]
	v_pk_mul_f32 v[154:155], v[154:155], v[164:165] op_sel_hi:[1,0]
	v_pk_add_f32 v[160:161], v[160:161], 0 op_sel_hi:[1,0]
	v_pk_fma_f32 v[118:119], v[134:135], v[118:119], v[162:163] neg_lo:[0,0,1] neg_hi:[0,0,1]
	v_dual_mov_b32 v117, v131 :: v_dual_mov_b32 v119, v169
	s_delay_alu instid0(VALU_DEP_4) | instskip(SKIP_2) | instid1(VALU_DEP_4)
	v_pk_fma_f32 v[132:133], v[136:137], v[120:121], v[154:155] op_sel_hi:[1,0,1]
	v_pk_fma_f32 v[120:121], v[136:137], v[120:121], v[154:155] neg_lo:[0,0,1] neg_hi:[0,0,1]
	v_pk_fma_f32 v[134:135], v[138:139], v[122:123], v[166:167] op_sel_hi:[1,0,1]
	v_pk_add_f32 v[116:117], v[160:161], v[116:117]
	v_pk_mul_f32 v[114:115], v[156:157], v[114:115] op_sel_hi:[1,0]
	v_mov_b32_e32 v121, v133
	v_pk_fma_f32 v[122:123], v[138:139], v[122:123], v[166:167] neg_lo:[0,0,1] neg_hi:[0,0,1]
	s_wait_loadcnt 0x2
	v_pk_mul_f32 v[130:131], v[142:143], v[126:127] op_sel:[1,1] op_sel_hi:[0,1]
	v_pk_add_f32 v[116:117], v[116:117], v[118:119]
	v_mov_b32_e32 v118, v129
	v_pk_fma_f32 v[132:133], v[140:141], v[124:125], v[114:115] op_sel_hi:[1,0,1]
	v_mov_b32_e32 v123, v135
	v_pk_fma_f32 v[114:115], v[140:141], v[124:125], v[114:115] neg_lo:[0,0,1] neg_hi:[0,0,1]
	v_pk_add_f32 v[116:117], v[116:117], v[120:121]
	v_pk_fma_f32 v[120:121], v[142:143], v[126:127], v[130:131] op_sel_hi:[1,0,1]
	v_pk_mul_f32 v[118:119], v[158:159], v[118:119] op_sel_hi:[1,0]
	v_mov_b32_e32 v115, v133
	s_delay_alu instid0(VALU_DEP_4)
	v_pk_add_f32 v[116:117], v[116:117], v[122:123]
	v_pk_fma_f32 v[122:123], v[142:143], v[126:127], v[130:131] neg_lo:[0,0,1] neg_hi:[0,0,1]
	v_mov_b32_e32 v123, v121
	v_pk_fma_f32 v[120:121], v[144:145], v[128:129], v[118:119] op_sel_hi:[1,0,1]
	v_pk_fma_f32 v[118:119], v[144:145], v[128:129], v[118:119] neg_lo:[0,0,1] neg_hi:[0,0,1]
	v_pk_add_f32 v[114:115], v[116:117], v[114:115]
	s_wait_loadcnt_dscnt 0x100
	v_pk_mul_f32 v[116:117], v[150:151], v[146:147] op_sel:[1,1] op_sel_hi:[0,1]
	v_mov_b32_e32 v119, v121
	s_delay_alu instid0(VALU_DEP_3) | instskip(NEXT) | instid1(VALU_DEP_3)
	v_pk_add_f32 v[114:115], v[114:115], v[122:123]
	v_pk_fma_f32 v[120:121], v[150:151], v[146:147], v[116:117] op_sel_hi:[1,0,1]
	v_pk_fma_f32 v[116:117], v[150:151], v[146:147], v[116:117] neg_lo:[0,0,1] neg_hi:[0,0,1]
	s_delay_alu instid0(VALU_DEP_3) | instskip(NEXT) | instid1(VALU_DEP_3)
	v_pk_add_f32 v[114:115], v[114:115], v[118:119]
	v_mov_b32_e32 v117, v121
	s_delay_alu instid0(VALU_DEP_1) | instskip(SKIP_1) | instid1(VALU_DEP_1)
	v_pk_add_f32 v[114:115], v[114:115], v[116:117]
	s_wait_loadcnt 0x0
	v_pk_add_f32 v[114:115], v[148:149], v[114:115] neg_lo:[0,1] neg_hi:[0,1]
	scratch_store_b64 off, v[114:115], off offset:368
	s_wait_xcnt 0x0
	v_cmpx_lt_u32_e32 45, v0
	s_cbranch_execz .LBB55_259
; %bb.258:
	scratch_load_b64 v[114:115], off, off offset:360
	v_mov_b64_e32 v[116:117], 0
	scratch_store_b64 off, v[116:117], off offset:360
	s_wait_loadcnt 0x0
	ds_store_b64 v1, v[114:115]
.LBB55_259:
	s_wait_xcnt 0x0
	s_or_b32 exec_lo, exec_lo, s0
	s_wait_storecnt_dscnt 0x0
	s_barrier_signal -1
	s_barrier_wait -1
	s_clause 0x5
	scratch_load_b128 v[114:117], off, off offset:368
	scratch_load_b128 v[118:121], off, off offset:384
	;; [unrolled: 1-line block ×5, first 2 shown]
	scratch_load_b64 v[154:155], off, off offset:360
	ds_load_b128 v[134:137], v7 offset:832
	ds_load_b128 v[138:141], v7 offset:848
	;; [unrolled: 1-line block ×5, first 2 shown]
	s_mov_b32 s0, exec_lo
	s_wait_dscnt 0x4
	v_dual_mov_b32 v156, v137 :: v_dual_mov_b32 v157, v136
	s_wait_dscnt 0x3
	v_dual_mov_b32 v158, v141 :: v_dual_mov_b32 v159, v140
	;; [unrolled: 2-line block ×4, first 2 shown]
	s_wait_loadcnt_dscnt 0x500
	v_dual_mul_f32 v165, v150, v115 :: v_dual_mul_f32 v167, v152, v117
	v_dual_mul_f32 v7, v151, v115 :: v_dual_mul_f32 v9, v153, v117
	s_wait_loadcnt 0x4
	v_pk_mul_f32 v[168:169], v[134:135], v[118:119] op_sel:[1,1] op_sel_hi:[0,1]
	s_wait_loadcnt 0x3
	v_dual_mov_b32 v170, v121 :: v_dual_mov_b32 v174, v125
	v_dual_fmac_f32 v165, v151, v114 :: v_dual_fma_f32 v164, v150, v114, -v7
	v_dual_fmac_f32 v167, v153, v116 :: v_dual_fma_f32 v166, v152, v116, -v9
	v_pk_fma_f32 v[114:115], v[134:135], v[118:119], v[168:169] op_sel_hi:[1,0,1]
	s_delay_alu instid0(VALU_DEP_4) | instskip(NEXT) | instid1(VALU_DEP_4)
	v_pk_mul_f32 v[116:117], v[156:157], v[170:171] op_sel_hi:[1,0]
	v_pk_add_f32 v[150:151], v[164:165], 0 op_sel_hi:[1,0]
	v_pk_fma_f32 v[118:119], v[134:135], v[118:119], v[168:169] neg_lo:[0,0,1] neg_hi:[0,0,1]
	v_pk_mul_f32 v[172:173], v[138:139], v[122:123] op_sel:[1,1] op_sel_hi:[0,1]
	v_mov_b32_e32 v119, v115
	v_pk_fma_f32 v[114:115], v[136:137], v[120:121], v[116:117] op_sel_hi:[1,0,1]
	v_pk_add_f32 v[134:135], v[150:151], v[166:167]
	v_pk_fma_f32 v[116:117], v[136:137], v[120:121], v[116:117] neg_lo:[0,0,1] neg_hi:[0,0,1]
	v_pk_fma_f32 v[150:151], v[138:139], v[122:123], v[172:173] op_sel_hi:[1,0,1]
	v_pk_mul_f32 v[156:157], v[158:159], v[174:175] op_sel_hi:[1,0]
	v_mov_b32_e32 v117, v115
	v_pk_add_f32 v[114:115], v[134:135], v[118:119]
	s_wait_loadcnt 0x2
	v_pk_mul_f32 v[152:153], v[142:143], v[126:127] op_sel:[1,1] op_sel_hi:[0,1]
	v_mov_b32_e32 v118, v129
	v_pk_fma_f32 v[120:121], v[138:139], v[122:123], v[172:173] neg_lo:[0,0,1] neg_hi:[0,0,1]
	v_mov_b32_e32 v121, v151
	v_pk_fma_f32 v[122:123], v[140:141], v[124:125], v[156:157] op_sel_hi:[1,0,1]
	v_pk_add_f32 v[114:115], v[114:115], v[116:117]
	v_pk_fma_f32 v[116:117], v[142:143], v[126:127], v[152:153] op_sel_hi:[1,0,1]
	v_pk_mul_f32 v[118:119], v[160:161], v[118:119] op_sel_hi:[1,0]
	v_pk_fma_f32 v[124:125], v[140:141], v[124:125], v[156:157] neg_lo:[0,0,1] neg_hi:[0,0,1]
	v_mov_b32_e32 v125, v123
	v_pk_add_f32 v[114:115], v[114:115], v[120:121]
	v_pk_fma_f32 v[122:123], v[142:143], v[126:127], v[152:153] neg_lo:[0,0,1] neg_hi:[0,0,1]
	v_mov_b32_e32 v123, v117
	v_pk_fma_f32 v[116:117], v[144:145], v[128:129], v[118:119] op_sel_hi:[1,0,1]
	s_wait_loadcnt 0x1
	v_pk_mul_f32 v[120:121], v[146:147], v[130:131] op_sel:[1,1] op_sel_hi:[0,1]
	v_pk_add_f32 v[114:115], v[114:115], v[124:125]
	v_mov_b32_e32 v116, v133
	v_pk_fma_f32 v[118:119], v[144:145], v[128:129], v[118:119] neg_lo:[0,0,1] neg_hi:[0,0,1]
	v_mov_b32_e32 v119, v117
	v_pk_fma_f32 v[124:125], v[146:147], v[130:131], v[120:121] op_sel_hi:[1,0,1]
	v_pk_add_f32 v[114:115], v[114:115], v[122:123]
	v_pk_mul_f32 v[116:117], v[162:163], v[116:117] op_sel_hi:[1,0]
	v_pk_fma_f32 v[120:121], v[146:147], v[130:131], v[120:121] neg_lo:[0,0,1] neg_hi:[0,0,1]
	s_delay_alu instid0(VALU_DEP_3) | instskip(NEXT) | instid1(VALU_DEP_3)
	v_pk_add_f32 v[114:115], v[114:115], v[118:119]
	v_pk_fma_f32 v[118:119], v[148:149], v[132:133], v[116:117] op_sel_hi:[1,0,1]
	v_mov_b32_e32 v121, v125
	v_pk_fma_f32 v[116:117], v[148:149], v[132:133], v[116:117] neg_lo:[0,0,1] neg_hi:[0,0,1]
	s_delay_alu instid0(VALU_DEP_3) | instskip(NEXT) | instid1(VALU_DEP_3)
	v_mov_b32_e32 v117, v119
	v_pk_add_f32 v[114:115], v[114:115], v[120:121]
	s_delay_alu instid0(VALU_DEP_1) | instskip(SKIP_1) | instid1(VALU_DEP_1)
	v_pk_add_f32 v[114:115], v[114:115], v[116:117]
	s_wait_loadcnt 0x0
	v_pk_add_f32 v[114:115], v[154:155], v[114:115] neg_lo:[0,1] neg_hi:[0,1]
	scratch_store_b64 off, v[114:115], off offset:360
	s_wait_xcnt 0x0
	v_cmpx_lt_u32_e32 44, v0
	s_cbranch_execz .LBB55_261
; %bb.260:
	scratch_load_b64 v[114:115], off, off offset:352
	v_mov_b64_e32 v[116:117], 0
	scratch_store_b64 off, v[116:117], off offset:352
	s_wait_loadcnt 0x0
	ds_store_b64 v1, v[114:115]
.LBB55_261:
	s_wait_xcnt 0x0
	s_or_b32 exec_lo, exec_lo, s0
	s_wait_storecnt_dscnt 0x0
	s_barrier_signal -1
	s_barrier_wait -1
	s_clause 0x6
	scratch_load_b128 v[114:117], off, off offset:360
	scratch_load_b128 v[118:121], off, off offset:376
	scratch_load_b128 v[122:125], off, off offset:392
	scratch_load_b128 v[126:129], off, off offset:408
	scratch_load_b128 v[130:133], off, off offset:424
	scratch_load_b64 v[154:155], off, off offset:440
	scratch_load_b64 v[156:157], off, off offset:352
	v_mov_b32_e32 v7, 0
	ds_load_2addr_b64 v[134:137], v7 offset0:103 offset1:104
	ds_load_2addr_b64 v[138:141], v7 offset0:105 offset1:106
	;; [unrolled: 1-line block ×5, first 2 shown]
	ds_load_b64 v[158:159], v7 offset:888
	s_mov_b32 s0, exec_lo
	s_wait_dscnt 0x5
	v_dual_mov_b32 v160, v137 :: v_dual_mov_b32 v161, v136
	s_wait_dscnt 0x2
	v_dual_mov_b32 v162, v141 :: v_dual_mov_b32 v167, v148
	v_dual_mov_b32 v163, v140 :: v_dual_mov_b32 v164, v145
	;; [unrolled: 1-line block ×3, first 2 shown]
	s_wait_loadcnt_dscnt 0x601
	v_dual_mul_f32 v9, v150, v115 :: v_dual_mul_f32 v11, v151, v115
	v_dual_mul_f32 v13, v153, v117 :: v_dual_mul_f32 v169, v152, v117
	s_wait_loadcnt 0x5
	v_dual_mul_f32 v171, v134, v119 :: v_dual_mul_f32 v15, v135, v119
	s_wait_loadcnt 0x4
	v_dual_mov_b32 v170, v121 :: v_dual_mov_b32 v174, v125
	v_dual_fmac_f32 v9, v151, v114 :: v_dual_fma_f32 v11, v150, v114, -v11
	v_fmac_f32_e32 v169, v153, v116
	v_pk_mul_f32 v[172:173], v[138:139], v[122:123] op_sel:[1,1] op_sel_hi:[0,1]
	s_delay_alu instid0(VALU_DEP_3)
	v_dual_fma_f32 v168, v152, v116, -v13 :: v_dual_add_f32 v117, 0, v9
	v_pk_mul_f32 v[114:115], v[160:161], v[170:171] op_sel_hi:[1,0]
	s_wait_loadcnt 0x3
	v_dual_add_f32 v116, 0, v11 :: v_dual_mov_b32 v150, v129
	v_fmac_f32_e32 v171, v135, v118
	v_fma_f32 v170, v134, v118, -v15
	v_pk_fma_f32 v[118:119], v[136:137], v[120:121], v[114:115] op_sel_hi:[1,0,1]
	s_delay_alu instid0(VALU_DEP_4) | instskip(SKIP_4) | instid1(VALU_DEP_4)
	v_pk_add_f32 v[116:117], v[116:117], v[168:169]
	v_pk_fma_f32 v[134:135], v[138:139], v[122:123], v[172:173] op_sel_hi:[1,0,1]
	v_pk_fma_f32 v[114:115], v[136:137], v[120:121], v[114:115] neg_lo:[0,0,1] neg_hi:[0,0,1]
	v_pk_fma_f32 v[120:121], v[138:139], v[122:123], v[172:173] neg_lo:[0,0,1] neg_hi:[0,0,1]
	v_pk_mul_f32 v[152:153], v[162:163], v[174:175] op_sel_hi:[1,0]
	v_dual_mov_b32 v115, v119 :: v_dual_mov_b32 v121, v135
	v_pk_add_f32 v[116:117], v[116:117], v[170:171]
	v_pk_mul_f32 v[176:177], v[142:143], v[126:127] op_sel:[1,1] op_sel_hi:[0,1]
	s_delay_alu instid0(VALU_DEP_4)
	v_pk_fma_f32 v[122:123], v[140:141], v[124:125], v[152:153] op_sel_hi:[1,0,1]
	v_pk_fma_f32 v[124:125], v[140:141], v[124:125], v[152:153] neg_lo:[0,0,1] neg_hi:[0,0,1]
	v_pk_mul_f32 v[134:135], v[164:165], v[150:151] op_sel_hi:[1,0]
	v_pk_add_f32 v[114:115], v[116:117], v[114:115]
	v_pk_fma_f32 v[116:117], v[142:143], v[126:127], v[176:177] op_sel_hi:[1,0,1]
	s_wait_loadcnt 0x2
	v_dual_mov_b32 v125, v123 :: v_dual_mov_b32 v116, v133
	v_pk_mul_f32 v[118:119], v[146:147], v[130:131] op_sel:[1,1] op_sel_hi:[0,1]
	v_pk_add_f32 v[114:115], v[114:115], v[120:121]
	v_pk_fma_f32 v[120:121], v[142:143], v[126:127], v[176:177] neg_lo:[0,0,1] neg_hi:[0,0,1]
	v_pk_fma_f32 v[122:123], v[144:145], v[128:129], v[134:135] op_sel_hi:[1,0,1]
	v_mov_b32_e32 v121, v117
	v_pk_fma_f32 v[126:127], v[144:145], v[128:129], v[134:135] neg_lo:[0,0,1] neg_hi:[0,0,1]
	v_pk_add_f32 v[114:115], v[114:115], v[124:125]
	v_pk_fma_f32 v[124:125], v[146:147], v[130:131], v[118:119] op_sel_hi:[1,0,1]
	v_pk_mul_f32 v[116:117], v[166:167], v[116:117] op_sel_hi:[1,0]
	v_mov_b32_e32 v127, v123
	v_pk_fma_f32 v[118:119], v[146:147], v[130:131], v[118:119] neg_lo:[0,0,1] neg_hi:[0,0,1]
	v_pk_add_f32 v[114:115], v[114:115], v[120:121]
	s_wait_loadcnt_dscnt 0x100
	v_pk_mul_f32 v[122:123], v[158:159], v[154:155] op_sel:[1,1] op_sel_hi:[0,1]
	v_pk_fma_f32 v[120:121], v[148:149], v[132:133], v[116:117] op_sel_hi:[1,0,1]
	v_mov_b32_e32 v119, v125
	v_pk_fma_f32 v[116:117], v[148:149], v[132:133], v[116:117] neg_lo:[0,0,1] neg_hi:[0,0,1]
	v_pk_add_f32 v[114:115], v[114:115], v[126:127]
	s_delay_alu instid0(VALU_DEP_4) | instskip(SKIP_1) | instid1(VALU_DEP_3)
	v_mov_b32_e32 v117, v121
	v_pk_fma_f32 v[120:121], v[158:159], v[154:155], v[122:123] neg_lo:[0,0,1] neg_hi:[0,0,1]
	v_pk_add_f32 v[114:115], v[114:115], v[118:119]
	v_pk_fma_f32 v[118:119], v[158:159], v[154:155], v[122:123] op_sel_hi:[1,0,1]
	s_delay_alu instid0(VALU_DEP_2) | instskip(NEXT) | instid1(VALU_DEP_2)
	v_pk_add_f32 v[114:115], v[114:115], v[116:117]
	v_mov_b32_e32 v121, v119
	s_delay_alu instid0(VALU_DEP_1) | instskip(SKIP_1) | instid1(VALU_DEP_1)
	v_pk_add_f32 v[114:115], v[114:115], v[120:121]
	s_wait_loadcnt 0x0
	v_pk_add_f32 v[114:115], v[156:157], v[114:115] neg_lo:[0,1] neg_hi:[0,1]
	scratch_store_b64 off, v[114:115], off offset:352
	s_wait_xcnt 0x0
	v_cmpx_lt_u32_e32 43, v0
	s_cbranch_execz .LBB55_263
; %bb.262:
	scratch_load_b64 v[114:115], off, off offset:344
	v_mov_b64_e32 v[116:117], 0
	scratch_store_b64 off, v[116:117], off offset:344
	s_wait_loadcnt 0x0
	ds_store_b64 v1, v[114:115]
.LBB55_263:
	s_wait_xcnt 0x0
	s_or_b32 exec_lo, exec_lo, s0
	s_wait_storecnt_dscnt 0x0
	s_barrier_signal -1
	s_barrier_wait -1
	s_clause 0x6
	scratch_load_b128 v[114:117], off, off offset:352
	scratch_load_b128 v[118:121], off, off offset:368
	;; [unrolled: 1-line block ×6, first 2 shown]
	scratch_load_b64 v[162:163], off, off offset:344
	ds_load_b128 v[138:141], v7 offset:832
	ds_load_b128 v[142:145], v7 offset:848
	ds_load_b128 v[146:149], v7 offset:864
	ds_load_b128 v[150:153], v7 offset:880
	ds_load_b128 v[154:157], v7 offset:800
	ds_load_b128 v[158:161], v7 offset:816
	s_mov_b32 s0, exec_lo
	s_wait_dscnt 0x5
	v_dual_mov_b32 v164, v141 :: v_dual_mov_b32 v165, v140
	s_wait_dscnt 0x4
	v_dual_mov_b32 v166, v145 :: v_dual_mov_b32 v167, v144
	;; [unrolled: 2-line block ×4, first 2 shown]
	s_wait_loadcnt_dscnt 0x601
	v_dual_mul_f32 v7, v154, v115 :: v_dual_mul_f32 v9, v156, v117
	v_dual_mul_f32 v11, v155, v115 :: v_dual_mul_f32 v13, v157, v117
	s_wait_loadcnt 0x4
	s_delay_alu instid0(VALU_DEP_2)
	v_dual_mov_b32 v178, v125 :: v_dual_fmac_f32 v7, v155, v114
	s_wait_dscnt 0x0
	v_dual_mul_f32 v173, v158, v119 :: v_dual_mul_f32 v175, v160, v121
	v_dual_fma_f32 v11, v154, v114, -v11 :: v_dual_fmac_f32 v9, v157, v116
	v_dual_mul_f32 v15, v159, v119 :: v_dual_mul_f32 v17, v161, v121
	v_dual_fma_f32 v13, v156, v116, -v13 :: v_dual_add_f32 v7, 0, v7
	s_wait_loadcnt 0x3
	s_delay_alu instid0(VALU_DEP_3) | instskip(SKIP_3) | instid1(VALU_DEP_4)
	v_dual_add_f32 v11, 0, v11 :: v_dual_mov_b32 v116, v129
	v_pk_mul_f32 v[176:177], v[138:139], v[122:123] op_sel:[1,1] op_sel_hi:[0,1]
	v_dual_fmac_f32 v173, v159, v118 :: v_dual_fma_f32 v172, v158, v118, -v15
	v_dual_add_f32 v119, v7, v9 :: v_dual_fmac_f32 v175, v161, v120
	v_dual_add_f32 v118, v11, v13 :: v_dual_fma_f32 v174, v160, v120, -v17
	s_delay_alu instid0(VALU_DEP_4) | instskip(SKIP_2) | instid1(VALU_DEP_4)
	v_pk_fma_f32 v[120:121], v[138:139], v[122:123], v[176:177] op_sel_hi:[1,0,1]
	v_pk_mul_f32 v[154:155], v[164:165], v[178:179] op_sel_hi:[1,0]
	v_pk_fma_f32 v[122:123], v[138:139], v[122:123], v[176:177] neg_lo:[0,0,1] neg_hi:[0,0,1]
	v_pk_add_f32 v[118:119], v[118:119], v[172:173]
	v_pk_mul_f32 v[114:115], v[142:143], v[126:127] op_sel:[1,1] op_sel_hi:[0,1]
	v_mov_b32_e32 v123, v121
	v_pk_fma_f32 v[120:121], v[140:141], v[124:125], v[154:155] op_sel_hi:[1,0,1]
	v_pk_fma_f32 v[124:125], v[140:141], v[124:125], v[154:155] neg_lo:[0,0,1] neg_hi:[0,0,1]
	v_pk_add_f32 v[118:119], v[118:119], v[174:175]
	v_pk_fma_f32 v[138:139], v[142:143], v[126:127], v[114:115] op_sel_hi:[1,0,1]
	v_pk_mul_f32 v[116:117], v[166:167], v[116:117] op_sel_hi:[1,0]
	v_mov_b32_e32 v125, v121
	v_pk_fma_f32 v[114:115], v[142:143], v[126:127], v[114:115] neg_lo:[0,0,1] neg_hi:[0,0,1]
	v_pk_add_f32 v[118:119], v[118:119], v[122:123]
	s_wait_loadcnt 0x2
	v_pk_mul_f32 v[156:157], v[146:147], v[130:131] op_sel:[1,1] op_sel_hi:[0,1]
	v_dual_mov_b32 v120, v133 :: v_dual_mov_b32 v115, v139
	v_pk_fma_f32 v[122:123], v[144:145], v[128:129], v[116:117] op_sel_hi:[1,0,1]
	v_pk_add_f32 v[118:119], v[118:119], v[124:125]
	v_pk_fma_f32 v[116:117], v[144:145], v[128:129], v[116:117] neg_lo:[0,0,1] neg_hi:[0,0,1]
	v_pk_fma_f32 v[124:125], v[146:147], v[130:131], v[156:157] op_sel_hi:[1,0,1]
	v_pk_mul_f32 v[120:121], v[168:169], v[120:121] op_sel_hi:[1,0]
	v_mov_b32_e32 v117, v123
	v_pk_add_f32 v[114:115], v[118:119], v[114:115]
	v_pk_fma_f32 v[122:123], v[146:147], v[130:131], v[156:157] neg_lo:[0,0,1] neg_hi:[0,0,1]
	s_wait_loadcnt 0x1
	v_pk_mul_f32 v[118:119], v[150:151], v[134:135] op_sel:[1,1] op_sel_hi:[0,1]
	v_mov_b32_e32 v123, v125
	v_pk_fma_f32 v[124:125], v[148:149], v[132:133], v[120:121] op_sel_hi:[1,0,1]
	v_pk_add_f32 v[114:115], v[114:115], v[116:117]
	v_mov_b32_e32 v116, v137
	v_pk_fma_f32 v[120:121], v[148:149], v[132:133], v[120:121] neg_lo:[0,0,1] neg_hi:[0,0,1]
	v_pk_fma_f32 v[126:127], v[150:151], v[134:135], v[118:119] op_sel_hi:[1,0,1]
	v_mov_b32_e32 v121, v125
	v_pk_add_f32 v[114:115], v[114:115], v[122:123]
	v_pk_mul_f32 v[116:117], v[170:171], v[116:117] op_sel_hi:[1,0]
	v_pk_fma_f32 v[118:119], v[150:151], v[134:135], v[118:119] neg_lo:[0,0,1] neg_hi:[0,0,1]
	s_delay_alu instid0(VALU_DEP_3) | instskip(NEXT) | instid1(VALU_DEP_3)
	v_pk_add_f32 v[114:115], v[114:115], v[120:121]
	v_pk_fma_f32 v[120:121], v[152:153], v[136:137], v[116:117] op_sel_hi:[1,0,1]
	v_mov_b32_e32 v119, v127
	v_pk_fma_f32 v[116:117], v[152:153], v[136:137], v[116:117] neg_lo:[0,0,1] neg_hi:[0,0,1]
	s_delay_alu instid0(VALU_DEP_3) | instskip(NEXT) | instid1(VALU_DEP_3)
	v_mov_b32_e32 v117, v121
	v_pk_add_f32 v[114:115], v[114:115], v[118:119]
	s_delay_alu instid0(VALU_DEP_1) | instskip(SKIP_1) | instid1(VALU_DEP_1)
	v_pk_add_f32 v[114:115], v[114:115], v[116:117]
	s_wait_loadcnt 0x0
	v_pk_add_f32 v[114:115], v[162:163], v[114:115] neg_lo:[0,1] neg_hi:[0,1]
	scratch_store_b64 off, v[114:115], off offset:344
	s_wait_xcnt 0x0
	v_cmpx_lt_u32_e32 42, v0
	s_cbranch_execz .LBB55_265
; %bb.264:
	scratch_load_b64 v[114:115], off, off offset:336
	v_mov_b64_e32 v[116:117], 0
	scratch_store_b64 off, v[116:117], off offset:336
	s_wait_loadcnt 0x0
	ds_store_b64 v1, v[114:115]
.LBB55_265:
	s_wait_xcnt 0x0
	s_or_b32 exec_lo, exec_lo, s0
	s_wait_storecnt_dscnt 0x0
	s_barrier_signal -1
	s_barrier_wait -1
	s_clause 0x7
	scratch_load_b128 v[114:117], off, off offset:344
	scratch_load_b128 v[118:121], off, off offset:360
	;; [unrolled: 1-line block ×6, first 2 shown]
	scratch_load_b64 v[162:163], off, off offset:440
	scratch_load_b64 v[164:165], off, off offset:336
	v_mov_b32_e32 v7, 0
	ds_load_2addr_b64 v[138:141], v7 offset0:103 offset1:104
	ds_load_2addr_b64 v[142:145], v7 offset0:105 offset1:106
	;; [unrolled: 1-line block ×6, first 2 shown]
	ds_load_b64 v[166:167], v7 offset:888
	s_mov_b32 s0, exec_lo
	s_wait_dscnt 0x6
	v_dual_mov_b32 v168, v141 :: v_dual_mov_b32 v169, v140
	s_wait_dscnt 0x3
	v_dual_mov_b32 v170, v145 :: v_dual_mov_b32 v175, v152
	v_dual_mov_b32 v171, v144 :: v_dual_mov_b32 v172, v149
	v_dual_mov_b32 v173, v148 :: v_dual_mov_b32 v174, v153
	s_wait_loadcnt_dscnt 0x702
	v_dual_mul_f32 v9, v154, v115 :: v_dual_mul_f32 v15, v155, v115
	v_dual_mul_f32 v17, v157, v117 :: v_dual_mul_f32 v11, v156, v117
	s_wait_loadcnt_dscnt 0x601
	s_delay_alu instid0(VALU_DEP_2) | instskip(NEXT) | instid1(VALU_DEP_3)
	v_dual_mul_f32 v13, v158, v119 :: v_dual_fmac_f32 v9, v155, v114
	v_dual_fma_f32 v15, v154, v114, -v15 :: v_dual_mul_f32 v19, v159, v119
	v_mul_f32_e32 v21, v161, v121
	s_wait_loadcnt 0x4
	v_dual_mov_b32 v114, v129 :: v_dual_fma_f32 v17, v156, v116, -v17
	v_dual_fmac_f32 v11, v157, v116 :: v_dual_add_f32 v9, 0, v9
	v_dual_add_f32 v15, 0, v15 :: v_dual_fmac_f32 v13, v159, v118
	v_dual_mul_f32 v177, v160, v121 :: v_dual_mul_f32 v179, v138, v123
	v_dual_mul_f32 v23, v139, v123 :: v_dual_mov_b32 v178, v125
	s_delay_alu instid0(VALU_DEP_4) | instskip(NEXT) | instid1(VALU_DEP_3)
	v_dual_fma_f32 v19, v158, v118, -v19 :: v_dual_add_f32 v9, v9, v11
	v_dual_add_f32 v11, v15, v17 :: v_dual_fmac_f32 v177, v161, v120
	v_pk_mul_f32 v[180:181], v[142:143], v[126:127] op_sel:[1,1] op_sel_hi:[0,1]
	s_delay_alu instid0(VALU_DEP_3)
	v_dual_fma_f32 v176, v160, v120, -v21 :: v_dual_add_f32 v121, v9, v13
	v_pk_mul_f32 v[118:119], v[168:169], v[178:179] op_sel_hi:[1,0]
	s_wait_loadcnt 0x3
	v_dual_add_f32 v120, v11, v19 :: v_dual_mov_b32 v154, v133
	v_fmac_f32_e32 v179, v139, v122
	v_fma_f32 v178, v138, v122, -v23
	v_pk_fma_f32 v[122:123], v[140:141], v[124:125], v[118:119] op_sel_hi:[1,0,1]
	s_delay_alu instid0(VALU_DEP_4) | instskip(SKIP_4) | instid1(VALU_DEP_4)
	v_pk_add_f32 v[120:121], v[120:121], v[176:177]
	v_pk_fma_f32 v[138:139], v[142:143], v[126:127], v[180:181] op_sel_hi:[1,0,1]
	v_pk_fma_f32 v[118:119], v[140:141], v[124:125], v[118:119] neg_lo:[0,0,1] neg_hi:[0,0,1]
	v_pk_fma_f32 v[124:125], v[142:143], v[126:127], v[180:181] neg_lo:[0,0,1] neg_hi:[0,0,1]
	v_pk_mul_f32 v[114:115], v[170:171], v[114:115] op_sel_hi:[1,0]
	v_dual_mov_b32 v119, v123 :: v_dual_mov_b32 v125, v139
	v_pk_add_f32 v[120:121], v[120:121], v[178:179]
	v_pk_mul_f32 v[116:117], v[146:147], v[130:131] op_sel:[1,1] op_sel_hi:[0,1]
	s_delay_alu instid0(VALU_DEP_4)
	v_pk_fma_f32 v[126:127], v[144:145], v[128:129], v[114:115] op_sel_hi:[1,0,1]
	v_pk_fma_f32 v[114:115], v[144:145], v[128:129], v[114:115] neg_lo:[0,0,1] neg_hi:[0,0,1]
	v_pk_mul_f32 v[138:139], v[172:173], v[154:155] op_sel_hi:[1,0]
	v_pk_add_f32 v[118:119], v[120:121], v[118:119]
	v_pk_fma_f32 v[120:121], v[146:147], v[130:131], v[116:117] op_sel_hi:[1,0,1]
	s_wait_loadcnt 0x2
	v_dual_mov_b32 v115, v127 :: v_dual_mov_b32 v120, v137
	v_pk_fma_f32 v[116:117], v[146:147], v[130:131], v[116:117] neg_lo:[0,0,1] neg_hi:[0,0,1]
	v_pk_add_f32 v[118:119], v[118:119], v[124:125]
	v_pk_mul_f32 v[122:123], v[150:151], v[134:135] op_sel:[1,1] op_sel_hi:[0,1]
	v_pk_fma_f32 v[124:125], v[148:149], v[132:133], v[138:139] op_sel_hi:[1,0,1]
	v_mov_b32_e32 v117, v121
	v_pk_fma_f32 v[126:127], v[148:149], v[132:133], v[138:139] neg_lo:[0,0,1] neg_hi:[0,0,1]
	v_pk_add_f32 v[114:115], v[118:119], v[114:115]
	v_pk_fma_f32 v[118:119], v[150:151], v[134:135], v[122:123] op_sel_hi:[1,0,1]
	v_pk_mul_f32 v[120:121], v[174:175], v[120:121] op_sel_hi:[1,0]
	v_mov_b32_e32 v127, v125
	s_delay_alu instid0(VALU_DEP_4)
	v_pk_add_f32 v[114:115], v[114:115], v[116:117]
	v_pk_fma_f32 v[116:117], v[150:151], v[134:135], v[122:123] neg_lo:[0,0,1] neg_hi:[0,0,1]
	v_mov_b32_e32 v117, v119
	v_pk_fma_f32 v[118:119], v[152:153], v[136:137], v[120:121] op_sel_hi:[1,0,1]
	s_wait_loadcnt_dscnt 0x100
	v_pk_mul_f32 v[122:123], v[166:167], v[162:163] op_sel:[1,1] op_sel_hi:[0,1]
	v_pk_add_f32 v[114:115], v[114:115], v[126:127]
	v_pk_fma_f32 v[120:121], v[152:153], v[136:137], v[120:121] neg_lo:[0,0,1] neg_hi:[0,0,1]
	v_mov_b32_e32 v121, v119
	s_delay_alu instid0(VALU_DEP_4) | instskip(NEXT) | instid1(VALU_DEP_4)
	v_pk_fma_f32 v[118:119], v[166:167], v[162:163], v[122:123] neg_lo:[0,0,1] neg_hi:[0,0,1]
	v_pk_add_f32 v[114:115], v[114:115], v[116:117]
	v_pk_fma_f32 v[116:117], v[166:167], v[162:163], v[122:123] op_sel_hi:[1,0,1]
	s_delay_alu instid0(VALU_DEP_2) | instskip(NEXT) | instid1(VALU_DEP_2)
	v_pk_add_f32 v[114:115], v[114:115], v[120:121]
	v_mov_b32_e32 v119, v117
	s_delay_alu instid0(VALU_DEP_1) | instskip(SKIP_1) | instid1(VALU_DEP_1)
	v_pk_add_f32 v[114:115], v[114:115], v[118:119]
	s_wait_loadcnt 0x0
	v_pk_add_f32 v[114:115], v[164:165], v[114:115] neg_lo:[0,1] neg_hi:[0,1]
	scratch_store_b64 off, v[114:115], off offset:336
	s_wait_xcnt 0x0
	v_cmpx_lt_u32_e32 41, v0
	s_cbranch_execz .LBB55_267
; %bb.266:
	scratch_load_b64 v[114:115], off, off offset:328
	v_mov_b64_e32 v[116:117], 0
	scratch_store_b64 off, v[116:117], off offset:328
	s_wait_loadcnt 0x0
	ds_store_b64 v1, v[114:115]
.LBB55_267:
	s_wait_xcnt 0x0
	s_or_b32 exec_lo, exec_lo, s0
	s_wait_storecnt_dscnt 0x0
	s_barrier_signal -1
	s_barrier_wait -1
	s_clause 0x7
	scratch_load_b128 v[114:117], off, off offset:336
	scratch_load_b128 v[118:121], off, off offset:352
	scratch_load_b128 v[122:125], off, off offset:368
	scratch_load_b128 v[126:129], off, off offset:384
	scratch_load_b128 v[130:133], off, off offset:400
	scratch_load_b128 v[134:137], off, off offset:416
	scratch_load_b128 v[138:141], off, off offset:432
	scratch_load_b64 v[170:171], off, off offset:328
	ds_load_b128 v[142:145], v7 offset:832
	ds_load_b128 v[146:149], v7 offset:848
	;; [unrolled: 1-line block ×7, first 2 shown]
	s_mov_b32 s0, exec_lo
	s_wait_dscnt 0x6
	v_dual_mov_b32 v172, v145 :: v_dual_mov_b32 v173, v144
	s_wait_dscnt 0x5
	v_dual_mov_b32 v174, v149 :: v_dual_mov_b32 v175, v148
	;; [unrolled: 2-line block ×4, first 2 shown]
	s_wait_loadcnt_dscnt 0x702
	v_dual_mul_f32 v7, v158, v115 :: v_dual_mul_f32 v9, v160, v117
	v_dual_mul_f32 v15, v159, v115 :: v_dual_mul_f32 v17, v161, v117
	s_wait_loadcnt_dscnt 0x601
	v_dual_mul_f32 v11, v162, v119 :: v_dual_mul_f32 v13, v164, v121
	s_delay_alu instid0(VALU_DEP_3) | instskip(NEXT) | instid1(VALU_DEP_3)
	v_dual_fmac_f32 v7, v159, v114 :: v_dual_fmac_f32 v9, v161, v116
	v_dual_fma_f32 v15, v158, v114, -v15 :: v_dual_fma_f32 v17, v160, v116, -v17
	v_dual_mul_f32 v19, v163, v119 :: v_dual_mul_f32 v21, v165, v121
	s_wait_loadcnt 0x4
	s_delay_alu instid0(VALU_DEP_3) | instskip(NEXT) | instid1(VALU_DEP_3)
	v_dual_add_f32 v7, 0, v7 :: v_dual_mov_b32 v116, v129
	v_dual_add_f32 v15, 0, v15 :: v_dual_fmac_f32 v11, v163, v118
	s_delay_alu instid0(VALU_DEP_2) | instskip(SKIP_2) | instid1(VALU_DEP_3)
	v_dual_fma_f32 v19, v162, v118, -v19 :: v_dual_add_f32 v7, v7, v9
	s_wait_dscnt 0x0
	v_dual_mul_f32 v181, v166, v123 :: v_dual_mul_f32 v183, v168, v125
	v_dual_add_f32 v9, v15, v17 :: v_dual_fmac_f32 v13, v165, v120
	v_dual_mul_f32 v23, v167, v123 :: v_dual_mul_f32 v25, v169, v125
	v_dual_fma_f32 v15, v164, v120, -v21 :: v_dual_add_f32 v7, v7, v11
	s_delay_alu instid0(VALU_DEP_3) | instskip(SKIP_3) | instid1(VALU_DEP_3)
	v_dual_add_f32 v9, v9, v19 :: v_dual_fmac_f32 v181, v167, v122
	v_pk_mul_f32 v[114:115], v[142:143], v[126:127] op_sel:[1,1] op_sel_hi:[0,1]
	s_wait_loadcnt 0x3
	v_dual_mov_b32 v120, v133 :: v_dual_fma_f32 v180, v166, v122, -v23
	v_dual_add_f32 v123, v7, v13 :: v_dual_add_f32 v122, v9, v15
	v_dual_fmac_f32 v183, v169, v124 :: v_dual_fma_f32 v182, v168, v124, -v25
	v_pk_fma_f32 v[124:125], v[142:143], v[126:127], v[114:115] op_sel_hi:[1,0,1]
	v_pk_mul_f32 v[116:117], v[172:173], v[116:117] op_sel_hi:[1,0]
	s_delay_alu instid0(VALU_DEP_4)
	v_pk_add_f32 v[122:123], v[122:123], v[180:181]
	v_pk_fma_f32 v[114:115], v[142:143], v[126:127], v[114:115] neg_lo:[0,0,1] neg_hi:[0,0,1]
	v_pk_mul_f32 v[118:119], v[146:147], v[130:131] op_sel:[1,1] op_sel_hi:[0,1]
	v_mov_b32_e32 v115, v125
	v_pk_fma_f32 v[124:125], v[144:145], v[128:129], v[116:117] op_sel_hi:[1,0,1]
	v_pk_add_f32 v[122:123], v[122:123], v[182:183]
	v_pk_fma_f32 v[116:117], v[144:145], v[128:129], v[116:117] neg_lo:[0,0,1] neg_hi:[0,0,1]
	v_pk_fma_f32 v[126:127], v[146:147], v[130:131], v[118:119] op_sel_hi:[1,0,1]
	v_pk_mul_f32 v[120:121], v[174:175], v[120:121] op_sel_hi:[1,0]
	v_mov_b32_e32 v117, v125
	v_pk_add_f32 v[114:115], v[122:123], v[114:115]
	s_wait_loadcnt 0x2
	v_pk_mul_f32 v[158:159], v[150:151], v[134:135] op_sel:[1,1] op_sel_hi:[0,1]
	v_mov_b32_e32 v122, v137
	v_pk_fma_f32 v[118:119], v[146:147], v[130:131], v[118:119] neg_lo:[0,0,1] neg_hi:[0,0,1]
	v_mov_b32_e32 v119, v127
	v_pk_fma_f32 v[124:125], v[148:149], v[132:133], v[120:121] op_sel_hi:[1,0,1]
	v_pk_add_f32 v[114:115], v[114:115], v[116:117]
	v_pk_fma_f32 v[116:117], v[150:151], v[134:135], v[158:159] op_sel_hi:[1,0,1]
	v_pk_mul_f32 v[122:123], v[176:177], v[122:123] op_sel_hi:[1,0]
	v_pk_fma_f32 v[120:121], v[148:149], v[132:133], v[120:121] neg_lo:[0,0,1] neg_hi:[0,0,1]
	v_mov_b32_e32 v121, v125
	v_pk_add_f32 v[114:115], v[114:115], v[118:119]
	v_pk_fma_f32 v[124:125], v[150:151], v[134:135], v[158:159] neg_lo:[0,0,1] neg_hi:[0,0,1]
	v_mov_b32_e32 v125, v117
	v_pk_fma_f32 v[116:117], v[152:153], v[136:137], v[122:123] op_sel_hi:[1,0,1]
	s_wait_loadcnt 0x1
	v_pk_mul_f32 v[118:119], v[154:155], v[138:139] op_sel:[1,1] op_sel_hi:[0,1]
	v_pk_add_f32 v[114:115], v[114:115], v[120:121]
	v_mov_b32_e32 v116, v141
	v_pk_fma_f32 v[122:123], v[152:153], v[136:137], v[122:123] neg_lo:[0,0,1] neg_hi:[0,0,1]
	v_mov_b32_e32 v123, v117
	v_pk_fma_f32 v[120:121], v[154:155], v[138:139], v[118:119] op_sel_hi:[1,0,1]
	v_pk_add_f32 v[114:115], v[114:115], v[124:125]
	v_pk_mul_f32 v[116:117], v[178:179], v[116:117] op_sel_hi:[1,0]
	v_pk_fma_f32 v[118:119], v[154:155], v[138:139], v[118:119] neg_lo:[0,0,1] neg_hi:[0,0,1]
	s_delay_alu instid0(VALU_DEP_4) | instskip(NEXT) | instid1(VALU_DEP_4)
	v_mov_b32_e32 v119, v121
	v_pk_add_f32 v[114:115], v[114:115], v[122:123]
	s_delay_alu instid0(VALU_DEP_4) | instskip(SKIP_1) | instid1(VALU_DEP_2)
	v_pk_fma_f32 v[120:121], v[156:157], v[140:141], v[116:117] op_sel_hi:[1,0,1]
	v_pk_fma_f32 v[116:117], v[156:157], v[140:141], v[116:117] neg_lo:[0,0,1] neg_hi:[0,0,1]
	v_mov_b32_e32 v117, v121
	s_delay_alu instid0(VALU_DEP_4) | instskip(NEXT) | instid1(VALU_DEP_1)
	v_pk_add_f32 v[114:115], v[114:115], v[118:119]
	v_pk_add_f32 v[114:115], v[114:115], v[116:117]
	s_wait_loadcnt 0x0
	s_delay_alu instid0(VALU_DEP_1)
	v_pk_add_f32 v[114:115], v[170:171], v[114:115] neg_lo:[0,1] neg_hi:[0,1]
	scratch_store_b64 off, v[114:115], off offset:328
	s_wait_xcnt 0x0
	v_cmpx_lt_u32_e32 40, v0
	s_cbranch_execz .LBB55_269
; %bb.268:
	scratch_load_b64 v[114:115], off, off offset:320
	v_mov_b64_e32 v[116:117], 0
	scratch_store_b64 off, v[116:117], off offset:320
	s_wait_loadcnt 0x0
	ds_store_b64 v1, v[114:115]
.LBB55_269:
	s_wait_xcnt 0x0
	s_or_b32 exec_lo, exec_lo, s0
	s_wait_storecnt_dscnt 0x0
	s_barrier_signal -1
	s_barrier_wait -1
	s_clause 0x8
	scratch_load_b128 v[114:117], off, off offset:328
	scratch_load_b128 v[118:121], off, off offset:344
	;; [unrolled: 1-line block ×7, first 2 shown]
	scratch_load_b64 v[170:171], off, off offset:440
	scratch_load_b64 v[172:173], off, off offset:320
	v_mov_b32_e32 v7, 0
	ds_load_2addr_b64 v[142:145], v7 offset0:103 offset1:104
	ds_load_2addr_b64 v[146:149], v7 offset0:105 offset1:106
	;; [unrolled: 1-line block ×7, first 2 shown]
	ds_load_b64 v[174:175], v7 offset:888
	s_mov_b32 s0, exec_lo
	s_wait_dscnt 0x7
	v_dual_mov_b32 v176, v145 :: v_dual_mov_b32 v177, v144
	s_wait_dscnt 0x4
	v_dual_mov_b32 v178, v149 :: v_dual_mov_b32 v183, v156
	v_dual_mov_b32 v179, v148 :: v_dual_mov_b32 v180, v153
	;; [unrolled: 1-line block ×3, first 2 shown]
	s_wait_loadcnt_dscnt 0x803
	v_dual_mul_f32 v9, v158, v115 :: v_dual_mul_f32 v19, v159, v115
	v_dual_mul_f32 v21, v161, v117 :: v_dual_mul_f32 v11, v160, v117
	s_wait_loadcnt_dscnt 0x702
	v_mul_f32_e32 v13, v162, v119
	s_wait_loadcnt 0x5
	v_dual_mul_f32 v31, v143, v127 :: v_dual_fma_f32 v19, v158, v114, -v19
	v_dual_fmac_f32 v9, v159, v114 :: v_dual_mov_b32 v114, v129
	v_dual_mul_f32 v23, v163, v119 :: v_dual_mul_f32 v25, v165, v121
	v_dual_fmac_f32 v11, v161, v116 :: v_dual_fma_f32 v21, v160, v116, -v21
	s_delay_alu instid0(VALU_DEP_3) | instskip(SKIP_3) | instid1(VALU_DEP_3)
	v_dual_add_f32 v9, 0, v9 :: v_dual_add_f32 v19, 0, v19
	s_wait_dscnt 0x1
	v_dual_mul_f32 v15, v164, v121 :: v_dual_mul_f32 v17, v166, v123
	v_dual_fmac_f32 v13, v163, v118 :: v_dual_fma_f32 v23, v162, v118, -v23
	v_dual_add_f32 v9, v9, v11 :: v_dual_add_f32 v11, v19, v21
	v_dual_mul_f32 v27, v167, v123 :: v_dual_mul_f32 v29, v169, v125
	s_wait_loadcnt 0x4
	v_dual_mov_b32 v118, v133 :: v_dual_fma_f32 v19, v164, v120, -v25
	s_delay_alu instid0(VALU_DEP_3) | instskip(SKIP_2) | instid1(VALU_DEP_2)
	v_dual_fmac_f32 v15, v165, v120 :: v_dual_add_f32 v11, v11, v23
	v_dual_add_f32 v9, v9, v13 :: v_dual_fmac_f32 v17, v167, v122
	v_dual_mul_f32 v185, v168, v125 :: v_dual_mul_f32 v187, v142, v127
	v_dual_fma_f32 v13, v166, v122, -v27 :: v_dual_add_f32 v9, v9, v15
	s_delay_alu instid0(VALU_DEP_2) | instskip(SKIP_1) | instid1(VALU_DEP_3)
	v_dual_add_f32 v11, v11, v19 :: v_dual_fmac_f32 v185, v169, v124
	v_pk_mul_f32 v[116:117], v[146:147], v[130:131] op_sel:[1,1] op_sel_hi:[0,1]
	v_dual_fma_f32 v184, v168, v124, -v29 :: v_dual_add_f32 v123, v9, v17
	v_pk_mul_f32 v[114:115], v[176:177], v[114:115] op_sel_hi:[1,0]
	s_wait_loadcnt 0x3
	v_dual_add_f32 v122, v11, v13 :: v_dual_mov_b32 v124, v137
	v_fmac_f32_e32 v187, v143, v126
	v_fma_f32 v186, v142, v126, -v31
	v_pk_fma_f32 v[126:127], v[144:145], v[128:129], v[114:115] op_sel_hi:[1,0,1]
	s_delay_alu instid0(VALU_DEP_4) | instskip(SKIP_4) | instid1(VALU_DEP_4)
	v_pk_add_f32 v[122:123], v[122:123], v[184:185]
	v_pk_fma_f32 v[142:143], v[146:147], v[130:131], v[116:117] op_sel_hi:[1,0,1]
	v_pk_fma_f32 v[114:115], v[144:145], v[128:129], v[114:115] neg_lo:[0,0,1] neg_hi:[0,0,1]
	v_pk_fma_f32 v[116:117], v[146:147], v[130:131], v[116:117] neg_lo:[0,0,1] neg_hi:[0,0,1]
	v_pk_mul_f32 v[118:119], v[178:179], v[118:119] op_sel_hi:[1,0]
	v_dual_mov_b32 v115, v127 :: v_dual_mov_b32 v117, v143
	v_pk_add_f32 v[122:123], v[122:123], v[186:187]
	v_pk_mul_f32 v[120:121], v[150:151], v[134:135] op_sel:[1,1] op_sel_hi:[0,1]
	s_delay_alu instid0(VALU_DEP_4)
	v_pk_fma_f32 v[128:129], v[148:149], v[132:133], v[118:119] op_sel_hi:[1,0,1]
	v_pk_fma_f32 v[118:119], v[148:149], v[132:133], v[118:119] neg_lo:[0,0,1] neg_hi:[0,0,1]
	v_pk_mul_f32 v[124:125], v[180:181], v[124:125] op_sel_hi:[1,0]
	v_pk_add_f32 v[114:115], v[122:123], v[114:115]
	v_pk_fma_f32 v[122:123], v[150:151], v[134:135], v[120:121] op_sel_hi:[1,0,1]
	v_mov_b32_e32 v119, v129
	v_pk_fma_f32 v[120:121], v[150:151], v[134:135], v[120:121] neg_lo:[0,0,1] neg_hi:[0,0,1]
	s_wait_loadcnt 0x2
	v_pk_mul_f32 v[126:127], v[154:155], v[138:139] op_sel:[1,1] op_sel_hi:[0,1]
	v_pk_add_f32 v[114:115], v[114:115], v[116:117]
	v_dual_mov_b32 v116, v141 :: v_dual_mov_b32 v121, v123
	v_pk_fma_f32 v[122:123], v[152:153], v[136:137], v[124:125] op_sel_hi:[1,0,1]
	v_pk_fma_f32 v[124:125], v[152:153], v[136:137], v[124:125] neg_lo:[0,0,1] neg_hi:[0,0,1]
	s_delay_alu instid0(VALU_DEP_4)
	v_pk_add_f32 v[114:115], v[114:115], v[118:119]
	v_pk_fma_f32 v[118:119], v[154:155], v[138:139], v[126:127] op_sel_hi:[1,0,1]
	v_pk_mul_f32 v[116:117], v[182:183], v[116:117] op_sel_hi:[1,0]
	v_mov_b32_e32 v125, v123
	s_wait_loadcnt_dscnt 0x100
	v_pk_mul_f32 v[122:123], v[174:175], v[170:171] op_sel:[1,1] op_sel_hi:[0,1]
	v_pk_add_f32 v[114:115], v[114:115], v[120:121]
	v_pk_fma_f32 v[120:121], v[154:155], v[138:139], v[126:127] neg_lo:[0,0,1] neg_hi:[0,0,1]
	v_mov_b32_e32 v121, v119
	v_pk_fma_f32 v[118:119], v[156:157], v[140:141], v[116:117] op_sel_hi:[1,0,1]
	v_pk_fma_f32 v[116:117], v[156:157], v[140:141], v[116:117] neg_lo:[0,0,1] neg_hi:[0,0,1]
	v_pk_add_f32 v[114:115], v[114:115], v[124:125]
	s_delay_alu instid0(VALU_DEP_3) | instskip(SKIP_1) | instid1(VALU_DEP_3)
	v_mov_b32_e32 v117, v119
	v_pk_fma_f32 v[118:119], v[174:175], v[170:171], v[122:123] op_sel_hi:[1,0,1]
	v_pk_add_f32 v[114:115], v[114:115], v[120:121]
	v_pk_fma_f32 v[120:121], v[174:175], v[170:171], v[122:123] neg_lo:[0,0,1] neg_hi:[0,0,1]
	s_delay_alu instid0(VALU_DEP_3) | instskip(NEXT) | instid1(VALU_DEP_3)
	v_mov_b32_e32 v121, v119
	v_pk_add_f32 v[114:115], v[114:115], v[116:117]
	s_delay_alu instid0(VALU_DEP_1) | instskip(SKIP_1) | instid1(VALU_DEP_1)
	v_pk_add_f32 v[114:115], v[114:115], v[120:121]
	s_wait_loadcnt 0x0
	v_pk_add_f32 v[114:115], v[172:173], v[114:115] neg_lo:[0,1] neg_hi:[0,1]
	scratch_store_b64 off, v[114:115], off offset:320
	s_wait_xcnt 0x0
	v_cmpx_lt_u32_e32 39, v0
	s_cbranch_execz .LBB55_271
; %bb.270:
	scratch_load_b64 v[114:115], off, off offset:312
	v_mov_b64_e32 v[116:117], 0
	scratch_store_b64 off, v[116:117], off offset:312
	s_wait_loadcnt 0x0
	ds_store_b64 v1, v[114:115]
.LBB55_271:
	s_wait_xcnt 0x0
	s_or_b32 exec_lo, exec_lo, s0
	s_wait_storecnt_dscnt 0x0
	s_barrier_signal -1
	s_barrier_wait -1
	s_clause 0x8
	scratch_load_b128 v[114:117], off, off offset:320
	scratch_load_b128 v[118:121], off, off offset:336
	;; [unrolled: 1-line block ×8, first 2 shown]
	scratch_load_b64 v[178:179], off, off offset:312
	ds_load_b128 v[146:149], v7 offset:832
	ds_load_b128 v[150:153], v7 offset:848
	;; [unrolled: 1-line block ×8, first 2 shown]
	s_mov_b32 s0, exec_lo
	s_wait_dscnt 0x7
	v_dual_mov_b32 v180, v149 :: v_dual_mov_b32 v181, v148
	s_wait_dscnt 0x6
	v_dual_mov_b32 v182, v153 :: v_dual_mov_b32 v183, v152
	;; [unrolled: 2-line block ×4, first 2 shown]
	s_wait_loadcnt_dscnt 0x803
	v_dual_mul_f32 v7, v162, v115 :: v_dual_mul_f32 v9, v164, v117
	v_dual_mul_f32 v19, v163, v115 :: v_dual_mul_f32 v21, v165, v117
	s_wait_loadcnt_dscnt 0x702
	v_dual_mul_f32 v11, v166, v119 :: v_dual_mul_f32 v13, v168, v121
	s_delay_alu instid0(VALU_DEP_3) | instskip(SKIP_3) | instid1(VALU_DEP_3)
	v_dual_fmac_f32 v7, v163, v114 :: v_dual_fmac_f32 v9, v165, v116
	s_wait_loadcnt_dscnt 0x500
	v_dual_fma_f32 v19, v162, v114, -v19 :: v_dual_mul_f32 v31, v175, v127
	v_dual_mul_f32 v23, v167, v119 :: v_dual_mul_f32 v25, v169, v121
	v_dual_fma_f32 v21, v164, v116, -v21 :: v_dual_add_f32 v7, 0, v7
	s_delay_alu instid0(VALU_DEP_3) | instskip(SKIP_1) | instid1(VALU_DEP_3)
	v_dual_add_f32 v19, 0, v19 :: v_dual_mul_f32 v33, v177, v129
	v_dual_fmac_f32 v11, v167, v118 :: v_dual_fmac_f32 v13, v169, v120
	v_dual_fma_f32 v23, v166, v118, -v23 :: v_dual_add_f32 v7, v7, v9
	s_delay_alu instid0(VALU_DEP_3) | instskip(SKIP_4) | instid1(VALU_DEP_3)
	v_dual_add_f32 v9, v19, v21 :: v_dual_fma_f32 v19, v168, v120, -v25
	v_dual_mul_f32 v15, v170, v123 :: v_dual_mul_f32 v17, v172, v125
	v_dual_mul_f32 v27, v171, v123 :: v_dual_mul_f32 v29, v173, v125
	s_wait_loadcnt 0x4
	v_dual_add_f32 v7, v7, v11 :: v_dual_mov_b32 v116, v133
	v_dual_add_f32 v9, v9, v23 :: v_dual_fmac_f32 v15, v171, v122
	s_delay_alu instid0(VALU_DEP_2) | instskip(SKIP_1) | instid1(VALU_DEP_3)
	v_dual_fma_f32 v11, v170, v122, -v27 :: v_dual_add_f32 v7, v7, v13
	v_dual_mul_f32 v189, v174, v127 :: v_dual_mul_f32 v191, v176, v129
	v_dual_add_f32 v9, v9, v19 :: v_dual_fma_f32 v13, v172, v124, -v29
	s_delay_alu instid0(VALU_DEP_3) | instskip(SKIP_1) | instid1(VALU_DEP_3)
	v_dual_fmac_f32 v17, v173, v124 :: v_dual_add_f32 v7, v7, v15
	v_pk_mul_f32 v[114:115], v[146:147], v[130:131] op_sel:[1,1] op_sel_hi:[0,1]
	v_dual_add_f32 v9, v9, v11 :: v_dual_fmac_f32 v189, v175, v126
	s_wait_loadcnt 0x3
	v_dual_mov_b32 v120, v137 :: v_dual_fma_f32 v188, v174, v126, -v31
	v_dual_add_f32 v123, v7, v17 :: v_dual_fmac_f32 v191, v177, v128
	s_delay_alu instid0(VALU_DEP_3) | instskip(SKIP_3) | instid1(VALU_DEP_4)
	v_dual_add_f32 v122, v9, v13 :: v_dual_fma_f32 v190, v176, v128, -v33
	v_pk_fma_f32 v[124:125], v[146:147], v[130:131], v[114:115] op_sel_hi:[1,0,1]
	v_pk_mul_f32 v[116:117], v[180:181], v[116:117] op_sel_hi:[1,0]
	v_pk_fma_f32 v[114:115], v[146:147], v[130:131], v[114:115] neg_lo:[0,0,1] neg_hi:[0,0,1]
	v_pk_add_f32 v[122:123], v[122:123], v[188:189]
	v_pk_mul_f32 v[118:119], v[150:151], v[134:135] op_sel:[1,1] op_sel_hi:[0,1]
	v_mov_b32_e32 v115, v125
	v_pk_fma_f32 v[124:125], v[148:149], v[132:133], v[116:117] op_sel_hi:[1,0,1]
	v_pk_fma_f32 v[116:117], v[148:149], v[132:133], v[116:117] neg_lo:[0,0,1] neg_hi:[0,0,1]
	v_pk_add_f32 v[122:123], v[122:123], v[190:191]
	v_pk_fma_f32 v[128:129], v[150:151], v[134:135], v[118:119] op_sel_hi:[1,0,1]
	v_pk_mul_f32 v[120:121], v[182:183], v[120:121] op_sel_hi:[1,0]
	v_mov_b32_e32 v117, v125
	s_wait_loadcnt 0x2
	v_pk_mul_f32 v[126:127], v[154:155], v[138:139] op_sel:[1,1] op_sel_hi:[0,1]
	v_pk_add_f32 v[114:115], v[122:123], v[114:115]
	v_mov_b32_e32 v122, v141
	v_pk_fma_f32 v[118:119], v[150:151], v[134:135], v[118:119] neg_lo:[0,0,1] neg_hi:[0,0,1]
	v_mov_b32_e32 v119, v129
	v_pk_fma_f32 v[124:125], v[152:153], v[136:137], v[120:121] op_sel_hi:[1,0,1]
	v_pk_add_f32 v[114:115], v[114:115], v[116:117]
	v_pk_fma_f32 v[116:117], v[154:155], v[138:139], v[126:127] op_sel_hi:[1,0,1]
	v_pk_mul_f32 v[122:123], v[184:185], v[122:123] op_sel_hi:[1,0]
	v_pk_fma_f32 v[120:121], v[152:153], v[136:137], v[120:121] neg_lo:[0,0,1] neg_hi:[0,0,1]
	v_mov_b32_e32 v121, v125
	v_pk_add_f32 v[114:115], v[114:115], v[118:119]
	v_pk_fma_f32 v[124:125], v[154:155], v[138:139], v[126:127] neg_lo:[0,0,1] neg_hi:[0,0,1]
	v_mov_b32_e32 v125, v117
	v_pk_fma_f32 v[116:117], v[156:157], v[140:141], v[122:123] op_sel_hi:[1,0,1]
	s_wait_loadcnt 0x1
	v_pk_mul_f32 v[118:119], v[158:159], v[142:143] op_sel:[1,1] op_sel_hi:[0,1]
	v_pk_add_f32 v[114:115], v[114:115], v[120:121]
	v_mov_b32_e32 v116, v145
	v_pk_fma_f32 v[122:123], v[156:157], v[140:141], v[122:123] neg_lo:[0,0,1] neg_hi:[0,0,1]
	v_mov_b32_e32 v123, v117
	v_pk_fma_f32 v[120:121], v[158:159], v[142:143], v[118:119] op_sel_hi:[1,0,1]
	v_pk_add_f32 v[114:115], v[114:115], v[124:125]
	v_pk_mul_f32 v[116:117], v[186:187], v[116:117] op_sel_hi:[1,0]
	v_pk_fma_f32 v[118:119], v[158:159], v[142:143], v[118:119] neg_lo:[0,0,1] neg_hi:[0,0,1]
	s_delay_alu instid0(VALU_DEP_4) | instskip(NEXT) | instid1(VALU_DEP_4)
	v_mov_b32_e32 v119, v121
	v_pk_add_f32 v[114:115], v[114:115], v[122:123]
	s_delay_alu instid0(VALU_DEP_4) | instskip(SKIP_1) | instid1(VALU_DEP_2)
	v_pk_fma_f32 v[120:121], v[160:161], v[144:145], v[116:117] op_sel_hi:[1,0,1]
	v_pk_fma_f32 v[116:117], v[160:161], v[144:145], v[116:117] neg_lo:[0,0,1] neg_hi:[0,0,1]
	v_mov_b32_e32 v117, v121
	s_delay_alu instid0(VALU_DEP_4) | instskip(NEXT) | instid1(VALU_DEP_1)
	v_pk_add_f32 v[114:115], v[114:115], v[118:119]
	v_pk_add_f32 v[114:115], v[114:115], v[116:117]
	s_wait_loadcnt 0x0
	s_delay_alu instid0(VALU_DEP_1)
	v_pk_add_f32 v[114:115], v[178:179], v[114:115] neg_lo:[0,1] neg_hi:[0,1]
	scratch_store_b64 off, v[114:115], off offset:312
	s_wait_xcnt 0x0
	v_cmpx_lt_u32_e32 38, v0
	s_cbranch_execz .LBB55_273
; %bb.272:
	scratch_load_b64 v[114:115], off, off offset:304
	v_mov_b64_e32 v[116:117], 0
	scratch_store_b64 off, v[116:117], off offset:304
	s_wait_loadcnt 0x0
	ds_store_b64 v1, v[114:115]
.LBB55_273:
	s_wait_xcnt 0x0
	s_or_b32 exec_lo, exec_lo, s0
	s_wait_storecnt_dscnt 0x0
	s_barrier_signal -1
	s_barrier_wait -1
	s_clause 0x9
	scratch_load_b128 v[114:117], off, off offset:312
	scratch_load_b128 v[118:121], off, off offset:328
	;; [unrolled: 1-line block ×8, first 2 shown]
	scratch_load_b64 v[178:179], off, off offset:440
	scratch_load_b64 v[180:181], off, off offset:304
	v_mov_b32_e32 v7, 0
	ds_load_2addr_b64 v[146:149], v7 offset0:103 offset1:104
	ds_load_2addr_b64 v[150:153], v7 offset0:105 offset1:106
	;; [unrolled: 1-line block ×8, first 2 shown]
	ds_load_b64 v[182:183], v7 offset:888
	s_mov_b32 s0, exec_lo
	s_wait_dscnt 0x8
	v_dual_mov_b32 v184, v149 :: v_dual_mov_b32 v185, v148
	s_wait_dscnt 0x5
	v_dual_mov_b32 v186, v153 :: v_dual_mov_b32 v191, v160
	v_dual_mov_b32 v187, v152 :: v_dual_mov_b32 v188, v157
	;; [unrolled: 1-line block ×3, first 2 shown]
	s_wait_loadcnt_dscnt 0x904
	v_dual_mul_f32 v9, v162, v115 :: v_dual_mul_f32 v23, v163, v115
	v_dual_mul_f32 v25, v165, v117 :: v_dual_mul_f32 v11, v164, v117
	s_wait_loadcnt_dscnt 0x803
	v_mul_f32_e32 v13, v166, v119
	s_wait_loadcnt_dscnt 0x601
	v_dual_mul_f32 v35, v175, v127 :: v_dual_fma_f32 v23, v162, v114, -v23
	v_dual_fmac_f32 v9, v163, v114 :: v_dual_mul_f32 v37, v177, v129
	v_dual_mul_f32 v27, v167, v119 :: v_dual_mul_f32 v29, v169, v121
	v_dual_fmac_f32 v11, v165, v116 :: v_dual_fma_f32 v25, v164, v116, -v25
	s_delay_alu instid0(VALU_DEP_3) | instskip(SKIP_3) | instid1(VALU_DEP_3)
	v_dual_add_f32 v9, 0, v9 :: v_dual_add_f32 v23, 0, v23
	v_dual_mul_f32 v15, v168, v121 :: v_dual_mul_f32 v17, v170, v123
	s_wait_loadcnt 0x5
	v_dual_mul_f32 v39, v147, v131 :: v_dual_fma_f32 v27, v166, v118, -v27
	v_dual_fmac_f32 v13, v167, v118 :: v_dual_add_f32 v9, v9, v11
	v_dual_add_f32 v11, v23, v25 :: v_dual_mov_b32 v114, v133
	v_dual_mul_f32 v31, v171, v123 :: v_dual_mul_f32 v33, v173, v125
	v_dual_fmac_f32 v15, v169, v120 :: v_dual_fma_f32 v23, v168, v120, -v29
	s_delay_alu instid0(VALU_DEP_3) | instskip(SKIP_1) | instid1(VALU_DEP_4)
	v_dual_add_f32 v9, v9, v13 :: v_dual_add_f32 v11, v11, v27
	v_dual_mul_f32 v19, v172, v125 :: v_dual_mul_f32 v21, v174, v127
	v_dual_fmac_f32 v17, v171, v122 :: v_dual_fma_f32 v13, v170, v122, -v31
	s_delay_alu instid0(VALU_DEP_3) | instskip(SKIP_3) | instid1(VALU_DEP_3)
	v_dual_add_f32 v9, v9, v15 :: v_dual_fma_f32 v15, v172, v124, -v33
	s_wait_loadcnt 0x4
	v_dual_add_f32 v11, v11, v23 :: v_dual_mov_b32 v118, v137
	v_fmac_f32_e32 v19, v173, v124
	v_dual_add_f32 v9, v9, v17 :: v_dual_fmac_f32 v21, v175, v126
	s_delay_alu instid0(VALU_DEP_3) | instskip(SKIP_1) | instid1(VALU_DEP_3)
	v_add_f32_e32 v11, v11, v13
	v_dual_mul_f32 v193, v176, v129 :: v_dual_mul_f32 v195, v146, v131
	v_dual_fma_f32 v13, v174, v126, -v35 :: v_dual_add_f32 v9, v9, v19
	s_delay_alu instid0(VALU_DEP_2) | instskip(SKIP_1) | instid1(VALU_DEP_3)
	v_dual_add_f32 v11, v11, v15 :: v_dual_fmac_f32 v193, v177, v128
	v_pk_mul_f32 v[116:117], v[150:151], v[134:135] op_sel:[1,1] op_sel_hi:[0,1]
	v_dual_fma_f32 v192, v176, v128, -v37 :: v_dual_add_f32 v123, v9, v21
	v_pk_mul_f32 v[114:115], v[184:185], v[114:115] op_sel_hi:[1,0]
	s_wait_loadcnt 0x3
	v_dual_add_f32 v122, v11, v13 :: v_dual_mov_b32 v124, v141
	v_pk_fma_f32 v[128:129], v[150:151], v[134:135], v[116:117] op_sel_hi:[1,0,1]
	v_fmac_f32_e32 v195, v147, v130
	v_pk_fma_f32 v[126:127], v[148:149], v[132:133], v[114:115] op_sel_hi:[1,0,1]
	v_fma_f32 v194, v146, v130, -v39
	v_pk_add_f32 v[122:123], v[122:123], v[192:193]
	v_pk_fma_f32 v[114:115], v[148:149], v[132:133], v[114:115] neg_lo:[0,0,1] neg_hi:[0,0,1]
	v_pk_fma_f32 v[116:117], v[150:151], v[134:135], v[116:117] neg_lo:[0,0,1] neg_hi:[0,0,1]
	v_pk_mul_f32 v[118:119], v[186:187], v[118:119] op_sel_hi:[1,0]
	v_dual_mov_b32 v115, v127 :: v_dual_mov_b32 v117, v129
	v_pk_add_f32 v[122:123], v[122:123], v[194:195]
	v_pk_mul_f32 v[120:121], v[154:155], v[138:139] op_sel:[1,1] op_sel_hi:[0,1]
	s_delay_alu instid0(VALU_DEP_4)
	v_pk_fma_f32 v[128:129], v[152:153], v[136:137], v[118:119] op_sel_hi:[1,0,1]
	v_pk_fma_f32 v[118:119], v[152:153], v[136:137], v[118:119] neg_lo:[0,0,1] neg_hi:[0,0,1]
	v_pk_mul_f32 v[124:125], v[188:189], v[124:125] op_sel_hi:[1,0]
	v_pk_add_f32 v[114:115], v[122:123], v[114:115]
	v_pk_fma_f32 v[122:123], v[154:155], v[138:139], v[120:121] op_sel_hi:[1,0,1]
	v_mov_b32_e32 v119, v129
	v_pk_fma_f32 v[120:121], v[154:155], v[138:139], v[120:121] neg_lo:[0,0,1] neg_hi:[0,0,1]
	s_wait_loadcnt 0x2
	v_pk_mul_f32 v[126:127], v[158:159], v[142:143] op_sel:[1,1] op_sel_hi:[0,1]
	v_pk_add_f32 v[114:115], v[114:115], v[116:117]
	v_dual_mov_b32 v116, v145 :: v_dual_mov_b32 v121, v123
	v_pk_fma_f32 v[122:123], v[156:157], v[140:141], v[124:125] op_sel_hi:[1,0,1]
	v_pk_fma_f32 v[124:125], v[156:157], v[140:141], v[124:125] neg_lo:[0,0,1] neg_hi:[0,0,1]
	s_delay_alu instid0(VALU_DEP_4)
	v_pk_add_f32 v[114:115], v[114:115], v[118:119]
	v_pk_fma_f32 v[118:119], v[158:159], v[142:143], v[126:127] op_sel_hi:[1,0,1]
	v_pk_mul_f32 v[116:117], v[190:191], v[116:117] op_sel_hi:[1,0]
	v_mov_b32_e32 v125, v123
	s_wait_loadcnt_dscnt 0x100
	v_pk_mul_f32 v[122:123], v[182:183], v[178:179] op_sel:[1,1] op_sel_hi:[0,1]
	v_pk_add_f32 v[114:115], v[114:115], v[120:121]
	v_pk_fma_f32 v[120:121], v[158:159], v[142:143], v[126:127] neg_lo:[0,0,1] neg_hi:[0,0,1]
	v_mov_b32_e32 v121, v119
	v_pk_fma_f32 v[118:119], v[160:161], v[144:145], v[116:117] op_sel_hi:[1,0,1]
	v_pk_fma_f32 v[116:117], v[160:161], v[144:145], v[116:117] neg_lo:[0,0,1] neg_hi:[0,0,1]
	v_pk_add_f32 v[114:115], v[114:115], v[124:125]
	s_delay_alu instid0(VALU_DEP_3) | instskip(SKIP_1) | instid1(VALU_DEP_3)
	v_mov_b32_e32 v117, v119
	v_pk_fma_f32 v[118:119], v[182:183], v[178:179], v[122:123] op_sel_hi:[1,0,1]
	v_pk_add_f32 v[114:115], v[114:115], v[120:121]
	v_pk_fma_f32 v[120:121], v[182:183], v[178:179], v[122:123] neg_lo:[0,0,1] neg_hi:[0,0,1]
	s_delay_alu instid0(VALU_DEP_3) | instskip(NEXT) | instid1(VALU_DEP_3)
	v_mov_b32_e32 v121, v119
	v_pk_add_f32 v[114:115], v[114:115], v[116:117]
	s_delay_alu instid0(VALU_DEP_1) | instskip(SKIP_1) | instid1(VALU_DEP_1)
	v_pk_add_f32 v[114:115], v[114:115], v[120:121]
	s_wait_loadcnt 0x0
	v_pk_add_f32 v[114:115], v[180:181], v[114:115] neg_lo:[0,1] neg_hi:[0,1]
	scratch_store_b64 off, v[114:115], off offset:304
	s_wait_xcnt 0x0
	v_cmpx_lt_u32_e32 37, v0
	s_cbranch_execz .LBB55_275
; %bb.274:
	scratch_load_b64 v[114:115], off, off offset:296
	v_mov_b64_e32 v[116:117], 0
	scratch_store_b64 off, v[116:117], off offset:296
	s_wait_loadcnt 0x0
	ds_store_b64 v1, v[114:115]
.LBB55_275:
	s_wait_xcnt 0x0
	s_or_b32 exec_lo, exec_lo, s0
	s_wait_storecnt_dscnt 0x0
	s_barrier_signal -1
	s_barrier_wait -1
	s_clause 0x9
	scratch_load_b128 v[114:117], off, off offset:304
	scratch_load_b128 v[118:121], off, off offset:320
	;; [unrolled: 1-line block ×9, first 2 shown]
	scratch_load_b64 v[186:187], off, off offset:296
	ds_load_b128 v[150:153], v7 offset:832
	ds_load_b128 v[154:157], v7 offset:848
	;; [unrolled: 1-line block ×9, first 2 shown]
	s_mov_b32 s0, exec_lo
	s_wait_dscnt 0x8
	v_dual_mov_b32 v188, v153 :: v_dual_mov_b32 v189, v152
	s_wait_dscnt 0x7
	v_dual_mov_b32 v190, v157 :: v_dual_mov_b32 v191, v156
	;; [unrolled: 2-line block ×4, first 2 shown]
	s_wait_loadcnt_dscnt 0x904
	v_dual_mul_f32 v7, v166, v115 :: v_dual_mul_f32 v9, v168, v117
	v_dual_mul_f32 v23, v167, v115 :: v_dual_mul_f32 v25, v169, v117
	s_wait_loadcnt_dscnt 0x803
	v_dual_mul_f32 v11, v170, v119 :: v_dual_mul_f32 v13, v172, v121
	s_delay_alu instid0(VALU_DEP_3) | instskip(SKIP_3) | instid1(VALU_DEP_3)
	v_dual_fmac_f32 v7, v167, v114 :: v_dual_fmac_f32 v9, v169, v116
	s_wait_loadcnt_dscnt 0x601
	v_dual_fma_f32 v23, v166, v114, -v23 :: v_dual_mul_f32 v35, v179, v127
	v_dual_mul_f32 v27, v171, v119 :: v_dual_mul_f32 v29, v173, v121
	v_dual_fma_f32 v25, v168, v116, -v25 :: v_dual_add_f32 v7, 0, v7
	s_delay_alu instid0(VALU_DEP_3) | instskip(SKIP_1) | instid1(VALU_DEP_3)
	v_dual_add_f32 v23, 0, v23 :: v_dual_mul_f32 v37, v181, v129
	v_dual_fmac_f32 v11, v171, v118 :: v_dual_fmac_f32 v13, v173, v120
	v_dual_fma_f32 v27, v170, v118, -v27 :: v_dual_add_f32 v7, v7, v9
	s_delay_alu instid0(VALU_DEP_3) | instskip(SKIP_2) | instid1(VALU_DEP_4)
	v_dual_add_f32 v9, v23, v25 :: v_dual_fma_f32 v25, v172, v120, -v29
	v_dual_mul_f32 v15, v174, v123 :: v_dual_mul_f32 v17, v176, v125
	v_dual_mul_f32 v31, v175, v123 :: v_dual_mul_f32 v33, v177, v125
	v_add_f32_e32 v7, v7, v11
	s_delay_alu instid0(VALU_DEP_3) | instskip(NEXT) | instid1(VALU_DEP_3)
	v_dual_add_f32 v9, v9, v27 :: v_dual_fmac_f32 v15, v175, v122
	v_fma_f32 v27, v174, v122, -v31
	v_dual_mul_f32 v19, v178, v127 :: v_dual_mul_f32 v21, v180, v129
	s_delay_alu instid0(VALU_DEP_4) | instskip(NEXT) | instid1(VALU_DEP_4)
	v_dual_add_f32 v7, v7, v13 :: v_dual_fmac_f32 v17, v177, v124
	v_dual_add_f32 v9, v9, v25 :: v_dual_fma_f32 v13, v176, v124, -v33
	s_wait_loadcnt 0x4
	s_delay_alu instid0(VALU_DEP_2) | instskip(NEXT) | instid1(VALU_DEP_2)
	v_dual_mov_b32 v116, v137 :: v_dual_add_f32 v7, v7, v15
	v_dual_fmac_f32 v19, v179, v126 :: v_dual_add_f32 v9, v9, v27
	v_fma_f32 v15, v178, v126, -v35
	s_wait_dscnt 0x0
	v_dual_mul_f32 v197, v182, v131 :: v_dual_mul_f32 v199, v184, v133
	v_add_f32_e32 v7, v7, v17
	v_dual_add_f32 v9, v9, v13 :: v_dual_fma_f32 v13, v180, v128, -v37
	v_dual_mul_f32 v23, v183, v131 :: v_dual_mul_f32 v11, v185, v133
	s_delay_alu instid0(VALU_DEP_3) | instskip(NEXT) | instid1(VALU_DEP_3)
	v_dual_fmac_f32 v21, v181, v128 :: v_dual_add_f32 v7, v7, v19
	v_dual_add_f32 v9, v9, v15 :: v_dual_fmac_f32 v197, v183, v130
	v_pk_mul_f32 v[114:115], v[150:151], v[134:135] op_sel:[1,1] op_sel_hi:[0,1]
	s_wait_loadcnt 0x3
	v_dual_mov_b32 v120, v141 :: v_dual_fma_f32 v196, v182, v130, -v23
	v_dual_add_f32 v123, v7, v21 :: v_dual_fmac_f32 v199, v185, v132
	v_dual_add_f32 v122, v9, v13 :: v_dual_fma_f32 v198, v184, v132, -v11
	v_pk_fma_f32 v[124:125], v[150:151], v[134:135], v[114:115] op_sel_hi:[1,0,1]
	v_pk_mul_f32 v[116:117], v[188:189], v[116:117] op_sel_hi:[1,0]
	v_pk_fma_f32 v[114:115], v[150:151], v[134:135], v[114:115] neg_lo:[0,0,1] neg_hi:[0,0,1]
	s_delay_alu instid0(VALU_DEP_4)
	v_pk_add_f32 v[122:123], v[122:123], v[196:197]
	v_pk_mul_f32 v[118:119], v[154:155], v[138:139] op_sel:[1,1] op_sel_hi:[0,1]
	v_mov_b32_e32 v115, v125
	v_pk_fma_f32 v[124:125], v[152:153], v[136:137], v[116:117] op_sel_hi:[1,0,1]
	v_pk_fma_f32 v[116:117], v[152:153], v[136:137], v[116:117] neg_lo:[0,0,1] neg_hi:[0,0,1]
	v_pk_add_f32 v[122:123], v[122:123], v[198:199]
	v_pk_fma_f32 v[128:129], v[154:155], v[138:139], v[118:119] op_sel_hi:[1,0,1]
	v_pk_mul_f32 v[120:121], v[190:191], v[120:121] op_sel_hi:[1,0]
	v_mov_b32_e32 v117, v125
	s_wait_loadcnt 0x2
	v_pk_mul_f32 v[126:127], v[158:159], v[142:143] op_sel:[1,1] op_sel_hi:[0,1]
	v_pk_add_f32 v[114:115], v[122:123], v[114:115]
	v_mov_b32_e32 v122, v145
	v_pk_fma_f32 v[118:119], v[154:155], v[138:139], v[118:119] neg_lo:[0,0,1] neg_hi:[0,0,1]
	v_mov_b32_e32 v119, v129
	v_pk_fma_f32 v[124:125], v[156:157], v[140:141], v[120:121] op_sel_hi:[1,0,1]
	v_pk_add_f32 v[114:115], v[114:115], v[116:117]
	v_pk_fma_f32 v[116:117], v[158:159], v[142:143], v[126:127] op_sel_hi:[1,0,1]
	v_pk_mul_f32 v[122:123], v[192:193], v[122:123] op_sel_hi:[1,0]
	v_pk_fma_f32 v[120:121], v[156:157], v[140:141], v[120:121] neg_lo:[0,0,1] neg_hi:[0,0,1]
	v_mov_b32_e32 v121, v125
	v_pk_add_f32 v[114:115], v[114:115], v[118:119]
	v_pk_fma_f32 v[124:125], v[158:159], v[142:143], v[126:127] neg_lo:[0,0,1] neg_hi:[0,0,1]
	v_mov_b32_e32 v125, v117
	v_pk_fma_f32 v[116:117], v[160:161], v[144:145], v[122:123] op_sel_hi:[1,0,1]
	s_wait_loadcnt 0x1
	v_pk_mul_f32 v[118:119], v[162:163], v[146:147] op_sel:[1,1] op_sel_hi:[0,1]
	v_pk_add_f32 v[114:115], v[114:115], v[120:121]
	v_mov_b32_e32 v116, v149
	v_pk_fma_f32 v[122:123], v[160:161], v[144:145], v[122:123] neg_lo:[0,0,1] neg_hi:[0,0,1]
	v_mov_b32_e32 v123, v117
	v_pk_fma_f32 v[120:121], v[162:163], v[146:147], v[118:119] op_sel_hi:[1,0,1]
	v_pk_add_f32 v[114:115], v[114:115], v[124:125]
	v_pk_mul_f32 v[116:117], v[194:195], v[116:117] op_sel_hi:[1,0]
	v_pk_fma_f32 v[118:119], v[162:163], v[146:147], v[118:119] neg_lo:[0,0,1] neg_hi:[0,0,1]
	s_delay_alu instid0(VALU_DEP_4) | instskip(NEXT) | instid1(VALU_DEP_4)
	v_mov_b32_e32 v119, v121
	v_pk_add_f32 v[114:115], v[114:115], v[122:123]
	s_delay_alu instid0(VALU_DEP_4) | instskip(SKIP_1) | instid1(VALU_DEP_2)
	v_pk_fma_f32 v[120:121], v[164:165], v[148:149], v[116:117] op_sel_hi:[1,0,1]
	v_pk_fma_f32 v[116:117], v[164:165], v[148:149], v[116:117] neg_lo:[0,0,1] neg_hi:[0,0,1]
	v_mov_b32_e32 v117, v121
	s_delay_alu instid0(VALU_DEP_4) | instskip(NEXT) | instid1(VALU_DEP_1)
	v_pk_add_f32 v[114:115], v[114:115], v[118:119]
	v_pk_add_f32 v[114:115], v[114:115], v[116:117]
	s_wait_loadcnt 0x0
	s_delay_alu instid0(VALU_DEP_1)
	v_pk_add_f32 v[114:115], v[186:187], v[114:115] neg_lo:[0,1] neg_hi:[0,1]
	scratch_store_b64 off, v[114:115], off offset:296
	s_wait_xcnt 0x0
	v_cmpx_lt_u32_e32 36, v0
	s_cbranch_execz .LBB55_277
; %bb.276:
	scratch_load_b64 v[114:115], off, off offset:288
	v_mov_b64_e32 v[116:117], 0
	scratch_store_b64 off, v[116:117], off offset:288
	s_wait_loadcnt 0x0
	ds_store_b64 v1, v[114:115]
.LBB55_277:
	s_wait_xcnt 0x0
	s_or_b32 exec_lo, exec_lo, s0
	s_wait_storecnt_dscnt 0x0
	s_barrier_signal -1
	s_barrier_wait -1
	s_clause 0xa
	scratch_load_b128 v[114:117], off, off offset:296
	scratch_load_b128 v[118:121], off, off offset:312
	;; [unrolled: 1-line block ×9, first 2 shown]
	scratch_load_b64 v[186:187], off, off offset:440
	scratch_load_b64 v[188:189], off, off offset:288
	v_mov_b32_e32 v7, 0
	ds_load_2addr_b64 v[150:153], v7 offset0:103 offset1:104
	ds_load_2addr_b64 v[154:157], v7 offset0:105 offset1:106
	;; [unrolled: 1-line block ×9, first 2 shown]
	ds_load_b64 v[190:191], v7 offset:888
	s_mov_b32 s0, exec_lo
	s_wait_dscnt 0x9
	v_dual_mov_b32 v192, v153 :: v_dual_mov_b32 v193, v152
	s_wait_dscnt 0x6
	v_dual_mov_b32 v194, v157 :: v_dual_mov_b32 v199, v164
	v_dual_mov_b32 v195, v156 :: v_dual_mov_b32 v196, v161
	;; [unrolled: 1-line block ×3, first 2 shown]
	s_wait_loadcnt_dscnt 0xa05
	v_dual_mul_f32 v9, v166, v115 :: v_dual_mul_f32 v27, v167, v115
	v_dual_mul_f32 v29, v169, v117 :: v_dual_mul_f32 v11, v168, v117
	s_wait_loadcnt_dscnt 0x904
	v_mul_f32_e32 v13, v170, v119
	s_wait_loadcnt_dscnt 0x702
	v_dual_mul_f32 v39, v179, v127 :: v_dual_fma_f32 v27, v166, v114, -v27
	v_dual_fmac_f32 v9, v167, v114 :: v_dual_mul_f32 v41, v181, v129
	v_dual_mul_f32 v31, v171, v119 :: v_dual_mul_f32 v33, v173, v121
	v_dual_fmac_f32 v11, v169, v116 :: v_dual_fma_f32 v29, v168, v116, -v29
	s_delay_alu instid0(VALU_DEP_3) | instskip(SKIP_3) | instid1(VALU_DEP_3)
	v_dual_add_f32 v9, 0, v9 :: v_dual_add_f32 v27, 0, v27
	v_dual_mul_f32 v15, v172, v121 :: v_dual_mul_f32 v17, v174, v123
	s_wait_loadcnt_dscnt 0x601
	v_dual_mul_f32 v43, v183, v131 :: v_dual_fma_f32 v31, v170, v118, -v31
	v_dual_fmac_f32 v13, v171, v118 :: v_dual_add_f32 v9, v9, v11
	s_delay_alu instid0(VALU_DEP_3) | instskip(SKIP_2) | instid1(VALU_DEP_3)
	v_dual_add_f32 v11, v27, v29 :: v_dual_fmac_f32 v15, v173, v120
	v_dual_mul_f32 v35, v175, v123 :: v_dual_mul_f32 v37, v177, v125
	v_dual_mul_f32 v27, v185, v133 :: v_dual_fma_f32 v29, v172, v120, -v33
	v_dual_add_f32 v9, v9, v13 :: v_dual_add_f32 v11, v11, v31
	v_dual_mul_f32 v19, v176, v125 :: v_dual_mul_f32 v21, v178, v127
	s_wait_loadcnt 0x5
	v_dual_mul_f32 v13, v151, v135 :: v_dual_fma_f32 v31, v174, v122, -v35
	s_delay_alu instid0(VALU_DEP_3) | instskip(SKIP_2) | instid1(VALU_DEP_2)
	v_dual_fmac_f32 v17, v175, v122 :: v_dual_add_f32 v9, v9, v15
	v_dual_add_f32 v11, v11, v29 :: v_dual_mov_b32 v114, v137
	v_dual_fmac_f32 v19, v177, v124 :: v_dual_fma_f32 v15, v176, v124, -v37
	v_dual_add_f32 v9, v9, v17 :: v_dual_add_f32 v11, v11, v31
	v_dual_mul_f32 v23, v180, v129 :: v_dual_mul_f32 v25, v182, v131
	v_dual_fmac_f32 v21, v179, v126 :: v_dual_fma_f32 v17, v178, v126, -v39
	s_delay_alu instid0(VALU_DEP_3) | instskip(SKIP_3) | instid1(VALU_DEP_3)
	v_add_f32_e32 v9, v9, v19
	s_wait_loadcnt 0x4
	v_dual_add_f32 v11, v11, v15 :: v_dual_mov_b32 v118, v141
	v_dual_fmac_f32 v23, v181, v128 :: v_dual_fma_f32 v15, v180, v128, -v41
	v_dual_add_f32 v9, v9, v21 :: v_dual_fmac_f32 v25, v183, v130
	s_delay_alu instid0(VALU_DEP_3) | instskip(SKIP_1) | instid1(VALU_DEP_3)
	v_add_f32_e32 v11, v11, v17
	v_dual_mul_f32 v201, v184, v133 :: v_dual_mul_f32 v203, v150, v135
	v_dual_fma_f32 v17, v182, v130, -v43 :: v_dual_add_f32 v9, v9, v23
	s_delay_alu instid0(VALU_DEP_2) | instskip(SKIP_2) | instid1(VALU_DEP_4)
	v_dual_add_f32 v11, v11, v15 :: v_dual_fmac_f32 v201, v185, v132
	v_fma_f32 v200, v184, v132, -v27
	v_pk_mul_f32 v[114:115], v[192:193], v[114:115] op_sel_hi:[1,0]
	v_add_f32_e32 v123, v9, v25
	s_wait_loadcnt 0x3
	v_dual_add_f32 v122, v11, v17 :: v_dual_mov_b32 v124, v145
	v_pk_mul_f32 v[116:117], v[154:155], v[138:139] op_sel:[1,1] op_sel_hi:[0,1]
	v_dual_fmac_f32 v203, v151, v134 :: v_dual_fma_f32 v202, v150, v134, -v13
	v_pk_fma_f32 v[126:127], v[152:153], v[136:137], v[114:115] op_sel_hi:[1,0,1]
	s_delay_alu instid0(VALU_DEP_4)
	v_pk_add_f32 v[122:123], v[122:123], v[200:201]
	v_pk_fma_f32 v[114:115], v[152:153], v[136:137], v[114:115] neg_lo:[0,0,1] neg_hi:[0,0,1]
	v_pk_fma_f32 v[128:129], v[154:155], v[138:139], v[116:117] op_sel_hi:[1,0,1]
	v_pk_mul_f32 v[118:119], v[194:195], v[118:119] op_sel_hi:[1,0]
	v_mov_b32_e32 v115, v127
	v_pk_add_f32 v[122:123], v[122:123], v[202:203]
	v_pk_fma_f32 v[116:117], v[154:155], v[138:139], v[116:117] neg_lo:[0,0,1] neg_hi:[0,0,1]
	v_pk_mul_f32 v[120:121], v[158:159], v[142:143] op_sel:[1,1] op_sel_hi:[0,1]
	v_mov_b32_e32 v117, v129
	v_pk_fma_f32 v[128:129], v[156:157], v[140:141], v[118:119] op_sel_hi:[1,0,1]
	v_pk_add_f32 v[114:115], v[122:123], v[114:115]
	v_pk_fma_f32 v[118:119], v[156:157], v[140:141], v[118:119] neg_lo:[0,0,1] neg_hi:[0,0,1]
	v_pk_fma_f32 v[122:123], v[158:159], v[142:143], v[120:121] op_sel_hi:[1,0,1]
	v_pk_mul_f32 v[124:125], v[196:197], v[124:125] op_sel_hi:[1,0]
	v_mov_b32_e32 v119, v129
	v_pk_add_f32 v[114:115], v[114:115], v[116:117]
	v_pk_fma_f32 v[120:121], v[158:159], v[142:143], v[120:121] neg_lo:[0,0,1] neg_hi:[0,0,1]
	s_wait_loadcnt 0x2
	v_pk_mul_f32 v[126:127], v[162:163], v[146:147] op_sel:[1,1] op_sel_hi:[0,1]
	v_dual_mov_b32 v116, v149 :: v_dual_mov_b32 v121, v123
	v_pk_fma_f32 v[122:123], v[160:161], v[144:145], v[124:125] op_sel_hi:[1,0,1]
	v_pk_add_f32 v[114:115], v[114:115], v[118:119]
	v_pk_fma_f32 v[124:125], v[160:161], v[144:145], v[124:125] neg_lo:[0,0,1] neg_hi:[0,0,1]
	v_pk_fma_f32 v[118:119], v[162:163], v[146:147], v[126:127] op_sel_hi:[1,0,1]
	v_pk_mul_f32 v[116:117], v[198:199], v[116:117] op_sel_hi:[1,0]
	v_mov_b32_e32 v125, v123
	v_pk_add_f32 v[114:115], v[114:115], v[120:121]
	v_pk_fma_f32 v[120:121], v[162:163], v[146:147], v[126:127] neg_lo:[0,0,1] neg_hi:[0,0,1]
	v_mov_b32_e32 v121, v119
	v_pk_fma_f32 v[118:119], v[164:165], v[148:149], v[116:117] op_sel_hi:[1,0,1]
	s_wait_loadcnt_dscnt 0x100
	v_pk_mul_f32 v[122:123], v[190:191], v[186:187] op_sel:[1,1] op_sel_hi:[0,1]
	v_pk_add_f32 v[114:115], v[114:115], v[124:125]
	v_pk_fma_f32 v[116:117], v[164:165], v[148:149], v[116:117] neg_lo:[0,0,1] neg_hi:[0,0,1]
	v_mov_b32_e32 v117, v119
	s_delay_alu instid0(VALU_DEP_4) | instskip(NEXT) | instid1(VALU_DEP_4)
	v_pk_fma_f32 v[118:119], v[190:191], v[186:187], v[122:123] op_sel_hi:[1,0,1]
	v_pk_add_f32 v[114:115], v[114:115], v[120:121]
	v_pk_fma_f32 v[120:121], v[190:191], v[186:187], v[122:123] neg_lo:[0,0,1] neg_hi:[0,0,1]
	s_delay_alu instid0(VALU_DEP_3) | instskip(NEXT) | instid1(VALU_DEP_3)
	v_mov_b32_e32 v121, v119
	v_pk_add_f32 v[114:115], v[114:115], v[116:117]
	s_delay_alu instid0(VALU_DEP_1) | instskip(SKIP_1) | instid1(VALU_DEP_1)
	v_pk_add_f32 v[114:115], v[114:115], v[120:121]
	s_wait_loadcnt 0x0
	v_pk_add_f32 v[114:115], v[188:189], v[114:115] neg_lo:[0,1] neg_hi:[0,1]
	scratch_store_b64 off, v[114:115], off offset:288
	s_wait_xcnt 0x0
	v_cmpx_lt_u32_e32 35, v0
	s_cbranch_execz .LBB55_279
; %bb.278:
	scratch_load_b64 v[114:115], off, off offset:280
	v_mov_b64_e32 v[116:117], 0
	scratch_store_b64 off, v[116:117], off offset:280
	s_wait_loadcnt 0x0
	ds_store_b64 v1, v[114:115]
.LBB55_279:
	s_wait_xcnt 0x0
	s_or_b32 exec_lo, exec_lo, s0
	s_wait_storecnt_dscnt 0x0
	s_barrier_signal -1
	s_barrier_wait -1
	s_clause 0xa
	scratch_load_b128 v[114:117], off, off offset:288
	scratch_load_b128 v[118:121], off, off offset:304
	;; [unrolled: 1-line block ×10, first 2 shown]
	scratch_load_b64 v[194:195], off, off offset:280
	ds_load_b128 v[154:157], v7 offset:832
	ds_load_b128 v[158:161], v7 offset:848
	;; [unrolled: 1-line block ×10, first 2 shown]
	s_mov_b32 s0, exec_lo
	s_wait_dscnt 0x9
	v_dual_mov_b32 v196, v157 :: v_dual_mov_b32 v197, v156
	s_wait_dscnt 0x8
	v_dual_mov_b32 v198, v161 :: v_dual_mov_b32 v199, v160
	;; [unrolled: 2-line block ×4, first 2 shown]
	s_wait_loadcnt_dscnt 0xa05
	v_dual_mul_f32 v7, v170, v115 :: v_dual_mul_f32 v9, v172, v117
	v_dual_mul_f32 v27, v171, v115 :: v_dual_mul_f32 v29, v173, v117
	s_wait_loadcnt_dscnt 0x904
	v_dual_mul_f32 v11, v174, v119 :: v_dual_mul_f32 v13, v176, v121
	s_delay_alu instid0(VALU_DEP_3) | instskip(SKIP_3) | instid1(VALU_DEP_3)
	v_dual_fmac_f32 v7, v171, v114 :: v_dual_fmac_f32 v9, v173, v116
	s_wait_loadcnt_dscnt 0x702
	v_dual_fma_f32 v27, v170, v114, -v27 :: v_dual_mul_f32 v39, v183, v127
	v_dual_mul_f32 v31, v175, v119 :: v_dual_mul_f32 v33, v177, v121
	v_dual_fma_f32 v29, v172, v116, -v29 :: v_dual_add_f32 v7, 0, v7
	s_delay_alu instid0(VALU_DEP_3) | instskip(SKIP_1) | instid1(VALU_DEP_3)
	v_dual_add_f32 v27, 0, v27 :: v_dual_mul_f32 v41, v185, v129
	v_dual_fmac_f32 v11, v175, v118 :: v_dual_fmac_f32 v13, v177, v120
	v_dual_fma_f32 v31, v174, v118, -v31 :: v_dual_add_f32 v7, v7, v9
	s_delay_alu instid0(VALU_DEP_3) | instskip(SKIP_2) | instid1(VALU_DEP_4)
	v_dual_add_f32 v9, v27, v29 :: v_dual_fma_f32 v29, v176, v120, -v33
	v_dual_mul_f32 v15, v178, v123 :: v_dual_mul_f32 v17, v180, v125
	v_dual_mul_f32 v35, v179, v123 :: v_dual_mul_f32 v37, v181, v125
	v_add_f32_e32 v7, v7, v11
	s_delay_alu instid0(VALU_DEP_3) | instskip(NEXT) | instid1(VALU_DEP_3)
	v_dual_add_f32 v9, v9, v31 :: v_dual_fmac_f32 v15, v179, v122
	v_fma_f32 v31, v178, v122, -v35
	v_dual_mul_f32 v19, v182, v127 :: v_dual_mul_f32 v21, v184, v129
	s_delay_alu instid0(VALU_DEP_4) | instskip(SKIP_2) | instid1(VALU_DEP_2)
	v_dual_add_f32 v7, v7, v13 :: v_dual_fmac_f32 v17, v181, v124
	s_wait_loadcnt_dscnt 0x500
	v_dual_add_f32 v9, v9, v29 :: v_dual_mul_f32 v13, v191, v135
	v_dual_fma_f32 v29, v180, v124, -v37 :: v_dual_add_f32 v7, v7, v15
	v_mul_f32_e32 v15, v193, v137
	s_delay_alu instid0(VALU_DEP_3) | instskip(NEXT) | instid1(VALU_DEP_3)
	v_dual_add_f32 v9, v9, v31 :: v_dual_fmac_f32 v19, v183, v126
	v_dual_fma_f32 v31, v182, v126, -v39 :: v_dual_add_f32 v7, v7, v17
	v_fmac_f32_e32 v21, v185, v128
	s_delay_alu instid0(VALU_DEP_3) | instskip(SKIP_4) | instid1(VALU_DEP_3)
	v_dual_add_f32 v9, v9, v29 :: v_dual_fma_f32 v17, v184, v128, -v41
	v_dual_mul_f32 v23, v186, v131 :: v_dual_mul_f32 v25, v188, v133
	v_dual_mul_f32 v27, v187, v131 :: v_dual_mul_f32 v11, v189, v133
	s_wait_loadcnt 0x4
	v_dual_add_f32 v7, v7, v19 :: v_dual_mov_b32 v116, v141
	v_dual_add_f32 v9, v9, v31 :: v_dual_fmac_f32 v23, v187, v130
	s_delay_alu instid0(VALU_DEP_2) | instskip(SKIP_1) | instid1(VALU_DEP_3)
	v_dual_fma_f32 v19, v186, v130, -v27 :: v_dual_add_f32 v7, v7, v21
	v_dual_mul_f32 v205, v190, v135 :: v_dual_mul_f32 v207, v192, v137
	v_dual_add_f32 v9, v9, v17 :: v_dual_fma_f32 v11, v188, v132, -v11
	s_delay_alu instid0(VALU_DEP_3) | instskip(SKIP_1) | instid1(VALU_DEP_3)
	v_dual_fmac_f32 v25, v189, v132 :: v_dual_add_f32 v7, v7, v23
	v_pk_mul_f32 v[114:115], v[154:155], v[138:139] op_sel:[1,1] op_sel_hi:[0,1]
	v_dual_add_f32 v9, v9, v19 :: v_dual_fmac_f32 v205, v191, v134
	s_wait_loadcnt 0x3
	v_dual_mov_b32 v120, v145 :: v_dual_fma_f32 v204, v190, v134, -v13
	s_delay_alu instid0(VALU_DEP_2)
	v_dual_add_f32 v123, v7, v25 :: v_dual_add_f32 v122, v9, v11
	v_fmac_f32_e32 v207, v193, v136
	v_pk_fma_f32 v[124:125], v[154:155], v[138:139], v[114:115] op_sel_hi:[1,0,1]
	v_fma_f32 v206, v192, v136, -v15
	v_pk_mul_f32 v[116:117], v[196:197], v[116:117] op_sel_hi:[1,0]
	v_pk_add_f32 v[122:123], v[122:123], v[204:205]
	v_pk_fma_f32 v[114:115], v[154:155], v[138:139], v[114:115] neg_lo:[0,0,1] neg_hi:[0,0,1]
	v_pk_mul_f32 v[118:119], v[158:159], v[142:143] op_sel:[1,1] op_sel_hi:[0,1]
	v_mov_b32_e32 v115, v125
	v_pk_fma_f32 v[124:125], v[156:157], v[140:141], v[116:117] op_sel_hi:[1,0,1]
	v_pk_add_f32 v[122:123], v[122:123], v[206:207]
	v_pk_fma_f32 v[116:117], v[156:157], v[140:141], v[116:117] neg_lo:[0,0,1] neg_hi:[0,0,1]
	v_pk_fma_f32 v[128:129], v[158:159], v[142:143], v[118:119] op_sel_hi:[1,0,1]
	v_pk_mul_f32 v[120:121], v[198:199], v[120:121] op_sel_hi:[1,0]
	v_mov_b32_e32 v117, v125
	v_pk_add_f32 v[114:115], v[122:123], v[114:115]
	s_wait_loadcnt 0x2
	v_pk_mul_f32 v[126:127], v[162:163], v[146:147] op_sel:[1,1] op_sel_hi:[0,1]
	v_mov_b32_e32 v122, v149
	v_pk_fma_f32 v[118:119], v[158:159], v[142:143], v[118:119] neg_lo:[0,0,1] neg_hi:[0,0,1]
	v_pk_fma_f32 v[124:125], v[160:161], v[144:145], v[120:121] op_sel_hi:[1,0,1]
	v_mov_b32_e32 v119, v129
	v_pk_add_f32 v[114:115], v[114:115], v[116:117]
	v_pk_fma_f32 v[116:117], v[162:163], v[146:147], v[126:127] op_sel_hi:[1,0,1]
	v_pk_mul_f32 v[122:123], v[200:201], v[122:123] op_sel_hi:[1,0]
	v_pk_fma_f32 v[120:121], v[160:161], v[144:145], v[120:121] neg_lo:[0,0,1] neg_hi:[0,0,1]
	v_mov_b32_e32 v121, v125
	v_pk_add_f32 v[114:115], v[114:115], v[118:119]
	v_pk_fma_f32 v[124:125], v[162:163], v[146:147], v[126:127] neg_lo:[0,0,1] neg_hi:[0,0,1]
	v_mov_b32_e32 v125, v117
	v_pk_fma_f32 v[116:117], v[164:165], v[148:149], v[122:123] op_sel_hi:[1,0,1]
	s_wait_loadcnt 0x1
	v_pk_mul_f32 v[118:119], v[166:167], v[150:151] op_sel:[1,1] op_sel_hi:[0,1]
	v_pk_add_f32 v[114:115], v[114:115], v[120:121]
	v_mov_b32_e32 v116, v153
	v_pk_fma_f32 v[122:123], v[164:165], v[148:149], v[122:123] neg_lo:[0,0,1] neg_hi:[0,0,1]
	s_delay_alu instid0(VALU_DEP_4)
	v_pk_fma_f32 v[120:121], v[166:167], v[150:151], v[118:119] op_sel_hi:[1,0,1]
	v_mov_b32_e32 v123, v117
	v_pk_add_f32 v[114:115], v[114:115], v[124:125]
	v_pk_mul_f32 v[116:117], v[202:203], v[116:117] op_sel_hi:[1,0]
	v_pk_fma_f32 v[118:119], v[166:167], v[150:151], v[118:119] neg_lo:[0,0,1] neg_hi:[0,0,1]
	v_mov_b32_e32 v119, v121
	s_delay_alu instid0(VALU_DEP_4) | instskip(NEXT) | instid1(VALU_DEP_4)
	v_pk_add_f32 v[114:115], v[114:115], v[122:123]
	v_pk_fma_f32 v[120:121], v[168:169], v[152:153], v[116:117] op_sel_hi:[1,0,1]
	v_pk_fma_f32 v[116:117], v[168:169], v[152:153], v[116:117] neg_lo:[0,0,1] neg_hi:[0,0,1]
	s_delay_alu instid0(VALU_DEP_3) | instskip(NEXT) | instid1(VALU_DEP_3)
	v_pk_add_f32 v[114:115], v[114:115], v[118:119]
	v_mov_b32_e32 v117, v121
	s_delay_alu instid0(VALU_DEP_1) | instskip(SKIP_1) | instid1(VALU_DEP_1)
	v_pk_add_f32 v[114:115], v[114:115], v[116:117]
	s_wait_loadcnt 0x0
	v_pk_add_f32 v[114:115], v[194:195], v[114:115] neg_lo:[0,1] neg_hi:[0,1]
	scratch_store_b64 off, v[114:115], off offset:280
	s_wait_xcnt 0x0
	v_cmpx_lt_u32_e32 34, v0
	s_cbranch_execz .LBB55_281
; %bb.280:
	scratch_load_b64 v[114:115], off, off offset:272
	v_mov_b64_e32 v[116:117], 0
	scratch_store_b64 off, v[116:117], off offset:272
	s_wait_loadcnt 0x0
	ds_store_b64 v1, v[114:115]
.LBB55_281:
	s_wait_xcnt 0x0
	s_or_b32 exec_lo, exec_lo, s0
	s_wait_storecnt_dscnt 0x0
	s_barrier_signal -1
	s_barrier_wait -1
	s_clause 0xb
	scratch_load_b128 v[114:117], off, off offset:280
	scratch_load_b128 v[118:121], off, off offset:296
	scratch_load_b128 v[122:125], off, off offset:312
	scratch_load_b128 v[126:129], off, off offset:328
	scratch_load_b128 v[130:133], off, off offset:344
	scratch_load_b128 v[134:137], off, off offset:360
	scratch_load_b128 v[138:141], off, off offset:376
	scratch_load_b128 v[142:145], off, off offset:392
	scratch_load_b128 v[146:149], off, off offset:408
	scratch_load_b128 v[150:153], off, off offset:424
	scratch_load_b64 v[194:195], off, off offset:440
	scratch_load_b64 v[196:197], off, off offset:272
	v_mov_b32_e32 v7, 0
	ds_load_2addr_b64 v[154:157], v7 offset0:103 offset1:104
	ds_load_2addr_b64 v[158:161], v7 offset0:105 offset1:106
	;; [unrolled: 1-line block ×10, first 2 shown]
	ds_load_b64 v[198:199], v7 offset:888
	s_mov_b32 s0, exec_lo
	s_wait_dscnt 0xa
	v_dual_mov_b32 v200, v157 :: v_dual_mov_b32 v201, v156
	s_wait_dscnt 0x7
	v_dual_mov_b32 v202, v161 :: v_dual_mov_b32 v207, v168
	v_dual_mov_b32 v203, v160 :: v_dual_mov_b32 v204, v165
	;; [unrolled: 1-line block ×3, first 2 shown]
	s_wait_loadcnt_dscnt 0xb06
	v_dual_mul_f32 v9, v170, v115 :: v_dual_mul_f32 v31, v171, v115
	v_dual_mul_f32 v33, v173, v117 :: v_dual_mul_f32 v11, v172, v117
	s_wait_loadcnt_dscnt 0xa05
	v_mul_f32_e32 v13, v174, v119
	s_wait_loadcnt_dscnt 0x803
	v_dual_mul_f32 v43, v183, v127 :: v_dual_fma_f32 v31, v170, v114, -v31
	v_dual_fmac_f32 v9, v171, v114 :: v_dual_mul_f32 v45, v185, v129
	v_dual_mul_f32 v35, v175, v119 :: v_dual_mul_f32 v37, v177, v121
	v_dual_fmac_f32 v11, v173, v116 :: v_dual_fma_f32 v33, v172, v116, -v33
	s_delay_alu instid0(VALU_DEP_3) | instskip(SKIP_3) | instid1(VALU_DEP_3)
	v_dual_add_f32 v9, 0, v9 :: v_dual_add_f32 v31, 0, v31
	v_dual_mul_f32 v15, v176, v121 :: v_dual_mul_f32 v17, v178, v123
	s_wait_loadcnt_dscnt 0x702
	v_dual_mul_f32 v47, v187, v131 :: v_dual_fma_f32 v35, v174, v118, -v35
	v_dual_fmac_f32 v13, v175, v118 :: v_dual_add_f32 v9, v9, v11
	s_delay_alu instid0(VALU_DEP_3) | instskip(SKIP_2) | instid1(VALU_DEP_3)
	v_dual_add_f32 v11, v31, v33 :: v_dual_fmac_f32 v15, v177, v120
	v_dual_mul_f32 v39, v179, v123 :: v_dual_mul_f32 v41, v181, v125
	v_dual_mul_f32 v31, v189, v133 :: v_dual_fma_f32 v33, v176, v120, -v37
	v_dual_add_f32 v9, v9, v13 :: v_dual_add_f32 v11, v11, v35
	v_dual_mul_f32 v19, v180, v125 :: v_dual_mul_f32 v21, v182, v127
	s_wait_loadcnt_dscnt 0x601
	v_dual_mul_f32 v13, v191, v135 :: v_dual_fma_f32 v35, v178, v122, -v39
	s_delay_alu instid0(VALU_DEP_3) | instskip(NEXT) | instid1(VALU_DEP_3)
	v_dual_fmac_f32 v17, v179, v122 :: v_dual_add_f32 v9, v9, v15
	v_dual_add_f32 v11, v11, v33 :: v_dual_fmac_f32 v19, v181, v124
	v_dual_mul_f32 v15, v193, v137 :: v_dual_fma_f32 v33, v180, v124, -v41
	s_delay_alu instid0(VALU_DEP_2) | instskip(SKIP_3) | instid1(VALU_DEP_3)
	v_dual_add_f32 v9, v9, v17 :: v_dual_add_f32 v11, v11, v35
	v_dual_mul_f32 v23, v184, v129 :: v_dual_mul_f32 v25, v186, v131
	s_wait_loadcnt 0x5
	v_dual_mul_f32 v17, v155, v139 :: v_dual_fma_f32 v35, v182, v126, -v43
	v_dual_fmac_f32 v21, v183, v126 :: v_dual_add_f32 v9, v9, v19
	v_dual_add_f32 v11, v11, v33 :: v_dual_mov_b32 v114, v141
	v_dual_fmac_f32 v23, v185, v128 :: v_dual_fma_f32 v19, v184, v128, -v45
	s_delay_alu instid0(VALU_DEP_2) | instskip(SKIP_2) | instid1(VALU_DEP_3)
	v_dual_add_f32 v9, v9, v21 :: v_dual_add_f32 v11, v11, v35
	v_dual_mul_f32 v27, v188, v133 :: v_dual_mul_f32 v29, v190, v135
	v_dual_fmac_f32 v25, v187, v130 :: v_dual_fma_f32 v21, v186, v130, -v47
	v_add_f32_e32 v9, v9, v23
	s_wait_loadcnt 0x4
	v_dual_add_f32 v11, v11, v19 :: v_dual_mov_b32 v118, v145
	v_fmac_f32_e32 v27, v189, v132
	s_delay_alu instid0(VALU_DEP_3) | instskip(SKIP_1) | instid1(VALU_DEP_4)
	v_dual_fma_f32 v19, v188, v132, -v31 :: v_dual_add_f32 v9, v9, v25
	v_fmac_f32_e32 v29, v191, v134
	v_add_f32_e32 v11, v11, v21
	v_dual_mul_f32 v209, v192, v137 :: v_dual_mul_f32 v211, v154, v139
	s_delay_alu instid0(VALU_DEP_4) | instskip(NEXT) | instid1(VALU_DEP_2)
	v_dual_fma_f32 v13, v190, v134, -v13 :: v_dual_add_f32 v9, v9, v27
	v_dual_add_f32 v11, v11, v19 :: v_dual_fmac_f32 v209, v193, v136
	v_fma_f32 v208, v192, v136, -v15
	v_pk_mul_f32 v[114:115], v[200:201], v[114:115] op_sel_hi:[1,0]
	s_delay_alu instid0(VALU_DEP_4)
	v_add_f32_e32 v123, v9, v29
	s_wait_loadcnt 0x3
	v_dual_add_f32 v122, v11, v13 :: v_dual_mov_b32 v124, v149
	v_pk_mul_f32 v[116:117], v[158:159], v[142:143] op_sel:[1,1] op_sel_hi:[0,1]
	v_dual_fmac_f32 v211, v155, v138 :: v_dual_fma_f32 v210, v154, v138, -v17
	v_pk_fma_f32 v[126:127], v[156:157], v[140:141], v[114:115] op_sel_hi:[1,0,1]
	s_delay_alu instid0(VALU_DEP_4)
	v_pk_add_f32 v[122:123], v[122:123], v[208:209]
	v_pk_fma_f32 v[114:115], v[156:157], v[140:141], v[114:115] neg_lo:[0,0,1] neg_hi:[0,0,1]
	v_pk_fma_f32 v[128:129], v[158:159], v[142:143], v[116:117] op_sel_hi:[1,0,1]
	v_pk_mul_f32 v[118:119], v[202:203], v[118:119] op_sel_hi:[1,0]
	v_mov_b32_e32 v115, v127
	v_pk_add_f32 v[122:123], v[122:123], v[210:211]
	v_pk_fma_f32 v[116:117], v[158:159], v[142:143], v[116:117] neg_lo:[0,0,1] neg_hi:[0,0,1]
	v_pk_mul_f32 v[120:121], v[162:163], v[146:147] op_sel:[1,1] op_sel_hi:[0,1]
	v_mov_b32_e32 v117, v129
	v_pk_fma_f32 v[128:129], v[160:161], v[144:145], v[118:119] op_sel_hi:[1,0,1]
	v_pk_add_f32 v[114:115], v[122:123], v[114:115]
	v_pk_fma_f32 v[118:119], v[160:161], v[144:145], v[118:119] neg_lo:[0,0,1] neg_hi:[0,0,1]
	v_pk_fma_f32 v[122:123], v[162:163], v[146:147], v[120:121] op_sel_hi:[1,0,1]
	v_pk_mul_f32 v[124:125], v[204:205], v[124:125] op_sel_hi:[1,0]
	v_mov_b32_e32 v119, v129
	v_pk_add_f32 v[114:115], v[114:115], v[116:117]
	v_pk_fma_f32 v[120:121], v[162:163], v[146:147], v[120:121] neg_lo:[0,0,1] neg_hi:[0,0,1]
	s_wait_loadcnt 0x2
	v_pk_mul_f32 v[126:127], v[166:167], v[150:151] op_sel:[1,1] op_sel_hi:[0,1]
	v_dual_mov_b32 v116, v153 :: v_dual_mov_b32 v121, v123
	v_pk_fma_f32 v[122:123], v[164:165], v[148:149], v[124:125] op_sel_hi:[1,0,1]
	v_pk_add_f32 v[114:115], v[114:115], v[118:119]
	v_pk_fma_f32 v[124:125], v[164:165], v[148:149], v[124:125] neg_lo:[0,0,1] neg_hi:[0,0,1]
	v_pk_fma_f32 v[118:119], v[166:167], v[150:151], v[126:127] op_sel_hi:[1,0,1]
	v_pk_mul_f32 v[116:117], v[206:207], v[116:117] op_sel_hi:[1,0]
	v_mov_b32_e32 v125, v123
	v_pk_add_f32 v[114:115], v[114:115], v[120:121]
	v_pk_fma_f32 v[120:121], v[166:167], v[150:151], v[126:127] neg_lo:[0,0,1] neg_hi:[0,0,1]
	v_mov_b32_e32 v121, v119
	v_pk_fma_f32 v[118:119], v[168:169], v[152:153], v[116:117] op_sel_hi:[1,0,1]
	s_wait_loadcnt_dscnt 0x100
	v_pk_mul_f32 v[122:123], v[198:199], v[194:195] op_sel:[1,1] op_sel_hi:[0,1]
	v_pk_add_f32 v[114:115], v[114:115], v[124:125]
	v_pk_fma_f32 v[116:117], v[168:169], v[152:153], v[116:117] neg_lo:[0,0,1] neg_hi:[0,0,1]
	v_mov_b32_e32 v117, v119
	s_delay_alu instid0(VALU_DEP_4) | instskip(NEXT) | instid1(VALU_DEP_4)
	v_pk_fma_f32 v[118:119], v[198:199], v[194:195], v[122:123] op_sel_hi:[1,0,1]
	v_pk_add_f32 v[114:115], v[114:115], v[120:121]
	v_pk_fma_f32 v[120:121], v[198:199], v[194:195], v[122:123] neg_lo:[0,0,1] neg_hi:[0,0,1]
	s_delay_alu instid0(VALU_DEP_3) | instskip(NEXT) | instid1(VALU_DEP_3)
	v_mov_b32_e32 v121, v119
	v_pk_add_f32 v[114:115], v[114:115], v[116:117]
	s_delay_alu instid0(VALU_DEP_1) | instskip(SKIP_1) | instid1(VALU_DEP_1)
	v_pk_add_f32 v[114:115], v[114:115], v[120:121]
	s_wait_loadcnt 0x0
	v_pk_add_f32 v[114:115], v[196:197], v[114:115] neg_lo:[0,1] neg_hi:[0,1]
	scratch_store_b64 off, v[114:115], off offset:272
	s_wait_xcnt 0x0
	v_cmpx_lt_u32_e32 33, v0
	s_cbranch_execz .LBB55_283
; %bb.282:
	scratch_load_b64 v[114:115], off, off offset:264
	v_mov_b64_e32 v[116:117], 0
	scratch_store_b64 off, v[116:117], off offset:264
	s_wait_loadcnt 0x0
	ds_store_b64 v1, v[114:115]
.LBB55_283:
	s_wait_xcnt 0x0
	s_or_b32 exec_lo, exec_lo, s0
	s_wait_storecnt_dscnt 0x0
	s_barrier_signal -1
	s_barrier_wait -1
	s_clause 0xb
	scratch_load_b128 v[114:117], off, off offset:272
	scratch_load_b128 v[118:121], off, off offset:288
	;; [unrolled: 1-line block ×11, first 2 shown]
	scratch_load_b64 v[202:203], off, off offset:264
	ds_load_b128 v[158:161], v7 offset:832
	ds_load_b128 v[162:165], v7 offset:848
	;; [unrolled: 1-line block ×11, first 2 shown]
	s_mov_b32 s0, exec_lo
	s_wait_dscnt 0xa
	v_dual_mov_b32 v204, v161 :: v_dual_mov_b32 v205, v160
	s_wait_dscnt 0x9
	v_dual_mov_b32 v206, v165 :: v_dual_mov_b32 v207, v164
	;; [unrolled: 2-line block ×4, first 2 shown]
	s_wait_loadcnt_dscnt 0xb06
	v_dual_mul_f32 v7, v174, v115 :: v_dual_mul_f32 v9, v176, v117
	v_dual_mul_f32 v31, v175, v115 :: v_dual_mul_f32 v33, v177, v117
	s_wait_loadcnt_dscnt 0xa05
	v_dual_mul_f32 v11, v178, v119 :: v_dual_mul_f32 v13, v180, v121
	s_delay_alu instid0(VALU_DEP_3) | instskip(SKIP_3) | instid1(VALU_DEP_3)
	v_dual_fmac_f32 v7, v175, v114 :: v_dual_fmac_f32 v9, v177, v116
	s_wait_loadcnt_dscnt 0x803
	v_dual_fma_f32 v31, v174, v114, -v31 :: v_dual_mul_f32 v43, v187, v127
	v_dual_mul_f32 v35, v179, v119 :: v_dual_mul_f32 v37, v181, v121
	v_dual_fma_f32 v33, v176, v116, -v33 :: v_dual_add_f32 v7, 0, v7
	s_delay_alu instid0(VALU_DEP_3) | instskip(SKIP_1) | instid1(VALU_DEP_3)
	v_dual_add_f32 v31, 0, v31 :: v_dual_mul_f32 v45, v189, v129
	v_dual_fmac_f32 v11, v179, v118 :: v_dual_fmac_f32 v13, v181, v120
	v_dual_fma_f32 v35, v178, v118, -v35 :: v_dual_add_f32 v7, v7, v9
	s_delay_alu instid0(VALU_DEP_3) | instskip(SKIP_2) | instid1(VALU_DEP_4)
	v_dual_add_f32 v9, v31, v33 :: v_dual_fma_f32 v33, v180, v120, -v37
	v_dual_mul_f32 v15, v182, v123 :: v_dual_mul_f32 v17, v184, v125
	v_dual_mul_f32 v39, v183, v123 :: v_dual_mul_f32 v41, v185, v125
	v_add_f32_e32 v7, v7, v11
	s_delay_alu instid0(VALU_DEP_3) | instskip(NEXT) | instid1(VALU_DEP_3)
	v_dual_add_f32 v9, v9, v35 :: v_dual_fmac_f32 v15, v183, v122
	v_fma_f32 v35, v182, v122, -v39
	v_dual_mul_f32 v19, v186, v127 :: v_dual_mul_f32 v21, v188, v129
	s_delay_alu instid0(VALU_DEP_4) | instskip(SKIP_2) | instid1(VALU_DEP_2)
	v_dual_add_f32 v7, v7, v13 :: v_dual_fmac_f32 v17, v185, v124
	s_wait_loadcnt_dscnt 0x601
	v_dual_add_f32 v9, v9, v33 :: v_dual_mul_f32 v13, v195, v135
	v_dual_fma_f32 v33, v184, v124, -v41 :: v_dual_add_f32 v7, v7, v15
	v_mul_f32_e32 v15, v197, v137
	s_delay_alu instid0(VALU_DEP_3) | instskip(NEXT) | instid1(VALU_DEP_3)
	v_dual_add_f32 v9, v9, v35 :: v_dual_fmac_f32 v19, v187, v126
	v_dual_fma_f32 v35, v186, v126, -v43 :: v_dual_add_f32 v7, v7, v17
	v_fmac_f32_e32 v21, v189, v128
	s_wait_loadcnt_dscnt 0x500
	s_delay_alu instid0(VALU_DEP_3) | instskip(SKIP_3) | instid1(VALU_DEP_3)
	v_dual_add_f32 v9, v9, v33 :: v_dual_mul_f32 v17, v199, v139
	v_dual_mul_f32 v23, v190, v131 :: v_dual_mul_f32 v25, v192, v133
	v_dual_mul_f32 v31, v191, v131 :: v_dual_mul_f32 v11, v193, v133
	v_dual_fma_f32 v33, v188, v128, -v45 :: v_dual_add_f32 v7, v7, v19
	v_dual_add_f32 v9, v9, v35 :: v_dual_fmac_f32 v23, v191, v130
	s_delay_alu instid0(VALU_DEP_3) | instskip(NEXT) | instid1(VALU_DEP_3)
	v_dual_mul_f32 v19, v201, v141 :: v_dual_fma_f32 v31, v190, v130, -v31
	v_dual_add_f32 v7, v7, v21 :: v_dual_fmac_f32 v25, v193, v132
	s_delay_alu instid0(VALU_DEP_3) | instskip(SKIP_2) | instid1(VALU_DEP_3)
	v_dual_add_f32 v9, v9, v33 :: v_dual_fma_f32 v11, v192, v132, -v11
	v_dual_mul_f32 v27, v194, v135 :: v_dual_mul_f32 v29, v196, v137
	s_wait_loadcnt 0x4
	v_dual_add_f32 v7, v7, v23 :: v_dual_mov_b32 v116, v145
	s_delay_alu instid0(VALU_DEP_2) | instskip(NEXT) | instid1(VALU_DEP_2)
	v_dual_add_f32 v9, v9, v31 :: v_dual_fmac_f32 v27, v195, v134
	v_dual_fma_f32 v13, v194, v134, -v13 :: v_dual_add_f32 v7, v7, v25
	v_dual_mul_f32 v213, v198, v139 :: v_dual_mul_f32 v215, v200, v141
	s_delay_alu instid0(VALU_DEP_3) | instskip(NEXT) | instid1(VALU_DEP_3)
	v_dual_add_f32 v9, v9, v11 :: v_dual_fma_f32 v11, v196, v136, -v15
	v_dual_fmac_f32 v29, v197, v136 :: v_dual_add_f32 v7, v7, v27
	v_pk_mul_f32 v[114:115], v[158:159], v[142:143] op_sel:[1,1] op_sel_hi:[0,1]
	s_delay_alu instid0(VALU_DEP_3) | instskip(SKIP_2) | instid1(VALU_DEP_2)
	v_dual_add_f32 v9, v9, v13 :: v_dual_fmac_f32 v213, v199, v138
	s_wait_loadcnt 0x3
	v_dual_mov_b32 v120, v149 :: v_dual_fma_f32 v212, v198, v138, -v17
	v_dual_add_f32 v123, v7, v29 :: v_dual_add_f32 v122, v9, v11
	v_fmac_f32_e32 v215, v201, v140
	v_pk_fma_f32 v[124:125], v[158:159], v[142:143], v[114:115] op_sel_hi:[1,0,1]
	v_fma_f32 v214, v200, v140, -v19
	v_pk_mul_f32 v[116:117], v[204:205], v[116:117] op_sel_hi:[1,0]
	v_pk_add_f32 v[122:123], v[122:123], v[212:213]
	v_pk_fma_f32 v[114:115], v[158:159], v[142:143], v[114:115] neg_lo:[0,0,1] neg_hi:[0,0,1]
	v_pk_mul_f32 v[118:119], v[162:163], v[146:147] op_sel:[1,1] op_sel_hi:[0,1]
	v_mov_b32_e32 v115, v125
	v_pk_fma_f32 v[124:125], v[160:161], v[144:145], v[116:117] op_sel_hi:[1,0,1]
	v_pk_add_f32 v[122:123], v[122:123], v[214:215]
	v_pk_fma_f32 v[116:117], v[160:161], v[144:145], v[116:117] neg_lo:[0,0,1] neg_hi:[0,0,1]
	v_pk_fma_f32 v[128:129], v[162:163], v[146:147], v[118:119] op_sel_hi:[1,0,1]
	v_pk_mul_f32 v[120:121], v[206:207], v[120:121] op_sel_hi:[1,0]
	v_mov_b32_e32 v117, v125
	v_pk_add_f32 v[114:115], v[122:123], v[114:115]
	s_wait_loadcnt 0x2
	v_pk_mul_f32 v[126:127], v[166:167], v[150:151] op_sel:[1,1] op_sel_hi:[0,1]
	v_mov_b32_e32 v122, v153
	v_pk_fma_f32 v[118:119], v[162:163], v[146:147], v[118:119] neg_lo:[0,0,1] neg_hi:[0,0,1]
	v_pk_fma_f32 v[124:125], v[164:165], v[148:149], v[120:121] op_sel_hi:[1,0,1]
	v_mov_b32_e32 v119, v129
	v_pk_add_f32 v[114:115], v[114:115], v[116:117]
	v_pk_fma_f32 v[116:117], v[166:167], v[150:151], v[126:127] op_sel_hi:[1,0,1]
	v_pk_mul_f32 v[122:123], v[208:209], v[122:123] op_sel_hi:[1,0]
	v_pk_fma_f32 v[120:121], v[164:165], v[148:149], v[120:121] neg_lo:[0,0,1] neg_hi:[0,0,1]
	v_mov_b32_e32 v121, v125
	v_pk_add_f32 v[114:115], v[114:115], v[118:119]
	v_pk_fma_f32 v[124:125], v[166:167], v[150:151], v[126:127] neg_lo:[0,0,1] neg_hi:[0,0,1]
	v_mov_b32_e32 v125, v117
	v_pk_fma_f32 v[116:117], v[168:169], v[152:153], v[122:123] op_sel_hi:[1,0,1]
	s_wait_loadcnt 0x1
	v_pk_mul_f32 v[118:119], v[170:171], v[154:155] op_sel:[1,1] op_sel_hi:[0,1]
	v_pk_add_f32 v[114:115], v[114:115], v[120:121]
	v_mov_b32_e32 v116, v157
	v_pk_fma_f32 v[122:123], v[168:169], v[152:153], v[122:123] neg_lo:[0,0,1] neg_hi:[0,0,1]
	s_delay_alu instid0(VALU_DEP_4)
	v_pk_fma_f32 v[120:121], v[170:171], v[154:155], v[118:119] op_sel_hi:[1,0,1]
	v_mov_b32_e32 v123, v117
	v_pk_add_f32 v[114:115], v[114:115], v[124:125]
	v_pk_mul_f32 v[116:117], v[210:211], v[116:117] op_sel_hi:[1,0]
	v_pk_fma_f32 v[118:119], v[170:171], v[154:155], v[118:119] neg_lo:[0,0,1] neg_hi:[0,0,1]
	v_mov_b32_e32 v119, v121
	s_delay_alu instid0(VALU_DEP_4) | instskip(NEXT) | instid1(VALU_DEP_4)
	v_pk_add_f32 v[114:115], v[114:115], v[122:123]
	v_pk_fma_f32 v[120:121], v[172:173], v[156:157], v[116:117] op_sel_hi:[1,0,1]
	v_pk_fma_f32 v[116:117], v[172:173], v[156:157], v[116:117] neg_lo:[0,0,1] neg_hi:[0,0,1]
	s_delay_alu instid0(VALU_DEP_3) | instskip(NEXT) | instid1(VALU_DEP_3)
	v_pk_add_f32 v[114:115], v[114:115], v[118:119]
	v_mov_b32_e32 v117, v121
	s_delay_alu instid0(VALU_DEP_1) | instskip(SKIP_1) | instid1(VALU_DEP_1)
	v_pk_add_f32 v[114:115], v[114:115], v[116:117]
	s_wait_loadcnt 0x0
	v_pk_add_f32 v[114:115], v[202:203], v[114:115] neg_lo:[0,1] neg_hi:[0,1]
	scratch_store_b64 off, v[114:115], off offset:264
	s_wait_xcnt 0x0
	v_cmpx_lt_u32_e32 32, v0
	s_cbranch_execz .LBB55_285
; %bb.284:
	scratch_load_b64 v[114:115], off, off offset:256
	v_mov_b64_e32 v[116:117], 0
	scratch_store_b64 off, v[116:117], off offset:256
	s_wait_loadcnt 0x0
	ds_store_b64 v1, v[114:115]
.LBB55_285:
	s_wait_xcnt 0x0
	s_or_b32 exec_lo, exec_lo, s0
	s_wait_storecnt_dscnt 0x0
	s_barrier_signal -1
	s_barrier_wait -1
	s_clause 0xc
	scratch_load_b128 v[114:117], off, off offset:264
	scratch_load_b128 v[118:121], off, off offset:280
	;; [unrolled: 1-line block ×11, first 2 shown]
	scratch_load_b64 v[202:203], off, off offset:440
	scratch_load_b64 v[204:205], off, off offset:256
	v_mov_b32_e32 v7, 0
	ds_load_2addr_b64 v[158:161], v7 offset0:103 offset1:104
	ds_load_2addr_b64 v[162:165], v7 offset0:105 offset1:106
	;; [unrolled: 1-line block ×11, first 2 shown]
	ds_load_b64 v[206:207], v7 offset:888
	s_mov_b32 s0, exec_lo
	s_wait_dscnt 0xb
	v_dual_mov_b32 v208, v161 :: v_dual_mov_b32 v209, v160
	s_wait_dscnt 0x8
	v_dual_mov_b32 v210, v165 :: v_dual_mov_b32 v215, v172
	v_dual_mov_b32 v211, v164 :: v_dual_mov_b32 v212, v169
	;; [unrolled: 1-line block ×3, first 2 shown]
	s_wait_loadcnt_dscnt 0xc07
	v_dual_mul_f32 v9, v174, v115 :: v_dual_mul_f32 v35, v175, v115
	v_dual_mul_f32 v37, v177, v117 :: v_dual_mul_f32 v11, v176, v117
	s_wait_loadcnt_dscnt 0xb06
	v_mul_f32_e32 v13, v178, v119
	s_wait_loadcnt_dscnt 0x904
	v_dual_mul_f32 v47, v187, v127 :: v_dual_fma_f32 v35, v174, v114, -v35
	v_dual_fmac_f32 v9, v175, v114 :: v_dual_mul_f32 v49, v189, v129
	v_dual_mul_f32 v39, v179, v119 :: v_dual_mul_f32 v41, v181, v121
	v_dual_fmac_f32 v11, v177, v116 :: v_dual_fma_f32 v37, v176, v116, -v37
	s_delay_alu instid0(VALU_DEP_3) | instskip(SKIP_3) | instid1(VALU_DEP_3)
	v_dual_add_f32 v9, 0, v9 :: v_dual_add_f32 v35, 0, v35
	v_dual_mul_f32 v15, v180, v121 :: v_dual_mul_f32 v17, v182, v123
	s_wait_loadcnt_dscnt 0x803
	v_dual_mul_f32 v51, v191, v131 :: v_dual_fma_f32 v39, v178, v118, -v39
	v_dual_fmac_f32 v13, v179, v118 :: v_dual_add_f32 v9, v9, v11
	s_delay_alu instid0(VALU_DEP_3) | instskip(SKIP_2) | instid1(VALU_DEP_3)
	v_dual_add_f32 v11, v35, v37 :: v_dual_fmac_f32 v15, v181, v120
	v_dual_mul_f32 v43, v183, v123 :: v_dual_mul_f32 v45, v185, v125
	v_dual_mul_f32 v35, v193, v133 :: v_dual_fma_f32 v37, v180, v120, -v41
	v_dual_add_f32 v9, v9, v13 :: v_dual_add_f32 v11, v11, v39
	v_dual_mul_f32 v19, v184, v125 :: v_dual_mul_f32 v21, v186, v127
	s_wait_loadcnt_dscnt 0x701
	v_dual_mul_f32 v13, v199, v135 :: v_dual_fma_f32 v39, v182, v122, -v43
	s_delay_alu instid0(VALU_DEP_3) | instskip(NEXT) | instid1(VALU_DEP_3)
	v_dual_fmac_f32 v17, v183, v122 :: v_dual_add_f32 v9, v9, v15
	v_dual_add_f32 v11, v11, v37 :: v_dual_fmac_f32 v19, v185, v124
	v_dual_mul_f32 v15, v201, v137 :: v_dual_fma_f32 v37, v184, v124, -v45
	s_delay_alu instid0(VALU_DEP_2) | instskip(SKIP_3) | instid1(VALU_DEP_3)
	v_dual_add_f32 v9, v9, v17 :: v_dual_add_f32 v11, v11, v39
	v_dual_mul_f32 v23, v188, v129 :: v_dual_mul_f32 v25, v190, v131
	s_wait_loadcnt 0x6
	v_dual_mul_f32 v17, v195, v139 :: v_dual_fma_f32 v39, v186, v126, -v47
	v_dual_fmac_f32 v21, v187, v126 :: v_dual_add_f32 v9, v9, v19
	s_delay_alu instid0(VALU_DEP_3) | instskip(SKIP_1) | instid1(VALU_DEP_2)
	v_dual_add_f32 v11, v11, v37 :: v_dual_fmac_f32 v23, v189, v128
	v_dual_mul_f32 v19, v197, v141 :: v_dual_fma_f32 v37, v188, v128, -v49
	v_dual_add_f32 v9, v9, v21 :: v_dual_add_f32 v11, v11, v39
	v_dual_mul_f32 v27, v192, v133 :: v_dual_mul_f32 v29, v198, v135
	s_wait_loadcnt 0x5
	v_dual_mul_f32 v21, v159, v143 :: v_dual_fma_f32 v39, v190, v130, -v51
	s_delay_alu instid0(VALU_DEP_3) | instskip(SKIP_2) | instid1(VALU_DEP_3)
	v_dual_fmac_f32 v25, v191, v130 :: v_dual_add_f32 v9, v9, v23
	v_dual_add_f32 v11, v11, v37 :: v_dual_mov_b32 v114, v145
	v_fmac_f32_e32 v27, v193, v132
	v_dual_fma_f32 v23, v192, v132, -v35 :: v_dual_add_f32 v9, v9, v25
	s_delay_alu instid0(VALU_DEP_3) | instskip(SKIP_1) | instid1(VALU_DEP_3)
	v_dual_add_f32 v11, v11, v39 :: v_dual_mul_f32 v31, v200, v137
	v_dual_mul_f32 v33, v194, v139 :: v_dual_fmac_f32 v29, v199, v134
	v_dual_add_f32 v9, v9, v27 :: v_dual_fma_f32 v13, v198, v134, -v13
	s_wait_loadcnt 0x4
	s_delay_alu instid0(VALU_DEP_3) | instskip(SKIP_3) | instid1(VALU_DEP_4)
	v_dual_add_f32 v11, v11, v23 :: v_dual_mov_b32 v118, v149
	v_fma_f32 v15, v200, v136, -v15
	v_fmac_f32_e32 v31, v201, v136
	v_dual_add_f32 v9, v9, v29 :: v_dual_fmac_f32 v33, v195, v138
	v_add_f32_e32 v11, v11, v13
	v_dual_mul_f32 v217, v196, v141 :: v_dual_mul_f32 v219, v158, v143
	s_delay_alu instid0(VALU_DEP_3) | instskip(NEXT) | instid1(VALU_DEP_2)
	v_dual_fma_f32 v13, v194, v138, -v17 :: v_dual_add_f32 v9, v9, v31
	v_dual_add_f32 v11, v11, v15 :: v_dual_fmac_f32 v217, v197, v140
	v_fma_f32 v216, v196, v140, -v19
	v_pk_mul_f32 v[114:115], v[208:209], v[114:115] op_sel_hi:[1,0]
	s_delay_alu instid0(VALU_DEP_4)
	v_add_f32_e32 v123, v9, v33
	s_wait_loadcnt 0x3
	v_dual_add_f32 v122, v11, v13 :: v_dual_mov_b32 v124, v153
	v_pk_mul_f32 v[116:117], v[162:163], v[146:147] op_sel:[1,1] op_sel_hi:[0,1]
	v_dual_fmac_f32 v219, v159, v142 :: v_dual_fma_f32 v218, v158, v142, -v21
	v_pk_fma_f32 v[126:127], v[160:161], v[144:145], v[114:115] op_sel_hi:[1,0,1]
	s_delay_alu instid0(VALU_DEP_4)
	v_pk_add_f32 v[122:123], v[122:123], v[216:217]
	v_pk_fma_f32 v[114:115], v[160:161], v[144:145], v[114:115] neg_lo:[0,0,1] neg_hi:[0,0,1]
	v_pk_fma_f32 v[128:129], v[162:163], v[146:147], v[116:117] op_sel_hi:[1,0,1]
	v_pk_mul_f32 v[118:119], v[210:211], v[118:119] op_sel_hi:[1,0]
	v_mov_b32_e32 v115, v127
	v_pk_add_f32 v[122:123], v[122:123], v[218:219]
	v_pk_fma_f32 v[116:117], v[162:163], v[146:147], v[116:117] neg_lo:[0,0,1] neg_hi:[0,0,1]
	v_pk_mul_f32 v[120:121], v[166:167], v[150:151] op_sel:[1,1] op_sel_hi:[0,1]
	v_mov_b32_e32 v117, v129
	v_pk_fma_f32 v[128:129], v[164:165], v[148:149], v[118:119] op_sel_hi:[1,0,1]
	v_pk_add_f32 v[114:115], v[122:123], v[114:115]
	v_pk_fma_f32 v[118:119], v[164:165], v[148:149], v[118:119] neg_lo:[0,0,1] neg_hi:[0,0,1]
	v_pk_fma_f32 v[122:123], v[166:167], v[150:151], v[120:121] op_sel_hi:[1,0,1]
	v_pk_mul_f32 v[124:125], v[212:213], v[124:125] op_sel_hi:[1,0]
	v_mov_b32_e32 v119, v129
	v_pk_add_f32 v[114:115], v[114:115], v[116:117]
	v_pk_fma_f32 v[120:121], v[166:167], v[150:151], v[120:121] neg_lo:[0,0,1] neg_hi:[0,0,1]
	s_wait_loadcnt 0x2
	v_pk_mul_f32 v[126:127], v[170:171], v[154:155] op_sel:[1,1] op_sel_hi:[0,1]
	v_dual_mov_b32 v116, v157 :: v_dual_mov_b32 v121, v123
	v_pk_fma_f32 v[122:123], v[168:169], v[152:153], v[124:125] op_sel_hi:[1,0,1]
	v_pk_add_f32 v[114:115], v[114:115], v[118:119]
	v_pk_fma_f32 v[124:125], v[168:169], v[152:153], v[124:125] neg_lo:[0,0,1] neg_hi:[0,0,1]
	v_pk_fma_f32 v[118:119], v[170:171], v[154:155], v[126:127] op_sel_hi:[1,0,1]
	v_pk_mul_f32 v[116:117], v[214:215], v[116:117] op_sel_hi:[1,0]
	v_mov_b32_e32 v125, v123
	v_pk_add_f32 v[114:115], v[114:115], v[120:121]
	v_pk_fma_f32 v[120:121], v[170:171], v[154:155], v[126:127] neg_lo:[0,0,1] neg_hi:[0,0,1]
	v_mov_b32_e32 v121, v119
	v_pk_fma_f32 v[118:119], v[172:173], v[156:157], v[116:117] op_sel_hi:[1,0,1]
	s_wait_loadcnt_dscnt 0x100
	v_pk_mul_f32 v[122:123], v[206:207], v[202:203] op_sel:[1,1] op_sel_hi:[0,1]
	v_pk_add_f32 v[114:115], v[114:115], v[124:125]
	v_pk_fma_f32 v[116:117], v[172:173], v[156:157], v[116:117] neg_lo:[0,0,1] neg_hi:[0,0,1]
	v_mov_b32_e32 v117, v119
	s_delay_alu instid0(VALU_DEP_4) | instskip(NEXT) | instid1(VALU_DEP_4)
	v_pk_fma_f32 v[118:119], v[206:207], v[202:203], v[122:123] op_sel_hi:[1,0,1]
	v_pk_add_f32 v[114:115], v[114:115], v[120:121]
	v_pk_fma_f32 v[120:121], v[206:207], v[202:203], v[122:123] neg_lo:[0,0,1] neg_hi:[0,0,1]
	s_delay_alu instid0(VALU_DEP_3) | instskip(NEXT) | instid1(VALU_DEP_3)
	v_mov_b32_e32 v121, v119
	v_pk_add_f32 v[114:115], v[114:115], v[116:117]
	s_delay_alu instid0(VALU_DEP_1) | instskip(SKIP_1) | instid1(VALU_DEP_1)
	v_pk_add_f32 v[114:115], v[114:115], v[120:121]
	s_wait_loadcnt 0x0
	v_pk_add_f32 v[114:115], v[204:205], v[114:115] neg_lo:[0,1] neg_hi:[0,1]
	scratch_store_b64 off, v[114:115], off offset:256
	s_wait_xcnt 0x0
	v_cmpx_lt_u32_e32 31, v0
	s_cbranch_execz .LBB55_287
; %bb.286:
	scratch_load_b64 v[114:115], off, off offset:248
	v_mov_b64_e32 v[116:117], 0
	scratch_store_b64 off, v[116:117], off offset:248
	s_wait_loadcnt 0x0
	ds_store_b64 v1, v[114:115]
.LBB55_287:
	s_wait_xcnt 0x0
	s_or_b32 exec_lo, exec_lo, s0
	s_wait_storecnt_dscnt 0x0
	s_barrier_signal -1
	s_barrier_wait -1
	s_clause 0xc
	scratch_load_b128 v[114:117], off, off offset:256
	scratch_load_b128 v[118:121], off, off offset:272
	;; [unrolled: 1-line block ×12, first 2 shown]
	scratch_load_b64 v[210:211], off, off offset:248
	ds_load_b128 v[162:165], v7 offset:832
	ds_load_b128 v[166:169], v7 offset:848
	;; [unrolled: 1-line block ×12, first 2 shown]
	s_mov_b32 s0, exec_lo
	s_wait_dscnt 0xb
	v_dual_mov_b32 v212, v165 :: v_dual_mov_b32 v213, v164
	s_wait_dscnt 0xa
	v_dual_mov_b32 v214, v169 :: v_dual_mov_b32 v215, v168
	;; [unrolled: 2-line block ×4, first 2 shown]
	s_wait_loadcnt_dscnt 0xc07
	v_dual_mul_f32 v7, v178, v115 :: v_dual_mul_f32 v9, v180, v117
	v_dual_mul_f32 v35, v179, v115 :: v_dual_mul_f32 v37, v181, v117
	s_wait_loadcnt_dscnt 0xb06
	v_dual_mul_f32 v11, v182, v119 :: v_dual_mul_f32 v13, v184, v121
	s_delay_alu instid0(VALU_DEP_3) | instskip(SKIP_3) | instid1(VALU_DEP_3)
	v_dual_fmac_f32 v7, v179, v114 :: v_dual_fmac_f32 v9, v181, v116
	s_wait_loadcnt_dscnt 0x904
	v_dual_fma_f32 v35, v178, v114, -v35 :: v_dual_mul_f32 v47, v191, v127
	v_dual_mul_f32 v39, v183, v119 :: v_dual_mul_f32 v41, v185, v121
	v_dual_fma_f32 v37, v180, v116, -v37 :: v_dual_add_f32 v7, 0, v7
	s_delay_alu instid0(VALU_DEP_3) | instskip(SKIP_1) | instid1(VALU_DEP_3)
	v_dual_add_f32 v35, 0, v35 :: v_dual_mul_f32 v49, v193, v129
	v_dual_fmac_f32 v11, v183, v118 :: v_dual_fmac_f32 v13, v185, v120
	v_dual_fma_f32 v39, v182, v118, -v39 :: v_dual_add_f32 v7, v7, v9
	s_delay_alu instid0(VALU_DEP_3) | instskip(SKIP_2) | instid1(VALU_DEP_4)
	v_dual_add_f32 v9, v35, v37 :: v_dual_fma_f32 v37, v184, v120, -v41
	v_dual_mul_f32 v15, v186, v123 :: v_dual_mul_f32 v17, v188, v125
	v_dual_mul_f32 v43, v187, v123 :: v_dual_mul_f32 v45, v189, v125
	v_add_f32_e32 v7, v7, v11
	s_delay_alu instid0(VALU_DEP_3) | instskip(NEXT) | instid1(VALU_DEP_3)
	v_dual_add_f32 v9, v9, v39 :: v_dual_fmac_f32 v15, v187, v122
	v_fma_f32 v39, v186, v122, -v43
	v_dual_mul_f32 v19, v190, v127 :: v_dual_mul_f32 v21, v192, v129
	s_delay_alu instid0(VALU_DEP_4) | instskip(SKIP_2) | instid1(VALU_DEP_2)
	v_dual_add_f32 v7, v7, v13 :: v_dual_fmac_f32 v17, v189, v124
	s_wait_loadcnt_dscnt 0x702
	v_dual_add_f32 v9, v9, v37 :: v_dual_mul_f32 v13, v199, v135
	v_dual_fma_f32 v37, v188, v124, -v45 :: v_dual_add_f32 v7, v7, v15
	v_mul_f32_e32 v15, v201, v137
	s_delay_alu instid0(VALU_DEP_3) | instskip(NEXT) | instid1(VALU_DEP_3)
	v_dual_add_f32 v9, v9, v39 :: v_dual_fmac_f32 v19, v191, v126
	v_dual_fma_f32 v39, v190, v126, -v47 :: v_dual_add_f32 v7, v7, v17
	v_fmac_f32_e32 v21, v193, v128
	s_wait_loadcnt_dscnt 0x601
	s_delay_alu instid0(VALU_DEP_3) | instskip(SKIP_3) | instid1(VALU_DEP_3)
	v_dual_add_f32 v9, v9, v37 :: v_dual_mul_f32 v17, v203, v139
	v_dual_mul_f32 v23, v194, v131 :: v_dual_mul_f32 v25, v196, v133
	v_dual_mul_f32 v35, v195, v131 :: v_dual_mul_f32 v11, v197, v133
	v_dual_fma_f32 v37, v192, v128, -v49 :: v_dual_add_f32 v7, v7, v19
	v_dual_add_f32 v9, v9, v39 :: v_dual_fmac_f32 v23, v195, v130
	s_delay_alu instid0(VALU_DEP_3) | instskip(NEXT) | instid1(VALU_DEP_3)
	v_dual_mul_f32 v19, v205, v141 :: v_dual_fma_f32 v35, v194, v130, -v35
	v_dual_add_f32 v7, v7, v21 :: v_dual_fmac_f32 v25, v197, v132
	s_wait_loadcnt_dscnt 0x500
	s_delay_alu instid0(VALU_DEP_3) | instskip(SKIP_1) | instid1(VALU_DEP_3)
	v_dual_add_f32 v9, v9, v37 :: v_dual_mul_f32 v21, v207, v143
	v_dual_mul_f32 v27, v198, v135 :: v_dual_mul_f32 v29, v200, v137
	v_dual_fma_f32 v11, v196, v132, -v11 :: v_dual_add_f32 v7, v7, v23
	s_delay_alu instid0(VALU_DEP_2) | instskip(SKIP_1) | instid1(VALU_DEP_2)
	v_dual_add_f32 v9, v9, v35 :: v_dual_fmac_f32 v27, v199, v134
	v_dual_mul_f32 v23, v209, v145 :: v_dual_fma_f32 v13, v198, v134, -v13
	v_dual_add_f32 v7, v7, v25 :: v_dual_add_f32 v9, v9, v11
	v_dual_mul_f32 v31, v202, v139 :: v_dual_mul_f32 v33, v204, v141
	v_dual_fmac_f32 v29, v201, v136 :: v_dual_fma_f32 v11, v200, v136, -v15
	s_delay_alu instid0(VALU_DEP_3) | instskip(SKIP_1) | instid1(VALU_DEP_3)
	v_dual_add_f32 v7, v7, v27 :: v_dual_add_f32 v9, v9, v13
	s_wait_loadcnt 0x4
	v_dual_mov_b32 v116, v149 :: v_dual_fmac_f32 v31, v203, v138
	s_delay_alu instid0(VALU_DEP_2) | instskip(NEXT) | instid1(VALU_DEP_3)
	v_dual_fma_f32 v13, v202, v138, -v17 :: v_dual_add_f32 v7, v7, v29
	v_dual_add_f32 v9, v9, v11 :: v_dual_fma_f32 v11, v204, v140, -v19
	v_dual_mul_f32 v221, v206, v143 :: v_dual_mul_f32 v223, v208, v145
	s_delay_alu instid0(VALU_DEP_3) | instskip(NEXT) | instid1(VALU_DEP_2)
	v_dual_fmac_f32 v33, v205, v140 :: v_dual_add_f32 v7, v7, v31
	v_dual_add_f32 v9, v9, v13 :: v_dual_fmac_f32 v221, v207, v142
	v_pk_mul_f32 v[114:115], v[162:163], v[146:147] op_sel:[1,1] op_sel_hi:[0,1]
	s_wait_loadcnt 0x3
	v_dual_mov_b32 v120, v153 :: v_dual_fma_f32 v220, v206, v142, -v21
	s_delay_alu instid0(VALU_DEP_3)
	v_dual_add_f32 v123, v7, v33 :: v_dual_add_f32 v122, v9, v11
	v_fmac_f32_e32 v223, v209, v144
	v_pk_fma_f32 v[124:125], v[162:163], v[146:147], v[114:115] op_sel_hi:[1,0,1]
	v_fma_f32 v222, v208, v144, -v23
	v_pk_mul_f32 v[116:117], v[212:213], v[116:117] op_sel_hi:[1,0]
	v_pk_add_f32 v[122:123], v[122:123], v[220:221]
	v_pk_fma_f32 v[114:115], v[162:163], v[146:147], v[114:115] neg_lo:[0,0,1] neg_hi:[0,0,1]
	v_pk_mul_f32 v[118:119], v[166:167], v[150:151] op_sel:[1,1] op_sel_hi:[0,1]
	v_mov_b32_e32 v115, v125
	v_pk_fma_f32 v[124:125], v[164:165], v[148:149], v[116:117] op_sel_hi:[1,0,1]
	v_pk_add_f32 v[122:123], v[122:123], v[222:223]
	v_pk_fma_f32 v[116:117], v[164:165], v[148:149], v[116:117] neg_lo:[0,0,1] neg_hi:[0,0,1]
	v_pk_fma_f32 v[128:129], v[166:167], v[150:151], v[118:119] op_sel_hi:[1,0,1]
	v_pk_mul_f32 v[120:121], v[214:215], v[120:121] op_sel_hi:[1,0]
	v_mov_b32_e32 v117, v125
	v_pk_add_f32 v[114:115], v[122:123], v[114:115]
	s_wait_loadcnt 0x2
	v_pk_mul_f32 v[126:127], v[170:171], v[154:155] op_sel:[1,1] op_sel_hi:[0,1]
	v_mov_b32_e32 v122, v157
	v_pk_fma_f32 v[118:119], v[166:167], v[150:151], v[118:119] neg_lo:[0,0,1] neg_hi:[0,0,1]
	v_pk_fma_f32 v[124:125], v[168:169], v[152:153], v[120:121] op_sel_hi:[1,0,1]
	v_mov_b32_e32 v119, v129
	v_pk_add_f32 v[114:115], v[114:115], v[116:117]
	v_pk_fma_f32 v[116:117], v[170:171], v[154:155], v[126:127] op_sel_hi:[1,0,1]
	v_pk_mul_f32 v[122:123], v[216:217], v[122:123] op_sel_hi:[1,0]
	v_pk_fma_f32 v[120:121], v[168:169], v[152:153], v[120:121] neg_lo:[0,0,1] neg_hi:[0,0,1]
	v_mov_b32_e32 v121, v125
	v_pk_add_f32 v[114:115], v[114:115], v[118:119]
	v_pk_fma_f32 v[124:125], v[170:171], v[154:155], v[126:127] neg_lo:[0,0,1] neg_hi:[0,0,1]
	v_mov_b32_e32 v125, v117
	v_pk_fma_f32 v[116:117], v[172:173], v[156:157], v[122:123] op_sel_hi:[1,0,1]
	s_wait_loadcnt 0x1
	v_pk_mul_f32 v[118:119], v[174:175], v[158:159] op_sel:[1,1] op_sel_hi:[0,1]
	v_pk_add_f32 v[114:115], v[114:115], v[120:121]
	v_mov_b32_e32 v116, v161
	v_pk_fma_f32 v[122:123], v[172:173], v[156:157], v[122:123] neg_lo:[0,0,1] neg_hi:[0,0,1]
	s_delay_alu instid0(VALU_DEP_4)
	v_pk_fma_f32 v[120:121], v[174:175], v[158:159], v[118:119] op_sel_hi:[1,0,1]
	v_mov_b32_e32 v123, v117
	v_pk_add_f32 v[114:115], v[114:115], v[124:125]
	v_pk_mul_f32 v[116:117], v[218:219], v[116:117] op_sel_hi:[1,0]
	v_pk_fma_f32 v[118:119], v[174:175], v[158:159], v[118:119] neg_lo:[0,0,1] neg_hi:[0,0,1]
	v_mov_b32_e32 v119, v121
	s_delay_alu instid0(VALU_DEP_4) | instskip(NEXT) | instid1(VALU_DEP_4)
	v_pk_add_f32 v[114:115], v[114:115], v[122:123]
	v_pk_fma_f32 v[120:121], v[176:177], v[160:161], v[116:117] op_sel_hi:[1,0,1]
	v_pk_fma_f32 v[116:117], v[176:177], v[160:161], v[116:117] neg_lo:[0,0,1] neg_hi:[0,0,1]
	s_delay_alu instid0(VALU_DEP_3) | instskip(NEXT) | instid1(VALU_DEP_3)
	v_pk_add_f32 v[114:115], v[114:115], v[118:119]
	v_mov_b32_e32 v117, v121
	s_delay_alu instid0(VALU_DEP_1) | instskip(SKIP_1) | instid1(VALU_DEP_1)
	v_pk_add_f32 v[114:115], v[114:115], v[116:117]
	s_wait_loadcnt 0x0
	v_pk_add_f32 v[114:115], v[210:211], v[114:115] neg_lo:[0,1] neg_hi:[0,1]
	scratch_store_b64 off, v[114:115], off offset:248
	s_wait_xcnt 0x0
	v_cmpx_lt_u32_e32 30, v0
	s_cbranch_execz .LBB55_289
; %bb.288:
	scratch_load_b64 v[114:115], off, off offset:240
	v_mov_b64_e32 v[116:117], 0
	scratch_store_b64 off, v[116:117], off offset:240
	s_wait_loadcnt 0x0
	ds_store_b64 v1, v[114:115]
.LBB55_289:
	s_wait_xcnt 0x0
	s_or_b32 exec_lo, exec_lo, s0
	s_wait_storecnt_dscnt 0x0
	s_barrier_signal -1
	s_barrier_wait -1
	s_clause 0xd
	scratch_load_b128 v[114:117], off, off offset:248
	scratch_load_b128 v[118:121], off, off offset:264
	;; [unrolled: 1-line block ×12, first 2 shown]
	scratch_load_b64 v[210:211], off, off offset:440
	scratch_load_b64 v[212:213], off, off offset:240
	v_mov_b32_e32 v7, 0
	ds_load_2addr_b64 v[162:165], v7 offset0:103 offset1:104
	ds_load_2addr_b64 v[166:169], v7 offset0:105 offset1:106
	;; [unrolled: 1-line block ×12, first 2 shown]
	ds_load_b64 v[214:215], v7 offset:888
	s_mov_b32 s0, exec_lo
	s_wait_dscnt 0xc
	v_dual_mov_b32 v216, v165 :: v_dual_mov_b32 v217, v164
	s_wait_dscnt 0x9
	v_dual_mov_b32 v218, v169 :: v_dual_mov_b32 v223, v176
	v_dual_mov_b32 v219, v168 :: v_dual_mov_b32 v220, v173
	;; [unrolled: 1-line block ×3, first 2 shown]
	s_wait_loadcnt_dscnt 0xd08
	v_dual_mul_f32 v9, v178, v115 :: v_dual_mul_f32 v39, v179, v115
	v_dual_mul_f32 v41, v181, v117 :: v_dual_mul_f32 v11, v180, v117
	s_wait_loadcnt_dscnt 0xc07
	v_mul_f32_e32 v13, v182, v119
	s_wait_loadcnt_dscnt 0xa05
	v_dual_mul_f32 v51, v191, v127 :: v_dual_fma_f32 v39, v178, v114, -v39
	v_dual_fmac_f32 v9, v179, v114 :: v_dual_mul_f32 v53, v193, v129
	v_dual_mul_f32 v43, v183, v119 :: v_dual_mul_f32 v45, v185, v121
	v_dual_fmac_f32 v11, v181, v116 :: v_dual_fma_f32 v41, v180, v116, -v41
	s_delay_alu instid0(VALU_DEP_3) | instskip(SKIP_3) | instid1(VALU_DEP_3)
	v_dual_add_f32 v9, 0, v9 :: v_dual_add_f32 v39, 0, v39
	v_dual_mul_f32 v15, v184, v121 :: v_dual_mul_f32 v17, v186, v123
	s_wait_loadcnt_dscnt 0x904
	v_dual_mul_f32 v55, v195, v131 :: v_dual_fma_f32 v43, v182, v118, -v43
	v_dual_fmac_f32 v13, v183, v118 :: v_dual_add_f32 v9, v9, v11
	s_delay_alu instid0(VALU_DEP_3) | instskip(SKIP_2) | instid1(VALU_DEP_3)
	v_dual_add_f32 v11, v39, v41 :: v_dual_fmac_f32 v15, v185, v120
	v_dual_mul_f32 v47, v187, v123 :: v_dual_mul_f32 v49, v189, v125
	v_dual_mul_f32 v39, v197, v133 :: v_dual_fma_f32 v41, v184, v120, -v45
	v_dual_add_f32 v9, v9, v13 :: v_dual_add_f32 v11, v11, v43
	v_dual_mul_f32 v19, v188, v125 :: v_dual_mul_f32 v21, v190, v127
	s_wait_loadcnt_dscnt 0x803
	v_dual_mul_f32 v13, v199, v135 :: v_dual_fma_f32 v43, v186, v122, -v47
	s_delay_alu instid0(VALU_DEP_3) | instskip(NEXT) | instid1(VALU_DEP_3)
	v_dual_fmac_f32 v17, v187, v122 :: v_dual_add_f32 v9, v9, v15
	v_dual_add_f32 v11, v11, v41 :: v_dual_fmac_f32 v19, v189, v124
	v_dual_mul_f32 v15, v201, v137 :: v_dual_fma_f32 v41, v188, v124, -v49
	s_delay_alu instid0(VALU_DEP_2) | instskip(SKIP_3) | instid1(VALU_DEP_3)
	v_dual_add_f32 v9, v9, v17 :: v_dual_add_f32 v11, v11, v43
	v_dual_mul_f32 v23, v192, v129 :: v_dual_mul_f32 v25, v194, v131
	s_wait_loadcnt_dscnt 0x702
	v_dual_mul_f32 v17, v203, v139 :: v_dual_fma_f32 v43, v190, v126, -v51
	v_dual_fmac_f32 v21, v191, v126 :: v_dual_add_f32 v9, v9, v19
	s_delay_alu instid0(VALU_DEP_3) | instskip(SKIP_1) | instid1(VALU_DEP_2)
	v_dual_add_f32 v11, v11, v41 :: v_dual_fmac_f32 v23, v193, v128
	v_dual_mul_f32 v19, v205, v141 :: v_dual_fma_f32 v41, v192, v128, -v53
	v_dual_add_f32 v9, v9, v21 :: v_dual_add_f32 v11, v11, v43
	v_dual_mul_f32 v27, v196, v133 :: v_dual_mul_f32 v29, v198, v135
	s_wait_loadcnt_dscnt 0x601
	v_dual_mul_f32 v21, v207, v143 :: v_dual_fma_f32 v43, v194, v130, -v55
	s_delay_alu instid0(VALU_DEP_3) | instskip(NEXT) | instid1(VALU_DEP_3)
	v_dual_fmac_f32 v25, v195, v130 :: v_dual_add_f32 v9, v9, v23
	v_dual_add_f32 v11, v11, v41 :: v_dual_fmac_f32 v27, v197, v132
	v_dual_mul_f32 v23, v209, v145 :: v_dual_fma_f32 v39, v196, v132, -v39
	s_delay_alu instid0(VALU_DEP_2) | instskip(SKIP_3) | instid1(VALU_DEP_3)
	v_dual_add_f32 v9, v9, v25 :: v_dual_add_f32 v11, v11, v43
	v_dual_mul_f32 v31, v200, v137 :: v_dual_mul_f32 v33, v202, v139
	s_wait_loadcnt 0x5
	v_dual_mul_f32 v25, v163, v147 :: v_dual_fma_f32 v13, v198, v134, -v13
	v_dual_fmac_f32 v29, v199, v134 :: v_dual_add_f32 v9, v9, v27
	v_dual_add_f32 v11, v11, v39 :: v_dual_mov_b32 v114, v149
	v_fmac_f32_e32 v31, v201, v136
	s_delay_alu instid0(VALU_DEP_3) | instskip(NEXT) | instid1(VALU_DEP_3)
	v_dual_fma_f32 v15, v200, v136, -v15 :: v_dual_add_f32 v9, v9, v29
	v_add_f32_e32 v11, v11, v13
	v_dual_mul_f32 v35, v204, v141 :: v_dual_mul_f32 v37, v206, v143
	s_delay_alu instid0(VALU_DEP_3) | instskip(NEXT) | instid1(VALU_DEP_3)
	v_dual_fmac_f32 v33, v203, v138 :: v_dual_add_f32 v9, v9, v31
	v_dual_fma_f32 v13, v202, v138, -v17 :: v_dual_add_f32 v11, v11, v15
	s_wait_loadcnt 0x4
	v_dual_mov_b32 v118, v153 :: v_dual_fma_f32 v15, v204, v140, -v19
	v_fmac_f32_e32 v35, v205, v140
	v_dual_add_f32 v9, v9, v33 :: v_dual_fmac_f32 v37, v207, v142
	v_add_f32_e32 v11, v11, v13
	v_dual_mul_f32 v225, v208, v145 :: v_dual_mul_f32 v227, v162, v147
	s_delay_alu instid0(VALU_DEP_3) | instskip(NEXT) | instid1(VALU_DEP_2)
	v_dual_fma_f32 v13, v206, v142, -v21 :: v_dual_add_f32 v9, v9, v35
	v_dual_add_f32 v11, v11, v15 :: v_dual_fmac_f32 v225, v209, v144
	v_fma_f32 v224, v208, v144, -v23
	v_pk_mul_f32 v[114:115], v[216:217], v[114:115] op_sel_hi:[1,0]
	s_delay_alu instid0(VALU_DEP_4)
	v_add_f32_e32 v123, v9, v37
	s_wait_loadcnt 0x3
	v_dual_add_f32 v122, v11, v13 :: v_dual_mov_b32 v124, v157
	v_pk_mul_f32 v[116:117], v[166:167], v[150:151] op_sel:[1,1] op_sel_hi:[0,1]
	v_dual_fmac_f32 v227, v163, v146 :: v_dual_fma_f32 v226, v162, v146, -v25
	v_pk_fma_f32 v[126:127], v[164:165], v[148:149], v[114:115] op_sel_hi:[1,0,1]
	s_delay_alu instid0(VALU_DEP_4)
	v_pk_add_f32 v[122:123], v[122:123], v[224:225]
	v_pk_fma_f32 v[114:115], v[164:165], v[148:149], v[114:115] neg_lo:[0,0,1] neg_hi:[0,0,1]
	v_pk_fma_f32 v[128:129], v[166:167], v[150:151], v[116:117] op_sel_hi:[1,0,1]
	v_pk_mul_f32 v[118:119], v[218:219], v[118:119] op_sel_hi:[1,0]
	v_mov_b32_e32 v115, v127
	v_pk_add_f32 v[122:123], v[122:123], v[226:227]
	v_pk_fma_f32 v[116:117], v[166:167], v[150:151], v[116:117] neg_lo:[0,0,1] neg_hi:[0,0,1]
	v_pk_mul_f32 v[120:121], v[170:171], v[154:155] op_sel:[1,1] op_sel_hi:[0,1]
	v_mov_b32_e32 v117, v129
	v_pk_fma_f32 v[128:129], v[168:169], v[152:153], v[118:119] op_sel_hi:[1,0,1]
	v_pk_add_f32 v[114:115], v[122:123], v[114:115]
	v_pk_fma_f32 v[118:119], v[168:169], v[152:153], v[118:119] neg_lo:[0,0,1] neg_hi:[0,0,1]
	v_pk_fma_f32 v[122:123], v[170:171], v[154:155], v[120:121] op_sel_hi:[1,0,1]
	v_pk_mul_f32 v[124:125], v[220:221], v[124:125] op_sel_hi:[1,0]
	v_mov_b32_e32 v119, v129
	v_pk_add_f32 v[114:115], v[114:115], v[116:117]
	v_pk_fma_f32 v[120:121], v[170:171], v[154:155], v[120:121] neg_lo:[0,0,1] neg_hi:[0,0,1]
	s_wait_loadcnt 0x2
	v_pk_mul_f32 v[126:127], v[174:175], v[158:159] op_sel:[1,1] op_sel_hi:[0,1]
	v_dual_mov_b32 v116, v161 :: v_dual_mov_b32 v121, v123
	v_pk_fma_f32 v[122:123], v[172:173], v[156:157], v[124:125] op_sel_hi:[1,0,1]
	v_pk_add_f32 v[114:115], v[114:115], v[118:119]
	v_pk_fma_f32 v[124:125], v[172:173], v[156:157], v[124:125] neg_lo:[0,0,1] neg_hi:[0,0,1]
	v_pk_fma_f32 v[118:119], v[174:175], v[158:159], v[126:127] op_sel_hi:[1,0,1]
	v_pk_mul_f32 v[116:117], v[222:223], v[116:117] op_sel_hi:[1,0]
	v_mov_b32_e32 v125, v123
	v_pk_add_f32 v[114:115], v[114:115], v[120:121]
	v_pk_fma_f32 v[120:121], v[174:175], v[158:159], v[126:127] neg_lo:[0,0,1] neg_hi:[0,0,1]
	v_mov_b32_e32 v121, v119
	v_pk_fma_f32 v[118:119], v[176:177], v[160:161], v[116:117] op_sel_hi:[1,0,1]
	s_wait_loadcnt_dscnt 0x100
	v_pk_mul_f32 v[122:123], v[214:215], v[210:211] op_sel:[1,1] op_sel_hi:[0,1]
	v_pk_add_f32 v[114:115], v[114:115], v[124:125]
	v_pk_fma_f32 v[116:117], v[176:177], v[160:161], v[116:117] neg_lo:[0,0,1] neg_hi:[0,0,1]
	v_mov_b32_e32 v117, v119
	s_delay_alu instid0(VALU_DEP_4) | instskip(NEXT) | instid1(VALU_DEP_4)
	v_pk_fma_f32 v[118:119], v[214:215], v[210:211], v[122:123] op_sel_hi:[1,0,1]
	v_pk_add_f32 v[114:115], v[114:115], v[120:121]
	v_pk_fma_f32 v[120:121], v[214:215], v[210:211], v[122:123] neg_lo:[0,0,1] neg_hi:[0,0,1]
	s_delay_alu instid0(VALU_DEP_3) | instskip(NEXT) | instid1(VALU_DEP_3)
	v_mov_b32_e32 v121, v119
	v_pk_add_f32 v[114:115], v[114:115], v[116:117]
	s_delay_alu instid0(VALU_DEP_1) | instskip(SKIP_1) | instid1(VALU_DEP_1)
	v_pk_add_f32 v[114:115], v[114:115], v[120:121]
	s_wait_loadcnt 0x0
	v_pk_add_f32 v[114:115], v[212:213], v[114:115] neg_lo:[0,1] neg_hi:[0,1]
	scratch_store_b64 off, v[114:115], off offset:240
	s_wait_xcnt 0x0
	v_cmpx_lt_u32_e32 29, v0
	s_cbranch_execz .LBB55_291
; %bb.290:
	scratch_load_b64 v[114:115], off, off offset:232
	v_mov_b64_e32 v[116:117], 0
	scratch_store_b64 off, v[116:117], off offset:232
	s_wait_loadcnt 0x0
	ds_store_b64 v1, v[114:115]
.LBB55_291:
	s_wait_xcnt 0x0
	s_or_b32 exec_lo, exec_lo, s0
	s_wait_storecnt_dscnt 0x0
	s_barrier_signal -1
	s_barrier_wait -1
	s_clause 0xd
	scratch_load_b128 v[114:117], off, off offset:240
	scratch_load_b128 v[118:121], off, off offset:256
	;; [unrolled: 1-line block ×13, first 2 shown]
	scratch_load_b64 v[218:219], off, off offset:232
	ds_load_b128 v[166:169], v7 offset:832
	ds_load_b128 v[170:173], v7 offset:848
	;; [unrolled: 1-line block ×13, first 2 shown]
	s_mov_b32 s0, exec_lo
	s_wait_dscnt 0xc
	v_dual_mov_b32 v220, v169 :: v_dual_mov_b32 v221, v168
	s_wait_dscnt 0xb
	v_dual_mov_b32 v222, v173 :: v_dual_mov_b32 v223, v172
	;; [unrolled: 2-line block ×4, first 2 shown]
	s_wait_loadcnt_dscnt 0xd08
	v_dual_mul_f32 v7, v182, v115 :: v_dual_mul_f32 v9, v184, v117
	v_dual_mul_f32 v39, v183, v115 :: v_dual_mul_f32 v41, v185, v117
	s_wait_loadcnt_dscnt 0xc07
	v_dual_mul_f32 v11, v186, v119 :: v_dual_mul_f32 v13, v188, v121
	s_delay_alu instid0(VALU_DEP_3) | instskip(SKIP_3) | instid1(VALU_DEP_3)
	v_dual_fmac_f32 v7, v183, v114 :: v_dual_fmac_f32 v9, v185, v116
	s_wait_loadcnt_dscnt 0xa05
	v_dual_fma_f32 v39, v182, v114, -v39 :: v_dual_mul_f32 v51, v195, v127
	v_dual_mul_f32 v43, v187, v119 :: v_dual_mul_f32 v45, v189, v121
	v_dual_fma_f32 v41, v184, v116, -v41 :: v_dual_add_f32 v7, 0, v7
	s_delay_alu instid0(VALU_DEP_3) | instskip(SKIP_1) | instid1(VALU_DEP_3)
	v_dual_add_f32 v39, 0, v39 :: v_dual_mul_f32 v53, v197, v129
	v_dual_fmac_f32 v11, v187, v118 :: v_dual_fmac_f32 v13, v189, v120
	v_dual_fma_f32 v43, v186, v118, -v43 :: v_dual_add_f32 v7, v7, v9
	s_delay_alu instid0(VALU_DEP_3) | instskip(SKIP_2) | instid1(VALU_DEP_4)
	v_dual_add_f32 v9, v39, v41 :: v_dual_fma_f32 v41, v188, v120, -v45
	v_dual_mul_f32 v15, v190, v123 :: v_dual_mul_f32 v17, v192, v125
	v_dual_mul_f32 v47, v191, v123 :: v_dual_mul_f32 v49, v193, v125
	v_add_f32_e32 v7, v7, v11
	s_delay_alu instid0(VALU_DEP_3) | instskip(NEXT) | instid1(VALU_DEP_3)
	v_dual_add_f32 v9, v9, v43 :: v_dual_fmac_f32 v15, v191, v122
	v_fma_f32 v43, v190, v122, -v47
	v_dual_mul_f32 v19, v194, v127 :: v_dual_mul_f32 v21, v196, v129
	s_delay_alu instid0(VALU_DEP_4) | instskip(SKIP_2) | instid1(VALU_DEP_2)
	v_dual_add_f32 v7, v7, v13 :: v_dual_fmac_f32 v17, v193, v124
	s_wait_loadcnt_dscnt 0x802
	v_dual_add_f32 v9, v9, v41 :: v_dual_mul_f32 v13, v207, v135
	v_dual_fma_f32 v41, v192, v124, -v49 :: v_dual_add_f32 v7, v7, v15
	v_mul_f32_e32 v15, v209, v137
	s_delay_alu instid0(VALU_DEP_3) | instskip(NEXT) | instid1(VALU_DEP_3)
	v_dual_add_f32 v9, v9, v43 :: v_dual_fmac_f32 v19, v195, v126
	v_dual_fma_f32 v43, v194, v126, -v51 :: v_dual_add_f32 v7, v7, v17
	v_fmac_f32_e32 v21, v197, v128
	s_wait_loadcnt_dscnt 0x701
	s_delay_alu instid0(VALU_DEP_3) | instskip(SKIP_3) | instid1(VALU_DEP_3)
	v_dual_add_f32 v9, v9, v41 :: v_dual_mul_f32 v17, v211, v139
	v_dual_mul_f32 v23, v202, v131 :: v_dual_mul_f32 v25, v204, v133
	v_dual_mul_f32 v39, v203, v131 :: v_dual_mul_f32 v11, v205, v133
	v_dual_fma_f32 v41, v196, v128, -v53 :: v_dual_add_f32 v7, v7, v19
	v_dual_add_f32 v9, v9, v43 :: v_dual_fmac_f32 v23, v203, v130
	s_delay_alu instid0(VALU_DEP_3) | instskip(NEXT) | instid1(VALU_DEP_3)
	v_dual_mul_f32 v19, v213, v141 :: v_dual_fma_f32 v39, v202, v130, -v39
	v_dual_add_f32 v7, v7, v21 :: v_dual_fmac_f32 v25, v205, v132
	s_wait_loadcnt_dscnt 0x600
	s_delay_alu instid0(VALU_DEP_3) | instskip(SKIP_1) | instid1(VALU_DEP_3)
	v_dual_add_f32 v9, v9, v41 :: v_dual_mul_f32 v21, v215, v143
	v_dual_mul_f32 v27, v206, v135 :: v_dual_mul_f32 v29, v208, v137
	v_dual_fma_f32 v11, v204, v132, -v11 :: v_dual_add_f32 v7, v7, v23
	s_delay_alu instid0(VALU_DEP_2) | instskip(SKIP_1) | instid1(VALU_DEP_2)
	v_dual_add_f32 v9, v9, v39 :: v_dual_fmac_f32 v27, v207, v134
	v_dual_mul_f32 v23, v217, v145 :: v_dual_fma_f32 v13, v206, v134, -v13
	v_dual_add_f32 v7, v7, v25 :: v_dual_add_f32 v9, v9, v11
	v_dual_mul_f32 v31, v210, v139 :: v_dual_mul_f32 v33, v212, v141
	s_wait_loadcnt 0x5
	v_dual_mul_f32 v11, v199, v147 :: v_dual_fmac_f32 v29, v209, v136
	s_delay_alu instid0(VALU_DEP_3) | instskip(NEXT) | instid1(VALU_DEP_3)
	v_dual_fma_f32 v15, v208, v136, -v15 :: v_dual_add_f32 v7, v7, v27
	v_dual_add_f32 v9, v9, v13 :: v_dual_fmac_f32 v31, v211, v138
	v_dual_mul_f32 v13, v201, v149 :: v_dual_fma_f32 v17, v210, v138, -v17
	s_delay_alu instid0(VALU_DEP_2) | instskip(SKIP_2) | instid1(VALU_DEP_3)
	v_dual_add_f32 v7, v7, v29 :: v_dual_add_f32 v9, v9, v15
	v_dual_mul_f32 v35, v214, v143 :: v_dual_mul_f32 v37, v216, v145
	v_dual_fmac_f32 v33, v213, v140 :: v_dual_fma_f32 v15, v212, v140, -v19
	v_dual_add_f32 v7, v7, v31 :: v_dual_add_f32 v9, v9, v17
	s_wait_loadcnt 0x4
	s_delay_alu instid0(VALU_DEP_3) | instskip(NEXT) | instid1(VALU_DEP_2)
	v_dual_mov_b32 v116, v153 :: v_dual_fmac_f32 v35, v215, v142
	v_dual_fma_f32 v17, v214, v142, -v21 :: v_dual_add_f32 v7, v7, v33
	s_delay_alu instid0(VALU_DEP_3) | instskip(SKIP_1) | instid1(VALU_DEP_3)
	v_dual_add_f32 v9, v9, v15 :: v_dual_fma_f32 v15, v216, v144, -v23
	v_dual_mul_f32 v229, v198, v147 :: v_dual_mul_f32 v231, v200, v149
	v_dual_fmac_f32 v37, v217, v144 :: v_dual_add_f32 v7, v7, v35
	s_delay_alu instid0(VALU_DEP_2) | instskip(SKIP_3) | instid1(VALU_DEP_3)
	v_dual_add_f32 v9, v9, v17 :: v_dual_fmac_f32 v229, v199, v146
	v_pk_mul_f32 v[114:115], v[166:167], v[150:151] op_sel:[1,1] op_sel_hi:[0,1]
	s_wait_loadcnt 0x3
	v_dual_mov_b32 v120, v157 :: v_dual_fma_f32 v228, v198, v146, -v11
	v_dual_add_f32 v123, v7, v37 :: v_dual_add_f32 v122, v9, v15
	v_dual_fmac_f32 v231, v201, v148 :: v_dual_fma_f32 v230, v200, v148, -v13
	v_pk_fma_f32 v[124:125], v[166:167], v[150:151], v[114:115] op_sel_hi:[1,0,1]
	v_pk_mul_f32 v[116:117], v[220:221], v[116:117] op_sel_hi:[1,0]
	s_delay_alu instid0(VALU_DEP_4)
	v_pk_add_f32 v[122:123], v[122:123], v[228:229]
	v_pk_fma_f32 v[114:115], v[166:167], v[150:151], v[114:115] neg_lo:[0,0,1] neg_hi:[0,0,1]
	v_pk_mul_f32 v[118:119], v[170:171], v[154:155] op_sel:[1,1] op_sel_hi:[0,1]
	v_mov_b32_e32 v115, v125
	v_pk_fma_f32 v[124:125], v[168:169], v[152:153], v[116:117] op_sel_hi:[1,0,1]
	v_pk_add_f32 v[122:123], v[122:123], v[230:231]
	v_pk_fma_f32 v[116:117], v[168:169], v[152:153], v[116:117] neg_lo:[0,0,1] neg_hi:[0,0,1]
	v_pk_fma_f32 v[128:129], v[170:171], v[154:155], v[118:119] op_sel_hi:[1,0,1]
	v_pk_mul_f32 v[120:121], v[222:223], v[120:121] op_sel_hi:[1,0]
	v_mov_b32_e32 v117, v125
	v_pk_add_f32 v[114:115], v[122:123], v[114:115]
	s_wait_loadcnt 0x2
	v_pk_mul_f32 v[126:127], v[174:175], v[158:159] op_sel:[1,1] op_sel_hi:[0,1]
	v_mov_b32_e32 v122, v161
	v_pk_fma_f32 v[118:119], v[170:171], v[154:155], v[118:119] neg_lo:[0,0,1] neg_hi:[0,0,1]
	v_mov_b32_e32 v119, v129
	v_pk_fma_f32 v[124:125], v[172:173], v[156:157], v[120:121] op_sel_hi:[1,0,1]
	v_pk_add_f32 v[114:115], v[114:115], v[116:117]
	v_pk_fma_f32 v[116:117], v[174:175], v[158:159], v[126:127] op_sel_hi:[1,0,1]
	v_pk_mul_f32 v[122:123], v[224:225], v[122:123] op_sel_hi:[1,0]
	v_pk_fma_f32 v[120:121], v[172:173], v[156:157], v[120:121] neg_lo:[0,0,1] neg_hi:[0,0,1]
	v_mov_b32_e32 v121, v125
	v_pk_add_f32 v[114:115], v[114:115], v[118:119]
	v_pk_fma_f32 v[124:125], v[174:175], v[158:159], v[126:127] neg_lo:[0,0,1] neg_hi:[0,0,1]
	v_mov_b32_e32 v125, v117
	v_pk_fma_f32 v[116:117], v[176:177], v[160:161], v[122:123] op_sel_hi:[1,0,1]
	s_wait_loadcnt 0x1
	v_pk_mul_f32 v[118:119], v[178:179], v[162:163] op_sel:[1,1] op_sel_hi:[0,1]
	v_pk_add_f32 v[114:115], v[114:115], v[120:121]
	v_mov_b32_e32 v116, v165
	v_pk_fma_f32 v[122:123], v[176:177], v[160:161], v[122:123] neg_lo:[0,0,1] neg_hi:[0,0,1]
	v_mov_b32_e32 v123, v117
	v_pk_fma_f32 v[120:121], v[178:179], v[162:163], v[118:119] op_sel_hi:[1,0,1]
	v_pk_add_f32 v[114:115], v[114:115], v[124:125]
	v_pk_mul_f32 v[116:117], v[226:227], v[116:117] op_sel_hi:[1,0]
	v_pk_fma_f32 v[118:119], v[178:179], v[162:163], v[118:119] neg_lo:[0,0,1] neg_hi:[0,0,1]
	s_delay_alu instid0(VALU_DEP_4) | instskip(NEXT) | instid1(VALU_DEP_4)
	v_mov_b32_e32 v119, v121
	v_pk_add_f32 v[114:115], v[114:115], v[122:123]
	s_delay_alu instid0(VALU_DEP_4) | instskip(SKIP_1) | instid1(VALU_DEP_2)
	v_pk_fma_f32 v[120:121], v[180:181], v[164:165], v[116:117] op_sel_hi:[1,0,1]
	v_pk_fma_f32 v[116:117], v[180:181], v[164:165], v[116:117] neg_lo:[0,0,1] neg_hi:[0,0,1]
	v_mov_b32_e32 v117, v121
	s_delay_alu instid0(VALU_DEP_4) | instskip(NEXT) | instid1(VALU_DEP_1)
	v_pk_add_f32 v[114:115], v[114:115], v[118:119]
	v_pk_add_f32 v[114:115], v[114:115], v[116:117]
	s_wait_loadcnt 0x0
	s_delay_alu instid0(VALU_DEP_1)
	v_pk_add_f32 v[114:115], v[218:219], v[114:115] neg_lo:[0,1] neg_hi:[0,1]
	scratch_store_b64 off, v[114:115], off offset:232
	s_wait_xcnt 0x0
	v_cmpx_lt_u32_e32 28, v0
	s_cbranch_execz .LBB55_293
; %bb.292:
	scratch_load_b64 v[114:115], off, off offset:224
	v_mov_b64_e32 v[116:117], 0
	scratch_store_b64 off, v[116:117], off offset:224
	s_wait_loadcnt 0x0
	ds_store_b64 v1, v[114:115]
.LBB55_293:
	s_wait_xcnt 0x0
	s_or_b32 exec_lo, exec_lo, s0
	s_wait_storecnt_dscnt 0x0
	s_barrier_signal -1
	s_barrier_wait -1
	s_clause 0xe
	scratch_load_b128 v[114:117], off, off offset:232
	scratch_load_b128 v[118:121], off, off offset:248
	;; [unrolled: 1-line block ×13, first 2 shown]
	scratch_load_b64 v[218:219], off, off offset:440
	scratch_load_b64 v[220:221], off, off offset:224
	v_mov_b32_e32 v7, 0
	ds_load_2addr_b64 v[166:169], v7 offset0:103 offset1:104
	ds_load_2addr_b64 v[170:173], v7 offset0:105 offset1:106
	;; [unrolled: 1-line block ×13, first 2 shown]
	ds_load_b64 v[222:223], v7 offset:888
	s_mov_b32 s0, exec_lo
	s_wait_dscnt 0xd
	v_dual_mov_b32 v224, v169 :: v_dual_mov_b32 v225, v168
	s_wait_dscnt 0xa
	v_dual_mov_b32 v226, v173 :: v_dual_mov_b32 v231, v180
	v_dual_mov_b32 v227, v172 :: v_dual_mov_b32 v228, v177
	;; [unrolled: 1-line block ×3, first 2 shown]
	s_wait_loadcnt_dscnt 0xe09
	v_dual_mul_f32 v9, v182, v115 :: v_dual_mul_f32 v43, v183, v115
	v_dual_mul_f32 v45, v185, v117 :: v_dual_mul_f32 v11, v184, v117
	s_wait_loadcnt_dscnt 0xd08
	v_mul_f32_e32 v13, v186, v119
	s_wait_loadcnt_dscnt 0xb05
	v_dual_mul_f32 v55, v199, v127 :: v_dual_fma_f32 v43, v182, v114, -v43
	v_dual_fmac_f32 v9, v183, v114 :: v_dual_mul_f32 v57, v201, v129
	v_dual_mul_f32 v47, v187, v119 :: v_dual_mul_f32 v49, v189, v121
	v_dual_fmac_f32 v11, v185, v116 :: v_dual_fma_f32 v45, v184, v116, -v45
	s_delay_alu instid0(VALU_DEP_3) | instskip(SKIP_3) | instid1(VALU_DEP_3)
	v_dual_add_f32 v9, 0, v9 :: v_dual_add_f32 v43, 0, v43
	v_dual_mul_f32 v15, v188, v121 :: v_dual_mul_f32 v17, v190, v123
	s_wait_loadcnt_dscnt 0xa04
	v_dual_mul_f32 v59, v203, v131 :: v_dual_fma_f32 v47, v186, v118, -v47
	v_dual_fmac_f32 v13, v187, v118 :: v_dual_add_f32 v9, v9, v11
	s_delay_alu instid0(VALU_DEP_3) | instskip(SKIP_2) | instid1(VALU_DEP_3)
	v_dual_add_f32 v11, v43, v45 :: v_dual_fmac_f32 v15, v189, v120
	v_dual_mul_f32 v51, v191, v123 :: v_dual_mul_f32 v53, v193, v125
	v_dual_mul_f32 v43, v205, v133 :: v_dual_fma_f32 v45, v188, v120, -v49
	v_dual_add_f32 v9, v9, v13 :: v_dual_add_f32 v11, v11, v47
	v_dual_mul_f32 v19, v192, v125 :: v_dual_mul_f32 v21, v198, v127
	s_wait_loadcnt_dscnt 0x903
	v_dual_mul_f32 v13, v207, v135 :: v_dual_fma_f32 v47, v190, v122, -v51
	s_delay_alu instid0(VALU_DEP_3) | instskip(NEXT) | instid1(VALU_DEP_3)
	v_dual_fmac_f32 v17, v191, v122 :: v_dual_add_f32 v9, v9, v15
	v_dual_add_f32 v11, v11, v45 :: v_dual_fmac_f32 v19, v193, v124
	v_dual_mul_f32 v15, v209, v137 :: v_dual_fma_f32 v45, v192, v124, -v53
	s_delay_alu instid0(VALU_DEP_2) | instskip(SKIP_3) | instid1(VALU_DEP_3)
	v_dual_add_f32 v9, v9, v17 :: v_dual_add_f32 v11, v11, v47
	v_dual_mul_f32 v23, v200, v129 :: v_dual_mul_f32 v25, v202, v131
	s_wait_loadcnt_dscnt 0x802
	v_dual_mul_f32 v17, v211, v139 :: v_dual_fma_f32 v47, v198, v126, -v55
	v_dual_fmac_f32 v21, v199, v126 :: v_dual_add_f32 v9, v9, v19
	s_delay_alu instid0(VALU_DEP_3) | instskip(SKIP_1) | instid1(VALU_DEP_2)
	v_dual_add_f32 v11, v11, v45 :: v_dual_fmac_f32 v23, v201, v128
	v_dual_mul_f32 v19, v213, v141 :: v_dual_fma_f32 v45, v200, v128, -v57
	v_dual_add_f32 v9, v9, v21 :: v_dual_add_f32 v11, v11, v47
	v_dual_mul_f32 v27, v204, v133 :: v_dual_mul_f32 v29, v206, v135
	s_wait_loadcnt_dscnt 0x701
	v_dual_mul_f32 v21, v215, v143 :: v_dual_fma_f32 v47, v202, v130, -v59
	s_delay_alu instid0(VALU_DEP_3) | instskip(NEXT) | instid1(VALU_DEP_3)
	v_dual_fmac_f32 v25, v203, v130 :: v_dual_add_f32 v9, v9, v23
	v_dual_add_f32 v11, v11, v45 :: v_dual_fmac_f32 v27, v205, v132
	v_dual_mul_f32 v23, v217, v145 :: v_dual_fma_f32 v43, v204, v132, -v43
	s_delay_alu instid0(VALU_DEP_2) | instskip(SKIP_3) | instid1(VALU_DEP_3)
	v_dual_add_f32 v9, v9, v25 :: v_dual_add_f32 v11, v11, v47
	v_dual_mul_f32 v31, v208, v137 :: v_dual_mul_f32 v33, v210, v139
	s_wait_loadcnt 0x6
	v_dual_mul_f32 v25, v195, v147 :: v_dual_fma_f32 v13, v206, v134, -v13
	v_dual_fmac_f32 v29, v207, v134 :: v_dual_add_f32 v9, v9, v27
	v_dual_add_f32 v11, v11, v43 :: v_dual_mul_f32 v27, v197, v149
	v_fmac_f32_e32 v31, v209, v136
	s_delay_alu instid0(VALU_DEP_3) | instskip(NEXT) | instid1(VALU_DEP_3)
	v_dual_fma_f32 v15, v208, v136, -v15 :: v_dual_add_f32 v9, v9, v29
	v_add_f32_e32 v11, v11, v13
	v_dual_mul_f32 v35, v212, v141 :: v_dual_mul_f32 v37, v214, v143
	s_wait_loadcnt 0x5
	v_dual_mul_f32 v13, v167, v151 :: v_dual_fma_f32 v17, v210, v138, -v17
	v_dual_fmac_f32 v33, v211, v138 :: v_dual_add_f32 v9, v9, v31
	v_dual_add_f32 v11, v11, v15 :: v_dual_mov_b32 v114, v153
	v_fmac_f32_e32 v35, v213, v140
	s_delay_alu instid0(VALU_DEP_3) | instskip(NEXT) | instid1(VALU_DEP_3)
	v_dual_fma_f32 v15, v212, v140, -v19 :: v_dual_add_f32 v9, v9, v33
	v_add_f32_e32 v11, v11, v17
	v_dual_mul_f32 v39, v216, v145 :: v_dual_mul_f32 v41, v194, v147
	s_delay_alu instid0(VALU_DEP_3) | instskip(NEXT) | instid1(VALU_DEP_3)
	v_dual_fmac_f32 v37, v215, v142 :: v_dual_add_f32 v9, v9, v35
	v_dual_fma_f32 v17, v214, v142, -v21 :: v_dual_add_f32 v11, v11, v15
	s_wait_loadcnt 0x4
	v_dual_mov_b32 v118, v157 :: v_dual_fma_f32 v15, v216, v144, -v23
	v_fmac_f32_e32 v39, v217, v144
	v_dual_add_f32 v9, v9, v37 :: v_dual_fmac_f32 v41, v195, v146
	v_add_f32_e32 v11, v11, v17
	v_dual_mul_f32 v233, v196, v149 :: v_dual_mul_f32 v235, v166, v151
	s_delay_alu instid0(VALU_DEP_3) | instskip(NEXT) | instid1(VALU_DEP_2)
	v_dual_fma_f32 v17, v194, v146, -v25 :: v_dual_add_f32 v9, v9, v39
	v_dual_add_f32 v11, v11, v15 :: v_dual_fmac_f32 v233, v197, v148
	v_fma_f32 v232, v196, v148, -v27
	v_pk_mul_f32 v[114:115], v[224:225], v[114:115] op_sel_hi:[1,0]
	s_delay_alu instid0(VALU_DEP_4)
	v_add_f32_e32 v123, v9, v41
	s_wait_loadcnt 0x3
	v_dual_add_f32 v122, v11, v17 :: v_dual_mov_b32 v124, v161
	v_pk_mul_f32 v[116:117], v[170:171], v[154:155] op_sel:[1,1] op_sel_hi:[0,1]
	v_dual_fmac_f32 v235, v167, v150 :: v_dual_fma_f32 v234, v166, v150, -v13
	v_pk_fma_f32 v[126:127], v[168:169], v[152:153], v[114:115] op_sel_hi:[1,0,1]
	s_delay_alu instid0(VALU_DEP_4)
	v_pk_add_f32 v[122:123], v[122:123], v[232:233]
	v_pk_fma_f32 v[114:115], v[168:169], v[152:153], v[114:115] neg_lo:[0,0,1] neg_hi:[0,0,1]
	v_pk_fma_f32 v[128:129], v[170:171], v[154:155], v[116:117] op_sel_hi:[1,0,1]
	v_pk_mul_f32 v[118:119], v[226:227], v[118:119] op_sel_hi:[1,0]
	v_mov_b32_e32 v115, v127
	v_pk_add_f32 v[122:123], v[122:123], v[234:235]
	v_pk_fma_f32 v[116:117], v[170:171], v[154:155], v[116:117] neg_lo:[0,0,1] neg_hi:[0,0,1]
	v_pk_mul_f32 v[120:121], v[174:175], v[158:159] op_sel:[1,1] op_sel_hi:[0,1]
	v_mov_b32_e32 v117, v129
	v_pk_fma_f32 v[128:129], v[172:173], v[156:157], v[118:119] op_sel_hi:[1,0,1]
	v_pk_add_f32 v[114:115], v[122:123], v[114:115]
	v_pk_fma_f32 v[118:119], v[172:173], v[156:157], v[118:119] neg_lo:[0,0,1] neg_hi:[0,0,1]
	v_pk_fma_f32 v[122:123], v[174:175], v[158:159], v[120:121] op_sel_hi:[1,0,1]
	v_pk_mul_f32 v[124:125], v[228:229], v[124:125] op_sel_hi:[1,0]
	v_mov_b32_e32 v119, v129
	v_pk_add_f32 v[114:115], v[114:115], v[116:117]
	v_pk_fma_f32 v[120:121], v[174:175], v[158:159], v[120:121] neg_lo:[0,0,1] neg_hi:[0,0,1]
	s_wait_loadcnt 0x2
	v_pk_mul_f32 v[126:127], v[178:179], v[162:163] op_sel:[1,1] op_sel_hi:[0,1]
	v_dual_mov_b32 v116, v165 :: v_dual_mov_b32 v121, v123
	v_pk_fma_f32 v[122:123], v[176:177], v[160:161], v[124:125] op_sel_hi:[1,0,1]
	v_pk_add_f32 v[114:115], v[114:115], v[118:119]
	v_pk_fma_f32 v[124:125], v[176:177], v[160:161], v[124:125] neg_lo:[0,0,1] neg_hi:[0,0,1]
	v_pk_fma_f32 v[118:119], v[178:179], v[162:163], v[126:127] op_sel_hi:[1,0,1]
	v_pk_mul_f32 v[116:117], v[230:231], v[116:117] op_sel_hi:[1,0]
	v_mov_b32_e32 v125, v123
	v_pk_add_f32 v[114:115], v[114:115], v[120:121]
	v_pk_fma_f32 v[120:121], v[178:179], v[162:163], v[126:127] neg_lo:[0,0,1] neg_hi:[0,0,1]
	v_mov_b32_e32 v121, v119
	v_pk_fma_f32 v[118:119], v[180:181], v[164:165], v[116:117] op_sel_hi:[1,0,1]
	s_wait_loadcnt_dscnt 0x100
	v_pk_mul_f32 v[122:123], v[222:223], v[218:219] op_sel:[1,1] op_sel_hi:[0,1]
	v_pk_add_f32 v[114:115], v[114:115], v[124:125]
	v_pk_fma_f32 v[116:117], v[180:181], v[164:165], v[116:117] neg_lo:[0,0,1] neg_hi:[0,0,1]
	v_mov_b32_e32 v117, v119
	s_delay_alu instid0(VALU_DEP_4) | instskip(NEXT) | instid1(VALU_DEP_4)
	v_pk_fma_f32 v[118:119], v[222:223], v[218:219], v[122:123] op_sel_hi:[1,0,1]
	v_pk_add_f32 v[114:115], v[114:115], v[120:121]
	v_pk_fma_f32 v[120:121], v[222:223], v[218:219], v[122:123] neg_lo:[0,0,1] neg_hi:[0,0,1]
	s_delay_alu instid0(VALU_DEP_3) | instskip(NEXT) | instid1(VALU_DEP_3)
	v_mov_b32_e32 v121, v119
	v_pk_add_f32 v[114:115], v[114:115], v[116:117]
	s_delay_alu instid0(VALU_DEP_1) | instskip(SKIP_1) | instid1(VALU_DEP_1)
	v_pk_add_f32 v[114:115], v[114:115], v[120:121]
	s_wait_loadcnt 0x0
	v_pk_add_f32 v[114:115], v[220:221], v[114:115] neg_lo:[0,1] neg_hi:[0,1]
	scratch_store_b64 off, v[114:115], off offset:224
	s_wait_xcnt 0x0
	v_cmpx_lt_u32_e32 27, v0
	s_cbranch_execz .LBB55_295
; %bb.294:
	scratch_load_b64 v[114:115], off, off offset:216
	v_mov_b64_e32 v[116:117], 0
	scratch_store_b64 off, v[116:117], off offset:216
	s_wait_loadcnt 0x0
	ds_store_b64 v1, v[114:115]
.LBB55_295:
	s_wait_xcnt 0x0
	s_or_b32 exec_lo, exec_lo, s0
	s_wait_storecnt_dscnt 0x0
	s_barrier_signal -1
	s_barrier_wait -1
	s_clause 0xe
	scratch_load_b128 v[114:117], off, off offset:224
	scratch_load_b128 v[118:121], off, off offset:240
	;; [unrolled: 1-line block ×14, first 2 shown]
	scratch_load_b64 v[226:227], off, off offset:216
	ds_load_b128 v[170:173], v7 offset:832
	ds_load_b128 v[174:177], v7 offset:848
	;; [unrolled: 1-line block ×14, first 2 shown]
	s_mov_b32 s0, exec_lo
	s_wait_dscnt 0xd
	v_dual_mov_b32 v228, v173 :: v_dual_mov_b32 v229, v172
	s_wait_dscnt 0xc
	v_dual_mov_b32 v230, v177 :: v_dual_mov_b32 v231, v176
	;; [unrolled: 2-line block ×4, first 2 shown]
	s_wait_loadcnt_dscnt 0xe09
	v_dual_mul_f32 v7, v186, v115 :: v_dual_mul_f32 v9, v188, v117
	v_dual_mul_f32 v43, v187, v115 :: v_dual_mul_f32 v45, v189, v117
	s_wait_loadcnt_dscnt 0xd08
	v_dual_mul_f32 v11, v190, v119 :: v_dual_mul_f32 v13, v192, v121
	s_delay_alu instid0(VALU_DEP_3) | instskip(SKIP_3) | instid1(VALU_DEP_3)
	v_dual_fmac_f32 v7, v187, v114 :: v_dual_fmac_f32 v9, v189, v116
	s_wait_loadcnt_dscnt 0xb06
	v_dual_fma_f32 v43, v186, v114, -v43 :: v_dual_mul_f32 v55, v199, v127
	v_dual_mul_f32 v47, v191, v119 :: v_dual_mul_f32 v49, v193, v121
	v_dual_fma_f32 v45, v188, v116, -v45 :: v_dual_add_f32 v7, 0, v7
	s_delay_alu instid0(VALU_DEP_3) | instskip(SKIP_1) | instid1(VALU_DEP_3)
	v_dual_add_f32 v43, 0, v43 :: v_dual_mul_f32 v57, v201, v129
	v_dual_fmac_f32 v11, v191, v118 :: v_dual_fmac_f32 v13, v193, v120
	v_dual_fma_f32 v47, v190, v118, -v47 :: v_dual_add_f32 v7, v7, v9
	s_delay_alu instid0(VALU_DEP_3) | instskip(SKIP_2) | instid1(VALU_DEP_4)
	v_dual_add_f32 v9, v43, v45 :: v_dual_fma_f32 v45, v192, v120, -v49
	v_dual_mul_f32 v15, v194, v123 :: v_dual_mul_f32 v17, v196, v125
	v_dual_mul_f32 v51, v195, v123 :: v_dual_mul_f32 v53, v197, v125
	v_add_f32_e32 v7, v7, v11
	s_delay_alu instid0(VALU_DEP_3) | instskip(NEXT) | instid1(VALU_DEP_3)
	v_dual_add_f32 v9, v9, v47 :: v_dual_fmac_f32 v15, v195, v122
	v_fma_f32 v47, v194, v122, -v51
	v_dual_mul_f32 v19, v198, v127 :: v_dual_mul_f32 v21, v200, v129
	s_delay_alu instid0(VALU_DEP_4) | instskip(SKIP_2) | instid1(VALU_DEP_2)
	v_dual_add_f32 v7, v7, v13 :: v_dual_fmac_f32 v17, v197, v124
	s_wait_loadcnt_dscnt 0x904
	v_dual_add_f32 v9, v9, v45 :: v_dual_mul_f32 v13, v207, v135
	v_dual_fma_f32 v45, v196, v124, -v53 :: v_dual_add_f32 v7, v7, v15
	v_mul_f32_e32 v15, v209, v137
	s_delay_alu instid0(VALU_DEP_3) | instskip(NEXT) | instid1(VALU_DEP_3)
	v_dual_add_f32 v9, v9, v47 :: v_dual_fmac_f32 v19, v199, v126
	v_dual_fma_f32 v47, v198, v126, -v55 :: v_dual_add_f32 v7, v7, v17
	v_fmac_f32_e32 v21, v201, v128
	s_wait_loadcnt_dscnt 0x803
	s_delay_alu instid0(VALU_DEP_3) | instskip(SKIP_3) | instid1(VALU_DEP_3)
	v_dual_add_f32 v9, v9, v45 :: v_dual_mul_f32 v17, v211, v139
	v_dual_mul_f32 v23, v202, v131 :: v_dual_mul_f32 v25, v204, v133
	v_dual_mul_f32 v43, v203, v131 :: v_dual_mul_f32 v11, v205, v133
	v_dual_fma_f32 v45, v200, v128, -v57 :: v_dual_add_f32 v7, v7, v19
	v_dual_add_f32 v9, v9, v47 :: v_dual_fmac_f32 v23, v203, v130
	s_delay_alu instid0(VALU_DEP_3) | instskip(NEXT) | instid1(VALU_DEP_3)
	v_dual_mul_f32 v19, v213, v141 :: v_dual_fma_f32 v43, v202, v130, -v43
	v_dual_add_f32 v7, v7, v21 :: v_dual_fmac_f32 v25, v205, v132
	s_wait_loadcnt_dscnt 0x702
	s_delay_alu instid0(VALU_DEP_3) | instskip(SKIP_1) | instid1(VALU_DEP_3)
	v_dual_add_f32 v9, v9, v45 :: v_dual_mul_f32 v21, v215, v143
	v_dual_mul_f32 v27, v206, v135 :: v_dual_mul_f32 v29, v208, v137
	v_dual_fma_f32 v11, v204, v132, -v11 :: v_dual_add_f32 v7, v7, v23
	s_delay_alu instid0(VALU_DEP_2) | instskip(SKIP_1) | instid1(VALU_DEP_2)
	v_dual_add_f32 v9, v9, v43 :: v_dual_fmac_f32 v27, v207, v134
	v_dual_mul_f32 v23, v217, v145 :: v_dual_fma_f32 v13, v206, v134, -v13
	v_dual_add_f32 v7, v7, v25 :: v_dual_add_f32 v9, v9, v11
	v_dual_mul_f32 v31, v210, v139 :: v_dual_mul_f32 v33, v212, v141
	s_wait_loadcnt_dscnt 0x601
	v_dual_mul_f32 v11, v219, v147 :: v_dual_fmac_f32 v29, v209, v136
	s_delay_alu instid0(VALU_DEP_3) | instskip(NEXT) | instid1(VALU_DEP_3)
	v_dual_fma_f32 v15, v208, v136, -v15 :: v_dual_add_f32 v7, v7, v27
	v_dual_add_f32 v9, v9, v13 :: v_dual_fmac_f32 v31, v211, v138
	v_dual_mul_f32 v13, v221, v149 :: v_dual_fma_f32 v17, v210, v138, -v17
	s_delay_alu instid0(VALU_DEP_2) | instskip(SKIP_3) | instid1(VALU_DEP_3)
	v_dual_add_f32 v7, v7, v29 :: v_dual_add_f32 v9, v9, v15
	v_dual_mul_f32 v35, v214, v143 :: v_dual_mul_f32 v37, v216, v145
	s_wait_loadcnt_dscnt 0x500
	v_dual_mul_f32 v15, v223, v151 :: v_dual_fmac_f32 v33, v213, v140
	v_dual_fma_f32 v19, v212, v140, -v19 :: v_dual_add_f32 v7, v7, v31
	s_delay_alu instid0(VALU_DEP_3) | instskip(SKIP_1) | instid1(VALU_DEP_2)
	v_dual_add_f32 v9, v9, v17 :: v_dual_fmac_f32 v35, v215, v142
	v_dual_mul_f32 v17, v225, v153 :: v_dual_fma_f32 v21, v214, v142, -v21
	v_dual_add_f32 v7, v7, v33 :: v_dual_add_f32 v9, v9, v19
	v_dual_mul_f32 v39, v218, v147 :: v_dual_mul_f32 v41, v220, v149
	v_dual_fmac_f32 v37, v217, v144 :: v_dual_fma_f32 v19, v216, v144, -v23
	s_delay_alu instid0(VALU_DEP_3) | instskip(SKIP_1) | instid1(VALU_DEP_3)
	v_dual_add_f32 v7, v7, v35 :: v_dual_add_f32 v9, v9, v21
	s_wait_loadcnt 0x4
	v_dual_mov_b32 v116, v157 :: v_dual_fmac_f32 v39, v219, v146
	s_delay_alu instid0(VALU_DEP_2) | instskip(NEXT) | instid1(VALU_DEP_3)
	v_dual_fma_f32 v11, v218, v146, -v11 :: v_dual_add_f32 v7, v7, v37
	v_dual_add_f32 v9, v9, v19 :: v_dual_fma_f32 v13, v220, v148, -v13
	v_dual_mul_f32 v237, v222, v151 :: v_dual_mul_f32 v239, v224, v153
	s_delay_alu instid0(VALU_DEP_3) | instskip(NEXT) | instid1(VALU_DEP_2)
	v_dual_fmac_f32 v41, v221, v148 :: v_dual_add_f32 v7, v7, v39
	v_dual_add_f32 v9, v9, v11 :: v_dual_fmac_f32 v237, v223, v150
	v_pk_mul_f32 v[114:115], v[170:171], v[154:155] op_sel:[1,1] op_sel_hi:[0,1]
	s_wait_loadcnt 0x3
	v_dual_mov_b32 v120, v161 :: v_dual_fma_f32 v236, v222, v150, -v15
	v_dual_add_f32 v123, v7, v41 :: v_dual_fmac_f32 v239, v225, v152
	v_dual_add_f32 v122, v9, v13 :: v_dual_fma_f32 v238, v224, v152, -v17
	v_pk_fma_f32 v[124:125], v[170:171], v[154:155], v[114:115] op_sel_hi:[1,0,1]
	v_pk_mul_f32 v[116:117], v[228:229], v[116:117] op_sel_hi:[1,0]
	v_pk_fma_f32 v[114:115], v[170:171], v[154:155], v[114:115] neg_lo:[0,0,1] neg_hi:[0,0,1]
	s_delay_alu instid0(VALU_DEP_4)
	v_pk_add_f32 v[122:123], v[122:123], v[236:237]
	v_pk_mul_f32 v[118:119], v[174:175], v[158:159] op_sel:[1,1] op_sel_hi:[0,1]
	v_mov_b32_e32 v115, v125
	v_pk_fma_f32 v[124:125], v[172:173], v[156:157], v[116:117] op_sel_hi:[1,0,1]
	v_pk_fma_f32 v[116:117], v[172:173], v[156:157], v[116:117] neg_lo:[0,0,1] neg_hi:[0,0,1]
	v_pk_add_f32 v[122:123], v[122:123], v[238:239]
	v_pk_fma_f32 v[128:129], v[174:175], v[158:159], v[118:119] op_sel_hi:[1,0,1]
	v_pk_mul_f32 v[120:121], v[230:231], v[120:121] op_sel_hi:[1,0]
	v_mov_b32_e32 v117, v125
	s_wait_loadcnt 0x2
	v_pk_mul_f32 v[126:127], v[178:179], v[162:163] op_sel:[1,1] op_sel_hi:[0,1]
	v_pk_add_f32 v[114:115], v[122:123], v[114:115]
	v_mov_b32_e32 v122, v165
	v_pk_fma_f32 v[118:119], v[174:175], v[158:159], v[118:119] neg_lo:[0,0,1] neg_hi:[0,0,1]
	v_mov_b32_e32 v119, v129
	v_pk_fma_f32 v[124:125], v[176:177], v[160:161], v[120:121] op_sel_hi:[1,0,1]
	v_pk_add_f32 v[114:115], v[114:115], v[116:117]
	v_pk_fma_f32 v[116:117], v[178:179], v[162:163], v[126:127] op_sel_hi:[1,0,1]
	v_pk_mul_f32 v[122:123], v[232:233], v[122:123] op_sel_hi:[1,0]
	v_pk_fma_f32 v[120:121], v[176:177], v[160:161], v[120:121] neg_lo:[0,0,1] neg_hi:[0,0,1]
	v_mov_b32_e32 v121, v125
	v_pk_add_f32 v[114:115], v[114:115], v[118:119]
	v_pk_fma_f32 v[124:125], v[178:179], v[162:163], v[126:127] neg_lo:[0,0,1] neg_hi:[0,0,1]
	v_mov_b32_e32 v125, v117
	v_pk_fma_f32 v[116:117], v[180:181], v[164:165], v[122:123] op_sel_hi:[1,0,1]
	s_wait_loadcnt 0x1
	v_pk_mul_f32 v[118:119], v[182:183], v[166:167] op_sel:[1,1] op_sel_hi:[0,1]
	v_pk_add_f32 v[114:115], v[114:115], v[120:121]
	v_mov_b32_e32 v116, v169
	v_pk_fma_f32 v[122:123], v[180:181], v[164:165], v[122:123] neg_lo:[0,0,1] neg_hi:[0,0,1]
	v_mov_b32_e32 v123, v117
	v_pk_fma_f32 v[120:121], v[182:183], v[166:167], v[118:119] op_sel_hi:[1,0,1]
	v_pk_add_f32 v[114:115], v[114:115], v[124:125]
	v_pk_mul_f32 v[116:117], v[234:235], v[116:117] op_sel_hi:[1,0]
	v_pk_fma_f32 v[118:119], v[182:183], v[166:167], v[118:119] neg_lo:[0,0,1] neg_hi:[0,0,1]
	s_delay_alu instid0(VALU_DEP_4) | instskip(NEXT) | instid1(VALU_DEP_4)
	v_mov_b32_e32 v119, v121
	v_pk_add_f32 v[114:115], v[114:115], v[122:123]
	s_delay_alu instid0(VALU_DEP_4) | instskip(SKIP_1) | instid1(VALU_DEP_2)
	v_pk_fma_f32 v[120:121], v[184:185], v[168:169], v[116:117] op_sel_hi:[1,0,1]
	v_pk_fma_f32 v[116:117], v[184:185], v[168:169], v[116:117] neg_lo:[0,0,1] neg_hi:[0,0,1]
	v_mov_b32_e32 v117, v121
	s_delay_alu instid0(VALU_DEP_4) | instskip(NEXT) | instid1(VALU_DEP_1)
	v_pk_add_f32 v[114:115], v[114:115], v[118:119]
	v_pk_add_f32 v[114:115], v[114:115], v[116:117]
	s_wait_loadcnt 0x0
	s_delay_alu instid0(VALU_DEP_1)
	v_pk_add_f32 v[114:115], v[226:227], v[114:115] neg_lo:[0,1] neg_hi:[0,1]
	scratch_store_b64 off, v[114:115], off offset:216
	s_wait_xcnt 0x0
	v_cmpx_lt_u32_e32 26, v0
	s_cbranch_execz .LBB55_297
; %bb.296:
	scratch_load_b64 v[114:115], off, off offset:208
	v_mov_b64_e32 v[116:117], 0
	scratch_store_b64 off, v[116:117], off offset:208
	s_wait_loadcnt 0x0
	ds_store_b64 v1, v[114:115]
.LBB55_297:
	s_wait_xcnt 0x0
	s_or_b32 exec_lo, exec_lo, s0
	s_wait_storecnt_dscnt 0x0
	s_barrier_signal -1
	s_barrier_wait -1
	s_clause 0xf
	scratch_load_b128 v[114:117], off, off offset:216
	scratch_load_b128 v[118:121], off, off offset:232
	;; [unrolled: 1-line block ×14, first 2 shown]
	scratch_load_b64 v[226:227], off, off offset:440
	scratch_load_b64 v[228:229], off, off offset:208
	v_mov_b32_e32 v7, 0
	ds_load_2addr_b64 v[170:173], v7 offset0:103 offset1:104
	ds_load_2addr_b64 v[174:177], v7 offset0:105 offset1:106
	ds_load_2addr_b64 v[178:181], v7 offset0:107 offset1:108
	ds_load_2addr_b64 v[182:185], v7 offset0:109 offset1:110
	ds_load_2addr_b64 v[186:189], v7 offset0:83 offset1:84
	ds_load_2addr_b64 v[190:193], v7 offset0:85 offset1:86
	ds_load_2addr_b64 v[194:197], v7 offset0:87 offset1:88
	ds_load_2addr_b64 v[198:201], v7 offset0:89 offset1:90
	ds_load_2addr_b64 v[202:205], v7 offset0:91 offset1:92
	ds_load_2addr_b64 v[206:209], v7 offset0:93 offset1:94
	ds_load_2addr_b64 v[210:213], v7 offset0:95 offset1:96
	ds_load_2addr_b64 v[214:217], v7 offset0:97 offset1:98
	ds_load_2addr_b64 v[218:221], v7 offset0:99 offset1:100
	ds_load_2addr_b64 v[222:225], v7 offset0:101 offset1:102
	ds_load_b64 v[230:231], v7 offset:888
	s_mov_b32 s0, exec_lo
	s_wait_dscnt 0xe
	v_dual_mov_b32 v232, v173 :: v_dual_mov_b32 v233, v172
	s_wait_dscnt 0xb
	v_dual_mov_b32 v234, v177 :: v_dual_mov_b32 v239, v184
	v_dual_mov_b32 v235, v176 :: v_dual_mov_b32 v236, v181
	;; [unrolled: 1-line block ×3, first 2 shown]
	s_wait_loadcnt_dscnt 0xf0a
	v_dual_mul_f32 v9, v186, v115 :: v_dual_mul_f32 v47, v187, v115
	v_dual_mul_f32 v49, v189, v117 :: v_dual_mul_f32 v11, v188, v117
	s_wait_loadcnt_dscnt 0xe09
	v_mul_f32_e32 v13, v190, v119
	s_wait_loadcnt_dscnt 0xc07
	v_dual_mul_f32 v59, v199, v127 :: v_dual_fma_f32 v47, v186, v114, -v47
	v_dual_fmac_f32 v9, v187, v114 :: v_dual_mul_f32 v61, v201, v129
	v_dual_mul_f32 v51, v191, v119 :: v_dual_mul_f32 v53, v193, v121
	v_dual_fmac_f32 v11, v189, v116 :: v_dual_fma_f32 v49, v188, v116, -v49
	s_delay_alu instid0(VALU_DEP_3) | instskip(SKIP_3) | instid1(VALU_DEP_3)
	v_dual_add_f32 v9, 0, v9 :: v_dual_add_f32 v47, 0, v47
	v_dual_mul_f32 v15, v192, v121 :: v_dual_mul_f32 v17, v194, v123
	s_wait_loadcnt_dscnt 0xb06
	v_dual_mul_f32 v63, v203, v131 :: v_dual_fma_f32 v51, v190, v118, -v51
	v_dual_fmac_f32 v13, v191, v118 :: v_dual_add_f32 v9, v9, v11
	s_delay_alu instid0(VALU_DEP_3) | instskip(SKIP_2) | instid1(VALU_DEP_3)
	v_dual_add_f32 v11, v47, v49 :: v_dual_fmac_f32 v15, v193, v120
	v_dual_mul_f32 v55, v195, v123 :: v_dual_mul_f32 v57, v197, v125
	v_dual_mul_f32 v47, v205, v133 :: v_dual_fma_f32 v49, v192, v120, -v53
	v_dual_add_f32 v9, v9, v13 :: v_dual_add_f32 v11, v11, v51
	v_dual_mul_f32 v19, v196, v125 :: v_dual_mul_f32 v21, v198, v127
	s_wait_loadcnt_dscnt 0xa05
	v_dual_mul_f32 v13, v207, v135 :: v_dual_fma_f32 v51, v194, v122, -v55
	s_delay_alu instid0(VALU_DEP_3) | instskip(NEXT) | instid1(VALU_DEP_3)
	v_dual_fmac_f32 v17, v195, v122 :: v_dual_add_f32 v9, v9, v15
	v_dual_add_f32 v11, v11, v49 :: v_dual_fmac_f32 v19, v197, v124
	v_dual_mul_f32 v15, v209, v137 :: v_dual_fma_f32 v49, v196, v124, -v57
	s_delay_alu instid0(VALU_DEP_2) | instskip(SKIP_3) | instid1(VALU_DEP_3)
	v_dual_add_f32 v9, v9, v17 :: v_dual_add_f32 v11, v11, v51
	v_dual_mul_f32 v23, v200, v129 :: v_dual_mul_f32 v25, v202, v131
	s_wait_loadcnt_dscnt 0x904
	v_dual_mul_f32 v17, v211, v139 :: v_dual_fma_f32 v51, v198, v126, -v59
	v_dual_fmac_f32 v21, v199, v126 :: v_dual_add_f32 v9, v9, v19
	s_delay_alu instid0(VALU_DEP_3) | instskip(SKIP_1) | instid1(VALU_DEP_2)
	v_dual_add_f32 v11, v11, v49 :: v_dual_fmac_f32 v23, v201, v128
	v_dual_mul_f32 v19, v213, v141 :: v_dual_fma_f32 v49, v200, v128, -v61
	v_dual_add_f32 v9, v9, v21 :: v_dual_add_f32 v11, v11, v51
	v_dual_mul_f32 v27, v204, v133 :: v_dual_mul_f32 v29, v206, v135
	s_wait_loadcnt_dscnt 0x803
	v_dual_mul_f32 v21, v215, v143 :: v_dual_fma_f32 v51, v202, v130, -v63
	s_delay_alu instid0(VALU_DEP_3) | instskip(NEXT) | instid1(VALU_DEP_3)
	v_dual_fmac_f32 v25, v203, v130 :: v_dual_add_f32 v9, v9, v23
	v_dual_add_f32 v11, v11, v49 :: v_dual_fmac_f32 v27, v205, v132
	v_dual_mul_f32 v23, v217, v145 :: v_dual_fma_f32 v47, v204, v132, -v47
	s_delay_alu instid0(VALU_DEP_2) | instskip(SKIP_3) | instid1(VALU_DEP_3)
	v_dual_add_f32 v9, v9, v25 :: v_dual_add_f32 v11, v11, v51
	v_dual_mul_f32 v31, v208, v137 :: v_dual_mul_f32 v33, v210, v139
	s_wait_loadcnt_dscnt 0x702
	v_dual_mul_f32 v25, v219, v147 :: v_dual_fma_f32 v13, v206, v134, -v13
	v_dual_fmac_f32 v29, v207, v134 :: v_dual_add_f32 v9, v9, v27
	v_dual_add_f32 v11, v11, v47 :: v_dual_mul_f32 v27, v221, v149
	v_fmac_f32_e32 v31, v209, v136
	s_delay_alu instid0(VALU_DEP_3) | instskip(NEXT) | instid1(VALU_DEP_3)
	v_dual_fma_f32 v15, v208, v136, -v15 :: v_dual_add_f32 v9, v9, v29
	v_add_f32_e32 v11, v11, v13
	v_dual_mul_f32 v35, v212, v141 :: v_dual_mul_f32 v37, v214, v143
	s_wait_loadcnt_dscnt 0x601
	v_dual_mul_f32 v13, v223, v151 :: v_dual_fma_f32 v17, v210, v138, -v17
	v_dual_fmac_f32 v33, v211, v138 :: v_dual_add_f32 v9, v9, v31
	v_dual_add_f32 v11, v11, v15 :: v_dual_mul_f32 v15, v225, v153
	v_fmac_f32_e32 v35, v213, v140
	s_delay_alu instid0(VALU_DEP_3) | instskip(NEXT) | instid1(VALU_DEP_3)
	v_dual_fma_f32 v19, v212, v140, -v19 :: v_dual_add_f32 v9, v9, v33
	v_add_f32_e32 v11, v11, v17
	v_dual_mul_f32 v39, v216, v145 :: v_dual_mul_f32 v41, v218, v147
	s_wait_loadcnt 0x5
	v_dual_mul_f32 v17, v171, v155 :: v_dual_fma_f32 v21, v214, v142, -v21
	v_dual_fmac_f32 v37, v215, v142 :: v_dual_add_f32 v9, v9, v35
	v_dual_add_f32 v11, v11, v19 :: v_dual_mov_b32 v114, v157
	v_fmac_f32_e32 v39, v217, v144
	s_delay_alu instid0(VALU_DEP_3) | instskip(NEXT) | instid1(VALU_DEP_3)
	v_dual_fma_f32 v19, v216, v144, -v23 :: v_dual_add_f32 v9, v9, v37
	v_add_f32_e32 v11, v11, v21
	v_dual_mul_f32 v43, v220, v149 :: v_dual_mul_f32 v45, v222, v151
	s_delay_alu instid0(VALU_DEP_3) | instskip(NEXT) | instid1(VALU_DEP_3)
	v_dual_fmac_f32 v41, v219, v146 :: v_dual_add_f32 v9, v9, v39
	v_dual_fma_f32 v21, v218, v146, -v25 :: v_dual_add_f32 v11, v11, v19
	s_wait_loadcnt 0x4
	v_dual_mov_b32 v118, v161 :: v_dual_fma_f32 v19, v220, v148, -v27
	v_fmac_f32_e32 v43, v221, v148
	v_dual_add_f32 v9, v9, v41 :: v_dual_fmac_f32 v45, v223, v150
	v_add_f32_e32 v11, v11, v21
	v_dual_mul_f32 v241, v224, v153 :: v_dual_mul_f32 v243, v170, v155
	s_delay_alu instid0(VALU_DEP_3) | instskip(NEXT) | instid1(VALU_DEP_2)
	v_dual_fma_f32 v13, v222, v150, -v13 :: v_dual_add_f32 v9, v9, v43
	v_dual_add_f32 v11, v11, v19 :: v_dual_fmac_f32 v241, v225, v152
	v_fma_f32 v240, v224, v152, -v15
	v_pk_mul_f32 v[114:115], v[232:233], v[114:115] op_sel_hi:[1,0]
	s_delay_alu instid0(VALU_DEP_4)
	v_add_f32_e32 v123, v9, v45
	s_wait_loadcnt 0x3
	v_dual_add_f32 v122, v11, v13 :: v_dual_mov_b32 v124, v165
	v_pk_mul_f32 v[116:117], v[174:175], v[158:159] op_sel:[1,1] op_sel_hi:[0,1]
	v_dual_fmac_f32 v243, v171, v154 :: v_dual_fma_f32 v242, v170, v154, -v17
	v_pk_fma_f32 v[126:127], v[172:173], v[156:157], v[114:115] op_sel_hi:[1,0,1]
	s_delay_alu instid0(VALU_DEP_4)
	v_pk_add_f32 v[122:123], v[122:123], v[240:241]
	v_pk_fma_f32 v[114:115], v[172:173], v[156:157], v[114:115] neg_lo:[0,0,1] neg_hi:[0,0,1]
	v_pk_fma_f32 v[128:129], v[174:175], v[158:159], v[116:117] op_sel_hi:[1,0,1]
	v_pk_mul_f32 v[118:119], v[234:235], v[118:119] op_sel_hi:[1,0]
	v_mov_b32_e32 v115, v127
	v_pk_add_f32 v[122:123], v[122:123], v[242:243]
	v_pk_fma_f32 v[116:117], v[174:175], v[158:159], v[116:117] neg_lo:[0,0,1] neg_hi:[0,0,1]
	v_pk_mul_f32 v[120:121], v[178:179], v[162:163] op_sel:[1,1] op_sel_hi:[0,1]
	v_mov_b32_e32 v117, v129
	v_pk_fma_f32 v[128:129], v[176:177], v[160:161], v[118:119] op_sel_hi:[1,0,1]
	v_pk_add_f32 v[114:115], v[122:123], v[114:115]
	v_pk_fma_f32 v[118:119], v[176:177], v[160:161], v[118:119] neg_lo:[0,0,1] neg_hi:[0,0,1]
	v_pk_fma_f32 v[122:123], v[178:179], v[162:163], v[120:121] op_sel_hi:[1,0,1]
	v_pk_mul_f32 v[124:125], v[236:237], v[124:125] op_sel_hi:[1,0]
	v_mov_b32_e32 v119, v129
	v_pk_add_f32 v[114:115], v[114:115], v[116:117]
	v_pk_fma_f32 v[120:121], v[178:179], v[162:163], v[120:121] neg_lo:[0,0,1] neg_hi:[0,0,1]
	s_wait_loadcnt 0x2
	v_pk_mul_f32 v[126:127], v[182:183], v[166:167] op_sel:[1,1] op_sel_hi:[0,1]
	v_dual_mov_b32 v116, v169 :: v_dual_mov_b32 v121, v123
	v_pk_fma_f32 v[122:123], v[180:181], v[164:165], v[124:125] op_sel_hi:[1,0,1]
	v_pk_add_f32 v[114:115], v[114:115], v[118:119]
	v_pk_fma_f32 v[124:125], v[180:181], v[164:165], v[124:125] neg_lo:[0,0,1] neg_hi:[0,0,1]
	v_pk_fma_f32 v[118:119], v[182:183], v[166:167], v[126:127] op_sel_hi:[1,0,1]
	v_pk_mul_f32 v[116:117], v[238:239], v[116:117] op_sel_hi:[1,0]
	v_mov_b32_e32 v125, v123
	v_pk_add_f32 v[114:115], v[114:115], v[120:121]
	v_pk_fma_f32 v[120:121], v[182:183], v[166:167], v[126:127] neg_lo:[0,0,1] neg_hi:[0,0,1]
	v_mov_b32_e32 v121, v119
	v_pk_fma_f32 v[118:119], v[184:185], v[168:169], v[116:117] op_sel_hi:[1,0,1]
	s_wait_loadcnt_dscnt 0x100
	v_pk_mul_f32 v[122:123], v[230:231], v[226:227] op_sel:[1,1] op_sel_hi:[0,1]
	v_pk_add_f32 v[114:115], v[114:115], v[124:125]
	v_pk_fma_f32 v[116:117], v[184:185], v[168:169], v[116:117] neg_lo:[0,0,1] neg_hi:[0,0,1]
	v_mov_b32_e32 v117, v119
	s_delay_alu instid0(VALU_DEP_4) | instskip(NEXT) | instid1(VALU_DEP_4)
	v_pk_fma_f32 v[118:119], v[230:231], v[226:227], v[122:123] op_sel_hi:[1,0,1]
	v_pk_add_f32 v[114:115], v[114:115], v[120:121]
	v_pk_fma_f32 v[120:121], v[230:231], v[226:227], v[122:123] neg_lo:[0,0,1] neg_hi:[0,0,1]
	s_delay_alu instid0(VALU_DEP_3) | instskip(NEXT) | instid1(VALU_DEP_3)
	v_mov_b32_e32 v121, v119
	v_pk_add_f32 v[114:115], v[114:115], v[116:117]
	s_delay_alu instid0(VALU_DEP_1) | instskip(SKIP_1) | instid1(VALU_DEP_1)
	v_pk_add_f32 v[114:115], v[114:115], v[120:121]
	s_wait_loadcnt 0x0
	v_pk_add_f32 v[114:115], v[228:229], v[114:115] neg_lo:[0,1] neg_hi:[0,1]
	scratch_store_b64 off, v[114:115], off offset:208
	s_wait_xcnt 0x0
	v_cmpx_lt_u32_e32 25, v0
	s_cbranch_execz .LBB55_299
; %bb.298:
	scratch_load_b64 v[114:115], off, off offset:200
	v_mov_b64_e32 v[116:117], 0
	scratch_store_b64 off, v[116:117], off offset:200
	s_wait_loadcnt 0x0
	ds_store_b64 v1, v[114:115]
.LBB55_299:
	s_wait_xcnt 0x0
	s_or_b32 exec_lo, exec_lo, s0
	s_wait_storecnt_dscnt 0x0
	s_barrier_signal -1
	s_barrier_wait -1
	s_clause 0xf
	scratch_load_b128 v[114:117], off, off offset:208
	scratch_load_b128 v[118:121], off, off offset:224
	scratch_load_b128 v[122:125], off, off offset:240
	scratch_load_b128 v[126:129], off, off offset:256
	scratch_load_b128 v[130:133], off, off offset:272
	scratch_load_b128 v[134:137], off, off offset:288
	scratch_load_b128 v[138:141], off, off offset:304
	scratch_load_b128 v[142:145], off, off offset:320
	scratch_load_b128 v[146:149], off, off offset:336
	scratch_load_b128 v[150:153], off, off offset:352
	scratch_load_b128 v[154:157], off, off offset:368
	scratch_load_b128 v[158:161], off, off offset:384
	scratch_load_b128 v[162:165], off, off offset:400
	scratch_load_b128 v[166:169], off, off offset:416
	scratch_load_b128 v[170:173], off, off offset:432
	scratch_load_b64 v[234:235], off, off offset:200
	ds_load_b128 v[174:177], v7 offset:832
	ds_load_b128 v[178:181], v7 offset:848
	;; [unrolled: 1-line block ×15, first 2 shown]
	s_mov_b32 s0, exec_lo
	s_wait_dscnt 0xe
	v_dual_mov_b32 v236, v177 :: v_dual_mov_b32 v237, v176
	s_wait_dscnt 0xd
	v_dual_mov_b32 v238, v181 :: v_dual_mov_b32 v239, v180
	;; [unrolled: 2-line block ×4, first 2 shown]
	s_wait_loadcnt_dscnt 0xf0a
	v_dual_mul_f32 v7, v190, v115 :: v_dual_mul_f32 v9, v192, v117
	v_dual_mul_f32 v47, v191, v115 :: v_dual_mul_f32 v49, v193, v117
	s_wait_loadcnt_dscnt 0xe09
	v_dual_mul_f32 v11, v194, v119 :: v_dual_mul_f32 v13, v196, v121
	s_delay_alu instid0(VALU_DEP_3) | instskip(SKIP_3) | instid1(VALU_DEP_3)
	v_dual_fmac_f32 v7, v191, v114 :: v_dual_fmac_f32 v9, v193, v116
	s_wait_loadcnt_dscnt 0xc06
	v_dual_fma_f32 v47, v190, v114, -v47 :: v_dual_mul_f32 v59, v207, v127
	v_dual_mul_f32 v51, v195, v119 :: v_dual_mul_f32 v53, v197, v121
	v_dual_fma_f32 v49, v192, v116, -v49 :: v_dual_add_f32 v7, 0, v7
	s_delay_alu instid0(VALU_DEP_3) | instskip(SKIP_1) | instid1(VALU_DEP_3)
	v_dual_add_f32 v47, 0, v47 :: v_dual_mul_f32 v61, v209, v129
	v_dual_fmac_f32 v11, v195, v118 :: v_dual_fmac_f32 v13, v197, v120
	v_dual_fma_f32 v51, v194, v118, -v51 :: v_dual_add_f32 v7, v7, v9
	s_delay_alu instid0(VALU_DEP_3) | instskip(SKIP_2) | instid1(VALU_DEP_4)
	v_dual_add_f32 v9, v47, v49 :: v_dual_fma_f32 v49, v196, v120, -v53
	v_dual_mul_f32 v15, v202, v123 :: v_dual_mul_f32 v17, v204, v125
	v_dual_mul_f32 v55, v203, v123 :: v_dual_mul_f32 v57, v205, v125
	v_add_f32_e32 v7, v7, v11
	s_delay_alu instid0(VALU_DEP_3) | instskip(NEXT) | instid1(VALU_DEP_3)
	v_dual_add_f32 v9, v9, v51 :: v_dual_fmac_f32 v15, v203, v122
	v_fma_f32 v51, v202, v122, -v55
	v_dual_mul_f32 v19, v206, v127 :: v_dual_mul_f32 v21, v208, v129
	s_delay_alu instid0(VALU_DEP_4) | instskip(SKIP_2) | instid1(VALU_DEP_2)
	v_dual_add_f32 v7, v7, v13 :: v_dual_fmac_f32 v17, v205, v124
	s_wait_loadcnt_dscnt 0xa04
	v_dual_add_f32 v9, v9, v49 :: v_dual_mul_f32 v13, v215, v135
	v_dual_fma_f32 v49, v204, v124, -v57 :: v_dual_add_f32 v7, v7, v15
	v_mul_f32_e32 v15, v217, v137
	s_delay_alu instid0(VALU_DEP_3) | instskip(NEXT) | instid1(VALU_DEP_3)
	v_dual_add_f32 v9, v9, v51 :: v_dual_fmac_f32 v19, v207, v126
	v_dual_fma_f32 v51, v206, v126, -v59 :: v_dual_add_f32 v7, v7, v17
	v_fmac_f32_e32 v21, v209, v128
	s_wait_loadcnt_dscnt 0x903
	s_delay_alu instid0(VALU_DEP_3) | instskip(SKIP_3) | instid1(VALU_DEP_3)
	v_dual_add_f32 v9, v9, v49 :: v_dual_mul_f32 v17, v219, v139
	v_dual_mul_f32 v23, v210, v131 :: v_dual_mul_f32 v25, v212, v133
	v_dual_mul_f32 v47, v211, v131 :: v_dual_mul_f32 v11, v213, v133
	v_dual_fma_f32 v49, v208, v128, -v61 :: v_dual_add_f32 v7, v7, v19
	v_dual_add_f32 v9, v9, v51 :: v_dual_fmac_f32 v23, v211, v130
	s_delay_alu instid0(VALU_DEP_3) | instskip(NEXT) | instid1(VALU_DEP_3)
	v_dual_mul_f32 v19, v221, v141 :: v_dual_fma_f32 v47, v210, v130, -v47
	v_dual_add_f32 v7, v7, v21 :: v_dual_fmac_f32 v25, v213, v132
	s_wait_loadcnt_dscnt 0x802
	s_delay_alu instid0(VALU_DEP_3) | instskip(SKIP_1) | instid1(VALU_DEP_3)
	v_dual_add_f32 v9, v9, v49 :: v_dual_mul_f32 v21, v223, v143
	v_dual_mul_f32 v27, v214, v135 :: v_dual_mul_f32 v29, v216, v137
	v_dual_fma_f32 v11, v212, v132, -v11 :: v_dual_add_f32 v7, v7, v23
	s_delay_alu instid0(VALU_DEP_2) | instskip(SKIP_1) | instid1(VALU_DEP_2)
	v_dual_add_f32 v9, v9, v47 :: v_dual_fmac_f32 v27, v215, v134
	v_dual_mul_f32 v23, v225, v145 :: v_dual_fma_f32 v13, v214, v134, -v13
	v_dual_add_f32 v7, v7, v25 :: v_dual_add_f32 v9, v9, v11
	v_dual_mul_f32 v31, v218, v139 :: v_dual_mul_f32 v33, v220, v141
	s_wait_loadcnt_dscnt 0x701
	v_dual_mul_f32 v11, v227, v147 :: v_dual_fmac_f32 v29, v217, v136
	s_delay_alu instid0(VALU_DEP_3) | instskip(NEXT) | instid1(VALU_DEP_3)
	v_dual_fma_f32 v15, v216, v136, -v15 :: v_dual_add_f32 v7, v7, v27
	v_dual_add_f32 v9, v9, v13 :: v_dual_fmac_f32 v31, v219, v138
	v_dual_mul_f32 v13, v229, v149 :: v_dual_fma_f32 v17, v218, v138, -v17
	s_delay_alu instid0(VALU_DEP_2) | instskip(SKIP_3) | instid1(VALU_DEP_3)
	v_dual_add_f32 v7, v7, v29 :: v_dual_add_f32 v9, v9, v15
	v_dual_mul_f32 v35, v222, v143 :: v_dual_mul_f32 v37, v224, v145
	s_wait_loadcnt_dscnt 0x600
	v_dual_mul_f32 v15, v231, v151 :: v_dual_fmac_f32 v33, v221, v140
	v_dual_fma_f32 v19, v220, v140, -v19 :: v_dual_add_f32 v7, v7, v31
	s_delay_alu instid0(VALU_DEP_3) | instskip(SKIP_1) | instid1(VALU_DEP_2)
	v_dual_add_f32 v9, v9, v17 :: v_dual_fmac_f32 v35, v223, v142
	v_dual_mul_f32 v17, v233, v153 :: v_dual_fma_f32 v21, v222, v142, -v21
	v_dual_add_f32 v7, v7, v33 :: v_dual_add_f32 v9, v9, v19
	v_dual_mul_f32 v39, v226, v147 :: v_dual_mul_f32 v41, v228, v149
	s_wait_loadcnt 0x5
	v_dual_mul_f32 v19, v199, v155 :: v_dual_fmac_f32 v37, v225, v144
	s_delay_alu instid0(VALU_DEP_3) | instskip(NEXT) | instid1(VALU_DEP_3)
	v_dual_fma_f32 v23, v224, v144, -v23 :: v_dual_add_f32 v7, v7, v35
	v_dual_add_f32 v9, v9, v21 :: v_dual_fmac_f32 v39, v227, v146
	v_dual_mul_f32 v21, v201, v157 :: v_dual_fma_f32 v11, v226, v146, -v11
	s_delay_alu instid0(VALU_DEP_2) | instskip(SKIP_1) | instid1(VALU_DEP_2)
	v_dual_add_f32 v7, v7, v37 :: v_dual_add_f32 v9, v9, v23
	v_dual_mul_f32 v43, v230, v151 :: v_dual_mul_f32 v45, v232, v153
	v_dual_fmac_f32 v41, v229, v148 :: v_dual_add_f32 v7, v7, v39
	s_delay_alu instid0(VALU_DEP_3) | instskip(SKIP_1) | instid1(VALU_DEP_3)
	v_dual_fma_f32 v13, v228, v148, -v13 :: v_dual_add_f32 v9, v9, v11
	s_wait_loadcnt 0x4
	v_dual_mov_b32 v116, v161 :: v_dual_fmac_f32 v43, v231, v150
	s_delay_alu instid0(VALU_DEP_3) | instskip(NEXT) | instid1(VALU_DEP_3)
	v_dual_fma_f32 v11, v230, v150, -v15 :: v_dual_add_f32 v7, v7, v41
	v_dual_add_f32 v9, v9, v13 :: v_dual_fma_f32 v13, v232, v152, -v17
	v_dual_mul_f32 v245, v198, v155 :: v_dual_mul_f32 v247, v200, v157
	s_delay_alu instid0(VALU_DEP_3) | instskip(NEXT) | instid1(VALU_DEP_2)
	v_dual_fmac_f32 v45, v233, v152 :: v_dual_add_f32 v7, v7, v43
	v_dual_add_f32 v9, v9, v11 :: v_dual_fmac_f32 v245, v199, v154
	v_pk_mul_f32 v[114:115], v[174:175], v[158:159] op_sel:[1,1] op_sel_hi:[0,1]
	s_wait_loadcnt 0x3
	v_dual_mov_b32 v120, v165 :: v_dual_fma_f32 v244, v198, v154, -v19
	v_dual_add_f32 v123, v7, v45 :: v_dual_fmac_f32 v247, v201, v156
	v_dual_add_f32 v122, v9, v13 :: v_dual_fma_f32 v246, v200, v156, -v21
	v_pk_fma_f32 v[124:125], v[174:175], v[158:159], v[114:115] op_sel_hi:[1,0,1]
	v_pk_mul_f32 v[116:117], v[236:237], v[116:117] op_sel_hi:[1,0]
	v_pk_fma_f32 v[114:115], v[174:175], v[158:159], v[114:115] neg_lo:[0,0,1] neg_hi:[0,0,1]
	s_delay_alu instid0(VALU_DEP_4)
	v_pk_add_f32 v[122:123], v[122:123], v[244:245]
	v_pk_mul_f32 v[118:119], v[178:179], v[162:163] op_sel:[1,1] op_sel_hi:[0,1]
	v_mov_b32_e32 v115, v125
	v_pk_fma_f32 v[124:125], v[176:177], v[160:161], v[116:117] op_sel_hi:[1,0,1]
	v_pk_fma_f32 v[116:117], v[176:177], v[160:161], v[116:117] neg_lo:[0,0,1] neg_hi:[0,0,1]
	v_pk_add_f32 v[122:123], v[122:123], v[246:247]
	v_pk_fma_f32 v[128:129], v[178:179], v[162:163], v[118:119] op_sel_hi:[1,0,1]
	v_pk_mul_f32 v[120:121], v[238:239], v[120:121] op_sel_hi:[1,0]
	v_mov_b32_e32 v117, v125
	s_wait_loadcnt 0x2
	v_pk_mul_f32 v[126:127], v[182:183], v[166:167] op_sel:[1,1] op_sel_hi:[0,1]
	v_pk_add_f32 v[114:115], v[122:123], v[114:115]
	v_mov_b32_e32 v122, v169
	v_pk_fma_f32 v[118:119], v[178:179], v[162:163], v[118:119] neg_lo:[0,0,1] neg_hi:[0,0,1]
	v_mov_b32_e32 v119, v129
	v_pk_fma_f32 v[124:125], v[180:181], v[164:165], v[120:121] op_sel_hi:[1,0,1]
	v_pk_add_f32 v[114:115], v[114:115], v[116:117]
	v_pk_fma_f32 v[116:117], v[182:183], v[166:167], v[126:127] op_sel_hi:[1,0,1]
	v_pk_mul_f32 v[122:123], v[240:241], v[122:123] op_sel_hi:[1,0]
	v_pk_fma_f32 v[120:121], v[180:181], v[164:165], v[120:121] neg_lo:[0,0,1] neg_hi:[0,0,1]
	v_mov_b32_e32 v121, v125
	v_pk_add_f32 v[114:115], v[114:115], v[118:119]
	v_pk_fma_f32 v[124:125], v[182:183], v[166:167], v[126:127] neg_lo:[0,0,1] neg_hi:[0,0,1]
	v_mov_b32_e32 v125, v117
	v_pk_fma_f32 v[116:117], v[184:185], v[168:169], v[122:123] op_sel_hi:[1,0,1]
	s_wait_loadcnt 0x1
	v_pk_mul_f32 v[118:119], v[186:187], v[170:171] op_sel:[1,1] op_sel_hi:[0,1]
	v_pk_add_f32 v[114:115], v[114:115], v[120:121]
	v_mov_b32_e32 v116, v173
	v_pk_fma_f32 v[122:123], v[184:185], v[168:169], v[122:123] neg_lo:[0,0,1] neg_hi:[0,0,1]
	v_mov_b32_e32 v123, v117
	v_pk_fma_f32 v[120:121], v[186:187], v[170:171], v[118:119] op_sel_hi:[1,0,1]
	v_pk_add_f32 v[114:115], v[114:115], v[124:125]
	v_pk_mul_f32 v[116:117], v[242:243], v[116:117] op_sel_hi:[1,0]
	v_pk_fma_f32 v[118:119], v[186:187], v[170:171], v[118:119] neg_lo:[0,0,1] neg_hi:[0,0,1]
	s_delay_alu instid0(VALU_DEP_4) | instskip(NEXT) | instid1(VALU_DEP_4)
	v_mov_b32_e32 v119, v121
	v_pk_add_f32 v[114:115], v[114:115], v[122:123]
	s_delay_alu instid0(VALU_DEP_4) | instskip(SKIP_1) | instid1(VALU_DEP_2)
	v_pk_fma_f32 v[120:121], v[188:189], v[172:173], v[116:117] op_sel_hi:[1,0,1]
	v_pk_fma_f32 v[116:117], v[188:189], v[172:173], v[116:117] neg_lo:[0,0,1] neg_hi:[0,0,1]
	v_mov_b32_e32 v117, v121
	s_delay_alu instid0(VALU_DEP_4) | instskip(NEXT) | instid1(VALU_DEP_1)
	v_pk_add_f32 v[114:115], v[114:115], v[118:119]
	v_pk_add_f32 v[114:115], v[114:115], v[116:117]
	s_wait_loadcnt 0x0
	s_delay_alu instid0(VALU_DEP_1)
	v_pk_add_f32 v[114:115], v[234:235], v[114:115] neg_lo:[0,1] neg_hi:[0,1]
	scratch_store_b64 off, v[114:115], off offset:200
	s_wait_xcnt 0x0
	v_cmpx_lt_u32_e32 24, v0
	s_cbranch_execz .LBB55_301
; %bb.300:
	scratch_load_b64 v[114:115], off, off offset:192
	v_mov_b64_e32 v[116:117], 0
	scratch_store_b64 off, v[116:117], off offset:192
	s_wait_loadcnt 0x0
	ds_store_b64 v1, v[114:115]
.LBB55_301:
	s_wait_xcnt 0x0
	s_or_b32 exec_lo, exec_lo, s0
	s_wait_storecnt_dscnt 0x0
	s_barrier_signal -1
	s_barrier_wait -1
	s_clause 0x10
	scratch_load_b128 v[114:117], off, off offset:200
	scratch_load_b128 v[118:121], off, off offset:216
	;; [unrolled: 1-line block ×15, first 2 shown]
	scratch_load_b64 v[234:235], off, off offset:440
	scratch_load_b64 v[236:237], off, off offset:192
	v_mov_b32_e32 v7, 0
	ds_load_2addr_b64 v[174:177], v7 offset0:103 offset1:104
	ds_load_2addr_b64 v[178:181], v7 offset0:105 offset1:106
	;; [unrolled: 1-line block ×15, first 2 shown]
	ds_load_b64 v[238:239], v7 offset:888
	s_mov_b32 s0, exec_lo
	s_wait_dscnt 0xf
	v_dual_mov_b32 v240, v177 :: v_dual_mov_b32 v241, v176
	s_wait_dscnt 0xc
	v_dual_mov_b32 v242, v181 :: v_dual_mov_b32 v247, v188
	v_dual_mov_b32 v243, v180 :: v_dual_mov_b32 v244, v185
	;; [unrolled: 1-line block ×3, first 2 shown]
	s_wait_loadcnt_dscnt 0x100b
	v_dual_mul_f32 v9, v190, v115 :: v_dual_mul_f32 v51, v191, v115
	v_dual_mul_f32 v53, v193, v117 :: v_dual_mul_f32 v11, v192, v117
	s_wait_loadcnt_dscnt 0xf09
	v_mul_f32_e32 v13, v198, v119
	s_wait_loadcnt_dscnt 0xd07
	v_dual_mul_f32 v63, v207, v127 :: v_dual_fma_f32 v51, v190, v114, -v51
	v_dual_fmac_f32 v9, v191, v114 :: v_dual_mul_f32 v65, v209, v129
	v_dual_mul_f32 v55, v199, v119 :: v_dual_mul_f32 v57, v201, v121
	v_dual_fmac_f32 v11, v193, v116 :: v_dual_fma_f32 v53, v192, v116, -v53
	s_delay_alu instid0(VALU_DEP_3) | instskip(SKIP_3) | instid1(VALU_DEP_3)
	v_dual_add_f32 v9, 0, v9 :: v_dual_add_f32 v51, 0, v51
	v_dual_mul_f32 v15, v200, v121 :: v_dual_mul_f32 v17, v202, v123
	s_wait_loadcnt_dscnt 0xc06
	v_dual_mul_f32 v67, v211, v131 :: v_dual_fma_f32 v55, v198, v118, -v55
	v_dual_fmac_f32 v13, v199, v118 :: v_dual_add_f32 v9, v9, v11
	s_delay_alu instid0(VALU_DEP_3) | instskip(SKIP_2) | instid1(VALU_DEP_3)
	v_dual_add_f32 v11, v51, v53 :: v_dual_fmac_f32 v15, v201, v120
	v_dual_mul_f32 v59, v203, v123 :: v_dual_mul_f32 v61, v205, v125
	v_dual_mul_f32 v51, v213, v133 :: v_dual_fma_f32 v53, v200, v120, -v57
	v_dual_add_f32 v9, v9, v13 :: v_dual_add_f32 v11, v11, v55
	v_dual_mul_f32 v19, v204, v125 :: v_dual_mul_f32 v21, v206, v127
	s_wait_loadcnt_dscnt 0xb05
	v_dual_mul_f32 v13, v215, v135 :: v_dual_fma_f32 v55, v202, v122, -v59
	s_delay_alu instid0(VALU_DEP_3) | instskip(NEXT) | instid1(VALU_DEP_3)
	v_dual_fmac_f32 v17, v203, v122 :: v_dual_add_f32 v9, v9, v15
	v_dual_add_f32 v11, v11, v53 :: v_dual_fmac_f32 v19, v205, v124
	v_dual_mul_f32 v15, v217, v137 :: v_dual_fma_f32 v53, v204, v124, -v61
	s_delay_alu instid0(VALU_DEP_2) | instskip(SKIP_3) | instid1(VALU_DEP_3)
	v_dual_add_f32 v9, v9, v17 :: v_dual_add_f32 v11, v11, v55
	v_dual_mul_f32 v23, v208, v129 :: v_dual_mul_f32 v25, v210, v131
	s_wait_loadcnt_dscnt 0xa04
	v_dual_mul_f32 v17, v219, v139 :: v_dual_fma_f32 v55, v206, v126, -v63
	v_dual_fmac_f32 v21, v207, v126 :: v_dual_add_f32 v9, v9, v19
	s_delay_alu instid0(VALU_DEP_3) | instskip(SKIP_1) | instid1(VALU_DEP_2)
	v_dual_add_f32 v11, v11, v53 :: v_dual_fmac_f32 v23, v209, v128
	v_dual_mul_f32 v19, v221, v141 :: v_dual_fma_f32 v53, v208, v128, -v65
	v_dual_add_f32 v9, v9, v21 :: v_dual_add_f32 v11, v11, v55
	v_dual_mul_f32 v27, v212, v133 :: v_dual_mul_f32 v29, v214, v135
	s_wait_loadcnt_dscnt 0x903
	v_dual_mul_f32 v21, v223, v143 :: v_dual_fma_f32 v55, v210, v130, -v67
	s_delay_alu instid0(VALU_DEP_3) | instskip(NEXT) | instid1(VALU_DEP_3)
	v_dual_fmac_f32 v25, v211, v130 :: v_dual_add_f32 v9, v9, v23
	v_dual_add_f32 v11, v11, v53 :: v_dual_fmac_f32 v27, v213, v132
	v_dual_mul_f32 v23, v225, v145 :: v_dual_fma_f32 v51, v212, v132, -v51
	s_delay_alu instid0(VALU_DEP_2) | instskip(SKIP_3) | instid1(VALU_DEP_3)
	v_dual_add_f32 v9, v9, v25 :: v_dual_add_f32 v11, v11, v55
	v_dual_mul_f32 v31, v216, v137 :: v_dual_mul_f32 v33, v218, v139
	s_wait_loadcnt_dscnt 0x802
	v_dual_mul_f32 v25, v227, v147 :: v_dual_fma_f32 v13, v214, v134, -v13
	v_dual_fmac_f32 v29, v215, v134 :: v_dual_add_f32 v9, v9, v27
	v_dual_add_f32 v11, v11, v51 :: v_dual_mul_f32 v27, v229, v149
	v_fmac_f32_e32 v31, v217, v136
	s_delay_alu instid0(VALU_DEP_3) | instskip(NEXT) | instid1(VALU_DEP_3)
	v_dual_fma_f32 v15, v216, v136, -v15 :: v_dual_add_f32 v9, v9, v29
	v_add_f32_e32 v11, v11, v13
	v_dual_mul_f32 v35, v220, v141 :: v_dual_mul_f32 v37, v222, v143
	s_wait_loadcnt_dscnt 0x701
	v_dual_mul_f32 v13, v231, v151 :: v_dual_fma_f32 v17, v218, v138, -v17
	v_dual_fmac_f32 v33, v219, v138 :: v_dual_add_f32 v9, v9, v31
	v_dual_add_f32 v11, v11, v15 :: v_dual_mul_f32 v15, v233, v153
	v_fmac_f32_e32 v35, v221, v140
	s_delay_alu instid0(VALU_DEP_3) | instskip(NEXT) | instid1(VALU_DEP_3)
	v_dual_fma_f32 v19, v220, v140, -v19 :: v_dual_add_f32 v9, v9, v33
	v_add_f32_e32 v11, v11, v17
	v_dual_mul_f32 v39, v224, v145 :: v_dual_mul_f32 v41, v226, v147
	s_wait_loadcnt 0x6
	v_dual_mul_f32 v17, v195, v155 :: v_dual_fma_f32 v21, v222, v142, -v21
	v_dual_fmac_f32 v37, v223, v142 :: v_dual_add_f32 v9, v9, v35
	v_dual_add_f32 v11, v11, v19 :: v_dual_mul_f32 v19, v197, v157
	v_fmac_f32_e32 v39, v225, v144
	s_delay_alu instid0(VALU_DEP_3) | instskip(NEXT) | instid1(VALU_DEP_3)
	v_dual_fma_f32 v23, v224, v144, -v23 :: v_dual_add_f32 v9, v9, v37
	v_add_f32_e32 v11, v11, v21
	v_dual_mul_f32 v43, v228, v149 :: v_dual_mul_f32 v45, v230, v151
	s_wait_loadcnt 0x5
	v_dual_mul_f32 v21, v175, v159 :: v_dual_fma_f32 v25, v226, v146, -v25
	v_dual_fmac_f32 v41, v227, v146 :: v_dual_add_f32 v9, v9, v39
	v_dual_add_f32 v11, v11, v23 :: v_dual_mov_b32 v114, v161
	v_fmac_f32_e32 v43, v229, v148
	s_delay_alu instid0(VALU_DEP_3) | instskip(NEXT) | instid1(VALU_DEP_3)
	v_dual_fma_f32 v23, v228, v148, -v27 :: v_dual_add_f32 v9, v9, v41
	v_add_f32_e32 v11, v11, v25
	v_dual_mul_f32 v47, v232, v153 :: v_dual_mul_f32 v49, v194, v155
	s_delay_alu instid0(VALU_DEP_3) | instskip(NEXT) | instid1(VALU_DEP_3)
	v_dual_fmac_f32 v45, v231, v150 :: v_dual_add_f32 v9, v9, v43
	v_dual_fma_f32 v13, v230, v150, -v13 :: v_dual_add_f32 v11, v11, v23
	s_wait_loadcnt 0x4
	v_dual_mov_b32 v118, v165 :: v_dual_fma_f32 v15, v232, v152, -v15
	v_fmac_f32_e32 v47, v233, v152
	v_dual_add_f32 v9, v9, v45 :: v_dual_fmac_f32 v49, v195, v154
	v_add_f32_e32 v11, v11, v13
	v_dual_mul_f32 v249, v196, v157 :: v_dual_mul_f32 v251, v174, v159
	s_delay_alu instid0(VALU_DEP_3) | instskip(NEXT) | instid1(VALU_DEP_2)
	v_dual_fma_f32 v13, v194, v154, -v17 :: v_dual_add_f32 v9, v9, v47
	v_dual_add_f32 v11, v11, v15 :: v_dual_fmac_f32 v249, v197, v156
	v_fma_f32 v248, v196, v156, -v19
	v_pk_mul_f32 v[114:115], v[240:241], v[114:115] op_sel_hi:[1,0]
	s_delay_alu instid0(VALU_DEP_4)
	v_add_f32_e32 v123, v9, v49
	s_wait_loadcnt 0x3
	v_dual_add_f32 v122, v11, v13 :: v_dual_mov_b32 v124, v169
	v_pk_mul_f32 v[116:117], v[178:179], v[162:163] op_sel:[1,1] op_sel_hi:[0,1]
	v_dual_fmac_f32 v251, v175, v158 :: v_dual_fma_f32 v250, v174, v158, -v21
	v_pk_fma_f32 v[126:127], v[176:177], v[160:161], v[114:115] op_sel_hi:[1,0,1]
	s_delay_alu instid0(VALU_DEP_4)
	v_pk_add_f32 v[122:123], v[122:123], v[248:249]
	v_pk_fma_f32 v[114:115], v[176:177], v[160:161], v[114:115] neg_lo:[0,0,1] neg_hi:[0,0,1]
	v_pk_fma_f32 v[128:129], v[178:179], v[162:163], v[116:117] op_sel_hi:[1,0,1]
	v_pk_mul_f32 v[118:119], v[242:243], v[118:119] op_sel_hi:[1,0]
	v_mov_b32_e32 v115, v127
	v_pk_add_f32 v[122:123], v[122:123], v[250:251]
	v_pk_fma_f32 v[116:117], v[178:179], v[162:163], v[116:117] neg_lo:[0,0,1] neg_hi:[0,0,1]
	v_pk_mul_f32 v[120:121], v[182:183], v[166:167] op_sel:[1,1] op_sel_hi:[0,1]
	v_mov_b32_e32 v117, v129
	v_pk_fma_f32 v[128:129], v[180:181], v[164:165], v[118:119] op_sel_hi:[1,0,1]
	v_pk_add_f32 v[114:115], v[122:123], v[114:115]
	v_pk_fma_f32 v[118:119], v[180:181], v[164:165], v[118:119] neg_lo:[0,0,1] neg_hi:[0,0,1]
	v_pk_fma_f32 v[122:123], v[182:183], v[166:167], v[120:121] op_sel_hi:[1,0,1]
	v_pk_mul_f32 v[124:125], v[244:245], v[124:125] op_sel_hi:[1,0]
	v_mov_b32_e32 v119, v129
	v_pk_add_f32 v[114:115], v[114:115], v[116:117]
	v_pk_fma_f32 v[120:121], v[182:183], v[166:167], v[120:121] neg_lo:[0,0,1] neg_hi:[0,0,1]
	s_wait_loadcnt 0x2
	v_pk_mul_f32 v[126:127], v[186:187], v[170:171] op_sel:[1,1] op_sel_hi:[0,1]
	v_dual_mov_b32 v116, v173 :: v_dual_mov_b32 v121, v123
	v_pk_fma_f32 v[122:123], v[184:185], v[168:169], v[124:125] op_sel_hi:[1,0,1]
	v_pk_add_f32 v[114:115], v[114:115], v[118:119]
	v_pk_fma_f32 v[124:125], v[184:185], v[168:169], v[124:125] neg_lo:[0,0,1] neg_hi:[0,0,1]
	v_pk_fma_f32 v[118:119], v[186:187], v[170:171], v[126:127] op_sel_hi:[1,0,1]
	v_pk_mul_f32 v[116:117], v[246:247], v[116:117] op_sel_hi:[1,0]
	v_mov_b32_e32 v125, v123
	v_pk_add_f32 v[114:115], v[114:115], v[120:121]
	v_pk_fma_f32 v[120:121], v[186:187], v[170:171], v[126:127] neg_lo:[0,0,1] neg_hi:[0,0,1]
	v_mov_b32_e32 v121, v119
	v_pk_fma_f32 v[118:119], v[188:189], v[172:173], v[116:117] op_sel_hi:[1,0,1]
	s_wait_loadcnt_dscnt 0x100
	v_pk_mul_f32 v[122:123], v[238:239], v[234:235] op_sel:[1,1] op_sel_hi:[0,1]
	v_pk_add_f32 v[114:115], v[114:115], v[124:125]
	v_pk_fma_f32 v[116:117], v[188:189], v[172:173], v[116:117] neg_lo:[0,0,1] neg_hi:[0,0,1]
	v_mov_b32_e32 v117, v119
	s_delay_alu instid0(VALU_DEP_4) | instskip(NEXT) | instid1(VALU_DEP_4)
	v_pk_fma_f32 v[118:119], v[238:239], v[234:235], v[122:123] op_sel_hi:[1,0,1]
	v_pk_add_f32 v[114:115], v[114:115], v[120:121]
	v_pk_fma_f32 v[120:121], v[238:239], v[234:235], v[122:123] neg_lo:[0,0,1] neg_hi:[0,0,1]
	s_delay_alu instid0(VALU_DEP_3) | instskip(NEXT) | instid1(VALU_DEP_3)
	v_mov_b32_e32 v121, v119
	v_pk_add_f32 v[114:115], v[114:115], v[116:117]
	s_delay_alu instid0(VALU_DEP_1) | instskip(SKIP_1) | instid1(VALU_DEP_1)
	v_pk_add_f32 v[114:115], v[114:115], v[120:121]
	s_wait_loadcnt 0x0
	v_pk_add_f32 v[114:115], v[236:237], v[114:115] neg_lo:[0,1] neg_hi:[0,1]
	scratch_store_b64 off, v[114:115], off offset:192
	s_wait_xcnt 0x0
	v_cmpx_lt_u32_e32 23, v0
	s_cbranch_execz .LBB55_303
; %bb.302:
	scratch_load_b64 v[114:115], off, off offset:184
	v_mov_b64_e32 v[116:117], 0
	scratch_store_b64 off, v[116:117], off offset:184
	s_wait_loadcnt 0x0
	ds_store_b64 v1, v[114:115]
.LBB55_303:
	s_wait_xcnt 0x0
	s_or_b32 exec_lo, exec_lo, s0
	s_wait_storecnt_dscnt 0x0
	s_barrier_signal -1
	s_barrier_wait -1
	s_clause 0x10
	scratch_load_b128 v[114:117], off, off offset:192
	scratch_load_b128 v[118:121], off, off offset:208
	;; [unrolled: 1-line block ×16, first 2 shown]
	scratch_load_b64 v[242:243], off, off offset:184
	ds_load_b128 v[178:181], v7 offset:832
	ds_load_b128 v[182:185], v7 offset:848
	;; [unrolled: 1-line block ×16, first 2 shown]
	s_mov_b32 s0, exec_lo
	s_wait_dscnt 0xf
	v_dual_mov_b32 v244, v181 :: v_dual_mov_b32 v245, v180
	s_wait_dscnt 0xe
	v_dual_mov_b32 v246, v185 :: v_dual_mov_b32 v247, v184
	;; [unrolled: 2-line block ×4, first 2 shown]
	s_wait_loadcnt_dscnt 0x100b
	v_dual_mul_f32 v7, v194, v115 :: v_dual_mul_f32 v9, v196, v117
	v_dual_mul_f32 v51, v195, v115 :: v_dual_mul_f32 v53, v197, v117
	s_wait_loadcnt_dscnt 0xf0a
	v_dual_mul_f32 v11, v198, v119 :: v_dual_mul_f32 v13, v200, v121
	s_delay_alu instid0(VALU_DEP_3) | instskip(SKIP_3) | instid1(VALU_DEP_3)
	v_dual_fmac_f32 v7, v195, v114 :: v_dual_fmac_f32 v9, v197, v116
	s_wait_loadcnt_dscnt 0xd08
	v_dual_fma_f32 v51, v194, v114, -v51 :: v_dual_mul_f32 v63, v207, v127
	v_dual_mul_f32 v55, v199, v119 :: v_dual_mul_f32 v57, v201, v121
	v_dual_fma_f32 v53, v196, v116, -v53 :: v_dual_add_f32 v7, 0, v7
	s_delay_alu instid0(VALU_DEP_3) | instskip(SKIP_1) | instid1(VALU_DEP_3)
	v_dual_add_f32 v51, 0, v51 :: v_dual_mul_f32 v65, v209, v129
	v_dual_fmac_f32 v11, v199, v118 :: v_dual_fmac_f32 v13, v201, v120
	v_dual_fma_f32 v55, v198, v118, -v55 :: v_dual_add_f32 v7, v7, v9
	s_delay_alu instid0(VALU_DEP_3) | instskip(SKIP_2) | instid1(VALU_DEP_4)
	v_dual_add_f32 v9, v51, v53 :: v_dual_fma_f32 v53, v200, v120, -v57
	v_dual_mul_f32 v15, v202, v123 :: v_dual_mul_f32 v17, v204, v125
	v_dual_mul_f32 v59, v203, v123 :: v_dual_mul_f32 v61, v205, v125
	v_add_f32_e32 v7, v7, v11
	s_delay_alu instid0(VALU_DEP_3) | instskip(NEXT) | instid1(VALU_DEP_3)
	v_dual_add_f32 v9, v9, v55 :: v_dual_fmac_f32 v15, v203, v122
	v_fma_f32 v55, v202, v122, -v59
	v_dual_mul_f32 v19, v206, v127 :: v_dual_mul_f32 v21, v208, v129
	s_delay_alu instid0(VALU_DEP_4) | instskip(SKIP_2) | instid1(VALU_DEP_2)
	v_dual_add_f32 v7, v7, v13 :: v_dual_fmac_f32 v17, v205, v124
	s_wait_loadcnt_dscnt 0xb06
	v_dual_add_f32 v9, v9, v53 :: v_dual_mul_f32 v13, v215, v135
	v_dual_fma_f32 v53, v204, v124, -v61 :: v_dual_add_f32 v7, v7, v15
	v_mul_f32_e32 v15, v217, v137
	s_delay_alu instid0(VALU_DEP_3) | instskip(NEXT) | instid1(VALU_DEP_3)
	v_dual_add_f32 v9, v9, v55 :: v_dual_fmac_f32 v19, v207, v126
	v_dual_fma_f32 v55, v206, v126, -v63 :: v_dual_add_f32 v7, v7, v17
	v_fmac_f32_e32 v21, v209, v128
	s_wait_loadcnt_dscnt 0xa05
	s_delay_alu instid0(VALU_DEP_3) | instskip(SKIP_3) | instid1(VALU_DEP_3)
	v_dual_add_f32 v9, v9, v53 :: v_dual_mul_f32 v17, v219, v139
	v_dual_mul_f32 v23, v210, v131 :: v_dual_mul_f32 v25, v212, v133
	v_dual_mul_f32 v51, v211, v131 :: v_dual_mul_f32 v11, v213, v133
	v_dual_fma_f32 v53, v208, v128, -v65 :: v_dual_add_f32 v7, v7, v19
	v_dual_add_f32 v9, v9, v55 :: v_dual_fmac_f32 v23, v211, v130
	s_delay_alu instid0(VALU_DEP_3) | instskip(NEXT) | instid1(VALU_DEP_3)
	v_dual_mul_f32 v19, v221, v141 :: v_dual_fma_f32 v51, v210, v130, -v51
	v_dual_add_f32 v7, v7, v21 :: v_dual_fmac_f32 v25, v213, v132
	s_wait_loadcnt_dscnt 0x904
	s_delay_alu instid0(VALU_DEP_3) | instskip(SKIP_1) | instid1(VALU_DEP_3)
	v_dual_add_f32 v9, v9, v53 :: v_dual_mul_f32 v21, v223, v143
	v_dual_mul_f32 v27, v214, v135 :: v_dual_mul_f32 v29, v216, v137
	v_dual_fma_f32 v11, v212, v132, -v11 :: v_dual_add_f32 v7, v7, v23
	s_delay_alu instid0(VALU_DEP_2) | instskip(SKIP_1) | instid1(VALU_DEP_2)
	v_dual_add_f32 v9, v9, v51 :: v_dual_fmac_f32 v27, v215, v134
	v_dual_mul_f32 v23, v225, v145 :: v_dual_fma_f32 v13, v214, v134, -v13
	v_dual_add_f32 v7, v7, v25 :: v_dual_add_f32 v9, v9, v11
	v_dual_mul_f32 v31, v218, v139 :: v_dual_mul_f32 v33, v220, v141
	s_wait_loadcnt_dscnt 0x803
	v_dual_mul_f32 v11, v227, v147 :: v_dual_fmac_f32 v29, v217, v136
	s_delay_alu instid0(VALU_DEP_3) | instskip(NEXT) | instid1(VALU_DEP_3)
	v_dual_fma_f32 v15, v216, v136, -v15 :: v_dual_add_f32 v7, v7, v27
	v_dual_add_f32 v9, v9, v13 :: v_dual_fmac_f32 v31, v219, v138
	v_dual_mul_f32 v13, v229, v149 :: v_dual_fma_f32 v17, v218, v138, -v17
	s_delay_alu instid0(VALU_DEP_2) | instskip(SKIP_3) | instid1(VALU_DEP_3)
	v_dual_add_f32 v7, v7, v29 :: v_dual_add_f32 v9, v9, v15
	v_dual_mul_f32 v35, v222, v143 :: v_dual_mul_f32 v37, v224, v145
	s_wait_loadcnt_dscnt 0x702
	v_dual_mul_f32 v15, v231, v151 :: v_dual_fmac_f32 v33, v221, v140
	v_dual_fma_f32 v19, v220, v140, -v19 :: v_dual_add_f32 v7, v7, v31
	s_delay_alu instid0(VALU_DEP_3) | instskip(SKIP_1) | instid1(VALU_DEP_2)
	v_dual_add_f32 v9, v9, v17 :: v_dual_fmac_f32 v35, v223, v142
	v_dual_mul_f32 v17, v233, v153 :: v_dual_fma_f32 v21, v222, v142, -v21
	v_dual_add_f32 v7, v7, v33 :: v_dual_add_f32 v9, v9, v19
	v_dual_mul_f32 v39, v226, v147 :: v_dual_mul_f32 v41, v228, v149
	s_wait_loadcnt_dscnt 0x601
	v_dual_mul_f32 v19, v235, v155 :: v_dual_fmac_f32 v37, v225, v144
	s_delay_alu instid0(VALU_DEP_3) | instskip(NEXT) | instid1(VALU_DEP_3)
	v_dual_fma_f32 v23, v224, v144, -v23 :: v_dual_add_f32 v7, v7, v35
	v_dual_add_f32 v9, v9, v21 :: v_dual_fmac_f32 v39, v227, v146
	v_dual_mul_f32 v21, v237, v157 :: v_dual_fma_f32 v11, v226, v146, -v11
	s_delay_alu instid0(VALU_DEP_2) | instskip(SKIP_3) | instid1(VALU_DEP_3)
	v_dual_add_f32 v7, v7, v37 :: v_dual_add_f32 v9, v9, v23
	v_dual_mul_f32 v43, v230, v151 :: v_dual_mul_f32 v45, v232, v153
	s_wait_loadcnt_dscnt 0x500
	v_dual_mul_f32 v23, v239, v159 :: v_dual_fmac_f32 v41, v229, v148
	v_dual_fma_f32 v13, v228, v148, -v13 :: v_dual_add_f32 v7, v7, v39
	s_delay_alu instid0(VALU_DEP_3) | instskip(SKIP_1) | instid1(VALU_DEP_3)
	v_dual_add_f32 v9, v9, v11 :: v_dual_fmac_f32 v43, v231, v150
	v_dual_mul_f32 v11, v241, v161 :: v_dual_fma_f32 v15, v230, v150, -v15
	v_dual_add_f32 v7, v7, v41 :: v_dual_fmac_f32 v45, v233, v152
	s_delay_alu instid0(VALU_DEP_3) | instskip(SKIP_2) | instid1(VALU_DEP_3)
	v_dual_add_f32 v9, v9, v13 :: v_dual_fma_f32 v13, v232, v152, -v17
	v_dual_mul_f32 v47, v234, v155 :: v_dual_mul_f32 v49, v236, v157
	s_wait_loadcnt 0x4
	v_dual_add_f32 v7, v7, v43 :: v_dual_mov_b32 v116, v165
	s_delay_alu instid0(VALU_DEP_2) | instskip(NEXT) | instid1(VALU_DEP_2)
	v_dual_add_f32 v9, v9, v15 :: v_dual_fmac_f32 v47, v235, v154
	v_dual_fma_f32 v15, v234, v154, -v19 :: v_dual_add_f32 v7, v7, v45
	v_dual_mul_f32 v253, v238, v159 :: v_dual_mul_f32 v255, v240, v161
	s_delay_alu instid0(VALU_DEP_3) | instskip(NEXT) | instid1(VALU_DEP_3)
	v_dual_add_f32 v9, v9, v13 :: v_dual_fma_f32 v13, v236, v156, -v21
	v_dual_fmac_f32 v49, v237, v156 :: v_dual_add_f32 v7, v7, v47
	v_pk_mul_f32 v[114:115], v[178:179], v[162:163] op_sel:[1,1] op_sel_hi:[0,1]
	s_delay_alu instid0(VALU_DEP_3) | instskip(SKIP_3) | instid1(VALU_DEP_3)
	v_dual_add_f32 v9, v9, v15 :: v_dual_fmac_f32 v253, v239, v158
	s_wait_loadcnt 0x3
	v_dual_mov_b32 v120, v169 :: v_dual_fma_f32 v252, v238, v158, -v23
	v_dual_add_f32 v123, v7, v49 :: v_dual_fmac_f32 v255, v241, v160
	v_dual_add_f32 v122, v9, v13 :: v_dual_fma_f32 v254, v240, v160, -v11
	v_pk_fma_f32 v[124:125], v[178:179], v[162:163], v[114:115] op_sel_hi:[1,0,1]
	v_pk_mul_f32 v[116:117], v[244:245], v[116:117] op_sel_hi:[1,0]
	v_pk_fma_f32 v[114:115], v[178:179], v[162:163], v[114:115] neg_lo:[0,0,1] neg_hi:[0,0,1]
	s_delay_alu instid0(VALU_DEP_4)
	v_pk_add_f32 v[122:123], v[122:123], v[252:253]
	v_pk_mul_f32 v[118:119], v[182:183], v[166:167] op_sel:[1,1] op_sel_hi:[0,1]
	v_mov_b32_e32 v115, v125
	v_pk_fma_f32 v[124:125], v[180:181], v[164:165], v[116:117] op_sel_hi:[1,0,1]
	v_pk_fma_f32 v[116:117], v[180:181], v[164:165], v[116:117] neg_lo:[0,0,1] neg_hi:[0,0,1]
	v_pk_add_f32 v[122:123], v[122:123], v[254:255]
	v_pk_fma_f32 v[128:129], v[182:183], v[166:167], v[118:119] op_sel_hi:[1,0,1]
	v_pk_mul_f32 v[120:121], v[246:247], v[120:121] op_sel_hi:[1,0]
	v_mov_b32_e32 v117, v125
	s_wait_loadcnt 0x2
	v_pk_mul_f32 v[126:127], v[186:187], v[170:171] op_sel:[1,1] op_sel_hi:[0,1]
	v_pk_add_f32 v[114:115], v[122:123], v[114:115]
	v_mov_b32_e32 v122, v173
	v_pk_fma_f32 v[118:119], v[182:183], v[166:167], v[118:119] neg_lo:[0,0,1] neg_hi:[0,0,1]
	v_mov_b32_e32 v119, v129
	v_pk_fma_f32 v[124:125], v[184:185], v[168:169], v[120:121] op_sel_hi:[1,0,1]
	v_pk_add_f32 v[114:115], v[114:115], v[116:117]
	v_pk_fma_f32 v[116:117], v[186:187], v[170:171], v[126:127] op_sel_hi:[1,0,1]
	v_pk_mul_f32 v[122:123], v[248:249], v[122:123] op_sel_hi:[1,0]
	v_pk_fma_f32 v[120:121], v[184:185], v[168:169], v[120:121] neg_lo:[0,0,1] neg_hi:[0,0,1]
	v_mov_b32_e32 v121, v125
	v_pk_add_f32 v[114:115], v[114:115], v[118:119]
	v_pk_fma_f32 v[124:125], v[186:187], v[170:171], v[126:127] neg_lo:[0,0,1] neg_hi:[0,0,1]
	v_mov_b32_e32 v125, v117
	v_pk_fma_f32 v[116:117], v[188:189], v[172:173], v[122:123] op_sel_hi:[1,0,1]
	s_wait_loadcnt 0x1
	v_pk_mul_f32 v[118:119], v[190:191], v[174:175] op_sel:[1,1] op_sel_hi:[0,1]
	v_pk_add_f32 v[114:115], v[114:115], v[120:121]
	v_mov_b32_e32 v116, v177
	v_pk_fma_f32 v[122:123], v[188:189], v[172:173], v[122:123] neg_lo:[0,0,1] neg_hi:[0,0,1]
	v_mov_b32_e32 v123, v117
	v_pk_fma_f32 v[120:121], v[190:191], v[174:175], v[118:119] op_sel_hi:[1,0,1]
	v_pk_add_f32 v[114:115], v[114:115], v[124:125]
	v_pk_mul_f32 v[116:117], v[250:251], v[116:117] op_sel_hi:[1,0]
	v_pk_fma_f32 v[118:119], v[190:191], v[174:175], v[118:119] neg_lo:[0,0,1] neg_hi:[0,0,1]
	s_delay_alu instid0(VALU_DEP_4) | instskip(NEXT) | instid1(VALU_DEP_4)
	v_mov_b32_e32 v119, v121
	v_pk_add_f32 v[114:115], v[114:115], v[122:123]
	s_delay_alu instid0(VALU_DEP_4) | instskip(SKIP_1) | instid1(VALU_DEP_2)
	v_pk_fma_f32 v[120:121], v[192:193], v[176:177], v[116:117] op_sel_hi:[1,0,1]
	v_pk_fma_f32 v[116:117], v[192:193], v[176:177], v[116:117] neg_lo:[0,0,1] neg_hi:[0,0,1]
	v_mov_b32_e32 v117, v121
	s_delay_alu instid0(VALU_DEP_4) | instskip(NEXT) | instid1(VALU_DEP_1)
	v_pk_add_f32 v[114:115], v[114:115], v[118:119]
	v_pk_add_f32 v[114:115], v[114:115], v[116:117]
	s_wait_loadcnt 0x0
	s_delay_alu instid0(VALU_DEP_1)
	v_pk_add_f32 v[114:115], v[242:243], v[114:115] neg_lo:[0,1] neg_hi:[0,1]
	scratch_store_b64 off, v[114:115], off offset:184
	s_wait_xcnt 0x0
	v_cmpx_lt_u32_e32 22, v0
	s_cbranch_execz .LBB55_305
; %bb.304:
	scratch_load_b64 v[114:115], off, off offset:176
	v_mov_b64_e32 v[116:117], 0
	scratch_store_b64 off, v[116:117], off offset:176
	s_wait_loadcnt 0x0
	ds_store_b64 v1, v[114:115]
.LBB55_305:
	s_wait_xcnt 0x0
	s_or_b32 exec_lo, exec_lo, s0
	s_wait_storecnt_dscnt 0x0
	s_barrier_signal -1
	s_barrier_wait -1
	s_clause 0x11
	scratch_load_b128 v[114:117], off, off offset:184
	scratch_load_b128 v[118:121], off, off offset:200
	scratch_load_b128 v[122:125], off, off offset:216
	scratch_load_b128 v[126:129], off, off offset:232
	scratch_load_b128 v[130:133], off, off offset:248
	scratch_load_b128 v[134:137], off, off offset:264
	scratch_load_b128 v[138:141], off, off offset:280
	scratch_load_b128 v[142:145], off, off offset:296
	scratch_load_b128 v[146:149], off, off offset:312
	scratch_load_b128 v[150:153], off, off offset:328
	scratch_load_b128 v[154:157], off, off offset:344
	scratch_load_b128 v[158:161], off, off offset:360
	scratch_load_b128 v[162:165], off, off offset:376
	scratch_load_b128 v[166:169], off, off offset:392
	scratch_load_b128 v[170:173], off, off offset:408
	scratch_load_b128 v[174:177], off, off offset:424
	scratch_load_b64 v[242:243], off, off offset:440
	scratch_load_b64 v[244:245], off, off offset:176
	v_mov_b32_e32 v7, 0
	ds_load_2addr_b64 v[178:181], v7 offset0:103 offset1:104
	ds_load_2addr_b64 v[182:185], v7 offset0:105 offset1:106
	;; [unrolled: 1-line block ×16, first 2 shown]
	ds_load_b64 v[246:247], v7 offset:888
	s_mov_b32 s0, exec_lo
	s_wait_dscnt 0x10
	v_dual_mov_b32 v248, v181 :: v_dual_mov_b32 v249, v180
	s_wait_dscnt 0xd
	v_dual_mov_b32 v250, v185 :: v_dual_mov_b32 v255, v192
	v_dual_mov_b32 v251, v184 :: v_dual_mov_b32 v252, v189
	;; [unrolled: 1-line block ×3, first 2 shown]
	s_wait_loadcnt_dscnt 0x110c
	v_dual_mul_f32 v9, v194, v115 :: v_dual_mul_f32 v55, v195, v115
	v_dual_mul_f32 v57, v197, v117 :: v_dual_mul_f32 v11, v196, v117
	s_wait_loadcnt_dscnt 0x100b
	v_mul_f32_e32 v13, v198, v119
	s_wait_loadcnt_dscnt 0xe09
	v_dual_mul_f32 v67, v207, v127 :: v_dual_fma_f32 v55, v194, v114, -v55
	v_dual_fmac_f32 v9, v195, v114 :: v_dual_mul_f32 v69, v209, v129
	v_dual_mul_f32 v59, v199, v119 :: v_dual_mul_f32 v61, v201, v121
	v_dual_fmac_f32 v11, v197, v116 :: v_dual_fma_f32 v57, v196, v116, -v57
	s_delay_alu instid0(VALU_DEP_3) | instskip(SKIP_3) | instid1(VALU_DEP_3)
	v_dual_add_f32 v9, 0, v9 :: v_dual_add_f32 v55, 0, v55
	v_dual_mul_f32 v15, v200, v121 :: v_dual_mul_f32 v17, v202, v123
	s_wait_loadcnt_dscnt 0xd08
	v_dual_mul_f32 v71, v211, v131 :: v_dual_fma_f32 v59, v198, v118, -v59
	v_dual_fmac_f32 v13, v199, v118 :: v_dual_add_f32 v9, v9, v11
	s_delay_alu instid0(VALU_DEP_3) | instskip(SKIP_2) | instid1(VALU_DEP_3)
	v_dual_add_f32 v11, v55, v57 :: v_dual_fmac_f32 v15, v201, v120
	v_dual_mul_f32 v63, v203, v123 :: v_dual_mul_f32 v65, v205, v125
	v_dual_mul_f32 v55, v213, v133 :: v_dual_fma_f32 v57, v200, v120, -v61
	v_dual_add_f32 v9, v9, v13 :: v_dual_add_f32 v11, v11, v59
	v_dual_mul_f32 v19, v204, v125 :: v_dual_mul_f32 v21, v206, v127
	s_wait_loadcnt_dscnt 0xc07
	v_dual_mul_f32 v13, v215, v135 :: v_dual_fma_f32 v59, v202, v122, -v63
	s_delay_alu instid0(VALU_DEP_3) | instskip(NEXT) | instid1(VALU_DEP_3)
	v_dual_fmac_f32 v17, v203, v122 :: v_dual_add_f32 v9, v9, v15
	v_dual_add_f32 v11, v11, v57 :: v_dual_fmac_f32 v19, v205, v124
	v_dual_mul_f32 v15, v217, v137 :: v_dual_fma_f32 v57, v204, v124, -v65
	s_delay_alu instid0(VALU_DEP_2) | instskip(SKIP_3) | instid1(VALU_DEP_3)
	v_dual_add_f32 v9, v9, v17 :: v_dual_add_f32 v11, v11, v59
	v_dual_mul_f32 v23, v208, v129 :: v_dual_mul_f32 v25, v210, v131
	s_wait_loadcnt_dscnt 0xb06
	v_dual_mul_f32 v17, v219, v139 :: v_dual_fma_f32 v59, v206, v126, -v67
	v_dual_fmac_f32 v21, v207, v126 :: v_dual_add_f32 v9, v9, v19
	s_delay_alu instid0(VALU_DEP_3) | instskip(SKIP_1) | instid1(VALU_DEP_2)
	v_dual_add_f32 v11, v11, v57 :: v_dual_fmac_f32 v23, v209, v128
	v_dual_mul_f32 v19, v221, v141 :: v_dual_fma_f32 v57, v208, v128, -v69
	v_dual_add_f32 v9, v9, v21 :: v_dual_add_f32 v11, v11, v59
	v_dual_mul_f32 v27, v212, v133 :: v_dual_mul_f32 v29, v214, v135
	s_wait_loadcnt_dscnt 0xa05
	v_dual_mul_f32 v21, v223, v143 :: v_dual_fma_f32 v59, v210, v130, -v71
	s_delay_alu instid0(VALU_DEP_3) | instskip(NEXT) | instid1(VALU_DEP_3)
	v_dual_fmac_f32 v25, v211, v130 :: v_dual_add_f32 v9, v9, v23
	v_dual_add_f32 v11, v11, v57 :: v_dual_fmac_f32 v27, v213, v132
	v_dual_mul_f32 v23, v225, v145 :: v_dual_fma_f32 v55, v212, v132, -v55
	s_delay_alu instid0(VALU_DEP_2) | instskip(SKIP_3) | instid1(VALU_DEP_3)
	v_dual_add_f32 v9, v9, v25 :: v_dual_add_f32 v11, v11, v59
	v_dual_mul_f32 v31, v216, v137 :: v_dual_mul_f32 v33, v218, v139
	s_wait_loadcnt_dscnt 0x904
	v_dual_mul_f32 v25, v227, v147 :: v_dual_fma_f32 v13, v214, v134, -v13
	v_dual_fmac_f32 v29, v215, v134 :: v_dual_add_f32 v9, v9, v27
	v_dual_add_f32 v11, v11, v55 :: v_dual_mul_f32 v27, v229, v149
	v_fmac_f32_e32 v31, v217, v136
	s_delay_alu instid0(VALU_DEP_3) | instskip(NEXT) | instid1(VALU_DEP_3)
	v_dual_fma_f32 v15, v216, v136, -v15 :: v_dual_add_f32 v9, v9, v29
	v_add_f32_e32 v11, v11, v13
	v_dual_mul_f32 v35, v220, v141 :: v_dual_mul_f32 v37, v222, v143
	s_wait_loadcnt_dscnt 0x803
	v_dual_mul_f32 v13, v231, v151 :: v_dual_fma_f32 v17, v218, v138, -v17
	v_dual_fmac_f32 v33, v219, v138 :: v_dual_add_f32 v9, v9, v31
	v_dual_add_f32 v11, v11, v15 :: v_dual_mul_f32 v15, v233, v153
	v_fmac_f32_e32 v35, v221, v140
	s_delay_alu instid0(VALU_DEP_3) | instskip(NEXT) | instid1(VALU_DEP_3)
	v_dual_fma_f32 v19, v220, v140, -v19 :: v_dual_add_f32 v9, v9, v33
	v_add_f32_e32 v11, v11, v17
	;; [unrolled: 9-line block ×4, first 2 shown]
	v_dual_mul_f32 v47, v232, v153 :: v_dual_mul_f32 v49, v234, v155
	s_wait_loadcnt 0x5
	v_dual_mul_f32 v25, v179, v163 :: v_dual_fma_f32 v13, v230, v150, -v13
	v_dual_fmac_f32 v45, v231, v150 :: v_dual_add_f32 v9, v9, v43
	v_dual_add_f32 v11, v11, v27 :: v_dual_mov_b32 v114, v165
	v_fmac_f32_e32 v47, v233, v152
	s_delay_alu instid0(VALU_DEP_3) | instskip(NEXT) | instid1(VALU_DEP_3)
	v_dual_fma_f32 v15, v232, v152, -v15 :: v_dual_add_f32 v9, v9, v45
	v_add_f32_e32 v11, v11, v13
	v_dual_mul_f32 v51, v236, v157 :: v_dual_mul_f32 v53, v238, v159
	s_delay_alu instid0(VALU_DEP_3) | instskip(NEXT) | instid1(VALU_DEP_3)
	v_dual_fmac_f32 v49, v235, v154 :: v_dual_add_f32 v9, v9, v47
	v_dual_fma_f32 v13, v234, v154, -v17 :: v_dual_add_f32 v11, v11, v15
	s_wait_loadcnt 0x4
	v_dual_mov_b32 v118, v169 :: v_dual_fma_f32 v15, v236, v156, -v19
	v_fmac_f32_e32 v51, v237, v156
	v_dual_add_f32 v9, v9, v49 :: v_dual_fmac_f32 v53, v239, v158
	v_add_f32_e32 v11, v11, v13
	s_set_vgpr_msb 64                       ;  msbs: dst=1 src0=0 src1=0 src2=0
	v_dual_mul_f32 v1 /*v257*/, v240, v161 :: v_dual_mul_f32 v3 /*v259*/, v178, v163
	s_set_vgpr_msb 0                        ;  msbs: dst=0 src0=0 src1=0 src2=0
	v_dual_fma_f32 v13, v238, v158, -v21 :: v_dual_add_f32 v9, v9, v51
	v_add_f32_e32 v11, v11, v15
	s_set_vgpr_msb 64                       ;  msbs: dst=1 src0=0 src1=0 src2=0
	v_dual_fmac_f32 v1 /*v257*/, v241, v160 :: v_dual_fmac_f32 v3 /*v259*/, v179, v162
	v_dual_fma_f32 v0 /*v256*/, v240, v160, -v23 :: v_dual_fma_f32 v2 /*v258*/, v178, v162, -v25
	s_set_vgpr_msb 0                        ;  msbs: dst=0 src0=0 src1=0 src2=0
	v_pk_mul_f32 v[114:115], v[248:249], v[114:115] op_sel_hi:[1,0]
	v_add_f32_e32 v123, v9, v53
	s_wait_loadcnt 0x3
	v_dual_add_f32 v122, v11, v13 :: v_dual_mov_b32 v124, v173
	v_pk_mul_f32 v[116:117], v[182:183], v[166:167] op_sel:[1,1] op_sel_hi:[0,1]
	v_pk_fma_f32 v[126:127], v[180:181], v[164:165], v[114:115] op_sel_hi:[1,0,1]
	v_pk_fma_f32 v[114:115], v[180:181], v[164:165], v[114:115] neg_lo:[0,0,1] neg_hi:[0,0,1]
	s_set_vgpr_msb 4                        ;  msbs: dst=0 src0=0 src1=1 src2=0
	v_pk_add_f32 v[122:123], v[122:123], v[0:1] /*v[256:257]*/
	s_set_vgpr_msb 0                        ;  msbs: dst=0 src0=0 src1=0 src2=0
	v_pk_mul_f32 v[118:119], v[250:251], v[118:119] op_sel_hi:[1,0]
	v_pk_fma_f32 v[128:129], v[182:183], v[166:167], v[116:117] op_sel_hi:[1,0,1]
	v_mov_b32_e32 v115, v127
	v_pk_fma_f32 v[116:117], v[182:183], v[166:167], v[116:117] neg_lo:[0,0,1] neg_hi:[0,0,1]
	s_set_vgpr_msb 4                        ;  msbs: dst=0 src0=0 src1=1 src2=0
	v_pk_add_f32 v[122:123], v[122:123], v[2:3] /*v[258:259]*/
	s_set_vgpr_msb 0                        ;  msbs: dst=0 src0=0 src1=0 src2=0
	v_pk_mul_f32 v[120:121], v[186:187], v[170:171] op_sel:[1,1] op_sel_hi:[0,1]
	v_mov_b32_e32 v117, v129
	v_pk_fma_f32 v[128:129], v[184:185], v[168:169], v[118:119] op_sel_hi:[1,0,1]
	v_pk_fma_f32 v[118:119], v[184:185], v[168:169], v[118:119] neg_lo:[0,0,1] neg_hi:[0,0,1]
	v_pk_add_f32 v[114:115], v[122:123], v[114:115]
	v_pk_fma_f32 v[122:123], v[186:187], v[170:171], v[120:121] op_sel_hi:[1,0,1]
	v_pk_mul_f32 v[124:125], v[252:253], v[124:125] op_sel_hi:[1,0]
	v_mov_b32_e32 v119, v129
	v_pk_fma_f32 v[120:121], v[186:187], v[170:171], v[120:121] neg_lo:[0,0,1] neg_hi:[0,0,1]
	v_pk_add_f32 v[114:115], v[114:115], v[116:117]
	s_wait_loadcnt 0x2
	v_pk_mul_f32 v[126:127], v[190:191], v[174:175] op_sel:[1,1] op_sel_hi:[0,1]
	v_dual_mov_b32 v116, v177 :: v_dual_mov_b32 v121, v123
	v_pk_fma_f32 v[122:123], v[188:189], v[172:173], v[124:125] op_sel_hi:[1,0,1]
	v_pk_add_f32 v[114:115], v[114:115], v[118:119]
	v_pk_fma_f32 v[124:125], v[188:189], v[172:173], v[124:125] neg_lo:[0,0,1] neg_hi:[0,0,1]
	v_pk_fma_f32 v[118:119], v[190:191], v[174:175], v[126:127] op_sel_hi:[1,0,1]
	v_pk_mul_f32 v[116:117], v[254:255], v[116:117] op_sel_hi:[1,0]
	v_mov_b32_e32 v125, v123
	v_pk_add_f32 v[114:115], v[114:115], v[120:121]
	v_pk_fma_f32 v[120:121], v[190:191], v[174:175], v[126:127] neg_lo:[0,0,1] neg_hi:[0,0,1]
	v_mov_b32_e32 v121, v119
	v_pk_fma_f32 v[118:119], v[192:193], v[176:177], v[116:117] op_sel_hi:[1,0,1]
	s_wait_loadcnt_dscnt 0x100
	v_pk_mul_f32 v[122:123], v[246:247], v[242:243] op_sel:[1,1] op_sel_hi:[0,1]
	v_pk_add_f32 v[114:115], v[114:115], v[124:125]
	v_pk_fma_f32 v[116:117], v[192:193], v[176:177], v[116:117] neg_lo:[0,0,1] neg_hi:[0,0,1]
	v_mov_b32_e32 v117, v119
	s_delay_alu instid0(VALU_DEP_4) | instskip(NEXT) | instid1(VALU_DEP_4)
	v_pk_fma_f32 v[118:119], v[246:247], v[242:243], v[122:123] op_sel_hi:[1,0,1]
	v_pk_add_f32 v[114:115], v[114:115], v[120:121]
	v_pk_fma_f32 v[120:121], v[246:247], v[242:243], v[122:123] neg_lo:[0,0,1] neg_hi:[0,0,1]
	s_delay_alu instid0(VALU_DEP_3) | instskip(NEXT) | instid1(VALU_DEP_3)
	v_mov_b32_e32 v121, v119
	v_pk_add_f32 v[114:115], v[114:115], v[116:117]
	s_delay_alu instid0(VALU_DEP_1) | instskip(SKIP_1) | instid1(VALU_DEP_1)
	v_pk_add_f32 v[114:115], v[114:115], v[120:121]
	s_wait_loadcnt 0x0
	v_pk_add_f32 v[114:115], v[244:245], v[114:115] neg_lo:[0,1] neg_hi:[0,1]
	scratch_store_b64 off, v[114:115], off offset:176
	s_wait_xcnt 0x0
	v_cmpx_lt_u32_e32 21, v0
	s_cbranch_execz .LBB55_307
; %bb.306:
	scratch_load_b64 v[114:115], off, off offset:168
	v_mov_b64_e32 v[116:117], 0
	scratch_store_b64 off, v[116:117], off offset:168
	s_wait_loadcnt 0x0
	ds_store_b64 v1, v[114:115]
.LBB55_307:
	s_wait_xcnt 0x0
	s_or_b32 exec_lo, exec_lo, s0
	s_wait_storecnt_dscnt 0x0
	s_barrier_signal -1
	s_barrier_wait -1
	s_clause 0x11
	scratch_load_b128 v[114:117], off, off offset:176
	scratch_load_b128 v[118:121], off, off offset:192
	;; [unrolled: 1-line block ×17, first 2 shown]
	scratch_load_b64 v[250:251], off, off offset:168
	ds_load_b128 v[182:185], v7 offset:832
	ds_load_b128 v[186:189], v7 offset:848
	;; [unrolled: 1-line block ×17, first 2 shown]
	s_mov_b32 s0, exec_lo
	s_wait_dscnt 0x10
	v_dual_mov_b32 v252, v185 :: v_dual_mov_b32 v253, v184
	s_wait_dscnt 0xf
	v_dual_mov_b32 v254, v189 :: v_dual_mov_b32 v255, v188
	s_wait_dscnt 0xe
	s_set_vgpr_msb 64                       ;  msbs: dst=1 src0=0 src1=0 src2=0
	v_dual_mov_b32 v0 /*v256*/, v193 :: v_dual_mov_b32 v1 /*v257*/, v192
	s_wait_dscnt 0xd
	v_dual_mov_b32 v2 /*v258*/, v197 :: v_dual_mov_b32 v3 /*v259*/, v196
	s_wait_loadcnt_dscnt 0x110b
	s_set_vgpr_msb 0                        ;  msbs: dst=0 src0=0 src1=0 src2=0
	v_dual_mul_f32 v7, v202, v115 :: v_dual_mul_f32 v9, v204, v117
	v_dual_mul_f32 v55, v203, v115 :: v_dual_mul_f32 v57, v205, v117
	s_wait_loadcnt_dscnt 0x100a
	v_dual_mul_f32 v11, v206, v119 :: v_dual_mul_f32 v13, v208, v121
	s_delay_alu instid0(VALU_DEP_3) | instskip(SKIP_3) | instid1(VALU_DEP_3)
	v_dual_fmac_f32 v7, v203, v114 :: v_dual_fmac_f32 v9, v205, v116
	s_wait_loadcnt_dscnt 0xe08
	v_dual_fma_f32 v55, v202, v114, -v55 :: v_dual_mul_f32 v67, v215, v127
	v_dual_mul_f32 v59, v207, v119 :: v_dual_mul_f32 v61, v209, v121
	v_dual_fma_f32 v57, v204, v116, -v57 :: v_dual_add_f32 v7, 0, v7
	s_delay_alu instid0(VALU_DEP_3) | instskip(SKIP_1) | instid1(VALU_DEP_3)
	v_dual_add_f32 v55, 0, v55 :: v_dual_mul_f32 v69, v217, v129
	v_dual_fmac_f32 v11, v207, v118 :: v_dual_fmac_f32 v13, v209, v120
	v_dual_fma_f32 v59, v206, v118, -v59 :: v_dual_add_f32 v7, v7, v9
	s_delay_alu instid0(VALU_DEP_3) | instskip(SKIP_2) | instid1(VALU_DEP_4)
	v_dual_add_f32 v9, v55, v57 :: v_dual_fma_f32 v57, v208, v120, -v61
	v_dual_mul_f32 v15, v210, v123 :: v_dual_mul_f32 v17, v212, v125
	v_dual_mul_f32 v63, v211, v123 :: v_dual_mul_f32 v65, v213, v125
	v_add_f32_e32 v7, v7, v11
	s_delay_alu instid0(VALU_DEP_3) | instskip(NEXT) | instid1(VALU_DEP_3)
	v_dual_add_f32 v9, v9, v59 :: v_dual_fmac_f32 v15, v211, v122
	v_fma_f32 v59, v210, v122, -v63
	v_dual_mul_f32 v19, v214, v127 :: v_dual_mul_f32 v21, v216, v129
	s_delay_alu instid0(VALU_DEP_4) | instskip(SKIP_2) | instid1(VALU_DEP_2)
	v_dual_add_f32 v7, v7, v13 :: v_dual_fmac_f32 v17, v213, v124
	s_wait_loadcnt_dscnt 0xc06
	v_dual_add_f32 v9, v9, v57 :: v_dual_mul_f32 v13, v223, v135
	v_dual_fma_f32 v57, v212, v124, -v65 :: v_dual_add_f32 v7, v7, v15
	v_mul_f32_e32 v15, v225, v137
	s_delay_alu instid0(VALU_DEP_3) | instskip(NEXT) | instid1(VALU_DEP_3)
	v_dual_add_f32 v9, v9, v59 :: v_dual_fmac_f32 v19, v215, v126
	v_dual_fma_f32 v59, v214, v126, -v67 :: v_dual_add_f32 v7, v7, v17
	v_fmac_f32_e32 v21, v217, v128
	s_wait_loadcnt_dscnt 0xb05
	s_delay_alu instid0(VALU_DEP_3) | instskip(SKIP_3) | instid1(VALU_DEP_3)
	v_dual_add_f32 v9, v9, v57 :: v_dual_mul_f32 v17, v227, v139
	v_dual_mul_f32 v23, v218, v131 :: v_dual_mul_f32 v25, v220, v133
	v_dual_mul_f32 v55, v219, v131 :: v_dual_mul_f32 v11, v221, v133
	v_dual_fma_f32 v57, v216, v128, -v69 :: v_dual_add_f32 v7, v7, v19
	v_dual_add_f32 v9, v9, v59 :: v_dual_fmac_f32 v23, v219, v130
	s_delay_alu instid0(VALU_DEP_3) | instskip(NEXT) | instid1(VALU_DEP_3)
	v_dual_mul_f32 v19, v229, v141 :: v_dual_fma_f32 v55, v218, v130, -v55
	v_dual_add_f32 v7, v7, v21 :: v_dual_fmac_f32 v25, v221, v132
	s_wait_loadcnt_dscnt 0xa04
	s_delay_alu instid0(VALU_DEP_3) | instskip(SKIP_1) | instid1(VALU_DEP_3)
	v_dual_add_f32 v9, v9, v57 :: v_dual_mul_f32 v21, v231, v143
	v_dual_mul_f32 v27, v222, v135 :: v_dual_mul_f32 v29, v224, v137
	v_dual_fma_f32 v11, v220, v132, -v11 :: v_dual_add_f32 v7, v7, v23
	s_delay_alu instid0(VALU_DEP_2) | instskip(SKIP_1) | instid1(VALU_DEP_2)
	v_dual_add_f32 v9, v9, v55 :: v_dual_fmac_f32 v27, v223, v134
	v_dual_mul_f32 v23, v233, v145 :: v_dual_fma_f32 v13, v222, v134, -v13
	v_dual_add_f32 v7, v7, v25 :: v_dual_add_f32 v9, v9, v11
	v_dual_mul_f32 v31, v226, v139 :: v_dual_mul_f32 v33, v228, v141
	s_wait_loadcnt_dscnt 0x903
	v_dual_mul_f32 v11, v235, v147 :: v_dual_fmac_f32 v29, v225, v136
	s_delay_alu instid0(VALU_DEP_3) | instskip(NEXT) | instid1(VALU_DEP_3)
	v_dual_fma_f32 v15, v224, v136, -v15 :: v_dual_add_f32 v7, v7, v27
	v_dual_add_f32 v9, v9, v13 :: v_dual_fmac_f32 v31, v227, v138
	v_dual_mul_f32 v13, v237, v149 :: v_dual_fma_f32 v17, v226, v138, -v17
	s_delay_alu instid0(VALU_DEP_2) | instskip(SKIP_3) | instid1(VALU_DEP_3)
	v_dual_add_f32 v7, v7, v29 :: v_dual_add_f32 v9, v9, v15
	v_dual_mul_f32 v35, v230, v143 :: v_dual_mul_f32 v37, v232, v145
	s_wait_loadcnt_dscnt 0x802
	v_dual_mul_f32 v15, v239, v151 :: v_dual_fmac_f32 v33, v229, v140
	v_dual_fma_f32 v19, v228, v140, -v19 :: v_dual_add_f32 v7, v7, v31
	s_delay_alu instid0(VALU_DEP_3) | instskip(SKIP_1) | instid1(VALU_DEP_2)
	v_dual_add_f32 v9, v9, v17 :: v_dual_fmac_f32 v35, v231, v142
	v_dual_mul_f32 v17, v241, v153 :: v_dual_fma_f32 v21, v230, v142, -v21
	v_dual_add_f32 v7, v7, v33 :: v_dual_add_f32 v9, v9, v19
	v_dual_mul_f32 v39, v234, v147 :: v_dual_mul_f32 v41, v236, v149
	s_wait_loadcnt_dscnt 0x701
	v_dual_mul_f32 v19, v243, v155 :: v_dual_fmac_f32 v37, v233, v144
	s_delay_alu instid0(VALU_DEP_3) | instskip(NEXT) | instid1(VALU_DEP_3)
	v_dual_fma_f32 v23, v232, v144, -v23 :: v_dual_add_f32 v7, v7, v35
	v_dual_add_f32 v9, v9, v21 :: v_dual_fmac_f32 v39, v235, v146
	v_dual_mul_f32 v21, v245, v157 :: v_dual_fma_f32 v11, v234, v146, -v11
	s_delay_alu instid0(VALU_DEP_2) | instskip(SKIP_3) | instid1(VALU_DEP_3)
	v_dual_add_f32 v7, v7, v37 :: v_dual_add_f32 v9, v9, v23
	v_dual_mul_f32 v43, v238, v151 :: v_dual_mul_f32 v45, v240, v153
	s_wait_loadcnt_dscnt 0x600
	v_dual_mul_f32 v23, v247, v159 :: v_dual_fmac_f32 v41, v237, v148
	v_dual_fma_f32 v13, v236, v148, -v13 :: v_dual_add_f32 v7, v7, v39
	s_delay_alu instid0(VALU_DEP_3) | instskip(SKIP_1) | instid1(VALU_DEP_3)
	v_dual_add_f32 v9, v9, v11 :: v_dual_fmac_f32 v43, v239, v150
	v_dual_mul_f32 v11, v249, v161 :: v_dual_fma_f32 v15, v238, v150, -v15
	v_dual_add_f32 v7, v7, v41 :: v_dual_fmac_f32 v45, v241, v152
	s_wait_loadcnt 0x5
	s_delay_alu instid0(VALU_DEP_3) | instskip(SKIP_1) | instid1(VALU_DEP_3)
	v_dual_add_f32 v9, v9, v13 :: v_dual_mul_f32 v13, v199, v163
	v_dual_mul_f32 v47, v242, v155 :: v_dual_mul_f32 v49, v244, v157
	v_dual_fma_f32 v17, v240, v152, -v17 :: v_dual_add_f32 v7, v7, v43
	s_delay_alu instid0(VALU_DEP_2) | instskip(SKIP_1) | instid1(VALU_DEP_3)
	v_dual_add_f32 v9, v9, v15 :: v_dual_fmac_f32 v47, v243, v154
	v_dual_mul_f32 v15, v201, v165 :: v_dual_fma_f32 v19, v242, v154, -v19
	v_dual_add_f32 v7, v7, v45 :: v_dual_fmac_f32 v49, v245, v156
	s_delay_alu instid0(VALU_DEP_3) | instskip(SKIP_2) | instid1(VALU_DEP_3)
	v_dual_add_f32 v9, v9, v17 :: v_dual_fma_f32 v17, v244, v156, -v21
	v_dual_mul_f32 v51, v246, v159 :: v_dual_mul_f32 v53, v248, v161
	s_wait_loadcnt 0x4
	v_dual_add_f32 v7, v7, v47 :: v_dual_mov_b32 v116, v169
	s_delay_alu instid0(VALU_DEP_2) | instskip(NEXT) | instid1(VALU_DEP_2)
	v_dual_add_f32 v9, v9, v19 :: v_dual_fmac_f32 v51, v247, v158
	v_dual_fma_f32 v19, v246, v158, -v23 :: v_dual_add_f32 v7, v7, v49
	s_set_vgpr_msb 64                       ;  msbs: dst=1 src0=0 src1=0 src2=0
	v_dual_mul_f32 v5 /*v261*/, v198, v163 :: v_dual_mul_f32 v7 /*v263*/, v200, v165
	s_set_vgpr_msb 0                        ;  msbs: dst=0 src0=0 src1=0 src2=0
	v_dual_add_f32 v9, v9, v17 :: v_dual_fma_f32 v11, v248, v160, -v11
	v_dual_fmac_f32 v53, v249, v160 :: v_dual_add_f32 v7, v7, v51
	v_pk_mul_f32 v[114:115], v[182:183], v[166:167] op_sel:[1,1] op_sel_hi:[0,1]
	s_delay_alu instid0(VALU_DEP_3)
	v_add_f32_e32 v9, v9, v19
	s_set_vgpr_msb 64                       ;  msbs: dst=1 src0=0 src1=0 src2=0
	v_dual_fmac_f32 v5 /*v261*/, v199, v162 :: v_dual_fmac_f32 v7 /*v263*/, v201, v164
	v_dual_fma_f32 v4 /*v260*/, v198, v162, -v13 :: v_dual_fma_f32 v6 /*v262*/, v200, v164, -v15
	s_set_vgpr_msb 0                        ;  msbs: dst=0 src0=0 src1=0 src2=0
	v_dual_add_f32 v123, v7, v53 :: v_dual_add_f32 v122, v9, v11
	v_pk_fma_f32 v[124:125], v[182:183], v[166:167], v[114:115] op_sel_hi:[1,0,1]
	v_pk_mul_f32 v[116:117], v[252:253], v[116:117] op_sel_hi:[1,0]
	v_pk_fma_f32 v[114:115], v[182:183], v[166:167], v[114:115] neg_lo:[0,0,1] neg_hi:[0,0,1]
	s_wait_loadcnt 0x3
	v_pk_mul_f32 v[118:119], v[186:187], v[170:171] op_sel:[1,1] op_sel_hi:[0,1]
	s_set_vgpr_msb 4                        ;  msbs: dst=0 src0=0 src1=1 src2=0
	v_pk_add_f32 v[122:123], v[122:123], v[4:5] /*v[260:261]*/
	v_dual_mov_b32 v120, v173 :: v_dual_mov_b32 v115, v125
	s_set_vgpr_msb 0                        ;  msbs: dst=0 src0=0 src1=0 src2=0
	v_pk_fma_f32 v[124:125], v[184:185], v[168:169], v[116:117] op_sel_hi:[1,0,1]
	v_pk_fma_f32 v[116:117], v[184:185], v[168:169], v[116:117] neg_lo:[0,0,1] neg_hi:[0,0,1]
	s_set_vgpr_msb 4                        ;  msbs: dst=0 src0=0 src1=1 src2=0
	v_pk_add_f32 v[122:123], v[122:123], v[6:7] /*v[262:263]*/
	s_set_vgpr_msb 0                        ;  msbs: dst=0 src0=0 src1=0 src2=0
	v_pk_fma_f32 v[128:129], v[186:187], v[170:171], v[118:119] op_sel_hi:[1,0,1]
	v_pk_mul_f32 v[120:121], v[254:255], v[120:121] op_sel_hi:[1,0]
	v_mov_b32_e32 v117, v125
	s_wait_loadcnt 0x2
	v_pk_mul_f32 v[126:127], v[190:191], v[174:175] op_sel:[1,1] op_sel_hi:[0,1]
	v_pk_add_f32 v[114:115], v[122:123], v[114:115]
	v_mov_b32_e32 v122, v177
	v_pk_fma_f32 v[118:119], v[186:187], v[170:171], v[118:119] neg_lo:[0,0,1] neg_hi:[0,0,1]
	v_pk_fma_f32 v[124:125], v[188:189], v[172:173], v[120:121] op_sel_hi:[1,0,1]
	v_mov_b32_e32 v119, v129
	v_pk_add_f32 v[114:115], v[114:115], v[116:117]
	v_pk_fma_f32 v[116:117], v[190:191], v[174:175], v[126:127] op_sel_hi:[1,0,1]
	s_set_vgpr_msb 1                        ;  msbs: dst=0 src0=1 src1=0 src2=0
	v_pk_mul_f32 v[122:123], v[0:1] /*v[256:257]*/, v[122:123] op_sel_hi:[1,0]
	s_set_vgpr_msb 0                        ;  msbs: dst=0 src0=0 src1=0 src2=0
	v_pk_fma_f32 v[120:121], v[188:189], v[172:173], v[120:121] neg_lo:[0,0,1] neg_hi:[0,0,1]
	v_mov_b32_e32 v121, v125
	v_pk_add_f32 v[114:115], v[114:115], v[118:119]
	v_pk_fma_f32 v[124:125], v[190:191], v[174:175], v[126:127] neg_lo:[0,0,1] neg_hi:[0,0,1]
	v_mov_b32_e32 v125, v117
	v_pk_fma_f32 v[116:117], v[192:193], v[176:177], v[122:123] op_sel_hi:[1,0,1]
	s_wait_loadcnt 0x1
	v_pk_mul_f32 v[118:119], v[194:195], v[178:179] op_sel:[1,1] op_sel_hi:[0,1]
	v_pk_add_f32 v[114:115], v[114:115], v[120:121]
	v_mov_b32_e32 v116, v181
	v_pk_fma_f32 v[122:123], v[192:193], v[176:177], v[122:123] neg_lo:[0,0,1] neg_hi:[0,0,1]
	s_delay_alu instid0(VALU_DEP_4)
	v_pk_fma_f32 v[120:121], v[194:195], v[178:179], v[118:119] op_sel_hi:[1,0,1]
	v_mov_b32_e32 v123, v117
	v_pk_add_f32 v[114:115], v[114:115], v[124:125]
	s_set_vgpr_msb 1                        ;  msbs: dst=0 src0=1 src1=0 src2=0
	v_pk_mul_f32 v[116:117], v[2:3] /*v[258:259]*/, v[116:117] op_sel_hi:[1,0]
	s_set_vgpr_msb 0                        ;  msbs: dst=0 src0=0 src1=0 src2=0
	v_pk_fma_f32 v[118:119], v[194:195], v[178:179], v[118:119] neg_lo:[0,0,1] neg_hi:[0,0,1]
	v_mov_b32_e32 v119, v121
	v_pk_add_f32 v[114:115], v[114:115], v[122:123]
	v_pk_fma_f32 v[120:121], v[196:197], v[180:181], v[116:117] op_sel_hi:[1,0,1]
	v_pk_fma_f32 v[116:117], v[196:197], v[180:181], v[116:117] neg_lo:[0,0,1] neg_hi:[0,0,1]
	s_delay_alu instid0(VALU_DEP_3) | instskip(NEXT) | instid1(VALU_DEP_3)
	v_pk_add_f32 v[114:115], v[114:115], v[118:119]
	v_mov_b32_e32 v117, v121
	s_delay_alu instid0(VALU_DEP_1) | instskip(SKIP_1) | instid1(VALU_DEP_1)
	v_pk_add_f32 v[114:115], v[114:115], v[116:117]
	s_wait_loadcnt 0x0
	v_pk_add_f32 v[114:115], v[250:251], v[114:115] neg_lo:[0,1] neg_hi:[0,1]
	scratch_store_b64 off, v[114:115], off offset:168
	s_wait_xcnt 0x0
	v_cmpx_lt_u32_e32 20, v0
	s_cbranch_execz .LBB55_309
; %bb.308:
	scratch_load_b64 v[114:115], off, off offset:160
	v_mov_b64_e32 v[116:117], 0
	scratch_store_b64 off, v[116:117], off offset:160
	s_wait_loadcnt 0x0
	ds_store_b64 v1, v[114:115]
.LBB55_309:
	s_wait_xcnt 0x0
	s_or_b32 exec_lo, exec_lo, s0
	s_wait_storecnt_dscnt 0x0
	s_barrier_signal -1
	s_barrier_wait -1
	s_clause 0x12
	scratch_load_b128 v[114:117], off, off offset:168
	scratch_load_b128 v[118:121], off, off offset:184
	;; [unrolled: 1-line block ×17, first 2 shown]
	scratch_load_b64 v[250:251], off, off offset:440
	scratch_load_b64 v[252:253], off, off offset:160
	v_mov_b32_e32 v7, 0
	ds_load_2addr_b64 v[182:185], v7 offset0:103 offset1:104
	ds_load_2addr_b64 v[186:189], v7 offset0:105 offset1:106
	ds_load_2addr_b64 v[190:193], v7 offset0:107 offset1:108
	ds_load_2addr_b64 v[194:197], v7 offset0:101 offset1:102
	ds_load_2addr_b64 v[198:201], v7 offset0:109 offset1:110
	ds_load_2addr_b64 v[202:205], v7 offset0:77 offset1:78
	ds_load_2addr_b64 v[206:209], v7 offset0:79 offset1:80
	ds_load_2addr_b64 v[210:213], v7 offset0:81 offset1:82
	ds_load_2addr_b64 v[214:217], v7 offset0:83 offset1:84
	ds_load_2addr_b64 v[218:221], v7 offset0:85 offset1:86
	ds_load_2addr_b64 v[222:225], v7 offset0:87 offset1:88
	ds_load_2addr_b64 v[226:229], v7 offset0:89 offset1:90
	ds_load_2addr_b64 v[230:233], v7 offset0:91 offset1:92
	ds_load_2addr_b64 v[234:237], v7 offset0:93 offset1:94
	ds_load_2addr_b64 v[238:241], v7 offset0:95 offset1:96
	ds_load_2addr_b64 v[242:245], v7 offset0:97 offset1:98
	ds_load_2addr_b64 v[246:249], v7 offset0:99 offset1:100
	ds_load_b64 v[254:255], v7 offset:888
	s_mov_b32 s0, exec_lo
	s_wait_dscnt 0x11
	s_set_vgpr_msb 64                       ;  msbs: dst=1 src0=0 src1=0 src2=0
	v_dual_mov_b32 v0 /*v256*/, v185 :: v_dual_mov_b32 v1 /*v257*/, v184
	s_wait_dscnt 0x10
	v_dual_mov_b32 v2 /*v258*/, v189 :: v_dual_mov_b32 v3 /*v259*/, v188
	s_wait_dscnt 0xf
	;; [unrolled: 2-line block ×3, first 2 shown]
	v_dual_mov_b32 v6 /*v262*/, v201 :: v_dual_mov_b32 v7 /*v263*/, v200
	s_wait_loadcnt_dscnt 0x120c
	s_set_vgpr_msb 0                        ;  msbs: dst=0 src0=0 src1=0 src2=0
	v_dual_mul_f32 v9, v202, v115 :: v_dual_mul_f32 v59, v203, v115
	v_dual_mul_f32 v61, v205, v117 :: v_dual_mul_f32 v11, v204, v117
	s_wait_loadcnt_dscnt 0x110b
	v_mul_f32_e32 v13, v206, v119
	s_wait_loadcnt_dscnt 0xf09
	v_dual_mul_f32 v71, v215, v127 :: v_dual_fma_f32 v59, v202, v114, -v59
	v_dual_fmac_f32 v9, v203, v114 :: v_dual_mul_f32 v73, v217, v129
	v_dual_mul_f32 v63, v207, v119 :: v_dual_mul_f32 v65, v209, v121
	v_dual_fmac_f32 v11, v205, v116 :: v_dual_fma_f32 v61, v204, v116, -v61
	s_delay_alu instid0(VALU_DEP_3) | instskip(SKIP_3) | instid1(VALU_DEP_3)
	v_dual_add_f32 v9, 0, v9 :: v_dual_add_f32 v59, 0, v59
	v_dual_mul_f32 v15, v208, v121 :: v_dual_mul_f32 v17, v210, v123
	s_wait_loadcnt_dscnt 0xe08
	v_dual_mul_f32 v75, v219, v131 :: v_dual_fma_f32 v63, v206, v118, -v63
	v_dual_fmac_f32 v13, v207, v118 :: v_dual_add_f32 v9, v9, v11
	s_delay_alu instid0(VALU_DEP_3) | instskip(SKIP_2) | instid1(VALU_DEP_3)
	v_dual_add_f32 v11, v59, v61 :: v_dual_fmac_f32 v15, v209, v120
	v_dual_mul_f32 v67, v211, v123 :: v_dual_mul_f32 v69, v213, v125
	v_dual_mul_f32 v59, v221, v133 :: v_dual_fma_f32 v61, v208, v120, -v65
	v_dual_add_f32 v9, v9, v13 :: v_dual_add_f32 v11, v11, v63
	v_dual_mul_f32 v19, v212, v125 :: v_dual_mul_f32 v21, v214, v127
	s_wait_loadcnt_dscnt 0xd07
	v_dual_mul_f32 v13, v223, v135 :: v_dual_fma_f32 v63, v210, v122, -v67
	s_delay_alu instid0(VALU_DEP_3) | instskip(NEXT) | instid1(VALU_DEP_3)
	v_dual_fmac_f32 v17, v211, v122 :: v_dual_add_f32 v9, v9, v15
	v_dual_add_f32 v11, v11, v61 :: v_dual_fmac_f32 v19, v213, v124
	v_dual_mul_f32 v15, v225, v137 :: v_dual_fma_f32 v61, v212, v124, -v69
	s_delay_alu instid0(VALU_DEP_2) | instskip(SKIP_3) | instid1(VALU_DEP_3)
	v_dual_add_f32 v9, v9, v17 :: v_dual_add_f32 v11, v11, v63
	v_dual_mul_f32 v23, v216, v129 :: v_dual_mul_f32 v25, v218, v131
	s_wait_loadcnt_dscnt 0xc06
	v_dual_mul_f32 v17, v227, v139 :: v_dual_fma_f32 v63, v214, v126, -v71
	v_dual_fmac_f32 v21, v215, v126 :: v_dual_add_f32 v9, v9, v19
	s_delay_alu instid0(VALU_DEP_3) | instskip(SKIP_1) | instid1(VALU_DEP_2)
	v_dual_add_f32 v11, v11, v61 :: v_dual_fmac_f32 v23, v217, v128
	v_dual_mul_f32 v19, v229, v141 :: v_dual_fma_f32 v61, v216, v128, -v73
	v_dual_add_f32 v9, v9, v21 :: v_dual_add_f32 v11, v11, v63
	v_dual_mul_f32 v27, v220, v133 :: v_dual_mul_f32 v29, v222, v135
	s_wait_loadcnt_dscnt 0xb05
	v_dual_mul_f32 v21, v231, v143 :: v_dual_fma_f32 v63, v218, v130, -v75
	s_delay_alu instid0(VALU_DEP_3) | instskip(NEXT) | instid1(VALU_DEP_3)
	v_dual_fmac_f32 v25, v219, v130 :: v_dual_add_f32 v9, v9, v23
	v_dual_add_f32 v11, v11, v61 :: v_dual_fmac_f32 v27, v221, v132
	v_dual_mul_f32 v23, v233, v145 :: v_dual_fma_f32 v59, v220, v132, -v59
	s_delay_alu instid0(VALU_DEP_2) | instskip(SKIP_3) | instid1(VALU_DEP_3)
	v_dual_add_f32 v9, v9, v25 :: v_dual_add_f32 v11, v11, v63
	v_dual_mul_f32 v31, v224, v137 :: v_dual_mul_f32 v33, v226, v139
	s_wait_loadcnt_dscnt 0xa04
	v_dual_mul_f32 v25, v235, v147 :: v_dual_fma_f32 v13, v222, v134, -v13
	v_dual_fmac_f32 v29, v223, v134 :: v_dual_add_f32 v9, v9, v27
	v_dual_add_f32 v11, v11, v59 :: v_dual_mul_f32 v27, v237, v149
	v_fmac_f32_e32 v31, v225, v136
	s_delay_alu instid0(VALU_DEP_3) | instskip(NEXT) | instid1(VALU_DEP_3)
	v_dual_fma_f32 v15, v224, v136, -v15 :: v_dual_add_f32 v9, v9, v29
	v_add_f32_e32 v11, v11, v13
	v_dual_mul_f32 v35, v228, v141 :: v_dual_mul_f32 v37, v230, v143
	s_wait_loadcnt_dscnt 0x903
	v_dual_mul_f32 v13, v239, v151 :: v_dual_fma_f32 v17, v226, v138, -v17
	v_dual_fmac_f32 v33, v227, v138 :: v_dual_add_f32 v9, v9, v31
	v_dual_add_f32 v11, v11, v15 :: v_dual_mul_f32 v15, v241, v153
	v_fmac_f32_e32 v35, v229, v140
	s_delay_alu instid0(VALU_DEP_3) | instskip(NEXT) | instid1(VALU_DEP_3)
	v_dual_fma_f32 v19, v228, v140, -v19 :: v_dual_add_f32 v9, v9, v33
	v_add_f32_e32 v11, v11, v17
	;; [unrolled: 9-line block ×4, first 2 shown]
	v_dual_mul_f32 v47, v240, v153 :: v_dual_mul_f32 v49, v242, v155
	s_wait_loadcnt 0x6
	v_dual_mul_f32 v25, v195, v163 :: v_dual_fma_f32 v13, v238, v150, -v13
	v_dual_fmac_f32 v45, v239, v150 :: v_dual_add_f32 v9, v9, v43
	v_dual_add_f32 v11, v11, v27 :: v_dual_mul_f32 v27, v197, v165
	v_fmac_f32_e32 v47, v241, v152
	s_delay_alu instid0(VALU_DEP_3) | instskip(NEXT) | instid1(VALU_DEP_3)
	v_dual_fma_f32 v15, v240, v152, -v15 :: v_dual_add_f32 v9, v9, v45
	v_add_f32_e32 v11, v11, v13
	v_dual_mul_f32 v51, v244, v157 :: v_dual_mul_f32 v53, v246, v159
	s_wait_loadcnt 0x5
	v_dual_mul_f32 v13, v183, v167 :: v_dual_fma_f32 v17, v242, v154, -v17
	v_dual_fmac_f32 v49, v243, v154 :: v_dual_add_f32 v9, v9, v47
	v_dual_add_f32 v11, v11, v15 :: v_dual_mov_b32 v114, v169
	v_fmac_f32_e32 v51, v245, v156
	s_delay_alu instid0(VALU_DEP_3) | instskip(NEXT) | instid1(VALU_DEP_3)
	v_dual_fma_f32 v15, v244, v156, -v19 :: v_dual_add_f32 v9, v9, v49
	v_add_f32_e32 v11, v11, v17
	v_dual_mul_f32 v55, v248, v161 :: v_dual_mul_f32 v57, v194, v163
	s_delay_alu instid0(VALU_DEP_3) | instskip(NEXT) | instid1(VALU_DEP_3)
	v_dual_fmac_f32 v53, v247, v158 :: v_dual_add_f32 v9, v9, v51
	v_dual_fma_f32 v17, v246, v158, -v21 :: v_dual_add_f32 v11, v11, v15
	s_wait_loadcnt 0x4
	v_dual_mov_b32 v118, v173 :: v_dual_fma_f32 v15, v248, v160, -v23
	v_fmac_f32_e32 v55, v249, v160
	v_dual_add_f32 v9, v9, v53 :: v_dual_fmac_f32 v57, v195, v162
	v_add_f32_e32 v11, v11, v17
	s_set_vgpr_msb 64                       ;  msbs: dst=1 src0=0 src1=0 src2=0
	v_dual_mul_f32 v9 /*v265*/, v196, v165 :: v_dual_mul_f32 v11 /*v267*/, v182, v167
	s_set_vgpr_msb 0                        ;  msbs: dst=0 src0=0 src1=0 src2=0
	v_dual_fma_f32 v17, v194, v162, -v25 :: v_dual_add_f32 v9, v9, v55
	v_add_f32_e32 v11, v11, v15
	s_set_vgpr_msb 64                       ;  msbs: dst=1 src0=0 src1=0 src2=0
	v_dual_fmac_f32 v9 /*v265*/, v197, v164 :: v_dual_fmac_f32 v11 /*v267*/, v183, v166
	v_dual_fma_f32 v8 /*v264*/, v196, v164, -v27 :: v_dual_fma_f32 v10 /*v266*/, v182, v166, -v13
	s_set_vgpr_msb 1                        ;  msbs: dst=0 src0=1 src1=0 src2=0
	v_pk_mul_f32 v[114:115], v[0:1] /*v[256:257]*/, v[114:115] op_sel_hi:[1,0]
	s_set_vgpr_msb 0                        ;  msbs: dst=0 src0=0 src1=0 src2=0
	v_add_f32_e32 v123, v9, v57
	s_wait_loadcnt 0x3
	v_dual_add_f32 v122, v11, v17 :: v_dual_mov_b32 v124, v177
	v_pk_mul_f32 v[116:117], v[186:187], v[170:171] op_sel:[1,1] op_sel_hi:[0,1]
	v_pk_fma_f32 v[126:127], v[184:185], v[168:169], v[114:115] op_sel_hi:[1,0,1]
	v_pk_fma_f32 v[114:115], v[184:185], v[168:169], v[114:115] neg_lo:[0,0,1] neg_hi:[0,0,1]
	s_set_vgpr_msb 4                        ;  msbs: dst=0 src0=0 src1=1 src2=0
	v_pk_add_f32 v[122:123], v[122:123], v[8:9] /*v[264:265]*/
	s_set_vgpr_msb 1                        ;  msbs: dst=0 src0=1 src1=0 src2=0
	v_pk_mul_f32 v[118:119], v[2:3] /*v[258:259]*/, v[118:119] op_sel_hi:[1,0]
	s_set_vgpr_msb 0                        ;  msbs: dst=0 src0=0 src1=0 src2=0
	v_pk_fma_f32 v[128:129], v[186:187], v[170:171], v[116:117] op_sel_hi:[1,0,1]
	v_mov_b32_e32 v115, v127
	v_pk_fma_f32 v[116:117], v[186:187], v[170:171], v[116:117] neg_lo:[0,0,1] neg_hi:[0,0,1]
	s_set_vgpr_msb 4                        ;  msbs: dst=0 src0=0 src1=1 src2=0
	v_pk_add_f32 v[122:123], v[122:123], v[10:11] /*v[266:267]*/
	s_set_vgpr_msb 0                        ;  msbs: dst=0 src0=0 src1=0 src2=0
	v_pk_mul_f32 v[120:121], v[190:191], v[174:175] op_sel:[1,1] op_sel_hi:[0,1]
	v_mov_b32_e32 v117, v129
	v_pk_fma_f32 v[128:129], v[188:189], v[172:173], v[118:119] op_sel_hi:[1,0,1]
	v_pk_fma_f32 v[118:119], v[188:189], v[172:173], v[118:119] neg_lo:[0,0,1] neg_hi:[0,0,1]
	v_pk_add_f32 v[114:115], v[122:123], v[114:115]
	v_pk_fma_f32 v[122:123], v[190:191], v[174:175], v[120:121] op_sel_hi:[1,0,1]
	s_set_vgpr_msb 1                        ;  msbs: dst=0 src0=1 src1=0 src2=0
	v_pk_mul_f32 v[124:125], v[4:5] /*v[260:261]*/, v[124:125] op_sel_hi:[1,0]
	s_set_vgpr_msb 0                        ;  msbs: dst=0 src0=0 src1=0 src2=0
	v_mov_b32_e32 v119, v129
	v_pk_fma_f32 v[120:121], v[190:191], v[174:175], v[120:121] neg_lo:[0,0,1] neg_hi:[0,0,1]
	v_pk_add_f32 v[114:115], v[114:115], v[116:117]
	s_wait_loadcnt 0x2
	v_pk_mul_f32 v[126:127], v[198:199], v[178:179] op_sel:[1,1] op_sel_hi:[0,1]
	v_dual_mov_b32 v116, v181 :: v_dual_mov_b32 v121, v123
	v_pk_fma_f32 v[122:123], v[192:193], v[176:177], v[124:125] op_sel_hi:[1,0,1]
	v_pk_add_f32 v[114:115], v[114:115], v[118:119]
	v_pk_fma_f32 v[124:125], v[192:193], v[176:177], v[124:125] neg_lo:[0,0,1] neg_hi:[0,0,1]
	v_pk_fma_f32 v[118:119], v[198:199], v[178:179], v[126:127] op_sel_hi:[1,0,1]
	s_set_vgpr_msb 1                        ;  msbs: dst=0 src0=1 src1=0 src2=0
	v_pk_mul_f32 v[116:117], v[6:7] /*v[262:263]*/, v[116:117] op_sel_hi:[1,0]
	s_set_vgpr_msb 0                        ;  msbs: dst=0 src0=0 src1=0 src2=0
	v_mov_b32_e32 v125, v123
	v_pk_add_f32 v[114:115], v[114:115], v[120:121]
	v_pk_fma_f32 v[120:121], v[198:199], v[178:179], v[126:127] neg_lo:[0,0,1] neg_hi:[0,0,1]
	v_mov_b32_e32 v121, v119
	v_pk_fma_f32 v[118:119], v[200:201], v[180:181], v[116:117] op_sel_hi:[1,0,1]
	s_wait_loadcnt_dscnt 0x100
	v_pk_mul_f32 v[122:123], v[254:255], v[250:251] op_sel:[1,1] op_sel_hi:[0,1]
	v_pk_add_f32 v[114:115], v[114:115], v[124:125]
	v_pk_fma_f32 v[116:117], v[200:201], v[180:181], v[116:117] neg_lo:[0,0,1] neg_hi:[0,0,1]
	v_mov_b32_e32 v117, v119
	s_delay_alu instid0(VALU_DEP_4) | instskip(NEXT) | instid1(VALU_DEP_4)
	v_pk_fma_f32 v[118:119], v[254:255], v[250:251], v[122:123] op_sel_hi:[1,0,1]
	v_pk_add_f32 v[114:115], v[114:115], v[120:121]
	v_pk_fma_f32 v[120:121], v[254:255], v[250:251], v[122:123] neg_lo:[0,0,1] neg_hi:[0,0,1]
	s_delay_alu instid0(VALU_DEP_3) | instskip(NEXT) | instid1(VALU_DEP_3)
	v_mov_b32_e32 v121, v119
	v_pk_add_f32 v[114:115], v[114:115], v[116:117]
	s_delay_alu instid0(VALU_DEP_1) | instskip(SKIP_1) | instid1(VALU_DEP_1)
	v_pk_add_f32 v[114:115], v[114:115], v[120:121]
	s_wait_loadcnt 0x0
	v_pk_add_f32 v[114:115], v[252:253], v[114:115] neg_lo:[0,1] neg_hi:[0,1]
	scratch_store_b64 off, v[114:115], off offset:160
	s_wait_xcnt 0x0
	v_cmpx_lt_u32_e32 19, v0
	s_cbranch_execz .LBB55_311
; %bb.310:
	scratch_load_b64 v[114:115], off, off offset:152
	v_mov_b64_e32 v[116:117], 0
	scratch_store_b64 off, v[116:117], off offset:152
	s_wait_loadcnt 0x0
	ds_store_b64 v1, v[114:115]
.LBB55_311:
	s_wait_xcnt 0x0
	s_or_b32 exec_lo, exec_lo, s0
	s_wait_storecnt_dscnt 0x0
	s_barrier_signal -1
	s_barrier_wait -1
	s_clause 0x13
	scratch_load_b128 v[114:117], off, off offset:160
	scratch_load_b128 v[118:121], off, off offset:176
	;; [unrolled: 1-line block ×18, first 2 shown]
	s_set_vgpr_msb 64                       ;  msbs: dst=1 src0=0 src1=0 src2=0
	scratch_load_b64 v[2:3] /*v[258:259]*/, off, off offset:152
	s_set_vgpr_msb 0                        ;  msbs: dst=0 src0=0 src1=0 src2=0
	ds_load_b128 v[186:189], v7 offset:832
	ds_load_b128 v[190:193], v7 offset:848
	;; [unrolled: 1-line block ×18, first 2 shown]
	s_mov_b32 s0, exec_lo
	s_wait_dscnt 0x11
	s_set_vgpr_msb 64                       ;  msbs: dst=1 src0=0 src1=0 src2=0
	v_dual_mov_b32 v4 /*v260*/, v189 :: v_dual_mov_b32 v5 /*v261*/, v188
	s_wait_dscnt 0x10
	v_dual_mov_b32 v6 /*v262*/, v193 :: v_dual_mov_b32 v7 /*v263*/, v192
	s_wait_dscnt 0xf
	;; [unrolled: 2-line block ×3, first 2 shown]
	v_dual_mov_b32 v10 /*v266*/, v201 :: v_dual_mov_b32 v11 /*v267*/, v200
	s_wait_loadcnt_dscnt 0x120d
	s_set_vgpr_msb 0                        ;  msbs: dst=0 src0=0 src1=0 src2=0
	v_dual_mul_f32 v7, v202, v115 :: v_dual_mul_f32 v9, v204, v117
	v_dual_mul_f32 v59, v203, v115 :: v_dual_mul_f32 v61, v205, v117
	s_wait_loadcnt_dscnt 0x110c
	v_dual_mul_f32 v11, v206, v119 :: v_dual_mul_f32 v13, v208, v121
	s_delay_alu instid0(VALU_DEP_3) | instskip(SKIP_3) | instid1(VALU_DEP_3)
	v_dual_fmac_f32 v7, v203, v114 :: v_dual_fmac_f32 v9, v205, v116
	s_wait_loadcnt_dscnt 0xf0a
	v_dual_fma_f32 v59, v202, v114, -v59 :: v_dual_mul_f32 v71, v215, v127
	v_dual_mul_f32 v63, v207, v119 :: v_dual_mul_f32 v65, v209, v121
	v_dual_fma_f32 v61, v204, v116, -v61 :: v_dual_add_f32 v7, 0, v7
	s_delay_alu instid0(VALU_DEP_3) | instskip(SKIP_1) | instid1(VALU_DEP_3)
	v_dual_add_f32 v59, 0, v59 :: v_dual_mul_f32 v73, v217, v129
	v_dual_fmac_f32 v11, v207, v118 :: v_dual_fmac_f32 v13, v209, v120
	v_dual_fma_f32 v63, v206, v118, -v63 :: v_dual_add_f32 v7, v7, v9
	s_delay_alu instid0(VALU_DEP_3) | instskip(SKIP_2) | instid1(VALU_DEP_4)
	v_dual_add_f32 v9, v59, v61 :: v_dual_fma_f32 v61, v208, v120, -v65
	v_dual_mul_f32 v15, v210, v123 :: v_dual_mul_f32 v17, v212, v125
	v_dual_mul_f32 v67, v211, v123 :: v_dual_mul_f32 v69, v213, v125
	v_add_f32_e32 v7, v7, v11
	s_delay_alu instid0(VALU_DEP_3) | instskip(NEXT) | instid1(VALU_DEP_3)
	v_dual_add_f32 v9, v9, v63 :: v_dual_fmac_f32 v15, v211, v122
	v_fma_f32 v63, v210, v122, -v67
	v_dual_mul_f32 v19, v214, v127 :: v_dual_mul_f32 v21, v216, v129
	s_delay_alu instid0(VALU_DEP_4) | instskip(SKIP_2) | instid1(VALU_DEP_2)
	v_dual_add_f32 v7, v7, v13 :: v_dual_fmac_f32 v17, v213, v124
	s_wait_loadcnt_dscnt 0xd08
	v_dual_add_f32 v9, v9, v61 :: v_dual_mul_f32 v13, v223, v135
	v_dual_fma_f32 v61, v212, v124, -v69 :: v_dual_add_f32 v7, v7, v15
	v_mul_f32_e32 v15, v225, v137
	s_delay_alu instid0(VALU_DEP_3) | instskip(NEXT) | instid1(VALU_DEP_3)
	v_dual_add_f32 v9, v9, v63 :: v_dual_fmac_f32 v19, v215, v126
	v_dual_fma_f32 v63, v214, v126, -v71 :: v_dual_add_f32 v7, v7, v17
	v_fmac_f32_e32 v21, v217, v128
	s_wait_loadcnt_dscnt 0xc07
	s_delay_alu instid0(VALU_DEP_3) | instskip(SKIP_3) | instid1(VALU_DEP_3)
	v_dual_add_f32 v9, v9, v61 :: v_dual_mul_f32 v17, v227, v139
	v_dual_mul_f32 v23, v218, v131 :: v_dual_mul_f32 v25, v220, v133
	v_dual_mul_f32 v59, v219, v131 :: v_dual_mul_f32 v11, v221, v133
	v_dual_fma_f32 v61, v216, v128, -v73 :: v_dual_add_f32 v7, v7, v19
	v_dual_add_f32 v9, v9, v63 :: v_dual_fmac_f32 v23, v219, v130
	s_delay_alu instid0(VALU_DEP_3) | instskip(NEXT) | instid1(VALU_DEP_3)
	v_dual_mul_f32 v19, v229, v141 :: v_dual_fma_f32 v59, v218, v130, -v59
	v_dual_add_f32 v7, v7, v21 :: v_dual_fmac_f32 v25, v221, v132
	s_wait_loadcnt_dscnt 0xb06
	s_delay_alu instid0(VALU_DEP_3) | instskip(SKIP_1) | instid1(VALU_DEP_3)
	v_dual_add_f32 v9, v9, v61 :: v_dual_mul_f32 v21, v231, v143
	v_dual_mul_f32 v27, v222, v135 :: v_dual_mul_f32 v29, v224, v137
	v_dual_fma_f32 v11, v220, v132, -v11 :: v_dual_add_f32 v7, v7, v23
	s_delay_alu instid0(VALU_DEP_2) | instskip(SKIP_1) | instid1(VALU_DEP_2)
	v_dual_add_f32 v9, v9, v59 :: v_dual_fmac_f32 v27, v223, v134
	v_dual_mul_f32 v23, v233, v145 :: v_dual_fma_f32 v13, v222, v134, -v13
	v_dual_add_f32 v7, v7, v25 :: v_dual_add_f32 v9, v9, v11
	v_dual_mul_f32 v31, v226, v139 :: v_dual_mul_f32 v33, v228, v141
	s_wait_loadcnt_dscnt 0xa05
	v_dual_mul_f32 v11, v235, v147 :: v_dual_fmac_f32 v29, v225, v136
	s_delay_alu instid0(VALU_DEP_3) | instskip(NEXT) | instid1(VALU_DEP_3)
	v_dual_fma_f32 v15, v224, v136, -v15 :: v_dual_add_f32 v7, v7, v27
	v_dual_add_f32 v9, v9, v13 :: v_dual_fmac_f32 v31, v227, v138
	v_dual_mul_f32 v13, v237, v149 :: v_dual_fma_f32 v17, v226, v138, -v17
	s_delay_alu instid0(VALU_DEP_2) | instskip(SKIP_3) | instid1(VALU_DEP_3)
	v_dual_add_f32 v7, v7, v29 :: v_dual_add_f32 v9, v9, v15
	v_dual_mul_f32 v35, v230, v143 :: v_dual_mul_f32 v37, v232, v145
	s_wait_loadcnt_dscnt 0x904
	v_dual_mul_f32 v15, v239, v151 :: v_dual_fmac_f32 v33, v229, v140
	v_dual_fma_f32 v19, v228, v140, -v19 :: v_dual_add_f32 v7, v7, v31
	s_delay_alu instid0(VALU_DEP_3) | instskip(SKIP_1) | instid1(VALU_DEP_2)
	v_dual_add_f32 v9, v9, v17 :: v_dual_fmac_f32 v35, v231, v142
	v_dual_mul_f32 v17, v241, v153 :: v_dual_fma_f32 v21, v230, v142, -v21
	v_dual_add_f32 v7, v7, v33 :: v_dual_add_f32 v9, v9, v19
	v_dual_mul_f32 v39, v234, v147 :: v_dual_mul_f32 v41, v236, v149
	s_wait_loadcnt_dscnt 0x803
	v_dual_mul_f32 v19, v243, v155 :: v_dual_fmac_f32 v37, v233, v144
	s_delay_alu instid0(VALU_DEP_3) | instskip(NEXT) | instid1(VALU_DEP_3)
	v_dual_fma_f32 v23, v232, v144, -v23 :: v_dual_add_f32 v7, v7, v35
	v_dual_add_f32 v9, v9, v21 :: v_dual_fmac_f32 v39, v235, v146
	v_dual_mul_f32 v21, v245, v157 :: v_dual_fma_f32 v11, v234, v146, -v11
	s_delay_alu instid0(VALU_DEP_2) | instskip(SKIP_3) | instid1(VALU_DEP_3)
	v_dual_add_f32 v7, v7, v37 :: v_dual_add_f32 v9, v9, v23
	v_dual_mul_f32 v43, v238, v151 :: v_dual_mul_f32 v45, v240, v153
	s_wait_loadcnt_dscnt 0x702
	v_dual_mul_f32 v23, v247, v159 :: v_dual_fmac_f32 v41, v237, v148
	v_dual_fma_f32 v13, v236, v148, -v13 :: v_dual_add_f32 v7, v7, v39
	s_delay_alu instid0(VALU_DEP_3) | instskip(SKIP_1) | instid1(VALU_DEP_3)
	v_dual_add_f32 v9, v9, v11 :: v_dual_fmac_f32 v43, v239, v150
	v_dual_mul_f32 v11, v249, v161 :: v_dual_fma_f32 v15, v238, v150, -v15
	v_dual_add_f32 v7, v7, v41 :: v_dual_fmac_f32 v45, v241, v152
	s_wait_loadcnt_dscnt 0x601
	s_delay_alu instid0(VALU_DEP_3) | instskip(SKIP_1) | instid1(VALU_DEP_3)
	v_dual_add_f32 v9, v9, v13 :: v_dual_mul_f32 v13, v251, v163
	v_dual_mul_f32 v47, v242, v155 :: v_dual_mul_f32 v49, v244, v157
	v_dual_fma_f32 v17, v240, v152, -v17 :: v_dual_add_f32 v7, v7, v43
	s_delay_alu instid0(VALU_DEP_2) | instskip(SKIP_1) | instid1(VALU_DEP_3)
	v_dual_add_f32 v9, v9, v15 :: v_dual_fmac_f32 v47, v243, v154
	v_dual_mul_f32 v15, v253, v165 :: v_dual_fma_f32 v19, v242, v154, -v19
	v_dual_add_f32 v7, v7, v45 :: v_dual_fmac_f32 v49, v245, v156
	s_wait_loadcnt_dscnt 0x500
	s_delay_alu instid0(VALU_DEP_3) | instskip(SKIP_1) | instid1(VALU_DEP_3)
	v_dual_add_f32 v9, v9, v17 :: v_dual_mul_f32 v17, v255, v167
	v_dual_mul_f32 v51, v246, v159 :: v_dual_mul_f32 v53, v248, v161
	v_dual_fma_f32 v21, v244, v156, -v21 :: v_dual_add_f32 v7, v7, v47
	s_delay_alu instid0(VALU_DEP_2) | instskip(SKIP_2) | instid1(VALU_DEP_4)
	v_dual_add_f32 v9, v9, v19 :: v_dual_fmac_f32 v51, v247, v158
	v_fma_f32 v23, v246, v158, -v23
	v_dual_mul_f32 v55, v250, v163 :: v_dual_mul_f32 v57, v252, v165
	v_add_f32_e32 v7, v7, v49
	s_delay_alu instid0(VALU_DEP_4)
	v_dual_add_f32 v9, v9, v21 :: v_dual_fma_f32 v11, v248, v160, -v11
	v_fmac_f32_e32 v53, v249, v160
	s_wait_loadcnt 0x4
	v_dual_mov_b32 v116, v173 :: v_dual_fma_f32 v13, v250, v162, -v13
	v_add_f32_e32 v7, v7, v51
	v_dual_add_f32 v9, v9, v23 :: v_dual_fmac_f32 v55, v251, v162
	s_set_vgpr_msb 64                       ;  msbs: dst=1 src0=0 src1=0 src2=0
	v_dual_mul_f32 v13 /*v269*/, v254, v167 :: v_dual_fma_f32 v12 /*v268*/, v254, v166, -v17
	s_set_vgpr_msb 0                        ;  msbs: dst=0 src0=0 src1=0 src2=0
	s_delay_alu instid0(VALU_DEP_2)
	v_dual_add_f32 v7, v7, v53 :: v_dual_add_f32 v9, v9, v11
	v_dual_fmac_f32 v57, v253, v164 :: v_dual_fma_f32 v11, v252, v164, -v15
	s_set_vgpr_msb 1                        ;  msbs: dst=0 src0=1 src1=0 src2=0
	v_mul_f32_e32 v19, v1 /*v257*/, v169
	s_set_vgpr_msb 0                        ;  msbs: dst=0 src0=0 src1=0 src2=0
	v_dual_add_f32 v7, v7, v55 :: v_dual_add_f32 v9, v9, v13
	s_set_vgpr_msb 0x41                     ;  msbs: dst=1 src0=1 src1=0 src2=0
	v_mul_f32_e32 v15 /*v271*/, v0 /*v256*/, v169
	s_set_vgpr_msb 0                        ;  msbs: dst=0 src0=0 src1=0 src2=0
	v_pk_mul_f32 v[114:115], v[186:187], v[170:171] op_sel:[1,1] op_sel_hi:[0,1]
	s_wait_loadcnt 0x3
	v_dual_mov_b32 v120, v177 :: v_dual_add_f32 v123, v7, v57
	s_set_vgpr_msb 64                       ;  msbs: dst=1 src0=0 src1=0 src2=0
	v_fmac_f32_e32 v13 /*v269*/, v255, v166
	s_set_vgpr_msb 0                        ;  msbs: dst=0 src0=0 src1=0 src2=0
	v_add_f32_e32 v122, v9, v11
	s_set_vgpr_msb 0x41                     ;  msbs: dst=1 src0=1 src1=0 src2=0
	v_fma_f32 v14 /*v270*/, v0 /*v256*/, v168, -v19
	v_fmac_f32_e32 v15 /*v271*/, v1 /*v257*/, v168
	s_set_vgpr_msb 0                        ;  msbs: dst=0 src0=0 src1=0 src2=0
	v_pk_fma_f32 v[124:125], v[186:187], v[170:171], v[114:115] op_sel_hi:[1,0,1]
	s_set_vgpr_msb 1                        ;  msbs: dst=0 src0=1 src1=0 src2=0
	v_pk_mul_f32 v[116:117], v[4:5] /*v[260:261]*/, v[116:117] op_sel_hi:[1,0]
	s_set_vgpr_msb 4                        ;  msbs: dst=0 src0=0 src1=1 src2=0
	v_pk_add_f32 v[122:123], v[122:123], v[12:13] /*v[268:269]*/
	s_set_vgpr_msb 0                        ;  msbs: dst=0 src0=0 src1=0 src2=0
	v_pk_fma_f32 v[114:115], v[186:187], v[170:171], v[114:115] neg_lo:[0,0,1] neg_hi:[0,0,1]
	v_pk_mul_f32 v[118:119], v[190:191], v[174:175] op_sel:[1,1] op_sel_hi:[0,1]
	v_mov_b32_e32 v115, v125
	v_pk_fma_f32 v[124:125], v[188:189], v[172:173], v[116:117] op_sel_hi:[1,0,1]
	s_set_vgpr_msb 4                        ;  msbs: dst=0 src0=0 src1=1 src2=0
	v_pk_add_f32 v[122:123], v[122:123], v[14:15] /*v[270:271]*/
	s_set_vgpr_msb 0                        ;  msbs: dst=0 src0=0 src1=0 src2=0
	v_pk_fma_f32 v[116:117], v[188:189], v[172:173], v[116:117] neg_lo:[0,0,1] neg_hi:[0,0,1]
	v_pk_fma_f32 v[128:129], v[190:191], v[174:175], v[118:119] op_sel_hi:[1,0,1]
	s_set_vgpr_msb 1                        ;  msbs: dst=0 src0=1 src1=0 src2=0
	v_pk_mul_f32 v[120:121], v[6:7] /*v[262:263]*/, v[120:121] op_sel_hi:[1,0]
	s_set_vgpr_msb 0                        ;  msbs: dst=0 src0=0 src1=0 src2=0
	v_mov_b32_e32 v117, v125
	v_pk_add_f32 v[114:115], v[122:123], v[114:115]
	s_wait_loadcnt 0x2
	v_pk_mul_f32 v[126:127], v[194:195], v[178:179] op_sel:[1,1] op_sel_hi:[0,1]
	v_mov_b32_e32 v122, v181
	v_pk_fma_f32 v[118:119], v[190:191], v[174:175], v[118:119] neg_lo:[0,0,1] neg_hi:[0,0,1]
	v_mov_b32_e32 v119, v129
	v_pk_fma_f32 v[124:125], v[192:193], v[176:177], v[120:121] op_sel_hi:[1,0,1]
	v_pk_add_f32 v[114:115], v[114:115], v[116:117]
	v_pk_fma_f32 v[116:117], v[194:195], v[178:179], v[126:127] op_sel_hi:[1,0,1]
	s_set_vgpr_msb 1                        ;  msbs: dst=0 src0=1 src1=0 src2=0
	v_pk_mul_f32 v[122:123], v[8:9] /*v[264:265]*/, v[122:123] op_sel_hi:[1,0]
	s_set_vgpr_msb 0                        ;  msbs: dst=0 src0=0 src1=0 src2=0
	v_pk_fma_f32 v[120:121], v[192:193], v[176:177], v[120:121] neg_lo:[0,0,1] neg_hi:[0,0,1]
	v_mov_b32_e32 v121, v125
	v_pk_add_f32 v[114:115], v[114:115], v[118:119]
	v_pk_fma_f32 v[124:125], v[194:195], v[178:179], v[126:127] neg_lo:[0,0,1] neg_hi:[0,0,1]
	v_mov_b32_e32 v125, v117
	v_pk_fma_f32 v[116:117], v[196:197], v[180:181], v[122:123] op_sel_hi:[1,0,1]
	s_wait_loadcnt 0x1
	v_pk_mul_f32 v[118:119], v[198:199], v[182:183] op_sel:[1,1] op_sel_hi:[0,1]
	v_pk_add_f32 v[114:115], v[114:115], v[120:121]
	v_mov_b32_e32 v116, v185
	v_pk_fma_f32 v[122:123], v[196:197], v[180:181], v[122:123] neg_lo:[0,0,1] neg_hi:[0,0,1]
	v_mov_b32_e32 v123, v117
	v_pk_fma_f32 v[120:121], v[198:199], v[182:183], v[118:119] op_sel_hi:[1,0,1]
	v_pk_add_f32 v[114:115], v[114:115], v[124:125]
	s_set_vgpr_msb 1                        ;  msbs: dst=0 src0=1 src1=0 src2=0
	v_pk_mul_f32 v[116:117], v[10:11] /*v[266:267]*/, v[116:117] op_sel_hi:[1,0]
	s_set_vgpr_msb 0                        ;  msbs: dst=0 src0=0 src1=0 src2=0
	v_pk_fma_f32 v[118:119], v[198:199], v[182:183], v[118:119] neg_lo:[0,0,1] neg_hi:[0,0,1]
	v_mov_b32_e32 v119, v121
	v_pk_add_f32 v[114:115], v[114:115], v[122:123]
	v_pk_fma_f32 v[120:121], v[200:201], v[184:185], v[116:117] op_sel_hi:[1,0,1]
	v_pk_fma_f32 v[116:117], v[200:201], v[184:185], v[116:117] neg_lo:[0,0,1] neg_hi:[0,0,1]
	s_delay_alu instid0(VALU_DEP_2) | instskip(NEXT) | instid1(VALU_DEP_4)
	v_mov_b32_e32 v117, v121
	v_pk_add_f32 v[114:115], v[114:115], v[118:119]
	s_delay_alu instid0(VALU_DEP_1) | instskip(SKIP_2) | instid1(VALU_DEP_1)
	v_pk_add_f32 v[114:115], v[114:115], v[116:117]
	s_wait_loadcnt 0x0
	s_set_vgpr_msb 1                        ;  msbs: dst=0 src0=1 src1=0 src2=0
	v_pk_add_f32 v[114:115], v[2:3] /*v[258:259]*/, v[114:115] neg_lo:[0,1] neg_hi:[0,1]
	scratch_store_b64 off, v[114:115], off offset:152
	s_wait_xcnt 0x0
	v_cmpx_lt_u32_e32 18, v0
	s_set_vgpr_msb 0                        ;  msbs: dst=0 src0=0 src1=0 src2=0
	s_cbranch_execz .LBB55_313
; %bb.312:
	scratch_load_b64 v[114:115], off, off offset:144
	v_mov_b64_e32 v[116:117], 0
	scratch_store_b64 off, v[116:117], off offset:144
	s_wait_loadcnt 0x0
	ds_store_b64 v1, v[114:115]
.LBB55_313:
	s_wait_xcnt 0x0
	s_or_b32 exec_lo, exec_lo, s0
	s_wait_storecnt_dscnt 0x0
	s_barrier_signal -1
	s_barrier_wait -1
	s_clause 0x14
	scratch_load_b128 v[114:117], off, off offset:152
	scratch_load_b128 v[118:121], off, off offset:168
	;; [unrolled: 1-line block ×18, first 2 shown]
	s_set_vgpr_msb 64                       ;  msbs: dst=1 src0=0 src1=0 src2=0
	scratch_load_b64 v[2:3] /*v[258:259]*/, off, off offset:440
	scratch_load_b64 v[4:5] /*v[260:261]*/, off, off offset:144
	s_set_vgpr_msb 0                        ;  msbs: dst=0 src0=0 src1=0 src2=0
	v_mov_b32_e32 v7, 0
	ds_load_2addr_b64 v[186:189], v7 offset0:103 offset1:104
	ds_load_2addr_b64 v[190:193], v7 offset0:105 offset1:106
	;; [unrolled: 1-line block ×18, first 2 shown]
	s_set_vgpr_msb 64                       ;  msbs: dst=1 src0=0 src1=0 src2=0
	ds_load_b64 v[6:7] /*v[262:263]*/, v7 offset:888
	s_mov_b32 s0, exec_lo
	s_wait_dscnt 0x12
	v_dual_mov_b32 v8 /*v264*/, v189 :: v_dual_mov_b32 v9 /*v265*/, v188
	s_wait_dscnt 0x11
	v_dual_mov_b32 v10 /*v266*/, v193 :: v_dual_mov_b32 v11 /*v267*/, v192
	;; [unrolled: 2-line block ×4, first 2 shown]
	s_wait_loadcnt 0x13
	s_set_vgpr_msb 0                        ;  msbs: dst=0 src0=0 src1=0 src2=0
	v_dual_mul_f32 v9, v198, v115 :: v_dual_mul_f32 v63, v199, v115
	v_dual_mul_f32 v65, v201, v117 :: v_dual_mul_f32 v11, v200, v117
	s_wait_loadcnt 0x12
	v_mul_f32_e32 v13, v202, v119
	s_wait_loadcnt_dscnt 0x100b
	v_dual_mul_f32 v75, v215, v127 :: v_dual_fma_f32 v63, v198, v114, -v63
	v_dual_fmac_f32 v9, v199, v114 :: v_dual_mul_f32 v77, v217, v129
	v_dual_mul_f32 v67, v203, v119 :: v_dual_mul_f32 v69, v205, v121
	v_dual_fmac_f32 v11, v201, v116 :: v_dual_fma_f32 v65, v200, v116, -v65
	s_delay_alu instid0(VALU_DEP_3) | instskip(SKIP_3) | instid1(VALU_DEP_3)
	v_dual_add_f32 v9, 0, v9 :: v_dual_add_f32 v63, 0, v63
	v_dual_mul_f32 v15, v204, v121 :: v_dual_mul_f32 v17, v210, v123
	s_wait_loadcnt_dscnt 0xf0a
	v_dual_mul_f32 v79, v219, v131 :: v_dual_fma_f32 v67, v202, v118, -v67
	v_dual_fmac_f32 v13, v203, v118 :: v_dual_add_f32 v9, v9, v11
	s_delay_alu instid0(VALU_DEP_3) | instskip(SKIP_2) | instid1(VALU_DEP_3)
	v_dual_add_f32 v11, v63, v65 :: v_dual_fmac_f32 v15, v205, v120
	v_dual_mul_f32 v71, v211, v123 :: v_dual_mul_f32 v73, v213, v125
	v_dual_mul_f32 v63, v221, v133 :: v_dual_fma_f32 v65, v204, v120, -v69
	v_dual_add_f32 v9, v9, v13 :: v_dual_add_f32 v11, v11, v67
	v_dual_mul_f32 v19, v212, v125 :: v_dual_mul_f32 v21, v214, v127
	s_wait_loadcnt_dscnt 0xe09
	v_dual_mul_f32 v13, v223, v135 :: v_dual_fma_f32 v67, v210, v122, -v71
	s_delay_alu instid0(VALU_DEP_3) | instskip(NEXT) | instid1(VALU_DEP_3)
	v_dual_fmac_f32 v17, v211, v122 :: v_dual_add_f32 v9, v9, v15
	v_dual_add_f32 v11, v11, v65 :: v_dual_fmac_f32 v19, v213, v124
	v_dual_mul_f32 v15, v225, v137 :: v_dual_fma_f32 v65, v212, v124, -v73
	s_delay_alu instid0(VALU_DEP_2) | instskip(SKIP_3) | instid1(VALU_DEP_3)
	v_dual_add_f32 v9, v9, v17 :: v_dual_add_f32 v11, v11, v67
	v_dual_mul_f32 v23, v216, v129 :: v_dual_mul_f32 v25, v218, v131
	s_wait_loadcnt_dscnt 0xd08
	v_dual_mul_f32 v17, v227, v139 :: v_dual_fma_f32 v67, v214, v126, -v75
	v_dual_fmac_f32 v21, v215, v126 :: v_dual_add_f32 v9, v9, v19
	s_delay_alu instid0(VALU_DEP_3) | instskip(SKIP_1) | instid1(VALU_DEP_2)
	v_dual_add_f32 v11, v11, v65 :: v_dual_fmac_f32 v23, v217, v128
	v_dual_mul_f32 v19, v229, v141 :: v_dual_fma_f32 v65, v216, v128, -v77
	v_dual_add_f32 v9, v9, v21 :: v_dual_add_f32 v11, v11, v67
	v_dual_mul_f32 v27, v220, v133 :: v_dual_mul_f32 v29, v222, v135
	s_wait_loadcnt_dscnt 0xc07
	v_dual_mul_f32 v21, v231, v143 :: v_dual_fma_f32 v67, v218, v130, -v79
	s_delay_alu instid0(VALU_DEP_3) | instskip(NEXT) | instid1(VALU_DEP_3)
	v_dual_fmac_f32 v25, v219, v130 :: v_dual_add_f32 v9, v9, v23
	v_dual_add_f32 v11, v11, v65 :: v_dual_fmac_f32 v27, v221, v132
	v_dual_mul_f32 v23, v233, v145 :: v_dual_fma_f32 v63, v220, v132, -v63
	s_delay_alu instid0(VALU_DEP_2) | instskip(SKIP_3) | instid1(VALU_DEP_3)
	v_dual_add_f32 v9, v9, v25 :: v_dual_add_f32 v11, v11, v67
	v_dual_mul_f32 v31, v224, v137 :: v_dual_mul_f32 v33, v226, v139
	s_wait_loadcnt_dscnt 0xb06
	v_dual_mul_f32 v25, v235, v147 :: v_dual_fma_f32 v13, v222, v134, -v13
	v_dual_fmac_f32 v29, v223, v134 :: v_dual_add_f32 v9, v9, v27
	v_dual_add_f32 v11, v11, v63 :: v_dual_mul_f32 v27, v237, v149
	v_fmac_f32_e32 v31, v225, v136
	s_delay_alu instid0(VALU_DEP_3) | instskip(NEXT) | instid1(VALU_DEP_3)
	v_dual_fma_f32 v15, v224, v136, -v15 :: v_dual_add_f32 v9, v9, v29
	v_add_f32_e32 v11, v11, v13
	v_dual_mul_f32 v35, v228, v141 :: v_dual_mul_f32 v37, v230, v143
	s_wait_loadcnt_dscnt 0xa05
	v_dual_mul_f32 v13, v239, v151 :: v_dual_fma_f32 v17, v226, v138, -v17
	v_dual_fmac_f32 v33, v227, v138 :: v_dual_add_f32 v9, v9, v31
	v_dual_add_f32 v11, v11, v15 :: v_dual_mul_f32 v15, v241, v153
	v_fmac_f32_e32 v35, v229, v140
	s_delay_alu instid0(VALU_DEP_3) | instskip(NEXT) | instid1(VALU_DEP_3)
	v_dual_fma_f32 v19, v228, v140, -v19 :: v_dual_add_f32 v9, v9, v33
	v_add_f32_e32 v11, v11, v17
	;; [unrolled: 9-line block ×5, first 2 shown]
	v_dual_mul_f32 v51, v244, v157 :: v_dual_mul_f32 v53, v246, v159
	s_wait_loadcnt_dscnt 0x601
	v_dual_mul_f32 v13, v255, v167 :: v_dual_fma_f32 v17, v242, v154, -v17
	v_dual_fmac_f32 v49, v243, v154 :: v_dual_add_f32 v9, v9, v47
	s_delay_alu instid0(VALU_DEP_3) | instskip(SKIP_2) | instid1(VALU_DEP_4)
	v_dual_add_f32 v11, v11, v15 :: v_dual_fmac_f32 v51, v245, v156
	v_fma_f32 v19, v244, v156, -v19
	v_dual_mul_f32 v55, v248, v161 :: v_dual_mul_f32 v57, v250, v163
	v_add_f32_e32 v9, v9, v49
	s_delay_alu instid0(VALU_DEP_4) | instskip(NEXT) | instid1(VALU_DEP_3)
	v_dual_add_f32 v11, v11, v17 :: v_dual_fma_f32 v21, v246, v158, -v21
	v_dual_fmac_f32 v53, v247, v158 :: v_dual_fmac_f32 v55, v249, v160
	s_delay_alu instid0(VALU_DEP_3) | instskip(NEXT) | instid1(VALU_DEP_3)
	v_add_f32_e32 v9, v9, v51
	v_dual_add_f32 v11, v11, v19 :: v_dual_fma_f32 v19, v248, v160, -v23
	v_dual_mul_f32 v59, v252, v165 :: v_dual_mul_f32 v61, v254, v167
	s_delay_alu instid0(VALU_DEP_3) | instskip(NEXT) | instid1(VALU_DEP_3)
	v_add_f32_e32 v9, v9, v53
	v_dual_add_f32 v11, v11, v21 :: v_dual_fma_f32 v21, v250, v162, -v25
	v_fmac_f32_e32 v57, v251, v162
	s_wait_loadcnt 0x5
	v_dual_mul_f32 v17, v187, v171 :: v_dual_mov_b32 v114, v173
	v_add_f32_e32 v9, v9, v55
	s_wait_loadcnt 0x4
	v_dual_add_f32 v11, v11, v19 :: v_dual_mov_b32 v118, v177
	v_fmac_f32_e32 v59, v253, v164
	s_delay_alu instid0(VALU_DEP_3) | instskip(NEXT) | instid1(VALU_DEP_3)
	v_dual_fma_f32 v19, v252, v164, -v27 :: v_dual_add_f32 v9, v9, v57
	v_add_f32_e32 v11, v11, v21
	s_set_vgpr_msb 1                        ;  msbs: dst=0 src0=1 src1=0 src2=0
	v_mul_f32_e32 v15, v1 /*v257*/, v169
	s_set_vgpr_msb 0x41                     ;  msbs: dst=1 src0=1 src1=0 src2=0
	v_mul_f32_e32 v17 /*v273*/, v0 /*v256*/, v169
	s_set_vgpr_msb 0                        ;  msbs: dst=0 src0=0 src1=0 src2=0
	v_dual_fmac_f32 v61, v255, v166 :: v_dual_add_f32 v9, v9, v59
	v_dual_fma_f32 v13, v254, v166, -v13 :: v_dual_add_f32 v11, v11, v19
	s_set_vgpr_msb 1                        ;  msbs: dst=0 src0=1 src1=0 src2=0
	v_pk_mul_f32 v[114:115], v[8:9] /*v[264:265]*/, v[114:115] op_sel_hi:[1,0]
	s_set_vgpr_msb 64                       ;  msbs: dst=1 src0=0 src1=0 src2=0
	v_dual_mul_f32 v19 /*v275*/, v186, v171 :: v_dual_fma_f32 v18 /*v274*/, v186, v170, -v17
	s_set_vgpr_msb 0x41                     ;  msbs: dst=1 src0=1 src1=0 src2=0
	v_fma_f32 v16 /*v272*/, v0 /*v256*/, v168, -v15
	v_fmac_f32_e32 v17 /*v273*/, v1 /*v257*/, v168
	s_wait_loadcnt 0x3
	s_set_vgpr_msb 0                        ;  msbs: dst=0 src0=0 src1=0 src2=0
	v_dual_add_f32 v122, v11, v13 :: v_dual_mov_b32 v124, v181
	v_pk_fma_f32 v[126:127], v[188:189], v[172:173], v[114:115] op_sel_hi:[1,0,1]
	v_add_f32_e32 v123, v9, v61
	v_pk_fma_f32 v[114:115], v[188:189], v[172:173], v[114:115] neg_lo:[0,0,1] neg_hi:[0,0,1]
	v_pk_mul_f32 v[116:117], v[190:191], v[174:175] op_sel:[1,1] op_sel_hi:[0,1]
	s_set_vgpr_msb 64                       ;  msbs: dst=1 src0=0 src1=0 src2=0
	v_fmac_f32_e32 v19 /*v275*/, v187, v170
	s_set_vgpr_msb 4                        ;  msbs: dst=0 src0=0 src1=1 src2=0
	v_mov_b32_e32 v115, v127
	v_pk_add_f32 v[122:123], v[122:123], v[16:17] /*v[272:273]*/
	s_set_vgpr_msb 1                        ;  msbs: dst=0 src0=1 src1=0 src2=0
	v_pk_mul_f32 v[118:119], v[10:11] /*v[266:267]*/, v[118:119] op_sel_hi:[1,0]
	s_set_vgpr_msb 0                        ;  msbs: dst=0 src0=0 src1=0 src2=0
	v_pk_fma_f32 v[128:129], v[190:191], v[174:175], v[116:117] op_sel_hi:[1,0,1]
	v_pk_fma_f32 v[116:117], v[190:191], v[174:175], v[116:117] neg_lo:[0,0,1] neg_hi:[0,0,1]
	v_pk_mul_f32 v[120:121], v[194:195], v[178:179] op_sel:[1,1] op_sel_hi:[0,1]
	s_set_vgpr_msb 4                        ;  msbs: dst=0 src0=0 src1=1 src2=0
	v_pk_add_f32 v[122:123], v[122:123], v[18:19] /*v[274:275]*/
	s_set_vgpr_msb 1                        ;  msbs: dst=0 src0=1 src1=0 src2=0
	v_pk_mul_f32 v[124:125], v[12:13] /*v[268:269]*/, v[124:125] op_sel_hi:[1,0]
	s_set_vgpr_msb 0                        ;  msbs: dst=0 src0=0 src1=0 src2=0
	v_mov_b32_e32 v117, v129
	v_pk_fma_f32 v[128:129], v[192:193], v[176:177], v[118:119] op_sel_hi:[1,0,1]
	v_pk_fma_f32 v[118:119], v[192:193], v[176:177], v[118:119] neg_lo:[0,0,1] neg_hi:[0,0,1]
	v_pk_add_f32 v[114:115], v[122:123], v[114:115]
	v_pk_fma_f32 v[122:123], v[194:195], v[178:179], v[120:121] op_sel_hi:[1,0,1]
	v_pk_fma_f32 v[120:121], v[194:195], v[178:179], v[120:121] neg_lo:[0,0,1] neg_hi:[0,0,1]
	v_mov_b32_e32 v119, v129
	s_wait_loadcnt 0x2
	v_pk_mul_f32 v[126:127], v[206:207], v[182:183] op_sel:[1,1] op_sel_hi:[0,1]
	v_pk_add_f32 v[114:115], v[114:115], v[116:117]
	v_dual_mov_b32 v116, v185 :: v_dual_mov_b32 v121, v123
	v_pk_fma_f32 v[122:123], v[196:197], v[180:181], v[124:125] op_sel_hi:[1,0,1]
	v_pk_fma_f32 v[124:125], v[196:197], v[180:181], v[124:125] neg_lo:[0,0,1] neg_hi:[0,0,1]
	s_delay_alu instid0(VALU_DEP_4)
	v_pk_add_f32 v[114:115], v[114:115], v[118:119]
	v_pk_fma_f32 v[118:119], v[206:207], v[182:183], v[126:127] op_sel_hi:[1,0,1]
	s_set_vgpr_msb 1                        ;  msbs: dst=0 src0=1 src1=0 src2=0
	v_pk_mul_f32 v[116:117], v[14:15] /*v[270:271]*/, v[116:117] op_sel_hi:[1,0]
	s_set_vgpr_msb 0                        ;  msbs: dst=0 src0=0 src1=0 src2=0
	v_mov_b32_e32 v125, v123
	s_wait_loadcnt_dscnt 0x100
	s_set_vgpr_msb 5                        ;  msbs: dst=0 src0=1 src1=1 src2=0
	v_pk_mul_f32 v[122:123], v[6:7] /*v[262:263]*/, v[2:3] /*v[258:259]*/ op_sel:[1,1] op_sel_hi:[0,1]
	s_set_vgpr_msb 0                        ;  msbs: dst=0 src0=0 src1=0 src2=0
	v_pk_add_f32 v[114:115], v[114:115], v[120:121]
	v_pk_fma_f32 v[120:121], v[206:207], v[182:183], v[126:127] neg_lo:[0,0,1] neg_hi:[0,0,1]
	v_mov_b32_e32 v121, v119
	v_pk_fma_f32 v[118:119], v[208:209], v[184:185], v[116:117] op_sel_hi:[1,0,1]
	v_pk_fma_f32 v[116:117], v[208:209], v[184:185], v[116:117] neg_lo:[0,0,1] neg_hi:[0,0,1]
	v_pk_add_f32 v[114:115], v[114:115], v[124:125]
	s_delay_alu instid0(VALU_DEP_3)
	v_mov_b32_e32 v117, v119
	s_set_vgpr_msb 5                        ;  msbs: dst=0 src0=1 src1=1 src2=0
	v_pk_fma_f32 v[118:119], v[6:7] /*v[262:263]*/, v[2:3] /*v[258:259]*/, v[122:123] op_sel_hi:[1,0,1]
	s_set_vgpr_msb 0                        ;  msbs: dst=0 src0=0 src1=0 src2=0
	v_pk_add_f32 v[114:115], v[114:115], v[120:121]
	s_set_vgpr_msb 5                        ;  msbs: dst=0 src0=1 src1=1 src2=0
	v_pk_fma_f32 v[120:121], v[6:7] /*v[262:263]*/, v[2:3] /*v[258:259]*/, v[122:123] neg_lo:[0,0,1] neg_hi:[0,0,1]
	s_set_vgpr_msb 0                        ;  msbs: dst=0 src0=0 src1=0 src2=0
	v_mov_b32_e32 v121, v119
	v_pk_add_f32 v[114:115], v[114:115], v[116:117]
	s_delay_alu instid0(VALU_DEP_1) | instskip(SKIP_2) | instid1(VALU_DEP_1)
	v_pk_add_f32 v[114:115], v[114:115], v[120:121]
	s_wait_loadcnt 0x0
	s_set_vgpr_msb 1                        ;  msbs: dst=0 src0=1 src1=0 src2=0
	v_pk_add_f32 v[114:115], v[4:5] /*v[260:261]*/, v[114:115] neg_lo:[0,1] neg_hi:[0,1]
	scratch_store_b64 off, v[114:115], off offset:144
	s_wait_xcnt 0x0
	v_cmpx_lt_u32_e32 17, v0
	s_set_vgpr_msb 0                        ;  msbs: dst=0 src0=0 src1=0 src2=0
	s_cbranch_execz .LBB55_315
; %bb.314:
	scratch_load_b64 v[114:115], off, off offset:136
	v_mov_b64_e32 v[116:117], 0
	scratch_store_b64 off, v[116:117], off offset:136
	s_wait_loadcnt 0x0
	ds_store_b64 v1, v[114:115]
.LBB55_315:
	s_wait_xcnt 0x0
	s_or_b32 exec_lo, exec_lo, s0
	s_wait_storecnt_dscnt 0x0
	s_barrier_signal -1
	s_barrier_wait -1
	s_clause 0x14
	scratch_load_b128 v[114:117], off, off offset:144
	scratch_load_b128 v[118:121], off, off offset:160
	;; [unrolled: 1-line block ×19, first 2 shown]
	s_set_vgpr_msb 64                       ;  msbs: dst=1 src0=0 src1=0 src2=0
	scratch_load_b64 v[10:11] /*v[266:267]*/, off, off offset:136
	s_set_vgpr_msb 0                        ;  msbs: dst=0 src0=0 src1=0 src2=0
	ds_load_b128 v[190:193], v7 offset:832
	ds_load_b128 v[194:197], v7 offset:848
	;; [unrolled: 1-line block ×17, first 2 shown]
	s_set_vgpr_msb 64                       ;  msbs: dst=1 src0=0 src1=0 src2=0
	ds_load_b128 v[2:5] /*v[258:261]*/, v7 offset:784
	ds_load_b128 v[6:9] /*v[262:265]*/, v7 offset:800
	s_mov_b32 s0, exec_lo
	s_wait_dscnt 0x12
	v_dual_mov_b32 v12 /*v268*/, v193 :: v_dual_mov_b32 v13 /*v269*/, v192
	s_wait_dscnt 0x11
	v_dual_mov_b32 v14 /*v270*/, v197 :: v_dual_mov_b32 v15 /*v271*/, v196
	s_wait_dscnt 0xf
	v_dual_mov_b32 v16 /*v272*/, v205 :: v_dual_mov_b32 v17 /*v273*/, v204
	s_wait_dscnt 0xe
	v_dual_mov_b32 v18 /*v274*/, v209 :: v_dual_mov_b32 v19 /*v275*/, v208
	s_wait_loadcnt_dscnt 0x130d
	s_set_vgpr_msb 0                        ;  msbs: dst=0 src0=0 src1=0 src2=0
	v_dual_mul_f32 v7, v210, v115 :: v_dual_mul_f32 v9, v212, v117
	s_wait_loadcnt_dscnt 0x120c
	v_dual_mul_f32 v63, v211, v115 :: v_dual_mul_f32 v69, v217, v121
	v_dual_mul_f32 v11, v214, v119 :: v_dual_mul_f32 v13, v216, v121
	s_delay_alu instid0(VALU_DEP_3)
	v_dual_fmac_f32 v7, v211, v114 :: v_dual_fmac_f32 v9, v213, v116
	v_dual_mul_f32 v65, v213, v117 :: v_dual_mul_f32 v67, v215, v119
	s_wait_loadcnt_dscnt 0x802
	v_dual_mul_f32 v73, v221, v125 :: v_dual_mul_f32 v51, v254, v159
	v_dual_mul_f32 v71, v219, v123 :: v_dual_fma_f32 v63, v210, v114, -v63
	s_wait_loadcnt_dscnt 0x600
	s_set_vgpr_msb 1                        ;  msbs: dst=0 src0=1 src1=0 src2=0
	v_dual_mul_f32 v61, v8 /*v264*/, v169 :: v_dual_add_f32 v7, 0, v7
	s_set_vgpr_msb 0                        ;  msbs: dst=0 src0=0 src1=0 src2=0
	v_dual_mul_f32 v75, v223, v127 :: v_dual_fma_f32 v65, v212, v116, -v65
	v_dual_add_f32 v63, 0, v63 :: v_dual_mul_f32 v77, v225, v129
	v_dual_fmac_f32 v11, v215, v118 :: v_dual_fmac_f32 v13, v217, v120
	v_dual_fma_f32 v67, v214, v118, -v67 :: v_dual_add_f32 v7, v7, v9
	v_dual_mul_f32 v15, v218, v123 :: v_dual_mul_f32 v17, v220, v125
	s_delay_alu instid0(VALU_DEP_4) | instskip(NEXT) | instid1(VALU_DEP_3)
	v_dual_add_f32 v9, v63, v65 :: v_dual_fma_f32 v65, v216, v120, -v69
	v_add_f32_e32 v7, v7, v11
	s_delay_alu instid0(VALU_DEP_3) | instskip(NEXT) | instid1(VALU_DEP_3)
	v_dual_fmac_f32 v15, v219, v122 :: v_dual_mul_f32 v19, v222, v127
	v_dual_mul_f32 v21, v224, v129 :: v_dual_add_f32 v9, v9, v67
	s_delay_alu instid0(VALU_DEP_3) | instskip(SKIP_1) | instid1(VALU_DEP_3)
	v_dual_fma_f32 v67, v218, v122, -v71 :: v_dual_add_f32 v7, v7, v13
	v_dual_fmac_f32 v17, v221, v124 :: v_dual_mul_f32 v13, v231, v135
	v_dual_add_f32 v9, v9, v65 :: v_dual_fma_f32 v65, v220, v124, -v73
	s_delay_alu instid0(VALU_DEP_3) | instskip(SKIP_1) | instid1(VALU_DEP_3)
	v_add_f32_e32 v7, v7, v15
	v_dual_fmac_f32 v19, v223, v126 :: v_dual_mul_f32 v23, v226, v131
	v_dual_mul_f32 v25, v228, v133 :: v_dual_add_f32 v9, v9, v67
	s_delay_alu instid0(VALU_DEP_3) | instskip(SKIP_1) | instid1(VALU_DEP_3)
	v_dual_add_f32 v7, v7, v17 :: v_dual_fmac_f32 v21, v225, v128
	v_dual_mul_f32 v15, v233, v137 :: v_dual_fma_f32 v67, v222, v126, -v75
	v_dual_add_f32 v9, v9, v65 :: v_dual_mul_f32 v17, v235, v139
	s_delay_alu instid0(VALU_DEP_3) | instskip(SKIP_1) | instid1(VALU_DEP_3)
	v_dual_fma_f32 v65, v224, v128, -v77 :: v_dual_add_f32 v7, v7, v19
	v_dual_mul_f32 v63, v227, v131 :: v_dual_mul_f32 v11, v229, v133
	v_dual_add_f32 v9, v9, v67 :: v_dual_fmac_f32 v23, v227, v130
	s_delay_alu instid0(VALU_DEP_3) | instskip(SKIP_1) | instid1(VALU_DEP_4)
	v_dual_add_f32 v7, v7, v21 :: v_dual_fmac_f32 v25, v229, v132
	v_dual_mul_f32 v27, v230, v135 :: v_dual_mul_f32 v29, v232, v137
	v_dual_mul_f32 v19, v237, v141 :: v_dual_fma_f32 v63, v226, v130, -v63
	s_delay_alu instid0(VALU_DEP_4) | instskip(NEXT) | instid1(VALU_DEP_4)
	v_dual_add_f32 v9, v9, v65 :: v_dual_mul_f32 v21, v239, v143
	v_dual_fma_f32 v11, v228, v132, -v11 :: v_dual_add_f32 v7, v7, v23
	s_delay_alu instid0(VALU_DEP_2) | instskip(SKIP_1) | instid1(VALU_DEP_3)
	v_dual_fmac_f32 v27, v231, v134 :: v_dual_add_f32 v9, v9, v63
	v_dual_mul_f32 v31, v234, v139 :: v_dual_mul_f32 v33, v236, v141
	v_add_f32_e32 v7, v7, v25
	v_dual_mul_f32 v23, v241, v145 :: v_dual_fma_f32 v13, v230, v134, -v13
	s_delay_alu instid0(VALU_DEP_4) | instskip(SKIP_1) | instid1(VALU_DEP_4)
	v_add_f32_e32 v9, v9, v11
	v_dual_mul_f32 v11, v243, v147 :: v_dual_fmac_f32 v29, v233, v136
	v_dual_fma_f32 v15, v232, v136, -v15 :: v_dual_add_f32 v7, v7, v27
	s_delay_alu instid0(VALU_DEP_3) | instskip(SKIP_1) | instid1(VALU_DEP_2)
	v_dual_add_f32 v9, v9, v13 :: v_dual_fmac_f32 v31, v235, v138
	v_dual_mul_f32 v35, v238, v143 :: v_dual_mul_f32 v37, v240, v145
	v_dual_add_f32 v7, v7, v29 :: v_dual_add_f32 v9, v9, v15
	v_dual_mul_f32 v13, v245, v149 :: v_dual_fma_f32 v17, v234, v138, -v17
	v_dual_mul_f32 v15, v247, v151 :: v_dual_fmac_f32 v33, v237, v140
	s_delay_alu instid0(VALU_DEP_3) | instskip(NEXT) | instid1(VALU_DEP_3)
	v_dual_fma_f32 v19, v236, v140, -v19 :: v_dual_add_f32 v7, v7, v31
	v_dual_add_f32 v9, v9, v17 :: v_dual_fmac_f32 v35, v239, v142
	v_dual_mul_f32 v39, v242, v147 :: v_dual_mul_f32 v41, v244, v149
	s_delay_alu instid0(VALU_DEP_2) | instskip(SKIP_2) | instid1(VALU_DEP_3)
	v_dual_add_f32 v7, v7, v33 :: v_dual_add_f32 v9, v9, v19
	v_dual_mul_f32 v17, v249, v153 :: v_dual_fma_f32 v21, v238, v142, -v21
	v_dual_mul_f32 v19, v251, v155 :: v_dual_fmac_f32 v37, v241, v144
	v_dual_fma_f32 v23, v240, v144, -v23 :: v_dual_add_f32 v7, v7, v35
	s_delay_alu instid0(VALU_DEP_3) | instskip(SKIP_1) | instid1(VALU_DEP_2)
	v_dual_add_f32 v9, v9, v21 :: v_dual_fmac_f32 v39, v243, v146
	v_dual_mul_f32 v43, v246, v151 :: v_dual_mul_f32 v45, v248, v153
	v_dual_add_f32 v7, v7, v37 :: v_dual_add_f32 v9, v9, v23
	v_dual_mul_f32 v21, v253, v157 :: v_dual_fma_f32 v11, v242, v146, -v11
	v_dual_mul_f32 v23, v255, v159 :: v_dual_fmac_f32 v41, v245, v148
	s_delay_alu instid0(VALU_DEP_3) | instskip(NEXT) | instid1(VALU_DEP_3)
	v_dual_fma_f32 v13, v244, v148, -v13 :: v_dual_add_f32 v7, v7, v39
	v_dual_add_f32 v9, v9, v11 :: v_dual_fmac_f32 v43, v247, v150
	v_fma_f32 v15, v246, v150, -v15
	v_dual_mul_f32 v47, v250, v155 :: v_dual_mul_f32 v49, v252, v157
	s_delay_alu instid0(VALU_DEP_4) | instskip(NEXT) | instid1(VALU_DEP_4)
	v_add_f32_e32 v7, v7, v41
	v_dual_add_f32 v9, v9, v13 :: v_dual_fma_f32 v17, v248, v152, -v17
	s_delay_alu instid0(VALU_DEP_3) | instskip(NEXT) | instid1(VALU_DEP_3)
	v_dual_fmac_f32 v45, v249, v152 :: v_dual_fmac_f32 v47, v251, v154
	v_add_f32_e32 v7, v7, v43
	s_delay_alu instid0(VALU_DEP_3)
	v_dual_add_f32 v9, v9, v15 :: v_dual_fma_f32 v19, v250, v154, -v19
	s_set_vgpr_msb 1                        ;  msbs: dst=0 src0=1 src1=0 src2=0
	v_dual_mul_f32 v53, v0 /*v256*/, v161 :: v_dual_mul_f32 v55, v2 /*v258*/, v163
	s_set_vgpr_msb 0                        ;  msbs: dst=0 src0=0 src1=0 src2=0
	v_add_f32_e32 v7, v7, v45
	v_dual_add_f32 v9, v9, v17 :: v_dual_fma_f32 v21, v252, v156, -v21
	v_dual_fmac_f32 v49, v253, v156 :: v_dual_fmac_f32 v51, v255, v158
	s_delay_alu instid0(VALU_DEP_3) | instskip(NEXT) | instid1(VALU_DEP_3)
	v_add_f32_e32 v7, v7, v47
	v_dual_add_f32 v9, v9, v19 :: v_dual_fma_f32 v23, v254, v158, -v23
	s_set_vgpr_msb 1                        ;  msbs: dst=0 src0=1 src1=0 src2=0
	v_dual_mul_f32 v11, v1 /*v257*/, v161 :: v_dual_mul_f32 v13, v3 /*v259*/, v163
	s_set_vgpr_msb 0                        ;  msbs: dst=0 src0=0 src1=0 src2=0
	v_add_f32_e32 v7, v7, v49
	s_wait_loadcnt 0x5
	v_dual_add_f32 v9, v9, v21 :: v_dual_mul_f32 v21, v199, v171
	s_set_vgpr_msb 1                        ;  msbs: dst=0 src0=1 src1=0 src2=0
	v_dual_fmac_f32 v53, v1 /*v257*/, v160 :: v_dual_fmac_f32 v55, v3 /*v259*/, v162
	s_set_vgpr_msb 0                        ;  msbs: dst=0 src0=0 src1=0 src2=0
	v_add_f32_e32 v7, v7, v51
	s_set_vgpr_msb 1                        ;  msbs: dst=0 src0=1 src1=0 src2=0
	v_dual_mul_f32 v57, v4 /*v260*/, v165 :: v_dual_mul_f32 v59, v6 /*v262*/, v167
	v_dual_mul_f32 v19, v9 /*v265*/, v169 :: v_dual_fma_f32 v11, v0 /*v256*/, v160, -v11
	s_set_vgpr_msb 0                        ;  msbs: dst=0 src0=0 src1=0 src2=0
	v_add_f32_e32 v9, v9, v23
	v_mul_f32_e32 v23, v201, v173
	v_add_f32_e32 v7, v7, v53
	s_set_vgpr_msb 1                        ;  msbs: dst=0 src0=1 src1=0 src2=0
	v_dual_mul_f32 v15, v5 /*v261*/, v165 :: v_dual_mul_f32 v17, v7 /*v263*/, v167
	v_fma_f32 v13, v2 /*v258*/, v162, -v13
	v_dual_fmac_f32 v57, v5 /*v261*/, v164 :: v_dual_fmac_f32 v59, v7 /*v263*/, v166
	s_set_vgpr_msb 0                        ;  msbs: dst=0 src0=0 src1=0 src2=0
	v_add_f32_e32 v7, v7, v55
	v_add_f32_e32 v9, v9, v11
	s_set_vgpr_msb 1                        ;  msbs: dst=0 src0=1 src1=0 src2=0
	v_fma_f32 v11, v4 /*v260*/, v164, -v15
	v_fmac_f32_e32 v61, v9 /*v265*/, v168
	s_set_vgpr_msb 64                       ;  msbs: dst=1 src0=0 src1=0 src2=0
	v_dual_mul_f32 v21 /*v277*/, v198, v171 :: v_dual_mul_f32 v23 /*v279*/, v200, v173
	s_set_vgpr_msb 0                        ;  msbs: dst=0 src0=0 src1=0 src2=0
	v_add_f32_e32 v7, v7, v57
	v_add_f32_e32 v9, v9, v13
	s_wait_loadcnt 0x4
	v_mov_b32_e32 v116, v177
	s_set_vgpr_msb 1                        ;  msbs: dst=0 src0=1 src1=0 src2=0
	v_fma_f32 v13, v6 /*v262*/, v166, -v17
	s_set_vgpr_msb 0                        ;  msbs: dst=0 src0=0 src1=0 src2=0
	v_pk_mul_f32 v[114:115], v[190:191], v[174:175] op_sel:[1,1] op_sel_hi:[0,1]
	v_add_f32_e32 v7, v7, v59
	v_add_f32_e32 v9, v9, v11
	s_set_vgpr_msb 1                        ;  msbs: dst=0 src0=1 src1=0 src2=0
	v_fma_f32 v11, v8 /*v264*/, v168, -v19
	s_set_vgpr_msb 64                       ;  msbs: dst=1 src0=0 src1=0 src2=0
	v_dual_fmac_f32 v21 /*v277*/, v199, v170 :: v_dual_fmac_f32 v23 /*v279*/, v201, v172
	s_set_vgpr_msb 0                        ;  msbs: dst=0 src0=0 src1=0 src2=0
	v_add_f32_e32 v123, v7, v61
	v_add_f32_e32 v9, v9, v13
	s_set_vgpr_msb 64                       ;  msbs: dst=1 src0=0 src1=0 src2=0
	v_dual_fma_f32 v20 /*v276*/, v198, v170, -v21 :: v_dual_fma_f32 v22 /*v278*/, v200, v172, -v23
	s_set_vgpr_msb 0                        ;  msbs: dst=0 src0=0 src1=0 src2=0
	v_pk_fma_f32 v[124:125], v[190:191], v[174:175], v[114:115] op_sel_hi:[1,0,1]
	s_set_vgpr_msb 1                        ;  msbs: dst=0 src0=1 src1=0 src2=0
	v_pk_mul_f32 v[116:117], v[12:13] /*v[268:269]*/, v[116:117] op_sel_hi:[1,0]
	s_set_vgpr_msb 0                        ;  msbs: dst=0 src0=0 src1=0 src2=0
	v_add_f32_e32 v122, v9, v11
	v_pk_fma_f32 v[114:115], v[190:191], v[174:175], v[114:115] neg_lo:[0,0,1] neg_hi:[0,0,1]
	s_wait_loadcnt 0x3
	v_pk_mul_f32 v[118:119], v[194:195], v[178:179] op_sel:[1,1] op_sel_hi:[0,1]
	v_dual_mov_b32 v120, v181 :: v_dual_mov_b32 v115, v125
	s_set_vgpr_msb 4                        ;  msbs: dst=0 src0=0 src1=1 src2=0
	v_pk_add_f32 v[122:123], v[122:123], v[20:21] /*v[276:277]*/
	s_set_vgpr_msb 0                        ;  msbs: dst=0 src0=0 src1=0 src2=0
	v_pk_fma_f32 v[124:125], v[192:193], v[176:177], v[116:117] op_sel_hi:[1,0,1]
	v_pk_fma_f32 v[116:117], v[192:193], v[176:177], v[116:117] neg_lo:[0,0,1] neg_hi:[0,0,1]
	v_pk_fma_f32 v[128:129], v[194:195], v[178:179], v[118:119] op_sel_hi:[1,0,1]
	s_set_vgpr_msb 1                        ;  msbs: dst=0 src0=1 src1=0 src2=0
	v_pk_mul_f32 v[120:121], v[14:15] /*v[270:271]*/, v[120:121] op_sel_hi:[1,0]
	s_set_vgpr_msb 4                        ;  msbs: dst=0 src0=0 src1=1 src2=0
	v_pk_add_f32 v[122:123], v[122:123], v[22:23] /*v[278:279]*/
	v_mov_b32_e32 v117, v125
	s_wait_loadcnt 0x2
	s_set_vgpr_msb 0                        ;  msbs: dst=0 src0=0 src1=0 src2=0
	v_pk_mul_f32 v[126:127], v[202:203], v[182:183] op_sel:[1,1] op_sel_hi:[0,1]
	v_pk_fma_f32 v[118:119], v[194:195], v[178:179], v[118:119] neg_lo:[0,0,1] neg_hi:[0,0,1]
	v_pk_fma_f32 v[124:125], v[196:197], v[180:181], v[120:121] op_sel_hi:[1,0,1]
	v_pk_add_f32 v[114:115], v[122:123], v[114:115]
	v_dual_mov_b32 v122, v185 :: v_dual_mov_b32 v119, v129
	v_pk_fma_f32 v[120:121], v[196:197], v[180:181], v[120:121] neg_lo:[0,0,1] neg_hi:[0,0,1]
	s_delay_alu instid0(VALU_DEP_4) | instskip(NEXT) | instid1(VALU_DEP_4)
	v_mov_b32_e32 v121, v125
	v_pk_add_f32 v[114:115], v[114:115], v[116:117]
	v_pk_fma_f32 v[116:117], v[202:203], v[182:183], v[126:127] op_sel_hi:[1,0,1]
	s_set_vgpr_msb 1                        ;  msbs: dst=0 src0=1 src1=0 src2=0
	v_pk_mul_f32 v[122:123], v[16:17] /*v[272:273]*/, v[122:123] op_sel_hi:[1,0]
	s_set_vgpr_msb 0                        ;  msbs: dst=0 src0=0 src1=0 src2=0
	v_pk_fma_f32 v[124:125], v[202:203], v[182:183], v[126:127] neg_lo:[0,0,1] neg_hi:[0,0,1]
	v_pk_add_f32 v[114:115], v[114:115], v[118:119]
	v_mov_b32_e32 v125, v117
	v_pk_fma_f32 v[116:117], v[204:205], v[184:185], v[122:123] op_sel_hi:[1,0,1]
	s_wait_loadcnt 0x1
	v_pk_mul_f32 v[118:119], v[206:207], v[186:187] op_sel:[1,1] op_sel_hi:[0,1]
	v_mov_b32_e32 v116, v189
	v_pk_add_f32 v[114:115], v[114:115], v[120:121]
	v_pk_fma_f32 v[122:123], v[204:205], v[184:185], v[122:123] neg_lo:[0,0,1] neg_hi:[0,0,1]
	s_delay_alu instid0(VALU_DEP_4) | instskip(SKIP_1) | instid1(VALU_DEP_4)
	v_pk_fma_f32 v[120:121], v[206:207], v[186:187], v[118:119] op_sel_hi:[1,0,1]
	v_mov_b32_e32 v123, v117
	v_pk_add_f32 v[114:115], v[114:115], v[124:125]
	s_set_vgpr_msb 1                        ;  msbs: dst=0 src0=1 src1=0 src2=0
	v_pk_mul_f32 v[116:117], v[18:19] /*v[274:275]*/, v[116:117] op_sel_hi:[1,0]
	s_set_vgpr_msb 0                        ;  msbs: dst=0 src0=0 src1=0 src2=0
	v_pk_fma_f32 v[118:119], v[206:207], v[186:187], v[118:119] neg_lo:[0,0,1] neg_hi:[0,0,1]
	v_mov_b32_e32 v119, v121
	v_pk_add_f32 v[114:115], v[114:115], v[122:123]
	v_pk_fma_f32 v[120:121], v[208:209], v[188:189], v[116:117] op_sel_hi:[1,0,1]
	v_pk_fma_f32 v[116:117], v[208:209], v[188:189], v[116:117] neg_lo:[0,0,1] neg_hi:[0,0,1]
	s_delay_alu instid0(VALU_DEP_3) | instskip(NEXT) | instid1(VALU_DEP_3)
	v_pk_add_f32 v[114:115], v[114:115], v[118:119]
	v_mov_b32_e32 v117, v121
	s_delay_alu instid0(VALU_DEP_1) | instskip(SKIP_2) | instid1(VALU_DEP_1)
	v_pk_add_f32 v[114:115], v[114:115], v[116:117]
	s_wait_loadcnt 0x0
	s_set_vgpr_msb 1                        ;  msbs: dst=0 src0=1 src1=0 src2=0
	v_pk_add_f32 v[114:115], v[10:11] /*v[266:267]*/, v[114:115] neg_lo:[0,1] neg_hi:[0,1]
	scratch_store_b64 off, v[114:115], off offset:136
	s_wait_xcnt 0x0
	v_cmpx_lt_u32_e32 16, v0
	s_set_vgpr_msb 0                        ;  msbs: dst=0 src0=0 src1=0 src2=0
	s_cbranch_execz .LBB55_317
; %bb.316:
	scratch_load_b64 v[114:115], off, off offset:128
	v_mov_b64_e32 v[116:117], 0
	scratch_store_b64 off, v[116:117], off offset:128
	s_wait_loadcnt 0x0
	ds_store_b64 v1, v[114:115]
.LBB55_317:
	s_wait_xcnt 0x0
	s_or_b32 exec_lo, exec_lo, s0
	s_wait_storecnt_dscnt 0x0
	s_barrier_signal -1
	s_barrier_wait -1
	s_clause 0xf
	scratch_load_b128 v[118:121], off, off offset:136
	scratch_load_b128 v[126:129], off, off offset:152
	;; [unrolled: 1-line block ×16, first 2 shown]
	v_mov_b32_e32 v7, 0
	s_mov_b32 s0, exec_lo
	ds_load_2addr_b64 v[114:117], v7 offset0:73 offset1:74
	ds_load_2addr_b64 v[122:125], v7 offset0:75 offset1:76
	s_wait_loadcnt_dscnt 0xf01
	v_dual_mul_f32 v9, v114, v119 :: v_dual_mul_f32 v11, v116, v121
	ds_load_2addr_b64 v[130:133], v7 offset0:77 offset1:78
	ds_load_2addr_b64 v[138:141], v7 offset0:79 offset1:80
	;; [unrolled: 1-line block ×4, first 2 shown]
	v_dual_fmac_f32 v9, v115, v118 :: v_dual_fmac_f32 v11, v117, v120
	ds_load_2addr_b64 v[146:149], v7 offset0:81 offset1:82
	ds_load_2addr_b64 v[154:157], v7 offset0:83 offset1:84
	;; [unrolled: 1-line block ×4, first 2 shown]
	v_add_f32_e32 v9, 0, v9
	ds_load_2addr_b64 v[178:181], v7 offset0:89 offset1:90
	ds_load_2addr_b64 v[186:189], v7 offset0:91 offset1:92
	;; [unrolled: 1-line block ×4, first 2 shown]
	v_add_f32_e32 v9, v9, v11
	s_wait_loadcnt_dscnt 0xe0c
	v_mul_f32_e32 v11, v122, v127
	ds_load_2addr_b64 v[210:213], v7 offset0:97 offset1:98
	ds_load_2addr_b64 v[218:221], v7 offset0:99 offset1:100
	s_clause 0x4
	scratch_load_b128 v[242:245], off, off offset:392
	scratch_load_b128 v[246:249], off, off offset:408
	scratch_load_b128 v[250:253], off, off offset:424
	s_set_vgpr_msb 64                       ;  msbs: dst=1 src0=0 src1=0 src2=0
	scratch_load_b64 v[4:5] /*v[260:261]*/, off, off offset:440
	s_set_vgpr_msb 0                        ;  msbs: dst=0 src0=0 src1=0 src2=0
	v_fmac_f32_e32 v11, v123, v126
	s_wait_loadcnt_dscnt 0x40a
	s_set_vgpr_msb 64                       ;  msbs: dst=1 src0=0 src1=0 src2=0
	v_dual_mul_f32 v1 /*v257*/, v228, v233 :: v_dual_mul_f32 v3 /*v259*/, v234, v239
	s_set_vgpr_msb 0                        ;  msbs: dst=0 src0=0 src1=0 src2=0
	v_dual_add_f32 v9, v9, v11 :: v_dual_mul_f32 v11, v124, v129
	s_set_vgpr_msb 64                       ;  msbs: dst=1 src0=0 src1=0 src2=0
	s_delay_alu instid0(VALU_DEP_2) | instskip(SKIP_1) | instid1(VALU_DEP_2)
	v_dual_fmac_f32 v1 /*v257*/, v229, v232 :: v_dual_fmac_f32 v3 /*v259*/, v235, v238
	s_set_vgpr_msb 0                        ;  msbs: dst=0 src0=0 src1=0 src2=0
	v_fmac_f32_e32 v11, v125, v128
	s_delay_alu instid0(VALU_DEP_1) | instskip(SKIP_1) | instid1(VALU_DEP_1)
	v_add_f32_e32 v9, v9, v11
	v_mul_f32_e32 v11, v130, v135
	v_fmac_f32_e32 v11, v131, v134
	s_delay_alu instid0(VALU_DEP_1) | instskip(NEXT) | instid1(VALU_DEP_1)
	v_dual_add_f32 v9, v9, v11 :: v_dual_mul_f32 v11, v132, v137
	v_fmac_f32_e32 v11, v133, v136
	s_delay_alu instid0(VALU_DEP_1) | instskip(SKIP_1) | instid1(VALU_DEP_1)
	v_add_f32_e32 v9, v9, v11
	v_mul_f32_e32 v11, v138, v143
	v_fmac_f32_e32 v11, v139, v142
	s_delay_alu instid0(VALU_DEP_1) | instskip(NEXT) | instid1(VALU_DEP_1)
	v_dual_add_f32 v9, v9, v11 :: v_dual_mul_f32 v11, v140, v145
	v_fmac_f32_e32 v11, v141, v144
	s_delay_alu instid0(VALU_DEP_1) | instskip(SKIP_2) | instid1(VALU_DEP_1)
	v_add_f32_e32 v9, v9, v11
	s_wait_dscnt 0x9
	v_mul_f32_e32 v11, v146, v151
	v_fmac_f32_e32 v11, v147, v150
	s_delay_alu instid0(VALU_DEP_1) | instskip(NEXT) | instid1(VALU_DEP_1)
	v_dual_add_f32 v9, v9, v11 :: v_dual_mul_f32 v11, v148, v153
	v_fmac_f32_e32 v11, v149, v152
	s_delay_alu instid0(VALU_DEP_1) | instskip(SKIP_2) | instid1(VALU_DEP_1)
	v_add_f32_e32 v9, v9, v11
	s_wait_dscnt 0x8
	;; [unrolled: 8-line block ×10, first 2 shown]
	v_mul_f32_e32 v11, v218, v223
	v_fmac_f32_e32 v11, v219, v222
	s_delay_alu instid0(VALU_DEP_1) | instskip(NEXT) | instid1(VALU_DEP_1)
	v_dual_add_f32 v9, v9, v11 :: v_dual_mul_f32 v11, v220, v225
	v_fmac_f32_e32 v11, v221, v224
	s_delay_alu instid0(VALU_DEP_1) | instskip(SKIP_1) | instid1(VALU_DEP_1)
	v_add_f32_e32 v9, v9, v11
	v_mul_f32_e32 v11, v226, v231
	v_fmac_f32_e32 v11, v227, v230
	s_delay_alu instid0(VALU_DEP_1) | instskip(SKIP_1) | instid1(VALU_DEP_1)
	v_add_f32_e32 v255, v9, v11
	v_dual_mul_f32 v9, v115, v119 :: v_dual_mul_f32 v11, v117, v121
	v_dual_fma_f32 v9, v114, v118, -v9 :: v_dual_fma_f32 v11, v116, v120, -v11
	s_delay_alu instid0(VALU_DEP_1) | instskip(NEXT) | instid1(VALU_DEP_1)
	v_add_f32_e32 v9, 0, v9
	v_add_f32_e32 v9, v9, v11
	v_mul_f32_e32 v11, v123, v127
	s_delay_alu instid0(VALU_DEP_1) | instskip(NEXT) | instid1(VALU_DEP_1)
	v_fma_f32 v11, v122, v126, -v11
	v_add_f32_e32 v9, v9, v11
	v_mul_f32_e32 v11, v125, v129
	s_delay_alu instid0(VALU_DEP_1)
	v_fma_f32 v11, v124, v128, -v11
	ds_load_2addr_b64 v[114:117], v7 offset0:105 offset1:106
	ds_load_2addr_b64 v[118:121], v7 offset0:107 offset1:108
	;; [unrolled: 1-line block ×3, first 2 shown]
	ds_load_b64 v[126:127], v7 offset:888
	v_add_f32_e32 v9, v9, v11
	v_dual_mul_f32 v11, v131, v135 :: v_dual_mov_b32 v131, v236
	s_delay_alu instid0(VALU_DEP_1) | instskip(NEXT) | instid1(VALU_DEP_1)
	v_dual_fma_f32 v11, v130, v134, -v11 :: v_dual_mov_b32 v130, v237
	v_add_f32_e32 v9, v9, v11
	v_mul_f32_e32 v11, v133, v137
	s_delay_alu instid0(VALU_DEP_1) | instskip(NEXT) | instid1(VALU_DEP_1)
	v_dual_fma_f32 v11, v132, v136, -v11 :: v_dual_mov_b32 v132, v241
	v_add_f32_e32 v9, v9, v11
	v_mul_f32_e32 v11, v139, v143
	s_delay_alu instid0(VALU_DEP_3) | instskip(NEXT) | instid1(VALU_DEP_2)
	v_pk_mul_f32 v[130:131], v[130:131], v[132:133] op_sel_hi:[1,0]
	v_fma_f32 v11, v138, v142, -v11
	s_delay_alu instid0(VALU_DEP_2) | instskip(SKIP_1) | instid1(VALU_DEP_3)
	v_pk_fma_f32 v[132:133], v[236:237], v[240:241], v[130:131] neg_lo:[0,0,1] neg_hi:[0,0,1]
	v_pk_fma_f32 v[130:131], v[236:237], v[240:241], v[130:131] op_sel_hi:[1,0,1]
	v_add_f32_e32 v9, v9, v11
	s_delay_alu instid0(VALU_DEP_2) | instskip(SKIP_2) | instid1(VALU_DEP_2)
	v_dual_mul_f32 v11, v141, v145 :: v_dual_mov_b32 v133, v131
	s_wait_loadcnt_dscnt 0x303
	v_pk_mul_f32 v[130:131], v[114:115], v[242:243] op_sel:[1,1] op_sel_hi:[0,1]
	v_fma_f32 v11, v140, v144, -v11
	s_delay_alu instid0(VALU_DEP_1) | instskip(SKIP_1) | instid1(VALU_DEP_1)
	v_add_f32_e32 v9, v9, v11
	v_mul_f32_e32 v11, v147, v151
	v_fma_f32 v11, v146, v150, -v11
	s_delay_alu instid0(VALU_DEP_1) | instskip(SKIP_1) | instid1(VALU_DEP_1)
	v_add_f32_e32 v9, v9, v11
	v_mul_f32_e32 v11, v149, v153
	;; [unrolled: 4-line block ×21, first 2 shown]
	v_fma_f32 v11, v226, v230, -v11
	s_delay_alu instid0(VALU_DEP_1) | instskip(SKIP_2) | instid1(VALU_DEP_1)
	v_add_f32_e32 v254, v9, v11
	v_mul_f32_e32 v9, v229, v233
	s_set_vgpr_msb 64                       ;  msbs: dst=1 src0=0 src1=0 src2=0
	v_fma_f32 v0 /*v256*/, v228, v232, -v9
	s_set_vgpr_msb 0                        ;  msbs: dst=0 src0=0 src1=0 src2=0
	v_mul_f32_e32 v9, v235, v239
	s_set_vgpr_msb 64                       ;  msbs: dst=1 src0=0 src1=0 src2=0
	s_delay_alu instid0(VALU_DEP_1) | instskip(SKIP_2) | instid1(VALU_DEP_1)
	v_fma_f32 v2 /*v258*/, v234, v238, -v9
	s_set_vgpr_msb 4                        ;  msbs: dst=0 src0=0 src1=1 src2=0
	v_pk_add_f32 v[128:129], v[254:255], v[0:1] /*v[256:257]*/
	v_pk_add_f32 v[128:129], v[128:129], v[2:3] /*v[258:259]*/
	s_set_vgpr_msb 0                        ;  msbs: dst=0 src0=0 src1=0 src2=0
	s_delay_alu instid0(VALU_DEP_1) | instskip(SKIP_2) | instid1(VALU_DEP_1)
	v_pk_add_f32 v[128:129], v[128:129], v[132:133]
	v_pk_fma_f32 v[132:133], v[114:115], v[242:243], v[130:131] neg_lo:[0,0,1] neg_hi:[0,0,1]
	v_pk_fma_f32 v[114:115], v[114:115], v[242:243], v[130:131] op_sel_hi:[1,0,1]
	v_dual_mov_b32 v130, v245 :: v_dual_mov_b32 v133, v115
	s_delay_alu instid0(VALU_DEP_1) | instskip(SKIP_1) | instid1(VALU_DEP_1)
	v_pk_add_f32 v[114:115], v[128:129], v[132:133]
	v_dual_mov_b32 v128, v117 :: v_dual_mov_b32 v129, v116
	v_pk_mul_f32 v[128:129], v[128:129], v[130:131] op_sel_hi:[1,0]
	s_delay_alu instid0(VALU_DEP_1) | instskip(SKIP_1) | instid1(VALU_DEP_1)
	v_pk_fma_f32 v[130:131], v[116:117], v[244:245], v[128:129] neg_lo:[0,0,1] neg_hi:[0,0,1]
	v_pk_fma_f32 v[116:117], v[116:117], v[244:245], v[128:129] op_sel_hi:[1,0,1]
	v_mov_b32_e32 v131, v117
	s_wait_loadcnt_dscnt 0x202
	v_pk_mul_f32 v[116:117], v[118:119], v[246:247] op_sel:[1,1] op_sel_hi:[0,1]
	s_delay_alu instid0(VALU_DEP_2) | instskip(NEXT) | instid1(VALU_DEP_2)
	v_pk_add_f32 v[114:115], v[114:115], v[130:131]
	v_pk_fma_f32 v[128:129], v[118:119], v[246:247], v[116:117] neg_lo:[0,0,1] neg_hi:[0,0,1]
	v_pk_fma_f32 v[116:117], v[118:119], v[246:247], v[116:117] op_sel_hi:[1,0,1]
	v_dual_mov_b32 v116, v121 :: v_dual_mov_b32 v118, v249
	s_delay_alu instid0(VALU_DEP_2) | instskip(NEXT) | instid1(VALU_DEP_1)
	v_dual_mov_b32 v129, v117 :: v_dual_mov_b32 v117, v120
	v_pk_add_f32 v[114:115], v[114:115], v[128:129]
	s_delay_alu instid0(VALU_DEP_2) | instskip(NEXT) | instid1(VALU_DEP_1)
	v_pk_mul_f32 v[116:117], v[116:117], v[118:119] op_sel_hi:[1,0]
	v_pk_fma_f32 v[118:119], v[120:121], v[248:249], v[116:117] neg_lo:[0,0,1] neg_hi:[0,0,1]
	v_pk_fma_f32 v[116:117], v[120:121], v[248:249], v[116:117] op_sel_hi:[1,0,1]
	s_delay_alu instid0(VALU_DEP_1) | instskip(SKIP_2) | instid1(VALU_DEP_2)
	v_mov_b32_e32 v119, v117
	s_wait_loadcnt_dscnt 0x101
	v_pk_mul_f32 v[116:117], v[122:123], v[250:251] op_sel:[1,1] op_sel_hi:[0,1]
	v_pk_add_f32 v[114:115], v[114:115], v[118:119]
	s_delay_alu instid0(VALU_DEP_2) | instskip(SKIP_1) | instid1(VALU_DEP_1)
	v_pk_fma_f32 v[118:119], v[122:123], v[250:251], v[116:117] neg_lo:[0,0,1] neg_hi:[0,0,1]
	v_pk_fma_f32 v[116:117], v[122:123], v[250:251], v[116:117] op_sel_hi:[1,0,1]
	v_dual_mov_b32 v116, v125 :: v_dual_mov_b32 v119, v117
	v_mov_b32_e32 v117, v124
	s_delay_alu instid0(VALU_DEP_2) | instskip(SKIP_1) | instid1(VALU_DEP_1)
	v_pk_add_f32 v[114:115], v[114:115], v[118:119]
	v_mov_b32_e32 v118, v253
	v_pk_mul_f32 v[116:117], v[116:117], v[118:119] op_sel_hi:[1,0]
	s_delay_alu instid0(VALU_DEP_1) | instskip(SKIP_1) | instid1(VALU_DEP_1)
	v_pk_fma_f32 v[118:119], v[124:125], v[252:253], v[116:117] neg_lo:[0,0,1] neg_hi:[0,0,1]
	v_pk_fma_f32 v[116:117], v[124:125], v[252:253], v[116:117] op_sel_hi:[1,0,1]
	v_mov_b32_e32 v119, v117
	s_wait_loadcnt_dscnt 0x0
	s_set_vgpr_msb 4                        ;  msbs: dst=0 src0=0 src1=1 src2=0
	v_pk_mul_f32 v[116:117], v[126:127], v[4:5] /*v[260:261]*/ op_sel:[1,1] op_sel_hi:[0,1]
	s_set_vgpr_msb 0                        ;  msbs: dst=0 src0=0 src1=0 src2=0
	v_pk_add_f32 v[114:115], v[114:115], v[118:119]
	s_set_vgpr_msb 4                        ;  msbs: dst=0 src0=0 src1=1 src2=0
	s_delay_alu instid0(VALU_DEP_2) | instskip(SKIP_1) | instid1(VALU_DEP_1)
	v_pk_fma_f32 v[118:119], v[126:127], v[4:5] /*v[260:261]*/, v[116:117] neg_lo:[0,0,1] neg_hi:[0,0,1]
	v_pk_fma_f32 v[116:117], v[126:127], v[4:5] /*v[260:261]*/, v[116:117] op_sel_hi:[1,0,1]
	v_mov_b32_e32 v119, v117
	scratch_load_b64 v[116:117], off, off offset:128
	s_set_vgpr_msb 0                        ;  msbs: dst=0 src0=0 src1=0 src2=0
	v_pk_add_f32 v[114:115], v[114:115], v[118:119]
	s_wait_loadcnt 0x0
	s_delay_alu instid0(VALU_DEP_1)
	v_pk_add_f32 v[114:115], v[116:117], v[114:115] neg_lo:[0,1] neg_hi:[0,1]
	scratch_store_b64 off, v[114:115], off offset:128
	s_wait_xcnt 0x0
	v_cmpx_lt_u32_e32 15, v0
	s_cbranch_execz .LBB55_319
; %bb.318:
	scratch_load_b64 v[114:115], off, off offset:120
	v_mov_b64_e32 v[116:117], 0
	scratch_store_b64 off, v[116:117], off offset:120
	s_wait_loadcnt 0x0
	ds_store_b64 v1, v[114:115]
.LBB55_319:
	s_wait_xcnt 0x0
	s_or_b32 exec_lo, exec_lo, s0
	s_wait_storecnt_dscnt 0x0
	s_barrier_signal -1
	s_barrier_wait -1
	ds_load_b128 v[114:117], v7 offset:576
	ds_load_b128 v[118:121], v7 offset:592
	;; [unrolled: 1-line block ×4, first 2 shown]
	s_clause 0xf
	scratch_load_b128 v[130:133], off, off offset:128
	scratch_load_b128 v[134:137], off, off offset:144
	;; [unrolled: 1-line block ×16, first 2 shown]
	ds_load_b128 v[146:149], v7 offset:640
	ds_load_b128 v[154:157], v7 offset:656
	;; [unrolled: 1-line block ×12, first 2 shown]
	s_clause 0x3
	scratch_load_b128 v[242:245], off, off offset:384
	scratch_load_b128 v[246:249], off, off offset:400
	;; [unrolled: 1-line block ×4, first 2 shown]
	s_mov_b32 s0, exec_lo
	s_wait_loadcnt_dscnt 0x130f
	v_dual_mul_f32 v9, v114, v131 :: v_dual_mul_f32 v11, v116, v133
	s_delay_alu instid0(VALU_DEP_1) | instskip(NEXT) | instid1(VALU_DEP_1)
	v_dual_fmac_f32 v9, v115, v130 :: v_dual_fmac_f32 v11, v117, v132
	v_add_f32_e32 v9, 0, v9
	s_delay_alu instid0(VALU_DEP_1)
	v_add_f32_e32 v9, v9, v11
	s_wait_loadcnt_dscnt 0x120e
	v_mul_f32_e32 v11, v118, v135
	s_wait_loadcnt_dscnt 0x408
	s_set_vgpr_msb 64                       ;  msbs: dst=1 src0=0 src1=0 src2=0
	v_dual_mul_f32 v5 /*v261*/, v234, v239 :: v_dual_mul_f32 v7 /*v263*/, v236, v241
	s_set_vgpr_msb 0                        ;  msbs: dst=0 src0=0 src1=0 src2=0
	v_fmac_f32_e32 v11, v119, v134
	s_set_vgpr_msb 64                       ;  msbs: dst=1 src0=0 src1=0 src2=0
	s_delay_alu instid0(VALU_DEP_2) | instskip(SKIP_1) | instid1(VALU_DEP_2)
	v_dual_fmac_f32 v5 /*v261*/, v235, v238 :: v_dual_fmac_f32 v7 /*v263*/, v237, v240
	s_set_vgpr_msb 0                        ;  msbs: dst=0 src0=0 src1=0 src2=0
	v_dual_add_f32 v9, v9, v11 :: v_dual_mul_f32 v11, v120, v137
	s_delay_alu instid0(VALU_DEP_1) | instskip(NEXT) | instid1(VALU_DEP_1)
	v_fmac_f32_e32 v11, v121, v136
	v_add_f32_e32 v9, v9, v11
	v_mul_f32_e32 v11, v122, v139
	s_delay_alu instid0(VALU_DEP_1) | instskip(NEXT) | instid1(VALU_DEP_1)
	v_fmac_f32_e32 v11, v123, v138
	v_dual_add_f32 v9, v9, v11 :: v_dual_mul_f32 v11, v124, v141
	s_delay_alu instid0(VALU_DEP_1) | instskip(NEXT) | instid1(VALU_DEP_1)
	v_fmac_f32_e32 v11, v125, v140
	v_add_f32_e32 v9, v9, v11
	v_mul_f32_e32 v11, v126, v143
	s_delay_alu instid0(VALU_DEP_1) | instskip(NEXT) | instid1(VALU_DEP_1)
	v_fmac_f32_e32 v11, v127, v142
	;; [unrolled: 7-line block ×4, first 2 shown]
	v_dual_add_f32 v9, v9, v11 :: v_dual_mul_f32 v11, v156, v161
	s_delay_alu instid0(VALU_DEP_1) | instskip(NEXT) | instid1(VALU_DEP_1)
	v_fmac_f32_e32 v11, v157, v160
	v_add_f32_e32 v9, v9, v11
	s_wait_dscnt 0x7
	v_mul_f32_e32 v11, v162, v167
	s_delay_alu instid0(VALU_DEP_1) | instskip(NEXT) | instid1(VALU_DEP_1)
	v_fmac_f32_e32 v11, v163, v166
	v_dual_add_f32 v9, v9, v11 :: v_dual_mul_f32 v11, v164, v169
	s_delay_alu instid0(VALU_DEP_1) | instskip(NEXT) | instid1(VALU_DEP_1)
	v_fmac_f32_e32 v11, v165, v168
	v_add_f32_e32 v9, v9, v11
	s_wait_dscnt 0x6
	v_mul_f32_e32 v11, v170, v175
	s_delay_alu instid0(VALU_DEP_1) | instskip(NEXT) | instid1(VALU_DEP_1)
	v_fmac_f32_e32 v11, v171, v174
	;; [unrolled: 8-line block ×8, first 2 shown]
	v_dual_add_f32 v9, v9, v11 :: v_dual_mul_f32 v11, v220, v225
	s_delay_alu instid0(VALU_DEP_1) | instskip(NEXT) | instid1(VALU_DEP_1)
	v_fmac_f32_e32 v11, v221, v224
	v_add_f32_e32 v9, v9, v11
	v_mul_f32_e32 v11, v226, v231
	s_delay_alu instid0(VALU_DEP_1) | instskip(NEXT) | instid1(VALU_DEP_1)
	v_fmac_f32_e32 v11, v227, v230
	v_dual_add_f32 v9, v9, v11 :: v_dual_mul_f32 v11, v228, v233
	s_delay_alu instid0(VALU_DEP_1) | instskip(SKIP_1) | instid1(VALU_DEP_1)
	v_fmac_f32_e32 v11, v229, v232
	s_set_vgpr_msb 64                       ;  msbs: dst=1 src0=0 src1=0 src2=0
	v_add_f32_e32 v3 /*v259*/, v9, v11
	s_set_vgpr_msb 0                        ;  msbs: dst=0 src0=0 src1=0 src2=0
	v_dual_mul_f32 v9, v115, v131 :: v_dual_mul_f32 v11, v117, v133
	s_delay_alu instid0(VALU_DEP_1) | instskip(NEXT) | instid1(VALU_DEP_1)
	v_dual_fma_f32 v9, v114, v130, -v9 :: v_dual_fma_f32 v11, v116, v132, -v11
	v_add_f32_e32 v9, 0, v9
	s_delay_alu instid0(VALU_DEP_1) | instskip(SKIP_1) | instid1(VALU_DEP_1)
	v_add_f32_e32 v9, v9, v11
	v_mul_f32_e32 v11, v119, v135
	v_fma_f32 v11, v118, v134, -v11
	s_delay_alu instid0(VALU_DEP_1) | instskip(SKIP_1) | instid1(VALU_DEP_1)
	v_add_f32_e32 v9, v9, v11
	v_mul_f32_e32 v11, v121, v137
	v_fma_f32 v11, v120, v136, -v11
	;; [unrolled: 4-line block ×6, first 2 shown]
	ds_load_b128 v[114:117], v7 offset:832
	ds_load_b128 v[118:121], v7 offset:848
	;; [unrolled: 1-line block ×4, first 2 shown]
	v_add_f32_e32 v9, v9, v11
	v_mul_f32_e32 v11, v147, v151
	s_delay_alu instid0(VALU_DEP_1) | instskip(NEXT) | instid1(VALU_DEP_1)
	v_fma_f32 v11, v146, v150, -v11
	v_add_f32_e32 v9, v9, v11
	v_mul_f32_e32 v11, v149, v153
	s_wait_loadcnt_dscnt 0x303
	v_pk_mul_f32 v[132:133], v[114:115], v[242:243] op_sel:[1,1] op_sel_hi:[0,1]
	s_delay_alu instid0(VALU_DEP_2) | instskip(NEXT) | instid1(VALU_DEP_2)
	v_fma_f32 v11, v148, v152, -v11
	v_pk_fma_f32 v[134:135], v[114:115], v[242:243], v[132:133] neg_lo:[0,0,1] neg_hi:[0,0,1]
	v_pk_fma_f32 v[114:115], v[114:115], v[242:243], v[132:133] op_sel_hi:[1,0,1]
	v_mov_b32_e32 v132, v245
	s_delay_alu instid0(VALU_DEP_4) | instskip(SKIP_1) | instid1(VALU_DEP_1)
	v_add_f32_e32 v9, v9, v11
	v_mul_f32_e32 v11, v155, v159
	v_dual_mov_b32 v135, v115 :: v_dual_fma_f32 v11, v154, v158, -v11
	s_delay_alu instid0(VALU_DEP_1) | instskip(SKIP_1) | instid1(VALU_DEP_1)
	v_add_f32_e32 v9, v9, v11
	v_mul_f32_e32 v11, v157, v161
	v_fma_f32 v11, v156, v160, -v11
	s_delay_alu instid0(VALU_DEP_1) | instskip(SKIP_1) | instid1(VALU_DEP_1)
	v_add_f32_e32 v9, v9, v11
	v_mul_f32_e32 v11, v163, v167
	v_fma_f32 v11, v162, v166, -v11
	;; [unrolled: 4-line block ×19, first 2 shown]
	s_set_vgpr_msb 64                       ;  msbs: dst=1 src0=0 src1=0 src2=0
	s_delay_alu instid0(VALU_DEP_1) | instskip(SKIP_3) | instid1(VALU_DEP_1)
	v_add_f32_e32 v2 /*v258*/, v9, v11
	s_set_vgpr_msb 0                        ;  msbs: dst=0 src0=0 src1=0 src2=0
	v_mul_f32_e32 v9, v235, v239
	s_set_vgpr_msb 64                       ;  msbs: dst=1 src0=0 src1=0 src2=0
	v_fma_f32 v4 /*v260*/, v234, v238, -v9
	s_set_vgpr_msb 0                        ;  msbs: dst=0 src0=0 src1=0 src2=0
	v_mul_f32_e32 v9, v237, v241
	s_set_vgpr_msb 5                        ;  msbs: dst=0 src0=1 src1=1 src2=0
	s_delay_alu instid0(VALU_DEP_2) | instskip(SKIP_1) | instid1(VALU_DEP_2)
	v_pk_add_f32 v[130:131], v[2:3] /*v[258:259]*/, v[4:5] /*v[260:261]*/
	s_set_vgpr_msb 64                       ;  msbs: dst=1 src0=0 src1=0 src2=0
	v_fma_f32 v6 /*v262*/, v236, v240, -v9
	s_set_vgpr_msb 4                        ;  msbs: dst=0 src0=0 src1=1 src2=0
	s_delay_alu instid0(VALU_DEP_1) | instskip(SKIP_1) | instid1(VALU_DEP_1)
	v_pk_add_f32 v[130:131], v[130:131], v[6:7] /*v[262:263]*/
	s_set_vgpr_msb 0                        ;  msbs: dst=0 src0=0 src1=0 src2=0
	v_pk_add_f32 v[114:115], v[130:131], v[134:135]
	v_dual_mov_b32 v130, v117 :: v_dual_mov_b32 v131, v116
	s_delay_alu instid0(VALU_DEP_1) | instskip(NEXT) | instid1(VALU_DEP_1)
	v_pk_mul_f32 v[130:131], v[130:131], v[132:133] op_sel_hi:[1,0]
	v_pk_fma_f32 v[132:133], v[116:117], v[244:245], v[130:131] neg_lo:[0,0,1] neg_hi:[0,0,1]
	v_pk_fma_f32 v[116:117], v[116:117], v[244:245], v[130:131] op_sel_hi:[1,0,1]
	s_delay_alu instid0(VALU_DEP_1) | instskip(SKIP_2) | instid1(VALU_DEP_2)
	v_mov_b32_e32 v133, v117
	s_wait_loadcnt_dscnt 0x202
	v_pk_mul_f32 v[116:117], v[118:119], v[246:247] op_sel:[1,1] op_sel_hi:[0,1]
	v_pk_add_f32 v[114:115], v[114:115], v[132:133]
	s_delay_alu instid0(VALU_DEP_2) | instskip(SKIP_2) | instid1(VALU_DEP_2)
	v_pk_fma_f32 v[130:131], v[118:119], v[246:247], v[116:117] neg_lo:[0,0,1] neg_hi:[0,0,1]
	v_pk_fma_f32 v[116:117], v[118:119], v[246:247], v[116:117] op_sel_hi:[1,0,1]
	v_dual_mov_b32 v116, v121 :: v_dual_mov_b32 v118, v249
	v_dual_mov_b32 v131, v117 :: v_dual_mov_b32 v117, v120
	s_delay_alu instid0(VALU_DEP_1) | instskip(NEXT) | instid1(VALU_DEP_2)
	v_pk_add_f32 v[114:115], v[114:115], v[130:131]
	v_pk_mul_f32 v[116:117], v[116:117], v[118:119] op_sel_hi:[1,0]
	s_delay_alu instid0(VALU_DEP_1) | instskip(SKIP_1) | instid1(VALU_DEP_1)
	v_pk_fma_f32 v[118:119], v[120:121], v[248:249], v[116:117] neg_lo:[0,0,1] neg_hi:[0,0,1]
	v_pk_fma_f32 v[116:117], v[120:121], v[248:249], v[116:117] op_sel_hi:[1,0,1]
	v_mov_b32_e32 v119, v117
	s_wait_loadcnt_dscnt 0x101
	v_pk_mul_f32 v[116:117], v[122:123], v[250:251] op_sel:[1,1] op_sel_hi:[0,1]
	s_delay_alu instid0(VALU_DEP_2) | instskip(NEXT) | instid1(VALU_DEP_2)
	v_pk_add_f32 v[114:115], v[114:115], v[118:119]
	v_pk_fma_f32 v[118:119], v[122:123], v[250:251], v[116:117] neg_lo:[0,0,1] neg_hi:[0,0,1]
	v_pk_fma_f32 v[116:117], v[122:123], v[250:251], v[116:117] op_sel_hi:[1,0,1]
	s_delay_alu instid0(VALU_DEP_1) | instskip(SKIP_1) | instid1(VALU_DEP_2)
	v_dual_mov_b32 v116, v125 :: v_dual_mov_b32 v119, v117
	v_mov_b32_e32 v117, v124
	v_pk_add_f32 v[114:115], v[114:115], v[118:119]
	v_mov_b32_e32 v118, v253
	s_delay_alu instid0(VALU_DEP_1) | instskip(NEXT) | instid1(VALU_DEP_1)
	v_pk_mul_f32 v[116:117], v[116:117], v[118:119] op_sel_hi:[1,0]
	v_pk_fma_f32 v[118:119], v[124:125], v[252:253], v[116:117] neg_lo:[0,0,1] neg_hi:[0,0,1]
	v_pk_fma_f32 v[116:117], v[124:125], v[252:253], v[116:117] op_sel_hi:[1,0,1]
	s_delay_alu instid0(VALU_DEP_1) | instskip(SKIP_2) | instid1(VALU_DEP_2)
	v_mov_b32_e32 v119, v117
	s_wait_loadcnt_dscnt 0x0
	v_pk_mul_f32 v[116:117], v[126:127], v[254:255] op_sel:[1,1] op_sel_hi:[0,1]
	v_pk_add_f32 v[114:115], v[114:115], v[118:119]
	s_delay_alu instid0(VALU_DEP_2) | instskip(SKIP_1) | instid1(VALU_DEP_1)
	v_pk_fma_f32 v[118:119], v[126:127], v[254:255], v[116:117] neg_lo:[0,0,1] neg_hi:[0,0,1]
	v_pk_fma_f32 v[116:117], v[126:127], v[254:255], v[116:117] op_sel_hi:[1,0,1]
	v_dual_mov_b32 v116, v129 :: v_dual_mov_b32 v119, v117
	v_mov_b32_e32 v117, v128
	s_delay_alu instid0(VALU_DEP_2) | instskip(SKIP_3) | instid1(VALU_DEP_1)
	v_pk_add_f32 v[114:115], v[114:115], v[118:119]
	s_set_vgpr_msb 1                        ;  msbs: dst=0 src0=1 src1=0 src2=0
	v_mov_b32_e32 v118, v1 /*v257*/
	s_set_vgpr_msb 0                        ;  msbs: dst=0 src0=0 src1=0 src2=0
	v_pk_mul_f32 v[116:117], v[116:117], v[118:119] op_sel_hi:[1,0]
	s_set_vgpr_msb 4                        ;  msbs: dst=0 src0=0 src1=1 src2=0
	s_delay_alu instid0(VALU_DEP_1) | instskip(SKIP_1) | instid1(VALU_DEP_1)
	v_pk_fma_f32 v[118:119], v[128:129], v[0:1] /*v[256:257]*/, v[116:117] neg_lo:[0,0,1] neg_hi:[0,0,1]
	v_pk_fma_f32 v[116:117], v[128:129], v[0:1] /*v[256:257]*/, v[116:117] op_sel_hi:[1,0,1]
	v_mov_b32_e32 v119, v117
	scratch_load_b64 v[116:117], off, off offset:120
	s_set_vgpr_msb 0                        ;  msbs: dst=0 src0=0 src1=0 src2=0
	v_pk_add_f32 v[114:115], v[114:115], v[118:119]
	s_wait_loadcnt 0x0
	s_delay_alu instid0(VALU_DEP_1)
	v_pk_add_f32 v[114:115], v[116:117], v[114:115] neg_lo:[0,1] neg_hi:[0,1]
	scratch_store_b64 off, v[114:115], off offset:120
	s_wait_xcnt 0x0
	v_cmpx_lt_u32_e32 14, v0
	s_cbranch_execz .LBB55_321
; %bb.320:
	scratch_load_b64 v[114:115], off, off offset:112
	v_mov_b64_e32 v[116:117], 0
	scratch_store_b64 off, v[116:117], off offset:112
	s_wait_loadcnt 0x0
	ds_store_b64 v1, v[114:115]
.LBB55_321:
	s_wait_xcnt 0x0
	s_or_b32 exec_lo, exec_lo, s0
	s_wait_storecnt_dscnt 0x0
	s_barrier_signal -1
	s_barrier_wait -1
	s_clause 0xf
	scratch_load_b128 v[118:121], off, off offset:120
	scratch_load_b128 v[126:129], off, off offset:136
	;; [unrolled: 1-line block ×16, first 2 shown]
	v_mov_b32_e32 v7, 0
	scratch_load_b128 v[246:249], off, off offset:376
	s_mov_b32 s0, exec_lo
	ds_load_2addr_b64 v[114:117], v7 offset0:71 offset1:72
	ds_load_2addr_b64 v[122:125], v7 offset0:73 offset1:74
	s_wait_loadcnt_dscnt 0x1001
	v_dual_mul_f32 v9, v114, v119 :: v_dual_mul_f32 v11, v116, v121
	ds_load_2addr_b64 v[130:133], v7 offset0:75 offset1:76
	ds_load_2addr_b64 v[138:141], v7 offset0:77 offset1:78
	;; [unrolled: 1-line block ×4, first 2 shown]
	v_dual_fmac_f32 v9, v115, v118 :: v_dual_fmac_f32 v11, v117, v120
	ds_load_2addr_b64 v[146:149], v7 offset0:79 offset1:80
	ds_load_2addr_b64 v[154:157], v7 offset0:81 offset1:82
	;; [unrolled: 1-line block ×3, first 2 shown]
	v_add_f32_e32 v9, 0, v9
	ds_load_2addr_b64 v[162:165], v7 offset0:83 offset1:84
	ds_load_2addr_b64 v[170:173], v7 offset0:85 offset1:86
	;; [unrolled: 1-line block ×4, first 2 shown]
	v_add_f32_e32 v9, v9, v11
	s_wait_loadcnt_dscnt 0xf0b
	v_mul_f32_e32 v11, v122, v127
	ds_load_2addr_b64 v[194:197], v7 offset0:91 offset1:92
	ds_load_2addr_b64 v[202:205], v7 offset0:93 offset1:94
	;; [unrolled: 1-line block ×4, first 2 shown]
	v_fmac_f32_e32 v11, v123, v126
	s_clause 0x4
	scratch_load_b128 v[250:253], off, off offset:392
	scratch_load_b128 v[254:257], off, off offset:408
	s_set_vgpr_msb 64                       ;  msbs: dst=1 src0=0 src1=0 src2=0
	scratch_load_b128 v[2:5] /*v[258:261]*/, off, off offset:424
	scratch_load_b64 v[12:13] /*v[268:269]*/, off, off offset:440
	s_wait_loadcnt_dscnt 0x50b
	v_mul_f32_e32 v9 /*v265*/, v236, v241
	s_set_vgpr_msb 0                        ;  msbs: dst=0 src0=0 src1=0 src2=0
	v_dual_add_f32 v9, v9, v11 :: v_dual_mul_f32 v11, v124, v129
	s_wait_loadcnt_dscnt 0x408
	s_set_vgpr_msb 64                       ;  msbs: dst=1 src0=0 src1=0 src2=0
	v_dual_fmac_f32 v9 /*v265*/, v237, v240 :: v_dual_mul_f32 v11 /*v267*/, v242, v247
	s_set_vgpr_msb 0                        ;  msbs: dst=0 src0=0 src1=0 src2=0
	v_fmac_f32_e32 v11, v125, v128
	s_delay_alu instid0(VALU_DEP_1) | instskip(SKIP_1) | instid1(VALU_DEP_1)
	v_add_f32_e32 v9, v9, v11
	v_mul_f32_e32 v11, v130, v135
	v_fmac_f32_e32 v11, v131, v134
	s_delay_alu instid0(VALU_DEP_1) | instskip(NEXT) | instid1(VALU_DEP_1)
	v_dual_add_f32 v9, v9, v11 :: v_dual_mul_f32 v11, v132, v137
	v_fmac_f32_e32 v11, v133, v136
	s_delay_alu instid0(VALU_DEP_1) | instskip(SKIP_1) | instid1(VALU_DEP_1)
	v_add_f32_e32 v9, v9, v11
	v_mul_f32_e32 v11, v138, v143
	v_fmac_f32_e32 v11, v139, v142
	s_delay_alu instid0(VALU_DEP_1) | instskip(NEXT) | instid1(VALU_DEP_1)
	v_dual_add_f32 v9, v9, v11 :: v_dual_mul_f32 v11, v140, v145
	;; [unrolled: 7-line block ×4, first 2 shown]
	v_fmac_f32_e32 v11, v157, v160
	s_delay_alu instid0(VALU_DEP_1) | instskip(SKIP_2) | instid1(VALU_DEP_1)
	v_add_f32_e32 v9, v9, v11
	s_wait_dscnt 0x7
	v_mul_f32_e32 v11, v162, v167
	v_fmac_f32_e32 v11, v163, v166
	s_delay_alu instid0(VALU_DEP_1) | instskip(NEXT) | instid1(VALU_DEP_1)
	v_dual_add_f32 v9, v9, v11 :: v_dual_mul_f32 v11, v164, v169
	v_fmac_f32_e32 v11, v165, v168
	s_delay_alu instid0(VALU_DEP_1) | instskip(SKIP_2) | instid1(VALU_DEP_1)
	v_add_f32_e32 v9, v9, v11
	s_wait_dscnt 0x6
	v_mul_f32_e32 v11, v170, v175
	v_fmac_f32_e32 v11, v171, v174
	s_delay_alu instid0(VALU_DEP_1) | instskip(NEXT) | instid1(VALU_DEP_1)
	v_dual_add_f32 v9, v9, v11 :: v_dual_mul_f32 v11, v172, v177
	;; [unrolled: 8-line block ×8, first 2 shown]
	v_fmac_f32_e32 v11, v221, v224
	s_delay_alu instid0(VALU_DEP_1) | instskip(SKIP_1) | instid1(VALU_DEP_1)
	v_add_f32_e32 v9, v9, v11
	v_mul_f32_e32 v11, v226, v231
	v_fmac_f32_e32 v11, v227, v230
	s_delay_alu instid0(VALU_DEP_1) | instskip(NEXT) | instid1(VALU_DEP_1)
	v_dual_add_f32 v9, v9, v11 :: v_dual_mul_f32 v11, v228, v233
	v_fmac_f32_e32 v11, v229, v232
	s_delay_alu instid0(VALU_DEP_1) | instskip(SKIP_1) | instid1(VALU_DEP_1)
	v_add_f32_e32 v9, v9, v11
	v_mul_f32_e32 v11, v234, v239
	v_fmac_f32_e32 v11, v235, v238
	s_set_vgpr_msb 64                       ;  msbs: dst=1 src0=0 src1=0 src2=0
	s_delay_alu instid0(VALU_DEP_1) | instskip(SKIP_2) | instid1(VALU_DEP_1)
	v_add_f32_e32 v7 /*v263*/, v9, v11
	s_set_vgpr_msb 0                        ;  msbs: dst=0 src0=0 src1=0 src2=0
	v_dual_mul_f32 v9, v115, v119 :: v_dual_mul_f32 v11, v117, v121
	v_dual_fma_f32 v9, v114, v118, -v9 :: v_dual_fma_f32 v11, v116, v120, -v11
	s_delay_alu instid0(VALU_DEP_1) | instskip(NEXT) | instid1(VALU_DEP_1)
	v_add_f32_e32 v9, 0, v9
	v_add_f32_e32 v9, v9, v11
	v_mul_f32_e32 v11, v123, v127
	s_delay_alu instid0(VALU_DEP_1) | instskip(NEXT) | instid1(VALU_DEP_1)
	v_fma_f32 v11, v122, v126, -v11
	v_add_f32_e32 v9, v9, v11
	v_mul_f32_e32 v11, v125, v129
	s_delay_alu instid0(VALU_DEP_1)
	v_fma_f32 v11, v124, v128, -v11
	ds_load_2addr_b64 v[114:117], v7 offset0:105 offset1:106
	ds_load_2addr_b64 v[118:121], v7 offset0:107 offset1:108
	;; [unrolled: 1-line block ×3, first 2 shown]
	ds_load_b64 v[126:127], v7 offset:888
	v_add_f32_e32 v9, v9, v11
	v_dual_mul_f32 v11, v131, v135 :: v_dual_mov_b32 v131, v244
	s_delay_alu instid0(VALU_DEP_1) | instskip(NEXT) | instid1(VALU_DEP_1)
	v_dual_fma_f32 v11, v130, v134, -v11 :: v_dual_mov_b32 v130, v245
	v_add_f32_e32 v9, v9, v11
	v_mul_f32_e32 v11, v133, v137
	s_delay_alu instid0(VALU_DEP_1) | instskip(NEXT) | instid1(VALU_DEP_1)
	v_dual_fma_f32 v11, v132, v136, -v11 :: v_dual_mov_b32 v132, v249
	v_add_f32_e32 v9, v9, v11
	v_mul_f32_e32 v11, v139, v143
	s_delay_alu instid0(VALU_DEP_3) | instskip(NEXT) | instid1(VALU_DEP_2)
	v_pk_mul_f32 v[130:131], v[130:131], v[132:133] op_sel_hi:[1,0]
	v_fma_f32 v11, v138, v142, -v11
	s_delay_alu instid0(VALU_DEP_2) | instskip(SKIP_1) | instid1(VALU_DEP_3)
	v_pk_fma_f32 v[132:133], v[244:245], v[248:249], v[130:131] neg_lo:[0,0,1] neg_hi:[0,0,1]
	v_pk_fma_f32 v[130:131], v[244:245], v[248:249], v[130:131] op_sel_hi:[1,0,1]
	v_add_f32_e32 v9, v9, v11
	s_delay_alu instid0(VALU_DEP_2) | instskip(SKIP_2) | instid1(VALU_DEP_2)
	v_dual_mul_f32 v11, v141, v145 :: v_dual_mov_b32 v133, v131
	s_wait_loadcnt_dscnt 0x303
	v_pk_mul_f32 v[130:131], v[114:115], v[250:251] op_sel:[1,1] op_sel_hi:[0,1]
	v_fma_f32 v11, v140, v144, -v11
	s_delay_alu instid0(VALU_DEP_1) | instskip(SKIP_1) | instid1(VALU_DEP_1)
	v_add_f32_e32 v9, v9, v11
	v_mul_f32_e32 v11, v147, v151
	v_fma_f32 v11, v146, v150, -v11
	s_delay_alu instid0(VALU_DEP_1) | instskip(SKIP_1) | instid1(VALU_DEP_1)
	v_add_f32_e32 v9, v9, v11
	v_mul_f32_e32 v11, v149, v153
	;; [unrolled: 4-line block ×23, first 2 shown]
	v_fma_f32 v11, v234, v238, -v11
	s_set_vgpr_msb 64                       ;  msbs: dst=1 src0=0 src1=0 src2=0
	s_delay_alu instid0(VALU_DEP_1) | instskip(SKIP_3) | instid1(VALU_DEP_1)
	v_dual_fmac_f32 v11 /*v267*/, v243, v246 :: v_dual_add_f32 v6 /*v262*/, v9, v11
	s_set_vgpr_msb 0                        ;  msbs: dst=0 src0=0 src1=0 src2=0
	v_mul_f32_e32 v9, v237, v241
	s_set_vgpr_msb 64                       ;  msbs: dst=1 src0=0 src1=0 src2=0
	v_fma_f32 v8 /*v264*/, v236, v240, -v9
	s_set_vgpr_msb 0                        ;  msbs: dst=0 src0=0 src1=0 src2=0
	v_mul_f32_e32 v9, v243, v247
	s_set_vgpr_msb 64                       ;  msbs: dst=1 src0=0 src1=0 src2=0
	s_delay_alu instid0(VALU_DEP_1) | instskip(SKIP_3) | instid1(VALU_DEP_1)
	v_fma_f32 v10 /*v266*/, v242, v246, -v9
	s_set_vgpr_msb 5                        ;  msbs: dst=0 src0=1 src1=1 src2=0
	v_pk_add_f32 v[128:129], v[6:7] /*v[262:263]*/, v[8:9] /*v[264:265]*/
	s_set_vgpr_msb 4                        ;  msbs: dst=0 src0=0 src1=1 src2=0
	v_pk_add_f32 v[128:129], v[128:129], v[10:11] /*v[266:267]*/
	s_set_vgpr_msb 0                        ;  msbs: dst=0 src0=0 src1=0 src2=0
	s_delay_alu instid0(VALU_DEP_1) | instskip(SKIP_2) | instid1(VALU_DEP_1)
	v_pk_add_f32 v[128:129], v[128:129], v[132:133]
	v_pk_fma_f32 v[132:133], v[114:115], v[250:251], v[130:131] neg_lo:[0,0,1] neg_hi:[0,0,1]
	v_pk_fma_f32 v[114:115], v[114:115], v[250:251], v[130:131] op_sel_hi:[1,0,1]
	v_dual_mov_b32 v130, v253 :: v_dual_mov_b32 v133, v115
	s_delay_alu instid0(VALU_DEP_1) | instskip(SKIP_1) | instid1(VALU_DEP_1)
	v_pk_add_f32 v[114:115], v[128:129], v[132:133]
	v_dual_mov_b32 v128, v117 :: v_dual_mov_b32 v129, v116
	v_pk_mul_f32 v[128:129], v[128:129], v[130:131] op_sel_hi:[1,0]
	s_delay_alu instid0(VALU_DEP_1) | instskip(SKIP_1) | instid1(VALU_DEP_1)
	v_pk_fma_f32 v[130:131], v[116:117], v[252:253], v[128:129] neg_lo:[0,0,1] neg_hi:[0,0,1]
	v_pk_fma_f32 v[116:117], v[116:117], v[252:253], v[128:129] op_sel_hi:[1,0,1]
	v_mov_b32_e32 v131, v117
	s_wait_loadcnt_dscnt 0x202
	v_pk_mul_f32 v[116:117], v[118:119], v[254:255] op_sel:[1,1] op_sel_hi:[0,1]
	s_delay_alu instid0(VALU_DEP_2) | instskip(NEXT) | instid1(VALU_DEP_2)
	v_pk_add_f32 v[114:115], v[114:115], v[130:131]
	v_pk_fma_f32 v[128:129], v[118:119], v[254:255], v[116:117] neg_lo:[0,0,1] neg_hi:[0,0,1]
	v_pk_fma_f32 v[116:117], v[118:119], v[254:255], v[116:117] op_sel_hi:[1,0,1]
	v_mov_b32_e32 v116, v121
	s_set_vgpr_msb 1                        ;  msbs: dst=0 src0=1 src1=0 src2=0
	v_mov_b32_e32 v118, v1 /*v257*/
	s_set_vgpr_msb 0                        ;  msbs: dst=0 src0=0 src1=0 src2=0
	v_dual_mov_b32 v129, v117 :: v_dual_mov_b32 v117, v120
	s_delay_alu instid0(VALU_DEP_1) | instskip(NEXT) | instid1(VALU_DEP_2)
	v_pk_add_f32 v[114:115], v[114:115], v[128:129]
	v_pk_mul_f32 v[116:117], v[116:117], v[118:119] op_sel_hi:[1,0]
	s_set_vgpr_msb 4                        ;  msbs: dst=0 src0=0 src1=1 src2=0
	s_delay_alu instid0(VALU_DEP_1) | instskip(SKIP_1) | instid1(VALU_DEP_1)
	v_pk_fma_f32 v[118:119], v[120:121], v[0:1] /*v[256:257]*/, v[116:117] neg_lo:[0,0,1] neg_hi:[0,0,1]
	v_pk_fma_f32 v[116:117], v[120:121], v[0:1] /*v[256:257]*/, v[116:117] op_sel_hi:[1,0,1]
	v_mov_b32_e32 v119, v117
	s_wait_loadcnt_dscnt 0x101
	v_pk_mul_f32 v[116:117], v[122:123], v[2:3] /*v[258:259]*/ op_sel:[1,1] op_sel_hi:[0,1]
	s_set_vgpr_msb 0                        ;  msbs: dst=0 src0=0 src1=0 src2=0
	s_delay_alu instid0(VALU_DEP_2) | instskip(SKIP_1) | instid1(VALU_DEP_2)
	v_pk_add_f32 v[114:115], v[114:115], v[118:119]
	s_set_vgpr_msb 4                        ;  msbs: dst=0 src0=0 src1=1 src2=0
	v_pk_fma_f32 v[118:119], v[122:123], v[2:3] /*v[258:259]*/, v[116:117] neg_lo:[0,0,1] neg_hi:[0,0,1]
	v_pk_fma_f32 v[116:117], v[122:123], v[2:3] /*v[258:259]*/, v[116:117] op_sel_hi:[1,0,1]
	s_delay_alu instid0(VALU_DEP_1) | instskip(SKIP_2) | instid1(VALU_DEP_2)
	v_dual_mov_b32 v116, v125 :: v_dual_mov_b32 v119, v117
	v_mov_b32_e32 v117, v124
	s_set_vgpr_msb 0                        ;  msbs: dst=0 src0=0 src1=0 src2=0
	v_pk_add_f32 v[114:115], v[114:115], v[118:119]
	s_set_vgpr_msb 1                        ;  msbs: dst=0 src0=1 src1=0 src2=0
	v_mov_b32_e32 v118, v5 /*v261*/
	s_set_vgpr_msb 0                        ;  msbs: dst=0 src0=0 src1=0 src2=0
	s_delay_alu instid0(VALU_DEP_1) | instskip(SKIP_1) | instid1(VALU_DEP_1)
	v_pk_mul_f32 v[116:117], v[116:117], v[118:119] op_sel_hi:[1,0]
	s_set_vgpr_msb 4                        ;  msbs: dst=0 src0=0 src1=1 src2=0
	v_pk_fma_f32 v[118:119], v[124:125], v[4:5] /*v[260:261]*/, v[116:117] neg_lo:[0,0,1] neg_hi:[0,0,1]
	v_pk_fma_f32 v[116:117], v[124:125], v[4:5] /*v[260:261]*/, v[116:117] op_sel_hi:[1,0,1]
	s_delay_alu instid0(VALU_DEP_1) | instskip(SKIP_3) | instid1(VALU_DEP_2)
	v_mov_b32_e32 v119, v117
	s_wait_loadcnt_dscnt 0x0
	v_pk_mul_f32 v[116:117], v[126:127], v[12:13] /*v[268:269]*/ op_sel:[1,1] op_sel_hi:[0,1]
	s_set_vgpr_msb 0                        ;  msbs: dst=0 src0=0 src1=0 src2=0
	v_pk_add_f32 v[114:115], v[114:115], v[118:119]
	s_set_vgpr_msb 4                        ;  msbs: dst=0 src0=0 src1=1 src2=0
	s_delay_alu instid0(VALU_DEP_2) | instskip(SKIP_1) | instid1(VALU_DEP_1)
	v_pk_fma_f32 v[118:119], v[126:127], v[12:13] /*v[268:269]*/, v[116:117] neg_lo:[0,0,1] neg_hi:[0,0,1]
	v_pk_fma_f32 v[116:117], v[126:127], v[12:13] /*v[268:269]*/, v[116:117] op_sel_hi:[1,0,1]
	v_mov_b32_e32 v119, v117
	scratch_load_b64 v[116:117], off, off offset:112
	s_set_vgpr_msb 0                        ;  msbs: dst=0 src0=0 src1=0 src2=0
	v_pk_add_f32 v[114:115], v[114:115], v[118:119]
	s_wait_loadcnt 0x0
	s_delay_alu instid0(VALU_DEP_1)
	v_pk_add_f32 v[114:115], v[116:117], v[114:115] neg_lo:[0,1] neg_hi:[0,1]
	scratch_store_b64 off, v[114:115], off offset:112
	s_wait_xcnt 0x0
	v_cmpx_lt_u32_e32 13, v0
	s_cbranch_execz .LBB55_323
; %bb.322:
	scratch_load_b64 v[114:115], off, off offset:104
	v_mov_b64_e32 v[116:117], 0
	scratch_store_b64 off, v[116:117], off offset:104
	s_wait_loadcnt 0x0
	ds_store_b64 v1, v[114:115]
.LBB55_323:
	s_wait_xcnt 0x0
	s_or_b32 exec_lo, exec_lo, s0
	s_wait_storecnt_dscnt 0x0
	s_barrier_signal -1
	s_barrier_wait -1
	ds_load_b128 v[114:117], v7 offset:560
	ds_load_b128 v[118:121], v7 offset:576
	ds_load_b128 v[122:125], v7 offset:592
	ds_load_b128 v[126:129], v7 offset:608
	s_clause 0x10
	scratch_load_b128 v[130:133], off, off offset:112
	scratch_load_b128 v[134:137], off, off offset:128
	;; [unrolled: 1-line block ×17, first 2 shown]
	ds_load_b128 v[146:149], v7 offset:624
	ds_load_b128 v[154:157], v7 offset:640
	;; [unrolled: 1-line block ×13, first 2 shown]
	s_clause 0x4
	scratch_load_b128 v[250:253], off, off offset:384
	scratch_load_b128 v[254:257], off, off offset:400
	s_set_vgpr_msb 64                       ;  msbs: dst=1 src0=0 src1=0 src2=0
	scratch_load_b128 v[2:5] /*v[258:261]*/, off, off offset:416
	scratch_load_b128 v[6:9] /*v[262:265]*/, off, off offset:432
	s_mov_b32 s0, exec_lo
	s_wait_loadcnt_dscnt 0x1410
	s_set_vgpr_msb 0                        ;  msbs: dst=0 src0=0 src1=0 src2=0
	v_dual_mul_f32 v9, v114, v131 :: v_dual_mul_f32 v11, v116, v133
	s_delay_alu instid0(VALU_DEP_1) | instskip(NEXT) | instid1(VALU_DEP_1)
	v_dual_fmac_f32 v9, v115, v130 :: v_dual_fmac_f32 v11, v117, v132
	v_add_f32_e32 v9, 0, v9
	s_delay_alu instid0(VALU_DEP_1)
	v_add_f32_e32 v9, v9, v11
	s_wait_loadcnt_dscnt 0x130f
	v_mul_f32_e32 v11, v118, v135
	s_wait_loadcnt_dscnt 0x40a
	s_set_vgpr_msb 64                       ;  msbs: dst=1 src0=0 src1=0 src2=0
	v_dual_mul_f32 v13 /*v269*/, v242, v247 :: v_dual_mul_f32 v15 /*v271*/, v244, v249
	s_set_vgpr_msb 0                        ;  msbs: dst=0 src0=0 src1=0 src2=0
	v_fmac_f32_e32 v11, v119, v134
	s_set_vgpr_msb 64                       ;  msbs: dst=1 src0=0 src1=0 src2=0
	s_delay_alu instid0(VALU_DEP_2) | instskip(SKIP_1) | instid1(VALU_DEP_2)
	v_dual_fmac_f32 v13 /*v269*/, v243, v246 :: v_dual_fmac_f32 v15 /*v271*/, v245, v248
	s_set_vgpr_msb 0                        ;  msbs: dst=0 src0=0 src1=0 src2=0
	v_dual_add_f32 v9, v9, v11 :: v_dual_mul_f32 v11, v120, v137
	s_delay_alu instid0(VALU_DEP_1) | instskip(NEXT) | instid1(VALU_DEP_1)
	v_fmac_f32_e32 v11, v121, v136
	v_add_f32_e32 v9, v9, v11
	v_mul_f32_e32 v11, v122, v139
	s_delay_alu instid0(VALU_DEP_1) | instskip(NEXT) | instid1(VALU_DEP_1)
	v_fmac_f32_e32 v11, v123, v138
	v_dual_add_f32 v9, v9, v11 :: v_dual_mul_f32 v11, v124, v141
	s_delay_alu instid0(VALU_DEP_1) | instskip(NEXT) | instid1(VALU_DEP_1)
	v_fmac_f32_e32 v11, v125, v140
	v_add_f32_e32 v9, v9, v11
	v_mul_f32_e32 v11, v126, v143
	s_delay_alu instid0(VALU_DEP_1) | instskip(NEXT) | instid1(VALU_DEP_1)
	v_fmac_f32_e32 v11, v127, v142
	v_dual_add_f32 v9, v9, v11 :: v_dual_mul_f32 v11, v128, v145
	s_delay_alu instid0(VALU_DEP_1) | instskip(NEXT) | instid1(VALU_DEP_1)
	v_fmac_f32_e32 v11, v129, v144
	v_add_f32_e32 v9, v9, v11
	v_mul_f32_e32 v11, v146, v151
	s_delay_alu instid0(VALU_DEP_1) | instskip(NEXT) | instid1(VALU_DEP_1)
	v_fmac_f32_e32 v11, v147, v150
	v_dual_add_f32 v9, v9, v11 :: v_dual_mul_f32 v11, v148, v153
	s_delay_alu instid0(VALU_DEP_1) | instskip(NEXT) | instid1(VALU_DEP_1)
	v_fmac_f32_e32 v11, v149, v152
	v_add_f32_e32 v9, v9, v11
	v_mul_f32_e32 v11, v154, v159
	s_delay_alu instid0(VALU_DEP_1) | instskip(NEXT) | instid1(VALU_DEP_1)
	v_fmac_f32_e32 v11, v155, v158
	v_dual_add_f32 v9, v9, v11 :: v_dual_mul_f32 v11, v156, v161
	s_delay_alu instid0(VALU_DEP_1) | instskip(NEXT) | instid1(VALU_DEP_1)
	v_fmac_f32_e32 v11, v157, v160
	v_add_f32_e32 v9, v9, v11
	s_wait_dscnt 0x9
	v_mul_f32_e32 v11, v162, v167
	s_delay_alu instid0(VALU_DEP_1) | instskip(NEXT) | instid1(VALU_DEP_1)
	v_fmac_f32_e32 v11, v163, v166
	v_dual_add_f32 v9, v9, v11 :: v_dual_mul_f32 v11, v164, v169
	s_delay_alu instid0(VALU_DEP_1) | instskip(NEXT) | instid1(VALU_DEP_1)
	v_fmac_f32_e32 v11, v165, v168
	v_add_f32_e32 v9, v9, v11
	s_wait_dscnt 0x8
	v_mul_f32_e32 v11, v170, v175
	s_delay_alu instid0(VALU_DEP_1) | instskip(NEXT) | instid1(VALU_DEP_1)
	v_fmac_f32_e32 v11, v171, v174
	;; [unrolled: 8-line block ×10, first 2 shown]
	v_dual_add_f32 v9, v9, v11 :: v_dual_mul_f32 v11, v236, v241
	s_delay_alu instid0(VALU_DEP_1) | instskip(SKIP_1) | instid1(VALU_DEP_1)
	v_fmac_f32_e32 v11, v237, v240
	s_set_vgpr_msb 64                       ;  msbs: dst=1 src0=0 src1=0 src2=0
	v_add_f32_e32 v11 /*v267*/, v9, v11
	s_set_vgpr_msb 0                        ;  msbs: dst=0 src0=0 src1=0 src2=0
	v_dual_mul_f32 v9, v115, v131 :: v_dual_mul_f32 v11, v117, v133
	s_delay_alu instid0(VALU_DEP_1) | instskip(NEXT) | instid1(VALU_DEP_1)
	v_dual_fma_f32 v9, v114, v130, -v9 :: v_dual_fma_f32 v11, v116, v132, -v11
	v_add_f32_e32 v9, 0, v9
	s_delay_alu instid0(VALU_DEP_1) | instskip(SKIP_1) | instid1(VALU_DEP_1)
	v_add_f32_e32 v9, v9, v11
	v_mul_f32_e32 v11, v119, v135
	v_fma_f32 v11, v118, v134, -v11
	s_delay_alu instid0(VALU_DEP_1) | instskip(SKIP_1) | instid1(VALU_DEP_1)
	v_add_f32_e32 v9, v9, v11
	v_mul_f32_e32 v11, v121, v137
	v_fma_f32 v11, v120, v136, -v11
	;; [unrolled: 4-line block ×6, first 2 shown]
	ds_load_b128 v[114:117], v7 offset:832
	ds_load_b128 v[118:121], v7 offset:848
	;; [unrolled: 1-line block ×4, first 2 shown]
	v_add_f32_e32 v9, v9, v11
	v_mul_f32_e32 v11, v147, v151
	s_delay_alu instid0(VALU_DEP_1) | instskip(NEXT) | instid1(VALU_DEP_1)
	v_fma_f32 v11, v146, v150, -v11
	v_add_f32_e32 v9, v9, v11
	v_mul_f32_e32 v11, v149, v153
	s_wait_loadcnt_dscnt 0x303
	v_pk_mul_f32 v[132:133], v[114:115], v[250:251] op_sel:[1,1] op_sel_hi:[0,1]
	s_delay_alu instid0(VALU_DEP_2) | instskip(NEXT) | instid1(VALU_DEP_2)
	v_fma_f32 v11, v148, v152, -v11
	v_pk_fma_f32 v[134:135], v[114:115], v[250:251], v[132:133] neg_lo:[0,0,1] neg_hi:[0,0,1]
	v_pk_fma_f32 v[114:115], v[114:115], v[250:251], v[132:133] op_sel_hi:[1,0,1]
	v_mov_b32_e32 v132, v253
	s_delay_alu instid0(VALU_DEP_4) | instskip(SKIP_1) | instid1(VALU_DEP_1)
	v_add_f32_e32 v9, v9, v11
	v_mul_f32_e32 v11, v155, v159
	v_dual_mov_b32 v135, v115 :: v_dual_fma_f32 v11, v154, v158, -v11
	s_delay_alu instid0(VALU_DEP_1) | instskip(SKIP_1) | instid1(VALU_DEP_1)
	v_add_f32_e32 v9, v9, v11
	v_mul_f32_e32 v11, v157, v161
	v_fma_f32 v11, v156, v160, -v11
	s_delay_alu instid0(VALU_DEP_1) | instskip(SKIP_1) | instid1(VALU_DEP_1)
	v_add_f32_e32 v9, v9, v11
	v_mul_f32_e32 v11, v163, v167
	v_fma_f32 v11, v162, v166, -v11
	;; [unrolled: 4-line block ×21, first 2 shown]
	s_set_vgpr_msb 64                       ;  msbs: dst=1 src0=0 src1=0 src2=0
	s_delay_alu instid0(VALU_DEP_1) | instskip(SKIP_3) | instid1(VALU_DEP_1)
	v_add_f32_e32 v10 /*v266*/, v9, v11
	s_set_vgpr_msb 0                        ;  msbs: dst=0 src0=0 src1=0 src2=0
	v_mul_f32_e32 v9, v243, v247
	s_set_vgpr_msb 64                       ;  msbs: dst=1 src0=0 src1=0 src2=0
	v_fma_f32 v12 /*v268*/, v242, v246, -v9
	s_set_vgpr_msb 0                        ;  msbs: dst=0 src0=0 src1=0 src2=0
	v_mul_f32_e32 v9, v245, v249
	s_set_vgpr_msb 5                        ;  msbs: dst=0 src0=1 src1=1 src2=0
	s_delay_alu instid0(VALU_DEP_2) | instskip(SKIP_1) | instid1(VALU_DEP_2)
	v_pk_add_f32 v[130:131], v[10:11] /*v[266:267]*/, v[12:13] /*v[268:269]*/
	s_set_vgpr_msb 64                       ;  msbs: dst=1 src0=0 src1=0 src2=0
	v_fma_f32 v14 /*v270*/, v244, v248, -v9
	s_set_vgpr_msb 4                        ;  msbs: dst=0 src0=0 src1=1 src2=0
	s_delay_alu instid0(VALU_DEP_1) | instskip(SKIP_1) | instid1(VALU_DEP_1)
	v_pk_add_f32 v[130:131], v[130:131], v[14:15] /*v[270:271]*/
	s_set_vgpr_msb 0                        ;  msbs: dst=0 src0=0 src1=0 src2=0
	v_pk_add_f32 v[114:115], v[130:131], v[134:135]
	v_dual_mov_b32 v130, v117 :: v_dual_mov_b32 v131, v116
	s_delay_alu instid0(VALU_DEP_1) | instskip(NEXT) | instid1(VALU_DEP_1)
	v_pk_mul_f32 v[130:131], v[130:131], v[132:133] op_sel_hi:[1,0]
	v_pk_fma_f32 v[132:133], v[116:117], v[252:253], v[130:131] neg_lo:[0,0,1] neg_hi:[0,0,1]
	v_pk_fma_f32 v[116:117], v[116:117], v[252:253], v[130:131] op_sel_hi:[1,0,1]
	s_delay_alu instid0(VALU_DEP_1) | instskip(SKIP_2) | instid1(VALU_DEP_2)
	v_mov_b32_e32 v133, v117
	s_wait_loadcnt_dscnt 0x202
	v_pk_mul_f32 v[116:117], v[118:119], v[254:255] op_sel:[1,1] op_sel_hi:[0,1]
	v_pk_add_f32 v[114:115], v[114:115], v[132:133]
	s_delay_alu instid0(VALU_DEP_2)
	v_pk_fma_f32 v[130:131], v[118:119], v[254:255], v[116:117] neg_lo:[0,0,1] neg_hi:[0,0,1]
	v_pk_fma_f32 v[116:117], v[118:119], v[254:255], v[116:117] op_sel_hi:[1,0,1]
	v_mov_b32_e32 v116, v121
	s_set_vgpr_msb 1                        ;  msbs: dst=0 src0=1 src1=0 src2=0
	v_mov_b32_e32 v118, v1 /*v257*/
	s_set_vgpr_msb 0                        ;  msbs: dst=0 src0=0 src1=0 src2=0
	v_dual_mov_b32 v131, v117 :: v_dual_mov_b32 v117, v120
	s_delay_alu instid0(VALU_DEP_1) | instskip(NEXT) | instid1(VALU_DEP_2)
	v_pk_add_f32 v[114:115], v[114:115], v[130:131]
	v_pk_mul_f32 v[116:117], v[116:117], v[118:119] op_sel_hi:[1,0]
	s_set_vgpr_msb 4                        ;  msbs: dst=0 src0=0 src1=1 src2=0
	s_delay_alu instid0(VALU_DEP_1) | instskip(SKIP_1) | instid1(VALU_DEP_1)
	v_pk_fma_f32 v[118:119], v[120:121], v[0:1] /*v[256:257]*/, v[116:117] neg_lo:[0,0,1] neg_hi:[0,0,1]
	v_pk_fma_f32 v[116:117], v[120:121], v[0:1] /*v[256:257]*/, v[116:117] op_sel_hi:[1,0,1]
	v_mov_b32_e32 v119, v117
	s_wait_loadcnt_dscnt 0x101
	v_pk_mul_f32 v[116:117], v[122:123], v[2:3] /*v[258:259]*/ op_sel:[1,1] op_sel_hi:[0,1]
	s_set_vgpr_msb 0                        ;  msbs: dst=0 src0=0 src1=0 src2=0
	s_delay_alu instid0(VALU_DEP_2) | instskip(SKIP_1) | instid1(VALU_DEP_2)
	v_pk_add_f32 v[114:115], v[114:115], v[118:119]
	s_set_vgpr_msb 4                        ;  msbs: dst=0 src0=0 src1=1 src2=0
	v_pk_fma_f32 v[118:119], v[122:123], v[2:3] /*v[258:259]*/, v[116:117] neg_lo:[0,0,1] neg_hi:[0,0,1]
	v_pk_fma_f32 v[116:117], v[122:123], v[2:3] /*v[258:259]*/, v[116:117] op_sel_hi:[1,0,1]
	s_delay_alu instid0(VALU_DEP_1) | instskip(SKIP_2) | instid1(VALU_DEP_2)
	v_dual_mov_b32 v116, v125 :: v_dual_mov_b32 v119, v117
	v_mov_b32_e32 v117, v124
	s_set_vgpr_msb 0                        ;  msbs: dst=0 src0=0 src1=0 src2=0
	v_pk_add_f32 v[114:115], v[114:115], v[118:119]
	s_set_vgpr_msb 1                        ;  msbs: dst=0 src0=1 src1=0 src2=0
	v_mov_b32_e32 v118, v5 /*v261*/
	s_set_vgpr_msb 0                        ;  msbs: dst=0 src0=0 src1=0 src2=0
	s_delay_alu instid0(VALU_DEP_1) | instskip(SKIP_1) | instid1(VALU_DEP_1)
	v_pk_mul_f32 v[116:117], v[116:117], v[118:119] op_sel_hi:[1,0]
	s_set_vgpr_msb 4                        ;  msbs: dst=0 src0=0 src1=1 src2=0
	v_pk_fma_f32 v[118:119], v[124:125], v[4:5] /*v[260:261]*/, v[116:117] neg_lo:[0,0,1] neg_hi:[0,0,1]
	v_pk_fma_f32 v[116:117], v[124:125], v[4:5] /*v[260:261]*/, v[116:117] op_sel_hi:[1,0,1]
	s_delay_alu instid0(VALU_DEP_1) | instskip(SKIP_3) | instid1(VALU_DEP_2)
	v_mov_b32_e32 v119, v117
	s_wait_loadcnt_dscnt 0x0
	v_pk_mul_f32 v[116:117], v[126:127], v[6:7] /*v[262:263]*/ op_sel:[1,1] op_sel_hi:[0,1]
	s_set_vgpr_msb 0                        ;  msbs: dst=0 src0=0 src1=0 src2=0
	v_pk_add_f32 v[114:115], v[114:115], v[118:119]
	s_set_vgpr_msb 4                        ;  msbs: dst=0 src0=0 src1=1 src2=0
	s_delay_alu instid0(VALU_DEP_2) | instskip(SKIP_1) | instid1(VALU_DEP_1)
	v_pk_fma_f32 v[118:119], v[126:127], v[6:7] /*v[262:263]*/, v[116:117] neg_lo:[0,0,1] neg_hi:[0,0,1]
	v_pk_fma_f32 v[116:117], v[126:127], v[6:7] /*v[262:263]*/, v[116:117] op_sel_hi:[1,0,1]
	v_dual_mov_b32 v116, v129 :: v_dual_mov_b32 v119, v117
	v_mov_b32_e32 v117, v128
	s_set_vgpr_msb 0                        ;  msbs: dst=0 src0=0 src1=0 src2=0
	s_delay_alu instid0(VALU_DEP_2) | instskip(SKIP_3) | instid1(VALU_DEP_1)
	v_pk_add_f32 v[114:115], v[114:115], v[118:119]
	s_set_vgpr_msb 1                        ;  msbs: dst=0 src0=1 src1=0 src2=0
	v_mov_b32_e32 v118, v9 /*v265*/
	s_set_vgpr_msb 0                        ;  msbs: dst=0 src0=0 src1=0 src2=0
	v_pk_mul_f32 v[116:117], v[116:117], v[118:119] op_sel_hi:[1,0]
	s_set_vgpr_msb 4                        ;  msbs: dst=0 src0=0 src1=1 src2=0
	s_delay_alu instid0(VALU_DEP_1) | instskip(SKIP_1) | instid1(VALU_DEP_1)
	v_pk_fma_f32 v[118:119], v[128:129], v[8:9] /*v[264:265]*/, v[116:117] neg_lo:[0,0,1] neg_hi:[0,0,1]
	v_pk_fma_f32 v[116:117], v[128:129], v[8:9] /*v[264:265]*/, v[116:117] op_sel_hi:[1,0,1]
	v_mov_b32_e32 v119, v117
	scratch_load_b64 v[116:117], off, off offset:104
	s_set_vgpr_msb 0                        ;  msbs: dst=0 src0=0 src1=0 src2=0
	v_pk_add_f32 v[114:115], v[114:115], v[118:119]
	s_wait_loadcnt 0x0
	s_delay_alu instid0(VALU_DEP_1)
	v_pk_add_f32 v[114:115], v[116:117], v[114:115] neg_lo:[0,1] neg_hi:[0,1]
	scratch_store_b64 off, v[114:115], off offset:104
	s_wait_xcnt 0x0
	v_cmpx_lt_u32_e32 12, v0
	s_cbranch_execz .LBB55_325
; %bb.324:
	scratch_load_b64 v[114:115], off, off offset:96
	v_mov_b64_e32 v[116:117], 0
	scratch_store_b64 off, v[116:117], off offset:96
	s_wait_loadcnt 0x0
	ds_store_b64 v1, v[114:115]
.LBB55_325:
	s_wait_xcnt 0x0
	s_or_b32 exec_lo, exec_lo, s0
	s_wait_storecnt_dscnt 0x0
	s_barrier_signal -1
	s_barrier_wait -1
	s_clause 0xf
	scratch_load_b128 v[118:121], off, off offset:104
	scratch_load_b128 v[126:129], off, off offset:120
	;; [unrolled: 1-line block ×16, first 2 shown]
	v_mov_b32_e32 v7, 0
	s_clause 0x1
	scratch_load_b128 v[246:249], off, off offset:360
	scratch_load_b128 v[254:257], off, off offset:376
	s_mov_b32 s0, exec_lo
	ds_load_2addr_b64 v[114:117], v7 offset0:69 offset1:70
	ds_load_2addr_b64 v[122:125], v7 offset0:71 offset1:72
	s_wait_loadcnt_dscnt 0x1101
	v_dual_mul_f32 v9, v114, v119 :: v_dual_mul_f32 v11, v116, v121
	ds_load_2addr_b64 v[130:133], v7 offset0:73 offset1:74
	ds_load_2addr_b64 v[138:141], v7 offset0:75 offset1:76
	;; [unrolled: 1-line block ×4, first 2 shown]
	v_dual_fmac_f32 v9, v115, v118 :: v_dual_fmac_f32 v11, v117, v120
	ds_load_2addr_b64 v[146:149], v7 offset0:77 offset1:78
	ds_load_2addr_b64 v[154:157], v7 offset0:79 offset1:80
	;; [unrolled: 1-line block ×4, first 2 shown]
	v_add_f32_e32 v9, 0, v9
	ds_load_2addr_b64 v[178:181], v7 offset0:85 offset1:86
	ds_load_2addr_b64 v[186:189], v7 offset0:87 offset1:88
	;; [unrolled: 1-line block ×4, first 2 shown]
	v_add_f32_e32 v9, v9, v11
	s_wait_loadcnt_dscnt 0x100c
	v_mul_f32_e32 v11, v122, v127
	ds_load_2addr_b64 v[210:213], v7 offset0:93 offset1:94
	ds_load_2addr_b64 v[218:221], v7 offset0:95 offset1:96
	;; [unrolled: 1-line block ×4, first 2 shown]
	v_fmac_f32_e32 v11, v123, v126
	s_set_vgpr_msb 64                       ;  msbs: dst=1 src0=0 src1=0 src2=0
	s_clause 0x3
	scratch_load_b128 v[2:5] /*v[258:261]*/, off, off offset:392
	scratch_load_b128 v[6:9] /*v[262:265]*/, off, off offset:408
	;; [unrolled: 1-line block ×3, first 2 shown]
	scratch_load_b64 v[20:21] /*v[276:277]*/, off, off offset:440
	s_wait_loadcnt_dscnt 0x40c
	v_dual_mul_f32 v17 /*v273*/, v244, v249 :: v_dual_mul_f32 v19 /*v275*/, v250, v255
	s_set_vgpr_msb 0                        ;  msbs: dst=0 src0=0 src1=0 src2=0
	v_dual_add_f32 v9, v9, v11 :: v_dual_mul_f32 v11, v124, v129
	s_set_vgpr_msb 64                       ;  msbs: dst=1 src0=0 src1=0 src2=0
	s_delay_alu instid0(VALU_DEP_2) | instskip(SKIP_1) | instid1(VALU_DEP_2)
	v_fmac_f32_e32 v17 /*v273*/, v245, v248
	s_set_vgpr_msb 0                        ;  msbs: dst=0 src0=0 src1=0 src2=0
	v_fmac_f32_e32 v11, v125, v128
	s_delay_alu instid0(VALU_DEP_1) | instskip(SKIP_1) | instid1(VALU_DEP_1)
	v_add_f32_e32 v9, v9, v11
	v_mul_f32_e32 v11, v130, v135
	v_fmac_f32_e32 v11, v131, v134
	s_delay_alu instid0(VALU_DEP_1) | instskip(NEXT) | instid1(VALU_DEP_1)
	v_dual_add_f32 v9, v9, v11 :: v_dual_mul_f32 v11, v132, v137
	v_fmac_f32_e32 v11, v133, v136
	s_delay_alu instid0(VALU_DEP_1) | instskip(SKIP_1) | instid1(VALU_DEP_1)
	v_add_f32_e32 v9, v9, v11
	v_mul_f32_e32 v11, v138, v143
	v_fmac_f32_e32 v11, v139, v142
	s_delay_alu instid0(VALU_DEP_1) | instskip(NEXT) | instid1(VALU_DEP_1)
	v_dual_add_f32 v9, v9, v11 :: v_dual_mul_f32 v11, v140, v145
	v_fmac_f32_e32 v11, v141, v144
	s_delay_alu instid0(VALU_DEP_1) | instskip(SKIP_2) | instid1(VALU_DEP_1)
	v_add_f32_e32 v9, v9, v11
	s_wait_dscnt 0xb
	v_mul_f32_e32 v11, v146, v151
	v_fmac_f32_e32 v11, v147, v150
	s_delay_alu instid0(VALU_DEP_1) | instskip(NEXT) | instid1(VALU_DEP_1)
	v_dual_add_f32 v9, v9, v11 :: v_dual_mul_f32 v11, v148, v153
	v_fmac_f32_e32 v11, v149, v152
	s_delay_alu instid0(VALU_DEP_1) | instskip(SKIP_2) | instid1(VALU_DEP_1)
	v_add_f32_e32 v9, v9, v11
	s_wait_dscnt 0xa
	;; [unrolled: 8-line block ×12, first 2 shown]
	v_mul_f32_e32 v11, v234, v239
	v_fmac_f32_e32 v11, v235, v238
	s_delay_alu instid0(VALU_DEP_1) | instskip(NEXT) | instid1(VALU_DEP_1)
	v_dual_add_f32 v9, v9, v11 :: v_dual_mul_f32 v11, v236, v241
	v_fmac_f32_e32 v11, v237, v240
	s_delay_alu instid0(VALU_DEP_1) | instskip(SKIP_1) | instid1(VALU_DEP_1)
	v_add_f32_e32 v9, v9, v11
	v_mul_f32_e32 v11, v242, v247
	v_fmac_f32_e32 v11, v243, v246
	s_set_vgpr_msb 64                       ;  msbs: dst=1 src0=0 src1=0 src2=0
	s_delay_alu instid0(VALU_DEP_1) | instskip(SKIP_2) | instid1(VALU_DEP_1)
	v_add_f32_e32 v15 /*v271*/, v9, v11
	s_set_vgpr_msb 0                        ;  msbs: dst=0 src0=0 src1=0 src2=0
	v_dual_mul_f32 v9, v115, v119 :: v_dual_mul_f32 v11, v117, v121
	v_dual_fma_f32 v9, v114, v118, -v9 :: v_dual_fma_f32 v11, v116, v120, -v11
	s_delay_alu instid0(VALU_DEP_1) | instskip(NEXT) | instid1(VALU_DEP_1)
	v_add_f32_e32 v9, 0, v9
	v_add_f32_e32 v9, v9, v11
	v_mul_f32_e32 v11, v123, v127
	s_delay_alu instid0(VALU_DEP_1) | instskip(NEXT) | instid1(VALU_DEP_1)
	v_fma_f32 v11, v122, v126, -v11
	v_add_f32_e32 v9, v9, v11
	v_mul_f32_e32 v11, v125, v129
	s_delay_alu instid0(VALU_DEP_1)
	v_fma_f32 v11, v124, v128, -v11
	ds_load_2addr_b64 v[114:117], v7 offset0:105 offset1:106
	ds_load_2addr_b64 v[118:121], v7 offset0:107 offset1:108
	ds_load_2addr_b64 v[122:125], v7 offset0:109 offset1:110
	ds_load_b64 v[126:127], v7 offset:888
	v_add_f32_e32 v9, v9, v11
	v_dual_mul_f32 v11, v131, v135 :: v_dual_mov_b32 v131, v252
	s_delay_alu instid0(VALU_DEP_1) | instskip(NEXT) | instid1(VALU_DEP_1)
	v_dual_fma_f32 v11, v130, v134, -v11 :: v_dual_mov_b32 v130, v253
	v_add_f32_e32 v9, v9, v11
	v_mul_f32_e32 v11, v133, v137
	s_delay_alu instid0(VALU_DEP_1) | instskip(SKIP_3) | instid1(VALU_DEP_2)
	v_fma_f32 v11, v132, v136, -v11
	s_set_vgpr_msb 1                        ;  msbs: dst=0 src0=1 src1=0 src2=0
	v_mov_b32_e32 v132, v1 /*v257*/
	s_set_vgpr_msb 0                        ;  msbs: dst=0 src0=0 src1=0 src2=0
	v_add_f32_e32 v9, v9, v11
	v_mul_f32_e32 v11, v139, v143
	s_delay_alu instid0(VALU_DEP_3) | instskip(NEXT) | instid1(VALU_DEP_2)
	v_pk_mul_f32 v[130:131], v[130:131], v[132:133] op_sel_hi:[1,0]
	v_fma_f32 v11, v138, v142, -v11
	s_set_vgpr_msb 4                        ;  msbs: dst=0 src0=0 src1=1 src2=0
	s_delay_alu instid0(VALU_DEP_2) | instskip(SKIP_3) | instid1(VALU_DEP_2)
	v_pk_fma_f32 v[132:133], v[252:253], v[0:1] /*v[256:257]*/, v[130:131] neg_lo:[0,0,1] neg_hi:[0,0,1]
	v_pk_fma_f32 v[130:131], v[252:253], v[0:1] /*v[256:257]*/, v[130:131] op_sel_hi:[1,0,1]
	s_set_vgpr_msb 0                        ;  msbs: dst=0 src0=0 src1=0 src2=0
	v_add_f32_e32 v9, v9, v11
	v_dual_mul_f32 v11, v141, v145 :: v_dual_mov_b32 v133, v131
	s_wait_loadcnt_dscnt 0x303
	s_set_vgpr_msb 4                        ;  msbs: dst=0 src0=0 src1=1 src2=0
	v_pk_mul_f32 v[130:131], v[114:115], v[2:3] /*v[258:259]*/ op_sel:[1,1] op_sel_hi:[0,1]
	s_set_vgpr_msb 0                        ;  msbs: dst=0 src0=0 src1=0 src2=0
	v_fma_f32 v11, v140, v144, -v11
	s_delay_alu instid0(VALU_DEP_1) | instskip(SKIP_1) | instid1(VALU_DEP_1)
	v_add_f32_e32 v9, v9, v11
	v_mul_f32_e32 v11, v147, v151
	v_fma_f32 v11, v146, v150, -v11
	s_delay_alu instid0(VALU_DEP_1) | instskip(SKIP_1) | instid1(VALU_DEP_1)
	v_add_f32_e32 v9, v9, v11
	v_mul_f32_e32 v11, v149, v153
	;; [unrolled: 4-line block ×25, first 2 shown]
	v_fma_f32 v11, v242, v246, -v11
	s_set_vgpr_msb 64                       ;  msbs: dst=1 src0=0 src1=0 src2=0
	s_delay_alu instid0(VALU_DEP_1) | instskip(SKIP_3) | instid1(VALU_DEP_1)
	v_dual_fmac_f32 v19 /*v275*/, v251, v254 :: v_dual_add_f32 v14 /*v270*/, v9, v11
	s_set_vgpr_msb 0                        ;  msbs: dst=0 src0=0 src1=0 src2=0
	v_mul_f32_e32 v9, v245, v249
	s_set_vgpr_msb 64                       ;  msbs: dst=1 src0=0 src1=0 src2=0
	v_fma_f32 v16 /*v272*/, v244, v248, -v9
	s_set_vgpr_msb 0                        ;  msbs: dst=0 src0=0 src1=0 src2=0
	v_mul_f32_e32 v9, v251, v255
	s_set_vgpr_msb 64                       ;  msbs: dst=1 src0=0 src1=0 src2=0
	s_delay_alu instid0(VALU_DEP_1) | instskip(SKIP_3) | instid1(VALU_DEP_1)
	v_fma_f32 v18 /*v274*/, v250, v254, -v9
	s_set_vgpr_msb 5                        ;  msbs: dst=0 src0=1 src1=1 src2=0
	v_pk_add_f32 v[128:129], v[14:15] /*v[270:271]*/, v[16:17] /*v[272:273]*/
	s_set_vgpr_msb 4                        ;  msbs: dst=0 src0=0 src1=1 src2=0
	v_pk_add_f32 v[128:129], v[128:129], v[18:19] /*v[274:275]*/
	s_set_vgpr_msb 0                        ;  msbs: dst=0 src0=0 src1=0 src2=0
	s_delay_alu instid0(VALU_DEP_1)
	v_pk_add_f32 v[128:129], v[128:129], v[132:133]
	s_set_vgpr_msb 4                        ;  msbs: dst=0 src0=0 src1=1 src2=0
	v_pk_fma_f32 v[132:133], v[114:115], v[2:3] /*v[258:259]*/, v[130:131] neg_lo:[0,0,1] neg_hi:[0,0,1]
	v_pk_fma_f32 v[114:115], v[114:115], v[2:3] /*v[258:259]*/, v[130:131] op_sel_hi:[1,0,1]
	s_set_vgpr_msb 1                        ;  msbs: dst=0 src0=1 src1=0 src2=0
	v_mov_b32_e32 v130, v5 /*v261*/
	s_set_vgpr_msb 0                        ;  msbs: dst=0 src0=0 src1=0 src2=0
	s_delay_alu instid0(VALU_DEP_2) | instskip(NEXT) | instid1(VALU_DEP_1)
	v_mov_b32_e32 v133, v115
	v_pk_add_f32 v[114:115], v[128:129], v[132:133]
	v_dual_mov_b32 v128, v117 :: v_dual_mov_b32 v129, v116
	s_delay_alu instid0(VALU_DEP_1) | instskip(SKIP_1) | instid1(VALU_DEP_1)
	v_pk_mul_f32 v[128:129], v[128:129], v[130:131] op_sel_hi:[1,0]
	s_set_vgpr_msb 4                        ;  msbs: dst=0 src0=0 src1=1 src2=0
	v_pk_fma_f32 v[130:131], v[116:117], v[4:5] /*v[260:261]*/, v[128:129] neg_lo:[0,0,1] neg_hi:[0,0,1]
	v_pk_fma_f32 v[116:117], v[116:117], v[4:5] /*v[260:261]*/, v[128:129] op_sel_hi:[1,0,1]
	s_delay_alu instid0(VALU_DEP_1) | instskip(SKIP_3) | instid1(VALU_DEP_2)
	v_mov_b32_e32 v131, v117
	s_wait_loadcnt_dscnt 0x202
	v_pk_mul_f32 v[116:117], v[118:119], v[6:7] /*v[262:263]*/ op_sel:[1,1] op_sel_hi:[0,1]
	s_set_vgpr_msb 0                        ;  msbs: dst=0 src0=0 src1=0 src2=0
	v_pk_add_f32 v[114:115], v[114:115], v[130:131]
	s_set_vgpr_msb 4                        ;  msbs: dst=0 src0=0 src1=1 src2=0
	s_delay_alu instid0(VALU_DEP_2)
	v_pk_fma_f32 v[128:129], v[118:119], v[6:7] /*v[262:263]*/, v[116:117] neg_lo:[0,0,1] neg_hi:[0,0,1]
	v_pk_fma_f32 v[116:117], v[118:119], v[6:7] /*v[262:263]*/, v[116:117] op_sel_hi:[1,0,1]
	v_mov_b32_e32 v116, v121
	s_set_vgpr_msb 1                        ;  msbs: dst=0 src0=1 src1=0 src2=0
	v_mov_b32_e32 v118, v9 /*v265*/
	s_set_vgpr_msb 0                        ;  msbs: dst=0 src0=0 src1=0 src2=0
	v_dual_mov_b32 v129, v117 :: v_dual_mov_b32 v117, v120
	s_delay_alu instid0(VALU_DEP_1) | instskip(NEXT) | instid1(VALU_DEP_2)
	v_pk_add_f32 v[114:115], v[114:115], v[128:129]
	v_pk_mul_f32 v[116:117], v[116:117], v[118:119] op_sel_hi:[1,0]
	s_set_vgpr_msb 4                        ;  msbs: dst=0 src0=0 src1=1 src2=0
	s_delay_alu instid0(VALU_DEP_1) | instskip(SKIP_1) | instid1(VALU_DEP_1)
	v_pk_fma_f32 v[118:119], v[120:121], v[8:9] /*v[264:265]*/, v[116:117] neg_lo:[0,0,1] neg_hi:[0,0,1]
	v_pk_fma_f32 v[116:117], v[120:121], v[8:9] /*v[264:265]*/, v[116:117] op_sel_hi:[1,0,1]
	v_mov_b32_e32 v119, v117
	s_wait_loadcnt_dscnt 0x101
	v_pk_mul_f32 v[116:117], v[122:123], v[10:11] /*v[266:267]*/ op_sel:[1,1] op_sel_hi:[0,1]
	s_set_vgpr_msb 0                        ;  msbs: dst=0 src0=0 src1=0 src2=0
	s_delay_alu instid0(VALU_DEP_2) | instskip(SKIP_1) | instid1(VALU_DEP_2)
	v_pk_add_f32 v[114:115], v[114:115], v[118:119]
	s_set_vgpr_msb 4                        ;  msbs: dst=0 src0=0 src1=1 src2=0
	v_pk_fma_f32 v[118:119], v[122:123], v[10:11] /*v[266:267]*/, v[116:117] neg_lo:[0,0,1] neg_hi:[0,0,1]
	v_pk_fma_f32 v[116:117], v[122:123], v[10:11] /*v[266:267]*/, v[116:117] op_sel_hi:[1,0,1]
	s_delay_alu instid0(VALU_DEP_1) | instskip(SKIP_2) | instid1(VALU_DEP_2)
	v_dual_mov_b32 v116, v125 :: v_dual_mov_b32 v119, v117
	v_mov_b32_e32 v117, v124
	s_set_vgpr_msb 0                        ;  msbs: dst=0 src0=0 src1=0 src2=0
	v_pk_add_f32 v[114:115], v[114:115], v[118:119]
	s_set_vgpr_msb 1                        ;  msbs: dst=0 src0=1 src1=0 src2=0
	v_mov_b32_e32 v118, v13 /*v269*/
	s_set_vgpr_msb 0                        ;  msbs: dst=0 src0=0 src1=0 src2=0
	s_delay_alu instid0(VALU_DEP_1) | instskip(SKIP_1) | instid1(VALU_DEP_1)
	v_pk_mul_f32 v[116:117], v[116:117], v[118:119] op_sel_hi:[1,0]
	s_set_vgpr_msb 4                        ;  msbs: dst=0 src0=0 src1=1 src2=0
	v_pk_fma_f32 v[118:119], v[124:125], v[12:13] /*v[268:269]*/, v[116:117] neg_lo:[0,0,1] neg_hi:[0,0,1]
	v_pk_fma_f32 v[116:117], v[124:125], v[12:13] /*v[268:269]*/, v[116:117] op_sel_hi:[1,0,1]
	s_delay_alu instid0(VALU_DEP_1) | instskip(SKIP_3) | instid1(VALU_DEP_2)
	v_mov_b32_e32 v119, v117
	s_wait_loadcnt_dscnt 0x0
	v_pk_mul_f32 v[116:117], v[126:127], v[20:21] /*v[276:277]*/ op_sel:[1,1] op_sel_hi:[0,1]
	s_set_vgpr_msb 0                        ;  msbs: dst=0 src0=0 src1=0 src2=0
	v_pk_add_f32 v[114:115], v[114:115], v[118:119]
	s_set_vgpr_msb 4                        ;  msbs: dst=0 src0=0 src1=1 src2=0
	s_delay_alu instid0(VALU_DEP_2) | instskip(SKIP_1) | instid1(VALU_DEP_1)
	v_pk_fma_f32 v[118:119], v[126:127], v[20:21] /*v[276:277]*/, v[116:117] neg_lo:[0,0,1] neg_hi:[0,0,1]
	v_pk_fma_f32 v[116:117], v[126:127], v[20:21] /*v[276:277]*/, v[116:117] op_sel_hi:[1,0,1]
	v_mov_b32_e32 v119, v117
	scratch_load_b64 v[116:117], off, off offset:96
	s_set_vgpr_msb 0                        ;  msbs: dst=0 src0=0 src1=0 src2=0
	v_pk_add_f32 v[114:115], v[114:115], v[118:119]
	s_wait_loadcnt 0x0
	s_delay_alu instid0(VALU_DEP_1)
	v_pk_add_f32 v[114:115], v[116:117], v[114:115] neg_lo:[0,1] neg_hi:[0,1]
	scratch_store_b64 off, v[114:115], off offset:96
	s_wait_xcnt 0x0
	v_cmpx_lt_u32_e32 11, v0
	s_cbranch_execz .LBB55_327
; %bb.326:
	scratch_load_b64 v[114:115], off, off offset:88
	v_mov_b64_e32 v[116:117], 0
	scratch_store_b64 off, v[116:117], off offset:88
	s_wait_loadcnt 0x0
	ds_store_b64 v1, v[114:115]
.LBB55_327:
	s_wait_xcnt 0x0
	s_or_b32 exec_lo, exec_lo, s0
	s_wait_storecnt_dscnt 0x0
	s_barrier_signal -1
	s_barrier_wait -1
	ds_load_b128 v[114:117], v7 offset:544
	ds_load_b128 v[118:121], v7 offset:560
	ds_load_b128 v[122:125], v7 offset:576
	ds_load_b128 v[126:129], v7 offset:592
	s_clause 0x11
	scratch_load_b128 v[130:133], off, off offset:96
	scratch_load_b128 v[134:137], off, off offset:112
	;; [unrolled: 1-line block ×18, first 2 shown]
	ds_load_b128 v[146:149], v7 offset:608
	ds_load_b128 v[154:157], v7 offset:624
	;; [unrolled: 1-line block ×14, first 2 shown]
	s_set_vgpr_msb 64                       ;  msbs: dst=1 src0=0 src1=0 src2=0
	s_clause 0x3
	scratch_load_b128 v[2:5] /*v[258:261]*/, off, off offset:384
	scratch_load_b128 v[6:9] /*v[262:265]*/, off, off offset:400
	;; [unrolled: 1-line block ×4, first 2 shown]
	s_mov_b32 s0, exec_lo
	s_wait_loadcnt_dscnt 0x1511
	s_set_vgpr_msb 0                        ;  msbs: dst=0 src0=0 src1=0 src2=0
	v_dual_mul_f32 v9, v114, v131 :: v_dual_mul_f32 v11, v116, v133
	s_delay_alu instid0(VALU_DEP_1) | instskip(NEXT) | instid1(VALU_DEP_1)
	v_dual_fmac_f32 v9, v115, v130 :: v_dual_fmac_f32 v11, v117, v132
	v_add_f32_e32 v9, 0, v9
	s_delay_alu instid0(VALU_DEP_1)
	v_add_f32_e32 v9, v9, v11
	s_wait_loadcnt_dscnt 0x1410
	v_mul_f32_e32 v11, v118, v135
	s_wait_loadcnt_dscnt 0x40a
	s_set_vgpr_msb 64                       ;  msbs: dst=1 src0=0 src1=0 src2=0
	v_mul_f32_e32 v21 /*v277*/, v250, v255
	s_set_vgpr_msb 0                        ;  msbs: dst=0 src0=0 src1=0 src2=0
	v_fmac_f32_e32 v11, v119, v134
	s_delay_alu instid0(VALU_DEP_1) | instskip(NEXT) | instid1(VALU_DEP_1)
	v_dual_add_f32 v9, v9, v11 :: v_dual_mul_f32 v11, v120, v137
	v_fmac_f32_e32 v11, v121, v136
	s_delay_alu instid0(VALU_DEP_1) | instskip(SKIP_1) | instid1(VALU_DEP_1)
	v_add_f32_e32 v9, v9, v11
	v_mul_f32_e32 v11, v122, v139
	v_fmac_f32_e32 v11, v123, v138
	s_delay_alu instid0(VALU_DEP_1) | instskip(NEXT) | instid1(VALU_DEP_1)
	v_dual_add_f32 v9, v9, v11 :: v_dual_mul_f32 v11, v124, v141
	v_fmac_f32_e32 v11, v125, v140
	s_delay_alu instid0(VALU_DEP_1) | instskip(SKIP_1) | instid1(VALU_DEP_1)
	v_add_f32_e32 v9, v9, v11
	v_mul_f32_e32 v11, v126, v143
	;; [unrolled: 7-line block ×4, first 2 shown]
	v_fmac_f32_e32 v11, v155, v158
	s_delay_alu instid0(VALU_DEP_1) | instskip(NEXT) | instid1(VALU_DEP_1)
	v_dual_add_f32 v9, v9, v11 :: v_dual_mul_f32 v11, v156, v161
	v_fmac_f32_e32 v11, v157, v160
	s_delay_alu instid0(VALU_DEP_1) | instskip(SKIP_2) | instid1(VALU_DEP_1)
	v_add_f32_e32 v9, v9, v11
	s_wait_dscnt 0x9
	v_mul_f32_e32 v11, v162, v167
	v_fmac_f32_e32 v11, v163, v166
	s_delay_alu instid0(VALU_DEP_1) | instskip(NEXT) | instid1(VALU_DEP_1)
	v_dual_add_f32 v9, v9, v11 :: v_dual_mul_f32 v11, v164, v169
	v_fmac_f32_e32 v11, v165, v168
	s_delay_alu instid0(VALU_DEP_1) | instskip(SKIP_2) | instid1(VALU_DEP_1)
	v_add_f32_e32 v9, v9, v11
	s_wait_dscnt 0x8
	v_mul_f32_e32 v11, v170, v175
	;; [unrolled: 8-line block ×10, first 2 shown]
	v_fmac_f32_e32 v11, v235, v238
	s_delay_alu instid0(VALU_DEP_1) | instskip(NEXT) | instid1(VALU_DEP_1)
	v_dual_add_f32 v9, v9, v11 :: v_dual_mul_f32 v11, v236, v241
	v_fmac_f32_e32 v11, v237, v240
	s_delay_alu instid0(VALU_DEP_1) | instskip(SKIP_1) | instid1(VALU_DEP_1)
	v_add_f32_e32 v9, v9, v11
	v_mul_f32_e32 v11, v242, v247
	v_fmac_f32_e32 v11, v243, v246
	s_delay_alu instid0(VALU_DEP_1) | instskip(NEXT) | instid1(VALU_DEP_1)
	v_dual_add_f32 v9, v9, v11 :: v_dual_mul_f32 v11, v244, v249
	v_fmac_f32_e32 v11, v245, v248
	s_set_vgpr_msb 64                       ;  msbs: dst=1 src0=0 src1=0 src2=0
	s_delay_alu instid0(VALU_DEP_1) | instskip(SKIP_2) | instid1(VALU_DEP_1)
	v_add_f32_e32 v19 /*v275*/, v9, v11
	s_set_vgpr_msb 0                        ;  msbs: dst=0 src0=0 src1=0 src2=0
	v_dual_mul_f32 v9, v115, v131 :: v_dual_mul_f32 v11, v117, v133
	v_dual_fma_f32 v9, v114, v130, -v9 :: v_dual_fma_f32 v11, v116, v132, -v11
	s_delay_alu instid0(VALU_DEP_1) | instskip(NEXT) | instid1(VALU_DEP_1)
	v_add_f32_e32 v9, 0, v9
	v_add_f32_e32 v9, v9, v11
	v_mul_f32_e32 v11, v119, v135
	s_delay_alu instid0(VALU_DEP_1) | instskip(NEXT) | instid1(VALU_DEP_1)
	v_fma_f32 v11, v118, v134, -v11
	v_add_f32_e32 v9, v9, v11
	v_mul_f32_e32 v11, v121, v137
	s_delay_alu instid0(VALU_DEP_1) | instskip(NEXT) | instid1(VALU_DEP_1)
	v_fma_f32 v11, v120, v136, -v11
	;; [unrolled: 4-line block ×5, first 2 shown]
	v_add_f32_e32 v9, v9, v11
	v_mul_f32_e32 v11, v129, v145
	s_delay_alu instid0(VALU_DEP_1)
	v_fma_f32 v11, v128, v144, -v11
	ds_load_b128 v[114:117], v7 offset:832
	ds_load_b128 v[118:121], v7 offset:848
	;; [unrolled: 1-line block ×4, first 2 shown]
	v_add_f32_e32 v9, v9, v11
	v_mul_f32_e32 v11, v147, v151
	s_delay_alu instid0(VALU_DEP_1) | instskip(NEXT) | instid1(VALU_DEP_1)
	v_fma_f32 v11, v146, v150, -v11
	v_add_f32_e32 v9, v9, v11
	v_mul_f32_e32 v11, v149, v153
	s_wait_loadcnt_dscnt 0x303
	s_set_vgpr_msb 4                        ;  msbs: dst=0 src0=0 src1=1 src2=0
	v_pk_mul_f32 v[132:133], v[114:115], v[2:3] /*v[258:259]*/ op_sel:[1,1] op_sel_hi:[0,1]
	s_set_vgpr_msb 0                        ;  msbs: dst=0 src0=0 src1=0 src2=0
	v_fma_f32 v11, v148, v152, -v11
	s_set_vgpr_msb 4                        ;  msbs: dst=0 src0=0 src1=1 src2=0
	s_delay_alu instid0(VALU_DEP_2)
	v_pk_fma_f32 v[134:135], v[114:115], v[2:3] /*v[258:259]*/, v[132:133] neg_lo:[0,0,1] neg_hi:[0,0,1]
	v_pk_fma_f32 v[114:115], v[114:115], v[2:3] /*v[258:259]*/, v[132:133] op_sel_hi:[1,0,1]
	s_set_vgpr_msb 1                        ;  msbs: dst=0 src0=1 src1=0 src2=0
	v_mov_b32_e32 v132, v5 /*v261*/
	s_set_vgpr_msb 0                        ;  msbs: dst=0 src0=0 src1=0 src2=0
	v_add_f32_e32 v9, v9, v11
	v_mul_f32_e32 v11, v155, v159
	s_delay_alu instid0(VALU_DEP_1) | instskip(NEXT) | instid1(VALU_DEP_1)
	v_dual_mov_b32 v135, v115 :: v_dual_fma_f32 v11, v154, v158, -v11
	v_add_f32_e32 v9, v9, v11
	v_mul_f32_e32 v11, v157, v161
	s_delay_alu instid0(VALU_DEP_1) | instskip(NEXT) | instid1(VALU_DEP_1)
	v_fma_f32 v11, v156, v160, -v11
	v_add_f32_e32 v9, v9, v11
	v_mul_f32_e32 v11, v163, v167
	s_delay_alu instid0(VALU_DEP_1) | instskip(NEXT) | instid1(VALU_DEP_1)
	v_fma_f32 v11, v162, v166, -v11
	;; [unrolled: 4-line block ×22, first 2 shown]
	v_add_f32_e32 v9, v9, v11
	v_mul_f32_e32 v11, v245, v249
	s_delay_alu instid0(VALU_DEP_1) | instskip(SKIP_1) | instid1(VALU_DEP_1)
	v_fma_f32 v11, v244, v248, -v11
	s_set_vgpr_msb 64                       ;  msbs: dst=1 src0=0 src1=0 src2=0
	v_add_f32_e32 v18 /*v274*/, v9, v11
	s_set_vgpr_msb 0                        ;  msbs: dst=0 src0=0 src1=0 src2=0
	v_mul_f32_e32 v9, v251, v255
	s_set_vgpr_msb 64                       ;  msbs: dst=1 src0=0 src1=0 src2=0
	s_delay_alu instid0(VALU_DEP_1)
	v_fma_f32 v20 /*v276*/, v250, v254, -v9
	v_fmac_f32_e32 v21 /*v277*/, v251, v254
	s_set_vgpr_msb 4                        ;  msbs: dst=0 src0=0 src1=1 src2=0
	v_mul_f32_e32 v9, v253, v1 /*v257*/
	s_set_vgpr_msb 0x44                     ;  msbs: dst=1 src0=0 src1=1 src2=0
	v_mul_f32_e32 v23 /*v279*/, v252, v1 /*v257*/
	s_set_vgpr_msb 5                        ;  msbs: dst=0 src0=1 src1=1 src2=0
	v_pk_add_f32 v[130:131], v[18:19] /*v[274:275]*/, v[20:21] /*v[276:277]*/
	s_set_vgpr_msb 0x44                     ;  msbs: dst=1 src0=0 src1=1 src2=0
	v_fma_f32 v22 /*v278*/, v252, v0 /*v256*/, -v9
	v_fmac_f32_e32 v23 /*v279*/, v253, v0 /*v256*/
	s_set_vgpr_msb 4                        ;  msbs: dst=0 src0=0 src1=1 src2=0
	s_delay_alu instid0(VALU_DEP_1) | instskip(SKIP_1) | instid1(VALU_DEP_1)
	v_pk_add_f32 v[130:131], v[130:131], v[22:23] /*v[278:279]*/
	s_set_vgpr_msb 0                        ;  msbs: dst=0 src0=0 src1=0 src2=0
	v_pk_add_f32 v[114:115], v[130:131], v[134:135]
	v_dual_mov_b32 v130, v117 :: v_dual_mov_b32 v131, v116
	s_delay_alu instid0(VALU_DEP_1) | instskip(SKIP_1) | instid1(VALU_DEP_1)
	v_pk_mul_f32 v[130:131], v[130:131], v[132:133] op_sel_hi:[1,0]
	s_set_vgpr_msb 4                        ;  msbs: dst=0 src0=0 src1=1 src2=0
	v_pk_fma_f32 v[132:133], v[116:117], v[4:5] /*v[260:261]*/, v[130:131] neg_lo:[0,0,1] neg_hi:[0,0,1]
	v_pk_fma_f32 v[116:117], v[116:117], v[4:5] /*v[260:261]*/, v[130:131] op_sel_hi:[1,0,1]
	s_delay_alu instid0(VALU_DEP_1) | instskip(SKIP_3) | instid1(VALU_DEP_2)
	v_mov_b32_e32 v133, v117
	s_wait_loadcnt_dscnt 0x202
	v_pk_mul_f32 v[116:117], v[118:119], v[6:7] /*v[262:263]*/ op_sel:[1,1] op_sel_hi:[0,1]
	s_set_vgpr_msb 0                        ;  msbs: dst=0 src0=0 src1=0 src2=0
	v_pk_add_f32 v[114:115], v[114:115], v[132:133]
	s_set_vgpr_msb 4                        ;  msbs: dst=0 src0=0 src1=1 src2=0
	s_delay_alu instid0(VALU_DEP_2)
	v_pk_fma_f32 v[130:131], v[118:119], v[6:7] /*v[262:263]*/, v[116:117] neg_lo:[0,0,1] neg_hi:[0,0,1]
	v_pk_fma_f32 v[116:117], v[118:119], v[6:7] /*v[262:263]*/, v[116:117] op_sel_hi:[1,0,1]
	v_mov_b32_e32 v116, v121
	s_set_vgpr_msb 1                        ;  msbs: dst=0 src0=1 src1=0 src2=0
	v_mov_b32_e32 v118, v9 /*v265*/
	s_set_vgpr_msb 0                        ;  msbs: dst=0 src0=0 src1=0 src2=0
	v_dual_mov_b32 v131, v117 :: v_dual_mov_b32 v117, v120
	s_delay_alu instid0(VALU_DEP_1) | instskip(NEXT) | instid1(VALU_DEP_2)
	v_pk_add_f32 v[114:115], v[114:115], v[130:131]
	v_pk_mul_f32 v[116:117], v[116:117], v[118:119] op_sel_hi:[1,0]
	s_set_vgpr_msb 4                        ;  msbs: dst=0 src0=0 src1=1 src2=0
	s_delay_alu instid0(VALU_DEP_1) | instskip(SKIP_1) | instid1(VALU_DEP_1)
	v_pk_fma_f32 v[118:119], v[120:121], v[8:9] /*v[264:265]*/, v[116:117] neg_lo:[0,0,1] neg_hi:[0,0,1]
	v_pk_fma_f32 v[116:117], v[120:121], v[8:9] /*v[264:265]*/, v[116:117] op_sel_hi:[1,0,1]
	v_mov_b32_e32 v119, v117
	s_wait_loadcnt_dscnt 0x101
	v_pk_mul_f32 v[116:117], v[122:123], v[10:11] /*v[266:267]*/ op_sel:[1,1] op_sel_hi:[0,1]
	s_set_vgpr_msb 0                        ;  msbs: dst=0 src0=0 src1=0 src2=0
	s_delay_alu instid0(VALU_DEP_2) | instskip(SKIP_1) | instid1(VALU_DEP_2)
	v_pk_add_f32 v[114:115], v[114:115], v[118:119]
	s_set_vgpr_msb 4                        ;  msbs: dst=0 src0=0 src1=1 src2=0
	v_pk_fma_f32 v[118:119], v[122:123], v[10:11] /*v[266:267]*/, v[116:117] neg_lo:[0,0,1] neg_hi:[0,0,1]
	v_pk_fma_f32 v[116:117], v[122:123], v[10:11] /*v[266:267]*/, v[116:117] op_sel_hi:[1,0,1]
	s_delay_alu instid0(VALU_DEP_1) | instskip(SKIP_2) | instid1(VALU_DEP_2)
	v_dual_mov_b32 v116, v125 :: v_dual_mov_b32 v119, v117
	v_mov_b32_e32 v117, v124
	s_set_vgpr_msb 0                        ;  msbs: dst=0 src0=0 src1=0 src2=0
	v_pk_add_f32 v[114:115], v[114:115], v[118:119]
	s_set_vgpr_msb 1                        ;  msbs: dst=0 src0=1 src1=0 src2=0
	v_mov_b32_e32 v118, v13 /*v269*/
	s_set_vgpr_msb 0                        ;  msbs: dst=0 src0=0 src1=0 src2=0
	s_delay_alu instid0(VALU_DEP_1) | instskip(SKIP_1) | instid1(VALU_DEP_1)
	v_pk_mul_f32 v[116:117], v[116:117], v[118:119] op_sel_hi:[1,0]
	s_set_vgpr_msb 4                        ;  msbs: dst=0 src0=0 src1=1 src2=0
	v_pk_fma_f32 v[118:119], v[124:125], v[12:13] /*v[268:269]*/, v[116:117] neg_lo:[0,0,1] neg_hi:[0,0,1]
	v_pk_fma_f32 v[116:117], v[124:125], v[12:13] /*v[268:269]*/, v[116:117] op_sel_hi:[1,0,1]
	s_delay_alu instid0(VALU_DEP_1) | instskip(SKIP_3) | instid1(VALU_DEP_2)
	v_mov_b32_e32 v119, v117
	s_wait_loadcnt_dscnt 0x0
	v_pk_mul_f32 v[116:117], v[126:127], v[14:15] /*v[270:271]*/ op_sel:[1,1] op_sel_hi:[0,1]
	s_set_vgpr_msb 0                        ;  msbs: dst=0 src0=0 src1=0 src2=0
	v_pk_add_f32 v[114:115], v[114:115], v[118:119]
	s_set_vgpr_msb 4                        ;  msbs: dst=0 src0=0 src1=1 src2=0
	s_delay_alu instid0(VALU_DEP_2) | instskip(SKIP_1) | instid1(VALU_DEP_1)
	v_pk_fma_f32 v[118:119], v[126:127], v[14:15] /*v[270:271]*/, v[116:117] neg_lo:[0,0,1] neg_hi:[0,0,1]
	v_pk_fma_f32 v[116:117], v[126:127], v[14:15] /*v[270:271]*/, v[116:117] op_sel_hi:[1,0,1]
	v_dual_mov_b32 v116, v129 :: v_dual_mov_b32 v119, v117
	v_mov_b32_e32 v117, v128
	s_set_vgpr_msb 0                        ;  msbs: dst=0 src0=0 src1=0 src2=0
	s_delay_alu instid0(VALU_DEP_2) | instskip(SKIP_3) | instid1(VALU_DEP_1)
	v_pk_add_f32 v[114:115], v[114:115], v[118:119]
	s_set_vgpr_msb 1                        ;  msbs: dst=0 src0=1 src1=0 src2=0
	v_mov_b32_e32 v118, v17 /*v273*/
	s_set_vgpr_msb 0                        ;  msbs: dst=0 src0=0 src1=0 src2=0
	v_pk_mul_f32 v[116:117], v[116:117], v[118:119] op_sel_hi:[1,0]
	s_set_vgpr_msb 4                        ;  msbs: dst=0 src0=0 src1=1 src2=0
	s_delay_alu instid0(VALU_DEP_1) | instskip(SKIP_1) | instid1(VALU_DEP_1)
	v_pk_fma_f32 v[118:119], v[128:129], v[16:17] /*v[272:273]*/, v[116:117] neg_lo:[0,0,1] neg_hi:[0,0,1]
	v_pk_fma_f32 v[116:117], v[128:129], v[16:17] /*v[272:273]*/, v[116:117] op_sel_hi:[1,0,1]
	v_mov_b32_e32 v119, v117
	scratch_load_b64 v[116:117], off, off offset:88
	s_set_vgpr_msb 0                        ;  msbs: dst=0 src0=0 src1=0 src2=0
	v_pk_add_f32 v[114:115], v[114:115], v[118:119]
	s_wait_loadcnt 0x0
	s_delay_alu instid0(VALU_DEP_1)
	v_pk_add_f32 v[114:115], v[116:117], v[114:115] neg_lo:[0,1] neg_hi:[0,1]
	scratch_store_b64 off, v[114:115], off offset:88
	s_wait_xcnt 0x0
	v_cmpx_lt_u32_e32 10, v0
	s_cbranch_execz .LBB55_329
; %bb.328:
	scratch_load_b64 v[114:115], off, off offset:80
	v_mov_b64_e32 v[116:117], 0
	scratch_store_b64 off, v[116:117], off offset:80
	s_wait_loadcnt 0x0
	ds_store_b64 v1, v[114:115]
.LBB55_329:
	s_wait_xcnt 0x0
	s_or_b32 exec_lo, exec_lo, s0
	s_wait_storecnt_dscnt 0x0
	s_barrier_signal -1
	s_barrier_wait -1
	s_clause 0xf
	scratch_load_b128 v[118:121], off, off offset:88
	scratch_load_b128 v[126:129], off, off offset:104
	;; [unrolled: 1-line block ×16, first 2 shown]
	v_mov_b32_e32 v7, 0
	s_clause 0x3
	scratch_load_b128 v[246:249], off, off offset:344
	scratch_load_b128 v[254:257], off, off offset:360
	s_set_vgpr_msb 64                       ;  msbs: dst=1 src0=0 src1=0 src2=0
	scratch_load_b128 v[6:9] /*v[262:265]*/, off, off offset:376
	s_mov_b32 s0, exec_lo
	s_set_vgpr_msb 0                        ;  msbs: dst=0 src0=0 src1=0 src2=0
	ds_load_2addr_b64 v[114:117], v7 offset0:67 offset1:68
	ds_load_2addr_b64 v[122:125], v7 offset0:69 offset1:70
	s_wait_loadcnt_dscnt 0x1201
	v_dual_mul_f32 v9, v114, v119 :: v_dual_mul_f32 v11, v116, v121
	ds_load_2addr_b64 v[130:133], v7 offset0:71 offset1:72
	ds_load_2addr_b64 v[138:141], v7 offset0:73 offset1:74
	;; [unrolled: 1-line block ×4, first 2 shown]
	v_dual_fmac_f32 v9, v115, v118 :: v_dual_fmac_f32 v11, v117, v120
	ds_load_2addr_b64 v[162:165], v7 offset0:79 offset1:80
	ds_load_2addr_b64 v[170:173], v7 offset0:81 offset1:82
	ds_load_2addr_b64 v[178:181], v7 offset0:83 offset1:84
	ds_load_2addr_b64 v[186:189], v7 offset0:85 offset1:86
	v_add_f32_e32 v9, 0, v9
	ds_load_2addr_b64 v[194:197], v7 offset0:87 offset1:88
	ds_load_2addr_b64 v[202:205], v7 offset0:89 offset1:90
	;; [unrolled: 1-line block ×4, first 2 shown]
	v_add_f32_e32 v9, v9, v11
	s_wait_loadcnt_dscnt 0x110c
	v_mul_f32_e32 v11, v122, v127
	ds_load_2addr_b64 v[226:229], v7 offset0:95 offset1:96
	ds_load_2addr_b64 v[234:237], v7 offset0:97 offset1:98
	;; [unrolled: 1-line block ×4, first 2 shown]
	v_fmac_f32_e32 v11, v123, v126
	s_set_vgpr_msb 64                       ;  msbs: dst=1 src0=0 src1=0 src2=0
	ds_load_2addr_b64 v[2:5] /*v[258:261]*/, v7 offset0:103 offset1:104
	s_clause 0x3
	scratch_load_b128 v[10:13] /*v[266:269]*/, off, off offset:392
	scratch_load_b128 v[14:17] /*v[270:273]*/, off, off offset:408
	;; [unrolled: 1-line block ×3, first 2 shown]
	scratch_load_b64 v[28:29] /*v[284:285]*/, off, off offset:440
	s_set_vgpr_msb 0                        ;  msbs: dst=0 src0=0 src1=0 src2=0
	v_dual_add_f32 v9, v9, v11 :: v_dual_mul_f32 v11, v124, v129
	s_delay_alu instid0(VALU_DEP_1) | instskip(NEXT) | instid1(VALU_DEP_1)
	v_fmac_f32_e32 v11, v125, v128
	v_add_f32_e32 v9, v9, v11
	s_wait_loadcnt_dscnt 0x1410
	v_mul_f32_e32 v11, v130, v135
	s_delay_alu instid0(VALU_DEP_1) | instskip(NEXT) | instid1(VALU_DEP_1)
	v_fmac_f32_e32 v11, v131, v134
	v_dual_add_f32 v9, v9, v11 :: v_dual_mul_f32 v11, v132, v137
	s_delay_alu instid0(VALU_DEP_1) | instskip(NEXT) | instid1(VALU_DEP_1)
	v_fmac_f32_e32 v11, v133, v136
	v_add_f32_e32 v9, v9, v11
	s_wait_loadcnt_dscnt 0x130f
	v_mul_f32_e32 v11, v138, v143
	s_delay_alu instid0(VALU_DEP_1) | instskip(NEXT) | instid1(VALU_DEP_1)
	v_fmac_f32_e32 v11, v139, v142
	;; [unrolled: 8-line block ×15, first 2 shown]
	v_dual_add_f32 v9, v9, v11 :: v_dual_mul_f32 v11, v244, v249
	s_delay_alu instid0(VALU_DEP_1) | instskip(NEXT) | instid1(VALU_DEP_1)
	v_fmac_f32_e32 v11, v245, v248
	v_add_f32_e32 v9, v9, v11
	s_wait_loadcnt_dscnt 0x501
	v_mul_f32_e32 v11, v250, v255
	s_delay_alu instid0(VALU_DEP_1) | instskip(SKIP_1) | instid1(VALU_DEP_1)
	v_fmac_f32_e32 v11, v251, v254
	s_set_vgpr_msb 64                       ;  msbs: dst=1 src0=0 src1=0 src2=0
	v_add_f32_e32 v23 /*v279*/, v9, v11
	s_set_vgpr_msb 0                        ;  msbs: dst=0 src0=0 src1=0 src2=0
	v_dual_mul_f32 v9, v115, v119 :: v_dual_mul_f32 v11, v117, v121
	s_delay_alu instid0(VALU_DEP_1) | instskip(NEXT) | instid1(VALU_DEP_1)
	v_dual_fma_f32 v9, v114, v118, -v9 :: v_dual_fma_f32 v11, v116, v120, -v11
	v_add_f32_e32 v9, 0, v9
	s_delay_alu instid0(VALU_DEP_1) | instskip(SKIP_1) | instid1(VALU_DEP_1)
	v_add_f32_e32 v9, v9, v11
	v_mul_f32_e32 v11, v123, v127
	v_fma_f32 v11, v122, v126, -v11
	s_delay_alu instid0(VALU_DEP_1) | instskip(SKIP_1) | instid1(VALU_DEP_1)
	v_add_f32_e32 v9, v9, v11
	v_mul_f32_e32 v11, v125, v129
	v_fma_f32 v11, v124, v128, -v11
	ds_load_2addr_b64 v[114:117], v7 offset0:105 offset1:106
	ds_load_2addr_b64 v[118:121], v7 offset0:107 offset1:108
	;; [unrolled: 1-line block ×3, first 2 shown]
	ds_load_b64 v[126:127], v7 offset:888
	v_add_f32_e32 v9, v9, v11
	v_mul_f32_e32 v11, v131, v135
	s_wait_dscnt 0x4
	s_set_vgpr_msb 1                        ;  msbs: dst=0 src0=1 src1=0 src2=0
	v_mov_b32_e32 v131, v4 /*v260*/
	s_set_vgpr_msb 0                        ;  msbs: dst=0 src0=0 src1=0 src2=0
	v_fma_f32 v11, v130, v134, -v11
	s_set_vgpr_msb 1                        ;  msbs: dst=0 src0=1 src1=0 src2=0
	v_mov_b32_e32 v130, v5 /*v261*/
	s_set_vgpr_msb 0                        ;  msbs: dst=0 src0=0 src1=0 src2=0
	s_delay_alu instid0(VALU_DEP_2) | instskip(SKIP_1) | instid1(VALU_DEP_1)
	v_add_f32_e32 v9, v9, v11
	v_mul_f32_e32 v11, v133, v137
	v_fma_f32 v11, v132, v136, -v11
	s_wait_loadcnt 0x4
	s_set_vgpr_msb 1                        ;  msbs: dst=0 src0=1 src1=0 src2=0
	v_mov_b32_e32 v132, v9 /*v265*/
	s_set_vgpr_msb 0                        ;  msbs: dst=0 src0=0 src1=0 src2=0
	v_add_f32_e32 v9, v9, v11
	v_mul_f32_e32 v11, v139, v143
	s_delay_alu instid0(VALU_DEP_3) | instskip(NEXT) | instid1(VALU_DEP_2)
	v_pk_mul_f32 v[130:131], v[130:131], v[132:133] op_sel_hi:[1,0]
	v_fma_f32 v11, v138, v142, -v11
	s_set_vgpr_msb 5                        ;  msbs: dst=0 src0=1 src1=1 src2=0
	s_delay_alu instid0(VALU_DEP_2) | instskip(SKIP_3) | instid1(VALU_DEP_2)
	v_pk_fma_f32 v[132:133], v[4:5] /*v[260:261]*/, v[8:9] /*v[264:265]*/, v[130:131] neg_lo:[0,0,1] neg_hi:[0,0,1]
	v_pk_fma_f32 v[130:131], v[4:5] /*v[260:261]*/, v[8:9] /*v[264:265]*/, v[130:131] op_sel_hi:[1,0,1]
	s_set_vgpr_msb 0                        ;  msbs: dst=0 src0=0 src1=0 src2=0
	v_add_f32_e32 v9, v9, v11
	v_dual_mul_f32 v11, v141, v145 :: v_dual_mov_b32 v133, v131
	s_wait_loadcnt_dscnt 0x303
	s_set_vgpr_msb 4                        ;  msbs: dst=0 src0=0 src1=1 src2=0
	v_pk_mul_f32 v[130:131], v[114:115], v[10:11] /*v[266:267]*/ op_sel:[1,1] op_sel_hi:[0,1]
	s_set_vgpr_msb 0                        ;  msbs: dst=0 src0=0 src1=0 src2=0
	v_fma_f32 v11, v140, v144, -v11
	s_delay_alu instid0(VALU_DEP_1) | instskip(SKIP_1) | instid1(VALU_DEP_1)
	v_add_f32_e32 v9, v9, v11
	v_mul_f32_e32 v11, v147, v151
	v_fma_f32 v11, v146, v150, -v11
	s_delay_alu instid0(VALU_DEP_1) | instskip(SKIP_1) | instid1(VALU_DEP_1)
	v_add_f32_e32 v9, v9, v11
	v_mul_f32_e32 v11, v149, v153
	;; [unrolled: 4-line block ×27, first 2 shown]
	v_fma_f32 v11, v250, v254, -v11
	s_set_vgpr_msb 64                       ;  msbs: dst=1 src0=0 src1=0 src2=0
	s_delay_alu instid0(VALU_DEP_1) | instskip(SKIP_3) | instid1(VALU_DEP_1)
	v_add_f32_e32 v22 /*v278*/, v9, v11
	s_set_vgpr_msb 4                        ;  msbs: dst=0 src0=0 src1=1 src2=0
	v_mul_f32_e32 v9, v253, v1 /*v257*/
	s_set_vgpr_msb 0x44                     ;  msbs: dst=1 src0=0 src1=1 src2=0
	v_dual_mul_f32 v25 /*v281*/, v252, v1 /*v257*/ :: v_dual_fma_f32 v24 /*v280*/, v252, v0 /*v256*/, -v9
	s_set_vgpr_msb 5                        ;  msbs: dst=0 src0=1 src1=1 src2=0
	v_mul_f32_e32 v9, v3 /*v259*/, v7 /*v263*/
	s_set_vgpr_msb 0x44                     ;  msbs: dst=1 src0=0 src1=1 src2=0
	s_delay_alu instid0(VALU_DEP_2) | instskip(SKIP_1) | instid1(VALU_DEP_2)
	v_fmac_f32_e32 v25 /*v281*/, v253, v0 /*v256*/
	s_set_vgpr_msb 0x45                     ;  msbs: dst=1 src0=1 src1=1 src2=0
	v_dual_mul_f32 v27 /*v283*/, v2 /*v258*/, v7 /*v263*/ :: v_dual_fma_f32 v26 /*v282*/, v2 /*v258*/, v6 /*v262*/, -v9
	s_set_vgpr_msb 5                        ;  msbs: dst=0 src0=1 src1=1 src2=0
	s_delay_alu instid0(VALU_DEP_2) | instskip(SKIP_1) | instid1(VALU_DEP_2)
	v_pk_add_f32 v[128:129], v[22:23] /*v[278:279]*/, v[24:25] /*v[280:281]*/
	s_set_vgpr_msb 0x45                     ;  msbs: dst=1 src0=1 src1=1 src2=0
	v_fmac_f32_e32 v27 /*v283*/, v3 /*v259*/, v6 /*v262*/
	s_set_vgpr_msb 4                        ;  msbs: dst=0 src0=0 src1=1 src2=0
	s_delay_alu instid0(VALU_DEP_1) | instskip(SKIP_1) | instid1(VALU_DEP_1)
	v_pk_add_f32 v[128:129], v[128:129], v[26:27] /*v[282:283]*/
	s_set_vgpr_msb 0                        ;  msbs: dst=0 src0=0 src1=0 src2=0
	v_pk_add_f32 v[128:129], v[128:129], v[132:133]
	s_set_vgpr_msb 4                        ;  msbs: dst=0 src0=0 src1=1 src2=0
	v_pk_fma_f32 v[132:133], v[114:115], v[10:11] /*v[266:267]*/, v[130:131] neg_lo:[0,0,1] neg_hi:[0,0,1]
	v_pk_fma_f32 v[114:115], v[114:115], v[10:11] /*v[266:267]*/, v[130:131] op_sel_hi:[1,0,1]
	s_set_vgpr_msb 1                        ;  msbs: dst=0 src0=1 src1=0 src2=0
	v_mov_b32_e32 v130, v13 /*v269*/
	s_set_vgpr_msb 0                        ;  msbs: dst=0 src0=0 src1=0 src2=0
	s_delay_alu instid0(VALU_DEP_2) | instskip(NEXT) | instid1(VALU_DEP_1)
	v_mov_b32_e32 v133, v115
	v_pk_add_f32 v[114:115], v[128:129], v[132:133]
	v_dual_mov_b32 v128, v117 :: v_dual_mov_b32 v129, v116
	s_delay_alu instid0(VALU_DEP_1) | instskip(SKIP_1) | instid1(VALU_DEP_1)
	v_pk_mul_f32 v[128:129], v[128:129], v[130:131] op_sel_hi:[1,0]
	s_set_vgpr_msb 4                        ;  msbs: dst=0 src0=0 src1=1 src2=0
	v_pk_fma_f32 v[130:131], v[116:117], v[12:13] /*v[268:269]*/, v[128:129] neg_lo:[0,0,1] neg_hi:[0,0,1]
	v_pk_fma_f32 v[116:117], v[116:117], v[12:13] /*v[268:269]*/, v[128:129] op_sel_hi:[1,0,1]
	s_delay_alu instid0(VALU_DEP_1) | instskip(SKIP_3) | instid1(VALU_DEP_2)
	v_mov_b32_e32 v131, v117
	s_wait_loadcnt_dscnt 0x202
	v_pk_mul_f32 v[116:117], v[118:119], v[14:15] /*v[270:271]*/ op_sel:[1,1] op_sel_hi:[0,1]
	s_set_vgpr_msb 0                        ;  msbs: dst=0 src0=0 src1=0 src2=0
	v_pk_add_f32 v[114:115], v[114:115], v[130:131]
	s_set_vgpr_msb 4                        ;  msbs: dst=0 src0=0 src1=1 src2=0
	s_delay_alu instid0(VALU_DEP_2)
	v_pk_fma_f32 v[128:129], v[118:119], v[14:15] /*v[270:271]*/, v[116:117] neg_lo:[0,0,1] neg_hi:[0,0,1]
	v_pk_fma_f32 v[116:117], v[118:119], v[14:15] /*v[270:271]*/, v[116:117] op_sel_hi:[1,0,1]
	v_mov_b32_e32 v116, v121
	s_set_vgpr_msb 1                        ;  msbs: dst=0 src0=1 src1=0 src2=0
	v_mov_b32_e32 v118, v17 /*v273*/
	s_set_vgpr_msb 0                        ;  msbs: dst=0 src0=0 src1=0 src2=0
	v_dual_mov_b32 v129, v117 :: v_dual_mov_b32 v117, v120
	s_delay_alu instid0(VALU_DEP_1) | instskip(NEXT) | instid1(VALU_DEP_2)
	v_pk_add_f32 v[114:115], v[114:115], v[128:129]
	v_pk_mul_f32 v[116:117], v[116:117], v[118:119] op_sel_hi:[1,0]
	s_set_vgpr_msb 4                        ;  msbs: dst=0 src0=0 src1=1 src2=0
	s_delay_alu instid0(VALU_DEP_1) | instskip(SKIP_1) | instid1(VALU_DEP_1)
	v_pk_fma_f32 v[118:119], v[120:121], v[16:17] /*v[272:273]*/, v[116:117] neg_lo:[0,0,1] neg_hi:[0,0,1]
	v_pk_fma_f32 v[116:117], v[120:121], v[16:17] /*v[272:273]*/, v[116:117] op_sel_hi:[1,0,1]
	v_mov_b32_e32 v119, v117
	s_wait_loadcnt_dscnt 0x101
	v_pk_mul_f32 v[116:117], v[122:123], v[18:19] /*v[274:275]*/ op_sel:[1,1] op_sel_hi:[0,1]
	s_set_vgpr_msb 0                        ;  msbs: dst=0 src0=0 src1=0 src2=0
	s_delay_alu instid0(VALU_DEP_2) | instskip(SKIP_1) | instid1(VALU_DEP_2)
	v_pk_add_f32 v[114:115], v[114:115], v[118:119]
	s_set_vgpr_msb 4                        ;  msbs: dst=0 src0=0 src1=1 src2=0
	v_pk_fma_f32 v[118:119], v[122:123], v[18:19] /*v[274:275]*/, v[116:117] neg_lo:[0,0,1] neg_hi:[0,0,1]
	v_pk_fma_f32 v[116:117], v[122:123], v[18:19] /*v[274:275]*/, v[116:117] op_sel_hi:[1,0,1]
	s_delay_alu instid0(VALU_DEP_1) | instskip(SKIP_2) | instid1(VALU_DEP_2)
	v_dual_mov_b32 v116, v125 :: v_dual_mov_b32 v119, v117
	v_mov_b32_e32 v117, v124
	s_set_vgpr_msb 0                        ;  msbs: dst=0 src0=0 src1=0 src2=0
	v_pk_add_f32 v[114:115], v[114:115], v[118:119]
	s_set_vgpr_msb 1                        ;  msbs: dst=0 src0=1 src1=0 src2=0
	v_mov_b32_e32 v118, v21 /*v277*/
	s_set_vgpr_msb 0                        ;  msbs: dst=0 src0=0 src1=0 src2=0
	s_delay_alu instid0(VALU_DEP_1) | instskip(SKIP_1) | instid1(VALU_DEP_1)
	v_pk_mul_f32 v[116:117], v[116:117], v[118:119] op_sel_hi:[1,0]
	s_set_vgpr_msb 4                        ;  msbs: dst=0 src0=0 src1=1 src2=0
	v_pk_fma_f32 v[118:119], v[124:125], v[20:21] /*v[276:277]*/, v[116:117] neg_lo:[0,0,1] neg_hi:[0,0,1]
	v_pk_fma_f32 v[116:117], v[124:125], v[20:21] /*v[276:277]*/, v[116:117] op_sel_hi:[1,0,1]
	s_delay_alu instid0(VALU_DEP_1) | instskip(SKIP_3) | instid1(VALU_DEP_2)
	v_mov_b32_e32 v119, v117
	s_wait_loadcnt_dscnt 0x0
	v_pk_mul_f32 v[116:117], v[126:127], v[28:29] /*v[284:285]*/ op_sel:[1,1] op_sel_hi:[0,1]
	s_set_vgpr_msb 0                        ;  msbs: dst=0 src0=0 src1=0 src2=0
	v_pk_add_f32 v[114:115], v[114:115], v[118:119]
	s_set_vgpr_msb 4                        ;  msbs: dst=0 src0=0 src1=1 src2=0
	s_delay_alu instid0(VALU_DEP_2) | instskip(SKIP_1) | instid1(VALU_DEP_1)
	v_pk_fma_f32 v[118:119], v[126:127], v[28:29] /*v[284:285]*/, v[116:117] neg_lo:[0,0,1] neg_hi:[0,0,1]
	v_pk_fma_f32 v[116:117], v[126:127], v[28:29] /*v[284:285]*/, v[116:117] op_sel_hi:[1,0,1]
	v_mov_b32_e32 v119, v117
	scratch_load_b64 v[116:117], off, off offset:80
	s_set_vgpr_msb 0                        ;  msbs: dst=0 src0=0 src1=0 src2=0
	v_pk_add_f32 v[114:115], v[114:115], v[118:119]
	s_wait_loadcnt 0x0
	s_delay_alu instid0(VALU_DEP_1)
	v_pk_add_f32 v[114:115], v[116:117], v[114:115] neg_lo:[0,1] neg_hi:[0,1]
	scratch_store_b64 off, v[114:115], off offset:80
	s_wait_xcnt 0x0
	v_cmpx_lt_u32_e32 9, v0
	s_cbranch_execz .LBB55_331
; %bb.330:
	scratch_load_b64 v[114:115], off, off offset:72
	v_mov_b64_e32 v[116:117], 0
	scratch_store_b64 off, v[116:117], off offset:72
	s_wait_loadcnt 0x0
	ds_store_b64 v1, v[114:115]
.LBB55_331:
	s_wait_xcnt 0x0
	s_or_b32 exec_lo, exec_lo, s0
	s_wait_storecnt_dscnt 0x0
	s_barrier_signal -1
	s_barrier_wait -1
	ds_load_b128 v[114:117], v7 offset:528
	ds_load_b128 v[118:121], v7 offset:544
	ds_load_b128 v[122:125], v7 offset:560
	ds_load_b128 v[126:129], v7 offset:576
	s_clause 0x11
	scratch_load_b128 v[130:133], off, off offset:80
	scratch_load_b128 v[134:137], off, off offset:96
	scratch_load_b128 v[138:141], off, off offset:112
	scratch_load_b128 v[142:145], off, off offset:128
	scratch_load_b128 v[150:153], off, off offset:144
	scratch_load_b128 v[158:161], off, off offset:160
	scratch_load_b128 v[166:169], off, off offset:176
	scratch_load_b128 v[174:177], off, off offset:192
	scratch_load_b128 v[182:185], off, off offset:208
	scratch_load_b128 v[190:193], off, off offset:224
	scratch_load_b128 v[198:201], off, off offset:240
	scratch_load_b128 v[206:209], off, off offset:256
	scratch_load_b128 v[214:217], off, off offset:272
	scratch_load_b128 v[222:225], off, off offset:288
	scratch_load_b128 v[230:233], off, off offset:304
	scratch_load_b128 v[238:241], off, off offset:320
	scratch_load_b128 v[246:249], off, off offset:336
	scratch_load_b128 v[254:257], off, off offset:352
	ds_load_b128 v[146:149], v7 offset:592
	ds_load_b128 v[154:157], v7 offset:608
	ds_load_b128 v[162:165], v7 offset:624
	ds_load_b128 v[170:173], v7 offset:640
	ds_load_b128 v[178:181], v7 offset:656
	ds_load_b128 v[186:189], v7 offset:672
	ds_load_b128 v[194:197], v7 offset:688
	ds_load_b128 v[202:205], v7 offset:704
	ds_load_b128 v[210:213], v7 offset:720
	ds_load_b128 v[218:221], v7 offset:736
	ds_load_b128 v[226:229], v7 offset:752
	ds_load_b128 v[234:237], v7 offset:768
	ds_load_b128 v[242:245], v7 offset:784
	ds_load_b128 v[250:253], v7 offset:800
	s_set_vgpr_msb 64                       ;  msbs: dst=1 src0=0 src1=0 src2=0
	scratch_load_b128 v[6:9] /*v[262:265]*/, off, off offset:368
	ds_load_b128 v[2:5] /*v[258:261]*/, v7 offset:816
	s_clause 0x3
	scratch_load_b128 v[10:13] /*v[266:269]*/, off, off offset:384
	scratch_load_b128 v[14:17] /*v[270:273]*/, off, off offset:400
	;; [unrolled: 1-line block ×4, first 2 shown]
	s_mov_b32 s0, exec_lo
	s_wait_loadcnt_dscnt 0x1612
	s_set_vgpr_msb 0                        ;  msbs: dst=0 src0=0 src1=0 src2=0
	v_dual_mul_f32 v9, v114, v131 :: v_dual_mul_f32 v11, v116, v133
	s_delay_alu instid0(VALU_DEP_1) | instskip(NEXT) | instid1(VALU_DEP_1)
	v_dual_fmac_f32 v9, v115, v130 :: v_dual_fmac_f32 v11, v117, v132
	v_add_f32_e32 v9, 0, v9
	s_delay_alu instid0(VALU_DEP_1) | instskip(SKIP_2) | instid1(VALU_DEP_1)
	v_add_f32_e32 v9, v9, v11
	s_wait_loadcnt_dscnt 0x1511
	v_mul_f32_e32 v11, v118, v135
	v_fmac_f32_e32 v11, v119, v134
	s_delay_alu instid0(VALU_DEP_1) | instskip(NEXT) | instid1(VALU_DEP_1)
	v_dual_add_f32 v9, v9, v11 :: v_dual_mul_f32 v11, v120, v137
	v_fmac_f32_e32 v11, v121, v136
	s_wait_loadcnt_dscnt 0x400
	s_set_vgpr_msb 0x45                     ;  msbs: dst=1 src0=1 src1=1 src2=0
	v_dual_mul_f32 v29 /*v285*/, v2 /*v258*/, v7 /*v263*/ :: v_dual_mul_f32 v31 /*v287*/, v4 /*v260*/, v9 /*v265*/
	s_set_vgpr_msb 0                        ;  msbs: dst=0 src0=0 src1=0 src2=0
	v_add_f32_e32 v9, v9, v11
	v_mul_f32_e32 v11, v122, v139
	s_set_vgpr_msb 0x45                     ;  msbs: dst=1 src0=1 src1=1 src2=0
	v_dual_fmac_f32 v29 /*v285*/, v3 /*v259*/, v6 /*v262*/ :: v_dual_fmac_f32 v31 /*v287*/, v5 /*v261*/, v8 /*v264*/
	s_set_vgpr_msb 0                        ;  msbs: dst=0 src0=0 src1=0 src2=0
	s_delay_alu instid0(VALU_DEP_2) | instskip(NEXT) | instid1(VALU_DEP_1)
	v_fmac_f32_e32 v11, v123, v138
	v_dual_add_f32 v9, v9, v11 :: v_dual_mul_f32 v11, v124, v141
	s_delay_alu instid0(VALU_DEP_1) | instskip(NEXT) | instid1(VALU_DEP_1)
	v_fmac_f32_e32 v11, v125, v140
	v_add_f32_e32 v9, v9, v11
	v_mul_f32_e32 v11, v126, v143
	s_delay_alu instid0(VALU_DEP_1) | instskip(NEXT) | instid1(VALU_DEP_1)
	v_fmac_f32_e32 v11, v127, v142
	v_dual_add_f32 v9, v9, v11 :: v_dual_mul_f32 v11, v128, v145
	s_delay_alu instid0(VALU_DEP_1) | instskip(NEXT) | instid1(VALU_DEP_1)
	v_fmac_f32_e32 v11, v129, v144
	v_add_f32_e32 v9, v9, v11
	v_mul_f32_e32 v11, v146, v151
	s_delay_alu instid0(VALU_DEP_1) | instskip(NEXT) | instid1(VALU_DEP_1)
	;; [unrolled: 7-line block ×15, first 2 shown]
	v_fmac_f32_e32 v11, v251, v254
	v_add_f32_e32 v9, v9, v11
	s_set_vgpr_msb 4                        ;  msbs: dst=0 src0=0 src1=1 src2=0
	v_mul_f32_e32 v11, v252, v1 /*v257*/
	s_delay_alu instid0(VALU_DEP_1) | instskip(SKIP_1) | instid1(VALU_DEP_1)
	v_fmac_f32_e32 v11, v253, v0 /*v256*/
	s_set_vgpr_msb 64                       ;  msbs: dst=1 src0=0 src1=0 src2=0
	v_add_f32_e32 v27 /*v283*/, v9, v11
	s_set_vgpr_msb 0                        ;  msbs: dst=0 src0=0 src1=0 src2=0
	v_dual_mul_f32 v9, v115, v131 :: v_dual_mul_f32 v11, v117, v133
	s_delay_alu instid0(VALU_DEP_1) | instskip(NEXT) | instid1(VALU_DEP_1)
	v_dual_fma_f32 v9, v114, v130, -v9 :: v_dual_fma_f32 v11, v116, v132, -v11
	v_add_f32_e32 v9, 0, v9
	s_delay_alu instid0(VALU_DEP_1) | instskip(SKIP_1) | instid1(VALU_DEP_1)
	v_add_f32_e32 v9, v9, v11
	v_mul_f32_e32 v11, v119, v135
	v_fma_f32 v11, v118, v134, -v11
	s_delay_alu instid0(VALU_DEP_1) | instskip(SKIP_1) | instid1(VALU_DEP_1)
	v_add_f32_e32 v9, v9, v11
	v_mul_f32_e32 v11, v121, v137
	v_fma_f32 v11, v120, v136, -v11
	;; [unrolled: 4-line block ×6, first 2 shown]
	ds_load_b128 v[114:117], v7 offset:832
	ds_load_b128 v[118:121], v7 offset:848
	;; [unrolled: 1-line block ×4, first 2 shown]
	v_add_f32_e32 v9, v9, v11
	v_mul_f32_e32 v11, v147, v151
	s_delay_alu instid0(VALU_DEP_1) | instskip(NEXT) | instid1(VALU_DEP_1)
	v_fma_f32 v11, v146, v150, -v11
	v_add_f32_e32 v9, v9, v11
	v_mul_f32_e32 v11, v149, v153
	s_wait_loadcnt_dscnt 0x303
	s_set_vgpr_msb 4                        ;  msbs: dst=0 src0=0 src1=1 src2=0
	v_pk_mul_f32 v[132:133], v[114:115], v[10:11] /*v[266:267]*/ op_sel:[1,1] op_sel_hi:[0,1]
	s_set_vgpr_msb 0                        ;  msbs: dst=0 src0=0 src1=0 src2=0
	v_fma_f32 v11, v148, v152, -v11
	s_set_vgpr_msb 4                        ;  msbs: dst=0 src0=0 src1=1 src2=0
	s_delay_alu instid0(VALU_DEP_2)
	v_pk_fma_f32 v[134:135], v[114:115], v[10:11] /*v[266:267]*/, v[132:133] neg_lo:[0,0,1] neg_hi:[0,0,1]
	v_pk_fma_f32 v[114:115], v[114:115], v[10:11] /*v[266:267]*/, v[132:133] op_sel_hi:[1,0,1]
	s_set_vgpr_msb 1                        ;  msbs: dst=0 src0=1 src1=0 src2=0
	v_mov_b32_e32 v132, v13 /*v269*/
	s_set_vgpr_msb 0                        ;  msbs: dst=0 src0=0 src1=0 src2=0
	v_add_f32_e32 v9, v9, v11
	v_mul_f32_e32 v11, v155, v159
	s_delay_alu instid0(VALU_DEP_1) | instskip(NEXT) | instid1(VALU_DEP_1)
	v_dual_mov_b32 v135, v115 :: v_dual_fma_f32 v11, v154, v158, -v11
	v_add_f32_e32 v9, v9, v11
	v_mul_f32_e32 v11, v157, v161
	s_delay_alu instid0(VALU_DEP_1) | instskip(NEXT) | instid1(VALU_DEP_1)
	v_fma_f32 v11, v156, v160, -v11
	v_add_f32_e32 v9, v9, v11
	v_mul_f32_e32 v11, v163, v167
	s_delay_alu instid0(VALU_DEP_1) | instskip(NEXT) | instid1(VALU_DEP_1)
	v_fma_f32 v11, v162, v166, -v11
	;; [unrolled: 4-line block ×24, first 2 shown]
	v_add_f32_e32 v9, v9, v11
	s_set_vgpr_msb 4                        ;  msbs: dst=0 src0=0 src1=1 src2=0
	v_mul_f32_e32 v11, v253, v1 /*v257*/
	s_delay_alu instid0(VALU_DEP_1) | instskip(SKIP_1) | instid1(VALU_DEP_1)
	v_fma_f32 v11, v252, v0 /*v256*/, -v11
	s_set_vgpr_msb 64                       ;  msbs: dst=1 src0=0 src1=0 src2=0
	v_add_f32_e32 v26 /*v282*/, v9, v11
	s_set_vgpr_msb 5                        ;  msbs: dst=0 src0=1 src1=1 src2=0
	v_mul_f32_e32 v9, v3 /*v259*/, v7 /*v263*/
	s_set_vgpr_msb 0x45                     ;  msbs: dst=1 src0=1 src1=1 src2=0
	s_delay_alu instid0(VALU_DEP_1) | instskip(SKIP_3) | instid1(VALU_DEP_1)
	v_fma_f32 v28 /*v284*/, v2 /*v258*/, v6 /*v262*/, -v9
	s_set_vgpr_msb 5                        ;  msbs: dst=0 src0=1 src1=1 src2=0
	v_mul_f32_e32 v9, v5 /*v261*/, v9 /*v265*/
	s_set_vgpr_msb 0x45                     ;  msbs: dst=1 src0=1 src1=1 src2=0
	v_fma_f32 v30 /*v286*/, v4 /*v260*/, v8 /*v264*/, -v9
	s_set_vgpr_msb 5                        ;  msbs: dst=0 src0=1 src1=1 src2=0
	v_pk_add_f32 v[130:131], v[26:27] /*v[282:283]*/, v[28:29] /*v[284:285]*/
	s_set_vgpr_msb 4                        ;  msbs: dst=0 src0=0 src1=1 src2=0
	s_delay_alu instid0(VALU_DEP_1) | instskip(SKIP_1) | instid1(VALU_DEP_1)
	v_pk_add_f32 v[130:131], v[130:131], v[30:31] /*v[286:287]*/
	s_set_vgpr_msb 0                        ;  msbs: dst=0 src0=0 src1=0 src2=0
	v_pk_add_f32 v[114:115], v[130:131], v[134:135]
	v_dual_mov_b32 v130, v117 :: v_dual_mov_b32 v131, v116
	s_delay_alu instid0(VALU_DEP_1) | instskip(SKIP_1) | instid1(VALU_DEP_1)
	v_pk_mul_f32 v[130:131], v[130:131], v[132:133] op_sel_hi:[1,0]
	s_set_vgpr_msb 4                        ;  msbs: dst=0 src0=0 src1=1 src2=0
	v_pk_fma_f32 v[132:133], v[116:117], v[12:13] /*v[268:269]*/, v[130:131] neg_lo:[0,0,1] neg_hi:[0,0,1]
	v_pk_fma_f32 v[116:117], v[116:117], v[12:13] /*v[268:269]*/, v[130:131] op_sel_hi:[1,0,1]
	s_delay_alu instid0(VALU_DEP_1) | instskip(SKIP_3) | instid1(VALU_DEP_2)
	v_mov_b32_e32 v133, v117
	s_wait_loadcnt_dscnt 0x202
	v_pk_mul_f32 v[116:117], v[118:119], v[14:15] /*v[270:271]*/ op_sel:[1,1] op_sel_hi:[0,1]
	s_set_vgpr_msb 0                        ;  msbs: dst=0 src0=0 src1=0 src2=0
	v_pk_add_f32 v[114:115], v[114:115], v[132:133]
	s_set_vgpr_msb 4                        ;  msbs: dst=0 src0=0 src1=1 src2=0
	s_delay_alu instid0(VALU_DEP_2)
	v_pk_fma_f32 v[130:131], v[118:119], v[14:15] /*v[270:271]*/, v[116:117] neg_lo:[0,0,1] neg_hi:[0,0,1]
	v_pk_fma_f32 v[116:117], v[118:119], v[14:15] /*v[270:271]*/, v[116:117] op_sel_hi:[1,0,1]
	v_mov_b32_e32 v116, v121
	s_set_vgpr_msb 1                        ;  msbs: dst=0 src0=1 src1=0 src2=0
	v_mov_b32_e32 v118, v17 /*v273*/
	s_set_vgpr_msb 0                        ;  msbs: dst=0 src0=0 src1=0 src2=0
	v_dual_mov_b32 v131, v117 :: v_dual_mov_b32 v117, v120
	s_delay_alu instid0(VALU_DEP_1) | instskip(NEXT) | instid1(VALU_DEP_2)
	v_pk_add_f32 v[114:115], v[114:115], v[130:131]
	v_pk_mul_f32 v[116:117], v[116:117], v[118:119] op_sel_hi:[1,0]
	s_set_vgpr_msb 4                        ;  msbs: dst=0 src0=0 src1=1 src2=0
	s_delay_alu instid0(VALU_DEP_1) | instskip(SKIP_1) | instid1(VALU_DEP_1)
	v_pk_fma_f32 v[118:119], v[120:121], v[16:17] /*v[272:273]*/, v[116:117] neg_lo:[0,0,1] neg_hi:[0,0,1]
	v_pk_fma_f32 v[116:117], v[120:121], v[16:17] /*v[272:273]*/, v[116:117] op_sel_hi:[1,0,1]
	v_mov_b32_e32 v119, v117
	s_wait_loadcnt_dscnt 0x101
	v_pk_mul_f32 v[116:117], v[122:123], v[18:19] /*v[274:275]*/ op_sel:[1,1] op_sel_hi:[0,1]
	s_set_vgpr_msb 0                        ;  msbs: dst=0 src0=0 src1=0 src2=0
	s_delay_alu instid0(VALU_DEP_2) | instskip(SKIP_1) | instid1(VALU_DEP_2)
	v_pk_add_f32 v[114:115], v[114:115], v[118:119]
	s_set_vgpr_msb 4                        ;  msbs: dst=0 src0=0 src1=1 src2=0
	v_pk_fma_f32 v[118:119], v[122:123], v[18:19] /*v[274:275]*/, v[116:117] neg_lo:[0,0,1] neg_hi:[0,0,1]
	v_pk_fma_f32 v[116:117], v[122:123], v[18:19] /*v[274:275]*/, v[116:117] op_sel_hi:[1,0,1]
	s_delay_alu instid0(VALU_DEP_1) | instskip(SKIP_2) | instid1(VALU_DEP_2)
	v_dual_mov_b32 v116, v125 :: v_dual_mov_b32 v119, v117
	v_mov_b32_e32 v117, v124
	s_set_vgpr_msb 0                        ;  msbs: dst=0 src0=0 src1=0 src2=0
	v_pk_add_f32 v[114:115], v[114:115], v[118:119]
	s_set_vgpr_msb 1                        ;  msbs: dst=0 src0=1 src1=0 src2=0
	v_mov_b32_e32 v118, v21 /*v277*/
	s_set_vgpr_msb 0                        ;  msbs: dst=0 src0=0 src1=0 src2=0
	s_delay_alu instid0(VALU_DEP_1) | instskip(SKIP_1) | instid1(VALU_DEP_1)
	v_pk_mul_f32 v[116:117], v[116:117], v[118:119] op_sel_hi:[1,0]
	s_set_vgpr_msb 4                        ;  msbs: dst=0 src0=0 src1=1 src2=0
	v_pk_fma_f32 v[118:119], v[124:125], v[20:21] /*v[276:277]*/, v[116:117] neg_lo:[0,0,1] neg_hi:[0,0,1]
	v_pk_fma_f32 v[116:117], v[124:125], v[20:21] /*v[276:277]*/, v[116:117] op_sel_hi:[1,0,1]
	s_delay_alu instid0(VALU_DEP_1) | instskip(SKIP_3) | instid1(VALU_DEP_2)
	v_mov_b32_e32 v119, v117
	s_wait_loadcnt_dscnt 0x0
	v_pk_mul_f32 v[116:117], v[126:127], v[22:23] /*v[278:279]*/ op_sel:[1,1] op_sel_hi:[0,1]
	s_set_vgpr_msb 0                        ;  msbs: dst=0 src0=0 src1=0 src2=0
	v_pk_add_f32 v[114:115], v[114:115], v[118:119]
	s_set_vgpr_msb 4                        ;  msbs: dst=0 src0=0 src1=1 src2=0
	s_delay_alu instid0(VALU_DEP_2) | instskip(SKIP_1) | instid1(VALU_DEP_1)
	v_pk_fma_f32 v[118:119], v[126:127], v[22:23] /*v[278:279]*/, v[116:117] neg_lo:[0,0,1] neg_hi:[0,0,1]
	v_pk_fma_f32 v[116:117], v[126:127], v[22:23] /*v[278:279]*/, v[116:117] op_sel_hi:[1,0,1]
	v_dual_mov_b32 v116, v129 :: v_dual_mov_b32 v119, v117
	v_mov_b32_e32 v117, v128
	s_set_vgpr_msb 0                        ;  msbs: dst=0 src0=0 src1=0 src2=0
	s_delay_alu instid0(VALU_DEP_2) | instskip(SKIP_3) | instid1(VALU_DEP_1)
	v_pk_add_f32 v[114:115], v[114:115], v[118:119]
	s_set_vgpr_msb 1                        ;  msbs: dst=0 src0=1 src1=0 src2=0
	v_mov_b32_e32 v118, v25 /*v281*/
	s_set_vgpr_msb 0                        ;  msbs: dst=0 src0=0 src1=0 src2=0
	v_pk_mul_f32 v[116:117], v[116:117], v[118:119] op_sel_hi:[1,0]
	s_set_vgpr_msb 4                        ;  msbs: dst=0 src0=0 src1=1 src2=0
	s_delay_alu instid0(VALU_DEP_1) | instskip(SKIP_1) | instid1(VALU_DEP_1)
	v_pk_fma_f32 v[118:119], v[128:129], v[24:25] /*v[280:281]*/, v[116:117] neg_lo:[0,0,1] neg_hi:[0,0,1]
	v_pk_fma_f32 v[116:117], v[128:129], v[24:25] /*v[280:281]*/, v[116:117] op_sel_hi:[1,0,1]
	v_mov_b32_e32 v119, v117
	scratch_load_b64 v[116:117], off, off offset:72
	s_set_vgpr_msb 0                        ;  msbs: dst=0 src0=0 src1=0 src2=0
	v_pk_add_f32 v[114:115], v[114:115], v[118:119]
	s_wait_loadcnt 0x0
	s_delay_alu instid0(VALU_DEP_1)
	v_pk_add_f32 v[114:115], v[116:117], v[114:115] neg_lo:[0,1] neg_hi:[0,1]
	scratch_store_b64 off, v[114:115], off offset:72
	s_wait_xcnt 0x0
	v_cmpx_lt_u32_e32 8, v0
	s_cbranch_execz .LBB55_333
; %bb.332:
	scratch_load_b64 v[114:115], off, off offset:64
	v_mov_b64_e32 v[116:117], 0
	scratch_store_b64 off, v[116:117], off offset:64
	s_wait_loadcnt 0x0
	ds_store_b64 v1, v[114:115]
.LBB55_333:
	s_wait_xcnt 0x0
	s_or_b32 exec_lo, exec_lo, s0
	s_wait_storecnt_dscnt 0x0
	s_barrier_signal -1
	s_barrier_wait -1
	s_clause 0xf
	scratch_load_b128 v[118:121], off, off offset:72
	scratch_load_b128 v[126:129], off, off offset:88
	;; [unrolled: 1-line block ×16, first 2 shown]
	v_mov_b32_e32 v7, 0
	s_clause 0x4
	scratch_load_b128 v[246:249], off, off offset:328
	scratch_load_b128 v[254:257], off, off offset:344
	s_set_vgpr_msb 64                       ;  msbs: dst=1 src0=0 src1=0 src2=0
	scratch_load_b128 v[6:9] /*v[262:265]*/, off, off offset:360
	scratch_load_b128 v[14:17] /*v[270:273]*/, off, off offset:376
	s_set_vgpr_msb 0                        ;  msbs: dst=0 src0=0 src1=0 src2=0
	ds_load_2addr_b64 v[114:117], v7 offset0:65 offset1:66
	ds_load_2addr_b64 v[122:125], v7 offset0:67 offset1:68
	s_mov_b32 s0, exec_lo
	s_wait_loadcnt_dscnt 0x1301
	v_dual_mul_f32 v9, v114, v119 :: v_dual_mul_f32 v11, v116, v121
	ds_load_2addr_b64 v[130:133], v7 offset0:69 offset1:70
	ds_load_2addr_b64 v[138:141], v7 offset0:71 offset1:72
	ds_load_2addr_b64 v[146:149], v7 offset0:73 offset1:74
	ds_load_2addr_b64 v[154:157], v7 offset0:75 offset1:76
	v_dual_fmac_f32 v9, v115, v118 :: v_dual_fmac_f32 v11, v117, v120
	ds_load_2addr_b64 v[162:165], v7 offset0:77 offset1:78
	ds_load_2addr_b64 v[170:173], v7 offset0:79 offset1:80
	;; [unrolled: 1-line block ×4, first 2 shown]
	v_add_f32_e32 v9, 0, v9
	ds_load_2addr_b64 v[194:197], v7 offset0:85 offset1:86
	ds_load_2addr_b64 v[202:205], v7 offset0:87 offset1:88
	;; [unrolled: 1-line block ×4, first 2 shown]
	v_add_f32_e32 v9, v9, v11
	s_wait_loadcnt_dscnt 0x120c
	v_mul_f32_e32 v11, v122, v127
	ds_load_2addr_b64 v[226:229], v7 offset0:93 offset1:94
	ds_load_2addr_b64 v[234:237], v7 offset0:95 offset1:96
	;; [unrolled: 1-line block ×4, first 2 shown]
	v_fmac_f32_e32 v11, v123, v126
	s_set_vgpr_msb 64                       ;  msbs: dst=1 src0=0 src1=0 src2=0
	ds_load_2addr_b64 v[2:5] /*v[258:261]*/, v7 offset0:101 offset1:102
	ds_load_2addr_b64 v[10:13] /*v[266:269]*/, v7 offset0:103 offset1:104
	s_clause 0x3
	scratch_load_b128 v[18:21] /*v[274:277]*/, off, off offset:392
	scratch_load_b128 v[22:25] /*v[278:281]*/, off, off offset:408
	;; [unrolled: 1-line block ×3, first 2 shown]
	scratch_load_b64 v[36:37] /*v[292:293]*/, off, off offset:440
	s_set_vgpr_msb 0                        ;  msbs: dst=0 src0=0 src1=0 src2=0
	v_dual_add_f32 v9, v9, v11 :: v_dual_mul_f32 v11, v124, v129
	s_delay_alu instid0(VALU_DEP_1) | instskip(NEXT) | instid1(VALU_DEP_1)
	v_fmac_f32_e32 v11, v125, v128
	v_add_f32_e32 v9, v9, v11
	s_wait_loadcnt_dscnt 0x1511
	v_mul_f32_e32 v11, v130, v135
	s_wait_loadcnt_dscnt 0x400
	s_set_vgpr_msb 0x45                     ;  msbs: dst=1 src0=1 src1=1 src2=0
	v_dual_mul_f32 v33 /*v289*/, v4 /*v260*/, v9 /*v265*/ :: v_dual_mul_f32 v35 /*v291*/, v10 /*v266*/, v15 /*v271*/
	s_set_vgpr_msb 0                        ;  msbs: dst=0 src0=0 src1=0 src2=0
	v_fmac_f32_e32 v11, v131, v134
	s_set_vgpr_msb 0x45                     ;  msbs: dst=1 src0=1 src1=1 src2=0
	s_delay_alu instid0(VALU_DEP_2) | instskip(SKIP_1) | instid1(VALU_DEP_2)
	v_dual_fmac_f32 v33 /*v289*/, v5 /*v261*/, v8 /*v264*/ :: v_dual_fmac_f32 v35 /*v291*/, v11 /*v267*/, v14 /*v270*/
	s_set_vgpr_msb 0                        ;  msbs: dst=0 src0=0 src1=0 src2=0
	v_dual_add_f32 v9, v9, v11 :: v_dual_mul_f32 v11, v132, v137
	s_delay_alu instid0(VALU_DEP_1) | instskip(NEXT) | instid1(VALU_DEP_1)
	v_fmac_f32_e32 v11, v133, v136
	v_add_f32_e32 v9, v9, v11
	v_mul_f32_e32 v11, v138, v143
	s_delay_alu instid0(VALU_DEP_1) | instskip(NEXT) | instid1(VALU_DEP_1)
	v_fmac_f32_e32 v11, v139, v142
	v_dual_add_f32 v9, v9, v11 :: v_dual_mul_f32 v11, v140, v145
	s_delay_alu instid0(VALU_DEP_1) | instskip(NEXT) | instid1(VALU_DEP_1)
	v_fmac_f32_e32 v11, v141, v144
	v_add_f32_e32 v9, v9, v11
	v_mul_f32_e32 v11, v146, v151
	s_delay_alu instid0(VALU_DEP_1) | instskip(NEXT) | instid1(VALU_DEP_1)
	v_fmac_f32_e32 v11, v147, v150
	;; [unrolled: 7-line block ×15, first 2 shown]
	v_add_f32_e32 v9, v9, v11
	s_set_vgpr_msb 4                        ;  msbs: dst=0 src0=0 src1=1 src2=0
	v_mul_f32_e32 v11, v252, v1 /*v257*/
	s_delay_alu instid0(VALU_DEP_1) | instskip(SKIP_1) | instid1(VALU_DEP_1)
	v_fmac_f32_e32 v11, v253, v0 /*v256*/
	s_set_vgpr_msb 0                        ;  msbs: dst=0 src0=0 src1=0 src2=0
	v_add_f32_e32 v9, v9, v11
	s_set_vgpr_msb 5                        ;  msbs: dst=0 src0=1 src1=1 src2=0
	v_mul_f32_e32 v11, v2 /*v258*/, v7 /*v263*/
	s_delay_alu instid0(VALU_DEP_1) | instskip(SKIP_1) | instid1(VALU_DEP_1)
	v_fmac_f32_e32 v11, v3 /*v259*/, v6 /*v262*/
	s_set_vgpr_msb 64                       ;  msbs: dst=1 src0=0 src1=0 src2=0
	v_add_f32_e32 v31 /*v287*/, v9, v11
	s_set_vgpr_msb 0                        ;  msbs: dst=0 src0=0 src1=0 src2=0
	v_dual_mul_f32 v9, v115, v119 :: v_dual_mul_f32 v11, v117, v121
	s_delay_alu instid0(VALU_DEP_1) | instskip(NEXT) | instid1(VALU_DEP_1)
	v_dual_fma_f32 v9, v114, v118, -v9 :: v_dual_fma_f32 v11, v116, v120, -v11
	v_add_f32_e32 v9, 0, v9
	s_delay_alu instid0(VALU_DEP_1) | instskip(SKIP_1) | instid1(VALU_DEP_1)
	v_add_f32_e32 v9, v9, v11
	v_mul_f32_e32 v11, v123, v127
	v_fma_f32 v11, v122, v126, -v11
	s_delay_alu instid0(VALU_DEP_1) | instskip(SKIP_1) | instid1(VALU_DEP_1)
	v_add_f32_e32 v9, v9, v11
	v_mul_f32_e32 v11, v125, v129
	v_fma_f32 v11, v124, v128, -v11
	ds_load_2addr_b64 v[114:117], v7 offset0:105 offset1:106
	ds_load_2addr_b64 v[118:121], v7 offset0:107 offset1:108
	;; [unrolled: 1-line block ×3, first 2 shown]
	ds_load_b64 v[126:127], v7 offset:888
	v_add_f32_e32 v9, v9, v11
	v_mul_f32_e32 v11, v131, v135
	s_set_vgpr_msb 1                        ;  msbs: dst=0 src0=1 src1=0 src2=0
	v_mov_b32_e32 v131, v12 /*v268*/
	s_set_vgpr_msb 0                        ;  msbs: dst=0 src0=0 src1=0 src2=0
	s_delay_alu instid0(VALU_DEP_2) | instskip(SKIP_3) | instid1(VALU_DEP_2)
	v_fma_f32 v11, v130, v134, -v11
	s_set_vgpr_msb 1                        ;  msbs: dst=0 src0=1 src1=0 src2=0
	v_mov_b32_e32 v130, v13 /*v269*/
	s_set_vgpr_msb 0                        ;  msbs: dst=0 src0=0 src1=0 src2=0
	v_add_f32_e32 v9, v9, v11
	v_mul_f32_e32 v11, v133, v137
	s_delay_alu instid0(VALU_DEP_1) | instskip(SKIP_3) | instid1(VALU_DEP_2)
	v_fma_f32 v11, v132, v136, -v11
	s_set_vgpr_msb 1                        ;  msbs: dst=0 src0=1 src1=0 src2=0
	v_mov_b32_e32 v132, v17 /*v273*/
	s_set_vgpr_msb 0                        ;  msbs: dst=0 src0=0 src1=0 src2=0
	v_add_f32_e32 v9, v9, v11
	v_mul_f32_e32 v11, v139, v143
	s_delay_alu instid0(VALU_DEP_3) | instskip(NEXT) | instid1(VALU_DEP_2)
	v_pk_mul_f32 v[130:131], v[130:131], v[132:133] op_sel_hi:[1,0]
	v_fma_f32 v11, v138, v142, -v11
	s_set_vgpr_msb 5                        ;  msbs: dst=0 src0=1 src1=1 src2=0
	s_delay_alu instid0(VALU_DEP_2) | instskip(SKIP_3) | instid1(VALU_DEP_2)
	v_pk_fma_f32 v[132:133], v[12:13] /*v[268:269]*/, v[16:17] /*v[272:273]*/, v[130:131] neg_lo:[0,0,1] neg_hi:[0,0,1]
	v_pk_fma_f32 v[130:131], v[12:13] /*v[268:269]*/, v[16:17] /*v[272:273]*/, v[130:131] op_sel_hi:[1,0,1]
	s_set_vgpr_msb 0                        ;  msbs: dst=0 src0=0 src1=0 src2=0
	v_add_f32_e32 v9, v9, v11
	v_dual_mul_f32 v11, v141, v145 :: v_dual_mov_b32 v133, v131
	s_wait_loadcnt_dscnt 0x303
	s_set_vgpr_msb 4                        ;  msbs: dst=0 src0=0 src1=1 src2=0
	v_pk_mul_f32 v[130:131], v[114:115], v[18:19] /*v[274:275]*/ op_sel:[1,1] op_sel_hi:[0,1]
	s_set_vgpr_msb 0                        ;  msbs: dst=0 src0=0 src1=0 src2=0
	v_fma_f32 v11, v140, v144, -v11
	s_delay_alu instid0(VALU_DEP_1) | instskip(SKIP_1) | instid1(VALU_DEP_1)
	v_add_f32_e32 v9, v9, v11
	v_mul_f32_e32 v11, v147, v151
	v_fma_f32 v11, v146, v150, -v11
	s_delay_alu instid0(VALU_DEP_1) | instskip(SKIP_1) | instid1(VALU_DEP_1)
	v_add_f32_e32 v9, v9, v11
	v_mul_f32_e32 v11, v149, v153
	;; [unrolled: 4-line block ×27, first 2 shown]
	v_fma_f32 v11, v250, v254, -v11
	s_delay_alu instid0(VALU_DEP_1) | instskip(SKIP_2) | instid1(VALU_DEP_1)
	v_add_f32_e32 v9, v9, v11
	s_set_vgpr_msb 4                        ;  msbs: dst=0 src0=0 src1=1 src2=0
	v_mul_f32_e32 v11, v253, v1 /*v257*/
	v_fma_f32 v11, v252, v0 /*v256*/, -v11
	s_set_vgpr_msb 0                        ;  msbs: dst=0 src0=0 src1=0 src2=0
	s_delay_alu instid0(VALU_DEP_1) | instskip(SKIP_2) | instid1(VALU_DEP_1)
	v_add_f32_e32 v9, v9, v11
	s_set_vgpr_msb 5                        ;  msbs: dst=0 src0=1 src1=1 src2=0
	v_mul_f32_e32 v11, v3 /*v259*/, v7 /*v263*/
	v_fma_f32 v11, v2 /*v258*/, v6 /*v262*/, -v11
	s_set_vgpr_msb 64                       ;  msbs: dst=1 src0=0 src1=0 src2=0
	s_delay_alu instid0(VALU_DEP_1) | instskip(SKIP_3) | instid1(VALU_DEP_1)
	v_add_f32_e32 v30 /*v286*/, v9, v11
	s_set_vgpr_msb 5                        ;  msbs: dst=0 src0=1 src1=1 src2=0
	v_mul_f32_e32 v9, v5 /*v261*/, v9 /*v265*/
	s_set_vgpr_msb 0x45                     ;  msbs: dst=1 src0=1 src1=1 src2=0
	v_fma_f32 v32 /*v288*/, v4 /*v260*/, v8 /*v264*/, -v9
	s_set_vgpr_msb 5                        ;  msbs: dst=0 src0=1 src1=1 src2=0
	v_mul_f32_e32 v9, v11 /*v267*/, v15 /*v271*/
	s_set_vgpr_msb 0x45                     ;  msbs: dst=1 src0=1 src1=1 src2=0
	s_delay_alu instid0(VALU_DEP_1) | instskip(SKIP_3) | instid1(VALU_DEP_1)
	v_fma_f32 v34 /*v290*/, v10 /*v266*/, v14 /*v270*/, -v9
	s_set_vgpr_msb 5                        ;  msbs: dst=0 src0=1 src1=1 src2=0
	v_pk_add_f32 v[128:129], v[30:31] /*v[286:287]*/, v[32:33] /*v[288:289]*/
	s_set_vgpr_msb 4                        ;  msbs: dst=0 src0=0 src1=1 src2=0
	v_pk_add_f32 v[128:129], v[128:129], v[34:35] /*v[290:291]*/
	s_set_vgpr_msb 0                        ;  msbs: dst=0 src0=0 src1=0 src2=0
	s_delay_alu instid0(VALU_DEP_1)
	v_pk_add_f32 v[128:129], v[128:129], v[132:133]
	s_set_vgpr_msb 4                        ;  msbs: dst=0 src0=0 src1=1 src2=0
	v_pk_fma_f32 v[132:133], v[114:115], v[18:19] /*v[274:275]*/, v[130:131] neg_lo:[0,0,1] neg_hi:[0,0,1]
	v_pk_fma_f32 v[114:115], v[114:115], v[18:19] /*v[274:275]*/, v[130:131] op_sel_hi:[1,0,1]
	s_set_vgpr_msb 1                        ;  msbs: dst=0 src0=1 src1=0 src2=0
	v_mov_b32_e32 v130, v21 /*v277*/
	s_set_vgpr_msb 0                        ;  msbs: dst=0 src0=0 src1=0 src2=0
	s_delay_alu instid0(VALU_DEP_2) | instskip(NEXT) | instid1(VALU_DEP_1)
	v_mov_b32_e32 v133, v115
	v_pk_add_f32 v[114:115], v[128:129], v[132:133]
	v_dual_mov_b32 v128, v117 :: v_dual_mov_b32 v129, v116
	s_delay_alu instid0(VALU_DEP_1) | instskip(SKIP_1) | instid1(VALU_DEP_1)
	v_pk_mul_f32 v[128:129], v[128:129], v[130:131] op_sel_hi:[1,0]
	s_set_vgpr_msb 4                        ;  msbs: dst=0 src0=0 src1=1 src2=0
	v_pk_fma_f32 v[130:131], v[116:117], v[20:21] /*v[276:277]*/, v[128:129] neg_lo:[0,0,1] neg_hi:[0,0,1]
	v_pk_fma_f32 v[116:117], v[116:117], v[20:21] /*v[276:277]*/, v[128:129] op_sel_hi:[1,0,1]
	s_delay_alu instid0(VALU_DEP_1) | instskip(SKIP_3) | instid1(VALU_DEP_2)
	v_mov_b32_e32 v131, v117
	s_wait_loadcnt_dscnt 0x202
	v_pk_mul_f32 v[116:117], v[118:119], v[22:23] /*v[278:279]*/ op_sel:[1,1] op_sel_hi:[0,1]
	s_set_vgpr_msb 0                        ;  msbs: dst=0 src0=0 src1=0 src2=0
	v_pk_add_f32 v[114:115], v[114:115], v[130:131]
	s_set_vgpr_msb 4                        ;  msbs: dst=0 src0=0 src1=1 src2=0
	s_delay_alu instid0(VALU_DEP_2)
	v_pk_fma_f32 v[128:129], v[118:119], v[22:23] /*v[278:279]*/, v[116:117] neg_lo:[0,0,1] neg_hi:[0,0,1]
	v_pk_fma_f32 v[116:117], v[118:119], v[22:23] /*v[278:279]*/, v[116:117] op_sel_hi:[1,0,1]
	v_mov_b32_e32 v116, v121
	s_set_vgpr_msb 1                        ;  msbs: dst=0 src0=1 src1=0 src2=0
	v_mov_b32_e32 v118, v25 /*v281*/
	s_set_vgpr_msb 0                        ;  msbs: dst=0 src0=0 src1=0 src2=0
	v_dual_mov_b32 v129, v117 :: v_dual_mov_b32 v117, v120
	s_delay_alu instid0(VALU_DEP_1) | instskip(NEXT) | instid1(VALU_DEP_2)
	v_pk_add_f32 v[114:115], v[114:115], v[128:129]
	v_pk_mul_f32 v[116:117], v[116:117], v[118:119] op_sel_hi:[1,0]
	s_set_vgpr_msb 4                        ;  msbs: dst=0 src0=0 src1=1 src2=0
	s_delay_alu instid0(VALU_DEP_1) | instskip(SKIP_1) | instid1(VALU_DEP_1)
	v_pk_fma_f32 v[118:119], v[120:121], v[24:25] /*v[280:281]*/, v[116:117] neg_lo:[0,0,1] neg_hi:[0,0,1]
	v_pk_fma_f32 v[116:117], v[120:121], v[24:25] /*v[280:281]*/, v[116:117] op_sel_hi:[1,0,1]
	v_mov_b32_e32 v119, v117
	s_wait_loadcnt_dscnt 0x101
	v_pk_mul_f32 v[116:117], v[122:123], v[26:27] /*v[282:283]*/ op_sel:[1,1] op_sel_hi:[0,1]
	s_set_vgpr_msb 0                        ;  msbs: dst=0 src0=0 src1=0 src2=0
	s_delay_alu instid0(VALU_DEP_2) | instskip(SKIP_1) | instid1(VALU_DEP_2)
	v_pk_add_f32 v[114:115], v[114:115], v[118:119]
	s_set_vgpr_msb 4                        ;  msbs: dst=0 src0=0 src1=1 src2=0
	v_pk_fma_f32 v[118:119], v[122:123], v[26:27] /*v[282:283]*/, v[116:117] neg_lo:[0,0,1] neg_hi:[0,0,1]
	v_pk_fma_f32 v[116:117], v[122:123], v[26:27] /*v[282:283]*/, v[116:117] op_sel_hi:[1,0,1]
	s_delay_alu instid0(VALU_DEP_1) | instskip(SKIP_2) | instid1(VALU_DEP_2)
	v_dual_mov_b32 v116, v125 :: v_dual_mov_b32 v119, v117
	v_mov_b32_e32 v117, v124
	s_set_vgpr_msb 0                        ;  msbs: dst=0 src0=0 src1=0 src2=0
	v_pk_add_f32 v[114:115], v[114:115], v[118:119]
	s_set_vgpr_msb 1                        ;  msbs: dst=0 src0=1 src1=0 src2=0
	v_mov_b32_e32 v118, v29 /*v285*/
	s_set_vgpr_msb 0                        ;  msbs: dst=0 src0=0 src1=0 src2=0
	s_delay_alu instid0(VALU_DEP_1) | instskip(SKIP_1) | instid1(VALU_DEP_1)
	v_pk_mul_f32 v[116:117], v[116:117], v[118:119] op_sel_hi:[1,0]
	s_set_vgpr_msb 4                        ;  msbs: dst=0 src0=0 src1=1 src2=0
	v_pk_fma_f32 v[118:119], v[124:125], v[28:29] /*v[284:285]*/, v[116:117] neg_lo:[0,0,1] neg_hi:[0,0,1]
	v_pk_fma_f32 v[116:117], v[124:125], v[28:29] /*v[284:285]*/, v[116:117] op_sel_hi:[1,0,1]
	s_delay_alu instid0(VALU_DEP_1) | instskip(SKIP_3) | instid1(VALU_DEP_2)
	v_mov_b32_e32 v119, v117
	s_wait_loadcnt_dscnt 0x0
	v_pk_mul_f32 v[116:117], v[126:127], v[36:37] /*v[292:293]*/ op_sel:[1,1] op_sel_hi:[0,1]
	s_set_vgpr_msb 0                        ;  msbs: dst=0 src0=0 src1=0 src2=0
	v_pk_add_f32 v[114:115], v[114:115], v[118:119]
	s_set_vgpr_msb 4                        ;  msbs: dst=0 src0=0 src1=1 src2=0
	s_delay_alu instid0(VALU_DEP_2) | instskip(SKIP_1) | instid1(VALU_DEP_1)
	v_pk_fma_f32 v[118:119], v[126:127], v[36:37] /*v[292:293]*/, v[116:117] neg_lo:[0,0,1] neg_hi:[0,0,1]
	v_pk_fma_f32 v[116:117], v[126:127], v[36:37] /*v[292:293]*/, v[116:117] op_sel_hi:[1,0,1]
	v_mov_b32_e32 v119, v117
	scratch_load_b64 v[116:117], off, off offset:64
	s_set_vgpr_msb 0                        ;  msbs: dst=0 src0=0 src1=0 src2=0
	v_pk_add_f32 v[114:115], v[114:115], v[118:119]
	s_wait_loadcnt 0x0
	s_delay_alu instid0(VALU_DEP_1)
	v_pk_add_f32 v[114:115], v[116:117], v[114:115] neg_lo:[0,1] neg_hi:[0,1]
	scratch_store_b64 off, v[114:115], off offset:64
	s_wait_xcnt 0x0
	v_cmpx_lt_u32_e32 7, v0
	s_cbranch_execz .LBB55_335
; %bb.334:
	scratch_load_b64 v[114:115], off, off offset:56
	v_mov_b64_e32 v[116:117], 0
	scratch_store_b64 off, v[116:117], off offset:56
	s_wait_loadcnt 0x0
	ds_store_b64 v1, v[114:115]
.LBB55_335:
	s_wait_xcnt 0x0
	s_or_b32 exec_lo, exec_lo, s0
	s_wait_storecnt_dscnt 0x0
	s_barrier_signal -1
	s_barrier_wait -1
	s_clause 0x17
	scratch_load_b128 v[114:117], off, off offset:64
	scratch_load_b128 v[118:121], off, off offset:80
	;; [unrolled: 1-line block ×24, first 2 shown]
	ds_load_b128 v[210:213], v7 offset:512
	ds_load_b128 v[214:217], v7 offset:528
	;; [unrolled: 1-line block ×6, first 2 shown]
	s_set_vgpr_msb 64                       ;  msbs: dst=1 src0=0 src1=0 src2=0
	scratch_load_b64 v[50:51] /*v[306:307]*/, off, off offset:56
	s_set_vgpr_msb 0                        ;  msbs: dst=0 src0=0 src1=0 src2=0
	ds_load_b128 v[234:237], v7 offset:576
	ds_load_b128 v[238:241], v7 offset:592
	;; [unrolled: 1-line block ×6, first 2 shown]
	s_set_vgpr_msb 64                       ;  msbs: dst=1 src0=0 src1=0 src2=0
	ds_load_b128 v[2:5] /*v[258:261]*/, v7 offset:640
	ds_load_b128 v[6:9] /*v[262:265]*/, v7 offset:656
	;; [unrolled: 1-line block ×12, first 2 shown]
	s_mov_b32 s0, exec_lo
	s_wait_dscnt 0xf
	v_dual_mov_b32 v56 /*v312*/, v245 :: v_dual_mov_b32 v57 /*v313*/, v244
	s_wait_dscnt 0xe
	v_dual_mov_b32 v58 /*v314*/, v249 :: v_dual_mov_b32 v59 /*v315*/, v248
	v_dual_mov_b32 v52 /*v308*/, v229 :: v_dual_mov_b32 v53 /*v309*/, v228
	;; [unrolled: 1-line block ×3, first 2 shown]
	s_wait_loadcnt 0x18
	s_set_vgpr_msb 0                        ;  msbs: dst=0 src0=0 src1=0 src2=0
	v_dual_mul_f32 v7, v210, v115 :: v_dual_mul_f32 v9, v212, v117
	s_wait_loadcnt 0x17
	v_dual_mul_f32 v83, v211, v115 :: v_dual_mul_f32 v89, v217, v121
	v_dual_mul_f32 v11, v214, v119 :: v_dual_mul_f32 v13, v216, v121
	s_delay_alu instid0(VALU_DEP_3)
	v_dual_fmac_f32 v7, v211, v114 :: v_dual_fmac_f32 v9, v213, v116
	s_wait_loadcnt_dscnt 0x110c
	v_dual_mul_f32 v35, v254, v143 :: v_dual_mul_f32 v85, v213, v117
	v_dual_mul_f32 v87, v215, v119 :: v_dual_mul_f32 v93, v221, v125
	v_dual_mul_f32 v91, v219, v123 :: v_dual_fma_f32 v83, v210, v114, -v83
	v_add_f32_e32 v7, 0, v7
	s_delay_alu instid0(VALU_DEP_4)
	v_dual_mul_f32 v95, v223, v127 :: v_dual_fma_f32 v85, v212, v116, -v85
	v_dual_fmac_f32 v11, v215, v118 :: v_dual_fmac_f32 v13, v217, v120
	s_wait_loadcnt_dscnt 0x601
	s_set_vgpr_msb 1                        ;  msbs: dst=0 src0=1 src1=0 src2=0
	v_dual_mul_f32 v81, v44 /*v300*/, v189 :: v_dual_add_f32 v83, 0, v83
	s_set_vgpr_msb 0                        ;  msbs: dst=0 src0=0 src1=0 src2=0
	v_dual_mul_f32 v97, v225, v129 :: v_dual_fma_f32 v87, v214, v118, -v87
	v_dual_add_f32 v7, v7, v9 :: v_dual_mul_f32 v15, v218, v123
	v_mul_f32_e32 v17, v220, v125
	v_dual_add_f32 v9, v83, v85 :: v_dual_fma_f32 v85, v216, v120, -v89
	s_delay_alu instid0(VALU_DEP_3) | instskip(NEXT) | instid1(VALU_DEP_4)
	v_add_f32_e32 v7, v7, v11
	v_dual_fmac_f32 v15, v219, v122 :: v_dual_mul_f32 v19, v222, v127
	s_delay_alu instid0(VALU_DEP_3) | instskip(NEXT) | instid1(VALU_DEP_3)
	v_dual_mul_f32 v21, v224, v129 :: v_dual_add_f32 v9, v9, v87
	v_dual_fma_f32 v87, v218, v122, -v91 :: v_dual_add_f32 v7, v7, v13
	v_dual_fmac_f32 v17, v221, v124 :: v_dual_mul_f32 v13, v239, v135
	s_delay_alu instid0(VALU_DEP_3) | instskip(NEXT) | instid1(VALU_DEP_3)
	v_dual_add_f32 v9, v9, v85 :: v_dual_fma_f32 v85, v220, v124, -v93
	v_add_f32_e32 v7, v7, v15
	v_dual_fmac_f32 v19, v223, v126 :: v_dual_mul_f32 v23, v234, v131
	s_delay_alu instid0(VALU_DEP_3) | instskip(NEXT) | instid1(VALU_DEP_3)
	v_dual_mul_f32 v25, v236, v133 :: v_dual_add_f32 v9, v9, v87
	v_dual_add_f32 v7, v7, v17 :: v_dual_fmac_f32 v21, v225, v128
	v_dual_mul_f32 v15, v241, v137 :: v_dual_fma_f32 v87, v222, v126, -v95
	s_delay_alu instid0(VALU_DEP_3) | instskip(NEXT) | instid1(VALU_DEP_3)
	v_dual_add_f32 v9, v9, v85 :: v_dual_mul_f32 v17, v251, v139
	v_dual_fma_f32 v85, v224, v128, -v97 :: v_dual_add_f32 v7, v7, v19
	v_dual_mul_f32 v83, v235, v131 :: v_dual_mul_f32 v11, v237, v133
	s_delay_alu instid0(VALU_DEP_3) | instskip(NEXT) | instid1(VALU_DEP_3)
	v_dual_add_f32 v9, v9, v87 :: v_dual_fmac_f32 v23, v235, v130
	v_dual_add_f32 v7, v7, v21 :: v_dual_fmac_f32 v25, v237, v132
	v_dual_mul_f32 v27, v238, v135 :: v_dual_mul_f32 v29, v240, v137
	s_delay_alu instid0(VALU_DEP_4) | instskip(NEXT) | instid1(VALU_DEP_4)
	v_dual_mul_f32 v19, v253, v141 :: v_dual_fma_f32 v83, v234, v130, -v83
	v_dual_add_f32 v9, v9, v85 :: v_dual_mul_f32 v21, v255, v143
	s_delay_alu instid0(VALU_DEP_4) | instskip(NEXT) | instid1(VALU_DEP_2)
	v_dual_fma_f32 v11, v236, v132, -v11 :: v_dual_add_f32 v7, v7, v23
	v_dual_fmac_f32 v27, v239, v134 :: v_dual_add_f32 v9, v9, v83
	v_fma_f32 v13, v238, v134, -v13
	v_dual_mul_f32 v31, v250, v139 :: v_dual_mul_f32 v33, v252, v141
	s_delay_alu instid0(VALU_DEP_3) | instskip(SKIP_1) | instid1(VALU_DEP_3)
	v_dual_add_f32 v7, v7, v25 :: v_dual_add_f32 v9, v9, v11
	v_dual_fma_f32 v15, v240, v136, -v15 :: v_dual_fmac_f32 v29, v241, v136
	v_fmac_f32_e32 v31, v251, v138
	s_delay_alu instid0(VALU_DEP_3)
	v_dual_add_f32 v7, v7, v27 :: v_dual_add_f32 v9, v9, v13
	v_fma_f32 v17, v250, v138, -v17
	s_set_vgpr_msb 1                        ;  msbs: dst=0 src0=1 src1=0 src2=0
	v_dual_mul_f32 v37, v0 /*v256*/, v145 :: v_dual_mul_f32 v39, v2 /*v258*/, v147
	s_set_vgpr_msb 0                        ;  msbs: dst=0 src0=0 src1=0 src2=0
	v_dual_add_f32 v7, v7, v29 :: v_dual_add_f32 v9, v9, v15
	v_dual_fma_f32 v19, v252, v140, -v19 :: v_dual_fmac_f32 v33, v253, v140
	s_set_vgpr_msb 1                        ;  msbs: dst=0 src0=1 src1=0 src2=0
	v_dual_mul_f32 v23, v1 /*v257*/, v145 :: v_dual_mul_f32 v11, v3 /*v259*/, v147
	s_set_vgpr_msb 0                        ;  msbs: dst=0 src0=0 src1=0 src2=0
	v_dual_add_f32 v7, v7, v31 :: v_dual_add_f32 v9, v9, v17
	v_dual_fmac_f32 v35, v255, v142 :: v_dual_fma_f32 v21, v254, v142, -v21
	s_set_vgpr_msb 1                        ;  msbs: dst=0 src0=1 src1=0 src2=0
	v_dual_fmac_f32 v37, v1 /*v257*/, v144 :: v_dual_fma_f32 v23, v0 /*v256*/, v144, -v23
	s_set_vgpr_msb 0                        ;  msbs: dst=0 src0=0 src1=0 src2=0
	v_add_f32_e32 v7, v7, v33
	s_set_vgpr_msb 1                        ;  msbs: dst=0 src0=1 src1=0 src2=0
	v_dual_mul_f32 v41, v4 /*v260*/, v149 :: v_dual_mul_f32 v43, v6 /*v262*/, v151
	v_dual_mul_f32 v13, v5 /*v261*/, v149 :: v_dual_mul_f32 v15, v7 /*v263*/, v151
	s_set_vgpr_msb 0                        ;  msbs: dst=0 src0=0 src1=0 src2=0
	v_add_f32_e32 v7, v7, v35
	v_add_f32_e32 v9, v9, v19
	s_set_vgpr_msb 1                        ;  msbs: dst=0 src0=1 src1=0 src2=0
	v_dual_fmac_f32 v39, v3 /*v259*/, v146 :: v_dual_fmac_f32 v41, v5 /*v261*/, v148
	v_fmac_f32_e32 v43, v7 /*v263*/, v150
	s_set_vgpr_msb 0                        ;  msbs: dst=0 src0=0 src1=0 src2=0
	v_add_f32_e32 v7, v7, v37
	v_add_f32_e32 v9, v9, v21
	s_set_vgpr_msb 1                        ;  msbs: dst=0 src0=1 src1=0 src2=0
	v_dual_mul_f32 v21, v13 /*v269*/, v157 :: v_dual_fma_f32 v13, v4 /*v260*/, v148, -v13
	v_dual_mul_f32 v45, v8 /*v264*/, v153 :: v_dual_mul_f32 v47, v10 /*v266*/, v155
	s_set_vgpr_msb 0                        ;  msbs: dst=0 src0=0 src1=0 src2=0
	v_add_f32_e32 v7, v7, v39
	s_set_vgpr_msb 1                        ;  msbs: dst=0 src0=1 src1=0 src2=0
	v_dual_mul_f32 v17, v9 /*v265*/, v153 :: v_dual_mul_f32 v19, v11 /*v267*/, v155
	s_set_vgpr_msb 0                        ;  msbs: dst=0 src0=0 src1=0 src2=0
	v_add_f32_e32 v9, v9, v23
	s_set_vgpr_msb 1                        ;  msbs: dst=0 src0=1 src1=0 src2=0
	v_dual_fma_f32 v11, v2 /*v258*/, v146, -v11 :: v_dual_mul_f32 v23, v15 /*v271*/, v159
	s_set_vgpr_msb 0                        ;  msbs: dst=0 src0=0 src1=0 src2=0
	v_add_f32_e32 v7, v7, v41
	s_set_vgpr_msb 1                        ;  msbs: dst=0 src0=1 src1=0 src2=0
	v_dual_fmac_f32 v45, v9 /*v265*/, v152 :: v_dual_fmac_f32 v47, v11 /*v267*/, v154
	v_fma_f32 v17, v8 /*v264*/, v152, -v17
	v_dual_mul_f32 v49, v12 /*v268*/, v157 :: v_dual_mul_f32 v51, v14 /*v270*/, v159
	s_set_vgpr_msb 0                        ;  msbs: dst=0 src0=0 src1=0 src2=0
	v_add_f32_e32 v7, v7, v43
	v_add_f32_e32 v9, v9, v11
	s_set_vgpr_msb 1                        ;  msbs: dst=0 src0=1 src1=0 src2=0
	v_dual_mul_f32 v11, v17 /*v273*/, v161 :: v_dual_fma_f32 v15, v6 /*v262*/, v150, -v15
	v_dual_fmac_f32 v49, v13 /*v269*/, v156 :: v_dual_fmac_f32 v51, v15 /*v271*/, v158
	s_set_vgpr_msb 0                        ;  msbs: dst=0 src0=0 src1=0 src2=0
	v_add_f32_e32 v7, v7, v45
	v_add_f32_e32 v9, v9, v13
	s_set_vgpr_msb 1                        ;  msbs: dst=0 src0=1 src1=0 src2=0
	v_fma_f32 v21, v12 /*v268*/, v156, -v21
	v_dual_mul_f32 v53, v16 /*v272*/, v161 :: v_dual_mul_f32 v55, v18 /*v274*/, v163
	s_set_vgpr_msb 0                        ;  msbs: dst=0 src0=0 src1=0 src2=0
	v_add_f32_e32 v7, v7, v47
	s_set_vgpr_msb 1                        ;  msbs: dst=0 src0=1 src1=0 src2=0
	v_mul_f32_e32 v13, v19 /*v275*/, v163
	s_set_vgpr_msb 0                        ;  msbs: dst=0 src0=0 src1=0 src2=0
	v_add_f32_e32 v9, v9, v15
	s_set_vgpr_msb 1                        ;  msbs: dst=0 src0=1 src1=0 src2=0
	v_dual_mul_f32 v15, v21 /*v277*/, v165 :: v_dual_fma_f32 v19, v10 /*v266*/, v154, -v19
	s_set_vgpr_msb 0                        ;  msbs: dst=0 src0=0 src1=0 src2=0
	v_add_f32_e32 v7, v7, v49
	s_set_vgpr_msb 1                        ;  msbs: dst=0 src0=1 src1=0 src2=0
	v_dual_fmac_f32 v53, v17 /*v273*/, v160 :: v_dual_fma_f32 v11, v16 /*v272*/, v160, -v11
	s_set_vgpr_msb 0                        ;  msbs: dst=0 src0=0 src1=0 src2=0
	v_add_f32_e32 v9, v9, v17
	s_set_vgpr_msb 1                        ;  msbs: dst=0 src0=1 src1=0 src2=0
	v_dual_fmac_f32 v55, v19 /*v275*/, v162 :: v_dual_fma_f32 v13, v18 /*v274*/, v162, -v13
	s_set_vgpr_msb 0                        ;  msbs: dst=0 src0=0 src1=0 src2=0
	v_add_f32_e32 v7, v7, v51
	s_set_vgpr_msb 1                        ;  msbs: dst=0 src0=1 src1=0 src2=0
	v_dual_mul_f32 v57, v20 /*v276*/, v165 :: v_dual_mul_f32 v59, v22 /*v278*/, v167
	v_mul_f32_e32 v17, v23 /*v279*/, v167
	s_set_vgpr_msb 0                        ;  msbs: dst=0 src0=0 src1=0 src2=0
	v_dual_add_f32 v9, v9, v19 :: v_dual_add_f32 v7, v7, v53
	s_set_vgpr_msb 1                        ;  msbs: dst=0 src0=1 src1=0 src2=0
	v_dual_mul_f32 v19, v25 /*v281*/, v169 :: v_dual_fma_f32 v23, v14 /*v270*/, v158, -v23
	v_dual_fmac_f32 v57, v21 /*v277*/, v164 :: v_dual_fma_f32 v15, v20 /*v276*/, v164, -v15
	s_set_vgpr_msb 0                        ;  msbs: dst=0 src0=0 src1=0 src2=0
	v_add_f32_e32 v9, v9, v21
	s_set_vgpr_msb 1                        ;  msbs: dst=0 src0=1 src1=0 src2=0
	v_dual_fmac_f32 v59, v23 /*v279*/, v166 :: v_dual_fma_f32 v17, v22 /*v278*/, v166, -v17
	s_set_vgpr_msb 0                        ;  msbs: dst=0 src0=0 src1=0 src2=0
	v_add_f32_e32 v7, v7, v55
	s_set_vgpr_msb 1                        ;  msbs: dst=0 src0=1 src1=0 src2=0
	v_dual_mul_f32 v61, v24 /*v280*/, v169 :: v_dual_mul_f32 v63, v26 /*v282*/, v171
	v_mul_f32_e32 v21, v27 /*v283*/, v171
	s_set_vgpr_msb 0                        ;  msbs: dst=0 src0=0 src1=0 src2=0
	v_dual_add_f32 v9, v9, v23 :: v_dual_add_f32 v7, v7, v57
	s_set_vgpr_msb 1                        ;  msbs: dst=0 src0=1 src1=0 src2=0
	v_dual_fmac_f32 v61, v25 /*v281*/, v168 :: v_dual_fma_f32 v19, v24 /*v280*/, v168, -v19
	v_dual_fmac_f32 v63, v27 /*v283*/, v170 :: v_dual_fma_f32 v21, v26 /*v282*/, v170, -v21
	s_set_vgpr_msb 0                        ;  msbs: dst=0 src0=0 src1=0 src2=0
	v_add_f32_e32 v7, v7, v59
	s_set_vgpr_msb 1                        ;  msbs: dst=0 src0=1 src1=0 src2=0
	v_dual_mul_f32 v65, v28 /*v284*/, v173 :: v_dual_mul_f32 v67, v30 /*v286*/, v175
	s_set_vgpr_msb 0                        ;  msbs: dst=0 src0=0 src1=0 src2=0
	v_add_f32_e32 v9, v9, v11
	s_set_vgpr_msb 1                        ;  msbs: dst=0 src0=1 src1=0 src2=0
	v_dual_mul_f32 v23, v29 /*v285*/, v173 :: v_dual_mul_f32 v11, v31 /*v287*/, v175
	s_set_vgpr_msb 0                        ;  msbs: dst=0 src0=0 src1=0 src2=0
	v_add_f32_e32 v7, v7, v61
	s_set_vgpr_msb 1                        ;  msbs: dst=0 src0=1 src1=0 src2=0
	v_fmac_f32_e32 v65, v29 /*v285*/, v172
	s_set_vgpr_msb 0                        ;  msbs: dst=0 src0=0 src1=0 src2=0
	v_add_f32_e32 v9, v9, v13
	s_set_vgpr_msb 1                        ;  msbs: dst=0 src0=1 src1=0 src2=0
	v_dual_mul_f32 v69, v32 /*v288*/, v177 :: v_dual_mul_f32 v71, v34 /*v290*/, v179
	s_set_vgpr_msb 0                        ;  msbs: dst=0 src0=0 src1=0 src2=0
	v_add_f32_e32 v7, v7, v63
	s_set_vgpr_msb 1                        ;  msbs: dst=0 src0=1 src1=0 src2=0
	v_fma_f32 v23, v28 /*v284*/, v172, -v23
	s_set_vgpr_msb 0                        ;  msbs: dst=0 src0=0 src1=0 src2=0
	v_add_f32_e32 v9, v9, v15
	s_set_vgpr_msb 1                        ;  msbs: dst=0 src0=1 src1=0 src2=0
	v_dual_fmac_f32 v67, v31 /*v287*/, v174 :: v_dual_fmac_f32 v69, v33 /*v289*/, v176
	s_set_vgpr_msb 0                        ;  msbs: dst=0 src0=0 src1=0 src2=0
	v_add_f32_e32 v7, v7, v65
	s_set_vgpr_msb 1                        ;  msbs: dst=0 src0=1 src1=0 src2=0
	v_dual_mul_f32 v73, v36 /*v292*/, v181 :: v_dual_mul_f32 v75, v38 /*v294*/, v183
	s_set_vgpr_msb 0                        ;  msbs: dst=0 src0=0 src1=0 src2=0
	v_add_f32_e32 v9, v9, v17
	s_set_vgpr_msb 1                        ;  msbs: dst=0 src0=1 src1=0 src2=0
	v_fmac_f32_e32 v71, v35 /*v291*/, v178
	s_set_vgpr_msb 0                        ;  msbs: dst=0 src0=0 src1=0 src2=0
	v_add_f32_e32 v7, v7, v67
	s_set_vgpr_msb 1                        ;  msbs: dst=0 src0=1 src1=0 src2=0
	v_dual_fmac_f32 v73, v37 /*v293*/, v180 :: v_dual_mul_f32 v77, v40 /*v296*/, v185
	v_mul_f32_e32 v79, v42 /*v298*/, v187
	s_set_vgpr_msb 0                        ;  msbs: dst=0 src0=0 src1=0 src2=0
	v_dual_add_f32 v9, v9, v19 :: v_dual_add_f32 v7, v7, v69
	s_set_vgpr_msb 1                        ;  msbs: dst=0 src0=1 src1=0 src2=0
	v_dual_mul_f32 v13, v33 /*v289*/, v177 :: v_dual_mul_f32 v15, v35 /*v291*/, v179
	v_fma_f32 v11, v30 /*v286*/, v174, -v11
	s_set_vgpr_msb 0                        ;  msbs: dst=0 src0=0 src1=0 src2=0
	v_dual_add_f32 v9, v9, v21 :: v_dual_add_f32 v7, v7, v71
	s_wait_loadcnt 0x4
	v_mov_b32_e32 v116, v197
	s_set_vgpr_msb 1                        ;  msbs: dst=0 src0=1 src1=0 src2=0
	v_dual_mul_f32 v21, v41 /*v297*/, v185 :: v_dual_fmac_f32 v75, v39 /*v295*/, v182
	v_fmac_f32_e32 v77, v41 /*v297*/, v184
	s_set_vgpr_msb 0                        ;  msbs: dst=0 src0=0 src1=0 src2=0
	v_dual_add_f32 v9, v9, v23 :: v_dual_add_f32 v7, v7, v73
	s_set_vgpr_msb 1                        ;  msbs: dst=0 src0=1 src1=0 src2=0
	v_dual_mul_f32 v23, v43 /*v299*/, v187 :: v_dual_fma_f32 v13, v32 /*v288*/, v176, -v13
	v_dual_mul_f32 v17, v37 /*v293*/, v181 :: v_dual_mul_f32 v19, v39 /*v295*/, v183
	s_set_vgpr_msb 0                        ;  msbs: dst=0 src0=0 src1=0 src2=0
	v_add_f32_e32 v7, v7, v75
	v_add_f32_e32 v9, v9, v11
	s_set_vgpr_msb 1                        ;  msbs: dst=0 src0=1 src1=0 src2=0
	v_dual_mul_f32 v11, v45 /*v301*/, v189 :: v_dual_fma_f32 v15, v34 /*v290*/, v178, -v15
	v_dual_fmac_f32 v79, v43 /*v299*/, v186 :: v_dual_fmac_f32 v81, v45 /*v301*/, v188
	s_set_vgpr_msb 0                        ;  msbs: dst=0 src0=0 src1=0 src2=0
	v_add_f32_e32 v7, v7, v77
	v_add_f32_e32 v9, v9, v13
	s_wait_dscnt 0x0
	s_set_vgpr_msb 1                        ;  msbs: dst=0 src0=1 src1=0 src2=0
	v_dual_mul_f32 v13, v47 /*v303*/, v191 :: v_dual_fma_f32 v17, v36 /*v292*/, v180, -v17
	s_wait_loadcnt 0x3
	s_set_vgpr_msb 0                        ;  msbs: dst=0 src0=0 src1=0 src2=0
	v_dual_mov_b32 v120, v201 :: v_dual_add_f32 v7, v7, v79
	v_add_f32_e32 v9, v9, v15
	s_set_vgpr_msb 1                        ;  msbs: dst=0 src0=1 src1=0 src2=0
	v_dual_mul_f32 v15, v49 /*v305*/, v193 :: v_dual_fma_f32 v19, v38 /*v294*/, v182, -v19
	s_set_vgpr_msb 0x41                     ;  msbs: dst=1 src0=1 src1=0 src2=0
	v_dual_mul_f32 v61 /*v317*/, v46 /*v302*/, v191 :: v_dual_mul_f32 v63 /*v319*/, v48 /*v304*/, v193
	s_set_vgpr_msb 0                        ;  msbs: dst=0 src0=0 src1=0 src2=0
	v_add_f32_e32 v123, v7, v81
	v_add_f32_e32 v9, v9, v17
	s_set_vgpr_msb 1                        ;  msbs: dst=0 src0=1 src1=0 src2=0
	v_fma_f32 v17, v40 /*v296*/, v184, -v21
	v_fma_f32 v11, v44 /*v300*/, v188, -v11
	s_set_vgpr_msb 0                        ;  msbs: dst=0 src0=0 src1=0 src2=0
	v_pk_mul_f32 v[114:115], v[226:227], v[194:195] op_sel:[1,1] op_sel_hi:[0,1]
	s_set_vgpr_msb 0x41                     ;  msbs: dst=1 src0=1 src1=0 src2=0
	v_dual_fmac_f32 v61 /*v317*/, v47 /*v303*/, v190 :: v_dual_fmac_f32 v63 /*v319*/, v49 /*v305*/, v192
	s_set_vgpr_msb 0                        ;  msbs: dst=0 src0=0 src1=0 src2=0
	v_add_f32_e32 v9, v9, v19
	s_set_vgpr_msb 1                        ;  msbs: dst=0 src0=1 src1=0 src2=0
	v_fma_f32 v19, v42 /*v298*/, v186, -v23
	s_set_vgpr_msb 0x41                     ;  msbs: dst=1 src0=1 src1=0 src2=0
	v_dual_fma_f32 v60 /*v316*/, v46 /*v302*/, v190, -v13 :: v_dual_fma_f32 v62 /*v318*/, v48 /*v304*/, v192, -v15
	s_set_vgpr_msb 0                        ;  msbs: dst=0 src0=0 src1=0 src2=0
	v_pk_fma_f32 v[124:125], v[226:227], v[194:195], v[114:115] op_sel_hi:[1,0,1]
	v_add_f32_e32 v9, v9, v17
	s_set_vgpr_msb 1                        ;  msbs: dst=0 src0=1 src1=0 src2=0
	v_pk_mul_f32 v[116:117], v[52:53] /*v[308:309]*/, v[116:117] op_sel_hi:[1,0]
	s_set_vgpr_msb 0                        ;  msbs: dst=0 src0=0 src1=0 src2=0
	v_pk_fma_f32 v[114:115], v[226:227], v[194:195], v[114:115] neg_lo:[0,0,1] neg_hi:[0,0,1]
	v_pk_mul_f32 v[118:119], v[230:231], v[198:199] op_sel:[1,1] op_sel_hi:[0,1]
	v_mov_b32_e32 v115, v125
	v_add_f32_e32 v9, v9, v19
	v_pk_fma_f32 v[124:125], v[228:229], v[196:197], v[116:117] op_sel_hi:[1,0,1]
	v_pk_fma_f32 v[116:117], v[228:229], v[196:197], v[116:117] neg_lo:[0,0,1] neg_hi:[0,0,1]
	v_pk_fma_f32 v[128:129], v[230:231], v[198:199], v[118:119] op_sel_hi:[1,0,1]
	s_set_vgpr_msb 1                        ;  msbs: dst=0 src0=1 src1=0 src2=0
	v_pk_mul_f32 v[120:121], v[54:55] /*v[310:311]*/, v[120:121] op_sel_hi:[1,0]
	s_set_vgpr_msb 0                        ;  msbs: dst=0 src0=0 src1=0 src2=0
	v_add_f32_e32 v122, v9, v11
	v_mov_b32_e32 v117, v125
	s_wait_loadcnt 0x2
	v_pk_mul_f32 v[126:127], v[242:243], v[202:203] op_sel:[1,1] op_sel_hi:[0,1]
	v_pk_fma_f32 v[118:119], v[230:231], v[198:199], v[118:119] neg_lo:[0,0,1] neg_hi:[0,0,1]
	v_mov_b32_e32 v119, v129
	s_set_vgpr_msb 4                        ;  msbs: dst=0 src0=0 src1=1 src2=0
	v_pk_add_f32 v[122:123], v[122:123], v[60:61] /*v[316:317]*/
	s_set_vgpr_msb 0                        ;  msbs: dst=0 src0=0 src1=0 src2=0
	v_pk_fma_f32 v[124:125], v[232:233], v[200:201], v[120:121] op_sel_hi:[1,0,1]
	v_pk_fma_f32 v[120:121], v[232:233], v[200:201], v[120:121] neg_lo:[0,0,1] neg_hi:[0,0,1]
	s_set_vgpr_msb 4                        ;  msbs: dst=0 src0=0 src1=1 src2=0
	v_pk_add_f32 v[122:123], v[122:123], v[62:63] /*v[318:319]*/
	s_set_vgpr_msb 0                        ;  msbs: dst=0 src0=0 src1=0 src2=0
	s_delay_alu instid0(VALU_DEP_1) | instskip(SKIP_1) | instid1(VALU_DEP_2)
	v_pk_add_f32 v[114:115], v[122:123], v[114:115]
	v_mov_b32_e32 v122, v205
	v_pk_add_f32 v[114:115], v[114:115], v[116:117]
	v_pk_fma_f32 v[116:117], v[242:243], v[202:203], v[126:127] op_sel_hi:[1,0,1]
	s_set_vgpr_msb 1                        ;  msbs: dst=0 src0=1 src1=0 src2=0
	s_delay_alu instid0(VALU_DEP_3)
	v_pk_mul_f32 v[122:123], v[56:57] /*v[312:313]*/, v[122:123] op_sel_hi:[1,0]
	s_set_vgpr_msb 0                        ;  msbs: dst=0 src0=0 src1=0 src2=0
	v_mov_b32_e32 v121, v125
	v_pk_fma_f32 v[124:125], v[242:243], v[202:203], v[126:127] neg_lo:[0,0,1] neg_hi:[0,0,1]
	v_pk_add_f32 v[114:115], v[114:115], v[118:119]
	v_mov_b32_e32 v125, v117
	v_pk_fma_f32 v[116:117], v[244:245], v[204:205], v[122:123] op_sel_hi:[1,0,1]
	s_wait_loadcnt 0x1
	v_pk_mul_f32 v[118:119], v[246:247], v[206:207] op_sel:[1,1] op_sel_hi:[0,1]
	v_mov_b32_e32 v116, v209
	v_pk_add_f32 v[114:115], v[114:115], v[120:121]
	v_pk_fma_f32 v[122:123], v[244:245], v[204:205], v[122:123] neg_lo:[0,0,1] neg_hi:[0,0,1]
	v_mov_b32_e32 v123, v117
	v_pk_fma_f32 v[120:121], v[246:247], v[206:207], v[118:119] op_sel_hi:[1,0,1]
	s_set_vgpr_msb 1                        ;  msbs: dst=0 src0=1 src1=0 src2=0
	v_pk_mul_f32 v[116:117], v[58:59] /*v[314:315]*/, v[116:117] op_sel_hi:[1,0]
	s_set_vgpr_msb 0                        ;  msbs: dst=0 src0=0 src1=0 src2=0
	v_pk_add_f32 v[114:115], v[114:115], v[124:125]
	v_pk_fma_f32 v[118:119], v[246:247], v[206:207], v[118:119] neg_lo:[0,0,1] neg_hi:[0,0,1]
	v_mov_b32_e32 v119, v121
	v_pk_fma_f32 v[120:121], v[248:249], v[208:209], v[116:117] op_sel_hi:[1,0,1]
	s_delay_alu instid0(VALU_DEP_4) | instskip(SKIP_1) | instid1(VALU_DEP_3)
	v_pk_add_f32 v[114:115], v[114:115], v[122:123]
	v_pk_fma_f32 v[116:117], v[248:249], v[208:209], v[116:117] neg_lo:[0,0,1] neg_hi:[0,0,1]
	v_mov_b32_e32 v117, v121
	s_delay_alu instid0(VALU_DEP_3) | instskip(NEXT) | instid1(VALU_DEP_1)
	v_pk_add_f32 v[114:115], v[114:115], v[118:119]
	v_pk_add_f32 v[114:115], v[114:115], v[116:117]
	s_wait_loadcnt 0x0
	s_set_vgpr_msb 1                        ;  msbs: dst=0 src0=1 src1=0 src2=0
	s_delay_alu instid0(VALU_DEP_1)
	v_pk_add_f32 v[114:115], v[50:51] /*v[306:307]*/, v[114:115] neg_lo:[0,1] neg_hi:[0,1]
	scratch_store_b64 off, v[114:115], off offset:56
	s_wait_xcnt 0x0
	v_cmpx_lt_u32_e32 6, v0
	s_set_vgpr_msb 0                        ;  msbs: dst=0 src0=0 src1=0 src2=0
	s_cbranch_execz .LBB55_337
; %bb.336:
	scratch_load_b64 v[114:115], off, off offset:48
	v_mov_b64_e32 v[116:117], 0
	scratch_store_b64 off, v[116:117], off offset:48
	s_wait_loadcnt 0x0
	ds_store_b64 v1, v[114:115]
.LBB55_337:
	s_wait_xcnt 0x0
	s_or_b32 exec_lo, exec_lo, s0
	s_wait_storecnt_dscnt 0x0
	s_barrier_signal -1
	s_barrier_wait -1
	s_clause 0x1a
	scratch_load_b128 v[114:117], off, off offset:56
	scratch_load_b128 v[118:121], off, off offset:72
	;; [unrolled: 1-line block ×24, first 2 shown]
	s_set_vgpr_msb 64                       ;  msbs: dst=1 src0=0 src1=0 src2=0
	scratch_load_b64 v[50:51] /*v[306:307]*/, off, off offset:440
	scratch_load_b64 v[52:53] /*v[308:309]*/, off, off offset:48
	s_set_vgpr_msb 0                        ;  msbs: dst=0 src0=0 src1=0 src2=0
	v_mov_b32_e32 v7, 0
	ds_load_2addr_b64 v[210:213], v7 offset0:63 offset1:64
	ds_load_2addr_b64 v[214:217], v7 offset0:65 offset1:66
	;; [unrolled: 1-line block ×12, first 2 shown]
	s_set_vgpr_msb 64                       ;  msbs: dst=1 src0=0 src1=0 src2=0
	ds_load_2addr_b64 v[2:5] /*v[258:261]*/, v7 offset0:79 offset1:80
	ds_load_2addr_b64 v[6:9] /*v[262:265]*/, v7 offset0:81 offset1:82
	;; [unrolled: 1-line block ×12, first 2 shown]
	ds_load_b64 v[54:55] /*v[310:311]*/, v7 offset:888
	s_wait_dscnt 0x14
	v_dual_mov_b32 v56 /*v312*/, v229 :: v_dual_mov_b32 v57 /*v313*/, v228
	s_wait_dscnt 0x11
	v_dual_mov_b32 v58 /*v314*/, v241 :: v_dual_mov_b32 v59 /*v315*/, v240
	;; [unrolled: 2-line block ×3, first 2 shown]
	s_wait_dscnt 0xd
	s_set_vgpr_msb 0x41                     ;  msbs: dst=1 src0=1 src1=0 src2=0
	v_dual_mov_b32 v62 /*v318*/, v1 /*v257*/ :: v_dual_mov_b32 v63 /*v319*/, v0 /*v256*/
	s_mov_b32 s0, exec_lo
	s_wait_loadcnt 0x19
	s_set_vgpr_msb 0                        ;  msbs: dst=0 src0=0 src1=0 src2=0
	v_dual_mul_f32 v9, v210, v115 :: v_dual_mul_f32 v11, v212, v117
	s_wait_loadcnt 0x18
	v_mul_f32_e32 v13, v214, v119
	v_dual_mul_f32 v87, v211, v115 :: v_dual_mul_f32 v89, v213, v117
	v_mul_f32_e32 v91, v215, v119
	s_wait_loadcnt 0x12
	v_dual_fmac_f32 v9, v211, v114 :: v_dual_mul_f32 v39, v252, v145
	s_delay_alu instid0(VALU_DEP_3) | instskip(SKIP_2) | instid1(VALU_DEP_3)
	v_dual_fma_f32 v87, v210, v114, -v87 :: v_dual_mul_f32 v101, v225, v129
	v_dual_fma_f32 v89, v212, v116, -v89 :: v_dual_fmac_f32 v11, v213, v116
	v_dual_mul_f32 v15, v216, v121 :: v_dual_mul_f32 v17, v218, v123
	v_dual_add_f32 v87, 0, v87 :: v_dual_add_f32 v9, 0, v9
	v_dual_mul_f32 v93, v217, v121 :: v_dual_mul_f32 v95, v219, v123
	v_dual_mul_f32 v103, v231, v131 :: v_dual_fma_f32 v91, v214, v118, -v91
	s_wait_loadcnt_dscnt 0x601
	s_set_vgpr_msb 1                        ;  msbs: dst=0 src0=1 src1=0 src2=0
	v_mul_f32_e32 v85, v46 /*v302*/, v191
	s_set_vgpr_msb 0                        ;  msbs: dst=0 src0=0 src1=0 src2=0
	v_dual_fmac_f32 v13, v215, v118 :: v_dual_add_f32 v9, v9, v11
	v_dual_add_f32 v11, v87, v89 :: v_dual_fmac_f32 v15, v217, v120
	v_dual_mul_f32 v87, v233, v133 :: v_dual_fma_f32 v89, v216, v120, -v93
	s_delay_alu instid0(VALU_DEP_2) | instskip(SKIP_3) | instid1(VALU_DEP_4)
	v_dual_add_f32 v9, v9, v13 :: v_dual_add_f32 v11, v11, v91
	v_dual_mul_f32 v19, v220, v125 :: v_dual_mul_f32 v21, v222, v127
	v_dual_mul_f32 v97, v221, v125 :: v_dual_mul_f32 v99, v223, v127
	v_dual_mul_f32 v13, v235, v135 :: v_dual_fma_f32 v91, v218, v122, -v95
	v_dual_fmac_f32 v17, v219, v122 :: v_dual_add_f32 v9, v9, v15
	s_delay_alu instid0(VALU_DEP_4) | instskip(NEXT) | instid1(VALU_DEP_4)
	v_dual_add_f32 v11, v11, v89 :: v_dual_fmac_f32 v19, v221, v124
	v_dual_mul_f32 v15, v237, v137 :: v_dual_fma_f32 v89, v220, v124, -v97
	s_delay_alu instid0(VALU_DEP_2) | instskip(SKIP_2) | instid1(VALU_DEP_3)
	v_dual_add_f32 v9, v9, v17 :: v_dual_add_f32 v11, v11, v91
	v_dual_mul_f32 v23, v224, v129 :: v_dual_mul_f32 v25, v230, v131
	v_dual_mul_f32 v17, v247, v139 :: v_dual_fma_f32 v91, v222, v126, -v99
	v_dual_fmac_f32 v21, v223, v126 :: v_dual_add_f32 v9, v9, v19
	s_delay_alu instid0(VALU_DEP_3) | instskip(SKIP_1) | instid1(VALU_DEP_2)
	v_dual_add_f32 v11, v11, v89 :: v_dual_fmac_f32 v23, v225, v128
	v_dual_mul_f32 v19, v249, v141 :: v_dual_fma_f32 v89, v224, v128, -v101
	v_dual_add_f32 v9, v9, v21 :: v_dual_add_f32 v11, v11, v91
	v_dual_mul_f32 v27, v232, v133 :: v_dual_mul_f32 v29, v234, v135
	v_dual_mul_f32 v21, v251, v143 :: v_dual_fma_f32 v91, v230, v130, -v103
	s_delay_alu instid0(VALU_DEP_3) | instskip(NEXT) | instid1(VALU_DEP_3)
	v_dual_fmac_f32 v25, v231, v130 :: v_dual_add_f32 v9, v9, v23
	v_dual_add_f32 v11, v11, v89 :: v_dual_fmac_f32 v27, v233, v132
	v_dual_mul_f32 v23, v253, v145 :: v_dual_fma_f32 v87, v232, v132, -v87
	s_delay_alu instid0(VALU_DEP_2) | instskip(SKIP_1) | instid1(VALU_DEP_2)
	v_dual_add_f32 v9, v9, v25 :: v_dual_add_f32 v11, v11, v91
	v_dual_mul_f32 v31, v236, v137 :: v_dual_mul_f32 v33, v246, v139
	v_dual_fmac_f32 v29, v235, v134 :: v_dual_add_f32 v9, v9, v27
	s_delay_alu instid0(VALU_DEP_3) | instskip(NEXT) | instid1(VALU_DEP_3)
	v_dual_fma_f32 v13, v234, v134, -v13 :: v_dual_add_f32 v11, v11, v87
	v_fmac_f32_e32 v31, v237, v136
	s_delay_alu instid0(VALU_DEP_3) | instskip(SKIP_1) | instid1(VALU_DEP_4)
	v_dual_fma_f32 v15, v236, v136, -v15 :: v_dual_add_f32 v9, v9, v29
	v_dual_mul_f32 v35, v248, v141 :: v_dual_mul_f32 v37, v250, v143
	v_add_f32_e32 v11, v11, v13
	s_delay_alu instid0(VALU_DEP_3) | instskip(SKIP_1) | instid1(VALU_DEP_3)
	v_dual_fmac_f32 v33, v247, v138 :: v_dual_add_f32 v9, v9, v31
	v_dual_fma_f32 v17, v246, v138, -v17 :: v_dual_fma_f32 v19, v248, v140, -v19
	v_dual_add_f32 v11, v11, v15 :: v_dual_fmac_f32 v35, v249, v140
	s_delay_alu instid0(VALU_DEP_3)
	v_add_f32_e32 v9, v9, v33
	s_set_vgpr_msb 1                        ;  msbs: dst=0 src0=1 src1=0 src2=0
	v_dual_mul_f32 v41, v2 /*v258*/, v147 :: v_dual_mul_f32 v43, v4 /*v260*/, v149
	s_set_vgpr_msb 0                        ;  msbs: dst=0 src0=0 src1=0 src2=0
	v_add_f32_e32 v11, v11, v17
	v_dual_fmac_f32 v37, v251, v142 :: v_dual_add_f32 v9, v9, v35
	v_fma_f32 v21, v250, v142, -v21
	s_set_vgpr_msb 1                        ;  msbs: dst=0 src0=1 src1=0 src2=0
	v_dual_mul_f32 v25, v3 /*v259*/, v147 :: v_dual_mul_f32 v27, v5 /*v261*/, v149
	s_set_vgpr_msb 0                        ;  msbs: dst=0 src0=0 src1=0 src2=0
	v_dual_add_f32 v11, v11, v19 :: v_dual_fmac_f32 v39, v253, v144
	v_dual_fma_f32 v23, v252, v144, -v23 :: v_dual_add_f32 v9, v9, v37
	s_set_vgpr_msb 1                        ;  msbs: dst=0 src0=1 src1=0 src2=0
	v_fmac_f32_e32 v41, v3 /*v259*/, v146
	s_set_vgpr_msb 0                        ;  msbs: dst=0 src0=0 src1=0 src2=0
	v_add_f32_e32 v11, v11, v21
	s_set_vgpr_msb 1                        ;  msbs: dst=0 src0=1 src1=0 src2=0
	v_dual_mul_f32 v21, v15 /*v271*/, v159 :: v_dual_fma_f32 v25, v2 /*v258*/, v146, -v25
	v_dual_mul_f32 v45, v6 /*v262*/, v151 :: v_dual_mul_f32 v47, v8 /*v264*/, v153
	s_set_vgpr_msb 0                        ;  msbs: dst=0 src0=0 src1=0 src2=0
	v_add_f32_e32 v11, v11, v23
	v_add_f32_e32 v9, v9, v39
	s_set_vgpr_msb 1                        ;  msbs: dst=0 src0=1 src1=0 src2=0
	v_dual_mul_f32 v13, v7 /*v263*/, v151 :: v_dual_mul_f32 v15, v9 /*v265*/, v153
	v_mul_f32_e32 v23, v17 /*v273*/, v161
	v_fmac_f32_e32 v43, v5 /*v261*/, v148
	v_dual_fma_f32 v27, v4 /*v260*/, v148, -v27 :: v_dual_fmac_f32 v45, v7 /*v263*/, v150
	s_set_vgpr_msb 0                        ;  msbs: dst=0 src0=0 src1=0 src2=0
	v_add_f32_e32 v11, v11, v25
	v_add_f32_e32 v9, v9, v41
	s_set_vgpr_msb 1                        ;  msbs: dst=0 src0=1 src1=0 src2=0
	v_dual_mul_f32 v25, v19 /*v275*/, v163 :: v_dual_fma_f32 v13, v6 /*v262*/, v150, -v13
	v_dual_mul_f32 v49, v10 /*v266*/, v155 :: v_dual_mul_f32 v51, v12 /*v268*/, v157
	s_set_vgpr_msb 0                        ;  msbs: dst=0 src0=0 src1=0 src2=0
	v_add_f32_e32 v11, v11, v27
	s_set_vgpr_msb 1                        ;  msbs: dst=0 src0=1 src1=0 src2=0
	v_mul_f32_e32 v27, v21 /*v277*/, v165
	s_set_vgpr_msb 0                        ;  msbs: dst=0 src0=0 src1=0 src2=0
	v_add_f32_e32 v9, v9, v43
	s_set_vgpr_msb 1                        ;  msbs: dst=0 src0=1 src1=0 src2=0
	v_dual_mul_f32 v17, v11 /*v267*/, v155 :: v_dual_mul_f32 v19, v13 /*v269*/, v157
	v_fmac_f32_e32 v47, v9 /*v265*/, v152
	v_dual_fma_f32 v15, v8 /*v264*/, v152, -v15 :: v_dual_fmac_f32 v49, v11 /*v267*/, v154
	s_set_vgpr_msb 0                        ;  msbs: dst=0 src0=0 src1=0 src2=0
	v_add_f32_e32 v11, v11, v13
	v_add_f32_e32 v9, v9, v45
	s_set_vgpr_msb 1                        ;  msbs: dst=0 src0=1 src1=0 src2=0
	v_dual_mul_f32 v13, v23 /*v279*/, v167 :: v_dual_fma_f32 v17, v10 /*v266*/, v154, -v17
	v_dual_mul_f32 v53, v14 /*v270*/, v159 :: v_dual_mul_f32 v55, v16 /*v272*/, v161
	s_set_vgpr_msb 0                        ;  msbs: dst=0 src0=0 src1=0 src2=0
	v_add_f32_e32 v11, v11, v15
	s_set_vgpr_msb 1                        ;  msbs: dst=0 src0=1 src1=0 src2=0
	v_mul_f32_e32 v15, v25 /*v281*/, v169
	s_set_vgpr_msb 0                        ;  msbs: dst=0 src0=0 src1=0 src2=0
	v_add_f32_e32 v9, v9, v47
	s_set_vgpr_msb 1                        ;  msbs: dst=0 src0=1 src1=0 src2=0
	v_fmac_f32_e32 v51, v13 /*v269*/, v156
	v_dual_fma_f32 v19, v12 /*v268*/, v156, -v19 :: v_dual_fmac_f32 v53, v15 /*v271*/, v158
	s_set_vgpr_msb 0                        ;  msbs: dst=0 src0=0 src1=0 src2=0
	v_add_f32_e32 v11, v11, v17
	v_add_f32_e32 v9, v9, v49
	s_set_vgpr_msb 1                        ;  msbs: dst=0 src0=1 src1=0 src2=0
	v_dual_mul_f32 v17, v27 /*v283*/, v171 :: v_dual_fma_f32 v21, v14 /*v270*/, v158, -v21
	v_dual_mul_f32 v57, v18 /*v274*/, v163 :: v_dual_mul_f32 v59, v20 /*v276*/, v165
	s_set_vgpr_msb 0                        ;  msbs: dst=0 src0=0 src1=0 src2=0
	v_add_f32_e32 v11, v11, v19
	s_set_vgpr_msb 1                        ;  msbs: dst=0 src0=1 src1=0 src2=0
	v_mul_f32_e32 v19, v29 /*v285*/, v173
	s_set_vgpr_msb 0                        ;  msbs: dst=0 src0=0 src1=0 src2=0
	v_add_f32_e32 v9, v9, v51
	s_set_vgpr_msb 1                        ;  msbs: dst=0 src0=1 src1=0 src2=0
	;; [unrolled: 15-line block ×7, first 2 shown]
	v_dual_fmac_f32 v75, v37 /*v293*/, v180 :: v_dual_fmac_f32 v77, v39 /*v295*/, v182
	v_dual_fma_f32 v27, v36 /*v292*/, v180, -v27 :: v_dual_fma_f32 v13, v38 /*v294*/, v182, -v13
	s_set_vgpr_msb 0                        ;  msbs: dst=0 src0=0 src1=0 src2=0
	v_add_f32_e32 v11, v11, v25
	v_add_f32_e32 v9, v9, v73
	s_set_vgpr_msb 1                        ;  msbs: dst=0 src0=1 src1=0 src2=0
	v_dual_mul_f32 v81, v42 /*v298*/, v187 :: v_dual_mul_f32 v83, v44 /*v300*/, v189
	v_fmac_f32_e32 v79, v41 /*v297*/, v184
	s_set_vgpr_msb 0                        ;  msbs: dst=0 src0=0 src1=0 src2=0
	v_add_f32_e32 v11, v11, v27
	v_add_f32_e32 v9, v9, v75
	s_set_vgpr_msb 1                        ;  msbs: dst=0 src0=1 src1=0 src2=0
	v_dual_fma_f32 v15, v40 /*v296*/, v184, -v15 :: v_dual_fmac_f32 v81, v43 /*v299*/, v186
	s_wait_loadcnt 0x4
	s_set_vgpr_msb 0                        ;  msbs: dst=0 src0=0 src1=0 src2=0
	v_dual_mov_b32 v118, v201 :: v_dual_add_f32 v11, v11, v13
	v_add_f32_e32 v9, v9, v77
	s_set_vgpr_msb 1                        ;  msbs: dst=0 src0=1 src1=0 src2=0
	v_fma_f32 v13, v42 /*v298*/, v186, -v17
	s_set_vgpr_msb 0                        ;  msbs: dst=0 src0=0 src1=0 src2=0
	v_dual_mul_f32 v25, v227, v195 :: v_dual_mov_b32 v114, v197
	v_add_f32_e32 v11, v11, v15
	v_add_f32_e32 v9, v9, v79
	s_set_vgpr_msb 1                        ;  msbs: dst=0 src0=1 src1=0 src2=0
	v_dual_fmac_f32 v83, v45 /*v301*/, v188 :: v_dual_fmac_f32 v85, v47 /*v303*/, v190
	v_fma_f32 v15, v44 /*v300*/, v188, -v19
	s_set_vgpr_msb 0                        ;  msbs: dst=0 src0=0 src1=0 src2=0
	v_add_f32_e32 v11, v11, v13
	s_set_vgpr_msb 1                        ;  msbs: dst=0 src0=1 src1=0 src2=0
	v_fma_f32 v13, v46 /*v302*/, v190, -v21
	s_set_vgpr_msb 0                        ;  msbs: dst=0 src0=0 src1=0 src2=0
	v_add_f32_e32 v9, v9, v81
	s_set_vgpr_msb 0x41                     ;  msbs: dst=1 src0=1 src1=0 src2=0
	v_dual_mul_f32 v65 /*v321*/, v48 /*v304*/, v193 :: v_dual_fma_f32 v64 /*v320*/, v48 /*v304*/, v192, -v23
	s_set_vgpr_msb 0                        ;  msbs: dst=0 src0=0 src1=0 src2=0
	v_add_f32_e32 v11, v11, v15
	s_set_vgpr_msb 1                        ;  msbs: dst=0 src0=1 src1=0 src2=0
	v_pk_mul_f32 v[114:115], v[56:57] /*v[312:313]*/, v[114:115] op_sel_hi:[1,0]
	s_set_vgpr_msb 0                        ;  msbs: dst=0 src0=0 src1=0 src2=0
	v_add_f32_e32 v9, v9, v83
	s_set_vgpr_msb 64                       ;  msbs: dst=1 src0=0 src1=0 src2=0
	v_dual_mul_f32 v67 /*v323*/, v226, v195 :: v_dual_fma_f32 v66 /*v322*/, v226, v194, -v25
	s_set_vgpr_msb 0x41                     ;  msbs: dst=1 src0=1 src1=0 src2=0
	v_fmac_f32_e32 v65 /*v321*/, v49 /*v305*/, v192
	s_set_vgpr_msb 0                        ;  msbs: dst=0 src0=0 src1=0 src2=0
	v_add_f32_e32 v122, v11, v13
	v_pk_fma_f32 v[126:127], v[228:229], v[196:197], v[114:115] op_sel_hi:[1,0,1]
	v_add_f32_e32 v123, v9, v85
	v_pk_fma_f32 v[114:115], v[228:229], v[196:197], v[114:115] neg_lo:[0,0,1] neg_hi:[0,0,1]
	v_pk_mul_f32 v[116:117], v[238:239], v[198:199] op_sel:[1,1] op_sel_hi:[0,1]
	s_set_vgpr_msb 64                       ;  msbs: dst=1 src0=0 src1=0 src2=0
	v_fmac_f32_e32 v67 /*v323*/, v227, v194
	s_set_vgpr_msb 4                        ;  msbs: dst=0 src0=0 src1=1 src2=0
	v_mov_b32_e32 v115, v127
	v_pk_add_f32 v[122:123], v[122:123], v[64:65] /*v[320:321]*/
	s_set_vgpr_msb 1                        ;  msbs: dst=0 src0=1 src1=0 src2=0
	v_pk_mul_f32 v[118:119], v[58:59] /*v[314:315]*/, v[118:119] op_sel_hi:[1,0]
	s_set_vgpr_msb 0                        ;  msbs: dst=0 src0=0 src1=0 src2=0
	v_pk_fma_f32 v[128:129], v[238:239], v[198:199], v[116:117] op_sel_hi:[1,0,1]
	v_pk_fma_f32 v[116:117], v[238:239], v[198:199], v[116:117] neg_lo:[0,0,1] neg_hi:[0,0,1]
	s_wait_loadcnt 0x3
	v_pk_mul_f32 v[120:121], v[242:243], v[202:203] op_sel:[1,1] op_sel_hi:[0,1]
	s_set_vgpr_msb 4                        ;  msbs: dst=0 src0=0 src1=1 src2=0
	v_pk_add_f32 v[122:123], v[122:123], v[66:67] /*v[322:323]*/
	v_dual_mov_b32 v124, v205 :: v_dual_mov_b32 v117, v129
	s_set_vgpr_msb 0                        ;  msbs: dst=0 src0=0 src1=0 src2=0
	v_pk_fma_f32 v[128:129], v[240:241], v[200:201], v[118:119] op_sel_hi:[1,0,1]
	v_pk_fma_f32 v[118:119], v[240:241], v[200:201], v[118:119] neg_lo:[0,0,1] neg_hi:[0,0,1]
	v_pk_add_f32 v[114:115], v[122:123], v[114:115]
	v_pk_fma_f32 v[122:123], v[242:243], v[202:203], v[120:121] op_sel_hi:[1,0,1]
	s_set_vgpr_msb 1                        ;  msbs: dst=0 src0=1 src1=0 src2=0
	v_pk_mul_f32 v[124:125], v[60:61] /*v[316:317]*/, v[124:125] op_sel_hi:[1,0]
	s_set_vgpr_msb 0                        ;  msbs: dst=0 src0=0 src1=0 src2=0
	v_mov_b32_e32 v119, v129
	v_pk_fma_f32 v[120:121], v[242:243], v[202:203], v[120:121] neg_lo:[0,0,1] neg_hi:[0,0,1]
	v_pk_add_f32 v[114:115], v[114:115], v[116:117]
	s_wait_loadcnt 0x2
	v_pk_mul_f32 v[126:127], v[254:255], v[206:207] op_sel:[1,1] op_sel_hi:[0,1]
	v_dual_mov_b32 v116, v209 :: v_dual_mov_b32 v121, v123
	v_pk_fma_f32 v[122:123], v[244:245], v[204:205], v[124:125] op_sel_hi:[1,0,1]
	v_pk_add_f32 v[114:115], v[114:115], v[118:119]
	v_pk_fma_f32 v[124:125], v[244:245], v[204:205], v[124:125] neg_lo:[0,0,1] neg_hi:[0,0,1]
	v_pk_fma_f32 v[118:119], v[254:255], v[206:207], v[126:127] op_sel_hi:[1,0,1]
	s_set_vgpr_msb 1                        ;  msbs: dst=0 src0=1 src1=0 src2=0
	v_pk_mul_f32 v[116:117], v[62:63] /*v[318:319]*/, v[116:117] op_sel_hi:[1,0]
	s_set_vgpr_msb 0                        ;  msbs: dst=0 src0=0 src1=0 src2=0
	v_mov_b32_e32 v125, v123
	v_pk_add_f32 v[114:115], v[114:115], v[120:121]
	v_pk_fma_f32 v[120:121], v[254:255], v[206:207], v[126:127] neg_lo:[0,0,1] neg_hi:[0,0,1]
	v_mov_b32_e32 v121, v119
	s_set_vgpr_msb 1                        ;  msbs: dst=0 src0=1 src1=0 src2=0
	v_pk_fma_f32 v[118:119], v[0:1] /*v[256:257]*/, v[208:209], v[116:117] op_sel_hi:[1,0,1]
	s_wait_loadcnt_dscnt 0x100
	s_set_vgpr_msb 5                        ;  msbs: dst=0 src0=1 src1=1 src2=0
	v_pk_mul_f32 v[122:123], v[54:55] /*v[310:311]*/, v[50:51] /*v[306:307]*/ op_sel:[1,1] op_sel_hi:[0,1]
	s_set_vgpr_msb 0                        ;  msbs: dst=0 src0=0 src1=0 src2=0
	v_pk_add_f32 v[114:115], v[114:115], v[124:125]
	s_set_vgpr_msb 1                        ;  msbs: dst=0 src0=1 src1=0 src2=0
	v_pk_fma_f32 v[116:117], v[0:1] /*v[256:257]*/, v[208:209], v[116:117] neg_lo:[0,0,1] neg_hi:[0,0,1]
	s_set_vgpr_msb 0                        ;  msbs: dst=0 src0=0 src1=0 src2=0
	v_mov_b32_e32 v117, v119
	s_set_vgpr_msb 5                        ;  msbs: dst=0 src0=1 src1=1 src2=0
	v_pk_fma_f32 v[118:119], v[54:55] /*v[310:311]*/, v[50:51] /*v[306:307]*/, v[122:123] op_sel_hi:[1,0,1]
	s_set_vgpr_msb 0                        ;  msbs: dst=0 src0=0 src1=0 src2=0
	v_pk_add_f32 v[114:115], v[114:115], v[120:121]
	s_set_vgpr_msb 5                        ;  msbs: dst=0 src0=1 src1=1 src2=0
	v_pk_fma_f32 v[120:121], v[54:55] /*v[310:311]*/, v[50:51] /*v[306:307]*/, v[122:123] neg_lo:[0,0,1] neg_hi:[0,0,1]
	s_set_vgpr_msb 0                        ;  msbs: dst=0 src0=0 src1=0 src2=0
	v_mov_b32_e32 v121, v119
	v_pk_add_f32 v[114:115], v[114:115], v[116:117]
	s_delay_alu instid0(VALU_DEP_1) | instskip(SKIP_2) | instid1(VALU_DEP_1)
	v_pk_add_f32 v[114:115], v[114:115], v[120:121]
	s_wait_loadcnt 0x0
	s_set_vgpr_msb 1                        ;  msbs: dst=0 src0=1 src1=0 src2=0
	v_pk_add_f32 v[114:115], v[52:53] /*v[308:309]*/, v[114:115] neg_lo:[0,1] neg_hi:[0,1]
	scratch_store_b64 off, v[114:115], off offset:48
	s_wait_xcnt 0x0
	v_cmpx_lt_u32_e32 5, v0
	s_set_vgpr_msb 0                        ;  msbs: dst=0 src0=0 src1=0 src2=0
	s_cbranch_execz .LBB55_339
; %bb.338:
	scratch_load_b64 v[114:115], off, off offset:40
	v_mov_b64_e32 v[116:117], 0
	scratch_store_b64 off, v[116:117], off offset:40
	s_wait_loadcnt 0x0
	ds_store_b64 v1, v[114:115]
.LBB55_339:
	s_wait_xcnt 0x0
	s_or_b32 exec_lo, exec_lo, s0
	s_wait_storecnt_dscnt 0x0
	s_barrier_signal -1
	s_barrier_wait -1
	s_clause 0x18
	scratch_load_b128 v[114:117], off, off offset:48
	scratch_load_b128 v[118:121], off, off offset:64
	;; [unrolled: 1-line block ×25, first 2 shown]
	ds_load_b128 v[214:217], v7 offset:496
	ds_load_b128 v[218:221], v7 offset:512
	;; [unrolled: 1-line block ×11, first 2 shown]
	s_set_vgpr_msb 64                       ;  msbs: dst=1 src0=0 src1=0 src2=0
	ds_load_b128 v[2:5] /*v[258:261]*/, v7 offset:608
	ds_load_b128 v[6:9] /*v[262:265]*/, v7 offset:880
	;; [unrolled: 1-line block ×8, first 2 shown]
	scratch_load_b64 v[58:59] /*v[314:315]*/, off, off offset:40
	ds_load_b128 v[34:37] /*v[290:293]*/, v7 offset:720
	ds_load_b128 v[38:41] /*v[294:297]*/, v7 offset:736
	;; [unrolled: 1-line block ×6, first 2 shown]
	s_mov_b32 s0, exec_lo
	s_wait_dscnt 0x13
	v_dual_mov_b32 v60 /*v316*/, v237 :: v_dual_mov_b32 v61 /*v317*/, v236
	s_wait_dscnt 0x10
	v_dual_mov_b32 v62 /*v318*/, v249 :: v_dual_mov_b32 v63 /*v319*/, v248
	s_wait_dscnt 0xf
	v_dual_mov_b32 v64 /*v320*/, v253 :: v_dual_mov_b32 v65 /*v321*/, v252
	s_wait_dscnt 0xc
	s_set_vgpr_msb 0x41                     ;  msbs: dst=1 src0=1 src1=0 src2=0
	v_dual_mov_b32 v66 /*v322*/, v9 /*v265*/ :: v_dual_mov_b32 v67 /*v323*/, v8 /*v264*/
	s_wait_loadcnt 0x19
	s_set_vgpr_msb 0                        ;  msbs: dst=0 src0=0 src1=0 src2=0
	v_dual_mul_f32 v7, v214, v115 :: v_dual_mul_f32 v9, v216, v117
	s_wait_loadcnt 0x18
	v_dual_mul_f32 v87, v215, v115 :: v_dual_mul_f32 v93, v221, v121
	v_dual_mul_f32 v11, v218, v119 :: v_dual_mul_f32 v13, v220, v121
	s_delay_alu instid0(VALU_DEP_3) | instskip(SKIP_4) | instid1(VALU_DEP_3)
	v_dual_fmac_f32 v7, v215, v114 :: v_dual_fmac_f32 v9, v217, v116
	s_wait_loadcnt 0x13
	v_dual_mul_f32 v31, v254, v139 :: v_dual_mul_f32 v89, v217, v117
	v_dual_mul_f32 v91, v219, v119 :: v_dual_mul_f32 v97, v225, v125
	v_dual_mul_f32 v95, v223, v123 :: v_dual_fma_f32 v87, v214, v114, -v87
	v_dual_mul_f32 v99, v227, v127 :: v_dual_fma_f32 v89, v216, v116, -v89
	v_dual_add_f32 v7, 0, v7 :: v_dual_fmac_f32 v11, v219, v118
	v_fmac_f32_e32 v13, v221, v120
	s_wait_loadcnt_dscnt 0x600
	s_set_vgpr_msb 1                        ;  msbs: dst=0 src0=1 src1=0 src2=0
	v_dual_mul_f32 v85, v56 /*v312*/, v193 :: v_dual_add_f32 v87, 0, v87
	s_set_vgpr_msb 0                        ;  msbs: dst=0 src0=0 src1=0 src2=0
	v_dual_mul_f32 v101, v229, v129 :: v_dual_fma_f32 v91, v218, v118, -v91
	v_dual_add_f32 v7, v7, v9 :: v_dual_mul_f32 v15, v222, v123
	v_mul_f32_e32 v17, v224, v125
	v_dual_add_f32 v9, v87, v89 :: v_dual_fma_f32 v89, v220, v120, -v93
	s_delay_alu instid0(VALU_DEP_3) | instskip(NEXT) | instid1(VALU_DEP_4)
	v_add_f32_e32 v7, v7, v11
	v_dual_fmac_f32 v15, v223, v122 :: v_dual_mul_f32 v19, v226, v127
	s_delay_alu instid0(VALU_DEP_3) | instskip(NEXT) | instid1(VALU_DEP_3)
	v_dual_mul_f32 v21, v228, v129 :: v_dual_add_f32 v9, v9, v91
	v_dual_fma_f32 v91, v222, v122, -v95 :: v_dual_add_f32 v7, v7, v13
	v_dual_fmac_f32 v17, v225, v124 :: v_dual_mul_f32 v13, v243, v135
	s_delay_alu instid0(VALU_DEP_3) | instskip(NEXT) | instid1(VALU_DEP_3)
	v_dual_add_f32 v9, v9, v89 :: v_dual_fma_f32 v89, v224, v124, -v97
	v_add_f32_e32 v7, v7, v15
	v_dual_fmac_f32 v19, v227, v126 :: v_dual_mul_f32 v23, v238, v131
	s_delay_alu instid0(VALU_DEP_3) | instskip(NEXT) | instid1(VALU_DEP_3)
	v_dual_mul_f32 v25, v240, v133 :: v_dual_add_f32 v9, v9, v91
	v_dual_add_f32 v7, v7, v17 :: v_dual_fmac_f32 v21, v229, v128
	v_dual_mul_f32 v87, v239, v131 :: v_dual_mul_f32 v11, v241, v133
	v_dual_mul_f32 v15, v245, v137 :: v_dual_fma_f32 v91, v226, v126, -v99
	s_delay_alu instid0(VALU_DEP_4) | instskip(NEXT) | instid1(VALU_DEP_4)
	v_dual_add_f32 v9, v9, v89 :: v_dual_mul_f32 v17, v255, v139
	v_dual_fma_f32 v89, v228, v128, -v101 :: v_dual_add_f32 v7, v7, v19
	s_delay_alu instid0(VALU_DEP_2) | instskip(SKIP_2) | instid1(VALU_DEP_4)
	v_dual_fmac_f32 v23, v239, v130 :: v_dual_add_f32 v9, v9, v91
	v_fma_f32 v87, v238, v130, -v87
	v_dual_mul_f32 v27, v242, v135 :: v_dual_mul_f32 v29, v244, v137
	v_add_f32_e32 v7, v7, v21
	s_delay_alu instid0(VALU_DEP_4) | instskip(NEXT) | instid1(VALU_DEP_3)
	v_dual_add_f32 v9, v9, v89 :: v_dual_fma_f32 v11, v240, v132, -v11
	v_dual_fmac_f32 v25, v241, v132 :: v_dual_fmac_f32 v27, v243, v134
	s_delay_alu instid0(VALU_DEP_3) | instskip(NEXT) | instid1(VALU_DEP_3)
	v_add_f32_e32 v7, v7, v23
	v_dual_add_f32 v9, v9, v87 :: v_dual_fma_f32 v13, v242, v134, -v13
	s_set_vgpr_msb 1                        ;  msbs: dst=0 src0=1 src1=0 src2=0
	v_dual_mul_f32 v33, v0 /*v256*/, v141 :: v_dual_mul_f32 v35, v2 /*v258*/, v143
	s_set_vgpr_msb 0                        ;  msbs: dst=0 src0=0 src1=0 src2=0
	s_delay_alu instid0(VALU_DEP_2)
	v_dual_add_f32 v7, v7, v25 :: v_dual_add_f32 v9, v9, v11
	v_dual_fma_f32 v15, v244, v136, -v15 :: v_dual_fmac_f32 v29, v245, v136
	s_set_vgpr_msb 1                        ;  msbs: dst=0 src0=1 src1=0 src2=0
	v_dual_mul_f32 v19, v1 /*v257*/, v141 :: v_dual_mul_f32 v21, v3 /*v259*/, v143
	s_set_vgpr_msb 0                        ;  msbs: dst=0 src0=0 src1=0 src2=0
	v_dual_add_f32 v7, v7, v27 :: v_dual_add_f32 v9, v9, v13
	v_dual_fmac_f32 v31, v255, v138 :: v_dual_fma_f32 v17, v254, v138, -v17
	s_set_vgpr_msb 1                        ;  msbs: dst=0 src0=1 src1=0 src2=0
	v_dual_fmac_f32 v33, v1 /*v257*/, v140 :: v_dual_fma_f32 v19, v0 /*v256*/, v140, -v19
	s_set_vgpr_msb 0                        ;  msbs: dst=0 src0=0 src1=0 src2=0
	v_add_f32_e32 v7, v7, v29
	s_set_vgpr_msb 1                        ;  msbs: dst=0 src0=1 src1=0 src2=0
	v_dual_mul_f32 v37, v4 /*v260*/, v145 :: v_dual_mul_f32 v39, v10 /*v266*/, v147
	v_dual_mul_f32 v23, v5 /*v261*/, v145 :: v_dual_mul_f32 v11, v11 /*v267*/, v147
	s_set_vgpr_msb 0                        ;  msbs: dst=0 src0=0 src1=0 src2=0
	v_add_f32_e32 v7, v7, v31
	v_add_f32_e32 v9, v9, v15
	s_set_vgpr_msb 1                        ;  msbs: dst=0 src0=1 src1=0 src2=0
	v_dual_fmac_f32 v35, v3 /*v259*/, v142 :: v_dual_fma_f32 v21, v2 /*v258*/, v142, -v21
	v_dual_fmac_f32 v37, v5 /*v261*/, v144 :: v_dual_fma_f32 v23, v4 /*v260*/, v144, -v23
	s_set_vgpr_msb 0                        ;  msbs: dst=0 src0=0 src1=0 src2=0
	v_add_f32_e32 v7, v7, v33
	v_add_f32_e32 v9, v9, v17
	s_set_vgpr_msb 1                        ;  msbs: dst=0 src0=1 src1=0 src2=0
	v_mul_f32_e32 v17, v17 /*v273*/, v153
	v_dual_mul_f32 v41, v12 /*v268*/, v149 :: v_dual_mul_f32 v43, v14 /*v270*/, v151
	s_set_vgpr_msb 0                        ;  msbs: dst=0 src0=0 src1=0 src2=0
	v_add_f32_e32 v7, v7, v35
	v_add_f32_e32 v9, v9, v19
	s_set_vgpr_msb 1                        ;  msbs: dst=0 src0=1 src1=0 src2=0
	v_dual_mul_f32 v13, v13 /*v269*/, v149 :: v_dual_mul_f32 v15, v15 /*v271*/, v151
	v_mul_f32_e32 v19, v19 /*v275*/, v155
	v_fmac_f32_e32 v39, v11 /*v267*/, v146
	s_set_vgpr_msb 0                        ;  msbs: dst=0 src0=0 src1=0 src2=0
	v_add_f32_e32 v7, v7, v37
	v_add_f32_e32 v9, v9, v21
	s_set_vgpr_msb 1                        ;  msbs: dst=0 src0=1 src1=0 src2=0
	v_mul_f32_e32 v21, v21 /*v277*/, v157
	v_dual_fmac_f32 v41, v13 /*v269*/, v148 :: v_dual_fmac_f32 v43, v15 /*v271*/, v150
	v_fma_f32 v13, v12 /*v268*/, v148, -v13
	s_set_vgpr_msb 0                        ;  msbs: dst=0 src0=0 src1=0 src2=0
	v_add_f32_e32 v7, v7, v39
	s_set_vgpr_msb 1                        ;  msbs: dst=0 src0=1 src1=0 src2=0
	v_dual_mul_f32 v45, v16 /*v272*/, v153 :: v_dual_mul_f32 v47, v18 /*v274*/, v155
	s_set_vgpr_msb 0                        ;  msbs: dst=0 src0=0 src1=0 src2=0
	v_add_f32_e32 v9, v9, v23
	s_set_vgpr_msb 1                        ;  msbs: dst=0 src0=1 src1=0 src2=0
	v_dual_fma_f32 v11, v10 /*v266*/, v146, -v11 :: v_dual_mul_f32 v23, v23 /*v279*/, v159
	s_set_vgpr_msb 0                        ;  msbs: dst=0 src0=0 src1=0 src2=0
	v_add_f32_e32 v7, v7, v41
	s_set_vgpr_msb 1                        ;  msbs: dst=0 src0=1 src1=0 src2=0
	v_dual_fmac_f32 v45, v17 /*v273*/, v152 :: v_dual_fmac_f32 v47, v19 /*v275*/, v154
	v_fma_f32 v17, v16 /*v272*/, v152, -v17
	v_dual_mul_f32 v49, v20 /*v276*/, v157 :: v_dual_mul_f32 v51, v22 /*v278*/, v159
	s_set_vgpr_msb 0                        ;  msbs: dst=0 src0=0 src1=0 src2=0
	v_add_f32_e32 v7, v7, v43
	v_add_f32_e32 v9, v9, v11
	s_set_vgpr_msb 1                        ;  msbs: dst=0 src0=1 src1=0 src2=0
	v_dual_mul_f32 v11, v25 /*v281*/, v161 :: v_dual_fma_f32 v15, v14 /*v270*/, v150, -v15
	v_dual_fmac_f32 v49, v21 /*v277*/, v156 :: v_dual_fmac_f32 v51, v23 /*v279*/, v158
	s_set_vgpr_msb 0                        ;  msbs: dst=0 src0=0 src1=0 src2=0
	v_add_f32_e32 v7, v7, v45
	v_add_f32_e32 v9, v9, v13
	s_set_vgpr_msb 1                        ;  msbs: dst=0 src0=1 src1=0 src2=0
	v_fma_f32 v21, v20 /*v276*/, v156, -v21
	v_dual_mul_f32 v53, v24 /*v280*/, v161 :: v_dual_mul_f32 v55, v26 /*v282*/, v163
	s_set_vgpr_msb 0                        ;  msbs: dst=0 src0=0 src1=0 src2=0
	v_add_f32_e32 v7, v7, v47
	s_set_vgpr_msb 1                        ;  msbs: dst=0 src0=1 src1=0 src2=0
	v_mul_f32_e32 v13, v27 /*v283*/, v163
	s_set_vgpr_msb 0                        ;  msbs: dst=0 src0=0 src1=0 src2=0
	v_add_f32_e32 v9, v9, v15
	s_set_vgpr_msb 1                        ;  msbs: dst=0 src0=1 src1=0 src2=0
	v_dual_mul_f32 v15, v29 /*v285*/, v165 :: v_dual_fma_f32 v19, v18 /*v274*/, v154, -v19
	s_set_vgpr_msb 0                        ;  msbs: dst=0 src0=0 src1=0 src2=0
	v_add_f32_e32 v7, v7, v49
	s_set_vgpr_msb 1                        ;  msbs: dst=0 src0=1 src1=0 src2=0
	v_dual_fmac_f32 v53, v25 /*v281*/, v160 :: v_dual_fma_f32 v11, v24 /*v280*/, v160, -v11
	s_set_vgpr_msb 0                        ;  msbs: dst=0 src0=0 src1=0 src2=0
	v_add_f32_e32 v9, v9, v17
	s_set_vgpr_msb 1                        ;  msbs: dst=0 src0=1 src1=0 src2=0
	v_dual_fmac_f32 v55, v27 /*v283*/, v162 :: v_dual_fma_f32 v13, v26 /*v282*/, v162, -v13
	s_set_vgpr_msb 0                        ;  msbs: dst=0 src0=0 src1=0 src2=0
	v_add_f32_e32 v7, v7, v51
	s_set_vgpr_msb 1                        ;  msbs: dst=0 src0=1 src1=0 src2=0
	v_dual_mul_f32 v57, v28 /*v284*/, v165 :: v_dual_mul_f32 v59, v30 /*v286*/, v167
	v_mul_f32_e32 v17, v31 /*v287*/, v167
	s_set_vgpr_msb 0                        ;  msbs: dst=0 src0=0 src1=0 src2=0
	v_dual_add_f32 v9, v9, v19 :: v_dual_add_f32 v7, v7, v53
	s_set_vgpr_msb 1                        ;  msbs: dst=0 src0=1 src1=0 src2=0
	v_dual_mul_f32 v19, v33 /*v289*/, v169 :: v_dual_fma_f32 v23, v22 /*v278*/, v158, -v23
	v_dual_fmac_f32 v57, v29 /*v285*/, v164 :: v_dual_fma_f32 v15, v28 /*v284*/, v164, -v15
	s_set_vgpr_msb 0                        ;  msbs: dst=0 src0=0 src1=0 src2=0
	v_add_f32_e32 v9, v9, v21
	s_set_vgpr_msb 1                        ;  msbs: dst=0 src0=1 src1=0 src2=0
	v_dual_fmac_f32 v59, v31 /*v287*/, v166 :: v_dual_fma_f32 v17, v30 /*v286*/, v166, -v17
	s_set_vgpr_msb 0                        ;  msbs: dst=0 src0=0 src1=0 src2=0
	v_add_f32_e32 v7, v7, v55
	s_set_vgpr_msb 1                        ;  msbs: dst=0 src0=1 src1=0 src2=0
	v_dual_mul_f32 v61, v32 /*v288*/, v169 :: v_dual_mul_f32 v63, v34 /*v290*/, v171
	v_mul_f32_e32 v21, v35 /*v291*/, v171
	s_set_vgpr_msb 0                        ;  msbs: dst=0 src0=0 src1=0 src2=0
	v_dual_add_f32 v9, v9, v23 :: v_dual_add_f32 v7, v7, v57
	s_set_vgpr_msb 1                        ;  msbs: dst=0 src0=1 src1=0 src2=0
	v_dual_fmac_f32 v61, v33 /*v289*/, v168 :: v_dual_fma_f32 v19, v32 /*v288*/, v168, -v19
	v_dual_fmac_f32 v63, v35 /*v291*/, v170 :: v_dual_fma_f32 v21, v34 /*v290*/, v170, -v21
	s_set_vgpr_msb 0                        ;  msbs: dst=0 src0=0 src1=0 src2=0
	v_add_f32_e32 v7, v7, v59
	s_set_vgpr_msb 1                        ;  msbs: dst=0 src0=1 src1=0 src2=0
	v_dual_mul_f32 v65, v36 /*v292*/, v173 :: v_dual_mul_f32 v67, v38 /*v294*/, v175
	s_set_vgpr_msb 0                        ;  msbs: dst=0 src0=0 src1=0 src2=0
	v_add_f32_e32 v9, v9, v11
	s_set_vgpr_msb 1                        ;  msbs: dst=0 src0=1 src1=0 src2=0
	v_dual_mul_f32 v23, v37 /*v293*/, v173 :: v_dual_mul_f32 v11, v39 /*v295*/, v175
	s_set_vgpr_msb 0                        ;  msbs: dst=0 src0=0 src1=0 src2=0
	v_add_f32_e32 v7, v7, v61
	s_set_vgpr_msb 1                        ;  msbs: dst=0 src0=1 src1=0 src2=0
	v_fmac_f32_e32 v65, v37 /*v293*/, v172
	s_set_vgpr_msb 0                        ;  msbs: dst=0 src0=0 src1=0 src2=0
	v_add_f32_e32 v9, v9, v13
	s_set_vgpr_msb 1                        ;  msbs: dst=0 src0=1 src1=0 src2=0
	v_dual_mul_f32 v69, v40 /*v296*/, v177 :: v_dual_mul_f32 v71, v42 /*v298*/, v179
	s_set_vgpr_msb 0                        ;  msbs: dst=0 src0=0 src1=0 src2=0
	v_add_f32_e32 v7, v7, v63
	s_set_vgpr_msb 1                        ;  msbs: dst=0 src0=1 src1=0 src2=0
	v_fma_f32 v23, v36 /*v292*/, v172, -v23
	s_set_vgpr_msb 0                        ;  msbs: dst=0 src0=0 src1=0 src2=0
	v_add_f32_e32 v9, v9, v15
	s_set_vgpr_msb 1                        ;  msbs: dst=0 src0=1 src1=0 src2=0
	v_dual_fmac_f32 v67, v39 /*v295*/, v174 :: v_dual_fmac_f32 v69, v41 /*v297*/, v176
	s_set_vgpr_msb 0                        ;  msbs: dst=0 src0=0 src1=0 src2=0
	v_add_f32_e32 v7, v7, v65
	s_set_vgpr_msb 1                        ;  msbs: dst=0 src0=1 src1=0 src2=0
	v_dual_mul_f32 v73, v44 /*v300*/, v181 :: v_dual_mul_f32 v75, v46 /*v302*/, v183
	s_set_vgpr_msb 0                        ;  msbs: dst=0 src0=0 src1=0 src2=0
	v_add_f32_e32 v9, v9, v17
	s_set_vgpr_msb 1                        ;  msbs: dst=0 src0=1 src1=0 src2=0
	v_fmac_f32_e32 v71, v43 /*v299*/, v178
	s_set_vgpr_msb 0                        ;  msbs: dst=0 src0=0 src1=0 src2=0
	v_add_f32_e32 v7, v7, v67
	s_set_vgpr_msb 1                        ;  msbs: dst=0 src0=1 src1=0 src2=0
	v_dual_fmac_f32 v73, v45 /*v301*/, v180 :: v_dual_mul_f32 v77, v48 /*v304*/, v185
	v_mul_f32_e32 v79, v50 /*v306*/, v187
	s_set_vgpr_msb 0                        ;  msbs: dst=0 src0=0 src1=0 src2=0
	v_dual_add_f32 v9, v9, v19 :: v_dual_add_f32 v7, v7, v69
	s_set_vgpr_msb 1                        ;  msbs: dst=0 src0=1 src1=0 src2=0
	v_dual_mul_f32 v13, v41 /*v297*/, v177 :: v_dual_mul_f32 v15, v43 /*v299*/, v179
	v_fma_f32 v11, v38 /*v294*/, v174, -v11
	s_set_vgpr_msb 0                        ;  msbs: dst=0 src0=0 src1=0 src2=0
	v_dual_add_f32 v9, v9, v21 :: v_dual_add_f32 v7, v7, v71
	s_set_vgpr_msb 1                        ;  msbs: dst=0 src0=1 src1=0 src2=0
	v_dual_mul_f32 v21, v49 /*v305*/, v185 :: v_dual_fmac_f32 v75, v47 /*v303*/, v182
	v_fmac_f32_e32 v77, v49 /*v305*/, v184
	s_set_vgpr_msb 0                        ;  msbs: dst=0 src0=0 src1=0 src2=0
	v_dual_add_f32 v9, v9, v23 :: v_dual_add_f32 v7, v7, v73
	s_set_vgpr_msb 1                        ;  msbs: dst=0 src0=1 src1=0 src2=0
	v_dual_mul_f32 v23, v51 /*v307*/, v187 :: v_dual_fma_f32 v13, v40 /*v296*/, v176, -v13
	s_wait_loadcnt 0x4
	s_set_vgpr_msb 0                        ;  msbs: dst=0 src0=0 src1=0 src2=0
	v_mov_b32_e32 v116, v201
	s_set_vgpr_msb 1                        ;  msbs: dst=0 src0=1 src1=0 src2=0
	v_dual_mul_f32 v81, v52 /*v308*/, v189 :: v_dual_mul_f32 v83, v54 /*v310*/, v191
	s_set_vgpr_msb 0                        ;  msbs: dst=0 src0=0 src1=0 src2=0
	v_add_f32_e32 v7, v7, v75
	v_add_f32_e32 v9, v9, v11
	s_set_vgpr_msb 1                        ;  msbs: dst=0 src0=1 src1=0 src2=0
	v_dual_mul_f32 v17, v45 /*v301*/, v181 :: v_dual_mul_f32 v19, v47 /*v303*/, v183
	v_dual_mul_f32 v11, v53 /*v309*/, v189 :: v_dual_fma_f32 v15, v42 /*v298*/, v178, -v15
	v_dual_fma_f32 v21, v48 /*v304*/, v184, -v21 :: v_dual_fmac_f32 v79, v51 /*v307*/, v186
	s_set_vgpr_msb 0                        ;  msbs: dst=0 src0=0 src1=0 src2=0
	v_add_f32_e32 v7, v7, v77
	v_add_f32_e32 v9, v9, v13
	s_set_vgpr_msb 1                        ;  msbs: dst=0 src0=1 src1=0 src2=0
	v_dual_mul_f32 v13, v55 /*v311*/, v191 :: v_dual_fma_f32 v17, v44 /*v300*/, v180, -v17
	v_dual_fma_f32 v23, v50 /*v306*/, v186, -v23 :: v_dual_fmac_f32 v81, v53 /*v309*/, v188
	s_delay_alu instid0(VALU_DEP_2)
	v_dual_fma_f32 v11, v52 /*v308*/, v188, -v11 :: v_dual_fma_f32 v13, v54 /*v310*/, v190, -v13
	s_set_vgpr_msb 0                        ;  msbs: dst=0 src0=0 src1=0 src2=0
	v_add_f32_e32 v7, v7, v79
	v_add_f32_e32 v9, v9, v15
	s_set_vgpr_msb 1                        ;  msbs: dst=0 src0=1 src1=0 src2=0
	v_dual_mul_f32 v15, v57 /*v313*/, v193 :: v_dual_fma_f32 v19, v46 /*v302*/, v182, -v19
	v_dual_fmac_f32 v83, v55 /*v311*/, v190 :: v_dual_fmac_f32 v85, v57 /*v313*/, v192
	s_set_vgpr_msb 0                        ;  msbs: dst=0 src0=0 src1=0 src2=0
	v_add_f32_e32 v7, v7, v81
	v_add_f32_e32 v9, v9, v17
	s_wait_loadcnt 0x3
	v_mov_b32_e32 v120, v205
	s_set_vgpr_msb 64                       ;  msbs: dst=1 src0=0 src1=0 src2=0
	v_dual_mul_f32 v69 /*v325*/, v230, v195 :: v_dual_mul_f32 v71 /*v327*/, v232, v197
	s_set_vgpr_msb 0                        ;  msbs: dst=0 src0=0 src1=0 src2=0
	v_add_f32_e32 v7, v7, v83
	v_add_f32_e32 v9, v9, v19
	v_mul_f32_e32 v19, v233, v197
	v_pk_mul_f32 v[114:115], v[234:235], v[198:199] op_sel:[1,1] op_sel_hi:[0,1]
	s_set_vgpr_msb 64                       ;  msbs: dst=1 src0=0 src1=0 src2=0
	v_dual_fmac_f32 v69 /*v325*/, v231, v194 :: v_dual_fmac_f32 v71 /*v327*/, v233, v196
	s_set_vgpr_msb 0                        ;  msbs: dst=0 src0=0 src1=0 src2=0
	v_add_f32_e32 v123, v7, v85
	v_dual_mul_f32 v17, v231, v195 :: v_dual_add_f32 v9, v9, v21
	s_set_vgpr_msb 64                       ;  msbs: dst=1 src0=0 src1=0 src2=0
	v_fma_f32 v70 /*v326*/, v232, v196, -v19
	s_set_vgpr_msb 0                        ;  msbs: dst=0 src0=0 src1=0 src2=0
	v_pk_fma_f32 v[124:125], v[234:235], v[198:199], v[114:115] op_sel_hi:[1,0,1]
	s_set_vgpr_msb 1                        ;  msbs: dst=0 src0=1 src1=0 src2=0
	v_pk_mul_f32 v[116:117], v[60:61] /*v[316:317]*/, v[116:117] op_sel_hi:[1,0]
	s_set_vgpr_msb 64                       ;  msbs: dst=1 src0=0 src1=0 src2=0
	v_fma_f32 v68 /*v324*/, v230, v194, -v17
	s_set_vgpr_msb 0                        ;  msbs: dst=0 src0=0 src1=0 src2=0
	v_add_f32_e32 v9, v9, v23
	v_pk_fma_f32 v[114:115], v[234:235], v[198:199], v[114:115] neg_lo:[0,0,1] neg_hi:[0,0,1]
	v_pk_mul_f32 v[118:119], v[246:247], v[202:203] op_sel:[1,1] op_sel_hi:[0,1]
	v_mov_b32_e32 v115, v125
	v_pk_fma_f32 v[124:125], v[236:237], v[200:201], v[116:117] op_sel_hi:[1,0,1]
	v_add_f32_e32 v9, v9, v11
	s_set_vgpr_msb 1                        ;  msbs: dst=0 src0=1 src1=0 src2=0
	v_fma_f32 v11, v56 /*v312*/, v192, -v15
	s_set_vgpr_msb 0                        ;  msbs: dst=0 src0=0 src1=0 src2=0
	v_pk_fma_f32 v[116:117], v[236:237], v[200:201], v[116:117] neg_lo:[0,0,1] neg_hi:[0,0,1]
	v_pk_fma_f32 v[128:129], v[246:247], v[202:203], v[118:119] op_sel_hi:[1,0,1]
	s_set_vgpr_msb 1                        ;  msbs: dst=0 src0=1 src1=0 src2=0
	v_pk_mul_f32 v[120:121], v[62:63] /*v[318:319]*/, v[120:121] op_sel_hi:[1,0]
	s_set_vgpr_msb 0                        ;  msbs: dst=0 src0=0 src1=0 src2=0
	v_add_f32_e32 v9, v9, v13
	v_mov_b32_e32 v117, v125
	s_wait_loadcnt 0x2
	v_pk_mul_f32 v[126:127], v[250:251], v[206:207] op_sel:[1,1] op_sel_hi:[0,1]
	v_pk_fma_f32 v[118:119], v[246:247], v[202:203], v[118:119] neg_lo:[0,0,1] neg_hi:[0,0,1]
	v_mov_b32_e32 v119, v129
	v_add_f32_e32 v122, v9, v11
	v_pk_fma_f32 v[124:125], v[248:249], v[204:205], v[120:121] op_sel_hi:[1,0,1]
	v_pk_fma_f32 v[120:121], v[248:249], v[204:205], v[120:121] neg_lo:[0,0,1] neg_hi:[0,0,1]
	s_set_vgpr_msb 4                        ;  msbs: dst=0 src0=0 src1=1 src2=0
	s_delay_alu instid0(VALU_DEP_3) | instskip(NEXT) | instid1(VALU_DEP_1)
	v_pk_add_f32 v[122:123], v[122:123], v[68:69] /*v[324:325]*/
	v_pk_add_f32 v[122:123], v[122:123], v[70:71] /*v[326:327]*/
	s_set_vgpr_msb 0                        ;  msbs: dst=0 src0=0 src1=0 src2=0
	s_delay_alu instid0(VALU_DEP_1) | instskip(SKIP_1) | instid1(VALU_DEP_2)
	v_pk_add_f32 v[114:115], v[122:123], v[114:115]
	v_mov_b32_e32 v122, v209
	v_pk_add_f32 v[114:115], v[114:115], v[116:117]
	v_pk_fma_f32 v[116:117], v[250:251], v[206:207], v[126:127] op_sel_hi:[1,0,1]
	s_set_vgpr_msb 1                        ;  msbs: dst=0 src0=1 src1=0 src2=0
	s_delay_alu instid0(VALU_DEP_3)
	v_pk_mul_f32 v[122:123], v[64:65] /*v[320:321]*/, v[122:123] op_sel_hi:[1,0]
	s_set_vgpr_msb 0                        ;  msbs: dst=0 src0=0 src1=0 src2=0
	v_mov_b32_e32 v121, v125
	v_pk_fma_f32 v[124:125], v[250:251], v[206:207], v[126:127] neg_lo:[0,0,1] neg_hi:[0,0,1]
	v_pk_add_f32 v[114:115], v[114:115], v[118:119]
	v_mov_b32_e32 v125, v117
	v_pk_fma_f32 v[116:117], v[252:253], v[208:209], v[122:123] op_sel_hi:[1,0,1]
	s_wait_loadcnt 0x1
	s_set_vgpr_msb 1                        ;  msbs: dst=0 src0=1 src1=0 src2=0
	v_pk_mul_f32 v[118:119], v[6:7] /*v[262:263]*/, v[210:211] op_sel:[1,1] op_sel_hi:[0,1]
	s_set_vgpr_msb 0                        ;  msbs: dst=0 src0=0 src1=0 src2=0
	v_mov_b32_e32 v116, v213
	v_pk_add_f32 v[114:115], v[114:115], v[120:121]
	v_pk_fma_f32 v[122:123], v[252:253], v[208:209], v[122:123] neg_lo:[0,0,1] neg_hi:[0,0,1]
	v_mov_b32_e32 v123, v117
	s_set_vgpr_msb 1                        ;  msbs: dst=0 src0=1 src1=0 src2=0
	v_pk_fma_f32 v[120:121], v[6:7] /*v[262:263]*/, v[210:211], v[118:119] op_sel_hi:[1,0,1]
	v_pk_mul_f32 v[116:117], v[66:67] /*v[322:323]*/, v[116:117] op_sel_hi:[1,0]
	s_set_vgpr_msb 0                        ;  msbs: dst=0 src0=0 src1=0 src2=0
	v_pk_add_f32 v[114:115], v[114:115], v[124:125]
	s_set_vgpr_msb 1                        ;  msbs: dst=0 src0=1 src1=0 src2=0
	v_pk_fma_f32 v[118:119], v[6:7] /*v[262:263]*/, v[210:211], v[118:119] neg_lo:[0,0,1] neg_hi:[0,0,1]
	s_set_vgpr_msb 0                        ;  msbs: dst=0 src0=0 src1=0 src2=0
	v_mov_b32_e32 v119, v121
	s_set_vgpr_msb 1                        ;  msbs: dst=0 src0=1 src1=0 src2=0
	v_pk_fma_f32 v[120:121], v[8:9] /*v[264:265]*/, v[212:213], v[116:117] op_sel_hi:[1,0,1]
	s_set_vgpr_msb 0                        ;  msbs: dst=0 src0=0 src1=0 src2=0
	v_pk_add_f32 v[114:115], v[114:115], v[122:123]
	s_set_vgpr_msb 1                        ;  msbs: dst=0 src0=1 src1=0 src2=0
	v_pk_fma_f32 v[116:117], v[8:9] /*v[264:265]*/, v[212:213], v[116:117] neg_lo:[0,0,1] neg_hi:[0,0,1]
	s_set_vgpr_msb 0                        ;  msbs: dst=0 src0=0 src1=0 src2=0
	v_mov_b32_e32 v117, v121
	v_pk_add_f32 v[114:115], v[114:115], v[118:119]
	s_delay_alu instid0(VALU_DEP_1) | instskip(SKIP_2) | instid1(VALU_DEP_1)
	v_pk_add_f32 v[114:115], v[114:115], v[116:117]
	s_wait_loadcnt 0x0
	s_set_vgpr_msb 1                        ;  msbs: dst=0 src0=1 src1=0 src2=0
	v_pk_add_f32 v[114:115], v[58:59] /*v[314:315]*/, v[114:115] neg_lo:[0,1] neg_hi:[0,1]
	scratch_store_b64 off, v[114:115], off offset:40
	s_wait_xcnt 0x0
	v_cmpx_lt_u32_e32 4, v0
	s_set_vgpr_msb 0                        ;  msbs: dst=0 src0=0 src1=0 src2=0
	s_cbranch_execz .LBB55_341
; %bb.340:
	scratch_load_b64 v[114:115], off, off offset:32
	v_mov_b64_e32 v[116:117], 0
	scratch_store_b64 off, v[116:117], off offset:32
	s_wait_loadcnt 0x0
	ds_store_b64 v1, v[114:115]
.LBB55_341:
	s_wait_xcnt 0x0
	s_or_b32 exec_lo, exec_lo, s0
	s_wait_storecnt_dscnt 0x0
	s_barrier_signal -1
	s_barrier_wait -1
	s_clause 0x1b
	scratch_load_b128 v[114:117], off, off offset:40
	scratch_load_b128 v[118:121], off, off offset:56
	;; [unrolled: 1-line block ×25, first 2 shown]
	s_set_vgpr_msb 64                       ;  msbs: dst=1 src0=0 src1=0 src2=0
	scratch_load_b64 v[58:59] /*v[314:315]*/, off, off offset:440
	scratch_load_b64 v[60:61] /*v[316:317]*/, off, off offset:32
	s_set_vgpr_msb 0                        ;  msbs: dst=0 src0=0 src1=0 src2=0
	v_mov_b32_e32 v7, 0
	ds_load_2addr_b64 v[214:217], v7 offset0:61 offset1:62
	ds_load_2addr_b64 v[218:221], v7 offset0:63 offset1:64
	;; [unrolled: 1-line block ×11, first 2 shown]
	s_set_vgpr_msb 64                       ;  msbs: dst=1 src0=0 src1=0 src2=0
	ds_load_2addr_b64 v[2:5] /*v[258:261]*/, v7 offset0:75 offset1:76
	ds_load_2addr_b64 v[6:9] /*v[262:265]*/, v7 offset0:109 offset1:110
	;; [unrolled: 1-line block ×14, first 2 shown]
	ds_load_b64 v[62:63] /*v[318:319]*/, v7 offset:888
	s_wait_dscnt 0x14
	v_dual_mov_b32 v64 /*v320*/, v237 :: v_dual_mov_b32 v65 /*v321*/, v236
	s_wait_dscnt 0x11
	v_dual_mov_b32 v66 /*v322*/, v249 :: v_dual_mov_b32 v67 /*v323*/, v248
	;; [unrolled: 2-line block ×3, first 2 shown]
	s_wait_dscnt 0xd
	s_set_vgpr_msb 0x41                     ;  msbs: dst=1 src0=1 src1=0 src2=0
	v_dual_mov_b32 v70 /*v326*/, v9 /*v265*/ :: v_dual_mov_b32 v71 /*v327*/, v8 /*v264*/
	s_mov_b32 s0, exec_lo
	s_wait_loadcnt 0x1a
	s_set_vgpr_msb 0                        ;  msbs: dst=0 src0=0 src1=0 src2=0
	v_dual_mul_f32 v9, v214, v115 :: v_dual_mul_f32 v91, v215, v115
	s_wait_loadcnt 0x19
	v_mul_f32_e32 v97, v221, v121
	v_dual_mul_f32 v11, v216, v117 :: v_dual_mul_f32 v13, v218, v119
	s_wait_loadcnt 0x18
	v_dual_mul_f32 v99, v223, v123 :: v_dual_fma_f32 v91, v214, v114, -v91
	s_delay_alu instid0(VALU_DEP_2) | instskip(SKIP_3) | instid1(VALU_DEP_2)
	v_dual_fmac_f32 v9, v215, v114 :: v_dual_fmac_f32 v11, v217, v116
	v_dual_mul_f32 v95, v219, v119 :: v_dual_mul_f32 v101, v225, v125
	v_dual_mul_f32 v15, v220, v121 :: v_dual_mul_f32 v17, v222, v123
	s_wait_loadcnt 0x16
	v_dual_mul_f32 v107, v239, v131 :: v_dual_fma_f32 v95, v218, v118, -v95
	v_dual_add_f32 v91, 0, v91 :: v_dual_mul_f32 v93, v217, v117
	v_dual_mul_f32 v19, v224, v125 :: v_dual_mul_f32 v21, v226, v127
	s_wait_loadcnt_dscnt 0x701
	s_set_vgpr_msb 1                        ;  msbs: dst=0 src0=1 src1=0 src2=0
	v_mul_f32_e32 v87, v56 /*v312*/, v193
	s_wait_loadcnt 0x6
	s_set_vgpr_msb 0                        ;  msbs: dst=0 src0=0 src1=0 src2=0
	v_dual_mul_f32 v89, v230, v195 :: v_dual_fma_f32 v93, v216, v116, -v93
	v_dual_add_f32 v9, 0, v9 :: v_dual_fmac_f32 v13, v219, v118
	v_dual_mul_f32 v103, v227, v127 :: v_dual_mul_f32 v105, v229, v129
	v_fmac_f32_e32 v15, v221, v120
	s_delay_alu instid0(VALU_DEP_3) | instskip(SKIP_2) | instid1(VALU_DEP_3)
	v_dual_add_f32 v9, v9, v11 :: v_dual_add_f32 v11, v91, v93
	v_dual_mul_f32 v91, v241, v133 :: v_dual_fma_f32 v93, v220, v120, -v97
	v_dual_mul_f32 v23, v228, v129 :: v_dual_mul_f32 v25, v238, v131
	v_dual_add_f32 v9, v9, v13 :: v_dual_add_f32 v11, v11, v95
	v_dual_mul_f32 v13, v243, v135 :: v_dual_fma_f32 v95, v222, v122, -v99
	s_delay_alu instid0(VALU_DEP_2) | instskip(NEXT) | instid1(VALU_DEP_3)
	v_dual_fmac_f32 v17, v223, v122 :: v_dual_add_f32 v9, v9, v15
	v_dual_add_f32 v11, v11, v93 :: v_dual_fmac_f32 v19, v225, v124
	v_dual_mul_f32 v15, v245, v137 :: v_dual_fma_f32 v93, v224, v124, -v101
	s_delay_alu instid0(VALU_DEP_2) | instskip(SKIP_1) | instid1(VALU_DEP_2)
	v_dual_add_f32 v9, v9, v17 :: v_dual_add_f32 v11, v11, v95
	v_dual_mul_f32 v17, v255, v139 :: v_dual_fma_f32 v95, v226, v126, -v103
	v_dual_fmac_f32 v21, v227, v126 :: v_dual_add_f32 v9, v9, v19
	s_delay_alu instid0(VALU_DEP_3) | instskip(SKIP_2) | instid1(VALU_DEP_3)
	v_dual_add_f32 v11, v11, v93 :: v_dual_fmac_f32 v23, v229, v128
	v_fma_f32 v93, v228, v128, -v105
	v_dual_mul_f32 v27, v240, v133 :: v_dual_mul_f32 v29, v242, v135
	v_dual_add_f32 v9, v9, v21 :: v_dual_add_f32 v11, v11, v95
	v_dual_fma_f32 v95, v238, v130, -v107 :: v_dual_fmac_f32 v25, v239, v130
	s_delay_alu instid0(VALU_DEP_3) | instskip(NEXT) | instid1(VALU_DEP_3)
	v_fmac_f32_e32 v27, v241, v132
	v_dual_add_f32 v9, v9, v23 :: v_dual_add_f32 v11, v11, v93
	v_fma_f32 v91, v240, v132, -v91
	v_dual_mul_f32 v31, v244, v137 :: v_dual_mul_f32 v33, v254, v139
	s_delay_alu instid0(VALU_DEP_3) | instskip(SKIP_1) | instid1(VALU_DEP_3)
	v_dual_add_f32 v9, v9, v25 :: v_dual_add_f32 v11, v11, v95
	v_fma_f32 v13, v242, v134, -v13
	v_dual_fmac_f32 v29, v243, v134 :: v_dual_fmac_f32 v31, v245, v136
	s_delay_alu instid0(VALU_DEP_3) | instskip(NEXT) | instid1(VALU_DEP_4)
	v_add_f32_e32 v9, v9, v27
	v_dual_add_f32 v11, v11, v91 :: v_dual_fma_f32 v15, v244, v136, -v15
	s_set_vgpr_msb 1                        ;  msbs: dst=0 src0=1 src1=0 src2=0
	v_dual_mul_f32 v35, v0 /*v256*/, v141 :: v_dual_mul_f32 v37, v2 /*v258*/, v143
	s_set_vgpr_msb 0                        ;  msbs: dst=0 src0=0 src1=0 src2=0
	v_add_f32_e32 v9, v9, v29
	v_dual_add_f32 v11, v11, v13 :: v_dual_fma_f32 v17, v254, v138, -v17
	s_set_vgpr_msb 1                        ;  msbs: dst=0 src0=1 src1=0 src2=0
	v_dual_mul_f32 v19, v1 /*v257*/, v141 :: v_dual_mul_f32 v21, v3 /*v259*/, v143
	s_set_vgpr_msb 0                        ;  msbs: dst=0 src0=0 src1=0 src2=0
	v_dual_fmac_f32 v33, v255, v138 :: v_dual_add_f32 v9, v9, v31
	v_add_f32_e32 v11, v11, v15
	s_set_vgpr_msb 1                        ;  msbs: dst=0 src0=1 src1=0 src2=0
	v_dual_mul_f32 v15, v17 /*v273*/, v153 :: v_dual_fma_f32 v19, v0 /*v256*/, v140, -v19
	v_fmac_f32_e32 v35, v1 /*v257*/, v140
	s_set_vgpr_msb 0                        ;  msbs: dst=0 src0=0 src1=0 src2=0
	v_add_f32_e32 v9, v9, v33
	v_add_f32_e32 v11, v11, v17
	s_set_vgpr_msb 1                        ;  msbs: dst=0 src0=1 src1=0 src2=0
	v_dual_mul_f32 v39, v4 /*v260*/, v145 :: v_dual_mul_f32 v41, v10 /*v266*/, v147
	v_dual_mul_f32 v23, v5 /*v261*/, v145 :: v_dual_mul_f32 v25, v11 /*v267*/, v147
	v_mul_f32_e32 v17, v19 /*v275*/, v155
	v_fmac_f32_e32 v37, v3 /*v259*/, v142
	s_delay_alu instid0(VALU_DEP_4)
	v_dual_fma_f32 v21, v2 /*v258*/, v142, -v21 :: v_dual_fmac_f32 v39, v5 /*v261*/, v144
	s_set_vgpr_msb 0                        ;  msbs: dst=0 src0=0 src1=0 src2=0
	v_add_f32_e32 v9, v9, v35
	v_add_f32_e32 v11, v11, v19
	s_set_vgpr_msb 1                        ;  msbs: dst=0 src0=1 src1=0 src2=0
	v_dual_mul_f32 v19, v21 /*v277*/, v157 :: v_dual_fma_f32 v23, v4 /*v260*/, v144, -v23
	v_dual_mul_f32 v43, v12 /*v268*/, v149 :: v_dual_mul_f32 v45, v14 /*v270*/, v151
	s_set_vgpr_msb 0                        ;  msbs: dst=0 src0=0 src1=0 src2=0
	v_add_f32_e32 v9, v9, v37
	v_add_f32_e32 v11, v11, v21
	s_set_vgpr_msb 1                        ;  msbs: dst=0 src0=1 src1=0 src2=0
	v_dual_mul_f32 v27, v13 /*v269*/, v149 :: v_dual_mul_f32 v13, v15 /*v271*/, v151
	v_mul_f32_e32 v21, v23 /*v279*/, v159
	v_fmac_f32_e32 v41, v11 /*v267*/, v146
	v_dual_fma_f32 v25, v10 /*v266*/, v146, -v25 :: v_dual_fmac_f32 v43, v13 /*v269*/, v148
	s_set_vgpr_msb 0                        ;  msbs: dst=0 src0=0 src1=0 src2=0
	v_add_f32_e32 v9, v9, v39
	v_add_f32_e32 v11, v11, v23
	s_set_vgpr_msb 1                        ;  msbs: dst=0 src0=1 src1=0 src2=0
	v_dual_mul_f32 v23, v25 /*v281*/, v161 :: v_dual_fma_f32 v27, v12 /*v268*/, v148, -v27
	v_dual_mul_f32 v47, v16 /*v272*/, v153 :: v_dual_mul_f32 v49, v18 /*v274*/, v155
	s_set_vgpr_msb 0                        ;  msbs: dst=0 src0=0 src1=0 src2=0
	v_add_f32_e32 v9, v9, v41
	v_add_f32_e32 v11, v11, v25
	s_set_vgpr_msb 1                        ;  msbs: dst=0 src0=1 src1=0 src2=0
	v_mul_f32_e32 v25, v27 /*v283*/, v163
	v_fmac_f32_e32 v45, v15 /*v271*/, v150
	v_dual_fma_f32 v13, v14 /*v270*/, v150, -v13 :: v_dual_fmac_f32 v47, v17 /*v273*/, v152
	s_set_vgpr_msb 0                        ;  msbs: dst=0 src0=0 src1=0 src2=0
	v_add_f32_e32 v9, v9, v43
	v_add_f32_e32 v11, v11, v27
	s_set_vgpr_msb 1                        ;  msbs: dst=0 src0=1 src1=0 src2=0
	v_dual_mul_f32 v27, v29 /*v285*/, v165 :: v_dual_fma_f32 v15, v16 /*v272*/, v152, -v15
	v_dual_mul_f32 v51, v20 /*v276*/, v157 :: v_dual_mul_f32 v53, v22 /*v278*/, v159
	s_set_vgpr_msb 0                        ;  msbs: dst=0 src0=0 src1=0 src2=0
	v_add_f32_e32 v9, v9, v45
	v_add_f32_e32 v11, v11, v13
	s_set_vgpr_msb 1                        ;  msbs: dst=0 src0=1 src1=0 src2=0
	;; [unrolled: 13-line block ×8, first 2 shown]
	v_mul_f32_e32 v21, v55 /*v311*/, v191
	v_fmac_f32_e32 v73, v43 /*v299*/, v178
	v_dual_fma_f32 v25, v42 /*v298*/, v178, -v25 :: v_dual_fmac_f32 v75, v45 /*v301*/, v180
	s_set_vgpr_msb 0                        ;  msbs: dst=0 src0=0 src1=0 src2=0
	v_add_f32_e32 v9, v9, v71
	v_add_f32_e32 v11, v11, v23
	s_set_vgpr_msb 1                        ;  msbs: dst=0 src0=1 src1=0 src2=0
	v_dual_mul_f32 v23, v57 /*v313*/, v193 :: v_dual_fma_f32 v27, v44 /*v300*/, v180, -v27
	v_fmac_f32_e32 v77, v47 /*v303*/, v182
	s_set_vgpr_msb 0                        ;  msbs: dst=0 src0=0 src1=0 src2=0
	v_add_f32_e32 v9, v9, v73
	v_add_f32_e32 v11, v11, v25
	s_set_vgpr_msb 1                        ;  msbs: dst=0 src0=1 src1=0 src2=0
	v_dual_mul_f32 v79, v48 /*v304*/, v185 :: v_dual_mul_f32 v81, v50 /*v306*/, v187
	v_fma_f32 v13, v46 /*v302*/, v182, -v13
	s_set_vgpr_msb 0                        ;  msbs: dst=0 src0=0 src1=0 src2=0
	v_add_f32_e32 v9, v9, v75
	v_add_f32_e32 v11, v11, v27
	s_set_vgpr_msb 1                        ;  msbs: dst=0 src0=1 src1=0 src2=0
	v_fmac_f32_e32 v79, v49 /*v305*/, v184
	v_dual_fma_f32 v15, v48 /*v304*/, v184, -v15 :: v_dual_fmac_f32 v81, v51 /*v307*/, v186
	s_set_vgpr_msb 0                        ;  msbs: dst=0 src0=0 src1=0 src2=0
	v_add_f32_e32 v9, v9, v77
	v_add_f32_e32 v11, v11, v13
	s_set_vgpr_msb 1                        ;  msbs: dst=0 src0=1 src1=0 src2=0
	v_dual_mul_f32 v83, v52 /*v308*/, v189 :: v_dual_mul_f32 v85, v54 /*v310*/, v191
	v_fma_f32 v17, v50 /*v306*/, v186, -v17
	s_set_vgpr_msb 0                        ;  msbs: dst=0 src0=0 src1=0 src2=0
	v_add_f32_e32 v9, v9, v79
	v_add_f32_e32 v11, v11, v15
	s_set_vgpr_msb 1                        ;  msbs: dst=0 src0=1 src1=0 src2=0
	v_fmac_f32_e32 v83, v53 /*v309*/, v188
	v_dual_fma_f32 v15, v52 /*v308*/, v188, -v19 :: v_dual_fmac_f32 v85, v55 /*v311*/, v190
	s_set_vgpr_msb 0                        ;  msbs: dst=0 src0=0 src1=0 src2=0
	v_add_f32_e32 v9, v9, v81
	v_add_f32_e32 v11, v11, v17
	s_set_vgpr_msb 1                        ;  msbs: dst=0 src0=1 src1=0 src2=0
	v_dual_fma_f32 v17, v54 /*v310*/, v190, -v21 :: v_dual_fmac_f32 v87, v57 /*v313*/, v192
	s_set_vgpr_msb 0                        ;  msbs: dst=0 src0=0 src1=0 src2=0
	v_dual_mul_f32 v25, v231, v195 :: v_dual_mul_f32 v27, v233, v197
	v_add_f32_e32 v9, v9, v83
	s_wait_loadcnt 0x4
	v_dual_add_f32 v11, v11, v15 :: v_dual_mov_b32 v118, v205
	s_set_vgpr_msb 1                        ;  msbs: dst=0 src0=1 src1=0 src2=0
	v_fma_f32 v15, v56 /*v312*/, v192, -v23
	s_set_vgpr_msb 64                       ;  msbs: dst=1 src0=0 src1=0 src2=0
	v_dual_mul_f32 v73 /*v329*/, v232, v197 :: v_dual_mul_f32 v75 /*v331*/, v234, v199
	s_set_vgpr_msb 0                        ;  msbs: dst=0 src0=0 src1=0 src2=0
	v_dual_add_f32 v9, v9, v85 :: v_dual_fmac_f32 v89, v231, v194
	v_dual_add_f32 v11, v11, v17 :: v_dual_fma_f32 v17, v230, v194, -v25
	v_dual_mul_f32 v13, v235, v199 :: v_dual_mov_b32 v114, v201
	s_set_vgpr_msb 64                       ;  msbs: dst=1 src0=0 src1=0 src2=0
	v_dual_fmac_f32 v73 /*v329*/, v233, v196 :: v_dual_fmac_f32 v75 /*v331*/, v235, v198
	s_set_vgpr_msb 0                        ;  msbs: dst=0 src0=0 src1=0 src2=0
	v_add_f32_e32 v11, v11, v15
	v_add_f32_e32 v9, v9, v87
	s_set_vgpr_msb 64                       ;  msbs: dst=1 src0=0 src1=0 src2=0
	v_dual_fma_f32 v72 /*v328*/, v232, v196, -v27 :: v_dual_fma_f32 v74 /*v330*/, v234, v198, -v13
	s_set_vgpr_msb 1                        ;  msbs: dst=0 src0=1 src1=0 src2=0
	v_pk_mul_f32 v[114:115], v[64:65] /*v[320:321]*/, v[114:115] op_sel_hi:[1,0]
	s_set_vgpr_msb 0                        ;  msbs: dst=0 src0=0 src1=0 src2=0
	v_add_f32_e32 v122, v11, v17
	v_add_f32_e32 v123, v9, v89
	v_pk_mul_f32 v[116:117], v[246:247], v[202:203] op_sel:[1,1] op_sel_hi:[0,1]
	s_set_vgpr_msb 1                        ;  msbs: dst=0 src0=1 src1=0 src2=0
	v_pk_mul_f32 v[118:119], v[66:67] /*v[322:323]*/, v[118:119] op_sel_hi:[1,0]
	s_set_vgpr_msb 0                        ;  msbs: dst=0 src0=0 src1=0 src2=0
	v_pk_fma_f32 v[126:127], v[236:237], v[200:201], v[114:115] op_sel_hi:[1,0,1]
	v_pk_fma_f32 v[114:115], v[236:237], v[200:201], v[114:115] neg_lo:[0,0,1] neg_hi:[0,0,1]
	s_set_vgpr_msb 4                        ;  msbs: dst=0 src0=0 src1=1 src2=0
	v_pk_add_f32 v[122:123], v[122:123], v[72:73] /*v[328:329]*/
	s_wait_loadcnt 0x3
	v_mov_b32_e32 v124, v209
	s_set_vgpr_msb 0                        ;  msbs: dst=0 src0=0 src1=0 src2=0
	v_pk_fma_f32 v[128:129], v[246:247], v[202:203], v[116:117] op_sel_hi:[1,0,1]
	v_mov_b32_e32 v115, v127
	v_pk_fma_f32 v[116:117], v[246:247], v[202:203], v[116:117] neg_lo:[0,0,1] neg_hi:[0,0,1]
	s_set_vgpr_msb 4                        ;  msbs: dst=0 src0=0 src1=1 src2=0
	v_pk_add_f32 v[122:123], v[122:123], v[74:75] /*v[330:331]*/
	s_set_vgpr_msb 0                        ;  msbs: dst=0 src0=0 src1=0 src2=0
	v_pk_mul_f32 v[120:121], v[250:251], v[206:207] op_sel:[1,1] op_sel_hi:[0,1]
	v_mov_b32_e32 v117, v129
	v_pk_fma_f32 v[128:129], v[248:249], v[204:205], v[118:119] op_sel_hi:[1,0,1]
	v_pk_fma_f32 v[118:119], v[248:249], v[204:205], v[118:119] neg_lo:[0,0,1] neg_hi:[0,0,1]
	v_pk_add_f32 v[114:115], v[122:123], v[114:115]
	v_pk_fma_f32 v[122:123], v[250:251], v[206:207], v[120:121] op_sel_hi:[1,0,1]
	s_set_vgpr_msb 1                        ;  msbs: dst=0 src0=1 src1=0 src2=0
	v_pk_mul_f32 v[124:125], v[68:69] /*v[324:325]*/, v[124:125] op_sel_hi:[1,0]
	s_set_vgpr_msb 0                        ;  msbs: dst=0 src0=0 src1=0 src2=0
	v_mov_b32_e32 v119, v129
	v_pk_fma_f32 v[120:121], v[250:251], v[206:207], v[120:121] neg_lo:[0,0,1] neg_hi:[0,0,1]
	v_pk_add_f32 v[114:115], v[114:115], v[116:117]
	s_wait_loadcnt 0x2
	s_set_vgpr_msb 1                        ;  msbs: dst=0 src0=1 src1=0 src2=0
	v_pk_mul_f32 v[126:127], v[6:7] /*v[262:263]*/, v[210:211] op_sel:[1,1] op_sel_hi:[0,1]
	s_set_vgpr_msb 0                        ;  msbs: dst=0 src0=0 src1=0 src2=0
	v_dual_mov_b32 v116, v213 :: v_dual_mov_b32 v121, v123
	v_pk_fma_f32 v[122:123], v[252:253], v[208:209], v[124:125] op_sel_hi:[1,0,1]
	v_pk_add_f32 v[114:115], v[114:115], v[118:119]
	v_pk_fma_f32 v[124:125], v[252:253], v[208:209], v[124:125] neg_lo:[0,0,1] neg_hi:[0,0,1]
	s_set_vgpr_msb 1                        ;  msbs: dst=0 src0=1 src1=0 src2=0
	v_pk_fma_f32 v[118:119], v[6:7] /*v[262:263]*/, v[210:211], v[126:127] op_sel_hi:[1,0,1]
	v_pk_mul_f32 v[116:117], v[70:71] /*v[326:327]*/, v[116:117] op_sel_hi:[1,0]
	s_set_vgpr_msb 0                        ;  msbs: dst=0 src0=0 src1=0 src2=0
	v_mov_b32_e32 v125, v123
	v_pk_add_f32 v[114:115], v[114:115], v[120:121]
	s_set_vgpr_msb 1                        ;  msbs: dst=0 src0=1 src1=0 src2=0
	v_pk_fma_f32 v[120:121], v[6:7] /*v[262:263]*/, v[210:211], v[126:127] neg_lo:[0,0,1] neg_hi:[0,0,1]
	s_set_vgpr_msb 0                        ;  msbs: dst=0 src0=0 src1=0 src2=0
	v_mov_b32_e32 v121, v119
	s_set_vgpr_msb 1                        ;  msbs: dst=0 src0=1 src1=0 src2=0
	v_pk_fma_f32 v[118:119], v[8:9] /*v[264:265]*/, v[212:213], v[116:117] op_sel_hi:[1,0,1]
	s_wait_loadcnt_dscnt 0x100
	s_set_vgpr_msb 5                        ;  msbs: dst=0 src0=1 src1=1 src2=0
	v_pk_mul_f32 v[122:123], v[62:63] /*v[318:319]*/, v[58:59] /*v[314:315]*/ op_sel:[1,1] op_sel_hi:[0,1]
	s_set_vgpr_msb 0                        ;  msbs: dst=0 src0=0 src1=0 src2=0
	v_pk_add_f32 v[114:115], v[114:115], v[124:125]
	s_set_vgpr_msb 1                        ;  msbs: dst=0 src0=1 src1=0 src2=0
	v_pk_fma_f32 v[116:117], v[8:9] /*v[264:265]*/, v[212:213], v[116:117] neg_lo:[0,0,1] neg_hi:[0,0,1]
	s_set_vgpr_msb 0                        ;  msbs: dst=0 src0=0 src1=0 src2=0
	v_mov_b32_e32 v117, v119
	s_set_vgpr_msb 5                        ;  msbs: dst=0 src0=1 src1=1 src2=0
	v_pk_fma_f32 v[118:119], v[62:63] /*v[318:319]*/, v[58:59] /*v[314:315]*/, v[122:123] op_sel_hi:[1,0,1]
	s_set_vgpr_msb 0                        ;  msbs: dst=0 src0=0 src1=0 src2=0
	v_pk_add_f32 v[114:115], v[114:115], v[120:121]
	s_set_vgpr_msb 5                        ;  msbs: dst=0 src0=1 src1=1 src2=0
	v_pk_fma_f32 v[120:121], v[62:63] /*v[318:319]*/, v[58:59] /*v[314:315]*/, v[122:123] neg_lo:[0,0,1] neg_hi:[0,0,1]
	s_set_vgpr_msb 0                        ;  msbs: dst=0 src0=0 src1=0 src2=0
	v_mov_b32_e32 v121, v119
	v_pk_add_f32 v[114:115], v[114:115], v[116:117]
	s_delay_alu instid0(VALU_DEP_1) | instskip(SKIP_2) | instid1(VALU_DEP_1)
	v_pk_add_f32 v[114:115], v[114:115], v[120:121]
	s_wait_loadcnt 0x0
	s_set_vgpr_msb 1                        ;  msbs: dst=0 src0=1 src1=0 src2=0
	v_pk_add_f32 v[114:115], v[60:61] /*v[316:317]*/, v[114:115] neg_lo:[0,1] neg_hi:[0,1]
	scratch_store_b64 off, v[114:115], off offset:32
	s_wait_xcnt 0x0
	v_cmpx_lt_u32_e32 3, v0
	s_set_vgpr_msb 0                        ;  msbs: dst=0 src0=0 src1=0 src2=0
	s_cbranch_execz .LBB55_343
; %bb.342:
	scratch_load_b64 v[114:115], off, off offset:24
	v_mov_b64_e32 v[116:117], 0
	scratch_store_b64 off, v[116:117], off offset:24
	s_wait_loadcnt 0x0
	ds_store_b64 v1, v[114:115]
.LBB55_343:
	s_wait_xcnt 0x0
	s_or_b32 exec_lo, exec_lo, s0
	s_wait_storecnt_dscnt 0x0
	s_barrier_signal -1
	s_barrier_wait -1
	s_clause 0x18
	scratch_load_b128 v[114:117], off, off offset:32
	scratch_load_b128 v[118:121], off, off offset:48
	;; [unrolled: 1-line block ×25, first 2 shown]
	ds_load_b128 v[214:217], v7 offset:480
	ds_load_b128 v[218:221], v7 offset:496
	scratch_load_b128 v[222:225], off, off offset:432
	ds_load_b128 v[226:229], v7 offset:512
	ds_load_b128 v[230:233], v7 offset:528
	ds_load_b128 v[234:237], v7 offset:544
	ds_load_b128 v[238:241], v7 offset:560
	ds_load_b128 v[242:245], v7 offset:832
	ds_load_b128 v[246:249], v7 offset:576
	ds_load_b128 v[250:253], v7 offset:592
	ds_load_b128 v[254:257], v7 offset:848
	s_set_vgpr_msb 64                       ;  msbs: dst=1 src0=0 src1=0 src2=0
	ds_load_b128 v[2:5] /*v[258:261]*/, v7 offset:864
	ds_load_b128 v[6:9] /*v[262:265]*/, v7 offset:608
	;; [unrolled: 1-line block ×16, first 2 shown]
	scratch_load_b64 v[66:67] /*v[322:323]*/, off, off offset:24
	s_wait_dscnt 0x13
	v_dual_mov_b32 v68 /*v324*/, v245 :: v_dual_mov_b32 v69 /*v325*/, v244
	s_wait_dscnt 0x10
	s_set_vgpr_msb 0x41                     ;  msbs: dst=1 src0=1 src1=0 src2=0
	v_dual_mov_b32 v70 /*v326*/, v1 /*v257*/ :: v_dual_mov_b32 v71 /*v327*/, v0 /*v256*/
	s_wait_dscnt 0xf
	v_dual_mov_b32 v72 /*v328*/, v5 /*v261*/ :: v_dual_mov_b32 v73 /*v329*/, v4 /*v260*/
	s_wait_dscnt 0xc
	v_dual_mov_b32 v74 /*v330*/, v17 /*v273*/ :: v_dual_mov_b32 v75 /*v331*/, v16 /*v272*/
	s_mov_b32 s0, exec_lo
	s_wait_loadcnt 0x1a
	s_set_vgpr_msb 0                        ;  msbs: dst=0 src0=0 src1=0 src2=0
	v_dual_mul_f32 v7, v214, v115 :: v_dual_mul_f32 v9, v216, v117
	v_dual_mul_f32 v53, v215, v115 :: v_dual_mul_f32 v55, v217, v117
	s_wait_loadcnt 0x19
	v_dual_mul_f32 v11, v218, v119 :: v_dual_mul_f32 v13, v220, v121
	s_delay_alu instid0(VALU_DEP_2) | instskip(SKIP_3) | instid1(VALU_DEP_3)
	v_dual_fmac_f32 v7, v215, v114 :: v_dual_fma_f32 v53, v214, v114, -v53
	v_dual_mul_f32 v69, v219, v119 :: v_dual_mul_f32 v71, v221, v121
	s_wait_loadcnt 0x17
	v_dual_mul_f32 v103, v231, v127 :: v_dual_fmac_f32 v9, v217, v116
	v_dual_fma_f32 v55, v216, v116, -v55 :: v_dual_add_f32 v7, 0, v7
	v_dual_add_f32 v53, 0, v53 :: v_dual_fmac_f32 v11, v219, v118
	v_dual_mul_f32 v105, v233, v129 :: v_dual_fma_f32 v69, v218, v118, -v69
	s_delay_alu instid0(VALU_DEP_2)
	v_dual_add_f32 v7, v7, v9 :: v_dual_add_f32 v9, v53, v55
	v_dual_mul_f32 v15, v226, v123 :: v_dual_mul_f32 v17, v228, v125
	v_dual_mul_f32 v85, v227, v123 :: v_dual_mul_f32 v87, v229, v125
	s_wait_loadcnt 0x16
	v_dual_mul_f32 v53, v235, v131 :: v_dual_fmac_f32 v13, v221, v120
	v_dual_fma_f32 v55, v220, v120, -v71 :: v_dual_add_f32 v7, v7, v11
	v_dual_add_f32 v9, v9, v69 :: v_dual_fmac_f32 v15, v227, v122
	v_dual_mul_f32 v11, v237, v133 :: v_dual_fma_f32 v69, v226, v122, -v85
	s_delay_alu instid0(VALU_DEP_2) | instskip(SKIP_3) | instid1(VALU_DEP_3)
	v_dual_add_f32 v7, v7, v13 :: v_dual_add_f32 v9, v9, v55
	v_dual_mul_f32 v19, v230, v127 :: v_dual_mul_f32 v21, v232, v129
	s_wait_loadcnt 0x15
	v_dual_mul_f32 v13, v239, v135 :: v_dual_fmac_f32 v17, v229, v124
	v_dual_fma_f32 v55, v228, v124, -v87 :: v_dual_add_f32 v7, v7, v15
	s_delay_alu instid0(VALU_DEP_3) | instskip(SKIP_1) | instid1(VALU_DEP_2)
	v_dual_add_f32 v9, v9, v69 :: v_dual_fmac_f32 v19, v231, v126
	v_dual_mul_f32 v15, v241, v137 :: v_dual_fma_f32 v69, v230, v126, -v103
	v_dual_add_f32 v7, v7, v17 :: v_dual_add_f32 v9, v9, v55
	v_dual_mul_f32 v23, v234, v131 :: v_dual_mul_f32 v25, v236, v133
	s_wait_loadcnt 0x14
	v_dual_mul_f32 v17, v247, v139 :: v_dual_fmac_f32 v21, v233, v128
	s_delay_alu instid0(VALU_DEP_3) | instskip(NEXT) | instid1(VALU_DEP_3)
	v_dual_fma_f32 v55, v232, v128, -v105 :: v_dual_add_f32 v7, v7, v19
	v_dual_add_f32 v9, v9, v69 :: v_dual_fmac_f32 v23, v235, v130
	v_dual_mul_f32 v19, v249, v141 :: v_dual_fma_f32 v53, v234, v130, -v53
	s_delay_alu instid0(VALU_DEP_2) | instskip(SKIP_3) | instid1(VALU_DEP_3)
	v_dual_add_f32 v7, v7, v21 :: v_dual_add_f32 v9, v9, v55
	v_dual_mul_f32 v27, v238, v135 :: v_dual_mul_f32 v29, v240, v137
	s_wait_loadcnt 0x13
	v_dual_mul_f32 v21, v251, v143 :: v_dual_fmac_f32 v25, v237, v132
	v_dual_fma_f32 v11, v236, v132, -v11 :: v_dual_add_f32 v7, v7, v23
	s_delay_alu instid0(VALU_DEP_3) | instskip(SKIP_1) | instid1(VALU_DEP_2)
	v_dual_add_f32 v9, v9, v53 :: v_dual_fmac_f32 v27, v239, v134
	v_dual_mul_f32 v23, v253, v145 :: v_dual_fma_f32 v13, v238, v134, -v13
	v_dual_add_f32 v7, v7, v25 :: v_dual_add_f32 v9, v9, v11
	v_dual_mul_f32 v31, v246, v139 :: v_dual_mul_f32 v33, v248, v141
	v_dual_fmac_f32 v29, v241, v136 :: v_dual_fma_f32 v15, v240, v136, -v15
	s_delay_alu instid0(VALU_DEP_3) | instskip(NEXT) | instid1(VALU_DEP_3)
	v_dual_add_f32 v7, v7, v27 :: v_dual_add_f32 v9, v9, v13
	v_dual_fmac_f32 v31, v247, v138 :: v_dual_fma_f32 v17, v246, v138, -v17
	v_dual_mul_f32 v35, v250, v143 :: v_dual_mul_f32 v37, v252, v145
	s_delay_alu instid0(VALU_DEP_3) | instskip(SKIP_1) | instid1(VALU_DEP_3)
	v_dual_add_f32 v7, v7, v29 :: v_dual_add_f32 v9, v9, v15
	v_dual_fmac_f32 v33, v249, v140 :: v_dual_fma_f32 v19, v248, v140, -v19
	v_dual_fmac_f32 v35, v251, v142 :: v_dual_fma_f32 v21, v250, v142, -v21
	s_delay_alu instid0(VALU_DEP_3)
	v_dual_add_f32 v7, v7, v31 :: v_dual_add_f32 v9, v9, v17
	s_wait_loadcnt 0x12
	s_set_vgpr_msb 1                        ;  msbs: dst=0 src0=1 src1=0 src2=0
	v_dual_mul_f32 v11, v7 /*v263*/, v147 :: v_dual_mul_f32 v13, v9 /*v265*/, v149
	s_set_vgpr_msb 0                        ;  msbs: dst=0 src0=0 src1=0 src2=0
	v_dual_fmac_f32 v37, v253, v144 :: v_dual_fma_f32 v23, v252, v144, -v23
	v_dual_add_f32 v7, v7, v33 :: v_dual_add_f32 v9, v9, v19
	s_set_vgpr_msb 1                        ;  msbs: dst=0 src0=1 src1=0 src2=0
	v_dual_mul_f32 v39, v6 /*v262*/, v147 :: v_dual_mul_f32 v41, v8 /*v264*/, v149
	v_fma_f32 v11, v6 /*v262*/, v146, -v11
	s_set_vgpr_msb 0                        ;  msbs: dst=0 src0=0 src1=0 src2=0
	v_dual_add_f32 v7, v7, v35 :: v_dual_add_f32 v9, v9, v21
	s_wait_loadcnt 0x11
	s_set_vgpr_msb 1                        ;  msbs: dst=0 src0=1 src1=0 src2=0
	v_dual_mul_f32 v15, v11 /*v267*/, v151 :: v_dual_mul_f32 v17, v13 /*v269*/, v153
	v_dual_fmac_f32 v39, v7 /*v263*/, v146 :: v_dual_fmac_f32 v41, v9 /*v265*/, v148
	s_set_vgpr_msb 0                        ;  msbs: dst=0 src0=0 src1=0 src2=0
	v_dual_add_f32 v7, v7, v37 :: v_dual_add_f32 v9, v9, v23
	s_wait_loadcnt_dscnt 0xf0a
	s_set_vgpr_msb 1                        ;  msbs: dst=0 src0=1 src1=0 src2=0
	v_dual_mul_f32 v23, v23 /*v279*/, v159 :: v_dual_fma_f32 v13, v8 /*v264*/, v148, -v13
	v_dual_mul_f32 v43, v10 /*v266*/, v151 :: v_dual_mul_f32 v45, v12 /*v268*/, v153
	s_set_vgpr_msb 0                        ;  msbs: dst=0 src0=0 src1=0 src2=0
	v_add_f32_e32 v9, v9, v11
	s_set_vgpr_msb 1                        ;  msbs: dst=0 src0=1 src1=0 src2=0
	v_mul_f32_e32 v11, v25 /*v281*/, v161
	s_set_vgpr_msb 0                        ;  msbs: dst=0 src0=0 src1=0 src2=0
	v_add_f32_e32 v7, v7, v39
	s_set_vgpr_msb 1                        ;  msbs: dst=0 src0=1 src1=0 src2=0
	v_dual_fma_f32 v15, v10 /*v266*/, v150, -v15 :: v_dual_mul_f32 v19, v19 /*v275*/, v155
	v_mul_f32_e32 v21, v21 /*v277*/, v157
	s_set_vgpr_msb 0                        ;  msbs: dst=0 src0=0 src1=0 src2=0
	v_add_f32_e32 v9, v9, v13
	s_set_vgpr_msb 1                        ;  msbs: dst=0 src0=1 src1=0 src2=0
	v_dual_fmac_f32 v43, v11 /*v267*/, v150 :: v_dual_fmac_f32 v45, v13 /*v269*/, v152
	s_set_vgpr_msb 0                        ;  msbs: dst=0 src0=0 src1=0 src2=0
	v_add_f32_e32 v7, v7, v41
	s_wait_loadcnt_dscnt 0xe09
	s_set_vgpr_msb 1                        ;  msbs: dst=0 src0=1 src1=0 src2=0
	v_dual_mul_f32 v13, v27 /*v283*/, v163 :: v_dual_fma_f32 v17, v12 /*v268*/, v152, -v17
	s_set_vgpr_msb 0                        ;  msbs: dst=0 src0=0 src1=0 src2=0
	v_add_f32_e32 v9, v9, v15
	s_set_vgpr_msb 1                        ;  msbs: dst=0 src0=1 src1=0 src2=0
	v_dual_mul_f32 v47, v18 /*v274*/, v155 :: v_dual_mul_f32 v49, v20 /*v276*/, v157
	v_mul_f32_e32 v15, v29 /*v285*/, v165
	s_set_vgpr_msb 0                        ;  msbs: dst=0 src0=0 src1=0 src2=0
	v_dual_add_f32 v7, v7, v43 :: v_dual_add_f32 v9, v9, v17
	s_wait_loadcnt_dscnt 0xd08
	s_set_vgpr_msb 1                        ;  msbs: dst=0 src0=1 src1=0 src2=0
	v_dual_fma_f32 v19, v18 /*v274*/, v154, -v19 :: v_dual_mul_f32 v17, v31 /*v287*/, v167
	v_dual_fmac_f32 v47, v19 /*v275*/, v154 :: v_dual_fmac_f32 v49, v21 /*v277*/, v156
	s_set_vgpr_msb 0                        ;  msbs: dst=0 src0=0 src1=0 src2=0
	v_add_f32_e32 v7, v7, v45
	s_set_vgpr_msb 1                        ;  msbs: dst=0 src0=1 src1=0 src2=0
	v_fma_f32 v21, v20 /*v276*/, v156, -v21
	s_set_vgpr_msb 0                        ;  msbs: dst=0 src0=0 src1=0 src2=0
	v_add_f32_e32 v9, v9, v19
	s_set_vgpr_msb 1                        ;  msbs: dst=0 src0=1 src1=0 src2=0
	v_dual_mul_f32 v51, v22 /*v278*/, v159 :: v_dual_mul_f32 v57, v24 /*v280*/, v161
	v_mul_f32_e32 v19, v33 /*v289*/, v169
	s_set_vgpr_msb 0                        ;  msbs: dst=0 src0=0 src1=0 src2=0
	v_dual_add_f32 v7, v7, v47 :: v_dual_add_f32 v9, v9, v21
	s_wait_loadcnt_dscnt 0xc07
	s_set_vgpr_msb 1                        ;  msbs: dst=0 src0=1 src1=0 src2=0
	v_dual_fma_f32 v23, v22 /*v278*/, v158, -v23 :: v_dual_mul_f32 v21, v35 /*v291*/, v171
	v_dual_mul_f32 v59, v26 /*v282*/, v163 :: v_dual_mul_f32 v61, v28 /*v284*/, v165
	v_dual_mul_f32 v63, v30 /*v286*/, v167 :: v_dual_mul_f32 v65, v32 /*v288*/, v169
	v_dual_fmac_f32 v51, v23 /*v279*/, v158 :: v_dual_fmac_f32 v57, v25 /*v281*/, v160
	v_fma_f32 v11, v24 /*v280*/, v160, -v11
	s_set_vgpr_msb 0                        ;  msbs: dst=0 src0=0 src1=0 src2=0
	v_dual_add_f32 v9, v9, v23 :: v_dual_add_f32 v7, v7, v49
	s_set_vgpr_msb 1                        ;  msbs: dst=0 src0=1 src1=0 src2=0
	v_dual_mul_f32 v23, v37 /*v293*/, v173 :: v_dual_fmac_f32 v59, v27 /*v283*/, v162
	v_fma_f32 v13, v26 /*v282*/, v162, -v13
	v_dual_fmac_f32 v61, v29 /*v285*/, v164 :: v_dual_fmac_f32 v63, v31 /*v287*/, v166
	s_set_vgpr_msb 0                        ;  msbs: dst=0 src0=0 src1=0 src2=0
	v_add_f32_e32 v9, v9, v11
	s_set_vgpr_msb 1                        ;  msbs: dst=0 src0=1 src1=0 src2=0
	v_dual_mul_f32 v67, v34 /*v290*/, v171 :: v_dual_mul_f32 v73, v36 /*v292*/, v173
	s_set_vgpr_msb 0                        ;  msbs: dst=0 src0=0 src1=0 src2=0
	v_add_f32_e32 v7, v7, v51
	s_wait_loadcnt_dscnt 0xb06
	s_set_vgpr_msb 1                        ;  msbs: dst=0 src0=1 src1=0 src2=0
	v_dual_mul_f32 v11, v39 /*v295*/, v175 :: v_dual_fma_f32 v15, v28 /*v284*/, v164, -v15
	s_set_vgpr_msb 0                        ;  msbs: dst=0 src0=0 src1=0 src2=0
	v_add_f32_e32 v9, v9, v13
	s_set_vgpr_msb 1                        ;  msbs: dst=0 src0=1 src1=0 src2=0
	v_dual_mul_f32 v13, v41 /*v297*/, v177 :: v_dual_fma_f32 v17, v30 /*v286*/, v166, -v17
	s_set_vgpr_msb 0                        ;  msbs: dst=0 src0=0 src1=0 src2=0
	v_add_f32_e32 v7, v7, v57
	s_set_vgpr_msb 1                        ;  msbs: dst=0 src0=1 src1=0 src2=0
	v_dual_fmac_f32 v65, v33 /*v289*/, v168 :: v_dual_fmac_f32 v67, v35 /*v291*/, v170
	s_set_vgpr_msb 0                        ;  msbs: dst=0 src0=0 src1=0 src2=0
	v_add_f32_e32 v9, v9, v15
	s_set_vgpr_msb 1                        ;  msbs: dst=0 src0=1 src1=0 src2=0
	v_dual_mul_f32 v75, v38 /*v294*/, v175 :: v_dual_mul_f32 v77, v40 /*v296*/, v177
	s_set_vgpr_msb 0                        ;  msbs: dst=0 src0=0 src1=0 src2=0
	v_add_f32_e32 v7, v7, v59
	s_wait_loadcnt_dscnt 0xa05
	s_set_vgpr_msb 1                        ;  msbs: dst=0 src0=1 src1=0 src2=0
	v_dual_mul_f32 v15, v43 /*v299*/, v179 :: v_dual_fma_f32 v19, v32 /*v288*/, v168, -v19
	s_set_vgpr_msb 0                        ;  msbs: dst=0 src0=0 src1=0 src2=0
	v_add_f32_e32 v9, v9, v17
	s_set_vgpr_msb 1                        ;  msbs: dst=0 src0=1 src1=0 src2=0
	v_dual_mul_f32 v17, v45 /*v301*/, v181 :: v_dual_fma_f32 v21, v34 /*v290*/, v170, -v21
	s_set_vgpr_msb 0                        ;  msbs: dst=0 src0=0 src1=0 src2=0
	v_add_f32_e32 v7, v7, v61
	s_set_vgpr_msb 1                        ;  msbs: dst=0 src0=1 src1=0 src2=0
	v_dual_fmac_f32 v73, v37 /*v293*/, v172 :: v_dual_fmac_f32 v75, v39 /*v295*/, v174
	s_set_vgpr_msb 0                        ;  msbs: dst=0 src0=0 src1=0 src2=0
	v_add_f32_e32 v9, v9, v19
	s_set_vgpr_msb 1                        ;  msbs: dst=0 src0=1 src1=0 src2=0
	v_dual_mul_f32 v79, v42 /*v298*/, v179 :: v_dual_mul_f32 v81, v44 /*v300*/, v181
	s_set_vgpr_msb 0                        ;  msbs: dst=0 src0=0 src1=0 src2=0
	v_add_f32_e32 v7, v7, v63
	s_wait_loadcnt_dscnt 0x904
	s_set_vgpr_msb 1                        ;  msbs: dst=0 src0=1 src1=0 src2=0
	v_dual_mul_f32 v19, v47 /*v303*/, v183 :: v_dual_fma_f32 v23, v36 /*v292*/, v172, -v23
	s_set_vgpr_msb 0                        ;  msbs: dst=0 src0=0 src1=0 src2=0
	v_add_f32_e32 v9, v9, v21
	s_set_vgpr_msb 1                        ;  msbs: dst=0 src0=1 src1=0 src2=0
	v_dual_mul_f32 v83, v46 /*v302*/, v183 :: v_dual_mul_f32 v89, v48 /*v304*/, v185
	v_dual_mul_f32 v21, v49 /*v305*/, v185 :: v_dual_fma_f32 v11, v38 /*v294*/, v174, -v11
	v_dual_fmac_f32 v77, v41 /*v297*/, v176 :: v_dual_fmac_f32 v79, v43 /*v299*/, v178
	s_set_vgpr_msb 0                        ;  msbs: dst=0 src0=0 src1=0 src2=0
	v_dual_add_f32 v9, v9, v23 :: v_dual_add_f32 v7, v7, v65
	s_wait_loadcnt_dscnt 0x803
	s_set_vgpr_msb 1                        ;  msbs: dst=0 src0=1 src1=0 src2=0
	v_dual_mul_f32 v23, v51 /*v307*/, v187 :: v_dual_fma_f32 v13, v40 /*v296*/, v176, -v13
	v_dual_fmac_f32 v81, v45 /*v301*/, v180 :: v_dual_fmac_f32 v83, v47 /*v303*/, v182
	s_set_vgpr_msb 0                        ;  msbs: dst=0 src0=0 src1=0 src2=0
	v_add_f32_e32 v9, v9, v11
	s_set_vgpr_msb 1                        ;  msbs: dst=0 src0=1 src1=0 src2=0
	v_dual_mul_f32 v91, v50 /*v306*/, v187 :: v_dual_mul_f32 v93, v52 /*v308*/, v189
	s_set_vgpr_msb 0                        ;  msbs: dst=0 src0=0 src1=0 src2=0
	v_add_f32_e32 v7, v7, v67
	s_set_vgpr_msb 1                        ;  msbs: dst=0 src0=1 src1=0 src2=0
	v_dual_mul_f32 v11, v53 /*v309*/, v189 :: v_dual_fma_f32 v15, v42 /*v298*/, v178, -v15
	s_set_vgpr_msb 0                        ;  msbs: dst=0 src0=0 src1=0 src2=0
	v_add_f32_e32 v9, v9, v13
	s_wait_loadcnt_dscnt 0x702
	s_set_vgpr_msb 1                        ;  msbs: dst=0 src0=1 src1=0 src2=0
	v_dual_mul_f32 v13, v55 /*v311*/, v191 :: v_dual_fma_f32 v17, v44 /*v300*/, v180, -v17
	s_set_vgpr_msb 0                        ;  msbs: dst=0 src0=0 src1=0 src2=0
	v_add_f32_e32 v7, v7, v73
	s_set_vgpr_msb 1                        ;  msbs: dst=0 src0=1 src1=0 src2=0
	v_dual_fmac_f32 v89, v49 /*v305*/, v184 :: v_dual_fmac_f32 v91, v51 /*v307*/, v186
	s_set_vgpr_msb 0                        ;  msbs: dst=0 src0=0 src1=0 src2=0
	v_add_f32_e32 v9, v9, v15
	s_set_vgpr_msb 1                        ;  msbs: dst=0 src0=1 src1=0 src2=0
	v_dual_mul_f32 v95, v54 /*v310*/, v191 :: v_dual_mul_f32 v97, v56 /*v312*/, v193
	s_set_vgpr_msb 0                        ;  msbs: dst=0 src0=0 src1=0 src2=0
	v_add_f32_e32 v7, v7, v75
	s_set_vgpr_msb 1                        ;  msbs: dst=0 src0=1 src1=0 src2=0
	v_dual_mul_f32 v15, v57 /*v313*/, v193 :: v_dual_fma_f32 v19, v46 /*v302*/, v182, -v19
	s_set_vgpr_msb 0                        ;  msbs: dst=0 src0=0 src1=0 src2=0
	v_add_f32_e32 v9, v9, v17
	s_wait_loadcnt_dscnt 0x601
	s_set_vgpr_msb 1                        ;  msbs: dst=0 src0=1 src1=0 src2=0
	v_dual_mul_f32 v17, v59 /*v315*/, v195 :: v_dual_fma_f32 v21, v48 /*v304*/, v184, -v21
	s_set_vgpr_msb 0                        ;  msbs: dst=0 src0=0 src1=0 src2=0
	v_add_f32_e32 v7, v7, v77
	s_set_vgpr_msb 1                        ;  msbs: dst=0 src0=1 src1=0 src2=0
	v_dual_fmac_f32 v93, v53 /*v309*/, v188 :: v_dual_fmac_f32 v95, v55 /*v311*/, v190
	s_set_vgpr_msb 0                        ;  msbs: dst=0 src0=0 src1=0 src2=0
	v_add_f32_e32 v9, v9, v19
	s_set_vgpr_msb 1                        ;  msbs: dst=0 src0=1 src1=0 src2=0
	v_dual_mul_f32 v19, v61 /*v317*/, v197 :: v_dual_fma_f32 v23, v50 /*v306*/, v186, -v23
	s_set_vgpr_msb 0                        ;  msbs: dst=0 src0=0 src1=0 src2=0
	v_add_f32_e32 v7, v7, v79
	s_set_vgpr_msb 1                        ;  msbs: dst=0 src0=1 src1=0 src2=0
	v_dual_mul_f32 v99, v58 /*v314*/, v195 :: v_dual_mul_f32 v101, v60 /*v316*/, v197
	s_set_vgpr_msb 0                        ;  msbs: dst=0 src0=0 src1=0 src2=0
	v_add_f32_e32 v9, v9, v21
	s_wait_loadcnt_dscnt 0x500
	s_set_vgpr_msb 1                        ;  msbs: dst=0 src0=1 src1=0 src2=0
	v_dual_mul_f32 v21, v63 /*v319*/, v199 :: v_dual_fma_f32 v11, v52 /*v308*/, v188, -v11
	s_set_vgpr_msb 0                        ;  msbs: dst=0 src0=0 src1=0 src2=0
	v_add_f32_e32 v7, v7, v81
	s_set_vgpr_msb 1                        ;  msbs: dst=0 src0=1 src1=0 src2=0
	v_fmac_f32_e32 v97, v57 /*v313*/, v192
	s_set_vgpr_msb 0                        ;  msbs: dst=0 src0=0 src1=0 src2=0
	v_add_f32_e32 v9, v9, v23
	s_set_vgpr_msb 1                        ;  msbs: dst=0 src0=1 src1=0 src2=0
	v_dual_mul_f32 v23, v65 /*v321*/, v201 :: v_dual_fma_f32 v13, v54 /*v310*/, v190, -v13
	v_fmac_f32_e32 v101, v61 /*v317*/, v196
	s_wait_loadcnt 0x4
	s_set_vgpr_msb 0                        ;  msbs: dst=0 src0=0 src1=0 src2=0
	v_mov_b32_e32 v120, v205
	v_add_f32_e32 v9, v9, v11
	v_add_f32_e32 v7, v7, v83
	s_set_vgpr_msb 1                        ;  msbs: dst=0 src0=1 src1=0 src2=0
	v_fma_f32 v11, v56 /*v312*/, v192, -v15
	v_dual_fmac_f32 v99, v59 /*v315*/, v194 :: v_dual_mul_f32 v115, v62 /*v318*/, v199
	v_mul_f32_e32 v117, v64 /*v320*/, v201
	s_set_vgpr_msb 0                        ;  msbs: dst=0 src0=0 src1=0 src2=0
	v_add_f32_e32 v9, v9, v13
	v_add_f32_e32 v7, v7, v89
	s_set_vgpr_msb 1                        ;  msbs: dst=0 src0=1 src1=0 src2=0
	v_fma_f32 v13, v58 /*v314*/, v194, -v17
	s_set_vgpr_msb 0                        ;  msbs: dst=0 src0=0 src1=0 src2=0
	v_pk_mul_f32 v[118:119], v[242:243], v[202:203] op_sel:[1,1] op_sel_hi:[0,1]
	s_wait_loadcnt 0x3
	v_mov_b32_e32 v124, v209
	v_add_f32_e32 v9, v9, v11
	v_add_f32_e32 v7, v7, v91
	s_set_vgpr_msb 1                        ;  msbs: dst=0 src0=1 src1=0 src2=0
	v_fma_f32 v11, v60 /*v316*/, v196, -v19
	v_dual_fmac_f32 v115, v63 /*v319*/, v198 :: v_dual_fma_f32 v114, v62 /*v318*/, v198, -v21
	s_set_vgpr_msb 0                        ;  msbs: dst=0 src0=0 src1=0 src2=0
	v_add_f32_e32 v9, v9, v13
	v_add_f32_e32 v7, v7, v93
	s_set_vgpr_msb 1                        ;  msbs: dst=0 src0=1 src1=0 src2=0
	v_dual_fmac_f32 v117, v65 /*v321*/, v200 :: v_dual_fma_f32 v116, v64 /*v320*/, v200, -v23
	s_set_vgpr_msb 0                        ;  msbs: dst=0 src0=0 src1=0 src2=0
	v_pk_fma_f32 v[128:129], v[242:243], v[202:203], v[118:119] op_sel_hi:[1,0,1]
	v_add_f32_e32 v126, v9, v11
	v_add_f32_e32 v7, v7, v95
	s_set_vgpr_msb 1                        ;  msbs: dst=0 src0=1 src1=0 src2=0
	v_pk_mul_f32 v[120:121], v[68:69] /*v[324:325]*/, v[120:121] op_sel_hi:[1,0]
	s_set_vgpr_msb 0                        ;  msbs: dst=0 src0=0 src1=0 src2=0
	v_pk_fma_f32 v[118:119], v[242:243], v[202:203], v[118:119] neg_lo:[0,0,1] neg_hi:[0,0,1]
	v_pk_mul_f32 v[122:123], v[254:255], v[206:207] op_sel:[1,1] op_sel_hi:[0,1]
	v_dual_mov_b32 v119, v129 :: v_dual_add_f32 v7, v7, v97
	v_pk_fma_f32 v[128:129], v[244:245], v[204:205], v[120:121] op_sel_hi:[1,0,1]
	v_pk_fma_f32 v[120:121], v[244:245], v[204:205], v[120:121] neg_lo:[0,0,1] neg_hi:[0,0,1]
	s_set_vgpr_msb 1                        ;  msbs: dst=0 src0=1 src1=0 src2=0
	v_pk_mul_f32 v[124:125], v[70:71] /*v[326:327]*/, v[124:125] op_sel_hi:[1,0]
	s_set_vgpr_msb 0                        ;  msbs: dst=0 src0=0 src1=0 src2=0
	v_dual_add_f32 v7, v7, v99 :: v_dual_mov_b32 v121, v129
	s_delay_alu instid0(VALU_DEP_1) | instskip(NEXT) | instid1(VALU_DEP_1)
	v_add_f32_e32 v127, v7, v101
	v_pk_add_f32 v[114:115], v[126:127], v[114:115]
	s_wait_loadcnt 0x2
	s_set_vgpr_msb 1                        ;  msbs: dst=0 src0=1 src1=0 src2=0
	v_pk_mul_f32 v[126:127], v[2:3] /*v[258:259]*/, v[210:211] op_sel:[1,1] op_sel_hi:[0,1]
	s_set_vgpr_msb 0                        ;  msbs: dst=0 src0=0 src1=0 src2=0
	v_pk_add_f32 v[114:115], v[114:115], v[116:117]
	v_pk_fma_f32 v[116:117], v[254:255], v[206:207], v[122:123] op_sel_hi:[1,0,1]
	v_mov_b32_e32 v116, v213
	s_delay_alu instid0(VALU_DEP_3) | instskip(SKIP_1) | instid1(VALU_DEP_4)
	v_pk_add_f32 v[114:115], v[114:115], v[118:119]
	v_pk_fma_f32 v[118:119], v[254:255], v[206:207], v[122:123] neg_lo:[0,0,1] neg_hi:[0,0,1]
	v_mov_b32_e32 v119, v117
	s_set_vgpr_msb 1                        ;  msbs: dst=0 src0=1 src1=0 src2=0
	v_pk_fma_f32 v[122:123], v[0:1] /*v[256:257]*/, v[208:209], v[124:125] op_sel_hi:[1,0,1]
	v_pk_mul_f32 v[116:117], v[72:73] /*v[328:329]*/, v[116:117] op_sel_hi:[1,0]
	s_set_vgpr_msb 0                        ;  msbs: dst=0 src0=0 src1=0 src2=0
	v_pk_add_f32 v[114:115], v[114:115], v[120:121]
	s_set_vgpr_msb 1                        ;  msbs: dst=0 src0=1 src1=0 src2=0
	v_pk_fma_f32 v[120:121], v[2:3] /*v[258:259]*/, v[210:211], v[126:127] op_sel_hi:[1,0,1]
	v_pk_fma_f32 v[124:125], v[0:1] /*v[256:257]*/, v[208:209], v[124:125] neg_lo:[0,0,1] neg_hi:[0,0,1]
	s_set_vgpr_msb 0                        ;  msbs: dst=0 src0=0 src1=0 src2=0
	v_mov_b32_e32 v125, v123
	s_set_vgpr_msb 1                        ;  msbs: dst=0 src0=1 src1=0 src2=0
	v_pk_fma_f32 v[122:123], v[2:3] /*v[258:259]*/, v[210:211], v[126:127] neg_lo:[0,0,1] neg_hi:[0,0,1]
	s_set_vgpr_msb 0                        ;  msbs: dst=0 src0=0 src1=0 src2=0
	v_pk_add_f32 v[114:115], v[114:115], v[118:119]
	v_mov_b32_e32 v123, v121
	s_set_vgpr_msb 1                        ;  msbs: dst=0 src0=1 src1=0 src2=0
	v_pk_fma_f32 v[120:121], v[4:5] /*v[260:261]*/, v[212:213], v[116:117] op_sel_hi:[1,0,1]
	s_wait_loadcnt 0x1
	v_pk_mul_f32 v[118:119], v[14:15] /*v[270:271]*/, v[222:223] op_sel:[1,1] op_sel_hi:[0,1]
	s_set_vgpr_msb 0                        ;  msbs: dst=0 src0=0 src1=0 src2=0
	v_mov_b32_e32 v120, v225
	v_pk_add_f32 v[114:115], v[114:115], v[124:125]
	s_set_vgpr_msb 1                        ;  msbs: dst=0 src0=1 src1=0 src2=0
	v_pk_fma_f32 v[116:117], v[4:5] /*v[260:261]*/, v[212:213], v[116:117] neg_lo:[0,0,1] neg_hi:[0,0,1]
	v_pk_fma_f32 v[124:125], v[14:15] /*v[270:271]*/, v[222:223], v[118:119] op_sel_hi:[1,0,1]
	s_set_vgpr_msb 0                        ;  msbs: dst=0 src0=0 src1=0 src2=0
	v_mov_b32_e32 v117, v121
	v_pk_add_f32 v[114:115], v[114:115], v[122:123]
	s_set_vgpr_msb 1                        ;  msbs: dst=0 src0=1 src1=0 src2=0
	v_pk_mul_f32 v[120:121], v[74:75] /*v[330:331]*/, v[120:121] op_sel_hi:[1,0]
	v_pk_fma_f32 v[118:119], v[14:15] /*v[270:271]*/, v[222:223], v[118:119] neg_lo:[0,0,1] neg_hi:[0,0,1]
	s_set_vgpr_msb 0                        ;  msbs: dst=0 src0=0 src1=0 src2=0
	v_mov_b32_e32 v119, v125
	v_pk_add_f32 v[114:115], v[114:115], v[116:117]
	s_set_vgpr_msb 1                        ;  msbs: dst=0 src0=1 src1=0 src2=0
	v_pk_fma_f32 v[116:117], v[16:17] /*v[272:273]*/, v[224:225], v[120:121] op_sel_hi:[1,0,1]
	v_pk_fma_f32 v[120:121], v[16:17] /*v[272:273]*/, v[224:225], v[120:121] neg_lo:[0,0,1] neg_hi:[0,0,1]
	s_set_vgpr_msb 0                        ;  msbs: dst=0 src0=0 src1=0 src2=0
	v_pk_add_f32 v[114:115], v[114:115], v[118:119]
	s_delay_alu instid0(VALU_DEP_3) | instskip(NEXT) | instid1(VALU_DEP_1)
	v_mov_b32_e32 v121, v117
	v_pk_add_f32 v[114:115], v[114:115], v[120:121]
	s_wait_loadcnt 0x0
	s_set_vgpr_msb 1                        ;  msbs: dst=0 src0=1 src1=0 src2=0
	s_delay_alu instid0(VALU_DEP_1)
	v_pk_add_f32 v[114:115], v[66:67] /*v[322:323]*/, v[114:115] neg_lo:[0,1] neg_hi:[0,1]
	scratch_store_b64 off, v[114:115], off offset:24
	s_wait_xcnt 0x0
	v_cmpx_lt_u32_e32 2, v0
	s_set_vgpr_msb 0                        ;  msbs: dst=0 src0=0 src1=0 src2=0
	s_cbranch_execz .LBB55_345
; %bb.344:
	scratch_load_b64 v[114:115], off, off offset:16
	v_mov_b64_e32 v[116:117], 0
	scratch_store_b64 off, v[116:117], off offset:16
	s_wait_loadcnt 0x0
	ds_store_b64 v1, v[114:115]
.LBB55_345:
	s_wait_xcnt 0x0
	s_or_b32 exec_lo, exec_lo, s0
	s_wait_storecnt_dscnt 0x0
	s_barrier_signal -1
	s_barrier_wait -1
	s_clause 0x1c
	scratch_load_b128 v[114:117], off, off offset:24
	scratch_load_b128 v[118:121], off, off offset:40
	;; [unrolled: 1-line block ×26, first 2 shown]
	s_set_vgpr_msb 64                       ;  msbs: dst=1 src0=0 src1=0 src2=0
	scratch_load_b64 v[66:67] /*v[322:323]*/, off, off offset:440
	scratch_load_b64 v[68:69] /*v[324:325]*/, off, off offset:16
	s_set_vgpr_msb 0                        ;  msbs: dst=0 src0=0 src1=0 src2=0
	v_mov_b32_e32 v93, 0
	ds_load_2addr_b64 v[218:221], v93 offset0:59 offset1:60
	ds_load_2addr_b64 v[222:225], v93 offset0:61 offset1:62
	;; [unrolled: 1-line block ×10, first 2 shown]
	s_set_vgpr_msb 64                       ;  msbs: dst=1 src0=0 src1=0 src2=0
	ds_load_2addr_b64 v[2:5] /*v[258:261]*/, v93 offset0:107 offset1:108
	ds_load_2addr_b64 v[6:9] /*v[262:265]*/, v93 offset0:75 offset1:76
	ds_load_2addr_b64 v[10:13] /*v[266:269]*/, v93 offset0:77 offset1:78
	ds_load_2addr_b64 v[14:17] /*v[270:273]*/, v93 offset0:109 offset1:110
	ds_load_2addr_b64 v[18:21] /*v[274:277]*/, v93 offset0:79 offset1:80
	ds_load_2addr_b64 v[22:25] /*v[278:281]*/, v93 offset0:81 offset1:82
	ds_load_2addr_b64 v[26:29] /*v[282:285]*/, v93 offset0:83 offset1:84
	ds_load_2addr_b64 v[30:33] /*v[286:289]*/, v93 offset0:85 offset1:86
	ds_load_2addr_b64 v[34:37] /*v[290:293]*/, v93 offset0:87 offset1:88
	ds_load_2addr_b64 v[38:41] /*v[294:297]*/, v93 offset0:89 offset1:90
	ds_load_2addr_b64 v[42:45] /*v[298:301]*/, v93 offset0:91 offset1:92
	ds_load_2addr_b64 v[46:49] /*v[302:305]*/, v93 offset0:93 offset1:94
	ds_load_2addr_b64 v[50:53] /*v[306:309]*/, v93 offset0:95 offset1:96
	ds_load_2addr_b64 v[54:57] /*v[310:313]*/, v93 offset0:97 offset1:98
	ds_load_2addr_b64 v[58:61] /*v[314:317]*/, v93 offset0:99 offset1:100
	ds_load_2addr_b64 v[62:65] /*v[318:321]*/, v93 offset0:101 offset1:102
	ds_load_b64 v[70:71] /*v[326:327]*/, v93 offset:888
	s_wait_dscnt 0x14
	v_dual_mov_b32 v72 /*v328*/, v245 :: v_dual_mov_b32 v73 /*v329*/, v244
	s_wait_dscnt 0x11
	s_set_vgpr_msb 0x41                     ;  msbs: dst=1 src0=1 src1=0 src2=0
	v_dual_mov_b32 v74 /*v330*/, v1 /*v257*/ :: v_dual_mov_b32 v75 /*v331*/, v0 /*v256*/
	s_wait_dscnt 0x10
	v_dual_mov_b32 v76 /*v332*/, v5 /*v261*/ :: v_dual_mov_b32 v77 /*v333*/, v4 /*v260*/
	s_wait_dscnt 0xd
	v_dual_mov_b32 v78 /*v334*/, v17 /*v273*/ :: v_dual_mov_b32 v79 /*v335*/, v16 /*v272*/
	s_mov_b32 s0, exec_lo
	s_wait_loadcnt 0x1b
	s_set_vgpr_msb 0                        ;  msbs: dst=0 src0=0 src1=0 src2=0
	v_dual_mul_f32 v7, v218, v115 :: v_dual_mul_f32 v9, v220, v117
	s_wait_loadcnt 0x1a
	v_mul_f32_e32 v11, v222, v119
	v_dual_mul_f32 v95, v219, v115 :: v_dual_mul_f32 v97, v221, v117
	v_mul_f32_e32 v99, v223, v119
	s_wait_loadcnt 0x18
	v_dual_fmac_f32 v7, v219, v114 :: v_dual_mul_f32 v109, v233, v129
	s_wait_loadcnt 0x14
	v_dual_mul_f32 v37, v252, v145 :: v_dual_fma_f32 v95, v218, v114, -v95
	v_fmac_f32_e32 v9, v221, v116
	s_delay_alu instid0(VALU_DEP_3) | instskip(SKIP_1) | instid1(VALU_DEP_4)
	v_dual_fma_f32 v97, v220, v116, -v97 :: v_dual_add_f32 v7, 0, v7
	v_dual_mul_f32 v13, v224, v121 :: v_dual_mul_f32 v15, v226, v123
	v_dual_add_f32 v95, 0, v95 :: v_dual_fmac_f32 v11, v223, v118
	v_dual_mul_f32 v101, v225, v121 :: v_dual_mul_f32 v103, v227, v123
	v_dual_mul_f32 v111, v235, v131 :: v_dual_fma_f32 v99, v222, v118, -v99
	s_delay_alu instid0(VALU_DEP_4) | instskip(NEXT) | instid1(VALU_DEP_3)
	v_dual_add_f32 v7, v7, v9 :: v_dual_fmac_f32 v13, v225, v120
	v_dual_add_f32 v9, v95, v97 :: v_dual_fma_f32 v97, v224, v120, -v101
	s_delay_alu instid0(VALU_DEP_2) | instskip(SKIP_1) | instid1(VALU_DEP_3)
	v_dual_mul_f32 v95, v237, v133 :: v_dual_add_f32 v7, v7, v11
	v_dual_mul_f32 v17, v228, v125 :: v_dual_mul_f32 v19, v230, v127
	v_dual_add_f32 v9, v9, v99 :: v_dual_fmac_f32 v15, v227, v122
	v_dual_mul_f32 v105, v229, v125 :: v_dual_mul_f32 v107, v231, v127
	v_dual_mul_f32 v11, v239, v135 :: v_dual_fma_f32 v99, v226, v122, -v103
	s_delay_alu instid0(VALU_DEP_4) | instskip(NEXT) | instid1(VALU_DEP_3)
	v_dual_add_f32 v7, v7, v13 :: v_dual_fmac_f32 v17, v229, v124
	v_dual_add_f32 v9, v9, v97 :: v_dual_fma_f32 v97, v228, v124, -v105
	s_delay_alu instid0(VALU_DEP_2) | instskip(SKIP_1) | instid1(VALU_DEP_3)
	v_dual_mul_f32 v13, v241, v137 :: v_dual_add_f32 v7, v7, v15
	v_dual_mul_f32 v21, v232, v129 :: v_dual_mul_f32 v23, v234, v131
	v_dual_add_f32 v9, v9, v99 :: v_dual_fmac_f32 v19, v231, v126
	v_dual_mul_f32 v15, v247, v139 :: v_dual_fma_f32 v99, v230, v126, -v107
	s_delay_alu instid0(VALU_DEP_3) | instskip(NEXT) | instid1(VALU_DEP_3)
	v_dual_add_f32 v7, v7, v17 :: v_dual_fmac_f32 v21, v233, v128
	v_dual_add_f32 v9, v9, v97 :: v_dual_fma_f32 v97, v232, v128, -v109
	s_delay_alu instid0(VALU_DEP_2) | instskip(SKIP_1) | instid1(VALU_DEP_3)
	v_dual_mul_f32 v17, v249, v141 :: v_dual_add_f32 v7, v7, v19
	v_dual_mul_f32 v25, v236, v133 :: v_dual_mul_f32 v27, v238, v135
	v_dual_add_f32 v9, v9, v99 :: v_dual_fmac_f32 v23, v235, v130
	v_dual_mul_f32 v19, v251, v143 :: v_dual_fma_f32 v99, v234, v130, -v111
	s_delay_alu instid0(VALU_DEP_3) | instskip(NEXT) | instid1(VALU_DEP_3)
	v_dual_add_f32 v7, v7, v21 :: v_dual_fmac_f32 v25, v237, v132
	v_dual_add_f32 v9, v9, v97 :: v_dual_fma_f32 v95, v236, v132, -v95
	s_delay_alu instid0(VALU_DEP_2) | instskip(SKIP_1) | instid1(VALU_DEP_3)
	v_dual_mul_f32 v21, v253, v145 :: v_dual_add_f32 v7, v7, v23
	v_dual_mul_f32 v29, v240, v137 :: v_dual_mul_f32 v31, v246, v139
	v_dual_add_f32 v9, v9, v99 :: v_dual_fmac_f32 v27, v239, v134
	s_delay_alu instid0(VALU_DEP_3) | instskip(NEXT) | instid1(VALU_DEP_3)
	v_dual_fma_f32 v11, v238, v134, -v11 :: v_dual_add_f32 v7, v7, v25
	v_fmac_f32_e32 v29, v241, v136
	s_delay_alu instid0(VALU_DEP_3) | instskip(SKIP_1) | instid1(VALU_DEP_4)
	v_dual_add_f32 v9, v9, v95 :: v_dual_fma_f32 v13, v240, v136, -v13
	v_dual_mul_f32 v33, v248, v141 :: v_dual_mul_f32 v35, v250, v143
	v_add_f32_e32 v7, v7, v27
	s_delay_alu instid0(VALU_DEP_3) | instskip(SKIP_1) | instid1(VALU_DEP_3)
	v_dual_add_f32 v9, v9, v11 :: v_dual_fmac_f32 v31, v247, v138
	v_dual_fma_f32 v15, v246, v138, -v15 :: v_dual_fma_f32 v17, v248, v140, -v17
	v_add_f32_e32 v7, v7, v29
	s_delay_alu instid0(VALU_DEP_3)
	v_add_f32_e32 v9, v9, v13
	v_dual_fmac_f32 v33, v249, v140 :: v_dual_fmac_f32 v35, v251, v142
	s_wait_loadcnt 0x13
	s_set_vgpr_msb 1                        ;  msbs: dst=0 src0=1 src1=0 src2=0
	v_dual_mul_f32 v39, v6 /*v262*/, v147 :: v_dual_mul_f32 v41, v8 /*v264*/, v149
	s_set_vgpr_msb 0                        ;  msbs: dst=0 src0=0 src1=0 src2=0
	v_add_f32_e32 v7, v7, v31
	v_dual_add_f32 v9, v9, v15 :: v_dual_fma_f32 v19, v250, v142, -v19
	s_wait_loadcnt 0x12
	s_set_vgpr_msb 1                        ;  msbs: dst=0 src0=1 src1=0 src2=0
	v_dual_mul_f32 v23, v7 /*v263*/, v147 :: v_dual_mul_f32 v13, v13 /*v269*/, v153
	s_set_vgpr_msb 0                        ;  msbs: dst=0 src0=0 src1=0 src2=0
	v_add_f32_e32 v7, v7, v33
	v_dual_add_f32 v9, v9, v17 :: v_dual_fma_f32 v21, v252, v144, -v21
	v_fmac_f32_e32 v37, v253, v144
	s_wait_loadcnt_dscnt 0x601
	s_set_vgpr_msb 1                        ;  msbs: dst=0 src0=1 src1=0 src2=0
	v_dual_mul_f32 v91, v62 /*v318*/, v199 :: v_dual_mul_f32 v25, v9 /*v265*/, v149
	s_set_vgpr_msb 0                        ;  msbs: dst=0 src0=0 src1=0 src2=0
	v_add_f32_e32 v7, v7, v35
	v_add_f32_e32 v9, v9, v19
	s_set_vgpr_msb 1                        ;  msbs: dst=0 src0=1 src1=0 src2=0
	v_dual_mul_f32 v15, v19 /*v275*/, v155 :: v_dual_fma_f32 v23, v6 /*v262*/, v146, -v23
	v_dual_fmac_f32 v39, v7 /*v263*/, v146 :: v_dual_fmac_f32 v41, v9 /*v265*/, v148
	s_set_vgpr_msb 0                        ;  msbs: dst=0 src0=0 src1=0 src2=0
	v_add_f32_e32 v7, v7, v37
	v_add_f32_e32 v9, v9, v21
	s_set_vgpr_msb 1                        ;  msbs: dst=0 src0=1 src1=0 src2=0
	v_dual_mul_f32 v43, v10 /*v266*/, v151 :: v_dual_mul_f32 v45, v12 /*v268*/, v153
	v_dual_mul_f32 v11, v11 /*v267*/, v151 :: v_dual_mul_f32 v17, v21 /*v277*/, v157
	v_fma_f32 v25, v8 /*v264*/, v148, -v25
	s_set_vgpr_msb 0                        ;  msbs: dst=0 src0=0 src1=0 src2=0
	v_add_f32_e32 v7, v7, v39
	v_add_f32_e32 v9, v9, v23
	s_set_vgpr_msb 1                        ;  msbs: dst=0 src0=1 src1=0 src2=0
	v_mul_f32_e32 v23, v27 /*v283*/, v163
	v_fmac_f32_e32 v43, v11 /*v267*/, v150
	v_dual_fma_f32 v11, v10 /*v266*/, v150, -v11 :: v_dual_fmac_f32 v45, v13 /*v269*/, v152
	s_set_vgpr_msb 0                        ;  msbs: dst=0 src0=0 src1=0 src2=0
	v_add_f32_e32 v7, v7, v41
	v_add_f32_e32 v9, v9, v25
	s_set_vgpr_msb 1                        ;  msbs: dst=0 src0=1 src1=0 src2=0
	v_dual_mul_f32 v47, v18 /*v274*/, v155 :: v_dual_mul_f32 v49, v20 /*v276*/, v157
	v_dual_mul_f32 v25, v29 /*v285*/, v165 :: v_dual_fma_f32 v13, v12 /*v268*/, v152, -v13
	s_set_vgpr_msb 0                        ;  msbs: dst=0 src0=0 src1=0 src2=0
	v_add_f32_e32 v7, v7, v43
	v_add_f32_e32 v9, v9, v11
	s_set_vgpr_msb 1                        ;  msbs: dst=0 src0=1 src1=0 src2=0
	v_mul_f32_e32 v11, v31 /*v287*/, v167
	v_fmac_f32_e32 v47, v19 /*v275*/, v154
	v_dual_fma_f32 v15, v18 /*v274*/, v154, -v15 :: v_dual_fmac_f32 v49, v21 /*v277*/, v156
	s_set_vgpr_msb 0                        ;  msbs: dst=0 src0=0 src1=0 src2=0
	v_add_f32_e32 v7, v7, v45
	v_add_f32_e32 v9, v9, v13
	s_set_vgpr_msb 1                        ;  msbs: dst=0 src0=1 src1=0 src2=0
	v_dual_mul_f32 v51, v22 /*v278*/, v159 :: v_dual_mul_f32 v53, v24 /*v280*/, v161
	v_dual_mul_f32 v19, v23 /*v279*/, v159 :: v_dual_mul_f32 v21, v25 /*v281*/, v161
	v_dual_mul_f32 v13, v33 /*v289*/, v169 :: v_dual_fma_f32 v17, v20 /*v276*/, v156, -v17
	s_set_vgpr_msb 0                        ;  msbs: dst=0 src0=0 src1=0 src2=0
	v_add_f32_e32 v7, v7, v47
	v_add_f32_e32 v9, v9, v15
	s_set_vgpr_msb 1                        ;  msbs: dst=0 src0=1 src1=0 src2=0
	v_mul_f32_e32 v15, v35 /*v291*/, v171
	v_fmac_f32_e32 v51, v23 /*v279*/, v158
	v_dual_fma_f32 v19, v22 /*v278*/, v158, -v19 :: v_dual_fmac_f32 v53, v25 /*v281*/, v160
	s_set_vgpr_msb 0                        ;  msbs: dst=0 src0=0 src1=0 src2=0
	v_add_f32_e32 v7, v7, v49
	v_add_f32_e32 v9, v9, v17
	s_set_vgpr_msb 1                        ;  msbs: dst=0 src0=1 src1=0 src2=0
	v_dual_mul_f32 v55, v26 /*v282*/, v163 :: v_dual_mul_f32 v57, v28 /*v284*/, v165
	v_dual_mul_f32 v17, v37 /*v293*/, v173 :: v_dual_fma_f32 v21, v24 /*v280*/, v160, -v21
	s_set_vgpr_msb 0                        ;  msbs: dst=0 src0=0 src1=0 src2=0
	v_add_f32_e32 v7, v7, v51
	v_add_f32_e32 v9, v9, v19
	s_set_vgpr_msb 1                        ;  msbs: dst=0 src0=1 src1=0 src2=0
	v_mul_f32_e32 v19, v39 /*v295*/, v175
	v_fmac_f32_e32 v55, v27 /*v283*/, v162
	v_dual_fma_f32 v23, v26 /*v282*/, v162, -v23 :: v_dual_fmac_f32 v57, v29 /*v285*/, v164
	s_set_vgpr_msb 0                        ;  msbs: dst=0 src0=0 src1=0 src2=0
	v_add_f32_e32 v7, v7, v53
	v_add_f32_e32 v9, v9, v21
	s_set_vgpr_msb 1                        ;  msbs: dst=0 src0=1 src1=0 src2=0
	;; [unrolled: 13-line block ×8, first 2 shown]
	v_dual_mul_f32 v83, v54 /*v310*/, v191 :: v_dual_mul_f32 v85, v56 /*v312*/, v193
	v_dual_mul_f32 v13, v65 /*v321*/, v201 :: v_dual_fma_f32 v17, v52 /*v308*/, v188, -v17
	s_set_vgpr_msb 0                        ;  msbs: dst=0 src0=0 src1=0 src2=0
	v_add_f32_e32 v7, v7, v79
	v_add_f32_e32 v9, v9, v15
	s_set_vgpr_msb 1                        ;  msbs: dst=0 src0=1 src1=0 src2=0
	v_fmac_f32_e32 v83, v55 /*v311*/, v190
	v_dual_fma_f32 v19, v54 /*v310*/, v190, -v19 :: v_dual_fmac_f32 v85, v57 /*v313*/, v192
	s_set_vgpr_msb 0                        ;  msbs: dst=0 src0=0 src1=0 src2=0
	v_add_f32_e32 v7, v7, v81
	s_wait_loadcnt 0x5
	v_dual_mul_f32 v15, v243, v203 :: v_dual_add_f32 v9, v9, v17
	s_set_vgpr_msb 1                        ;  msbs: dst=0 src0=1 src1=0 src2=0
	v_dual_mul_f32 v87, v58 /*v314*/, v195 :: v_dual_mul_f32 v89, v60 /*v316*/, v197
	s_set_vgpr_msb 0                        ;  msbs: dst=0 src0=0 src1=0 src2=0
	v_dual_mov_b32 v114, v205 :: v_dual_add_f32 v7, v7, v83
	s_set_vgpr_msb 1                        ;  msbs: dst=0 src0=1 src1=0 src2=0
	s_delay_alu instid0(VALU_DEP_2)
	v_dual_fma_f32 v17, v56 /*v312*/, v192, -v21 :: v_dual_fmac_f32 v87, v59 /*v315*/, v194
	s_set_vgpr_msb 0                        ;  msbs: dst=0 src0=0 src1=0 src2=0
	v_add_f32_e32 v9, v9, v19
	s_set_vgpr_msb 1                        ;  msbs: dst=0 src0=1 src1=0 src2=0
	v_dual_fma_f32 v19, v58 /*v314*/, v194, -v23 :: v_dual_fmac_f32 v89, v61 /*v317*/, v196
	s_set_vgpr_msb 0                        ;  msbs: dst=0 src0=0 src1=0 src2=0
	v_add_f32_e32 v7, v7, v85
	s_set_vgpr_msb 1                        ;  msbs: dst=0 src0=1 src1=0 src2=0
	v_pk_mul_f32 v[114:115], v[72:73] /*v[328:329]*/, v[114:115] op_sel_hi:[1,0]
	s_set_vgpr_msb 0                        ;  msbs: dst=0 src0=0 src1=0 src2=0
	v_add_f32_e32 v9, v9, v17
	s_set_vgpr_msb 1                        ;  msbs: dst=0 src0=1 src1=0 src2=0
	v_dual_fma_f32 v17, v60 /*v316*/, v196, -v25 :: v_dual_fmac_f32 v91, v63 /*v319*/, v198
	s_set_vgpr_msb 0                        ;  msbs: dst=0 src0=0 src1=0 src2=0
	v_add_f32_e32 v7, v7, v87
	v_pk_fma_f32 v[126:127], v[244:245], v[204:205], v[114:115] op_sel_hi:[1,0,1]
	v_add_f32_e32 v9, v9, v19
	v_pk_fma_f32 v[114:115], v[244:245], v[204:205], v[114:115] neg_lo:[0,0,1] neg_hi:[0,0,1]
	s_set_vgpr_msb 0x41                     ;  msbs: dst=1 src0=1 src1=0 src2=0
	v_dual_mul_f32 v81 /*v337*/, v64 /*v320*/, v201 :: v_dual_fma_f32 v80 /*v336*/, v64 /*v320*/, v200, -v13
	s_wait_loadcnt 0x4
	s_set_vgpr_msb 0                        ;  msbs: dst=0 src0=0 src1=0 src2=0
	v_dual_mov_b32 v118, v209 :: v_dual_add_f32 v7, v7, v89
	s_set_vgpr_msb 1                        ;  msbs: dst=0 src0=1 src1=0 src2=0
	v_fma_f32 v11, v62 /*v318*/, v198, -v11
	s_set_vgpr_msb 0                        ;  msbs: dst=0 src0=0 src1=0 src2=0
	v_dual_mov_b32 v115, v127 :: v_dual_add_f32 v9, v9, v17
	s_set_vgpr_msb 64                       ;  msbs: dst=1 src0=0 src1=0 src2=0
	v_dual_mul_f32 v83 /*v339*/, v242, v203 :: v_dual_fma_f32 v82 /*v338*/, v242, v202, -v15
	s_set_vgpr_msb 0x41                     ;  msbs: dst=1 src0=1 src1=0 src2=0
	v_fmac_f32_e32 v81 /*v337*/, v65 /*v321*/, v200
	s_set_vgpr_msb 0                        ;  msbs: dst=0 src0=0 src1=0 src2=0
	v_add_f32_e32 v123, v7, v91
	v_add_f32_e32 v122, v9, v11
	v_pk_mul_f32 v[116:117], v[254:255], v[206:207] op_sel:[1,1] op_sel_hi:[0,1]
	s_set_vgpr_msb 64                       ;  msbs: dst=1 src0=0 src1=0 src2=0
	v_fmac_f32_e32 v83 /*v339*/, v243, v202
	s_set_vgpr_msb 1                        ;  msbs: dst=0 src0=1 src1=0 src2=0
	v_pk_mul_f32 v[118:119], v[74:75] /*v[330:331]*/, v[118:119] op_sel_hi:[1,0]
	s_wait_loadcnt 0x3
	v_pk_mul_f32 v[120:121], v[2:3] /*v[258:259]*/, v[210:211] op_sel:[1,1] op_sel_hi:[0,1]
	s_set_vgpr_msb 4                        ;  msbs: dst=0 src0=0 src1=1 src2=0
	v_pk_add_f32 v[122:123], v[122:123], v[80:81] /*v[336:337]*/
	s_set_vgpr_msb 0                        ;  msbs: dst=0 src0=0 src1=0 src2=0
	v_pk_fma_f32 v[128:129], v[254:255], v[206:207], v[116:117] op_sel_hi:[1,0,1]
	v_pk_fma_f32 v[116:117], v[254:255], v[206:207], v[116:117] neg_lo:[0,0,1] neg_hi:[0,0,1]
	v_mov_b32_e32 v124, v213
	s_wait_loadcnt 0x2
	s_set_vgpr_msb 1                        ;  msbs: dst=0 src0=1 src1=0 src2=0
	v_pk_mul_f32 v[126:127], v[14:15] /*v[270:271]*/, v[214:215] op_sel:[1,1] op_sel_hi:[0,1]
	s_set_vgpr_msb 4                        ;  msbs: dst=0 src0=0 src1=1 src2=0
	v_pk_add_f32 v[122:123], v[122:123], v[82:83] /*v[338:339]*/
	v_mov_b32_e32 v117, v129
	s_set_vgpr_msb 1                        ;  msbs: dst=0 src0=1 src1=0 src2=0
	v_pk_fma_f32 v[128:129], v[0:1] /*v[256:257]*/, v[208:209], v[118:119] op_sel_hi:[1,0,1]
	v_pk_fma_f32 v[118:119], v[0:1] /*v[256:257]*/, v[208:209], v[118:119] neg_lo:[0,0,1] neg_hi:[0,0,1]
	v_pk_mul_f32 v[124:125], v[76:77] /*v[332:333]*/, v[124:125] op_sel_hi:[1,0]
	s_set_vgpr_msb 0                        ;  msbs: dst=0 src0=0 src1=0 src2=0
	v_pk_add_f32 v[114:115], v[122:123], v[114:115]
	s_set_vgpr_msb 1                        ;  msbs: dst=0 src0=1 src1=0 src2=0
	v_pk_fma_f32 v[122:123], v[2:3] /*v[258:259]*/, v[210:211], v[120:121] op_sel_hi:[1,0,1]
	s_set_vgpr_msb 0                        ;  msbs: dst=0 src0=0 src1=0 src2=0
	v_mov_b32_e32 v119, v129
	s_set_vgpr_msb 1                        ;  msbs: dst=0 src0=1 src1=0 src2=0
	v_pk_fma_f32 v[120:121], v[2:3] /*v[258:259]*/, v[210:211], v[120:121] neg_lo:[0,0,1] neg_hi:[0,0,1]
	s_set_vgpr_msb 0                        ;  msbs: dst=0 src0=0 src1=0 src2=0
	v_pk_add_f32 v[114:115], v[114:115], v[116:117]
	v_dual_mov_b32 v116, v217 :: v_dual_mov_b32 v121, v123
	s_set_vgpr_msb 1                        ;  msbs: dst=0 src0=1 src1=0 src2=0
	v_pk_fma_f32 v[122:123], v[4:5] /*v[260:261]*/, v[212:213], v[124:125] op_sel_hi:[1,0,1]
	v_pk_fma_f32 v[124:125], v[4:5] /*v[260:261]*/, v[212:213], v[124:125] neg_lo:[0,0,1] neg_hi:[0,0,1]
	s_set_vgpr_msb 0                        ;  msbs: dst=0 src0=0 src1=0 src2=0
	v_pk_add_f32 v[114:115], v[114:115], v[118:119]
	s_set_vgpr_msb 1                        ;  msbs: dst=0 src0=1 src1=0 src2=0
	v_pk_fma_f32 v[118:119], v[14:15] /*v[270:271]*/, v[214:215], v[126:127] op_sel_hi:[1,0,1]
	v_pk_mul_f32 v[116:117], v[78:79] /*v[334:335]*/, v[116:117] op_sel_hi:[1,0]
	s_set_vgpr_msb 0                        ;  msbs: dst=0 src0=0 src1=0 src2=0
	v_mov_b32_e32 v125, v123
	s_wait_loadcnt_dscnt 0x100
	s_set_vgpr_msb 5                        ;  msbs: dst=0 src0=1 src1=1 src2=0
	v_pk_mul_f32 v[122:123], v[70:71] /*v[326:327]*/, v[66:67] /*v[322:323]*/ op_sel:[1,1] op_sel_hi:[0,1]
	s_set_vgpr_msb 0                        ;  msbs: dst=0 src0=0 src1=0 src2=0
	v_pk_add_f32 v[114:115], v[114:115], v[120:121]
	s_set_vgpr_msb 1                        ;  msbs: dst=0 src0=1 src1=0 src2=0
	v_pk_fma_f32 v[120:121], v[14:15] /*v[270:271]*/, v[214:215], v[126:127] neg_lo:[0,0,1] neg_hi:[0,0,1]
	s_set_vgpr_msb 0                        ;  msbs: dst=0 src0=0 src1=0 src2=0
	v_mov_b32_e32 v121, v119
	s_set_vgpr_msb 1                        ;  msbs: dst=0 src0=1 src1=0 src2=0
	v_pk_fma_f32 v[118:119], v[16:17] /*v[272:273]*/, v[216:217], v[116:117] op_sel_hi:[1,0,1]
	v_pk_fma_f32 v[116:117], v[16:17] /*v[272:273]*/, v[216:217], v[116:117] neg_lo:[0,0,1] neg_hi:[0,0,1]
	s_set_vgpr_msb 0                        ;  msbs: dst=0 src0=0 src1=0 src2=0
	v_pk_add_f32 v[114:115], v[114:115], v[124:125]
	s_delay_alu instid0(VALU_DEP_3)
	v_mov_b32_e32 v117, v119
	s_set_vgpr_msb 5                        ;  msbs: dst=0 src0=1 src1=1 src2=0
	v_pk_fma_f32 v[118:119], v[70:71] /*v[326:327]*/, v[66:67] /*v[322:323]*/, v[122:123] op_sel_hi:[1,0,1]
	s_set_vgpr_msb 0                        ;  msbs: dst=0 src0=0 src1=0 src2=0
	v_pk_add_f32 v[114:115], v[114:115], v[120:121]
	s_set_vgpr_msb 5                        ;  msbs: dst=0 src0=1 src1=1 src2=0
	v_pk_fma_f32 v[120:121], v[70:71] /*v[326:327]*/, v[66:67] /*v[322:323]*/, v[122:123] neg_lo:[0,0,1] neg_hi:[0,0,1]
	s_set_vgpr_msb 0                        ;  msbs: dst=0 src0=0 src1=0 src2=0
	v_mov_b32_e32 v121, v119
	v_pk_add_f32 v[114:115], v[114:115], v[116:117]
	s_delay_alu instid0(VALU_DEP_1) | instskip(SKIP_2) | instid1(VALU_DEP_1)
	v_pk_add_f32 v[114:115], v[114:115], v[120:121]
	s_wait_loadcnt 0x0
	s_set_vgpr_msb 1                        ;  msbs: dst=0 src0=1 src1=0 src2=0
	v_pk_add_f32 v[114:115], v[68:69] /*v[324:325]*/, v[114:115] neg_lo:[0,1] neg_hi:[0,1]
	scratch_store_b64 off, v[114:115], off offset:16
	s_wait_xcnt 0x0
	v_cmpx_lt_u32_e32 1, v0
	s_set_vgpr_msb 0                        ;  msbs: dst=0 src0=0 src1=0 src2=0
	s_cbranch_execz .LBB55_347
; %bb.346:
	scratch_load_b64 v[114:115], off, off offset:8
	v_mov_b64_e32 v[116:117], 0
	scratch_store_b64 off, v[116:117], off offset:8
	s_wait_loadcnt 0x0
	ds_store_b64 v1, v[114:115]
.LBB55_347:
	s_wait_xcnt 0x0
	s_or_b32 exec_lo, exec_lo, s0
	s_wait_storecnt_dscnt 0x0
	s_barrier_signal -1
	s_barrier_wait -1
	s_clause 0x19
	scratch_load_b128 v[114:117], off, off offset:16
	scratch_load_b128 v[118:121], off, off offset:32
	;; [unrolled: 1-line block ×26, first 2 shown]
	ds_load_b128 v[218:221], v93 offset:464
	ds_load_b128 v[222:225], v93 offset:480
	;; [unrolled: 1-line block ×10, first 2 shown]
	s_set_vgpr_msb 64                       ;  msbs: dst=1 src0=0 src1=0 src2=0
	ds_load_b128 v[2:5] /*v[258:261]*/, v93 offset:624
	ds_load_b128 v[6:9] /*v[262:265]*/, v93 offset:640
	;; [unrolled: 1-line block ×4, first 2 shown]
	scratch_load_b128 v[18:21] /*v[274:277]*/, off, off offset:432
	ds_load_b128 v[22:25] /*v[278:281]*/, v93 offset:816
	ds_load_b128 v[26:29] /*v[282:285]*/, v93 offset:832
	;; [unrolled: 1-line block ×11, first 2 shown]
	scratch_load_b64 v[74:75] /*v[330:331]*/, off, off offset:8
	s_set_vgpr_msb 0                        ;  msbs: dst=0 src0=0 src1=0 src2=0
	v_ashrrev_i32_e32 v91, 31, v90
	s_set_vgpr_msb 64                       ;  msbs: dst=1 src0=0 src1=0 src2=0
	ds_load_b128 v[66:69] /*v[322:325]*/, v93 offset:784
	ds_load_b128 v[70:73] /*v[326:329]*/, v93 offset:800
	s_set_vgpr_msb 0                        ;  msbs: dst=0 src0=0 src1=0 src2=0
	v_dual_ashrrev_i32 v7, 31, v6 :: v_dual_ashrrev_i32 v9, 31, v8
	v_dual_ashrrev_i32 v11, 31, v10 :: v_dual_ashrrev_i32 v13, 31, v12
	;; [unrolled: 1-line block ×21, first 2 shown]
	s_mov_b32 s0, exec_lo
	s_wait_loadcnt_dscnt 0x1b1a
	v_dual_mul_f32 v95, v218, v115 :: v_dual_mul_f32 v97, v220, v117
	v_dual_mul_f32 v99, v219, v115 :: v_dual_mul_f32 v101, v221, v117
	s_wait_loadcnt_dscnt 0x1918
	v_dual_mul_f32 v111, v228, v125 :: v_dual_mul_f32 v113, v227, v123
	s_delay_alu instid0(VALU_DEP_3) | instskip(NEXT) | instid1(VALU_DEP_3)
	v_dual_fmac_f32 v95, v219, v114 :: v_dual_fmac_f32 v97, v221, v116
	v_dual_fma_f32 v93, v218, v114, -v99 :: v_dual_fma_f32 v99, v220, v116, -v101
	v_dual_mul_f32 v101, v222, v119 :: v_dual_mul_f32 v107, v225, v121
	v_dual_mul_f32 v109, v226, v123 :: v_dual_mul_f32 v123, v229, v125
	s_wait_loadcnt_dscnt 0x1817
	s_delay_alu instid0(VALU_DEP_2) | instskip(NEXT) | instid1(VALU_DEP_3)
	v_dual_mul_f32 v125, v230, v127 :: v_dual_fmac_f32 v101, v223, v118
	v_dual_fma_f32 v107, v224, v120, -v107 :: v_dual_mul_f32 v103, v224, v121
	v_mul_f32_e32 v105, v223, v119
	v_dual_fmac_f32 v109, v227, v122 :: v_dual_fmac_f32 v111, v229, v124
	v_dual_fma_f32 v113, v226, v122, -v113 :: v_dual_fma_f32 v122, v228, v124, -v123
	s_wait_loadcnt_dscnt 0x1716
	v_dual_mul_f32 v123, v232, v129 :: v_dual_mul_f32 v124, v234, v131
	s_wait_loadcnt_dscnt 0x1615
	v_dual_mul_f32 v218, v236, v133 :: v_dual_mul_f32 v219, v238, v135
	;; [unrolled: 2-line block ×3, first 2 shown]
	v_mul_f32_e32 v133, v237, v133
	v_dual_fmac_f32 v103, v225, v120 :: v_dual_fma_f32 v105, v222, v118, -v105
	s_wait_loadcnt_dscnt 0x1211
	v_dual_mul_f32 v225, v254, v151 :: v_dual_fmac_f32 v124, v235, v130
	v_dual_fmac_f32 v218, v237, v132 :: v_dual_fma_f32 v130, v234, v130, -v131
	v_fma_f32 v131, v236, v132, -v133
	s_set_vgpr_msb 1                        ;  msbs: dst=0 src0=1 src1=0 src2=0
	v_dual_mul_f32 v132, v0 /*v256*/, v153 :: v_dual_add_f32 v95, 0, v95
	s_wait_loadcnt_dscnt 0x100f
	v_dual_add_f32 v93, 0, v93 :: v_dual_mul_f32 v227, v6 /*v262*/, v159
	s_set_vgpr_msb 0                        ;  msbs: dst=0 src0=0 src1=0 src2=0
	v_dual_mul_f32 v220, v240, v137 :: v_dual_mul_f32 v127, v231, v127
	s_delay_alu instid0(VALU_DEP_2) | instskip(SKIP_1) | instid1(VALU_DEP_3)
	v_dual_add_f32 v95, v95, v97 :: v_dual_add_f32 v93, v93, v99
	v_dual_fmac_f32 v125, v231, v126 :: v_dual_fmac_f32 v123, v233, v128
	v_fmac_f32_e32 v220, v241, v136
	v_dual_mul_f32 v129, v233, v129 :: v_dual_mul_f32 v221, v242, v139
	s_delay_alu instid0(VALU_DEP_4) | instskip(SKIP_1) | instid1(VALU_DEP_3)
	v_add_f32_e32 v93, v93, v105
	v_dual_add_f32 v95, v95, v101 :: v_dual_fma_f32 v126, v230, v126, -v127
	v_fma_f32 v127, v232, v128, -v129
	v_dual_mul_f32 v128, v244, v141 :: v_dual_mul_f32 v129, v246, v143
	s_delay_alu instid0(VALU_DEP_4) | instskip(NEXT) | instid1(VALU_DEP_4)
	v_add_f32_e32 v93, v93, v107
	v_add_f32_e32 v95, v95, v103
	v_dual_mul_f32 v135, v239, v135 :: v_dual_mul_f32 v222, v248, v145
	s_delay_alu instid0(VALU_DEP_3) | instskip(NEXT) | instid1(VALU_DEP_3)
	v_dual_mul_f32 v223, v250, v147 :: v_dual_add_f32 v93, v93, v113
	v_add_f32_e32 v95, v95, v109
	v_dual_mul_f32 v113, v241, v137 :: v_dual_fmac_f32 v221, v243, v138
	s_set_vgpr_msb 1                        ;  msbs: dst=0 src0=1 src1=0 src2=0
	v_dual_mul_f32 v133, v2 /*v258*/, v155 :: v_dual_mul_f32 v226, v4 /*v260*/, v157
	s_set_vgpr_msb 0                        ;  msbs: dst=0 src0=0 src1=0 src2=0
	v_add_f32_e32 v95, v95, v111
	v_dual_fmac_f32 v219, v239, v134 :: v_dual_fma_f32 v113, v240, v136, -v113
	v_fma_f32 v134, v238, v134, -v135
	s_set_vgpr_msb 1                        ;  msbs: dst=0 src0=1 src1=0 src2=0
	v_dual_fmac_f32 v132, v1 /*v257*/, v152 :: v_dual_fmac_f32 v133, v3 /*v259*/, v154
	s_set_vgpr_msb 0                        ;  msbs: dst=0 src0=0 src1=0 src2=0
	v_dual_add_f32 v95, v95, v125 :: v_dual_add_f32 v93, v93, v122
	s_wait_loadcnt_dscnt 0x50c
	s_set_vgpr_msb 1                        ;  msbs: dst=0 src0=1 src1=0 src2=0
	v_mul_f32_e32 v125, v24 /*v280*/, v205
	s_set_vgpr_msb 0                        ;  msbs: dst=0 src0=0 src1=0 src2=0
	v_fmac_f32_e32 v128, v245, v140
	s_set_vgpr_msb 1                        ;  msbs: dst=0 src0=1 src1=0 src2=0
	v_dual_mul_f32 v97, v8 /*v264*/, v161 :: v_dual_mul_f32 v228, v10 /*v266*/, v163
	s_set_vgpr_msb 0                        ;  msbs: dst=0 src0=0 src1=0 src2=0
	v_dual_add_f32 v95, v95, v123 :: v_dual_add_f32 v93, v93, v126
	v_fmac_f32_e32 v129, v247, v142
	s_set_vgpr_msb 1                        ;  msbs: dst=0 src0=1 src1=0 src2=0
	v_dual_mul_f32 v99, v12 /*v268*/, v165 :: v_dual_mul_f32 v101, v14 /*v270*/, v167
	s_set_vgpr_msb 0                        ;  msbs: dst=0 src0=0 src1=0 src2=0
	v_dual_add_f32 v95, v95, v124 :: v_dual_add_f32 v93, v93, v127
	v_dual_mul_f32 v127, v243, v139 :: v_dual_mul_f32 v139, v249, v145
	s_wait_dscnt 0xa
	s_set_vgpr_msb 1                        ;  msbs: dst=0 src0=1 src1=0 src2=0
	v_dual_mul_f32 v229, v16 /*v272*/, v169 :: v_dual_mul_f32 v105, v30 /*v286*/, v171
	s_set_vgpr_msb 0                        ;  msbs: dst=0 src0=0 src1=0 src2=0
	v_add_f32_e32 v95, v95, v218
	v_add_f32_e32 v93, v93, v130
	v_mul_f32_e32 v130, v245, v141
	v_dual_mul_f32 v141, v253, v149 :: v_dual_fmac_f32 v223, v251, v146
	s_delay_alu instid0(VALU_DEP_4) | instskip(NEXT) | instid1(VALU_DEP_4)
	v_add_f32_e32 v95, v95, v219
	v_add_f32_e32 v93, v93, v131
	v_dual_mul_f32 v131, v247, v143 :: v_dual_fmac_f32 v224, v253, v148
	s_wait_dscnt 0x9
	s_set_vgpr_msb 1                        ;  msbs: dst=0 src0=1 src1=0 src2=0
	v_dual_mul_f32 v103, v32 /*v288*/, v173 :: v_dual_mul_f32 v230, v34 /*v290*/, v175
	s_set_vgpr_msb 0                        ;  msbs: dst=0 src0=0 src1=0 src2=0
	v_dual_add_f32 v95, v95, v220 :: v_dual_add_f32 v93, v93, v134
	v_dual_mul_f32 v134, v251, v147 :: v_dual_fma_f32 v127, v242, v138, -v127
	s_delay_alu instid0(VALU_DEP_2) | instskip(NEXT) | instid1(VALU_DEP_3)
	v_dual_fma_f32 v130, v244, v140, -v130 :: v_dual_add_f32 v95, v95, v221
	v_dual_add_f32 v93, v93, v113 :: v_dual_mul_f32 v113, v255, v151
	v_fma_f32 v131, v246, v142, -v131
	v_fmac_f32_e32 v225, v255, v150
	s_delay_alu instid0(VALU_DEP_3)
	v_dual_add_f32 v95, v95, v128 :: v_dual_add_f32 v93, v93, v127
	v_fmac_f32_e32 v222, v249, v144
	s_set_vgpr_msb 1                        ;  msbs: dst=0 src0=1 src1=0 src2=0
	v_dual_mul_f32 v127, v1 /*v257*/, v153 :: v_dual_mul_f32 v128, v3 /*v259*/, v155
	s_set_vgpr_msb 0                        ;  msbs: dst=0 src0=0 src1=0 src2=0
	v_dual_add_f32 v95, v95, v129 :: v_dual_add_f32 v93, v93, v130
	v_fma_f32 v130, v248, v144, -v139
	s_set_vgpr_msb 1                        ;  msbs: dst=0 src0=1 src1=0 src2=0
	v_dual_mul_f32 v129, v5 /*v261*/, v157 :: v_dual_fma_f32 v128, v2 /*v258*/, v154, -v128
	s_set_vgpr_msb 0                        ;  msbs: dst=0 src0=0 src1=0 src2=0
	v_dual_add_f32 v95, v95, v222 :: v_dual_add_f32 v93, v93, v131
	v_dual_fma_f32 v131, v250, v146, -v134 :: v_dual_fma_f32 v134, v252, v148, -v141
	s_set_vgpr_msb 1                        ;  msbs: dst=0 src0=1 src1=0 src2=0
	v_fmac_f32_e32 v226, v5 /*v261*/, v156
	s_set_vgpr_msb 0                        ;  msbs: dst=0 src0=0 src1=0 src2=0
	v_dual_add_f32 v95, v95, v223 :: v_dual_add_f32 v93, v93, v130
	v_fma_f32 v113, v254, v150, -v113
	s_set_vgpr_msb 1                        ;  msbs: dst=0 src0=1 src1=0 src2=0
	v_dual_mul_f32 v130, v7 /*v263*/, v159 :: v_dual_fma_f32 v127, v0 /*v256*/, v152, -v127
	s_set_vgpr_msb 0                        ;  msbs: dst=0 src0=0 src1=0 src2=0
	v_dual_add_f32 v95, v95, v224 :: v_dual_add_f32 v93, v93, v131
	s_set_vgpr_msb 1                        ;  msbs: dst=0 src0=1 src1=0 src2=0
	v_dual_mul_f32 v131, v9 /*v265*/, v161 :: v_dual_fmac_f32 v227, v7 /*v263*/, v158
	v_fma_f32 v130, v6 /*v262*/, v158, -v130
	s_set_vgpr_msb 0                        ;  msbs: dst=0 src0=0 src1=0 src2=0
	v_dual_add_f32 v95, v95, v225 :: v_dual_add_f32 v93, v93, v134
	s_set_vgpr_msb 1                        ;  msbs: dst=0 src0=1 src1=0 src2=0
	v_dual_mul_f32 v134, v11 /*v267*/, v163 :: v_dual_fma_f32 v129, v4 /*v260*/, v156, -v129
	v_fmac_f32_e32 v97, v9 /*v265*/, v160
	s_set_vgpr_msb 0                        ;  msbs: dst=0 src0=0 src1=0 src2=0
	v_dual_add_f32 v95, v95, v132 :: v_dual_add_f32 v93, v93, v113
	s_set_vgpr_msb 1                        ;  msbs: dst=0 src0=1 src1=0 src2=0
	v_dual_mul_f32 v113, v13 /*v269*/, v165 :: v_dual_fma_f32 v131, v8 /*v264*/, v160, -v131
	v_dual_fmac_f32 v228, v11 /*v267*/, v162 :: v_dual_fma_f32 v132, v10 /*v266*/, v162, -v134
	s_set_vgpr_msb 0                        ;  msbs: dst=0 src0=0 src1=0 src2=0
	v_dual_add_f32 v93, v93, v127 :: v_dual_add_f32 v95, v95, v133
	s_set_vgpr_msb 1                        ;  msbs: dst=0 src0=1 src1=0 src2=0
	v_dual_mul_f32 v127, v15 /*v271*/, v167 :: v_dual_fmac_f32 v99, v13 /*v269*/, v164
	v_fmac_f32_e32 v101, v15 /*v271*/, v166
	s_set_vgpr_msb 0                        ;  msbs: dst=0 src0=0 src1=0 src2=0
	v_dual_add_f32 v93, v93, v128 :: v_dual_add_f32 v95, v95, v226
	s_set_vgpr_msb 1                        ;  msbs: dst=0 src0=1 src1=0 src2=0
	v_dual_mul_f32 v128, v17 /*v273*/, v169 :: v_dual_fma_f32 v127, v14 /*v270*/, v166, -v127
	v_fmac_f32_e32 v229, v17 /*v273*/, v168
	s_set_vgpr_msb 0                        ;  msbs: dst=0 src0=0 src1=0 src2=0
	v_dual_add_f32 v93, v93, v129 :: v_dual_add_f32 v95, v95, v227
	s_set_vgpr_msb 1                        ;  msbs: dst=0 src0=1 src1=0 src2=0
	v_dual_mul_f32 v129, v31 /*v287*/, v171 :: v_dual_fma_f32 v113, v12 /*v268*/, v164, -v113
	v_dual_fmac_f32 v105, v31 /*v287*/, v170 :: v_dual_fmac_f32 v103, v33 /*v289*/, v172
	s_set_vgpr_msb 0                        ;  msbs: dst=0 src0=0 src1=0 src2=0
	v_dual_add_f32 v93, v93, v130 :: v_dual_add_f32 v95, v95, v97
	s_set_vgpr_msb 1                        ;  msbs: dst=0 src0=1 src1=0 src2=0
	v_dual_mul_f32 v130, v33 /*v289*/, v173 :: v_dual_mul_f32 v97, v35 /*v291*/, v175
	v_fmac_f32_e32 v230, v35 /*v291*/, v174
	s_set_vgpr_msb 0                        ;  msbs: dst=0 src0=0 src1=0 src2=0
	v_dual_add_f32 v93, v93, v131 :: v_dual_add_f32 v95, v95, v228
	s_set_vgpr_msb 1                        ;  msbs: dst=0 src0=1 src1=0 src2=0
	v_dual_mul_f32 v131, v37 /*v293*/, v177 :: v_dual_fma_f32 v97, v34 /*v290*/, v174, -v97
	s_wait_dscnt 0x7
	v_dual_mul_f32 v107, v36 /*v292*/, v177 :: v_dual_mul_f32 v109, v42 /*v298*/, v179
	s_set_vgpr_msb 0                        ;  msbs: dst=0 src0=0 src1=0 src2=0
	v_dual_add_f32 v93, v93, v132 :: v_dual_add_f32 v95, v95, v99
	s_set_vgpr_msb 1                        ;  msbs: dst=0 src0=1 src1=0 src2=0
	s_delay_alu instid0(VALU_DEP_2)
	v_dual_mul_f32 v99, v43 /*v299*/, v179 :: v_dual_fmac_f32 v107, v37 /*v293*/, v176
	s_wait_dscnt 0x6
	v_dual_mul_f32 v111, v44 /*v300*/, v181 :: v_dual_mul_f32 v135, v46 /*v302*/, v183
	s_set_vgpr_msb 0                        ;  msbs: dst=0 src0=0 src1=0 src2=0
	v_add_f32_e32 v95, v95, v101
	s_set_vgpr_msb 1                        ;  msbs: dst=0 src0=1 src1=0 src2=0
	v_dual_mul_f32 v101, v45 /*v301*/, v181 :: v_dual_fmac_f32 v109, v43 /*v299*/, v178
	v_fma_f32 v99, v42 /*v298*/, v178, -v99
	v_fmac_f32_e32 v111, v45 /*v301*/, v180
	s_set_vgpr_msb 0                        ;  msbs: dst=0 src0=0 src1=0 src2=0
	v_add_f32_e32 v95, v95, v229
	s_wait_dscnt 0x5
	s_set_vgpr_msb 1                        ;  msbs: dst=0 src0=1 src1=0 src2=0
	v_dual_mul_f32 v122, v48 /*v304*/, v185 :: v_dual_mul_f32 v136, v50 /*v306*/, v187
	v_fma_f32 v101, v44 /*v300*/, v180, -v101
	s_wait_dscnt 0x4
	v_dual_mul_f32 v137, v52 /*v308*/, v189 :: v_dual_mul_f32 v126, v54 /*v310*/, v191
	s_set_vgpr_msb 0                        ;  msbs: dst=0 src0=0 src1=0 src2=0
	v_add_f32_e32 v95, v95, v105
	v_add_f32_e32 v93, v93, v113
	s_set_vgpr_msb 1                        ;  msbs: dst=0 src0=1 src1=0 src2=0
	v_fma_f32 v113, v16 /*v272*/, v168, -v128
	v_dual_fma_f32 v128, v32 /*v288*/, v172, -v130 :: v_dual_mul_f32 v105, v49 /*v305*/, v185
	s_set_vgpr_msb 0                        ;  msbs: dst=0 src0=0 src1=0 src2=0
	v_add_f32_e32 v95, v95, v103
	v_add_f32_e32 v93, v93, v127
	s_set_vgpr_msb 1                        ;  msbs: dst=0 src0=1 src1=0 src2=0
	v_dual_fma_f32 v127, v30 /*v286*/, v170, -v129 :: v_dual_mul_f32 v103, v51 /*v307*/, v187
	v_dual_fmac_f32 v122, v49 /*v305*/, v184 :: v_dual_fmac_f32 v136, v51 /*v307*/, v186
	s_set_vgpr_msb 0                        ;  msbs: dst=0 src0=0 src1=0 src2=0
	v_dual_add_f32 v93, v93, v113 :: v_dual_add_f32 v95, v95, v230
	s_set_vgpr_msb 1                        ;  msbs: dst=0 src0=1 src1=0 src2=0
	v_dual_mul_f32 v113, v47 /*v303*/, v183 :: v_dual_fmac_f32 v135, v47 /*v303*/, v182
	v_fma_f32 v105, v48 /*v304*/, v184, -v105
	s_set_vgpr_msb 0                        ;  msbs: dst=0 src0=0 src1=0 src2=0
	v_add_f32_e32 v93, v93, v127
	s_set_vgpr_msb 1                        ;  msbs: dst=0 src0=1 src1=0 src2=0
	v_fma_f32 v127, v36 /*v292*/, v176, -v131
	s_set_vgpr_msb 0                        ;  msbs: dst=0 src0=0 src1=0 src2=0
	v_add_f32_e32 v95, v95, v107
	s_set_vgpr_msb 1                        ;  msbs: dst=0 src0=1 src1=0 src2=0
	v_dual_mul_f32 v107, v55 /*v311*/, v191 :: v_dual_fma_f32 v103, v50 /*v306*/, v186, -v103
	s_set_vgpr_msb 0                        ;  msbs: dst=0 src0=0 src1=0 src2=0
	v_add_f32_e32 v93, v93, v128
	s_set_vgpr_msb 1                        ;  msbs: dst=0 src0=1 src1=0 src2=0
	v_fmac_f32_e32 v137, v53 /*v309*/, v188
	s_set_vgpr_msb 0                        ;  msbs: dst=0 src0=0 src1=0 src2=0
	v_add_f32_e32 v95, v95, v109
	s_set_vgpr_msb 1                        ;  msbs: dst=0 src0=1 src1=0 src2=0
	v_dual_fma_f32 v109, v46 /*v302*/, v182, -v113 :: v_dual_mul_f32 v231, v56 /*v312*/, v193
	s_wait_dscnt 0x1
	v_mul_f32_e32 v232, v66 /*v322*/, v195
	s_set_vgpr_msb 0                        ;  msbs: dst=0 src0=0 src1=0 src2=0
	v_add_f32_e32 v93, v93, v97
	s_set_vgpr_msb 1                        ;  msbs: dst=0 src0=1 src1=0 src2=0
	v_mul_f32_e32 v97, v53 /*v309*/, v189
	s_set_vgpr_msb 0                        ;  msbs: dst=0 src0=0 src1=0 src2=0
	v_add_f32_e32 v95, v95, v111
	s_set_vgpr_msb 1                        ;  msbs: dst=0 src0=1 src1=0 src2=0
	v_dual_fmac_f32 v126, v55 /*v311*/, v190 :: v_dual_fma_f32 v107, v54 /*v310*/, v190, -v107
	s_set_vgpr_msb 0                        ;  msbs: dst=0 src0=0 src1=0 src2=0
	v_add_f32_e32 v93, v93, v127
	s_set_vgpr_msb 1                        ;  msbs: dst=0 src0=1 src1=0 src2=0
	v_fma_f32 v97, v52 /*v308*/, v188, -v97
	s_set_vgpr_msb 0                        ;  msbs: dst=0 src0=0 src1=0 src2=0
	v_add_f32_e32 v95, v95, v135
	s_set_vgpr_msb 1                        ;  msbs: dst=0 src0=1 src1=0 src2=0
	v_dual_fmac_f32 v231, v57 /*v313*/, v192 :: v_dual_mul_f32 v233, v68 /*v324*/, v197
	s_wait_dscnt 0x0
	v_mul_f32_e32 v124, v70 /*v326*/, v199
	s_set_vgpr_msb 0                        ;  msbs: dst=0 src0=0 src1=0 src2=0
	v_dual_add_f32 v93, v93, v99 :: v_dual_add_f32 v95, v95, v122
	s_set_vgpr_msb 1                        ;  msbs: dst=0 src0=1 src1=0 src2=0
	v_mul_f32_e32 v99, v57 /*v313*/, v193
	v_dual_fmac_f32 v233, v69 /*v325*/, v196 :: v_dual_fmac_f32 v124, v71 /*v327*/, v198
	s_set_vgpr_msb 0                        ;  msbs: dst=0 src0=0 src1=0 src2=0
	v_add_f32_e32 v93, v93, v101
	s_set_vgpr_msb 1                        ;  msbs: dst=0 src0=1 src1=0 src2=0
	v_mul_f32_e32 v101, v67 /*v323*/, v195
	s_set_vgpr_msb 0                        ;  msbs: dst=0 src0=0 src1=0 src2=0
	v_add_f32_e32 v95, v95, v136
	s_set_vgpr_msb 1                        ;  msbs: dst=0 src0=1 src1=0 src2=0
	v_dual_fma_f32 v99, v56 /*v312*/, v192, -v99 :: v_dual_fmac_f32 v232, v67 /*v323*/, v194
	s_set_vgpr_msb 0                        ;  msbs: dst=0 src0=0 src1=0 src2=0
	v_add_f32_e32 v93, v93, v109
	s_set_vgpr_msb 1                        ;  msbs: dst=0 src0=1 src1=0 src2=0
	v_mul_f32_e32 v109, v69 /*v325*/, v197
	s_set_vgpr_msb 0                        ;  msbs: dst=0 src0=0 src1=0 src2=0
	v_add_f32_e32 v95, v95, v137
	s_set_vgpr_msb 1                        ;  msbs: dst=0 src0=1 src1=0 src2=0
	v_dual_fma_f32 v101, v66 /*v322*/, v194, -v101 :: v_dual_mul_f32 v234, v72 /*v328*/, v201
	v_mul_f32_e32 v123, v22 /*v278*/, v203
	s_set_vgpr_msb 0                        ;  msbs: dst=0 src0=0 src1=0 src2=0
	v_add_f32_e32 v93, v93, v105
	s_set_vgpr_msb 1                        ;  msbs: dst=0 src0=1 src1=0 src2=0
	v_mul_f32_e32 v105, v71 /*v327*/, v199
	s_set_vgpr_msb 0                        ;  msbs: dst=0 src0=0 src1=0 src2=0
	v_add_f32_e32 v95, v95, v126
	s_set_vgpr_msb 1                        ;  msbs: dst=0 src0=1 src1=0 src2=0
	v_dual_fmac_f32 v234, v73 /*v329*/, v200 :: v_dual_fmac_f32 v123, v23 /*v279*/, v202
	s_set_vgpr_msb 0                        ;  msbs: dst=0 src0=0 src1=0 src2=0
	v_add_f32_e32 v93, v93, v103
	s_set_vgpr_msb 1                        ;  msbs: dst=0 src0=1 src1=0 src2=0
	v_mul_f32_e32 v103, v73 /*v329*/, v201
	s_set_vgpr_msb 0                        ;  msbs: dst=0 src0=0 src1=0 src2=0
	v_add_f32_e32 v95, v95, v231
	s_set_vgpr_msb 1                        ;  msbs: dst=0 src0=1 src1=0 src2=0
	v_dual_mov_b32 v114, v29 /*v285*/ :: v_dual_mov_b32 v115, v28 /*v284*/
	s_set_vgpr_msb 0                        ;  msbs: dst=0 src0=0 src1=0 src2=0
	v_add_f32_e32 v93, v93, v97
	s_set_vgpr_msb 1                        ;  msbs: dst=0 src0=1 src1=0 src2=0
	v_mul_f32_e32 v97, v23 /*v279*/, v203
	s_set_vgpr_msb 0                        ;  msbs: dst=0 src0=0 src1=0 src2=0
	v_add_f32_e32 v95, v95, v232
	s_wait_loadcnt 0x4
	s_set_vgpr_msb 1                        ;  msbs: dst=0 src0=1 src1=0 src2=0
	v_pk_mul_f32 v[126:127], v[26:27] /*v[282:283]*/, v[206:207] op_sel:[1,1] op_sel_hi:[0,1]
	v_dual_mov_b32 v116, v41 /*v297*/ :: v_dual_mov_b32 v117, v40 /*v296*/
	s_set_vgpr_msb 0                        ;  msbs: dst=0 src0=0 src1=0 src2=0
	v_add_f32_e32 v93, v93, v107
	s_set_vgpr_msb 1                        ;  msbs: dst=0 src0=1 src1=0 src2=0
	v_mul_f32_e32 v107, v25 /*v281*/, v205
	s_set_vgpr_msb 0                        ;  msbs: dst=0 src0=0 src1=0 src2=0
	v_dual_add_f32 v95, v95, v233 :: v_dual_mov_b32 v128, v209
	s_set_vgpr_msb 1                        ;  msbs: dst=0 src0=1 src1=0 src2=0
	v_fma_f32 v122, v22 /*v278*/, v202, -v97
	s_set_vgpr_msb 0                        ;  msbs: dst=0 src0=0 src1=0 src2=0
	v_add_f32_e32 v93, v93, v99
	s_set_vgpr_msb 1                        ;  msbs: dst=0 src0=1 src1=0 src2=0
	v_fma_f32 v99, v68 /*v324*/, v196, -v109
	s_set_vgpr_msb 0                        ;  msbs: dst=0 src0=0 src1=0 src2=0
	v_add_f32_e32 v95, v95, v124
	s_set_vgpr_msb 1                        ;  msbs: dst=0 src0=1 src1=0 src2=0
	v_dual_fmac_f32 v125, v25 /*v281*/, v204 :: v_dual_fma_f32 v124, v24 /*v280*/, v204, -v107
	s_set_vgpr_msb 0                        ;  msbs: dst=0 src0=0 src1=0 src2=0
	v_add_f32_e32 v93, v93, v101
	s_set_vgpr_msb 1                        ;  msbs: dst=0 src0=1 src1=0 src2=0
	v_fma_f32 v101, v70 /*v326*/, v198, -v105
	s_set_vgpr_msb 0                        ;  msbs: dst=0 src0=0 src1=0 src2=0
	v_add_f32_e32 v135, v95, v234
	s_set_vgpr_msb 1                        ;  msbs: dst=0 src0=1 src1=0 src2=0
	v_pk_fma_f32 v[136:137], v[26:27] /*v[282:283]*/, v[206:207], v[126:127] op_sel_hi:[1,0,1]
	s_set_vgpr_msb 0                        ;  msbs: dst=0 src0=0 src1=0 src2=0
	v_pk_mul_f32 v[114:115], v[114:115], v[128:129] op_sel_hi:[1,0]
	v_add_f32_e32 v93, v93, v99
	s_set_vgpr_msb 1                        ;  msbs: dst=0 src0=1 src1=0 src2=0
	v_fma_f32 v99, v72 /*v328*/, v200, -v103
	v_pk_fma_f32 v[126:127], v[26:27] /*v[282:283]*/, v[206:207], v[126:127] neg_lo:[0,0,1] neg_hi:[0,0,1]
	s_wait_loadcnt 0x3
	v_pk_mul_f32 v[130:131], v[38:39] /*v[294:295]*/, v[210:211] op_sel:[1,1] op_sel_hi:[0,1]
	s_set_vgpr_msb 0                        ;  msbs: dst=0 src0=0 src1=0 src2=0
	v_dual_mov_b32 v132, v213 :: v_dual_mov_b32 v127, v137
	v_add_f32_e32 v93, v93, v101
	s_set_vgpr_msb 1                        ;  msbs: dst=0 src0=1 src1=0 src2=0
	v_dual_mov_b32 v118, v61 /*v317*/ :: v_dual_mov_b32 v119, v60 /*v316*/
	s_set_vgpr_msb 0                        ;  msbs: dst=0 src0=0 src1=0 src2=0
	v_pk_mul_f32 v[116:117], v[116:117], v[132:133] op_sel_hi:[1,0]
	s_wait_loadcnt 0x2
	s_set_vgpr_msb 1                        ;  msbs: dst=0 src0=1 src1=0 src2=0
	v_pk_mul_f32 v[128:129], v[58:59] /*v[314:315]*/, v[214:215] op_sel:[1,1] op_sel_hi:[0,1]
	s_set_vgpr_msb 0                        ;  msbs: dst=0 src0=0 src1=0 src2=0
	v_add_f32_e32 v134, v93, v99
	s_set_vgpr_msb 1                        ;  msbs: dst=0 src0=1 src1=0 src2=0
	v_dual_mov_b32 v120, v65 /*v321*/ :: v_dual_mov_b32 v121, v64 /*v320*/
	v_dual_ashrrev_i32 v93, 31, v92 :: v_dual_ashrrev_i32 v95, 31, v94
	s_set_vgpr_msb 0                        ;  msbs: dst=0 src0=0 src1=0 src2=0
	v_pk_add_f32 v[122:123], v[134:135], v[122:123]
	s_set_vgpr_msb 1                        ;  msbs: dst=0 src0=1 src1=0 src2=0
	v_pk_fma_f32 v[134:135], v[28:29] /*v[284:285]*/, v[208:209], v[114:115] op_sel_hi:[1,0,1]
	v_pk_fma_f32 v[114:115], v[28:29] /*v[284:285]*/, v[208:209], v[114:115] neg_lo:[0,0,1] neg_hi:[0,0,1]
	v_dual_ashrrev_i32 v99, 31, v98 :: v_dual_ashrrev_i32 v101, 31, v100
	s_set_vgpr_msb 0                        ;  msbs: dst=0 src0=0 src1=0 src2=0
	v_pk_add_f32 v[122:123], v[122:123], v[124:125]
	s_set_vgpr_msb 1                        ;  msbs: dst=0 src0=1 src1=0 src2=0
	v_pk_fma_f32 v[124:125], v[38:39] /*v[294:295]*/, v[210:211], v[130:131] op_sel_hi:[1,0,1]
	s_set_vgpr_msb 0                        ;  msbs: dst=0 src0=0 src1=0 src2=0
	v_dual_mov_b32 v115, v135 :: v_dual_mov_b32 v124, v217
	v_dual_ashrrev_i32 v103, 31, v102 :: v_dual_ashrrev_i32 v105, 31, v104
	v_pk_add_f32 v[122:123], v[122:123], v[126:127]
	s_set_vgpr_msb 1                        ;  msbs: dst=0 src0=1 src1=0 src2=0
	v_pk_fma_f32 v[126:127], v[38:39] /*v[294:295]*/, v[210:211], v[130:131] neg_lo:[0,0,1] neg_hi:[0,0,1]
	s_set_vgpr_msb 0                        ;  msbs: dst=0 src0=0 src1=0 src2=0
	v_mov_b32_e32 v127, v125
	s_set_vgpr_msb 1                        ;  msbs: dst=0 src0=1 src1=0 src2=0
	v_pk_fma_f32 v[130:131], v[40:41] /*v[296:297]*/, v[212:213], v[116:117] op_sel_hi:[1,0,1]
	v_pk_fma_f32 v[116:117], v[40:41] /*v[296:297]*/, v[212:213], v[116:117] neg_lo:[0,0,1] neg_hi:[0,0,1]
	s_set_vgpr_msb 0                        ;  msbs: dst=0 src0=0 src1=0 src2=0
	v_pk_add_f32 v[114:115], v[122:123], v[114:115]
	s_set_vgpr_msb 1                        ;  msbs: dst=0 src0=1 src1=0 src2=0
	v_pk_fma_f32 v[122:123], v[58:59] /*v[314:315]*/, v[214:215], v[128:129] op_sel_hi:[1,0,1]
	s_set_vgpr_msb 0                        ;  msbs: dst=0 src0=0 src1=0 src2=0
	v_pk_mul_f32 v[118:119], v[118:119], v[124:125] op_sel_hi:[1,0]
	v_mov_b32_e32 v117, v131
	s_wait_loadcnt 0x1
	s_set_vgpr_msb 5                        ;  msbs: dst=0 src0=1 src1=1 src2=0
	v_pk_mul_f32 v[124:125], v[62:63] /*v[318:319]*/, v[18:19] /*v[274:275]*/ op_sel:[1,1] op_sel_hi:[0,1]
	s_set_vgpr_msb 0                        ;  msbs: dst=0 src0=0 src1=0 src2=0
	v_pk_add_f32 v[114:115], v[114:115], v[126:127]
	s_set_vgpr_msb 1                        ;  msbs: dst=0 src0=1 src1=0 src2=0
	v_pk_fma_f32 v[126:127], v[58:59] /*v[314:315]*/, v[214:215], v[128:129] neg_lo:[0,0,1] neg_hi:[0,0,1]
	s_set_vgpr_msb 0                        ;  msbs: dst=0 src0=0 src1=0 src2=0
	v_mov_b32_e32 v127, v123
	s_set_vgpr_msb 1                        ;  msbs: dst=0 src0=1 src1=0 src2=0
	v_pk_fma_f32 v[122:123], v[60:61] /*v[316:317]*/, v[216:217], v[118:119] op_sel_hi:[1,0,1]
	v_pk_fma_f32 v[118:119], v[60:61] /*v[316:317]*/, v[216:217], v[118:119] neg_lo:[0,0,1] neg_hi:[0,0,1]
	s_set_vgpr_msb 0                        ;  msbs: dst=0 src0=0 src1=0 src2=0
	v_pk_add_f32 v[114:115], v[114:115], v[116:117]
	s_set_vgpr_msb 5                        ;  msbs: dst=0 src0=1 src1=1 src2=0
	v_mov_b32_e32 v116, v21 /*v277*/
	v_pk_fma_f32 v[128:129], v[62:63] /*v[318:319]*/, v[18:19] /*v[274:275]*/, v[124:125] op_sel_hi:[1,0,1]
	s_set_vgpr_msb 0                        ;  msbs: dst=0 src0=0 src1=0 src2=0
	v_dual_mov_b32 v119, v123 :: v_dual_ashrrev_i32 v107, 31, v106
	v_ashrrev_i32_e32 v109, 31, v108
	v_pk_add_f32 v[114:115], v[114:115], v[126:127]
	v_pk_mul_f32 v[116:117], v[120:121], v[116:117] op_sel_hi:[1,0]
	s_set_vgpr_msb 5                        ;  msbs: dst=0 src0=1 src1=1 src2=0
	v_pk_fma_f32 v[120:121], v[62:63] /*v[318:319]*/, v[18:19] /*v[274:275]*/, v[124:125] neg_lo:[0,0,1] neg_hi:[0,0,1]
	s_set_vgpr_msb 0                        ;  msbs: dst=0 src0=0 src1=0 src2=0
	v_dual_mov_b32 v121, v129 :: v_dual_ashrrev_i32 v111, 31, v110
	v_ashrrev_i32_e32 v113, 31, v112
	v_pk_add_f32 v[114:115], v[114:115], v[118:119]
	s_set_vgpr_msb 5                        ;  msbs: dst=0 src0=1 src1=1 src2=0
	v_pk_fma_f32 v[118:119], v[64:65] /*v[320:321]*/, v[20:21] /*v[276:277]*/, v[116:117] op_sel_hi:[1,0,1]
	v_pk_fma_f32 v[116:117], v[64:65] /*v[320:321]*/, v[20:21] /*v[276:277]*/, v[116:117] neg_lo:[0,0,1] neg_hi:[0,0,1]
	s_set_vgpr_msb 0                        ;  msbs: dst=0 src0=0 src1=0 src2=0
	v_ashrrev_i32_e32 v97, 31, v96
	v_pk_add_f32 v[114:115], v[114:115], v[120:121]
	v_mov_b32_e32 v117, v119
	s_delay_alu instid0(VALU_DEP_1) | instskip(SKIP_2) | instid1(VALU_DEP_1)
	v_pk_add_f32 v[114:115], v[114:115], v[116:117]
	s_wait_loadcnt 0x0
	s_set_vgpr_msb 1                        ;  msbs: dst=0 src0=1 src1=0 src2=0
	v_pk_add_f32 v[114:115], v[74:75] /*v[330:331]*/, v[114:115] neg_lo:[0,1] neg_hi:[0,1]
	scratch_store_b64 off, v[114:115], off offset:8
	s_wait_xcnt 0x0
	v_cmpx_ne_u32_e32 0, v0
	s_set_vgpr_msb 0                        ;  msbs: dst=0 src0=0 src1=0 src2=0
	s_cbranch_execz .LBB55_349
; %bb.348:
	scratch_load_b64 v[114:115], off, off
	v_mov_b64_e32 v[116:117], 0
	scratch_store_b64 off, v[116:117], off
	s_wait_loadcnt 0x0
	ds_store_b64 v1, v[114:115]
.LBB55_349:
	s_wait_xcnt 0x0
	s_or_b32 exec_lo, exec_lo, s0
	s_wait_storecnt_dscnt 0x0
	s_barrier_signal -1
	s_barrier_wait -1
	s_clause 0xf
	scratch_load_b128 v[120:123], off, off offset:8
	scratch_load_b128 v[128:131], off, off offset:24
	;; [unrolled: 1-line block ×16, first 2 shown]
	v_mov_b32_e32 v114, 0
	s_clause 0x4
	scratch_load_b128 v[248:251], off, off offset:264
	s_set_vgpr_msb 64                       ;  msbs: dst=1 src0=0 src1=0 src2=0
	scratch_load_b128 v[0:3] /*v[256:259]*/, off, off offset:280
	scratch_load_b128 v[8:11] /*v[264:267]*/, off, off offset:296
	;; [unrolled: 1-line block ×3, first 2 shown]
	s_set_vgpr_msb 0                        ;  msbs: dst=0 src0=0 src1=0 src2=0
	ds_load_2addr_b64 v[116:119], v114 offset0:57 offset1:58
	ds_load_2addr_b64 v[124:127], v114 offset0:59 offset1:60
	s_set_vgpr_msb 64                       ;  msbs: dst=1 src0=0 src1=0 src2=0
	s_clause 0x3
	scratch_load_b128 v[24:27] /*v[280:283]*/, off, off offset:328
	scratch_load_b128 v[32:35] /*v[288:291]*/, off, off offset:344
	;; [unrolled: 1-line block ×4, first 2 shown]
	s_and_b32 vcc_lo, exec_lo, s18
	s_wait_loadcnt_dscnt 0x1701
	s_set_vgpr_msb 0                        ;  msbs: dst=0 src0=0 src1=0 src2=0
	v_dual_mul_f32 v0, v116, v121 :: v_dual_mul_f32 v1, v118, v123
	ds_load_2addr_b64 v[132:135], v114 offset0:61 offset1:62
	ds_load_2addr_b64 v[140:143], v114 offset0:63 offset1:64
	;; [unrolled: 1-line block ×4, first 2 shown]
	v_dual_fmac_f32 v0, v117, v120 :: v_dual_fmac_f32 v1, v119, v122
	ds_load_2addr_b64 v[164:167], v114 offset0:69 offset1:70
	ds_load_2addr_b64 v[172:175], v114 offset0:71 offset1:72
	;; [unrolled: 1-line block ×4, first 2 shown]
	v_add_f32_e32 v0, 0, v0
	ds_load_2addr_b64 v[196:199], v114 offset0:77 offset1:78
	ds_load_2addr_b64 v[204:207], v114 offset0:79 offset1:80
	;; [unrolled: 1-line block ×4, first 2 shown]
	v_add_f32_e32 v0, v0, v1
	s_wait_loadcnt_dscnt 0x160c
	v_mul_f32_e32 v1, v124, v129
	ds_load_2addr_b64 v[228:231], v114 offset0:85 offset1:86
	ds_load_2addr_b64 v[236:239], v114 offset0:87 offset1:88
	;; [unrolled: 1-line block ×4, first 2 shown]
	v_fmac_f32_e32 v1, v125, v128
	s_set_vgpr_msb 64                       ;  msbs: dst=1 src0=0 src1=0 src2=0
	ds_load_2addr_b64 v[4:7] /*v[260:263]*/, v114 offset0:93 offset1:94
	ds_load_2addr_b64 v[12:15] /*v[268:271]*/, v114 offset0:95 offset1:96
	;; [unrolled: 1-line block ×4, first 2 shown]
	s_set_vgpr_msb 0                        ;  msbs: dst=0 src0=0 src1=0 src2=0
	v_dual_add_f32 v0, v0, v1 :: v_dual_mul_f32 v1, v126, v131
	s_set_vgpr_msb 64                       ;  msbs: dst=1 src0=0 src1=0 src2=0
	ds_load_2addr_b64 v[36:39] /*v[292:295]*/, v114 offset0:101 offset1:102
	ds_load_2addr_b64 v[44:47] /*v[300:303]*/, v114 offset0:103 offset1:104
	s_set_vgpr_msb 0                        ;  msbs: dst=0 src0=0 src1=0 src2=0
	v_mul_f32_e32 v115, v119, v123
	s_set_vgpr_msb 64                       ;  msbs: dst=1 src0=0 src1=0 src2=0
	s_clause 0x3
	scratch_load_b128 v[52:55] /*v[308:311]*/, off, off offset:392
	scratch_load_b128 v[56:59] /*v[312:315]*/, off, off offset:408
	;; [unrolled: 1-line block ×3, first 2 shown]
	scratch_load_b64 v[68:69] /*v[324:325]*/, off, off offset:440
	s_set_vgpr_msb 0                        ;  msbs: dst=0 src0=0 src1=0 src2=0
	v_fmac_f32_e32 v1, v127, v130
	s_delay_alu instid0(VALU_DEP_1) | instskip(SKIP_2) | instid1(VALU_DEP_1)
	v_dual_fma_f32 v115, v118, v122, -v115 :: v_dual_add_f32 v0, v0, v1
	s_wait_loadcnt_dscnt 0x1915
	v_mul_f32_e32 v1, v132, v137
	v_fmac_f32_e32 v1, v133, v136
	s_delay_alu instid0(VALU_DEP_1)
	v_dual_add_f32 v0, v0, v1 :: v_dual_mul_f32 v1, v134, v139
	s_wait_loadcnt_dscnt 0x400
	s_set_vgpr_msb 0x45                     ;  msbs: dst=1 src0=1 src1=1 src2=0
	v_dual_mul_f32 v65 /*v321*/, v38 /*v294*/, v43 /*v299*/ :: v_dual_mul_f32 v67 /*v323*/, v44 /*v300*/, v49 /*v305*/
	s_set_vgpr_msb 0                        ;  msbs: dst=0 src0=0 src1=0 src2=0
	v_fmac_f32_e32 v1, v135, v138
	s_set_vgpr_msb 0x45                     ;  msbs: dst=1 src0=1 src1=1 src2=0
	s_delay_alu instid0(VALU_DEP_2) | instskip(SKIP_1) | instid1(VALU_DEP_2)
	v_dual_fmac_f32 v65 /*v321*/, v39 /*v295*/, v42 /*v298*/ :: v_dual_fmac_f32 v67 /*v323*/, v45 /*v301*/, v48 /*v304*/
	s_set_vgpr_msb 0                        ;  msbs: dst=0 src0=0 src1=0 src2=0
	v_add_f32_e32 v0, v0, v1
	v_mul_f32_e32 v1, v140, v145
	s_delay_alu instid0(VALU_DEP_1) | instskip(NEXT) | instid1(VALU_DEP_1)
	v_fmac_f32_e32 v1, v141, v144
	v_dual_add_f32 v0, v0, v1 :: v_dual_mul_f32 v1, v142, v147
	s_delay_alu instid0(VALU_DEP_1) | instskip(NEXT) | instid1(VALU_DEP_1)
	v_fmac_f32_e32 v1, v143, v146
	v_add_f32_e32 v0, v0, v1
	v_mul_f32_e32 v1, v148, v153
	s_delay_alu instid0(VALU_DEP_1) | instskip(NEXT) | instid1(VALU_DEP_1)
	v_fmac_f32_e32 v1, v149, v152
	v_dual_add_f32 v0, v0, v1 :: v_dual_mul_f32 v1, v150, v155
	s_delay_alu instid0(VALU_DEP_1) | instskip(NEXT) | instid1(VALU_DEP_1)
	v_fmac_f32_e32 v1, v151, v154
	;; [unrolled: 7-line block ×14, first 2 shown]
	v_add_f32_e32 v0, v0, v1
	s_set_vgpr_msb 4                        ;  msbs: dst=0 src0=0 src1=1 src2=0
	v_mul_f32_e32 v1, v252, v1 /*v257*/
	s_delay_alu instid0(VALU_DEP_1) | instskip(SKIP_1) | instid1(VALU_DEP_1)
	v_fmac_f32_e32 v1, v253, v0 /*v256*/
	s_set_vgpr_msb 0                        ;  msbs: dst=0 src0=0 src1=0 src2=0
	v_add_f32_e32 v0, v0, v1
	s_set_vgpr_msb 4                        ;  msbs: dst=0 src0=0 src1=1 src2=0
	v_mul_f32_e32 v1, v254, v3 /*v259*/
	s_delay_alu instid0(VALU_DEP_1) | instskip(SKIP_1) | instid1(VALU_DEP_1)
	v_fmac_f32_e32 v1, v255, v2 /*v258*/
	s_set_vgpr_msb 0                        ;  msbs: dst=0 src0=0 src1=0 src2=0
	v_add_f32_e32 v0, v0, v1
	s_set_vgpr_msb 5                        ;  msbs: dst=0 src0=1 src1=1 src2=0
	v_mul_f32_e32 v1, v4 /*v260*/, v9 /*v265*/
	s_delay_alu instid0(VALU_DEP_1) | instskip(SKIP_1) | instid1(VALU_DEP_1)
	v_fmac_f32_e32 v1, v5 /*v261*/, v8 /*v264*/
	s_set_vgpr_msb 0                        ;  msbs: dst=0 src0=0 src1=0 src2=0
	v_add_f32_e32 v0, v0, v1
	s_set_vgpr_msb 5                        ;  msbs: dst=0 src0=1 src1=1 src2=0
	v_mul_f32_e32 v1, v6 /*v262*/, v11 /*v267*/
	s_delay_alu instid0(VALU_DEP_1) | instskip(SKIP_1) | instid1(VALU_DEP_1)
	v_fmac_f32_e32 v1, v7 /*v263*/, v10 /*v266*/
	;; [unrolled: 6-line block ×9, first 2 shown]
	s_set_vgpr_msb 0                        ;  msbs: dst=0 src0=0 src1=0 src2=0
	v_add_f32_e32 v1, v0, v1
	v_mul_f32_e32 v0, v117, v121
	s_delay_alu instid0(VALU_DEP_1) | instskip(NEXT) | instid1(VALU_DEP_1)
	v_fma_f32 v0, v116, v120, -v0
	v_add_f32_e32 v0, 0, v0
	s_delay_alu instid0(VALU_DEP_1) | instskip(NEXT) | instid1(VALU_DEP_1)
	v_dual_add_f32 v0, v0, v115 :: v_dual_mul_f32 v115, v125, v129
	v_fma_f32 v115, v124, v128, -v115
	s_delay_alu instid0(VALU_DEP_1) | instskip(SKIP_4) | instid1(VALU_DEP_2)
	v_add_f32_e32 v0, v0, v115
	v_mul_f32_e32 v115, v127, v131
	s_set_vgpr_msb 1                        ;  msbs: dst=0 src0=1 src1=0 src2=0
	v_mov_b32_e32 v131, v46 /*v302*/
	s_set_vgpr_msb 0                        ;  msbs: dst=0 src0=0 src1=0 src2=0
	v_fma_f32 v115, v126, v130, -v115
	s_set_vgpr_msb 1                        ;  msbs: dst=0 src0=1 src1=0 src2=0
	v_mov_b32_e32 v130, v47 /*v303*/
	s_set_vgpr_msb 0                        ;  msbs: dst=0 src0=0 src1=0 src2=0
	ds_load_2addr_b64 v[116:119], v114 offset0:105 offset1:106
	ds_load_2addr_b64 v[120:123], v114 offset0:107 offset1:108
	;; [unrolled: 1-line block ×3, first 2 shown]
	ds_load_b64 v[128:129], v114 offset:888
	v_dual_add_f32 v0, v0, v115 :: v_dual_mul_f32 v115, v133, v137
	s_delay_alu instid0(VALU_DEP_1) | instskip(SKIP_3) | instid1(VALU_DEP_2)
	v_fma_f32 v115, v132, v136, -v115
	s_set_vgpr_msb 1                        ;  msbs: dst=0 src0=1 src1=0 src2=0
	v_mov_b32_e32 v132, v51 /*v307*/
	s_set_vgpr_msb 0                        ;  msbs: dst=0 src0=0 src1=0 src2=0
	v_add_f32_e32 v0, v0, v115
	v_mul_f32_e32 v115, v135, v139
	s_delay_alu instid0(VALU_DEP_3) | instskip(NEXT) | instid1(VALU_DEP_2)
	v_pk_mul_f32 v[130:131], v[130:131], v[132:133] op_sel_hi:[1,0]
	v_fma_f32 v115, v134, v138, -v115
	s_set_vgpr_msb 5                        ;  msbs: dst=0 src0=1 src1=1 src2=0
	s_delay_alu instid0(VALU_DEP_2) | instskip(SKIP_3) | instid1(VALU_DEP_2)
	v_pk_fma_f32 v[132:133], v[46:47] /*v[302:303]*/, v[50:51] /*v[306:307]*/, v[130:131] neg_lo:[0,0,1] neg_hi:[0,0,1]
	v_pk_fma_f32 v[130:131], v[46:47] /*v[302:303]*/, v[50:51] /*v[306:307]*/, v[130:131] op_sel_hi:[1,0,1]
	s_set_vgpr_msb 0                        ;  msbs: dst=0 src0=0 src1=0 src2=0
	v_dual_add_f32 v0, v0, v115 :: v_dual_mul_f32 v115, v141, v145
	v_mov_b32_e32 v133, v131
	s_wait_loadcnt_dscnt 0x303
	s_set_vgpr_msb 4                        ;  msbs: dst=0 src0=0 src1=1 src2=0
	v_pk_mul_f32 v[130:131], v[116:117], v[52:53] /*v[308:309]*/ op_sel:[1,1] op_sel_hi:[0,1]
	s_set_vgpr_msb 0                        ;  msbs: dst=0 src0=0 src1=0 src2=0
	v_fma_f32 v115, v140, v144, -v115
	s_delay_alu instid0(VALU_DEP_1) | instskip(SKIP_1) | instid1(VALU_DEP_1)
	v_add_f32_e32 v0, v0, v115
	v_mul_f32_e32 v115, v143, v147
	v_fma_f32 v115, v142, v146, -v115
	s_delay_alu instid0(VALU_DEP_1) | instskip(NEXT) | instid1(VALU_DEP_1)
	v_dual_add_f32 v0, v0, v115 :: v_dual_mul_f32 v115, v149, v153
	v_fma_f32 v115, v148, v152, -v115
	s_delay_alu instid0(VALU_DEP_1) | instskip(SKIP_1) | instid1(VALU_DEP_1)
	v_add_f32_e32 v0, v0, v115
	v_mul_f32_e32 v115, v151, v155
	v_fma_f32 v115, v150, v154, -v115
	s_delay_alu instid0(VALU_DEP_1) | instskip(NEXT) | instid1(VALU_DEP_1)
	v_dual_add_f32 v0, v0, v115 :: v_dual_mul_f32 v115, v157, v161
	v_fma_f32 v115, v156, v160, -v115
	s_delay_alu instid0(VALU_DEP_1) | instskip(SKIP_1) | instid1(VALU_DEP_1)
	v_add_f32_e32 v0, v0, v115
	v_mul_f32_e32 v115, v159, v163
	v_fma_f32 v115, v158, v162, -v115
	s_delay_alu instid0(VALU_DEP_1) | instskip(NEXT) | instid1(VALU_DEP_1)
	v_dual_add_f32 v0, v0, v115 :: v_dual_mul_f32 v115, v165, v169
	v_fma_f32 v115, v164, v168, -v115
	s_delay_alu instid0(VALU_DEP_1) | instskip(SKIP_1) | instid1(VALU_DEP_1)
	v_add_f32_e32 v0, v0, v115
	v_mul_f32_e32 v115, v167, v171
	v_fma_f32 v115, v166, v170, -v115
	s_delay_alu instid0(VALU_DEP_1) | instskip(NEXT) | instid1(VALU_DEP_1)
	v_dual_add_f32 v0, v0, v115 :: v_dual_mul_f32 v115, v173, v177
	v_fma_f32 v115, v172, v176, -v115
	s_delay_alu instid0(VALU_DEP_1) | instskip(SKIP_1) | instid1(VALU_DEP_1)
	v_add_f32_e32 v0, v0, v115
	v_mul_f32_e32 v115, v175, v179
	v_fma_f32 v115, v174, v178, -v115
	s_delay_alu instid0(VALU_DEP_1) | instskip(NEXT) | instid1(VALU_DEP_1)
	v_dual_add_f32 v0, v0, v115 :: v_dual_mul_f32 v115, v181, v185
	v_fma_f32 v115, v180, v184, -v115
	s_delay_alu instid0(VALU_DEP_1) | instskip(SKIP_1) | instid1(VALU_DEP_1)
	v_add_f32_e32 v0, v0, v115
	v_mul_f32_e32 v115, v183, v187
	v_fma_f32 v115, v182, v186, -v115
	s_delay_alu instid0(VALU_DEP_1) | instskip(NEXT) | instid1(VALU_DEP_1)
	v_dual_add_f32 v0, v0, v115 :: v_dual_mul_f32 v115, v189, v193
	v_fma_f32 v115, v188, v192, -v115
	s_delay_alu instid0(VALU_DEP_1) | instskip(SKIP_1) | instid1(VALU_DEP_1)
	v_add_f32_e32 v0, v0, v115
	v_mul_f32_e32 v115, v191, v195
	v_fma_f32 v115, v190, v194, -v115
	s_delay_alu instid0(VALU_DEP_1) | instskip(NEXT) | instid1(VALU_DEP_1)
	v_dual_add_f32 v0, v0, v115 :: v_dual_mul_f32 v115, v197, v201
	v_fma_f32 v115, v196, v200, -v115
	s_delay_alu instid0(VALU_DEP_1) | instskip(SKIP_1) | instid1(VALU_DEP_1)
	v_add_f32_e32 v0, v0, v115
	v_mul_f32_e32 v115, v199, v203
	v_fma_f32 v115, v198, v202, -v115
	s_delay_alu instid0(VALU_DEP_1) | instskip(NEXT) | instid1(VALU_DEP_1)
	v_dual_add_f32 v0, v0, v115 :: v_dual_mul_f32 v115, v205, v209
	v_fma_f32 v115, v204, v208, -v115
	s_delay_alu instid0(VALU_DEP_1) | instskip(SKIP_1) | instid1(VALU_DEP_1)
	v_add_f32_e32 v0, v0, v115
	v_mul_f32_e32 v115, v207, v211
	v_fma_f32 v115, v206, v210, -v115
	s_delay_alu instid0(VALU_DEP_1) | instskip(NEXT) | instid1(VALU_DEP_1)
	v_dual_add_f32 v0, v0, v115 :: v_dual_mul_f32 v115, v213, v217
	v_fma_f32 v115, v212, v216, -v115
	s_delay_alu instid0(VALU_DEP_1) | instskip(SKIP_1) | instid1(VALU_DEP_1)
	v_add_f32_e32 v0, v0, v115
	v_mul_f32_e32 v115, v215, v219
	v_fma_f32 v115, v214, v218, -v115
	s_delay_alu instid0(VALU_DEP_1) | instskip(NEXT) | instid1(VALU_DEP_1)
	v_dual_add_f32 v0, v0, v115 :: v_dual_mul_f32 v115, v221, v225
	v_fma_f32 v115, v220, v224, -v115
	s_delay_alu instid0(VALU_DEP_1) | instskip(SKIP_1) | instid1(VALU_DEP_1)
	v_add_f32_e32 v0, v0, v115
	v_mul_f32_e32 v115, v223, v227
	v_fma_f32 v115, v222, v226, -v115
	s_delay_alu instid0(VALU_DEP_1) | instskip(NEXT) | instid1(VALU_DEP_1)
	v_dual_add_f32 v0, v0, v115 :: v_dual_mul_f32 v115, v229, v233
	v_fma_f32 v115, v228, v232, -v115
	s_delay_alu instid0(VALU_DEP_1) | instskip(SKIP_1) | instid1(VALU_DEP_1)
	v_add_f32_e32 v0, v0, v115
	v_mul_f32_e32 v115, v231, v235
	v_fma_f32 v115, v230, v234, -v115
	s_delay_alu instid0(VALU_DEP_1) | instskip(NEXT) | instid1(VALU_DEP_1)
	v_dual_add_f32 v0, v0, v115 :: v_dual_mul_f32 v115, v237, v241
	v_fma_f32 v115, v236, v240, -v115
	s_delay_alu instid0(VALU_DEP_1) | instskip(SKIP_1) | instid1(VALU_DEP_1)
	v_add_f32_e32 v0, v0, v115
	v_mul_f32_e32 v115, v239, v243
	v_fma_f32 v115, v238, v242, -v115
	s_delay_alu instid0(VALU_DEP_1) | instskip(NEXT) | instid1(VALU_DEP_1)
	v_dual_add_f32 v0, v0, v115 :: v_dual_mul_f32 v115, v245, v249
	v_fma_f32 v115, v244, v248, -v115
	s_delay_alu instid0(VALU_DEP_1) | instskip(SKIP_1) | instid1(VALU_DEP_1)
	v_add_f32_e32 v0, v0, v115
	v_mul_f32_e32 v115, v247, v251
	v_fma_f32 v115, v246, v250, -v115
	s_delay_alu instid0(VALU_DEP_1) | instskip(SKIP_2) | instid1(VALU_DEP_1)
	v_add_f32_e32 v0, v0, v115
	s_set_vgpr_msb 4                        ;  msbs: dst=0 src0=0 src1=1 src2=0
	v_mul_f32_e32 v115, v253, v1 /*v257*/
	v_fma_f32 v115, v252, v0 /*v256*/, -v115
	s_set_vgpr_msb 0                        ;  msbs: dst=0 src0=0 src1=0 src2=0
	s_delay_alu instid0(VALU_DEP_1) | instskip(SKIP_2) | instid1(VALU_DEP_1)
	v_add_f32_e32 v0, v0, v115
	s_set_vgpr_msb 4                        ;  msbs: dst=0 src0=0 src1=1 src2=0
	v_mul_f32_e32 v115, v255, v3 /*v259*/
	v_fma_f32 v115, v254, v2 /*v258*/, -v115
	s_set_vgpr_msb 0                        ;  msbs: dst=0 src0=0 src1=0 src2=0
	s_delay_alu instid0(VALU_DEP_1) | instskip(SKIP_2) | instid1(VALU_DEP_1)
	v_add_f32_e32 v0, v0, v115
	s_set_vgpr_msb 5                        ;  msbs: dst=0 src0=1 src1=1 src2=0
	v_mul_f32_e32 v115, v5 /*v261*/, v9 /*v265*/
	v_fma_f32 v115, v4 /*v260*/, v8 /*v264*/, -v115
	s_set_vgpr_msb 0                        ;  msbs: dst=0 src0=0 src1=0 src2=0
	s_delay_alu instid0(VALU_DEP_1) | instskip(SKIP_2) | instid1(VALU_DEP_1)
	v_add_f32_e32 v0, v0, v115
	s_set_vgpr_msb 5                        ;  msbs: dst=0 src0=1 src1=1 src2=0
	v_mul_f32_e32 v115, v7 /*v263*/, v11 /*v267*/
	v_fma_f32 v115, v6 /*v262*/, v10 /*v266*/, -v115
	s_set_vgpr_msb 0                        ;  msbs: dst=0 src0=0 src1=0 src2=0
	s_delay_alu instid0(VALU_DEP_1) | instskip(SKIP_2) | instid1(VALU_DEP_1)
	v_add_f32_e32 v0, v0, v115
	s_set_vgpr_msb 5                        ;  msbs: dst=0 src0=1 src1=1 src2=0
	v_mul_f32_e32 v115, v13 /*v269*/, v17 /*v273*/
	v_fma_f32 v115, v12 /*v268*/, v16 /*v272*/, -v115
	s_set_vgpr_msb 0                        ;  msbs: dst=0 src0=0 src1=0 src2=0
	s_delay_alu instid0(VALU_DEP_1) | instskip(SKIP_2) | instid1(VALU_DEP_1)
	v_add_f32_e32 v0, v0, v115
	s_set_vgpr_msb 5                        ;  msbs: dst=0 src0=1 src1=1 src2=0
	v_mul_f32_e32 v115, v15 /*v271*/, v19 /*v275*/
	v_fma_f32 v115, v14 /*v270*/, v18 /*v274*/, -v115
	s_set_vgpr_msb 0                        ;  msbs: dst=0 src0=0 src1=0 src2=0
	s_delay_alu instid0(VALU_DEP_1) | instskip(SKIP_2) | instid1(VALU_DEP_1)
	v_add_f32_e32 v0, v0, v115
	s_set_vgpr_msb 5                        ;  msbs: dst=0 src0=1 src1=1 src2=0
	v_mul_f32_e32 v115, v21 /*v277*/, v25 /*v281*/
	v_fma_f32 v115, v20 /*v276*/, v24 /*v280*/, -v115
	s_set_vgpr_msb 0                        ;  msbs: dst=0 src0=0 src1=0 src2=0
	s_delay_alu instid0(VALU_DEP_1) | instskip(SKIP_2) | instid1(VALU_DEP_1)
	v_add_f32_e32 v0, v0, v115
	s_set_vgpr_msb 5                        ;  msbs: dst=0 src0=1 src1=1 src2=0
	v_mul_f32_e32 v115, v23 /*v279*/, v27 /*v283*/
	v_fma_f32 v115, v22 /*v278*/, v26 /*v282*/, -v115
	s_set_vgpr_msb 0                        ;  msbs: dst=0 src0=0 src1=0 src2=0
	s_delay_alu instid0(VALU_DEP_1) | instskip(SKIP_2) | instid1(VALU_DEP_1)
	v_add_f32_e32 v0, v0, v115
	s_set_vgpr_msb 5                        ;  msbs: dst=0 src0=1 src1=1 src2=0
	v_mul_f32_e32 v115, v29 /*v285*/, v33 /*v289*/
	v_fma_f32 v115, v28 /*v284*/, v32 /*v288*/, -v115
	s_set_vgpr_msb 0                        ;  msbs: dst=0 src0=0 src1=0 src2=0
	s_delay_alu instid0(VALU_DEP_1) | instskip(SKIP_2) | instid1(VALU_DEP_1)
	v_add_f32_e32 v0, v0, v115
	s_set_vgpr_msb 5                        ;  msbs: dst=0 src0=1 src1=1 src2=0
	v_mul_f32_e32 v115, v31 /*v287*/, v35 /*v291*/
	v_fma_f32 v115, v30 /*v286*/, v34 /*v290*/, -v115
	s_set_vgpr_msb 0                        ;  msbs: dst=0 src0=0 src1=0 src2=0
	s_delay_alu instid0(VALU_DEP_1) | instskip(SKIP_2) | instid1(VALU_DEP_1)
	v_add_f32_e32 v0, v0, v115
	s_set_vgpr_msb 5                        ;  msbs: dst=0 src0=1 src1=1 src2=0
	v_mul_f32_e32 v115, v37 /*v293*/, v41 /*v297*/
	v_fma_f32 v115, v36 /*v292*/, v40 /*v296*/, -v115
	s_set_vgpr_msb 0                        ;  msbs: dst=0 src0=0 src1=0 src2=0
	s_delay_alu instid0(VALU_DEP_1) | instskip(SKIP_3) | instid1(VALU_DEP_1)
	v_add_f32_e32 v0, v0, v115
	s_set_vgpr_msb 5                        ;  msbs: dst=0 src0=1 src1=1 src2=0
	v_mul_f32_e32 v115, v39 /*v295*/, v43 /*v299*/
	s_set_vgpr_msb 0x45                     ;  msbs: dst=1 src0=1 src1=1 src2=0
	v_fma_f32 v64 /*v320*/, v38 /*v294*/, v42 /*v298*/, -v115
	s_set_vgpr_msb 5                        ;  msbs: dst=0 src0=1 src1=1 src2=0
	v_mul_f32_e32 v115, v45 /*v301*/, v49 /*v305*/
	s_set_vgpr_msb 0x45                     ;  msbs: dst=1 src0=1 src1=1 src2=0
	s_delay_alu instid0(VALU_DEP_1) | instskip(SKIP_2) | instid1(VALU_DEP_1)
	v_fma_f32 v66 /*v322*/, v44 /*v300*/, v48 /*v304*/, -v115
	s_set_vgpr_msb 4                        ;  msbs: dst=0 src0=0 src1=1 src2=0
	v_pk_add_f32 v[0:1], v[0:1], v[64:65] /*v[320:321]*/
	v_pk_add_f32 v[0:1], v[0:1], v[66:67] /*v[322:323]*/
	s_set_vgpr_msb 0                        ;  msbs: dst=0 src0=0 src1=0 src2=0
	s_delay_alu instid0(VALU_DEP_1)
	v_pk_add_f32 v[0:1], v[0:1], v[132:133]
	s_set_vgpr_msb 4                        ;  msbs: dst=0 src0=0 src1=1 src2=0
	v_pk_fma_f32 v[132:133], v[116:117], v[52:53] /*v[308:309]*/, v[130:131] neg_lo:[0,0,1] neg_hi:[0,0,1]
	v_pk_fma_f32 v[116:117], v[116:117], v[52:53] /*v[308:309]*/, v[130:131] op_sel_hi:[1,0,1]
	v_mov_b32_e32 v116, v119
	s_set_vgpr_msb 1                        ;  msbs: dst=0 src0=1 src1=0 src2=0
	v_mov_b32_e32 v130, v55 /*v311*/
	s_set_vgpr_msb 0                        ;  msbs: dst=0 src0=0 src1=0 src2=0
	v_dual_mov_b32 v133, v117 :: v_dual_mov_b32 v117, v118
	s_delay_alu instid0(VALU_DEP_1) | instskip(NEXT) | instid1(VALU_DEP_2)
	v_pk_add_f32 v[0:1], v[0:1], v[132:133]
	v_pk_mul_f32 v[116:117], v[116:117], v[130:131] op_sel_hi:[1,0]
	s_set_vgpr_msb 4                        ;  msbs: dst=0 src0=0 src1=1 src2=0
	s_delay_alu instid0(VALU_DEP_1) | instskip(SKIP_1) | instid1(VALU_DEP_1)
	v_pk_fma_f32 v[130:131], v[118:119], v[54:55] /*v[310:311]*/, v[116:117] neg_lo:[0,0,1] neg_hi:[0,0,1]
	v_pk_fma_f32 v[116:117], v[118:119], v[54:55] /*v[310:311]*/, v[116:117] op_sel_hi:[1,0,1]
	v_mov_b32_e32 v131, v117
	s_wait_loadcnt_dscnt 0x202
	v_pk_mul_f32 v[116:117], v[120:121], v[56:57] /*v[312:313]*/ op_sel:[1,1] op_sel_hi:[0,1]
	s_set_vgpr_msb 0                        ;  msbs: dst=0 src0=0 src1=0 src2=0
	s_delay_alu instid0(VALU_DEP_2) | instskip(SKIP_1) | instid1(VALU_DEP_2)
	v_pk_add_f32 v[0:1], v[0:1], v[130:131]
	s_set_vgpr_msb 4                        ;  msbs: dst=0 src0=0 src1=1 src2=0
	v_pk_fma_f32 v[118:119], v[120:121], v[56:57] /*v[312:313]*/, v[116:117] neg_lo:[0,0,1] neg_hi:[0,0,1]
	v_pk_fma_f32 v[116:117], v[120:121], v[56:57] /*v[312:313]*/, v[116:117] op_sel_hi:[1,0,1]
	s_delay_alu instid0(VALU_DEP_1) | instskip(SKIP_2) | instid1(VALU_DEP_2)
	v_dual_mov_b32 v116, v123 :: v_dual_mov_b32 v119, v117
	v_mov_b32_e32 v117, v122
	s_set_vgpr_msb 0                        ;  msbs: dst=0 src0=0 src1=0 src2=0
	v_pk_add_f32 v[0:1], v[0:1], v[118:119]
	s_set_vgpr_msb 1                        ;  msbs: dst=0 src0=1 src1=0 src2=0
	v_mov_b32_e32 v118, v59 /*v315*/
	s_set_vgpr_msb 0                        ;  msbs: dst=0 src0=0 src1=0 src2=0
	s_delay_alu instid0(VALU_DEP_1) | instskip(SKIP_1) | instid1(VALU_DEP_1)
	v_pk_mul_f32 v[116:117], v[116:117], v[118:119] op_sel_hi:[1,0]
	s_set_vgpr_msb 4                        ;  msbs: dst=0 src0=0 src1=1 src2=0
	v_pk_fma_f32 v[118:119], v[122:123], v[58:59] /*v[314:315]*/, v[116:117] neg_lo:[0,0,1] neg_hi:[0,0,1]
	v_pk_fma_f32 v[116:117], v[122:123], v[58:59] /*v[314:315]*/, v[116:117] op_sel_hi:[1,0,1]
	s_delay_alu instid0(VALU_DEP_1) | instskip(SKIP_3) | instid1(VALU_DEP_2)
	v_mov_b32_e32 v119, v117
	s_wait_loadcnt_dscnt 0x101
	v_pk_mul_f32 v[116:117], v[124:125], v[60:61] /*v[316:317]*/ op_sel:[1,1] op_sel_hi:[0,1]
	s_set_vgpr_msb 0                        ;  msbs: dst=0 src0=0 src1=0 src2=0
	v_pk_add_f32 v[0:1], v[0:1], v[118:119]
	s_set_vgpr_msb 4                        ;  msbs: dst=0 src0=0 src1=1 src2=0
	s_delay_alu instid0(VALU_DEP_2) | instskip(SKIP_1) | instid1(VALU_DEP_1)
	v_pk_fma_f32 v[118:119], v[124:125], v[60:61] /*v[316:317]*/, v[116:117] neg_lo:[0,0,1] neg_hi:[0,0,1]
	v_pk_fma_f32 v[116:117], v[124:125], v[60:61] /*v[316:317]*/, v[116:117] op_sel_hi:[1,0,1]
	v_dual_mov_b32 v116, v127 :: v_dual_mov_b32 v119, v117
	v_mov_b32_e32 v117, v126
	s_set_vgpr_msb 0                        ;  msbs: dst=0 src0=0 src1=0 src2=0
	s_delay_alu instid0(VALU_DEP_2) | instskip(SKIP_3) | instid1(VALU_DEP_1)
	v_pk_add_f32 v[0:1], v[0:1], v[118:119]
	s_set_vgpr_msb 1                        ;  msbs: dst=0 src0=1 src1=0 src2=0
	v_mov_b32_e32 v118, v63 /*v319*/
	s_set_vgpr_msb 0                        ;  msbs: dst=0 src0=0 src1=0 src2=0
	v_pk_mul_f32 v[116:117], v[116:117], v[118:119] op_sel_hi:[1,0]
	s_set_vgpr_msb 4                        ;  msbs: dst=0 src0=0 src1=1 src2=0
	s_delay_alu instid0(VALU_DEP_1) | instskip(SKIP_1) | instid1(VALU_DEP_1)
	v_pk_fma_f32 v[118:119], v[126:127], v[62:63] /*v[318:319]*/, v[116:117] neg_lo:[0,0,1] neg_hi:[0,0,1]
	v_pk_fma_f32 v[116:117], v[126:127], v[62:63] /*v[318:319]*/, v[116:117] op_sel_hi:[1,0,1]
	v_mov_b32_e32 v119, v117
	s_wait_loadcnt_dscnt 0x0
	v_pk_mul_f32 v[116:117], v[128:129], v[68:69] /*v[324:325]*/ op_sel:[1,1] op_sel_hi:[0,1]
	s_set_vgpr_msb 0                        ;  msbs: dst=0 src0=0 src1=0 src2=0
	s_delay_alu instid0(VALU_DEP_2) | instskip(SKIP_1) | instid1(VALU_DEP_2)
	v_pk_add_f32 v[0:1], v[0:1], v[118:119]
	s_set_vgpr_msb 4                        ;  msbs: dst=0 src0=0 src1=1 src2=0
	v_pk_fma_f32 v[118:119], v[128:129], v[68:69] /*v[324:325]*/, v[116:117] neg_lo:[0,0,1] neg_hi:[0,0,1]
	v_pk_fma_f32 v[116:117], v[128:129], v[68:69] /*v[324:325]*/, v[116:117] op_sel_hi:[1,0,1]
	s_delay_alu instid0(VALU_DEP_1) | instskip(SKIP_4) | instid1(VALU_DEP_1)
	v_mov_b32_e32 v119, v117
	scratch_load_b64 v[116:117], off, off
	s_set_vgpr_msb 0                        ;  msbs: dst=0 src0=0 src1=0 src2=0
	v_pk_add_f32 v[0:1], v[0:1], v[118:119]
	s_wait_loadcnt 0x0
	v_pk_add_f32 v[0:1], v[116:117], v[0:1] neg_lo:[0,1] neg_hi:[0,1]
	scratch_store_b64 off, v[0:1], off
	s_cbranch_vccz .LBB55_460
; %bb.350:
	global_load_b32 v0, v114, s[2:3] offset:216
	s_wait_loadcnt 0x0
	v_cmp_ne_u32_e32 vcc_lo, 55, v0
	s_cbranch_vccz .LBB55_352
; %bb.351:
	v_lshlrev_b32_e32 v0, 3, v0
	s_delay_alu instid0(VALU_DEP_1)
	v_mov_b32_e32 v116, v0
	scratch_load_b64 v[0:1], v116, off offset:-8
	scratch_load_b64 v[114:115], off, off offset:432
	s_wait_loadcnt 0x1
	scratch_store_b64 off, v[0:1], off offset:432
	s_wait_loadcnt 0x0
	scratch_store_b64 v116, v[114:115], off offset:-8
.LBB55_352:
	s_wait_xcnt 0x1
	v_mov_b32_e32 v0, 0
	global_load_b32 v1, v0, s[2:3] offset:212
	s_wait_loadcnt 0x0
	v_cmp_eq_u32_e32 vcc_lo, 54, v1
	s_cbranch_vccnz .LBB55_354
; %bb.353:
	v_lshlrev_b32_e32 v1, 3, v1
	scratch_load_b64 v[114:115], v1, off offset:-8
	scratch_load_b64 v[116:117], off, off offset:424
	s_wait_loadcnt 0x1
	scratch_store_b64 off, v[114:115], off offset:424
	s_wait_loadcnt 0x0
	scratch_store_b64 v1, v[116:117], off offset:-8
.LBB55_354:
	global_load_b32 v0, v0, s[2:3] offset:208
	s_wait_loadcnt 0x0
	v_cmp_eq_u32_e32 vcc_lo, 53, v0
	s_cbranch_vccnz .LBB55_356
; %bb.355:
	s_wait_xcnt 0x0
	v_lshlrev_b32_e32 v0, 3, v0
	s_delay_alu instid0(VALU_DEP_1)
	v_mov_b32_e32 v116, v0
	scratch_load_b64 v[0:1], v116, off offset:-8
	scratch_load_b64 v[114:115], off, off offset:416
	s_wait_loadcnt 0x1
	scratch_store_b64 off, v[0:1], off offset:416
	s_wait_loadcnt 0x0
	scratch_store_b64 v116, v[114:115], off offset:-8
.LBB55_356:
	s_wait_xcnt 0x0
	v_mov_b32_e32 v0, 0
	global_load_b32 v1, v0, s[2:3] offset:204
	s_wait_loadcnt 0x0
	v_cmp_eq_u32_e32 vcc_lo, 52, v1
	s_cbranch_vccnz .LBB55_358
; %bb.357:
	v_lshlrev_b32_e32 v1, 3, v1
	scratch_load_b64 v[114:115], v1, off offset:-8
	scratch_load_b64 v[116:117], off, off offset:408
	s_wait_loadcnt 0x1
	scratch_store_b64 off, v[114:115], off offset:408
	s_wait_loadcnt 0x0
	scratch_store_b64 v1, v[116:117], off offset:-8
.LBB55_358:
	global_load_b32 v0, v0, s[2:3] offset:200
	s_wait_loadcnt 0x0
	v_cmp_eq_u32_e32 vcc_lo, 51, v0
	s_cbranch_vccnz .LBB55_360
; %bb.359:
	s_wait_xcnt 0x0
	v_lshlrev_b32_e32 v0, 3, v0
	s_delay_alu instid0(VALU_DEP_1)
	v_mov_b32_e32 v116, v0
	scratch_load_b64 v[0:1], v116, off offset:-8
	scratch_load_b64 v[114:115], off, off offset:400
	s_wait_loadcnt 0x1
	scratch_store_b64 off, v[0:1], off offset:400
	s_wait_loadcnt 0x0
	scratch_store_b64 v116, v[114:115], off offset:-8
.LBB55_360:
	;; [unrolled: 31-line block ×26, first 2 shown]
	s_wait_xcnt 0x0
	v_mov_b32_e32 v0, 0
	global_load_b32 v1, v0, s[2:3] offset:4
	s_wait_loadcnt 0x0
	v_cmp_eq_u32_e32 vcc_lo, 2, v1
	s_cbranch_vccnz .LBB55_458
; %bb.457:
	v_lshlrev_b32_e32 v1, 3, v1
	scratch_load_b64 v[114:115], v1, off offset:-8
	scratch_load_b64 v[116:117], off, off offset:8
	s_wait_loadcnt 0x1
	scratch_store_b64 off, v[114:115], off offset:8
	s_wait_loadcnt 0x0
	scratch_store_b64 v1, v[116:117], off offset:-8
.LBB55_458:
	global_load_b32 v114, v0, s[2:3]
	scratch_load_b64 v[0:1], off, off
	s_wait_loadcnt 0x1
	v_cmp_eq_u32_e32 vcc_lo, 1, v114
	s_cbranch_vccnz .LBB55_460
; %bb.459:
	v_lshlrev_b32_e32 v114, 3, v114
	s_delay_alu instid0(VALU_DEP_1)
	v_mov_b32_e32 v116, v114
	scratch_load_b64 v[114:115], v116, off offset:-8
	s_wait_loadcnt 0x0
	scratch_store_b64 off, v[114:115], off
	scratch_store_b64 v116, v[0:1], off offset:-8
	scratch_load_b64 v[0:1], off, off
.LBB55_460:
	s_clause 0x1b
	scratch_load_b128 v[114:117], off, off offset:8
	scratch_load_b128 v[118:121], off, off offset:24
	scratch_load_b128 v[122:125], off, off offset:40
	scratch_load_b128 v[126:129], off, off offset:56
	scratch_load_b128 v[130:133], off, off offset:72
	scratch_load_b128 v[134:137], off, off offset:88
	scratch_load_b128 v[138:141], off, off offset:104
	scratch_load_b128 v[142:145], off, off offset:120
	scratch_load_b128 v[146:149], off, off offset:136
	scratch_load_b128 v[150:153], off, off offset:152
	scratch_load_b128 v[154:157], off, off offset:168
	scratch_load_b128 v[158:161], off, off offset:184
	scratch_load_b128 v[162:165], off, off offset:200
	scratch_load_b128 v[166:169], off, off offset:216
	scratch_load_b128 v[170:173], off, off offset:232
	scratch_load_b128 v[174:177], off, off offset:248
	scratch_load_b128 v[178:181], off, off offset:264
	scratch_load_b128 v[182:185], off, off offset:280
	scratch_load_b128 v[186:189], off, off offset:296
	scratch_load_b128 v[190:193], off, off offset:312
	scratch_load_b128 v[194:197], off, off offset:328
	scratch_load_b128 v[198:201], off, off offset:344
	scratch_load_b128 v[202:205], off, off offset:360
	scratch_load_b128 v[206:209], off, off offset:376
	scratch_load_b128 v[210:213], off, off offset:392
	scratch_load_b128 v[214:217], off, off offset:408
	scratch_load_b128 v[218:221], off, off offset:424
	scratch_load_b64 v[222:223], off, off offset:440
	v_lshl_add_u64 v[6:7], v[6:7], 3, s[4:5]
	v_lshl_add_u64 v[8:9], v[8:9], 3, s[4:5]
	;; [unrolled: 1-line block ×54, first 2 shown]
	s_wait_loadcnt 0x1c
	global_store_b64 v[2:3], v[0:1], off
	s_wait_loadcnt 0x1b
	s_clause 0x1
	global_store_b64 v[4:5], v[114:115], off
	global_store_b64 v[6:7], v[116:117], off
	s_wait_loadcnt 0x1a
	s_clause 0x1
	global_store_b64 v[8:9], v[118:119], off
	;; [unrolled: 4-line block ×27, first 2 shown]
	global_store_b64 v[110:111], v[220:221], off
	s_wait_loadcnt 0x0
	global_store_b64 v[112:113], v[222:223], off
	s_sendmsg sendmsg(MSG_DEALLOC_VGPRS)
	s_endpgm
	.section	.rodata,"a",@progbits
	.p2align	6, 0x0
	.amdhsa_kernel _ZN9rocsolver6v33100L18getri_kernel_smallILi56E19rocblas_complex_numIfEPS3_EEvT1_iilPiilS6_bb
		.amdhsa_group_segment_fixed_size 900
		.amdhsa_private_segment_fixed_size 464
		.amdhsa_kernarg_size 60
		.amdhsa_user_sgpr_count 2
		.amdhsa_user_sgpr_dispatch_ptr 0
		.amdhsa_user_sgpr_queue_ptr 0
		.amdhsa_user_sgpr_kernarg_segment_ptr 1
		.amdhsa_user_sgpr_dispatch_id 0
		.amdhsa_user_sgpr_kernarg_preload_length 0
		.amdhsa_user_sgpr_kernarg_preload_offset 0
		.amdhsa_user_sgpr_private_segment_size 0
		.amdhsa_wavefront_size32 1
		.amdhsa_uses_dynamic_stack 0
		.amdhsa_enable_private_segment 1
		.amdhsa_system_sgpr_workgroup_id_x 1
		.amdhsa_system_sgpr_workgroup_id_y 0
		.amdhsa_system_sgpr_workgroup_id_z 0
		.amdhsa_system_sgpr_workgroup_info 0
		.amdhsa_system_vgpr_workitem_id 0
		.amdhsa_next_free_vgpr 340
		.amdhsa_next_free_sgpr 19
		.amdhsa_named_barrier_count 0
		.amdhsa_reserve_vcc 1
		.amdhsa_float_round_mode_32 0
		.amdhsa_float_round_mode_16_64 0
		.amdhsa_float_denorm_mode_32 3
		.amdhsa_float_denorm_mode_16_64 3
		.amdhsa_fp16_overflow 0
		.amdhsa_memory_ordered 1
		.amdhsa_forward_progress 1
		.amdhsa_inst_pref_size 255
		.amdhsa_round_robin_scheduling 0
		.amdhsa_exception_fp_ieee_invalid_op 0
		.amdhsa_exception_fp_denorm_src 0
		.amdhsa_exception_fp_ieee_div_zero 0
		.amdhsa_exception_fp_ieee_overflow 0
		.amdhsa_exception_fp_ieee_underflow 0
		.amdhsa_exception_fp_ieee_inexact 0
		.amdhsa_exception_int_div_zero 0
	.end_amdhsa_kernel
	.section	.text._ZN9rocsolver6v33100L18getri_kernel_smallILi56E19rocblas_complex_numIfEPS3_EEvT1_iilPiilS6_bb,"axG",@progbits,_ZN9rocsolver6v33100L18getri_kernel_smallILi56E19rocblas_complex_numIfEPS3_EEvT1_iilPiilS6_bb,comdat
.Lfunc_end55:
	.size	_ZN9rocsolver6v33100L18getri_kernel_smallILi56E19rocblas_complex_numIfEPS3_EEvT1_iilPiilS6_bb, .Lfunc_end55-_ZN9rocsolver6v33100L18getri_kernel_smallILi56E19rocblas_complex_numIfEPS3_EEvT1_iilPiilS6_bb
                                        ; -- End function
	.set _ZN9rocsolver6v33100L18getri_kernel_smallILi56E19rocblas_complex_numIfEPS3_EEvT1_iilPiilS6_bb.num_vgpr, 340
	.set _ZN9rocsolver6v33100L18getri_kernel_smallILi56E19rocblas_complex_numIfEPS3_EEvT1_iilPiilS6_bb.num_agpr, 0
	.set _ZN9rocsolver6v33100L18getri_kernel_smallILi56E19rocblas_complex_numIfEPS3_EEvT1_iilPiilS6_bb.numbered_sgpr, 19
	.set _ZN9rocsolver6v33100L18getri_kernel_smallILi56E19rocblas_complex_numIfEPS3_EEvT1_iilPiilS6_bb.num_named_barrier, 0
	.set _ZN9rocsolver6v33100L18getri_kernel_smallILi56E19rocblas_complex_numIfEPS3_EEvT1_iilPiilS6_bb.private_seg_size, 464
	.set _ZN9rocsolver6v33100L18getri_kernel_smallILi56E19rocblas_complex_numIfEPS3_EEvT1_iilPiilS6_bb.uses_vcc, 1
	.set _ZN9rocsolver6v33100L18getri_kernel_smallILi56E19rocblas_complex_numIfEPS3_EEvT1_iilPiilS6_bb.uses_flat_scratch, 1
	.set _ZN9rocsolver6v33100L18getri_kernel_smallILi56E19rocblas_complex_numIfEPS3_EEvT1_iilPiilS6_bb.has_dyn_sized_stack, 0
	.set _ZN9rocsolver6v33100L18getri_kernel_smallILi56E19rocblas_complex_numIfEPS3_EEvT1_iilPiilS6_bb.has_recursion, 0
	.set _ZN9rocsolver6v33100L18getri_kernel_smallILi56E19rocblas_complex_numIfEPS3_EEvT1_iilPiilS6_bb.has_indirect_call, 0
	.section	.AMDGPU.csdata,"",@progbits
; Kernel info:
; codeLenInByte = 114660
; TotalNumSgprs: 21
; NumVgprs: 340
; ScratchSize: 464
; MemoryBound: 0
; FloatMode: 240
; IeeeMode: 1
; LDSByteSize: 900 bytes/workgroup (compile time only)
; SGPRBlocks: 0
; VGPRBlocks: 21
; NumSGPRsForWavesPerEU: 21
; NumVGPRsForWavesPerEU: 340
; NamedBarCnt: 0
; Occupancy: 2
; WaveLimiterHint : 1
; COMPUTE_PGM_RSRC2:SCRATCH_EN: 1
; COMPUTE_PGM_RSRC2:USER_SGPR: 2
; COMPUTE_PGM_RSRC2:TRAP_HANDLER: 0
; COMPUTE_PGM_RSRC2:TGID_X_EN: 1
; COMPUTE_PGM_RSRC2:TGID_Y_EN: 0
; COMPUTE_PGM_RSRC2:TGID_Z_EN: 0
; COMPUTE_PGM_RSRC2:TIDIG_COMP_CNT: 0
	.section	.text._ZN9rocsolver6v33100L18getri_kernel_smallILi57E19rocblas_complex_numIfEPS3_EEvT1_iilPiilS6_bb,"axG",@progbits,_ZN9rocsolver6v33100L18getri_kernel_smallILi57E19rocblas_complex_numIfEPS3_EEvT1_iilPiilS6_bb,comdat
	.globl	_ZN9rocsolver6v33100L18getri_kernel_smallILi57E19rocblas_complex_numIfEPS3_EEvT1_iilPiilS6_bb ; -- Begin function _ZN9rocsolver6v33100L18getri_kernel_smallILi57E19rocblas_complex_numIfEPS3_EEvT1_iilPiilS6_bb
	.p2align	8
	.type	_ZN9rocsolver6v33100L18getri_kernel_smallILi57E19rocblas_complex_numIfEPS3_EEvT1_iilPiilS6_bb,@function
_ZN9rocsolver6v33100L18getri_kernel_smallILi57E19rocblas_complex_numIfEPS3_EEvT1_iilPiilS6_bb: ; @_ZN9rocsolver6v33100L18getri_kernel_smallILi57E19rocblas_complex_numIfEPS3_EEvT1_iilPiilS6_bb
; %bb.0:
	s_mov_b32 s2, exec_lo
	v_cmpx_gt_u32_e32 57, v0
	s_cbranch_execz .LBB56_242
; %bb.1:
	s_clause 0x2
	s_load_b32 s2, s[0:1], 0x38
	s_load_b128 s[12:15], s[0:1], 0x10
	s_load_b128 s[4:7], s[0:1], 0x28
	s_getreg_b32 s9, hwreg(HW_REG_IB_STS2, 6, 4)
	s_wait_kmcnt 0x0
	s_bitcmp1_b32 s2, 8
	s_cselect_b32 s18, -1, 0
	s_bfe_u32 s3, ttmp6, 0x4000c
	s_and_b32 s8, ttmp6, 15
	s_add_co_i32 s3, s3, 1
	s_delay_alu instid0(SALU_CYCLE_1) | instskip(NEXT) | instid1(SALU_CYCLE_1)
	s_mul_i32 s3, ttmp9, s3
	s_add_co_i32 s8, s8, s3
	s_cmp_eq_u32 s9, 0
	s_cselect_b32 s16, ttmp9, s8
	s_bfe_u32 s2, s2, 0x10008
	s_ashr_i32 s17, s16, 31
	s_cmp_eq_u32 s2, 0
                                        ; implicit-def: $sgpr2_sgpr3
	s_cbranch_scc1 .LBB56_3
; %bb.2:
	s_load_b32 s2, s[0:1], 0x20
	s_mul_u64 s[4:5], s[4:5], s[16:17]
	s_delay_alu instid0(SALU_CYCLE_1) | instskip(NEXT) | instid1(SALU_CYCLE_1)
	s_lshl_b64 s[4:5], s[4:5], 2
	s_add_nc_u64 s[4:5], s[14:15], s[4:5]
	s_wait_kmcnt 0x0
	s_ashr_i32 s3, s2, 31
	s_delay_alu instid0(SALU_CYCLE_1) | instskip(NEXT) | instid1(SALU_CYCLE_1)
	s_lshl_b64 s[2:3], s[2:3], 2
	s_add_nc_u64 s[2:3], s[4:5], s[2:3]
.LBB56_3:
	s_clause 0x1
	s_load_b128 s[8:11], s[0:1], 0x0
	s_load_b32 s14, s[0:1], 0x38
	s_wait_xcnt 0x0
	s_mul_u64 s[0:1], s[12:13], s[16:17]
	v_lshlrev_b32_e32 v116, 3, v0
	s_lshl_b64 s[0:1], s[0:1], 3
	v_mov_b32_e32 v117, 0
	s_wait_kmcnt 0x0
	v_add3_u32 v6, s11, s11, v0
	s_ashr_i32 s5, s10, 31
	s_mov_b32 s4, s10
	s_add_nc_u64 s[0:1], s[8:9], s[0:1]
	s_lshl_b64 s[4:5], s[4:5], 3
	v_add_nc_u32_e32 v8, s11, v6
	s_add_nc_u64 s[4:5], s[0:1], s[4:5]
	s_ashr_i32 s1, s11, 31
	s_mov_b32 s0, s11
	s_bitcmp0_b32 s14, 0
	v_add_nc_u32_e32 v10, s11, v8
	v_add_nc_u64_e32 v[2:3], s[4:5], v[116:117]
	s_delay_alu instid0(VALU_DEP_2) | instskip(NEXT) | instid1(VALU_DEP_2)
	v_add_nc_u32_e32 v12, s11, v10
	v_lshl_add_u64 v[4:5], s[0:1], 3, v[2:3]
	s_mov_b32 s1, -1
	s_delay_alu instid0(VALU_DEP_2) | instskip(SKIP_4) | instid1(VALU_DEP_1)
	v_add_nc_u32_e32 v14, s11, v12
	s_clause 0x1
	global_load_b64 v[118:119], v0, s[4:5] scale_offset
	global_load_b64 v[120:121], v[4:5], off
	v_add_nc_u32_e32 v16, s11, v14
	v_add_nc_u32_e32 v18, s11, v16
	s_clause 0x3
	global_load_b64 v[122:123], v6, s[4:5] scale_offset
	global_load_b64 v[124:125], v8, s[4:5] scale_offset
	;; [unrolled: 1-line block ×4, first 2 shown]
	v_add_nc_u32_e32 v20, s11, v18
	s_delay_alu instid0(VALU_DEP_1) | instskip(NEXT) | instid1(VALU_DEP_1)
	v_add_nc_u32_e32 v22, s11, v20
	v_add_nc_u32_e32 v24, s11, v22
	s_delay_alu instid0(VALU_DEP_1)
	v_add_nc_u32_e32 v26, s11, v24
	s_clause 0x3
	global_load_b64 v[130:131], v14, s[4:5] scale_offset
	global_load_b64 v[132:133], v16, s[4:5] scale_offset
	;; [unrolled: 1-line block ×4, first 2 shown]
	v_add_nc_u32_e32 v28, s11, v26
	s_delay_alu instid0(VALU_DEP_1)
	v_add_nc_u32_e32 v30, s11, v28
	s_clause 0x3
	global_load_b64 v[138:139], v22, s[4:5] scale_offset
	global_load_b64 v[140:141], v24, s[4:5] scale_offset
	;; [unrolled: 1-line block ×4, first 2 shown]
	v_add_nc_u32_e32 v32, s11, v30
	s_delay_alu instid0(VALU_DEP_1) | instskip(NEXT) | instid1(VALU_DEP_1)
	v_add_nc_u32_e32 v34, s11, v32
	v_add_nc_u32_e32 v36, s11, v34
	s_delay_alu instid0(VALU_DEP_1) | instskip(NEXT) | instid1(VALU_DEP_1)
	v_add_nc_u32_e32 v38, s11, v36
	v_add_nc_u32_e32 v40, s11, v38
	s_delay_alu instid0(VALU_DEP_1)
	v_add_nc_u32_e32 v42, s11, v40
	s_clause 0x3
	global_load_b64 v[146:147], v30, s[4:5] scale_offset
	global_load_b64 v[148:149], v32, s[4:5] scale_offset
	;; [unrolled: 1-line block ×4, first 2 shown]
	v_add_nc_u32_e32 v44, s11, v42
	s_delay_alu instid0(VALU_DEP_1) | instskip(NEXT) | instid1(VALU_DEP_1)
	v_add_nc_u32_e32 v46, s11, v44
	v_add_nc_u32_e32 v48, s11, v46
	s_delay_alu instid0(VALU_DEP_1)
	v_add_nc_u32_e32 v50, s11, v48
	s_clause 0x3
	global_load_b64 v[154:155], v38, s[4:5] scale_offset
	global_load_b64 v[156:157], v40, s[4:5] scale_offset
	;; [unrolled: 1-line block ×4, first 2 shown]
	v_add_nc_u32_e32 v52, s11, v50
	s_delay_alu instid0(VALU_DEP_1)
	v_add_nc_u32_e32 v54, s11, v52
	s_clause 0x3
	global_load_b64 v[162:163], v46, s[4:5] scale_offset
	global_load_b64 v[164:165], v48, s[4:5] scale_offset
	;; [unrolled: 1-line block ×4, first 2 shown]
	v_add_nc_u32_e32 v56, s11, v54
	s_delay_alu instid0(VALU_DEP_1) | instskip(NEXT) | instid1(VALU_DEP_1)
	v_add_nc_u32_e32 v58, s11, v56
	v_add_nc_u32_e32 v60, s11, v58
	s_delay_alu instid0(VALU_DEP_1) | instskip(NEXT) | instid1(VALU_DEP_1)
	v_add_nc_u32_e32 v62, s11, v60
	v_add_nc_u32_e32 v64, s11, v62
	s_delay_alu instid0(VALU_DEP_1)
	v_add_nc_u32_e32 v66, s11, v64
	s_clause 0x3
	global_load_b64 v[170:171], v54, s[4:5] scale_offset
	global_load_b64 v[172:173], v56, s[4:5] scale_offset
	;; [unrolled: 1-line block ×4, first 2 shown]
	v_add_nc_u32_e32 v68, s11, v66
	s_delay_alu instid0(VALU_DEP_1) | instskip(NEXT) | instid1(VALU_DEP_1)
	v_add_nc_u32_e32 v70, s11, v68
	v_add_nc_u32_e32 v72, s11, v70
	s_delay_alu instid0(VALU_DEP_1)
	v_add_nc_u32_e32 v74, s11, v72
	s_clause 0x3
	global_load_b64 v[178:179], v62, s[4:5] scale_offset
	global_load_b64 v[180:181], v64, s[4:5] scale_offset
	;; [unrolled: 1-line block ×4, first 2 shown]
	v_add_nc_u32_e32 v76, s11, v74
	s_clause 0x3
	global_load_b64 v[186:187], v70, s[4:5] scale_offset
	global_load_b64 v[188:189], v72, s[4:5] scale_offset
	;; [unrolled: 1-line block ×4, first 2 shown]
	v_add_nc_u32_e32 v78, s11, v76
	s_delay_alu instid0(VALU_DEP_1) | instskip(NEXT) | instid1(VALU_DEP_1)
	v_add_nc_u32_e32 v80, s11, v78
	v_add_nc_u32_e32 v82, s11, v80
	s_delay_alu instid0(VALU_DEP_1) | instskip(NEXT) | instid1(VALU_DEP_1)
	v_add_nc_u32_e32 v84, s11, v82
	;; [unrolled: 3-line block ×3, first 2 shown]
	v_add_nc_u32_e32 v90, s11, v88
	s_clause 0x3
	global_load_b64 v[194:195], v78, s[4:5] scale_offset
	global_load_b64 v[196:197], v80, s[4:5] scale_offset
	;; [unrolled: 1-line block ×4, first 2 shown]
	v_add_nc_u32_e32 v92, s11, v90
	s_delay_alu instid0(VALU_DEP_1) | instskip(NEXT) | instid1(VALU_DEP_1)
	v_add_nc_u32_e32 v94, s11, v92
	v_add_nc_u32_e32 v96, s11, v94
	s_delay_alu instid0(VALU_DEP_1)
	v_add_nc_u32_e32 v98, s11, v96
	s_clause 0x3
	global_load_b64 v[202:203], v86, s[4:5] scale_offset
	global_load_b64 v[204:205], v88, s[4:5] scale_offset
	;; [unrolled: 1-line block ×4, first 2 shown]
	v_add_nc_u32_e32 v100, s11, v98
	s_delay_alu instid0(VALU_DEP_1)
	v_add_nc_u32_e32 v102, s11, v100
	s_clause 0x3
	global_load_b64 v[210:211], v94, s[4:5] scale_offset
	global_load_b64 v[212:213], v96, s[4:5] scale_offset
	;; [unrolled: 1-line block ×4, first 2 shown]
	v_add_nc_u32_e32 v104, s11, v102
	s_delay_alu instid0(VALU_DEP_1) | instskip(NEXT) | instid1(VALU_DEP_1)
	v_add_nc_u32_e32 v106, s11, v104
	v_add_nc_u32_e32 v108, s11, v106
	s_delay_alu instid0(VALU_DEP_1) | instskip(NEXT) | instid1(VALU_DEP_1)
	v_add_nc_u32_e32 v110, s11, v108
	v_add_nc_u32_e32 v112, s11, v110
	s_delay_alu instid0(VALU_DEP_1)
	v_add_nc_u32_e32 v114, s11, v112
	s_clause 0x6
	global_load_b64 v[218:219], v102, s[4:5] scale_offset
	global_load_b64 v[220:221], v104, s[4:5] scale_offset
	global_load_b64 v[222:223], v106, s[4:5] scale_offset
	global_load_b64 v[224:225], v108, s[4:5] scale_offset
	global_load_b64 v[226:227], v110, s[4:5] scale_offset
	global_load_b64 v[228:229], v112, s[4:5] scale_offset
	global_load_b64 v[230:231], v114, s[4:5] scale_offset
	s_wait_loadcnt 0x37
	scratch_store_b128 off, v[118:121], off
	s_wait_loadcnt 0x35
	scratch_store_b128 off, v[122:125], off offset:16
	s_wait_loadcnt 0x33
	scratch_store_b128 off, v[126:129], off offset:32
	;; [unrolled: 2-line block ×27, first 2 shown]
	s_wait_loadcnt 0x0
	scratch_store_b64 off, v[230:231], off offset:448
	s_cbranch_scc1 .LBB56_240
; %bb.4:
	v_cmp_eq_u32_e64 s0, 0, v0
	s_wait_xcnt 0x0
	s_and_saveexec_b32 s1, s0
; %bb.5:
	v_mov_b32_e32 v1, 0
	ds_store_b32 v1, v1 offset:456
; %bb.6:
	s_or_b32 exec_lo, exec_lo, s1
	s_wait_storecnt_dscnt 0x0
	s_barrier_signal -1
	s_barrier_wait -1
	scratch_load_b64 v[118:119], v0, off scale_offset
	s_wait_loadcnt 0x0
	v_cmp_eq_f32_e32 vcc_lo, 0, v118
	v_cmp_eq_f32_e64 s1, 0, v119
	s_and_b32 s1, vcc_lo, s1
	s_delay_alu instid0(SALU_CYCLE_1)
	s_and_saveexec_b32 s8, s1
	s_cbranch_execz .LBB56_10
; %bb.7:
	v_mov_b32_e32 v1, 0
	s_mov_b32 s9, 0
	ds_load_b32 v7, v1 offset:456
	s_wait_dscnt 0x0
	v_readfirstlane_b32 s1, v7
	v_add_nc_u32_e32 v7, 1, v0
	s_cmp_eq_u32 s1, 0
	s_delay_alu instid0(VALU_DEP_1) | instskip(SKIP_1) | instid1(SALU_CYCLE_1)
	v_cmp_gt_i32_e32 vcc_lo, s1, v7
	s_cselect_b32 s10, -1, 0
	s_or_b32 s10, s10, vcc_lo
	s_delay_alu instid0(SALU_CYCLE_1)
	s_and_b32 exec_lo, exec_lo, s10
	s_cbranch_execz .LBB56_10
; %bb.8:
	v_mov_b32_e32 v9, s1
.LBB56_9:                               ; =>This Inner Loop Header: Depth=1
	ds_cmpstore_rtn_b32 v9, v1, v7, v9 offset:456
	s_wait_dscnt 0x0
	v_cmp_ne_u32_e32 vcc_lo, 0, v9
	v_cmp_le_i32_e64 s1, v9, v7
	s_and_b32 s1, vcc_lo, s1
	s_delay_alu instid0(SALU_CYCLE_1) | instskip(NEXT) | instid1(SALU_CYCLE_1)
	s_and_b32 s1, exec_lo, s1
	s_or_b32 s9, s1, s9
	s_delay_alu instid0(SALU_CYCLE_1)
	s_and_not1_b32 exec_lo, exec_lo, s9
	s_cbranch_execnz .LBB56_9
.LBB56_10:
	s_or_b32 exec_lo, exec_lo, s8
	v_mov_b32_e32 v1, 0
	s_barrier_signal -1
	s_barrier_wait -1
	ds_load_b32 v7, v1 offset:456
	s_and_saveexec_b32 s1, s0
	s_cbranch_execz .LBB56_12
; %bb.11:
	s_lshl_b64 s[8:9], s[16:17], 2
	s_delay_alu instid0(SALU_CYCLE_1)
	s_add_nc_u64 s[8:9], s[6:7], s[8:9]
	s_wait_dscnt 0x0
	global_store_b32 v1, v7, s[8:9]
.LBB56_12:
	s_wait_xcnt 0x0
	s_or_b32 exec_lo, exec_lo, s1
	s_wait_dscnt 0x0
	v_cmp_ne_u32_e32 vcc_lo, 0, v7
	s_mov_b32 s1, 0
	s_cbranch_vccnz .LBB56_240
; %bb.13:
	v_lshl_add_u32 v7, v0, 3, 0
                                        ; implicit-def: $vgpr121
                                        ; implicit-def: $vgpr122
	scratch_load_b64 v[118:119], v7, off
	s_wait_loadcnt 0x0
	v_cmp_ngt_f32_e64 s1, |v118|, |v119|
	s_wait_xcnt 0x0
	s_and_saveexec_b32 s8, s1
	s_delay_alu instid0(SALU_CYCLE_1)
	s_xor_b32 s1, exec_lo, s8
	s_cbranch_execz .LBB56_15
; %bb.14:
	v_div_scale_f32 v1, null, v119, v119, v118
	v_div_scale_f32 v13, vcc_lo, v118, v119, v118
	s_delay_alu instid0(VALU_DEP_2) | instskip(SKIP_1) | instid1(TRANS32_DEP_1)
	v_rcp_f32_e32 v9, v1
	v_nop
	v_fma_f32 v11, -v1, v9, 1.0
	s_delay_alu instid0(VALU_DEP_1) | instskip(NEXT) | instid1(VALU_DEP_1)
	v_fmac_f32_e32 v9, v11, v9
	v_mul_f32_e32 v11, v13, v9
	s_delay_alu instid0(VALU_DEP_1) | instskip(NEXT) | instid1(VALU_DEP_1)
	v_fma_f32 v15, -v1, v11, v13
	v_fmac_f32_e32 v11, v15, v9
	s_delay_alu instid0(VALU_DEP_1) | instskip(NEXT) | instid1(VALU_DEP_1)
	v_fma_f32 v1, -v1, v11, v13
	v_div_fmas_f32 v1, v1, v9, v11
	s_delay_alu instid0(VALU_DEP_1) | instskip(NEXT) | instid1(VALU_DEP_1)
	v_div_fixup_f32 v1, v1, v119, v118
	v_fmac_f32_e32 v119, v118, v1
	s_delay_alu instid0(VALU_DEP_1) | instskip(NEXT) | instid1(VALU_DEP_1)
	v_div_scale_f32 v9, null, v119, v119, -1.0
	v_rcp_f32_e32 v11, v9
	v_nop
	s_delay_alu instid0(TRANS32_DEP_1) | instskip(NEXT) | instid1(VALU_DEP_1)
	v_fma_f32 v13, -v9, v11, 1.0
	v_fmac_f32_e32 v11, v13, v11
	v_div_scale_f32 v13, vcc_lo, -1.0, v119, -1.0
	s_delay_alu instid0(VALU_DEP_1) | instskip(NEXT) | instid1(VALU_DEP_1)
	v_mul_f32_e32 v15, v13, v11
	v_fma_f32 v17, -v9, v15, v13
	s_delay_alu instid0(VALU_DEP_1) | instskip(NEXT) | instid1(VALU_DEP_1)
	v_fmac_f32_e32 v15, v17, v11
	v_fma_f32 v9, -v9, v15, v13
	s_delay_alu instid0(VALU_DEP_1) | instskip(NEXT) | instid1(VALU_DEP_1)
	v_div_fmas_f32 v9, v9, v11, v15
	v_div_fixup_f32 v121, v9, v119, -1.0
                                        ; implicit-def: $vgpr118_vgpr119
	s_delay_alu instid0(VALU_DEP_1) | instskip(NEXT) | instid1(VALU_DEP_1)
	v_mul_f32_e32 v122, v1, v121
	v_xor_b32_e32 v120, 0x80000000, v122
.LBB56_15:
	s_and_not1_saveexec_b32 s1, s1
	s_cbranch_execz .LBB56_17
; %bb.16:
	v_div_scale_f32 v1, null, v118, v118, v119
	v_div_scale_f32 v13, vcc_lo, v119, v118, v119
	s_delay_alu instid0(VALU_DEP_2) | instskip(SKIP_1) | instid1(TRANS32_DEP_1)
	v_rcp_f32_e32 v9, v1
	v_nop
	v_fma_f32 v11, -v1, v9, 1.0
	s_delay_alu instid0(VALU_DEP_1) | instskip(NEXT) | instid1(VALU_DEP_1)
	v_fmac_f32_e32 v9, v11, v9
	v_mul_f32_e32 v11, v13, v9
	s_delay_alu instid0(VALU_DEP_1) | instskip(NEXT) | instid1(VALU_DEP_1)
	v_fma_f32 v15, -v1, v11, v13
	v_fmac_f32_e32 v11, v15, v9
	s_delay_alu instid0(VALU_DEP_1) | instskip(NEXT) | instid1(VALU_DEP_1)
	v_fma_f32 v1, -v1, v11, v13
	v_div_fmas_f32 v1, v1, v9, v11
	s_delay_alu instid0(VALU_DEP_1) | instskip(NEXT) | instid1(VALU_DEP_1)
	v_div_fixup_f32 v1, v1, v118, v119
	v_fmac_f32_e32 v118, v119, v1
	s_delay_alu instid0(VALU_DEP_1) | instskip(SKIP_1) | instid1(VALU_DEP_2)
	v_div_scale_f32 v9, null, v118, v118, 1.0
	v_div_scale_f32 v15, vcc_lo, 1.0, v118, 1.0
	v_rcp_f32_e32 v11, v9
	v_nop
	s_delay_alu instid0(TRANS32_DEP_1) | instskip(NEXT) | instid1(VALU_DEP_1)
	v_fma_f32 v13, -v9, v11, 1.0
	v_fmac_f32_e32 v11, v13, v11
	s_delay_alu instid0(VALU_DEP_1) | instskip(NEXT) | instid1(VALU_DEP_1)
	v_mul_f32_e32 v13, v15, v11
	v_fma_f32 v17, -v9, v13, v15
	s_delay_alu instid0(VALU_DEP_1) | instskip(NEXT) | instid1(VALU_DEP_1)
	v_fmac_f32_e32 v13, v17, v11
	v_fma_f32 v9, -v9, v13, v15
	s_delay_alu instid0(VALU_DEP_1) | instskip(NEXT) | instid1(VALU_DEP_1)
	v_div_fmas_f32 v9, v9, v11, v13
	v_div_fixup_f32 v120, v9, v118, 1.0
	s_delay_alu instid0(VALU_DEP_1)
	v_xor_b32_e32 v122, 0x80000000, v120
	v_mul_f32_e64 v121, v1, -v120
.LBB56_17:
	s_or_b32 exec_lo, exec_lo, s1
	scratch_store_b64 v7, v[120:121], off
	scratch_load_b64 v[118:119], off, off offset:8
	v_xor_b32_e32 v123, 0x80000000, v121
	v_add_nc_u32_e32 v1, 0x1d0, v116
	s_wait_loadcnt 0x0
	ds_store_2addr_b64 v116, v[122:123], v[118:119] offset1:58
	s_wait_storecnt_dscnt 0x0
	s_barrier_signal -1
	s_barrier_wait -1
	s_wait_xcnt 0x0
	s_and_saveexec_b32 s1, s0
	s_cbranch_execz .LBB56_19
; %bb.18:
	scratch_load_b64 v[118:119], v7, off
	ds_load_b64 v[120:121], v1
	s_wait_loadcnt_dscnt 0x0
	v_pk_mul_f32 v[124:125], v[120:121], v[118:119] op_sel:[1,1] op_sel_hi:[0,1]
	s_delay_alu instid0(VALU_DEP_1) | instskip(SKIP_2) | instid1(VALU_DEP_3)
	v_pk_fma_f32 v[126:127], v[120:121], v[118:119], v[124:125] op_sel_hi:[1,0,1]
	v_mov_b32_e32 v9, 0
	v_pk_fma_f32 v[118:119], v[120:121], v[118:119], v[124:125] neg_lo:[0,0,1] neg_hi:[0,0,1]
	v_mov_b32_e32 v119, v127
	ds_load_b64 v[122:123], v9 offset:8
	v_pk_add_f32 v[118:119], v[118:119], 0 op_sel_hi:[1,0]
	s_wait_dscnt 0x0
	s_delay_alu instid0(VALU_DEP_1) | instskip(NEXT) | instid1(VALU_DEP_1)
	v_pk_mul_f32 v[120:121], v[118:119], v[122:123] op_sel:[1,1] op_sel_hi:[0,1]
	v_pk_fma_f32 v[124:125], v[118:119], v[122:123], v[120:121] op_sel_hi:[1,0,1]
	v_pk_fma_f32 v[118:119], v[118:119], v[122:123], v[120:121] neg_lo:[0,0,1] neg_hi:[0,0,1]
	s_delay_alu instid0(VALU_DEP_2)
	v_mov_b32_e32 v119, v125
	scratch_store_b64 off, v[118:119], off offset:8
.LBB56_19:
	s_wait_xcnt 0x0
	s_or_b32 exec_lo, exec_lo, s1
	s_wait_storecnt 0x0
	s_barrier_signal -1
	s_barrier_wait -1
	scratch_load_b64 v[118:119], off, off offset:16
	s_mov_b32 s1, exec_lo
	s_wait_loadcnt 0x0
	ds_store_b64 v1, v[118:119]
	s_wait_dscnt 0x0
	s_barrier_signal -1
	s_barrier_wait -1
	v_cmpx_gt_u32_e32 2, v0
	s_cbranch_execz .LBB56_23
; %bb.20:
	scratch_load_b64 v[118:119], v7, off
	ds_load_b64 v[120:121], v1
	s_wait_loadcnt_dscnt 0x0
	v_pk_mul_f32 v[122:123], v[120:121], v[118:119] op_sel:[1,1] op_sel_hi:[0,1]
	s_delay_alu instid0(VALU_DEP_1) | instskip(SKIP_1) | instid1(VALU_DEP_2)
	v_pk_fma_f32 v[124:125], v[120:121], v[118:119], v[122:123] op_sel_hi:[1,0,1]
	v_pk_fma_f32 v[118:119], v[120:121], v[118:119], v[122:123] neg_lo:[0,0,1] neg_hi:[0,0,1]
	v_mov_b32_e32 v119, v125
	s_delay_alu instid0(VALU_DEP_1)
	v_pk_add_f32 v[118:119], v[118:119], 0 op_sel_hi:[1,0]
	s_and_saveexec_b32 s8, s0
	s_cbranch_execz .LBB56_22
; %bb.21:
	scratch_load_b64 v[120:121], off, off offset:8
	v_mov_b32_e32 v7, 0
	ds_load_b64 v[122:123], v7 offset:472
	s_wait_loadcnt_dscnt 0x0
	v_pk_mul_f32 v[124:125], v[122:123], v[120:121] op_sel:[1,1] op_sel_hi:[0,1]
	s_delay_alu instid0(VALU_DEP_1) | instskip(SKIP_1) | instid1(VALU_DEP_2)
	v_pk_fma_f32 v[126:127], v[122:123], v[120:121], v[124:125] op_sel_hi:[1,0,1]
	v_pk_fma_f32 v[120:121], v[122:123], v[120:121], v[124:125] neg_lo:[0,0,1] neg_hi:[0,0,1]
	v_mov_b32_e32 v121, v127
	s_delay_alu instid0(VALU_DEP_1)
	v_pk_add_f32 v[118:119], v[118:119], v[120:121]
.LBB56_22:
	s_or_b32 exec_lo, exec_lo, s8
	v_mov_b32_e32 v7, 0
	ds_load_b64 v[120:121], v7 offset:16
	s_wait_dscnt 0x0
	v_pk_mul_f32 v[122:123], v[118:119], v[120:121] op_sel:[1,1] op_sel_hi:[0,1]
	s_delay_alu instid0(VALU_DEP_1) | instskip(SKIP_1) | instid1(VALU_DEP_2)
	v_pk_fma_f32 v[124:125], v[118:119], v[120:121], v[122:123] op_sel_hi:[1,0,1]
	v_pk_fma_f32 v[118:119], v[118:119], v[120:121], v[122:123] neg_lo:[0,0,1] neg_hi:[0,0,1]
	v_mov_b32_e32 v119, v125
	scratch_store_b64 off, v[118:119], off offset:16
.LBB56_23:
	s_wait_xcnt 0x0
	s_or_b32 exec_lo, exec_lo, s1
	s_wait_storecnt 0x0
	s_barrier_signal -1
	s_barrier_wait -1
	scratch_load_b64 v[118:119], off, off offset:24
	v_add_nc_u32_e32 v7, -1, v0
	s_mov_b32 s0, exec_lo
	s_wait_loadcnt 0x0
	ds_store_b64 v1, v[118:119]
	s_wait_dscnt 0x0
	s_barrier_signal -1
	s_barrier_wait -1
	v_cmpx_gt_u32_e32 3, v0
	s_cbranch_execz .LBB56_27
; %bb.24:
	v_dual_mov_b32 v118, 0 :: v_dual_add_nc_u32 v9, -1, v0
	v_add_nc_u32_e32 v11, 0x1d0, v116
	v_mov_b32_e32 v13, v116
	s_mov_b32 s1, 0
	s_delay_alu instid0(VALU_DEP_3)
	v_mov_b32_e32 v119, v118
.LBB56_25:                              ; =>This Inner Loop Header: Depth=1
	scratch_load_b64 v[120:121], v13, off
	ds_load_b64 v[122:123], v11
	s_wait_xcnt 0x0
	v_dual_add_nc_u32 v11, 8, v11 :: v_dual_add_nc_u32 v13, 8, v13
	s_wait_loadcnt_dscnt 0x0
	v_pk_mul_f32 v[124:125], v[122:123], v[120:121] op_sel:[1,1] op_sel_hi:[0,1]
	s_delay_alu instid0(VALU_DEP_1) | instskip(SKIP_2) | instid1(VALU_DEP_3)
	v_pk_fma_f32 v[126:127], v[122:123], v[120:121], v[124:125] op_sel_hi:[1,0,1]
	v_add_nc_u32_e32 v9, 1, v9
	v_pk_fma_f32 v[120:121], v[122:123], v[120:121], v[124:125] neg_lo:[0,0,1] neg_hi:[0,0,1]
	v_mov_b32_e32 v121, v127
	s_delay_alu instid0(VALU_DEP_3) | instskip(NEXT) | instid1(VALU_DEP_2)
	v_cmp_lt_u32_e32 vcc_lo, 1, v9
	v_pk_add_f32 v[118:119], v[118:119], v[120:121]
	s_or_b32 s1, vcc_lo, s1
	s_delay_alu instid0(SALU_CYCLE_1)
	s_and_not1_b32 exec_lo, exec_lo, s1
	s_cbranch_execnz .LBB56_25
; %bb.26:
	s_or_b32 exec_lo, exec_lo, s1
	v_mov_b32_e32 v9, 0
	ds_load_b64 v[120:121], v9 offset:24
	s_wait_dscnt 0x0
	v_pk_mul_f32 v[122:123], v[118:119], v[120:121] op_sel:[1,1] op_sel_hi:[0,1]
	s_delay_alu instid0(VALU_DEP_1) | instskip(SKIP_1) | instid1(VALU_DEP_2)
	v_pk_fma_f32 v[124:125], v[118:119], v[120:121], v[122:123] op_sel_hi:[1,0,1]
	v_pk_fma_f32 v[118:119], v[118:119], v[120:121], v[122:123] neg_lo:[0,0,1] neg_hi:[0,0,1]
	v_mov_b32_e32 v119, v125
	scratch_store_b64 off, v[118:119], off offset:24
.LBB56_27:
	s_wait_xcnt 0x0
	s_or_b32 exec_lo, exec_lo, s0
	s_wait_storecnt 0x0
	s_barrier_signal -1
	s_barrier_wait -1
	scratch_load_b64 v[118:119], off, off offset:32
	s_mov_b32 s0, exec_lo
	s_wait_loadcnt 0x0
	ds_store_b64 v1, v[118:119]
	s_wait_dscnt 0x0
	s_barrier_signal -1
	s_barrier_wait -1
	v_cmpx_gt_u32_e32 4, v0
	s_cbranch_execz .LBB56_31
; %bb.28:
	v_dual_mov_b32 v118, 0 :: v_dual_add_nc_u32 v9, -1, v0
	v_add_nc_u32_e32 v11, 0x1d0, v116
	v_mov_b32_e32 v13, v116
	s_mov_b32 s1, 0
	s_delay_alu instid0(VALU_DEP_3)
	v_mov_b32_e32 v119, v118
.LBB56_29:                              ; =>This Inner Loop Header: Depth=1
	scratch_load_b64 v[120:121], v13, off
	ds_load_b64 v[122:123], v11
	s_wait_xcnt 0x0
	v_dual_add_nc_u32 v11, 8, v11 :: v_dual_add_nc_u32 v13, 8, v13
	s_wait_loadcnt_dscnt 0x0
	v_pk_mul_f32 v[124:125], v[122:123], v[120:121] op_sel:[1,1] op_sel_hi:[0,1]
	s_delay_alu instid0(VALU_DEP_1) | instskip(SKIP_2) | instid1(VALU_DEP_3)
	v_pk_fma_f32 v[126:127], v[122:123], v[120:121], v[124:125] op_sel_hi:[1,0,1]
	v_add_nc_u32_e32 v9, 1, v9
	v_pk_fma_f32 v[120:121], v[122:123], v[120:121], v[124:125] neg_lo:[0,0,1] neg_hi:[0,0,1]
	v_mov_b32_e32 v121, v127
	s_delay_alu instid0(VALU_DEP_3) | instskip(NEXT) | instid1(VALU_DEP_2)
	v_cmp_lt_u32_e32 vcc_lo, 2, v9
	v_pk_add_f32 v[118:119], v[118:119], v[120:121]
	s_or_b32 s1, vcc_lo, s1
	s_delay_alu instid0(SALU_CYCLE_1)
	s_and_not1_b32 exec_lo, exec_lo, s1
	s_cbranch_execnz .LBB56_29
; %bb.30:
	s_or_b32 exec_lo, exec_lo, s1
	v_mov_b32_e32 v9, 0
	ds_load_b64 v[120:121], v9 offset:32
	s_wait_dscnt 0x0
	v_pk_mul_f32 v[122:123], v[118:119], v[120:121] op_sel:[1,1] op_sel_hi:[0,1]
	s_delay_alu instid0(VALU_DEP_1) | instskip(SKIP_1) | instid1(VALU_DEP_2)
	v_pk_fma_f32 v[124:125], v[118:119], v[120:121], v[122:123] op_sel_hi:[1,0,1]
	v_pk_fma_f32 v[118:119], v[118:119], v[120:121], v[122:123] neg_lo:[0,0,1] neg_hi:[0,0,1]
	v_mov_b32_e32 v119, v125
	scratch_store_b64 off, v[118:119], off offset:32
.LBB56_31:
	s_wait_xcnt 0x0
	s_or_b32 exec_lo, exec_lo, s0
	s_wait_storecnt 0x0
	s_barrier_signal -1
	s_barrier_wait -1
	scratch_load_b64 v[118:119], off, off offset:40
	;; [unrolled: 52-line block ×19, first 2 shown]
	s_mov_b32 s0, exec_lo
	s_wait_loadcnt 0x0
	ds_store_b64 v1, v[118:119]
	s_wait_dscnt 0x0
	s_barrier_signal -1
	s_barrier_wait -1
	v_cmpx_gt_u32_e32 22, v0
	s_cbranch_execz .LBB56_103
; %bb.100:
	v_dual_mov_b32 v118, 0 :: v_dual_add_nc_u32 v9, -1, v0
	v_add_nc_u32_e32 v11, 0x1d0, v116
	v_mov_b32_e32 v13, v116
	s_mov_b32 s1, 0
	s_delay_alu instid0(VALU_DEP_3)
	v_mov_b32_e32 v119, v118
.LBB56_101:                             ; =>This Inner Loop Header: Depth=1
	scratch_load_b64 v[120:121], v13, off
	ds_load_b64 v[122:123], v11
	s_wait_xcnt 0x0
	v_dual_add_nc_u32 v11, 8, v11 :: v_dual_add_nc_u32 v13, 8, v13
	s_wait_loadcnt_dscnt 0x0
	v_pk_mul_f32 v[124:125], v[122:123], v[120:121] op_sel:[1,1] op_sel_hi:[0,1]
	s_delay_alu instid0(VALU_DEP_1) | instskip(SKIP_2) | instid1(VALU_DEP_3)
	v_pk_fma_f32 v[126:127], v[122:123], v[120:121], v[124:125] op_sel_hi:[1,0,1]
	v_add_nc_u32_e32 v9, 1, v9
	v_pk_fma_f32 v[120:121], v[122:123], v[120:121], v[124:125] neg_lo:[0,0,1] neg_hi:[0,0,1]
	v_mov_b32_e32 v121, v127
	s_delay_alu instid0(VALU_DEP_3) | instskip(NEXT) | instid1(VALU_DEP_2)
	v_cmp_lt_u32_e32 vcc_lo, 20, v9
	v_pk_add_f32 v[118:119], v[118:119], v[120:121]
	s_or_b32 s1, vcc_lo, s1
	s_delay_alu instid0(SALU_CYCLE_1)
	s_and_not1_b32 exec_lo, exec_lo, s1
	s_cbranch_execnz .LBB56_101
; %bb.102:
	s_or_b32 exec_lo, exec_lo, s1
	v_mov_b32_e32 v9, 0
	ds_load_b64 v[120:121], v9 offset:176
	s_wait_dscnt 0x0
	v_pk_mul_f32 v[122:123], v[118:119], v[120:121] op_sel:[1,1] op_sel_hi:[0,1]
	s_delay_alu instid0(VALU_DEP_1) | instskip(SKIP_1) | instid1(VALU_DEP_2)
	v_pk_fma_f32 v[124:125], v[118:119], v[120:121], v[122:123] op_sel_hi:[1,0,1]
	v_pk_fma_f32 v[118:119], v[118:119], v[120:121], v[122:123] neg_lo:[0,0,1] neg_hi:[0,0,1]
	v_mov_b32_e32 v119, v125
	scratch_store_b64 off, v[118:119], off offset:176
.LBB56_103:
	s_wait_xcnt 0x0
	s_or_b32 exec_lo, exec_lo, s0
	s_wait_storecnt 0x0
	s_barrier_signal -1
	s_barrier_wait -1
	scratch_load_b64 v[118:119], off, off offset:184
	s_mov_b32 s0, exec_lo
	s_wait_loadcnt 0x0
	ds_store_b64 v1, v[118:119]
	s_wait_dscnt 0x0
	s_barrier_signal -1
	s_barrier_wait -1
	v_cmpx_gt_u32_e32 23, v0
	s_cbranch_execz .LBB56_107
; %bb.104:
	v_dual_mov_b32 v118, 0 :: v_dual_add_nc_u32 v9, -1, v0
	v_add_nc_u32_e32 v11, 0x1d0, v116
	v_mov_b32_e32 v13, v116
	s_mov_b32 s1, 0
	s_delay_alu instid0(VALU_DEP_3)
	v_mov_b32_e32 v119, v118
.LBB56_105:                             ; =>This Inner Loop Header: Depth=1
	scratch_load_b64 v[120:121], v13, off
	ds_load_b64 v[122:123], v11
	s_wait_xcnt 0x0
	v_dual_add_nc_u32 v11, 8, v11 :: v_dual_add_nc_u32 v13, 8, v13
	s_wait_loadcnt_dscnt 0x0
	v_pk_mul_f32 v[124:125], v[122:123], v[120:121] op_sel:[1,1] op_sel_hi:[0,1]
	s_delay_alu instid0(VALU_DEP_1) | instskip(SKIP_2) | instid1(VALU_DEP_3)
	v_pk_fma_f32 v[126:127], v[122:123], v[120:121], v[124:125] op_sel_hi:[1,0,1]
	v_add_nc_u32_e32 v9, 1, v9
	v_pk_fma_f32 v[120:121], v[122:123], v[120:121], v[124:125] neg_lo:[0,0,1] neg_hi:[0,0,1]
	v_mov_b32_e32 v121, v127
	s_delay_alu instid0(VALU_DEP_3) | instskip(NEXT) | instid1(VALU_DEP_2)
	v_cmp_lt_u32_e32 vcc_lo, 21, v9
	v_pk_add_f32 v[118:119], v[118:119], v[120:121]
	s_or_b32 s1, vcc_lo, s1
	s_delay_alu instid0(SALU_CYCLE_1)
	s_and_not1_b32 exec_lo, exec_lo, s1
	s_cbranch_execnz .LBB56_105
; %bb.106:
	s_or_b32 exec_lo, exec_lo, s1
	v_mov_b32_e32 v9, 0
	ds_load_b64 v[120:121], v9 offset:184
	s_wait_dscnt 0x0
	v_pk_mul_f32 v[122:123], v[118:119], v[120:121] op_sel:[1,1] op_sel_hi:[0,1]
	s_delay_alu instid0(VALU_DEP_1) | instskip(SKIP_1) | instid1(VALU_DEP_2)
	v_pk_fma_f32 v[124:125], v[118:119], v[120:121], v[122:123] op_sel_hi:[1,0,1]
	v_pk_fma_f32 v[118:119], v[118:119], v[120:121], v[122:123] neg_lo:[0,0,1] neg_hi:[0,0,1]
	v_mov_b32_e32 v119, v125
	scratch_store_b64 off, v[118:119], off offset:184
.LBB56_107:
	s_wait_xcnt 0x0
	s_or_b32 exec_lo, exec_lo, s0
	s_wait_storecnt 0x0
	s_barrier_signal -1
	s_barrier_wait -1
	scratch_load_b64 v[118:119], off, off offset:192
	;; [unrolled: 52-line block ×34, first 2 shown]
	s_mov_b32 s0, exec_lo
	s_wait_loadcnt 0x0
	ds_store_b64 v1, v[118:119]
	s_wait_dscnt 0x0
	s_barrier_signal -1
	s_barrier_wait -1
	v_cmpx_ne_u32_e32 56, v0
	s_cbranch_execz .LBB56_239
; %bb.236:
	v_dual_mov_b32 v118, 0 :: v_dual_mov_b32 v9, v116
	s_mov_b32 s1, 0
	s_delay_alu instid0(VALU_DEP_1)
	v_mov_b32_e32 v119, v118
.LBB56_237:                             ; =>This Inner Loop Header: Depth=1
	scratch_load_b64 v[116:117], v9, off
	ds_load_b64 v[120:121], v1
	v_add_nc_u32_e32 v1, 8, v1
	s_wait_xcnt 0x0
	v_add_nc_u32_e32 v9, 8, v9
	s_wait_loadcnt_dscnt 0x0
	v_pk_mul_f32 v[122:123], v[120:121], v[116:117] op_sel:[1,1] op_sel_hi:[0,1]
	s_delay_alu instid0(VALU_DEP_1) | instskip(SKIP_2) | instid1(VALU_DEP_3)
	v_pk_fma_f32 v[124:125], v[120:121], v[116:117], v[122:123] op_sel_hi:[1,0,1]
	v_add_nc_u32_e32 v7, 1, v7
	v_pk_fma_f32 v[116:117], v[120:121], v[116:117], v[122:123] neg_lo:[0,0,1] neg_hi:[0,0,1]
	v_mov_b32_e32 v117, v125
	s_delay_alu instid0(VALU_DEP_3) | instskip(NEXT) | instid1(VALU_DEP_2)
	v_cmp_lt_u32_e32 vcc_lo, 54, v7
	v_pk_add_f32 v[118:119], v[118:119], v[116:117]
	s_or_b32 s1, vcc_lo, s1
	s_delay_alu instid0(SALU_CYCLE_1)
	s_and_not1_b32 exec_lo, exec_lo, s1
	s_cbranch_execnz .LBB56_237
; %bb.238:
	s_or_b32 exec_lo, exec_lo, s1
	v_mov_b32_e32 v1, 0
	ds_load_b64 v[116:117], v1 offset:448
	s_wait_dscnt 0x0
	v_pk_mul_f32 v[120:121], v[118:119], v[116:117] op_sel:[1,1] op_sel_hi:[0,1]
	s_delay_alu instid0(VALU_DEP_1) | instskip(SKIP_1) | instid1(VALU_DEP_2)
	v_pk_fma_f32 v[122:123], v[118:119], v[116:117], v[120:121] op_sel_hi:[1,0,1]
	v_pk_fma_f32 v[116:117], v[118:119], v[116:117], v[120:121] neg_lo:[0,0,1] neg_hi:[0,0,1]
	v_mov_b32_e32 v117, v123
	scratch_store_b64 off, v[116:117], off offset:448
.LBB56_239:
	s_wait_xcnt 0x0
	s_or_b32 exec_lo, exec_lo, s0
	s_mov_b32 s1, -1
	s_wait_storecnt 0x0
	s_barrier_signal -1
	s_barrier_wait -1
.LBB56_240:
	s_and_b32 vcc_lo, exec_lo, s1
	s_cbranch_vccz .LBB56_242
; %bb.241:
	v_mov_b32_e32 v1, 0
	s_lshl_b64 s[0:1], s[16:17], 2
	s_delay_alu instid0(SALU_CYCLE_1)
	s_add_nc_u64 s[0:1], s[6:7], s[0:1]
	global_load_b32 v1, v1, s[0:1]
	s_wait_loadcnt 0x0
	v_cmp_ne_u32_e32 vcc_lo, 0, v1
	s_cbranch_vccz .LBB56_243
.LBB56_242:
	s_sendmsg sendmsg(MSG_DEALLOC_VGPRS)
	s_endpgm
.LBB56_243:
	s_wait_xcnt 0x0
	v_lshl_add_u32 v1, v0, 3, 0x1d0
	s_mov_b32 s0, exec_lo
	v_cmpx_eq_u32_e32 56, v0
	s_cbranch_execz .LBB56_245
; %bb.244:
	scratch_load_b64 v[116:117], off, off offset:440
	v_mov_b64_e32 v[118:119], 0
	scratch_store_b64 off, v[118:119], off offset:440
	s_wait_loadcnt 0x0
	ds_store_b64 v1, v[116:117]
.LBB56_245:
	s_wait_xcnt 0x0
	s_or_b32 exec_lo, exec_lo, s0
	s_wait_storecnt_dscnt 0x0
	s_barrier_signal -1
	s_barrier_wait -1
	s_clause 0x1
	scratch_load_b64 v[116:117], off, off offset:448
	scratch_load_b64 v[118:119], off, off offset:440
	v_mov_b32_e32 v7, 0
	s_mov_b32 s0, exec_lo
	ds_load_b64 v[120:121], v7 offset:912
	s_wait_loadcnt_dscnt 0x100
	v_pk_mul_f32 v[122:123], v[120:121], v[116:117] op_sel:[1,1] op_sel_hi:[0,1]
	s_delay_alu instid0(VALU_DEP_1) | instskip(SKIP_1) | instid1(VALU_DEP_2)
	v_pk_fma_f32 v[124:125], v[120:121], v[116:117], v[122:123] op_sel_hi:[1,0,1]
	v_pk_fma_f32 v[116:117], v[120:121], v[116:117], v[122:123] neg_lo:[0,0,1] neg_hi:[0,0,1]
	v_mov_b32_e32 v117, v125
	s_delay_alu instid0(VALU_DEP_1) | instskip(SKIP_1) | instid1(VALU_DEP_1)
	v_pk_add_f32 v[116:117], v[116:117], 0 op_sel_hi:[1,0]
	s_wait_loadcnt 0x0
	v_pk_add_f32 v[116:117], v[118:119], v[116:117] neg_lo:[0,1] neg_hi:[0,1]
	scratch_store_b64 off, v[116:117], off offset:440
	s_wait_xcnt 0x0
	v_cmpx_lt_u32_e32 54, v0
	s_cbranch_execz .LBB56_247
; %bb.246:
	scratch_load_b64 v[116:117], off, off offset:432
	v_mov_b64_e32 v[118:119], 0
	scratch_store_b64 off, v[118:119], off offset:432
	s_wait_loadcnt 0x0
	ds_store_b64 v1, v[116:117]
.LBB56_247:
	s_wait_xcnt 0x0
	s_or_b32 exec_lo, exec_lo, s0
	s_wait_storecnt_dscnt 0x0
	s_barrier_signal -1
	s_barrier_wait -1
	s_clause 0x1
	scratch_load_b128 v[116:119], off, off offset:440
	scratch_load_b64 v[124:125], off, off offset:432
	ds_load_2addr_b64 v[120:123], v7 offset0:113 offset1:114
	s_mov_b32 s0, exec_lo
	s_wait_dscnt 0x0
	v_dual_mov_b32 v126, v123 :: v_dual_mov_b32 v127, v122
	s_wait_loadcnt 0x1
	v_pk_mul_f32 v[128:129], v[120:121], v[116:117] op_sel:[1,1] op_sel_hi:[0,1]
	s_delay_alu instid0(VALU_DEP_1) | instskip(SKIP_2) | instid1(VALU_DEP_3)
	v_pk_fma_f32 v[132:133], v[120:121], v[116:117], v[128:129] op_sel_hi:[1,0,1]
	v_mov_b32_e32 v130, v119
	v_pk_fma_f32 v[116:117], v[120:121], v[116:117], v[128:129] neg_lo:[0,0,1] neg_hi:[0,0,1]
	v_mov_b32_e32 v117, v133
	s_delay_alu instid0(VALU_DEP_3) | instskip(NEXT) | instid1(VALU_DEP_2)
	v_pk_mul_f32 v[126:127], v[126:127], v[130:131] op_sel_hi:[1,0]
	v_pk_add_f32 v[116:117], v[116:117], 0 op_sel_hi:[1,0]
	s_delay_alu instid0(VALU_DEP_2) | instskip(SKIP_1) | instid1(VALU_DEP_2)
	v_pk_fma_f32 v[120:121], v[122:123], v[118:119], v[126:127] op_sel_hi:[1,0,1]
	v_pk_fma_f32 v[118:119], v[122:123], v[118:119], v[126:127] neg_lo:[0,0,1] neg_hi:[0,0,1]
	v_mov_b32_e32 v119, v121
	s_delay_alu instid0(VALU_DEP_1) | instskip(SKIP_1) | instid1(VALU_DEP_1)
	v_pk_add_f32 v[116:117], v[116:117], v[118:119]
	s_wait_loadcnt 0x0
	v_pk_add_f32 v[116:117], v[124:125], v[116:117] neg_lo:[0,1] neg_hi:[0,1]
	scratch_store_b64 off, v[116:117], off offset:432
	s_wait_xcnt 0x0
	v_cmpx_lt_u32_e32 53, v0
	s_cbranch_execz .LBB56_249
; %bb.248:
	scratch_load_b64 v[116:117], off, off offset:424
	v_mov_b64_e32 v[118:119], 0
	scratch_store_b64 off, v[118:119], off offset:424
	s_wait_loadcnt 0x0
	ds_store_b64 v1, v[116:117]
.LBB56_249:
	s_wait_xcnt 0x0
	s_or_b32 exec_lo, exec_lo, s0
	s_wait_storecnt_dscnt 0x0
	s_barrier_signal -1
	s_barrier_wait -1
	s_clause 0x2
	scratch_load_b128 v[116:119], off, off offset:432
	scratch_load_b64 v[124:125], off, off offset:448
	scratch_load_b64 v[126:127], off, off offset:424
	v_mov_b32_e32 v7, 0
	ds_load_b128 v[120:123], v7 offset:896
	ds_load_b64 v[128:129], v7 offset:912
	s_mov_b32 s0, exec_lo
	s_wait_dscnt 0x1
	v_dual_mov_b32 v130, v123 :: v_dual_mov_b32 v131, v122
	s_wait_loadcnt 0x2
	v_mov_b32_e32 v134, v119
	v_pk_mul_f32 v[132:133], v[120:121], v[116:117] op_sel:[1,1] op_sel_hi:[0,1]
	s_delay_alu instid0(VALU_DEP_2) | instskip(NEXT) | instid1(VALU_DEP_2)
	v_pk_mul_f32 v[130:131], v[130:131], v[134:135] op_sel_hi:[1,0]
	v_pk_fma_f32 v[136:137], v[120:121], v[116:117], v[132:133] op_sel_hi:[1,0,1]
	v_pk_fma_f32 v[116:117], v[120:121], v[116:117], v[132:133] neg_lo:[0,0,1] neg_hi:[0,0,1]
	s_wait_loadcnt_dscnt 0x100
	v_pk_mul_f32 v[132:133], v[128:129], v[124:125] op_sel:[1,1] op_sel_hi:[0,1]
	v_pk_fma_f32 v[120:121], v[122:123], v[118:119], v[130:131] op_sel_hi:[1,0,1]
	v_mov_b32_e32 v117, v137
	v_pk_fma_f32 v[118:119], v[122:123], v[118:119], v[130:131] neg_lo:[0,0,1] neg_hi:[0,0,1]
	s_delay_alu instid0(VALU_DEP_4) | instskip(NEXT) | instid1(VALU_DEP_4)
	v_pk_fma_f32 v[122:123], v[128:129], v[124:125], v[132:133] neg_lo:[0,0,1] neg_hi:[0,0,1]
	v_mov_b32_e32 v119, v121
	s_delay_alu instid0(VALU_DEP_4) | instskip(SKIP_1) | instid1(VALU_DEP_2)
	v_pk_add_f32 v[116:117], v[116:117], 0 op_sel_hi:[1,0]
	v_pk_fma_f32 v[120:121], v[128:129], v[124:125], v[132:133] op_sel_hi:[1,0,1]
	v_pk_add_f32 v[116:117], v[116:117], v[118:119]
	s_delay_alu instid0(VALU_DEP_2) | instskip(NEXT) | instid1(VALU_DEP_1)
	v_mov_b32_e32 v123, v121
	v_pk_add_f32 v[116:117], v[116:117], v[122:123]
	s_wait_loadcnt 0x0
	s_delay_alu instid0(VALU_DEP_1)
	v_pk_add_f32 v[116:117], v[126:127], v[116:117] neg_lo:[0,1] neg_hi:[0,1]
	scratch_store_b64 off, v[116:117], off offset:424
	s_wait_xcnt 0x0
	v_cmpx_lt_u32_e32 52, v0
	s_cbranch_execz .LBB56_251
; %bb.250:
	scratch_load_b64 v[116:117], off, off offset:416
	v_mov_b64_e32 v[118:119], 0
	scratch_store_b64 off, v[118:119], off offset:416
	s_wait_loadcnt 0x0
	ds_store_b64 v1, v[116:117]
.LBB56_251:
	s_wait_xcnt 0x0
	s_or_b32 exec_lo, exec_lo, s0
	s_wait_storecnt_dscnt 0x0
	s_barrier_signal -1
	s_barrier_wait -1
	s_clause 0x2
	scratch_load_b128 v[116:119], off, off offset:424
	scratch_load_b128 v[120:123], off, off offset:440
	scratch_load_b64 v[132:133], off, off offset:416
	ds_load_2addr_b64 v[124:127], v7 offset0:111 offset1:112
	ds_load_2addr_b64 v[128:131], v7 offset0:113 offset1:114
	s_mov_b32 s0, exec_lo
	s_wait_dscnt 0x1
	v_dual_mov_b32 v134, v127 :: v_dual_mov_b32 v135, v126
	s_wait_loadcnt_dscnt 0x200
	v_dual_mov_b32 v140, v131 :: v_dual_mov_b32 v138, v119
	v_pk_mul_f32 v[136:137], v[124:125], v[116:117] op_sel:[1,1] op_sel_hi:[0,1]
	s_delay_alu instid0(VALU_DEP_2) | instskip(NEXT) | instid1(VALU_DEP_2)
	v_pk_mul_f32 v[134:135], v[134:135], v[138:139] op_sel_hi:[1,0]
	v_pk_fma_f32 v[142:143], v[124:125], v[116:117], v[136:137] op_sel_hi:[1,0,1]
	v_pk_fma_f32 v[116:117], v[124:125], v[116:117], v[136:137] neg_lo:[0,0,1] neg_hi:[0,0,1]
	v_mov_b32_e32 v141, v130
	s_wait_loadcnt 0x1
	v_pk_mul_f32 v[138:139], v[128:129], v[120:121] op_sel:[1,1] op_sel_hi:[0,1]
	v_pk_fma_f32 v[124:125], v[126:127], v[118:119], v[134:135] op_sel_hi:[1,0,1]
	v_dual_mov_b32 v117, v143 :: v_dual_mov_b32 v124, v123
	v_pk_fma_f32 v[118:119], v[126:127], v[118:119], v[134:135] neg_lo:[0,0,1] neg_hi:[0,0,1]
	s_delay_alu instid0(VALU_DEP_4) | instskip(NEXT) | instid1(VALU_DEP_4)
	v_pk_fma_f32 v[136:137], v[128:129], v[120:121], v[138:139] op_sel_hi:[1,0,1]
	v_mov_b32_e32 v119, v125
	s_delay_alu instid0(VALU_DEP_4) | instskip(SKIP_2) | instid1(VALU_DEP_3)
	v_pk_add_f32 v[116:117], v[116:117], 0 op_sel_hi:[1,0]
	v_pk_mul_f32 v[124:125], v[140:141], v[124:125] op_sel_hi:[1,0]
	v_pk_fma_f32 v[120:121], v[128:129], v[120:121], v[138:139] neg_lo:[0,0,1] neg_hi:[0,0,1]
	v_pk_add_f32 v[116:117], v[116:117], v[118:119]
	s_delay_alu instid0(VALU_DEP_3) | instskip(SKIP_2) | instid1(VALU_DEP_3)
	v_pk_fma_f32 v[118:119], v[130:131], v[122:123], v[124:125] op_sel_hi:[1,0,1]
	v_mov_b32_e32 v121, v137
	v_pk_fma_f32 v[122:123], v[130:131], v[122:123], v[124:125] neg_lo:[0,0,1] neg_hi:[0,0,1]
	v_mov_b32_e32 v123, v119
	s_delay_alu instid0(VALU_DEP_3) | instskip(NEXT) | instid1(VALU_DEP_1)
	v_pk_add_f32 v[116:117], v[116:117], v[120:121]
	v_pk_add_f32 v[116:117], v[116:117], v[122:123]
	s_wait_loadcnt 0x0
	s_delay_alu instid0(VALU_DEP_1)
	v_pk_add_f32 v[116:117], v[132:133], v[116:117] neg_lo:[0,1] neg_hi:[0,1]
	scratch_store_b64 off, v[116:117], off offset:416
	s_wait_xcnt 0x0
	v_cmpx_lt_u32_e32 51, v0
	s_cbranch_execz .LBB56_253
; %bb.252:
	scratch_load_b64 v[116:117], off, off offset:408
	v_mov_b64_e32 v[118:119], 0
	scratch_store_b64 off, v[118:119], off offset:408
	s_wait_loadcnt 0x0
	ds_store_b64 v1, v[116:117]
.LBB56_253:
	s_wait_xcnt 0x0
	s_or_b32 exec_lo, exec_lo, s0
	s_wait_storecnt_dscnt 0x0
	s_barrier_signal -1
	s_barrier_wait -1
	s_clause 0x3
	scratch_load_b128 v[116:119], off, off offset:416
	scratch_load_b128 v[120:123], off, off offset:432
	scratch_load_b64 v[132:133], off, off offset:448
	scratch_load_b64 v[134:135], off, off offset:408
	v_mov_b32_e32 v7, 0
	ds_load_b128 v[124:127], v7 offset:880
	ds_load_b128 v[128:131], v7 offset:896
	s_mov_b32 s0, exec_lo
	s_wait_dscnt 0x1
	v_dual_mov_b32 v136, v127 :: v_dual_mov_b32 v137, v126
	ds_load_b64 v[142:143], v7 offset:912
	s_wait_dscnt 0x1
	v_dual_mov_b32 v144, v131 :: v_dual_mov_b32 v145, v130
	s_wait_loadcnt 0x3
	v_pk_mul_f32 v[138:139], v[124:125], v[116:117] op_sel:[1,1] op_sel_hi:[0,1]
	v_mov_b32_e32 v140, v119
	s_delay_alu instid0(VALU_DEP_2) | instskip(NEXT) | instid1(VALU_DEP_2)
	v_pk_fma_f32 v[146:147], v[124:125], v[116:117], v[138:139] op_sel_hi:[1,0,1]
	v_pk_mul_f32 v[136:137], v[136:137], v[140:141] op_sel_hi:[1,0]
	v_pk_fma_f32 v[116:117], v[124:125], v[116:117], v[138:139] neg_lo:[0,0,1] neg_hi:[0,0,1]
	s_wait_loadcnt 0x2
	v_pk_mul_f32 v[140:141], v[128:129], v[120:121] op_sel:[1,1] op_sel_hi:[0,1]
	v_dual_mov_b32 v146, v123 :: v_dual_mov_b32 v117, v147
	v_pk_fma_f32 v[124:125], v[126:127], v[118:119], v[136:137] op_sel_hi:[1,0,1]
	v_pk_fma_f32 v[118:119], v[126:127], v[118:119], v[136:137] neg_lo:[0,0,1] neg_hi:[0,0,1]
	s_delay_alu instid0(VALU_DEP_4) | instskip(NEXT) | instid1(VALU_DEP_4)
	v_pk_fma_f32 v[138:139], v[128:129], v[120:121], v[140:141] op_sel_hi:[1,0,1]
	v_pk_mul_f32 v[144:145], v[144:145], v[146:147] op_sel_hi:[1,0]
	v_pk_add_f32 v[116:117], v[116:117], 0 op_sel_hi:[1,0]
	v_mov_b32_e32 v119, v125
	v_pk_fma_f32 v[120:121], v[128:129], v[120:121], v[140:141] neg_lo:[0,0,1] neg_hi:[0,0,1]
	v_mov_b32_e32 v121, v139
	v_pk_fma_f32 v[124:125], v[130:131], v[122:123], v[144:145] op_sel_hi:[1,0,1]
	v_pk_fma_f32 v[122:123], v[130:131], v[122:123], v[144:145] neg_lo:[0,0,1] neg_hi:[0,0,1]
	v_pk_add_f32 v[116:117], v[116:117], v[118:119]
	s_wait_loadcnt_dscnt 0x100
	v_pk_mul_f32 v[118:119], v[142:143], v[132:133] op_sel:[1,1] op_sel_hi:[0,1]
	s_delay_alu instid0(VALU_DEP_2) | instskip(NEXT) | instid1(VALU_DEP_2)
	v_pk_add_f32 v[116:117], v[116:117], v[120:121]
	v_pk_fma_f32 v[120:121], v[142:143], v[132:133], v[118:119] op_sel_hi:[1,0,1]
	v_mov_b32_e32 v123, v125
	v_pk_fma_f32 v[118:119], v[142:143], v[132:133], v[118:119] neg_lo:[0,0,1] neg_hi:[0,0,1]
	s_delay_alu instid0(VALU_DEP_3) | instskip(NEXT) | instid1(VALU_DEP_3)
	v_mov_b32_e32 v119, v121
	v_pk_add_f32 v[116:117], v[116:117], v[122:123]
	s_delay_alu instid0(VALU_DEP_1) | instskip(SKIP_1) | instid1(VALU_DEP_1)
	v_pk_add_f32 v[116:117], v[116:117], v[118:119]
	s_wait_loadcnt 0x0
	v_pk_add_f32 v[116:117], v[134:135], v[116:117] neg_lo:[0,1] neg_hi:[0,1]
	scratch_store_b64 off, v[116:117], off offset:408
	s_wait_xcnt 0x0
	v_cmpx_lt_u32_e32 50, v0
	s_cbranch_execz .LBB56_255
; %bb.254:
	scratch_load_b64 v[116:117], off, off offset:400
	v_mov_b64_e32 v[118:119], 0
	scratch_store_b64 off, v[118:119], off offset:400
	s_wait_loadcnt 0x0
	ds_store_b64 v1, v[116:117]
.LBB56_255:
	s_wait_xcnt 0x0
	s_or_b32 exec_lo, exec_lo, s0
	s_wait_storecnt_dscnt 0x0
	s_barrier_signal -1
	s_barrier_wait -1
	s_clause 0x3
	scratch_load_b128 v[116:119], off, off offset:408
	scratch_load_b128 v[120:123], off, off offset:424
	scratch_load_b128 v[124:127], off, off offset:440
	scratch_load_b64 v[140:141], off, off offset:400
	ds_load_2addr_b64 v[128:131], v7 offset0:109 offset1:110
	ds_load_2addr_b64 v[132:135], v7 offset0:111 offset1:112
	;; [unrolled: 1-line block ×3, first 2 shown]
	s_mov_b32 s0, exec_lo
	s_wait_dscnt 0x2
	v_dual_mov_b32 v142, v131 :: v_dual_mov_b32 v143, v130
	s_wait_dscnt 0x1
	v_dual_mov_b32 v144, v135 :: v_dual_mov_b32 v145, v134
	;; [unrolled: 2-line block ×3, first 2 shown]
	s_wait_loadcnt 0x3
	v_pk_mul_f32 v[146:147], v[128:129], v[116:117] op_sel:[1,1] op_sel_hi:[0,1]
	v_mov_b32_e32 v148, v119
	s_delay_alu instid0(VALU_DEP_2) | instskip(NEXT) | instid1(VALU_DEP_2)
	v_pk_fma_f32 v[152:153], v[128:129], v[116:117], v[146:147] op_sel_hi:[1,0,1]
	v_pk_mul_f32 v[142:143], v[142:143], v[148:149] op_sel_hi:[1,0]
	v_pk_fma_f32 v[116:117], v[128:129], v[116:117], v[146:147] neg_lo:[0,0,1] neg_hi:[0,0,1]
	s_wait_loadcnt 0x2
	v_pk_mul_f32 v[148:149], v[132:133], v[120:121] op_sel:[1,1] op_sel_hi:[0,1]
	v_mov_b32_e32 v152, v123
	v_pk_fma_f32 v[128:129], v[130:131], v[118:119], v[142:143] op_sel_hi:[1,0,1]
	v_mov_b32_e32 v117, v153
	v_pk_fma_f32 v[118:119], v[130:131], v[118:119], v[142:143] neg_lo:[0,0,1] neg_hi:[0,0,1]
	v_pk_fma_f32 v[146:147], v[132:133], v[120:121], v[148:149] op_sel_hi:[1,0,1]
	v_pk_mul_f32 v[144:145], v[144:145], v[152:153] op_sel_hi:[1,0]
	v_mov_b32_e32 v119, v129
	v_pk_add_f32 v[116:117], v[116:117], 0 op_sel_hi:[1,0]
	v_pk_fma_f32 v[120:121], v[132:133], v[120:121], v[148:149] neg_lo:[0,0,1] neg_hi:[0,0,1]
	s_wait_loadcnt 0x1
	v_pk_mul_f32 v[128:129], v[136:137], v[124:125] op_sel:[1,1] op_sel_hi:[0,1]
	v_mov_b32_e32 v121, v147
	v_pk_fma_f32 v[130:131], v[134:135], v[122:123], v[144:145] op_sel_hi:[1,0,1]
	v_pk_add_f32 v[116:117], v[116:117], v[118:119]
	v_mov_b32_e32 v118, v127
	v_pk_fma_f32 v[122:123], v[134:135], v[122:123], v[144:145] neg_lo:[0,0,1] neg_hi:[0,0,1]
	v_pk_fma_f32 v[132:133], v[136:137], v[124:125], v[128:129] op_sel_hi:[1,0,1]
	v_mov_b32_e32 v123, v131
	v_pk_add_f32 v[116:117], v[116:117], v[120:121]
	v_pk_mul_f32 v[118:119], v[150:151], v[118:119] op_sel_hi:[1,0]
	v_pk_fma_f32 v[120:121], v[136:137], v[124:125], v[128:129] neg_lo:[0,0,1] neg_hi:[0,0,1]
	v_mov_b32_e32 v121, v133
	s_delay_alu instid0(VALU_DEP_4) | instskip(NEXT) | instid1(VALU_DEP_4)
	v_pk_add_f32 v[116:117], v[116:117], v[122:123]
	v_pk_fma_f32 v[122:123], v[138:139], v[126:127], v[118:119] op_sel_hi:[1,0,1]
	v_pk_fma_f32 v[118:119], v[138:139], v[126:127], v[118:119] neg_lo:[0,0,1] neg_hi:[0,0,1]
	s_delay_alu instid0(VALU_DEP_3) | instskip(NEXT) | instid1(VALU_DEP_3)
	v_pk_add_f32 v[116:117], v[116:117], v[120:121]
	v_mov_b32_e32 v119, v123
	s_delay_alu instid0(VALU_DEP_1) | instskip(SKIP_1) | instid1(VALU_DEP_1)
	v_pk_add_f32 v[116:117], v[116:117], v[118:119]
	s_wait_loadcnt 0x0
	v_pk_add_f32 v[116:117], v[140:141], v[116:117] neg_lo:[0,1] neg_hi:[0,1]
	scratch_store_b64 off, v[116:117], off offset:400
	s_wait_xcnt 0x0
	v_cmpx_lt_u32_e32 49, v0
	s_cbranch_execz .LBB56_257
; %bb.256:
	scratch_load_b64 v[116:117], off, off offset:392
	v_mov_b64_e32 v[118:119], 0
	scratch_store_b64 off, v[118:119], off offset:392
	s_wait_loadcnt 0x0
	ds_store_b64 v1, v[116:117]
.LBB56_257:
	s_wait_xcnt 0x0
	s_or_b32 exec_lo, exec_lo, s0
	s_wait_storecnt_dscnt 0x0
	s_barrier_signal -1
	s_barrier_wait -1
	s_clause 0x4
	scratch_load_b128 v[116:119], off, off offset:400
	scratch_load_b128 v[120:123], off, off offset:416
	;; [unrolled: 1-line block ×3, first 2 shown]
	scratch_load_b64 v[140:141], off, off offset:448
	scratch_load_b64 v[142:143], off, off offset:392
	v_mov_b32_e32 v7, 0
	ds_load_b128 v[128:131], v7 offset:864
	ds_load_b128 v[132:135], v7 offset:880
	;; [unrolled: 1-line block ×3, first 2 shown]
	ds_load_b64 v[144:145], v7 offset:912
	s_mov_b32 s0, exec_lo
	s_wait_dscnt 0x3
	v_dual_mov_b32 v146, v131 :: v_dual_mov_b32 v147, v130
	s_wait_dscnt 0x2
	v_dual_mov_b32 v148, v135 :: v_dual_mov_b32 v149, v134
	;; [unrolled: 2-line block ×3, first 2 shown]
	s_wait_loadcnt 0x4
	v_pk_mul_f32 v[150:151], v[128:129], v[116:117] op_sel:[1,1] op_sel_hi:[0,1]
	v_mov_b32_e32 v152, v119
	s_wait_loadcnt 0x3
	v_pk_mul_f32 v[156:157], v[132:133], v[120:121] op_sel:[1,1] op_sel_hi:[0,1]
	s_wait_loadcnt 0x2
	v_pk_mul_f32 v[160:161], v[136:137], v[124:125] op_sel:[1,1] op_sel_hi:[0,1]
	v_pk_fma_f32 v[158:159], v[128:129], v[116:117], v[150:151] op_sel_hi:[1,0,1]
	v_pk_mul_f32 v[146:147], v[146:147], v[152:153] op_sel_hi:[1,0]
	v_pk_fma_f32 v[116:117], v[128:129], v[116:117], v[150:151] neg_lo:[0,0,1] neg_hi:[0,0,1]
	v_mov_b32_e32 v152, v123
	v_pk_fma_f32 v[150:151], v[132:133], v[120:121], v[156:157] op_sel_hi:[1,0,1]
	v_mov_b32_e32 v117, v159
	v_pk_fma_f32 v[128:129], v[130:131], v[118:119], v[146:147] op_sel_hi:[1,0,1]
	v_pk_fma_f32 v[118:119], v[130:131], v[118:119], v[146:147] neg_lo:[0,0,1] neg_hi:[0,0,1]
	v_pk_mul_f32 v[148:149], v[148:149], v[152:153] op_sel_hi:[1,0]
	v_pk_fma_f32 v[120:121], v[132:133], v[120:121], v[156:157] neg_lo:[0,0,1] neg_hi:[0,0,1]
	v_pk_add_f32 v[116:117], v[116:117], 0 op_sel_hi:[1,0]
	v_dual_mov_b32 v119, v129 :: v_dual_mov_b32 v128, v127
	s_delay_alu instid0(VALU_DEP_4) | instskip(SKIP_2) | instid1(VALU_DEP_4)
	v_pk_fma_f32 v[130:131], v[134:135], v[122:123], v[148:149] op_sel_hi:[1,0,1]
	v_mov_b32_e32 v121, v151
	v_pk_fma_f32 v[122:123], v[134:135], v[122:123], v[148:149] neg_lo:[0,0,1] neg_hi:[0,0,1]
	v_pk_add_f32 v[116:117], v[116:117], v[118:119]
	v_pk_fma_f32 v[118:119], v[136:137], v[124:125], v[160:161] op_sel_hi:[1,0,1]
	v_pk_mul_f32 v[128:129], v[154:155], v[128:129] op_sel_hi:[1,0]
	v_mov_b32_e32 v123, v131
	s_delay_alu instid0(VALU_DEP_4)
	v_pk_add_f32 v[116:117], v[116:117], v[120:121]
	v_pk_fma_f32 v[120:121], v[136:137], v[124:125], v[160:161] neg_lo:[0,0,1] neg_hi:[0,0,1]
	v_mov_b32_e32 v121, v119
	v_pk_fma_f32 v[118:119], v[138:139], v[126:127], v[128:129] op_sel_hi:[1,0,1]
	v_pk_fma_f32 v[124:125], v[138:139], v[126:127], v[128:129] neg_lo:[0,0,1] neg_hi:[0,0,1]
	v_pk_add_f32 v[116:117], v[116:117], v[122:123]
	s_wait_loadcnt_dscnt 0x100
	v_pk_mul_f32 v[122:123], v[144:145], v[140:141] op_sel:[1,1] op_sel_hi:[0,1]
	v_mov_b32_e32 v125, v119
	s_delay_alu instid0(VALU_DEP_3) | instskip(NEXT) | instid1(VALU_DEP_3)
	v_pk_add_f32 v[116:117], v[116:117], v[120:121]
	v_pk_fma_f32 v[118:119], v[144:145], v[140:141], v[122:123] op_sel_hi:[1,0,1]
	v_pk_fma_f32 v[120:121], v[144:145], v[140:141], v[122:123] neg_lo:[0,0,1] neg_hi:[0,0,1]
	s_delay_alu instid0(VALU_DEP_3) | instskip(NEXT) | instid1(VALU_DEP_3)
	v_pk_add_f32 v[116:117], v[116:117], v[124:125]
	v_mov_b32_e32 v121, v119
	s_delay_alu instid0(VALU_DEP_1) | instskip(SKIP_1) | instid1(VALU_DEP_1)
	v_pk_add_f32 v[116:117], v[116:117], v[120:121]
	s_wait_loadcnt 0x0
	v_pk_add_f32 v[116:117], v[142:143], v[116:117] neg_lo:[0,1] neg_hi:[0,1]
	scratch_store_b64 off, v[116:117], off offset:392
	s_wait_xcnt 0x0
	v_cmpx_lt_u32_e32 48, v0
	s_cbranch_execz .LBB56_259
; %bb.258:
	scratch_load_b64 v[116:117], off, off offset:384
	v_mov_b64_e32 v[118:119], 0
	scratch_store_b64 off, v[118:119], off offset:384
	s_wait_loadcnt 0x0
	ds_store_b64 v1, v[116:117]
.LBB56_259:
	s_wait_xcnt 0x0
	s_or_b32 exec_lo, exec_lo, s0
	s_wait_storecnt_dscnt 0x0
	s_barrier_signal -1
	s_barrier_wait -1
	s_clause 0x4
	scratch_load_b128 v[116:119], off, off offset:392
	scratch_load_b128 v[120:123], off, off offset:408
	;; [unrolled: 1-line block ×4, first 2 shown]
	scratch_load_b64 v[148:149], off, off offset:384
	ds_load_2addr_b64 v[132:135], v7 offset0:107 offset1:108
	ds_load_2addr_b64 v[136:139], v7 offset0:109 offset1:110
	;; [unrolled: 1-line block ×4, first 2 shown]
	s_mov_b32 s0, exec_lo
	s_wait_dscnt 0x3
	v_dual_mov_b32 v150, v135 :: v_dual_mov_b32 v151, v134
	s_wait_dscnt 0x2
	v_dual_mov_b32 v152, v139 :: v_dual_mov_b32 v153, v138
	;; [unrolled: 2-line block ×3, first 2 shown]
	v_dual_mov_b32 v155, v142 :: v_dual_mov_b32 v160, v147
	s_wait_loadcnt 0x4
	v_mov_b32_e32 v158, v119
	v_pk_mul_f32 v[156:157], v[132:133], v[116:117] op_sel:[1,1] op_sel_hi:[0,1]
	s_wait_loadcnt 0x3
	v_pk_mul_f32 v[162:163], v[136:137], v[120:121] op_sel:[1,1] op_sel_hi:[0,1]
	s_wait_loadcnt 0x2
	v_pk_mul_f32 v[166:167], v[140:141], v[124:125] op_sel:[1,1] op_sel_hi:[0,1]
	v_pk_mul_f32 v[150:151], v[150:151], v[158:159] op_sel_hi:[1,0]
	v_pk_fma_f32 v[164:165], v[132:133], v[116:117], v[156:157] op_sel_hi:[1,0,1]
	v_pk_fma_f32 v[116:117], v[132:133], v[116:117], v[156:157] neg_lo:[0,0,1] neg_hi:[0,0,1]
	v_mov_b32_e32 v158, v123
	v_pk_fma_f32 v[156:157], v[136:137], v[120:121], v[162:163] op_sel_hi:[1,0,1]
	v_pk_fma_f32 v[132:133], v[134:135], v[118:119], v[150:151] op_sel_hi:[1,0,1]
	v_mov_b32_e32 v117, v165
	v_pk_fma_f32 v[118:119], v[134:135], v[118:119], v[150:151] neg_lo:[0,0,1] neg_hi:[0,0,1]
	v_pk_mul_f32 v[152:153], v[152:153], v[158:159] op_sel_hi:[1,0]
	s_delay_alu instid0(VALU_DEP_4) | instskip(NEXT) | instid1(VALU_DEP_4)
	v_dual_mov_b32 v132, v127 :: v_dual_mov_b32 v119, v133
	v_pk_add_f32 v[116:117], v[116:117], 0 op_sel_hi:[1,0]
	v_pk_fma_f32 v[120:121], v[136:137], v[120:121], v[162:163] neg_lo:[0,0,1] neg_hi:[0,0,1]
	v_mov_b32_e32 v121, v157
	v_pk_fma_f32 v[134:135], v[138:139], v[122:123], v[152:153] op_sel_hi:[1,0,1]
	v_pk_mul_f32 v[132:133], v[154:155], v[132:133] op_sel_hi:[1,0]
	v_pk_add_f32 v[116:117], v[116:117], v[118:119]
	v_pk_fma_f32 v[118:119], v[140:141], v[124:125], v[166:167] op_sel_hi:[1,0,1]
	v_pk_fma_f32 v[122:123], v[138:139], v[122:123], v[152:153] neg_lo:[0,0,1] neg_hi:[0,0,1]
	v_mov_b32_e32 v123, v135
	v_pk_fma_f32 v[124:125], v[140:141], v[124:125], v[166:167] neg_lo:[0,0,1] neg_hi:[0,0,1]
	v_pk_add_f32 v[116:117], v[116:117], v[120:121]
	v_mov_b32_e32 v125, v119
	v_pk_fma_f32 v[118:119], v[142:143], v[126:127], v[132:133] op_sel_hi:[1,0,1]
	s_wait_loadcnt 0x1
	v_pk_mul_f32 v[120:121], v[144:145], v[128:129] op_sel:[1,1] op_sel_hi:[0,1]
	v_mov_b32_e32 v118, v131
	v_pk_add_f32 v[116:117], v[116:117], v[122:123]
	v_pk_fma_f32 v[126:127], v[142:143], v[126:127], v[132:133] neg_lo:[0,0,1] neg_hi:[0,0,1]
	v_mov_b32_e32 v127, v119
	v_pk_fma_f32 v[122:123], v[144:145], v[128:129], v[120:121] op_sel_hi:[1,0,1]
	v_pk_mul_f32 v[118:119], v[160:161], v[118:119] op_sel_hi:[1,0]
	v_pk_add_f32 v[116:117], v[116:117], v[124:125]
	v_pk_fma_f32 v[120:121], v[144:145], v[128:129], v[120:121] neg_lo:[0,0,1] neg_hi:[0,0,1]
	s_delay_alu instid0(VALU_DEP_4) | instskip(NEXT) | instid1(VALU_DEP_4)
	v_mov_b32_e32 v121, v123
	v_pk_fma_f32 v[122:123], v[146:147], v[130:131], v[118:119] op_sel_hi:[1,0,1]
	s_delay_alu instid0(VALU_DEP_4) | instskip(SKIP_1) | instid1(VALU_DEP_3)
	v_pk_add_f32 v[116:117], v[116:117], v[126:127]
	v_pk_fma_f32 v[118:119], v[146:147], v[130:131], v[118:119] neg_lo:[0,0,1] neg_hi:[0,0,1]
	v_mov_b32_e32 v119, v123
	s_delay_alu instid0(VALU_DEP_3) | instskip(NEXT) | instid1(VALU_DEP_1)
	v_pk_add_f32 v[116:117], v[116:117], v[120:121]
	v_pk_add_f32 v[116:117], v[116:117], v[118:119]
	s_wait_loadcnt 0x0
	s_delay_alu instid0(VALU_DEP_1)
	v_pk_add_f32 v[116:117], v[148:149], v[116:117] neg_lo:[0,1] neg_hi:[0,1]
	scratch_store_b64 off, v[116:117], off offset:384
	s_wait_xcnt 0x0
	v_cmpx_lt_u32_e32 47, v0
	s_cbranch_execz .LBB56_261
; %bb.260:
	scratch_load_b64 v[116:117], off, off offset:376
	v_mov_b64_e32 v[118:119], 0
	scratch_store_b64 off, v[118:119], off offset:376
	s_wait_loadcnt 0x0
	ds_store_b64 v1, v[116:117]
.LBB56_261:
	s_wait_xcnt 0x0
	s_or_b32 exec_lo, exec_lo, s0
	s_wait_storecnt_dscnt 0x0
	s_barrier_signal -1
	s_barrier_wait -1
	s_clause 0x5
	scratch_load_b128 v[116:119], off, off offset:384
	scratch_load_b128 v[120:123], off, off offset:400
	;; [unrolled: 1-line block ×4, first 2 shown]
	scratch_load_b64 v[148:149], off, off offset:448
	scratch_load_b64 v[150:151], off, off offset:376
	v_mov_b32_e32 v7, 0
	ds_load_b128 v[132:135], v7 offset:848
	ds_load_b128 v[136:139], v7 offset:864
	;; [unrolled: 1-line block ×4, first 2 shown]
	ds_load_b64 v[152:153], v7 offset:912
	s_mov_b32 s0, exec_lo
	s_wait_dscnt 0x4
	v_dual_mov_b32 v154, v135 :: v_dual_mov_b32 v155, v134
	s_wait_dscnt 0x1
	v_dual_mov_b32 v156, v139 :: v_dual_mov_b32 v161, v146
	v_dual_mov_b32 v157, v138 :: v_dual_mov_b32 v158, v143
	;; [unrolled: 1-line block ×3, first 2 shown]
	s_wait_loadcnt 0x5
	v_dual_mov_b32 v162, v119 :: v_dual_mul_f32 v163, v132, v117
	v_mul_f32_e32 v9, v133, v117
	s_wait_loadcnt 0x4
	v_pk_mul_f32 v[164:165], v[136:137], v[120:121] op_sel:[1,1] op_sel_hi:[0,1]
	v_mov_b32_e32 v166, v123
	s_wait_loadcnt 0x3
	v_pk_mul_f32 v[168:169], v[140:141], v[124:125] op_sel:[1,1] op_sel_hi:[0,1]
	v_pk_mul_f32 v[154:155], v[154:155], v[162:163] op_sel_hi:[1,0]
	v_dual_fmac_f32 v163, v133, v116 :: v_dual_fma_f32 v162, v132, v116, -v9
	v_mov_b32_e32 v116, v127
	v_pk_fma_f32 v[170:171], v[136:137], v[120:121], v[164:165] op_sel_hi:[1,0,1]
	s_delay_alu instid0(VALU_DEP_4)
	v_pk_fma_f32 v[132:133], v[134:135], v[118:119], v[154:155] op_sel_hi:[1,0,1]
	v_pk_fma_f32 v[118:119], v[134:135], v[118:119], v[154:155] neg_lo:[0,0,1] neg_hi:[0,0,1]
	v_pk_mul_f32 v[156:157], v[156:157], v[166:167] op_sel_hi:[1,0]
	v_pk_add_f32 v[162:163], v[162:163], 0 op_sel_hi:[1,0]
	v_pk_fma_f32 v[120:121], v[136:137], v[120:121], v[164:165] neg_lo:[0,0,1] neg_hi:[0,0,1]
	v_dual_mov_b32 v119, v133 :: v_dual_mov_b32 v121, v171
	s_delay_alu instid0(VALU_DEP_4) | instskip(SKIP_2) | instid1(VALU_DEP_4)
	v_pk_fma_f32 v[134:135], v[138:139], v[122:123], v[156:157] op_sel_hi:[1,0,1]
	v_pk_fma_f32 v[122:123], v[138:139], v[122:123], v[156:157] neg_lo:[0,0,1] neg_hi:[0,0,1]
	v_pk_fma_f32 v[136:137], v[140:141], v[124:125], v[168:169] op_sel_hi:[1,0,1]
	v_pk_add_f32 v[118:119], v[162:163], v[118:119]
	v_pk_mul_f32 v[116:117], v[158:159], v[116:117] op_sel_hi:[1,0]
	v_mov_b32_e32 v123, v135
	v_pk_fma_f32 v[124:125], v[140:141], v[124:125], v[168:169] neg_lo:[0,0,1] neg_hi:[0,0,1]
	s_wait_loadcnt 0x2
	v_pk_mul_f32 v[132:133], v[144:145], v[128:129] op_sel:[1,1] op_sel_hi:[0,1]
	v_pk_add_f32 v[118:119], v[118:119], v[120:121]
	v_mov_b32_e32 v120, v131
	v_pk_fma_f32 v[134:135], v[142:143], v[126:127], v[116:117] op_sel_hi:[1,0,1]
	v_mov_b32_e32 v125, v137
	v_pk_fma_f32 v[116:117], v[142:143], v[126:127], v[116:117] neg_lo:[0,0,1] neg_hi:[0,0,1]
	v_pk_add_f32 v[118:119], v[118:119], v[122:123]
	v_pk_fma_f32 v[122:123], v[144:145], v[128:129], v[132:133] op_sel_hi:[1,0,1]
	v_pk_mul_f32 v[120:121], v[160:161], v[120:121] op_sel_hi:[1,0]
	v_mov_b32_e32 v117, v135
	s_delay_alu instid0(VALU_DEP_4)
	v_pk_add_f32 v[118:119], v[118:119], v[124:125]
	v_pk_fma_f32 v[124:125], v[144:145], v[128:129], v[132:133] neg_lo:[0,0,1] neg_hi:[0,0,1]
	v_mov_b32_e32 v125, v123
	v_pk_fma_f32 v[122:123], v[146:147], v[130:131], v[120:121] op_sel_hi:[1,0,1]
	v_pk_fma_f32 v[120:121], v[146:147], v[130:131], v[120:121] neg_lo:[0,0,1] neg_hi:[0,0,1]
	v_pk_add_f32 v[116:117], v[118:119], v[116:117]
	s_wait_loadcnt_dscnt 0x100
	v_pk_mul_f32 v[118:119], v[152:153], v[148:149] op_sel:[1,1] op_sel_hi:[0,1]
	v_mov_b32_e32 v121, v123
	s_delay_alu instid0(VALU_DEP_3) | instskip(NEXT) | instid1(VALU_DEP_3)
	v_pk_add_f32 v[116:117], v[116:117], v[124:125]
	v_pk_fma_f32 v[122:123], v[152:153], v[148:149], v[118:119] op_sel_hi:[1,0,1]
	v_pk_fma_f32 v[118:119], v[152:153], v[148:149], v[118:119] neg_lo:[0,0,1] neg_hi:[0,0,1]
	s_delay_alu instid0(VALU_DEP_3) | instskip(NEXT) | instid1(VALU_DEP_3)
	v_pk_add_f32 v[116:117], v[116:117], v[120:121]
	v_mov_b32_e32 v119, v123
	s_delay_alu instid0(VALU_DEP_1) | instskip(SKIP_1) | instid1(VALU_DEP_1)
	v_pk_add_f32 v[116:117], v[116:117], v[118:119]
	s_wait_loadcnt 0x0
	v_pk_add_f32 v[116:117], v[150:151], v[116:117] neg_lo:[0,1] neg_hi:[0,1]
	scratch_store_b64 off, v[116:117], off offset:376
	s_wait_xcnt 0x0
	v_cmpx_lt_u32_e32 46, v0
	s_cbranch_execz .LBB56_263
; %bb.262:
	scratch_load_b64 v[116:117], off, off offset:368
	v_mov_b64_e32 v[118:119], 0
	scratch_store_b64 off, v[118:119], off offset:368
	s_wait_loadcnt 0x0
	ds_store_b64 v1, v[116:117]
.LBB56_263:
	s_wait_xcnt 0x0
	s_or_b32 exec_lo, exec_lo, s0
	s_wait_storecnt_dscnt 0x0
	s_barrier_signal -1
	s_barrier_wait -1
	s_clause 0x5
	scratch_load_b128 v[116:119], off, off offset:376
	scratch_load_b128 v[120:123], off, off offset:392
	;; [unrolled: 1-line block ×5, first 2 shown]
	scratch_load_b64 v[156:157], off, off offset:368
	ds_load_2addr_b64 v[136:139], v7 offset0:107 offset1:108
	ds_load_2addr_b64 v[140:143], v7 offset0:109 offset1:110
	;; [unrolled: 1-line block ×5, first 2 shown]
	s_mov_b32 s0, exec_lo
	s_wait_dscnt 0x4
	v_dual_mov_b32 v158, v139 :: v_dual_mov_b32 v159, v138
	s_wait_dscnt 0x3
	v_dual_mov_b32 v160, v143 :: v_dual_mov_b32 v161, v142
	;; [unrolled: 2-line block ×4, first 2 shown]
	s_wait_loadcnt_dscnt 0x500
	v_dual_mul_f32 v167, v152, v117 :: v_dual_mul_f32 v169, v154, v119
	v_dual_mul_f32 v7, v153, v117 :: v_dual_mul_f32 v9, v155, v119
	s_wait_loadcnt 0x4
	v_pk_mul_f32 v[170:171], v[136:137], v[120:121] op_sel:[1,1] op_sel_hi:[0,1]
	s_wait_loadcnt 0x3
	v_dual_mov_b32 v172, v123 :: v_dual_mov_b32 v176, v127
	v_dual_fmac_f32 v167, v153, v116 :: v_dual_fmac_f32 v169, v155, v118
	v_dual_fma_f32 v166, v152, v116, -v7 :: v_dual_fma_f32 v168, v154, v118, -v9
	v_pk_fma_f32 v[116:117], v[136:137], v[120:121], v[170:171] op_sel_hi:[1,0,1]
	s_delay_alu instid0(VALU_DEP_4) | instskip(SKIP_1) | instid1(VALU_DEP_4)
	v_pk_mul_f32 v[118:119], v[158:159], v[172:173] op_sel_hi:[1,0]
	v_pk_fma_f32 v[120:121], v[136:137], v[120:121], v[170:171] neg_lo:[0,0,1] neg_hi:[0,0,1]
	v_pk_add_f32 v[152:153], v[166:167], 0 op_sel_hi:[1,0]
	v_pk_mul_f32 v[174:175], v[140:141], v[124:125] op_sel:[1,1] op_sel_hi:[0,1]
	v_mov_b32_e32 v121, v117
	v_pk_fma_f32 v[116:117], v[138:139], v[122:123], v[118:119] op_sel_hi:[1,0,1]
	v_pk_fma_f32 v[118:119], v[138:139], v[122:123], v[118:119] neg_lo:[0,0,1] neg_hi:[0,0,1]
	v_pk_add_f32 v[136:137], v[152:153], v[168:169]
	v_pk_fma_f32 v[152:153], v[140:141], v[124:125], v[174:175] op_sel_hi:[1,0,1]
	v_pk_mul_f32 v[158:159], v[160:161], v[176:177] op_sel_hi:[1,0]
	v_mov_b32_e32 v119, v117
	s_wait_loadcnt 0x2
	v_pk_mul_f32 v[154:155], v[144:145], v[128:129] op_sel:[1,1] op_sel_hi:[0,1]
	v_pk_add_f32 v[116:117], v[136:137], v[120:121]
	v_mov_b32_e32 v120, v131
	v_pk_fma_f32 v[122:123], v[140:141], v[124:125], v[174:175] neg_lo:[0,0,1] neg_hi:[0,0,1]
	v_mov_b32_e32 v123, v153
	v_pk_fma_f32 v[124:125], v[142:143], v[126:127], v[158:159] op_sel_hi:[1,0,1]
	v_pk_add_f32 v[116:117], v[116:117], v[118:119]
	v_pk_fma_f32 v[118:119], v[144:145], v[128:129], v[154:155] op_sel_hi:[1,0,1]
	v_pk_mul_f32 v[120:121], v[162:163], v[120:121] op_sel_hi:[1,0]
	v_pk_fma_f32 v[126:127], v[142:143], v[126:127], v[158:159] neg_lo:[0,0,1] neg_hi:[0,0,1]
	v_mov_b32_e32 v127, v125
	v_pk_add_f32 v[116:117], v[116:117], v[122:123]
	v_pk_fma_f32 v[124:125], v[144:145], v[128:129], v[154:155] neg_lo:[0,0,1] neg_hi:[0,0,1]
	v_mov_b32_e32 v125, v119
	v_pk_fma_f32 v[118:119], v[146:147], v[130:131], v[120:121] op_sel_hi:[1,0,1]
	s_wait_loadcnt 0x1
	v_pk_mul_f32 v[122:123], v[148:149], v[132:133] op_sel:[1,1] op_sel_hi:[0,1]
	v_pk_add_f32 v[116:117], v[116:117], v[126:127]
	v_mov_b32_e32 v118, v135
	v_pk_fma_f32 v[120:121], v[146:147], v[130:131], v[120:121] neg_lo:[0,0,1] neg_hi:[0,0,1]
	v_mov_b32_e32 v121, v119
	v_pk_fma_f32 v[126:127], v[148:149], v[132:133], v[122:123] op_sel_hi:[1,0,1]
	v_pk_add_f32 v[116:117], v[116:117], v[124:125]
	v_pk_mul_f32 v[118:119], v[164:165], v[118:119] op_sel_hi:[1,0]
	v_pk_fma_f32 v[122:123], v[148:149], v[132:133], v[122:123] neg_lo:[0,0,1] neg_hi:[0,0,1]
	s_delay_alu instid0(VALU_DEP_3) | instskip(NEXT) | instid1(VALU_DEP_3)
	v_pk_add_f32 v[116:117], v[116:117], v[120:121]
	v_pk_fma_f32 v[120:121], v[150:151], v[134:135], v[118:119] op_sel_hi:[1,0,1]
	v_mov_b32_e32 v123, v127
	v_pk_fma_f32 v[118:119], v[150:151], v[134:135], v[118:119] neg_lo:[0,0,1] neg_hi:[0,0,1]
	s_delay_alu instid0(VALU_DEP_3) | instskip(NEXT) | instid1(VALU_DEP_3)
	v_mov_b32_e32 v119, v121
	v_pk_add_f32 v[116:117], v[116:117], v[122:123]
	s_delay_alu instid0(VALU_DEP_1) | instskip(SKIP_1) | instid1(VALU_DEP_1)
	v_pk_add_f32 v[116:117], v[116:117], v[118:119]
	s_wait_loadcnt 0x0
	v_pk_add_f32 v[116:117], v[156:157], v[116:117] neg_lo:[0,1] neg_hi:[0,1]
	scratch_store_b64 off, v[116:117], off offset:368
	s_wait_xcnt 0x0
	v_cmpx_lt_u32_e32 45, v0
	s_cbranch_execz .LBB56_265
; %bb.264:
	scratch_load_b64 v[116:117], off, off offset:360
	v_mov_b64_e32 v[118:119], 0
	scratch_store_b64 off, v[118:119], off offset:360
	s_wait_loadcnt 0x0
	ds_store_b64 v1, v[116:117]
.LBB56_265:
	s_wait_xcnt 0x0
	s_or_b32 exec_lo, exec_lo, s0
	s_wait_storecnt_dscnt 0x0
	s_barrier_signal -1
	s_barrier_wait -1
	s_clause 0x6
	scratch_load_b128 v[116:119], off, off offset:368
	scratch_load_b128 v[120:123], off, off offset:384
	;; [unrolled: 1-line block ×5, first 2 shown]
	scratch_load_b64 v[156:157], off, off offset:448
	scratch_load_b64 v[158:159], off, off offset:360
	v_mov_b32_e32 v7, 0
	ds_load_b128 v[136:139], v7 offset:848
	ds_load_b128 v[140:143], v7 offset:864
	;; [unrolled: 1-line block ×5, first 2 shown]
	ds_load_b64 v[160:161], v7 offset:912
	s_mov_b32 s0, exec_lo
	s_wait_dscnt 0x5
	v_dual_mov_b32 v162, v139 :: v_dual_mov_b32 v163, v138
	s_wait_dscnt 0x2
	v_dual_mov_b32 v164, v143 :: v_dual_mov_b32 v169, v150
	v_dual_mov_b32 v165, v142 :: v_dual_mov_b32 v166, v147
	;; [unrolled: 1-line block ×3, first 2 shown]
	s_wait_loadcnt_dscnt 0x601
	v_dual_mul_f32 v9, v152, v117 :: v_dual_mul_f32 v11, v153, v117
	v_dual_mul_f32 v13, v155, v119 :: v_dual_mul_f32 v171, v154, v119
	s_wait_loadcnt 0x5
	v_dual_mul_f32 v173, v136, v121 :: v_dual_mul_f32 v15, v137, v121
	s_wait_loadcnt 0x4
	v_dual_mov_b32 v172, v123 :: v_dual_mov_b32 v176, v127
	v_dual_fmac_f32 v9, v153, v116 :: v_dual_fma_f32 v11, v152, v116, -v11
	v_dual_fma_f32 v170, v154, v118, -v13 :: v_dual_fmac_f32 v171, v155, v118
	s_delay_alu instid0(VALU_DEP_3) | instskip(NEXT) | instid1(VALU_DEP_3)
	v_pk_mul_f32 v[116:117], v[162:163], v[172:173] op_sel_hi:[1,0]
	v_dual_add_f32 v119, 0, v9 :: v_dual_add_f32 v118, 0, v11
	s_wait_loadcnt 0x3
	v_mov_b32_e32 v152, v131
	v_pk_mul_f32 v[174:175], v[140:141], v[124:125] op_sel:[1,1] op_sel_hi:[0,1]
	v_dual_fmac_f32 v173, v137, v120 :: v_dual_fma_f32 v172, v136, v120, -v15
	v_pk_fma_f32 v[120:121], v[138:139], v[122:123], v[116:117] op_sel_hi:[1,0,1]
	v_pk_add_f32 v[118:119], v[118:119], v[170:171]
	v_pk_fma_f32 v[116:117], v[138:139], v[122:123], v[116:117] neg_lo:[0,0,1] neg_hi:[0,0,1]
	v_pk_fma_f32 v[136:137], v[140:141], v[124:125], v[174:175] op_sel_hi:[1,0,1]
	v_pk_mul_f32 v[154:155], v[164:165], v[176:177] op_sel_hi:[1,0]
	v_mov_b32_e32 v117, v121
	v_pk_add_f32 v[118:119], v[118:119], v[172:173]
	v_pk_fma_f32 v[122:123], v[140:141], v[124:125], v[174:175] neg_lo:[0,0,1] neg_hi:[0,0,1]
	v_pk_mul_f32 v[178:179], v[144:145], v[128:129] op_sel:[1,1] op_sel_hi:[0,1]
	v_mov_b32_e32 v123, v137
	v_pk_fma_f32 v[124:125], v[142:143], v[126:127], v[154:155] op_sel_hi:[1,0,1]
	v_pk_add_f32 v[116:117], v[118:119], v[116:117]
	v_pk_fma_f32 v[126:127], v[142:143], v[126:127], v[154:155] neg_lo:[0,0,1] neg_hi:[0,0,1]
	v_pk_fma_f32 v[118:119], v[144:145], v[128:129], v[178:179] op_sel_hi:[1,0,1]
	v_pk_mul_f32 v[136:137], v[166:167], v[152:153] op_sel_hi:[1,0]
	s_wait_loadcnt 0x2
	v_dual_mov_b32 v127, v125 :: v_dual_mov_b32 v118, v135
	v_pk_add_f32 v[116:117], v[116:117], v[122:123]
	v_pk_fma_f32 v[122:123], v[144:145], v[128:129], v[178:179] neg_lo:[0,0,1] neg_hi:[0,0,1]
	v_pk_mul_f32 v[120:121], v[148:149], v[132:133] op_sel:[1,1] op_sel_hi:[0,1]
	v_pk_fma_f32 v[124:125], v[146:147], v[130:131], v[136:137] op_sel_hi:[1,0,1]
	v_mov_b32_e32 v123, v119
	v_pk_add_f32 v[116:117], v[116:117], v[126:127]
	v_pk_fma_f32 v[128:129], v[146:147], v[130:131], v[136:137] neg_lo:[0,0,1] neg_hi:[0,0,1]
	v_pk_fma_f32 v[126:127], v[148:149], v[132:133], v[120:121] op_sel_hi:[1,0,1]
	v_pk_mul_f32 v[118:119], v[168:169], v[118:119] op_sel_hi:[1,0]
	v_mov_b32_e32 v129, v125
	v_pk_add_f32 v[116:117], v[116:117], v[122:123]
	v_pk_fma_f32 v[120:121], v[148:149], v[132:133], v[120:121] neg_lo:[0,0,1] neg_hi:[0,0,1]
	s_wait_loadcnt_dscnt 0x100
	v_pk_mul_f32 v[124:125], v[160:161], v[156:157] op_sel:[1,1] op_sel_hi:[0,1]
	v_pk_fma_f32 v[122:123], v[150:151], v[134:135], v[118:119] op_sel_hi:[1,0,1]
	v_mov_b32_e32 v121, v127
	v_pk_add_f32 v[116:117], v[116:117], v[128:129]
	v_pk_fma_f32 v[118:119], v[150:151], v[134:135], v[118:119] neg_lo:[0,0,1] neg_hi:[0,0,1]
	s_delay_alu instid0(VALU_DEP_4) | instskip(SKIP_1) | instid1(VALU_DEP_4)
	v_mov_b32_e32 v119, v123
	v_pk_fma_f32 v[122:123], v[160:161], v[156:157], v[124:125] neg_lo:[0,0,1] neg_hi:[0,0,1]
	v_pk_add_f32 v[116:117], v[116:117], v[120:121]
	v_pk_fma_f32 v[120:121], v[160:161], v[156:157], v[124:125] op_sel_hi:[1,0,1]
	s_delay_alu instid0(VALU_DEP_2) | instskip(NEXT) | instid1(VALU_DEP_2)
	v_pk_add_f32 v[116:117], v[116:117], v[118:119]
	v_mov_b32_e32 v123, v121
	s_delay_alu instid0(VALU_DEP_1) | instskip(SKIP_1) | instid1(VALU_DEP_1)
	v_pk_add_f32 v[116:117], v[116:117], v[122:123]
	s_wait_loadcnt 0x0
	v_pk_add_f32 v[116:117], v[158:159], v[116:117] neg_lo:[0,1] neg_hi:[0,1]
	scratch_store_b64 off, v[116:117], off offset:360
	s_wait_xcnt 0x0
	v_cmpx_lt_u32_e32 44, v0
	s_cbranch_execz .LBB56_267
; %bb.266:
	scratch_load_b64 v[116:117], off, off offset:352
	v_mov_b64_e32 v[118:119], 0
	scratch_store_b64 off, v[118:119], off offset:352
	s_wait_loadcnt 0x0
	ds_store_b64 v1, v[116:117]
.LBB56_267:
	s_wait_xcnt 0x0
	s_or_b32 exec_lo, exec_lo, s0
	s_wait_storecnt_dscnt 0x0
	s_barrier_signal -1
	s_barrier_wait -1
	s_clause 0x6
	scratch_load_b128 v[116:119], off, off offset:360
	scratch_load_b128 v[120:123], off, off offset:376
	;; [unrolled: 1-line block ×6, first 2 shown]
	scratch_load_b64 v[164:165], off, off offset:352
	ds_load_2addr_b64 v[140:143], v7 offset0:107 offset1:108
	ds_load_2addr_b64 v[144:147], v7 offset0:109 offset1:110
	;; [unrolled: 1-line block ×6, first 2 shown]
	s_mov_b32 s0, exec_lo
	s_wait_dscnt 0x5
	v_dual_mov_b32 v166, v143 :: v_dual_mov_b32 v167, v142
	s_wait_dscnt 0x4
	v_dual_mov_b32 v168, v147 :: v_dual_mov_b32 v169, v146
	;; [unrolled: 2-line block ×4, first 2 shown]
	s_wait_loadcnt_dscnt 0x601
	v_dual_mul_f32 v7, v156, v117 :: v_dual_mul_f32 v9, v158, v119
	v_dual_mul_f32 v11, v157, v117 :: v_dual_mul_f32 v13, v159, v119
	s_wait_loadcnt 0x4
	s_delay_alu instid0(VALU_DEP_2)
	v_dual_mov_b32 v180, v127 :: v_dual_fmac_f32 v7, v157, v116
	s_wait_dscnt 0x0
	v_dual_mul_f32 v175, v160, v121 :: v_dual_mul_f32 v177, v162, v123
	v_dual_fma_f32 v11, v156, v116, -v11 :: v_dual_fmac_f32 v9, v159, v118
	v_dual_mul_f32 v15, v161, v121 :: v_dual_mul_f32 v17, v163, v123
	v_dual_fma_f32 v13, v158, v118, -v13 :: v_dual_add_f32 v7, 0, v7
	s_wait_loadcnt 0x3
	s_delay_alu instid0(VALU_DEP_3) | instskip(SKIP_3) | instid1(VALU_DEP_4)
	v_dual_add_f32 v11, 0, v11 :: v_dual_mov_b32 v118, v131
	v_pk_mul_f32 v[178:179], v[140:141], v[124:125] op_sel:[1,1] op_sel_hi:[0,1]
	v_pk_mul_f32 v[116:117], v[144:145], v[128:129] op_sel:[1,1] op_sel_hi:[0,1]
	v_dual_fmac_f32 v175, v161, v120 :: v_dual_add_f32 v121, v7, v9
	v_dual_fma_f32 v174, v160, v120, -v15 :: v_dual_add_f32 v120, v11, v13
	v_fmac_f32_e32 v177, v163, v122
	v_fma_f32 v176, v162, v122, -v17
	v_pk_fma_f32 v[122:123], v[140:141], v[124:125], v[178:179] op_sel_hi:[1,0,1]
	v_pk_mul_f32 v[156:157], v[166:167], v[180:181] op_sel_hi:[1,0]
	v_pk_add_f32 v[120:121], v[120:121], v[174:175]
	v_pk_fma_f32 v[124:125], v[140:141], v[124:125], v[178:179] neg_lo:[0,0,1] neg_hi:[0,0,1]
	v_pk_fma_f32 v[140:141], v[144:145], v[128:129], v[116:117] op_sel_hi:[1,0,1]
	v_pk_fma_f32 v[116:117], v[144:145], v[128:129], v[116:117] neg_lo:[0,0,1] neg_hi:[0,0,1]
	v_mov_b32_e32 v125, v123
	v_pk_fma_f32 v[122:123], v[142:143], v[126:127], v[156:157] op_sel_hi:[1,0,1]
	v_pk_fma_f32 v[126:127], v[142:143], v[126:127], v[156:157] neg_lo:[0,0,1] neg_hi:[0,0,1]
	v_mov_b32_e32 v117, v141
	v_pk_add_f32 v[120:121], v[120:121], v[176:177]
	v_pk_mul_f32 v[118:119], v[168:169], v[118:119] op_sel_hi:[1,0]
	s_wait_loadcnt 0x2
	v_dual_mov_b32 v127, v123 :: v_dual_mov_b32 v122, v135
	v_pk_mul_f32 v[158:159], v[148:149], v[132:133] op_sel:[1,1] op_sel_hi:[0,1]
	v_pk_add_f32 v[120:121], v[120:121], v[124:125]
	v_pk_fma_f32 v[124:125], v[146:147], v[130:131], v[118:119] op_sel_hi:[1,0,1]
	v_pk_fma_f32 v[118:119], v[146:147], v[130:131], v[118:119] neg_lo:[0,0,1] neg_hi:[0,0,1]
	v_pk_mul_f32 v[122:123], v[170:171], v[122:123] op_sel_hi:[1,0]
	s_delay_alu instid0(VALU_DEP_4) | instskip(SKIP_3) | instid1(VALU_DEP_4)
	v_pk_add_f32 v[120:121], v[120:121], v[126:127]
	v_pk_fma_f32 v[126:127], v[148:149], v[132:133], v[158:159] op_sel_hi:[1,0,1]
	v_mov_b32_e32 v119, v125
	v_pk_fma_f32 v[124:125], v[148:149], v[132:133], v[158:159] neg_lo:[0,0,1] neg_hi:[0,0,1]
	v_pk_add_f32 v[116:117], v[120:121], v[116:117]
	s_wait_loadcnt 0x1
	v_pk_mul_f32 v[120:121], v[152:153], v[136:137] op_sel:[1,1] op_sel_hi:[0,1]
	v_mov_b32_e32 v125, v127
	v_pk_fma_f32 v[126:127], v[150:151], v[134:135], v[122:123] op_sel_hi:[1,0,1]
	v_pk_fma_f32 v[122:123], v[150:151], v[134:135], v[122:123] neg_lo:[0,0,1] neg_hi:[0,0,1]
	v_pk_add_f32 v[116:117], v[116:117], v[118:119]
	v_mov_b32_e32 v118, v139
	v_pk_fma_f32 v[128:129], v[152:153], v[136:137], v[120:121] op_sel_hi:[1,0,1]
	v_mov_b32_e32 v123, v127
	v_pk_fma_f32 v[120:121], v[152:153], v[136:137], v[120:121] neg_lo:[0,0,1] neg_hi:[0,0,1]
	v_pk_add_f32 v[116:117], v[116:117], v[124:125]
	v_pk_mul_f32 v[118:119], v[172:173], v[118:119] op_sel_hi:[1,0]
	s_delay_alu instid0(VALU_DEP_2) | instskip(NEXT) | instid1(VALU_DEP_2)
	v_pk_add_f32 v[116:117], v[116:117], v[122:123]
	v_pk_fma_f32 v[122:123], v[154:155], v[138:139], v[118:119] op_sel_hi:[1,0,1]
	v_mov_b32_e32 v121, v129
	v_pk_fma_f32 v[118:119], v[154:155], v[138:139], v[118:119] neg_lo:[0,0,1] neg_hi:[0,0,1]
	s_delay_alu instid0(VALU_DEP_3) | instskip(NEXT) | instid1(VALU_DEP_3)
	v_mov_b32_e32 v119, v123
	v_pk_add_f32 v[116:117], v[116:117], v[120:121]
	s_delay_alu instid0(VALU_DEP_1) | instskip(SKIP_1) | instid1(VALU_DEP_1)
	v_pk_add_f32 v[116:117], v[116:117], v[118:119]
	s_wait_loadcnt 0x0
	v_pk_add_f32 v[116:117], v[164:165], v[116:117] neg_lo:[0,1] neg_hi:[0,1]
	scratch_store_b64 off, v[116:117], off offset:352
	s_wait_xcnt 0x0
	v_cmpx_lt_u32_e32 43, v0
	s_cbranch_execz .LBB56_269
; %bb.268:
	scratch_load_b64 v[116:117], off, off offset:344
	v_mov_b64_e32 v[118:119], 0
	scratch_store_b64 off, v[118:119], off offset:344
	s_wait_loadcnt 0x0
	ds_store_b64 v1, v[116:117]
.LBB56_269:
	s_wait_xcnt 0x0
	s_or_b32 exec_lo, exec_lo, s0
	s_wait_storecnt_dscnt 0x0
	s_barrier_signal -1
	s_barrier_wait -1
	s_clause 0x7
	scratch_load_b128 v[116:119], off, off offset:352
	scratch_load_b128 v[120:123], off, off offset:368
	scratch_load_b128 v[124:127], off, off offset:384
	scratch_load_b128 v[128:131], off, off offset:400
	scratch_load_b128 v[132:135], off, off offset:416
	scratch_load_b128 v[136:139], off, off offset:432
	scratch_load_b64 v[164:165], off, off offset:448
	scratch_load_b64 v[166:167], off, off offset:344
	v_mov_b32_e32 v7, 0
	ds_load_b128 v[140:143], v7 offset:848
	ds_load_b128 v[144:147], v7 offset:864
	;; [unrolled: 1-line block ×6, first 2 shown]
	ds_load_b64 v[168:169], v7 offset:912
	s_mov_b32 s0, exec_lo
	s_wait_dscnt 0x6
	v_dual_mov_b32 v170, v143 :: v_dual_mov_b32 v171, v142
	s_wait_dscnt 0x3
	v_dual_mov_b32 v172, v147 :: v_dual_mov_b32 v177, v154
	v_dual_mov_b32 v173, v146 :: v_dual_mov_b32 v174, v151
	;; [unrolled: 1-line block ×3, first 2 shown]
	s_wait_loadcnt_dscnt 0x702
	v_dual_mul_f32 v9, v156, v117 :: v_dual_mul_f32 v15, v157, v117
	v_dual_mul_f32 v17, v159, v119 :: v_dual_mul_f32 v11, v158, v119
	s_wait_loadcnt_dscnt 0x601
	s_delay_alu instid0(VALU_DEP_2) | instskip(NEXT) | instid1(VALU_DEP_3)
	v_dual_mul_f32 v13, v160, v121 :: v_dual_fmac_f32 v9, v157, v116
	v_dual_fma_f32 v15, v156, v116, -v15 :: v_dual_mul_f32 v19, v161, v121
	v_mul_f32_e32 v21, v163, v123
	s_wait_loadcnt 0x4
	v_dual_mov_b32 v116, v131 :: v_dual_fma_f32 v17, v158, v118, -v17
	v_dual_fmac_f32 v11, v159, v118 :: v_dual_add_f32 v9, 0, v9
	v_dual_add_f32 v15, 0, v15 :: v_dual_fmac_f32 v13, v161, v120
	v_dual_mul_f32 v179, v162, v123 :: v_dual_mul_f32 v181, v140, v125
	v_dual_mul_f32 v23, v141, v125 :: v_dual_mov_b32 v180, v127
	s_delay_alu instid0(VALU_DEP_4) | instskip(NEXT) | instid1(VALU_DEP_4)
	v_dual_fma_f32 v19, v160, v120, -v19 :: v_dual_add_f32 v9, v9, v11
	v_dual_add_f32 v11, v15, v17 :: v_dual_fma_f32 v178, v162, v122, -v21
	s_delay_alu instid0(VALU_DEP_4) | instskip(NEXT) | instid1(VALU_DEP_4)
	v_fmac_f32_e32 v179, v163, v122
	v_pk_mul_f32 v[120:121], v[170:171], v[180:181] op_sel_hi:[1,0]
	s_delay_alu instid0(VALU_DEP_3)
	v_dual_add_f32 v123, v9, v13 :: v_dual_add_f32 v122, v11, v19
	v_fmac_f32_e32 v181, v141, v124
	v_pk_mul_f32 v[182:183], v[144:145], v[128:129] op_sel:[1,1] op_sel_hi:[0,1]
	s_wait_loadcnt 0x3
	v_dual_mov_b32 v156, v135 :: v_dual_fma_f32 v180, v140, v124, -v23
	v_pk_fma_f32 v[124:125], v[142:143], v[126:127], v[120:121] op_sel_hi:[1,0,1]
	v_pk_add_f32 v[122:123], v[122:123], v[178:179]
	v_pk_fma_f32 v[120:121], v[142:143], v[126:127], v[120:121] neg_lo:[0,0,1] neg_hi:[0,0,1]
	v_pk_fma_f32 v[140:141], v[144:145], v[128:129], v[182:183] op_sel_hi:[1,0,1]
	v_pk_mul_f32 v[116:117], v[172:173], v[116:117] op_sel_hi:[1,0]
	v_mov_b32_e32 v121, v125
	v_pk_add_f32 v[122:123], v[122:123], v[180:181]
	v_pk_fma_f32 v[126:127], v[144:145], v[128:129], v[182:183] neg_lo:[0,0,1] neg_hi:[0,0,1]
	v_pk_mul_f32 v[118:119], v[148:149], v[132:133] op_sel:[1,1] op_sel_hi:[0,1]
	v_mov_b32_e32 v127, v141
	v_pk_fma_f32 v[128:129], v[146:147], v[130:131], v[116:117] op_sel_hi:[1,0,1]
	v_pk_add_f32 v[120:121], v[122:123], v[120:121]
	v_pk_fma_f32 v[116:117], v[146:147], v[130:131], v[116:117] neg_lo:[0,0,1] neg_hi:[0,0,1]
	v_pk_fma_f32 v[122:123], v[148:149], v[132:133], v[118:119] op_sel_hi:[1,0,1]
	v_pk_mul_f32 v[140:141], v[174:175], v[156:157] op_sel_hi:[1,0]
	s_wait_loadcnt 0x2
	v_dual_mov_b32 v117, v129 :: v_dual_mov_b32 v122, v139
	v_pk_add_f32 v[120:121], v[120:121], v[126:127]
	v_pk_fma_f32 v[118:119], v[148:149], v[132:133], v[118:119] neg_lo:[0,0,1] neg_hi:[0,0,1]
	v_pk_mul_f32 v[124:125], v[152:153], v[136:137] op_sel:[1,1] op_sel_hi:[0,1]
	v_pk_fma_f32 v[126:127], v[150:151], v[134:135], v[140:141] op_sel_hi:[1,0,1]
	v_mov_b32_e32 v119, v123
	v_pk_add_f32 v[116:117], v[120:121], v[116:117]
	v_pk_fma_f32 v[128:129], v[150:151], v[134:135], v[140:141] neg_lo:[0,0,1] neg_hi:[0,0,1]
	v_pk_fma_f32 v[120:121], v[152:153], v[136:137], v[124:125] op_sel_hi:[1,0,1]
	v_pk_mul_f32 v[122:123], v[176:177], v[122:123] op_sel_hi:[1,0]
	v_mov_b32_e32 v129, v127
	v_pk_add_f32 v[116:117], v[116:117], v[118:119]
	v_pk_fma_f32 v[118:119], v[152:153], v[136:137], v[124:125] neg_lo:[0,0,1] neg_hi:[0,0,1]
	v_mov_b32_e32 v119, v121
	v_pk_fma_f32 v[120:121], v[154:155], v[138:139], v[122:123] op_sel_hi:[1,0,1]
	s_wait_loadcnt_dscnt 0x100
	v_pk_mul_f32 v[124:125], v[168:169], v[164:165] op_sel:[1,1] op_sel_hi:[0,1]
	v_pk_add_f32 v[116:117], v[116:117], v[128:129]
	v_pk_fma_f32 v[122:123], v[154:155], v[138:139], v[122:123] neg_lo:[0,0,1] neg_hi:[0,0,1]
	v_mov_b32_e32 v123, v121
	s_delay_alu instid0(VALU_DEP_4) | instskip(NEXT) | instid1(VALU_DEP_4)
	v_pk_fma_f32 v[120:121], v[168:169], v[164:165], v[124:125] neg_lo:[0,0,1] neg_hi:[0,0,1]
	v_pk_add_f32 v[116:117], v[116:117], v[118:119]
	v_pk_fma_f32 v[118:119], v[168:169], v[164:165], v[124:125] op_sel_hi:[1,0,1]
	s_delay_alu instid0(VALU_DEP_2) | instskip(NEXT) | instid1(VALU_DEP_2)
	v_pk_add_f32 v[116:117], v[116:117], v[122:123]
	v_mov_b32_e32 v121, v119
	s_delay_alu instid0(VALU_DEP_1) | instskip(SKIP_1) | instid1(VALU_DEP_1)
	v_pk_add_f32 v[116:117], v[116:117], v[120:121]
	s_wait_loadcnt 0x0
	v_pk_add_f32 v[116:117], v[166:167], v[116:117] neg_lo:[0,1] neg_hi:[0,1]
	scratch_store_b64 off, v[116:117], off offset:344
	s_wait_xcnt 0x0
	v_cmpx_lt_u32_e32 42, v0
	s_cbranch_execz .LBB56_271
; %bb.270:
	scratch_load_b64 v[116:117], off, off offset:336
	v_mov_b64_e32 v[118:119], 0
	scratch_store_b64 off, v[118:119], off offset:336
	s_wait_loadcnt 0x0
	ds_store_b64 v1, v[116:117]
.LBB56_271:
	s_wait_xcnt 0x0
	s_or_b32 exec_lo, exec_lo, s0
	s_wait_storecnt_dscnt 0x0
	s_barrier_signal -1
	s_barrier_wait -1
	s_clause 0x7
	scratch_load_b128 v[116:119], off, off offset:344
	scratch_load_b128 v[120:123], off, off offset:360
	;; [unrolled: 1-line block ×7, first 2 shown]
	scratch_load_b64 v[172:173], off, off offset:336
	ds_load_2addr_b64 v[144:147], v7 offset0:107 offset1:108
	ds_load_2addr_b64 v[148:151], v7 offset0:109 offset1:110
	ds_load_2addr_b64 v[152:155], v7 offset0:111 offset1:112
	ds_load_2addr_b64 v[156:159], v7 offset0:113 offset1:114
	ds_load_2addr_b64 v[160:163], v7 offset0:101 offset1:102
	ds_load_2addr_b64 v[164:167], v7 offset0:103 offset1:104
	ds_load_2addr_b64 v[168:171], v7 offset0:105 offset1:106
	s_mov_b32 s0, exec_lo
	s_wait_dscnt 0x6
	v_dual_mov_b32 v174, v147 :: v_dual_mov_b32 v175, v146
	s_wait_dscnt 0x5
	v_dual_mov_b32 v176, v151 :: v_dual_mov_b32 v177, v150
	;; [unrolled: 2-line block ×4, first 2 shown]
	s_wait_loadcnt_dscnt 0x702
	v_dual_mul_f32 v7, v160, v117 :: v_dual_mul_f32 v9, v162, v119
	v_dual_mul_f32 v15, v161, v117 :: v_dual_mul_f32 v17, v163, v119
	s_wait_loadcnt_dscnt 0x601
	v_dual_mul_f32 v11, v164, v121 :: v_dual_mul_f32 v13, v166, v123
	s_delay_alu instid0(VALU_DEP_3) | instskip(NEXT) | instid1(VALU_DEP_3)
	v_dual_fmac_f32 v7, v161, v116 :: v_dual_fmac_f32 v9, v163, v118
	v_dual_fma_f32 v15, v160, v116, -v15 :: v_dual_fma_f32 v17, v162, v118, -v17
	v_dual_mul_f32 v19, v165, v121 :: v_dual_mul_f32 v21, v167, v123
	s_wait_loadcnt 0x4
	s_delay_alu instid0(VALU_DEP_3) | instskip(NEXT) | instid1(VALU_DEP_3)
	v_dual_add_f32 v7, 0, v7 :: v_dual_mov_b32 v118, v131
	v_dual_add_f32 v15, 0, v15 :: v_dual_fmac_f32 v11, v165, v120
	s_delay_alu instid0(VALU_DEP_2) | instskip(SKIP_2) | instid1(VALU_DEP_3)
	v_dual_fma_f32 v19, v164, v120, -v19 :: v_dual_add_f32 v7, v7, v9
	s_wait_dscnt 0x0
	v_dual_mul_f32 v183, v168, v125 :: v_dual_mul_f32 v185, v170, v127
	v_dual_add_f32 v9, v15, v17 :: v_dual_fma_f32 v15, v166, v122, -v21
	v_dual_mul_f32 v23, v169, v125 :: v_dual_mul_f32 v25, v171, v127
	s_delay_alu instid0(VALU_DEP_2) | instskip(NEXT) | instid1(VALU_DEP_4)
	v_dual_fmac_f32 v13, v167, v122 :: v_dual_add_f32 v9, v9, v19
	v_dual_add_f32 v7, v7, v11 :: v_dual_fmac_f32 v183, v169, v124
	v_pk_mul_f32 v[116:117], v[144:145], v[128:129] op_sel:[1,1] op_sel_hi:[0,1]
	s_wait_loadcnt 0x3
	v_pk_mul_f32 v[120:121], v[148:149], v[132:133] op_sel:[1,1] op_sel_hi:[0,1]
	v_dual_mov_b32 v122, v135 :: v_dual_fma_f32 v182, v168, v124, -v23
	v_dual_add_f32 v125, v7, v13 :: v_dual_add_f32 v124, v9, v15
	v_fmac_f32_e32 v185, v171, v126
	v_fma_f32 v184, v170, v126, -v25
	v_pk_fma_f32 v[126:127], v[144:145], v[128:129], v[116:117] op_sel_hi:[1,0,1]
	v_pk_mul_f32 v[118:119], v[174:175], v[118:119] op_sel_hi:[1,0]
	v_pk_add_f32 v[124:125], v[124:125], v[182:183]
	v_pk_fma_f32 v[116:117], v[144:145], v[128:129], v[116:117] neg_lo:[0,0,1] neg_hi:[0,0,1]
	v_pk_fma_f32 v[128:129], v[148:149], v[132:133], v[120:121] op_sel_hi:[1,0,1]
	v_pk_fma_f32 v[120:121], v[148:149], v[132:133], v[120:121] neg_lo:[0,0,1] neg_hi:[0,0,1]
	v_mov_b32_e32 v117, v127
	v_pk_fma_f32 v[126:127], v[146:147], v[130:131], v[118:119] op_sel_hi:[1,0,1]
	v_pk_fma_f32 v[118:119], v[146:147], v[130:131], v[118:119] neg_lo:[0,0,1] neg_hi:[0,0,1]
	v_mov_b32_e32 v121, v129
	v_pk_add_f32 v[124:125], v[124:125], v[184:185]
	v_pk_mul_f32 v[122:123], v[176:177], v[122:123] op_sel_hi:[1,0]
	v_mov_b32_e32 v119, v127
	s_wait_loadcnt 0x2
	v_pk_mul_f32 v[160:161], v[152:153], v[136:137] op_sel:[1,1] op_sel_hi:[0,1]
	v_pk_add_f32 v[116:117], v[124:125], v[116:117]
	v_mov_b32_e32 v124, v139
	v_pk_fma_f32 v[126:127], v[150:151], v[134:135], v[122:123] op_sel_hi:[1,0,1]
	v_pk_fma_f32 v[122:123], v[150:151], v[134:135], v[122:123] neg_lo:[0,0,1] neg_hi:[0,0,1]
	s_delay_alu instid0(VALU_DEP_4)
	v_pk_add_f32 v[116:117], v[116:117], v[118:119]
	v_pk_fma_f32 v[118:119], v[152:153], v[136:137], v[160:161] op_sel_hi:[1,0,1]
	v_pk_mul_f32 v[124:125], v[178:179], v[124:125] op_sel_hi:[1,0]
	v_mov_b32_e32 v123, v127
	v_pk_fma_f32 v[126:127], v[152:153], v[136:137], v[160:161] neg_lo:[0,0,1] neg_hi:[0,0,1]
	v_pk_add_f32 v[116:117], v[116:117], v[120:121]
	v_mov_b32_e32 v127, v119
	v_pk_fma_f32 v[118:119], v[154:155], v[138:139], v[124:125] op_sel_hi:[1,0,1]
	s_wait_loadcnt 0x1
	v_pk_mul_f32 v[120:121], v[156:157], v[140:141] op_sel:[1,1] op_sel_hi:[0,1]
	v_mov_b32_e32 v118, v143
	v_pk_add_f32 v[116:117], v[116:117], v[122:123]
	v_pk_fma_f32 v[124:125], v[154:155], v[138:139], v[124:125] neg_lo:[0,0,1] neg_hi:[0,0,1]
	v_mov_b32_e32 v125, v119
	v_pk_fma_f32 v[122:123], v[156:157], v[140:141], v[120:121] op_sel_hi:[1,0,1]
	v_pk_mul_f32 v[118:119], v[180:181], v[118:119] op_sel_hi:[1,0]
	v_pk_add_f32 v[116:117], v[116:117], v[126:127]
	v_pk_fma_f32 v[120:121], v[156:157], v[140:141], v[120:121] neg_lo:[0,0,1] neg_hi:[0,0,1]
	s_delay_alu instid0(VALU_DEP_4) | instskip(NEXT) | instid1(VALU_DEP_4)
	v_mov_b32_e32 v121, v123
	v_pk_fma_f32 v[122:123], v[158:159], v[142:143], v[118:119] op_sel_hi:[1,0,1]
	s_delay_alu instid0(VALU_DEP_4) | instskip(SKIP_1) | instid1(VALU_DEP_3)
	v_pk_add_f32 v[116:117], v[116:117], v[124:125]
	v_pk_fma_f32 v[118:119], v[158:159], v[142:143], v[118:119] neg_lo:[0,0,1] neg_hi:[0,0,1]
	v_mov_b32_e32 v119, v123
	s_delay_alu instid0(VALU_DEP_3) | instskip(NEXT) | instid1(VALU_DEP_1)
	v_pk_add_f32 v[116:117], v[116:117], v[120:121]
	v_pk_add_f32 v[116:117], v[116:117], v[118:119]
	s_wait_loadcnt 0x0
	s_delay_alu instid0(VALU_DEP_1)
	v_pk_add_f32 v[116:117], v[172:173], v[116:117] neg_lo:[0,1] neg_hi:[0,1]
	scratch_store_b64 off, v[116:117], off offset:336
	s_wait_xcnt 0x0
	v_cmpx_lt_u32_e32 41, v0
	s_cbranch_execz .LBB56_273
; %bb.272:
	scratch_load_b64 v[116:117], off, off offset:328
	v_mov_b64_e32 v[118:119], 0
	scratch_store_b64 off, v[118:119], off offset:328
	s_wait_loadcnt 0x0
	ds_store_b64 v1, v[116:117]
.LBB56_273:
	s_wait_xcnt 0x0
	s_or_b32 exec_lo, exec_lo, s0
	s_wait_storecnt_dscnt 0x0
	s_barrier_signal -1
	s_barrier_wait -1
	s_clause 0x8
	scratch_load_b128 v[116:119], off, off offset:336
	scratch_load_b128 v[120:123], off, off offset:352
	scratch_load_b128 v[124:127], off, off offset:368
	scratch_load_b128 v[128:131], off, off offset:384
	scratch_load_b128 v[132:135], off, off offset:400
	scratch_load_b128 v[136:139], off, off offset:416
	scratch_load_b128 v[140:143], off, off offset:432
	scratch_load_b64 v[172:173], off, off offset:448
	scratch_load_b64 v[174:175], off, off offset:328
	v_mov_b32_e32 v7, 0
	ds_load_b128 v[144:147], v7 offset:848
	ds_load_b128 v[148:151], v7 offset:864
	;; [unrolled: 1-line block ×7, first 2 shown]
	ds_load_b64 v[176:177], v7 offset:912
	s_mov_b32 s0, exec_lo
	s_wait_dscnt 0x7
	v_dual_mov_b32 v178, v147 :: v_dual_mov_b32 v179, v146
	s_wait_dscnt 0x4
	v_dual_mov_b32 v180, v151 :: v_dual_mov_b32 v185, v158
	v_dual_mov_b32 v181, v150 :: v_dual_mov_b32 v182, v155
	;; [unrolled: 1-line block ×3, first 2 shown]
	s_wait_loadcnt_dscnt 0x803
	v_dual_mul_f32 v9, v160, v117 :: v_dual_mul_f32 v19, v161, v117
	v_dual_mul_f32 v21, v163, v119 :: v_dual_mul_f32 v11, v162, v119
	s_wait_loadcnt_dscnt 0x702
	v_mul_f32_e32 v13, v164, v121
	s_wait_loadcnt 0x5
	v_dual_mul_f32 v31, v145, v129 :: v_dual_fma_f32 v19, v160, v116, -v19
	v_dual_fmac_f32 v9, v161, v116 :: v_dual_mov_b32 v116, v131
	v_dual_mul_f32 v23, v165, v121 :: v_dual_mul_f32 v25, v167, v123
	v_dual_fmac_f32 v11, v163, v118 :: v_dual_fma_f32 v21, v162, v118, -v21
	s_delay_alu instid0(VALU_DEP_3) | instskip(SKIP_3) | instid1(VALU_DEP_3)
	v_dual_add_f32 v9, 0, v9 :: v_dual_add_f32 v19, 0, v19
	s_wait_dscnt 0x1
	v_dual_mul_f32 v15, v166, v123 :: v_dual_mul_f32 v17, v168, v125
	v_dual_fmac_f32 v13, v165, v120 :: v_dual_fma_f32 v23, v164, v120, -v23
	v_dual_add_f32 v9, v9, v11 :: v_dual_add_f32 v11, v19, v21
	v_dual_mul_f32 v27, v169, v125 :: v_dual_mul_f32 v29, v171, v127
	s_wait_loadcnt 0x4
	v_dual_mov_b32 v120, v135 :: v_dual_fma_f32 v19, v166, v122, -v25
	s_delay_alu instid0(VALU_DEP_3) | instskip(SKIP_2) | instid1(VALU_DEP_3)
	v_dual_fmac_f32 v15, v167, v122 :: v_dual_add_f32 v9, v9, v13
	v_dual_add_f32 v11, v11, v23 :: v_dual_fmac_f32 v17, v169, v124
	v_dual_mul_f32 v187, v170, v127 :: v_dual_mul_f32 v189, v144, v129
	v_dual_fma_f32 v13, v168, v124, -v27 :: v_dual_add_f32 v9, v9, v15
	s_delay_alu instid0(VALU_DEP_3) | instskip(NEXT) | instid1(VALU_DEP_3)
	v_dual_add_f32 v11, v11, v19 :: v_dual_fma_f32 v186, v170, v126, -v29
	v_fmac_f32_e32 v187, v171, v126
	v_pk_mul_f32 v[116:117], v[178:179], v[116:117] op_sel_hi:[1,0]
	s_delay_alu instid0(VALU_DEP_4) | instskip(NEXT) | instid1(VALU_DEP_4)
	v_add_f32_e32 v125, v9, v17
	v_dual_add_f32 v124, v11, v13 :: v_dual_fmac_f32 v189, v145, v128
	v_pk_mul_f32 v[118:119], v[148:149], v[132:133] op_sel:[1,1] op_sel_hi:[0,1]
	s_wait_loadcnt 0x3
	v_dual_mov_b32 v126, v139 :: v_dual_fma_f32 v188, v144, v128, -v31
	v_pk_fma_f32 v[128:129], v[146:147], v[130:131], v[116:117] op_sel_hi:[1,0,1]
	v_pk_add_f32 v[124:125], v[124:125], v[186:187]
	v_pk_fma_f32 v[116:117], v[146:147], v[130:131], v[116:117] neg_lo:[0,0,1] neg_hi:[0,0,1]
	v_pk_fma_f32 v[144:145], v[148:149], v[132:133], v[118:119] op_sel_hi:[1,0,1]
	v_pk_mul_f32 v[120:121], v[180:181], v[120:121] op_sel_hi:[1,0]
	v_mov_b32_e32 v117, v129
	v_pk_add_f32 v[124:125], v[124:125], v[188:189]
	v_pk_fma_f32 v[118:119], v[148:149], v[132:133], v[118:119] neg_lo:[0,0,1] neg_hi:[0,0,1]
	v_pk_mul_f32 v[122:123], v[152:153], v[136:137] op_sel:[1,1] op_sel_hi:[0,1]
	v_mov_b32_e32 v119, v145
	v_pk_fma_f32 v[130:131], v[150:151], v[134:135], v[120:121] op_sel_hi:[1,0,1]
	v_pk_add_f32 v[116:117], v[124:125], v[116:117]
	v_pk_fma_f32 v[120:121], v[150:151], v[134:135], v[120:121] neg_lo:[0,0,1] neg_hi:[0,0,1]
	v_pk_fma_f32 v[124:125], v[152:153], v[136:137], v[122:123] op_sel_hi:[1,0,1]
	v_pk_mul_f32 v[126:127], v[182:183], v[126:127] op_sel_hi:[1,0]
	v_mov_b32_e32 v121, v131
	v_pk_add_f32 v[116:117], v[116:117], v[118:119]
	v_pk_fma_f32 v[122:123], v[152:153], v[136:137], v[122:123] neg_lo:[0,0,1] neg_hi:[0,0,1]
	s_wait_loadcnt 0x2
	v_pk_mul_f32 v[128:129], v[156:157], v[140:141] op_sel:[1,1] op_sel_hi:[0,1]
	v_dual_mov_b32 v118, v143 :: v_dual_mov_b32 v123, v125
	v_pk_fma_f32 v[124:125], v[154:155], v[138:139], v[126:127] op_sel_hi:[1,0,1]
	v_pk_add_f32 v[116:117], v[116:117], v[120:121]
	v_pk_fma_f32 v[126:127], v[154:155], v[138:139], v[126:127] neg_lo:[0,0,1] neg_hi:[0,0,1]
	v_pk_fma_f32 v[120:121], v[156:157], v[140:141], v[128:129] op_sel_hi:[1,0,1]
	v_pk_mul_f32 v[118:119], v[184:185], v[118:119] op_sel_hi:[1,0]
	v_mov_b32_e32 v127, v125
	v_pk_add_f32 v[116:117], v[116:117], v[122:123]
	v_pk_fma_f32 v[122:123], v[156:157], v[140:141], v[128:129] neg_lo:[0,0,1] neg_hi:[0,0,1]
	v_mov_b32_e32 v123, v121
	v_pk_fma_f32 v[120:121], v[158:159], v[142:143], v[118:119] op_sel_hi:[1,0,1]
	s_wait_loadcnt_dscnt 0x100
	v_pk_mul_f32 v[124:125], v[176:177], v[172:173] op_sel:[1,1] op_sel_hi:[0,1]
	v_pk_add_f32 v[116:117], v[116:117], v[126:127]
	v_pk_fma_f32 v[118:119], v[158:159], v[142:143], v[118:119] neg_lo:[0,0,1] neg_hi:[0,0,1]
	v_mov_b32_e32 v119, v121
	s_delay_alu instid0(VALU_DEP_4) | instskip(NEXT) | instid1(VALU_DEP_4)
	v_pk_fma_f32 v[120:121], v[176:177], v[172:173], v[124:125] op_sel_hi:[1,0,1]
	v_pk_add_f32 v[116:117], v[116:117], v[122:123]
	v_pk_fma_f32 v[122:123], v[176:177], v[172:173], v[124:125] neg_lo:[0,0,1] neg_hi:[0,0,1]
	s_delay_alu instid0(VALU_DEP_3) | instskip(NEXT) | instid1(VALU_DEP_3)
	v_mov_b32_e32 v123, v121
	v_pk_add_f32 v[116:117], v[116:117], v[118:119]
	s_delay_alu instid0(VALU_DEP_1) | instskip(SKIP_1) | instid1(VALU_DEP_1)
	v_pk_add_f32 v[116:117], v[116:117], v[122:123]
	s_wait_loadcnt 0x0
	v_pk_add_f32 v[116:117], v[174:175], v[116:117] neg_lo:[0,1] neg_hi:[0,1]
	scratch_store_b64 off, v[116:117], off offset:328
	s_wait_xcnt 0x0
	v_cmpx_lt_u32_e32 40, v0
	s_cbranch_execz .LBB56_275
; %bb.274:
	scratch_load_b64 v[116:117], off, off offset:320
	v_mov_b64_e32 v[118:119], 0
	scratch_store_b64 off, v[118:119], off offset:320
	s_wait_loadcnt 0x0
	ds_store_b64 v1, v[116:117]
.LBB56_275:
	s_wait_xcnt 0x0
	s_or_b32 exec_lo, exec_lo, s0
	s_wait_storecnt_dscnt 0x0
	s_barrier_signal -1
	s_barrier_wait -1
	s_clause 0x8
	scratch_load_b128 v[116:119], off, off offset:328
	scratch_load_b128 v[120:123], off, off offset:344
	;; [unrolled: 1-line block ×8, first 2 shown]
	scratch_load_b64 v[180:181], off, off offset:320
	ds_load_2addr_b64 v[148:151], v7 offset0:107 offset1:108
	ds_load_2addr_b64 v[152:155], v7 offset0:109 offset1:110
	;; [unrolled: 1-line block ×8, first 2 shown]
	s_mov_b32 s0, exec_lo
	s_wait_dscnt 0x7
	v_dual_mov_b32 v182, v151 :: v_dual_mov_b32 v183, v150
	s_wait_dscnt 0x6
	v_dual_mov_b32 v184, v155 :: v_dual_mov_b32 v185, v154
	;; [unrolled: 2-line block ×4, first 2 shown]
	s_wait_loadcnt_dscnt 0x803
	v_dual_mul_f32 v7, v164, v117 :: v_dual_mul_f32 v9, v166, v119
	v_dual_mul_f32 v19, v165, v117 :: v_dual_mul_f32 v21, v167, v119
	s_wait_loadcnt_dscnt 0x702
	v_dual_mul_f32 v11, v168, v121 :: v_dual_mul_f32 v13, v170, v123
	s_delay_alu instid0(VALU_DEP_3) | instskip(SKIP_3) | instid1(VALU_DEP_3)
	v_dual_fmac_f32 v7, v165, v116 :: v_dual_fmac_f32 v9, v167, v118
	s_wait_loadcnt_dscnt 0x500
	v_dual_fma_f32 v19, v164, v116, -v19 :: v_dual_mul_f32 v31, v177, v129
	v_dual_mul_f32 v23, v169, v121 :: v_dual_mul_f32 v25, v171, v123
	v_dual_fma_f32 v21, v166, v118, -v21 :: v_dual_add_f32 v7, 0, v7
	s_delay_alu instid0(VALU_DEP_3) | instskip(SKIP_1) | instid1(VALU_DEP_4)
	v_dual_add_f32 v19, 0, v19 :: v_dual_fmac_f32 v11, v169, v120
	v_dual_mul_f32 v15, v172, v125 :: v_dual_mul_f32 v17, v174, v127
	v_dual_mul_f32 v33, v179, v131 :: v_dual_fma_f32 v23, v168, v120, -v23
	s_delay_alu instid0(VALU_DEP_4) | instskip(NEXT) | instid1(VALU_DEP_3)
	v_add_f32_e32 v7, v7, v9
	v_dual_add_f32 v9, v19, v21 :: v_dual_fmac_f32 v15, v173, v124
	v_dual_mul_f32 v27, v173, v125 :: v_dual_mul_f32 v29, v175, v127
	s_delay_alu instid0(VALU_DEP_2) | instskip(NEXT) | instid1(VALU_DEP_4)
	v_dual_fmac_f32 v13, v171, v122 :: v_dual_add_f32 v9, v9, v23
	v_dual_fma_f32 v19, v170, v122, -v25 :: v_dual_add_f32 v7, v7, v11
	s_wait_loadcnt 0x4
	s_delay_alu instid0(VALU_DEP_3) | instskip(SKIP_1) | instid1(VALU_DEP_3)
	v_dual_fma_f32 v11, v172, v124, -v27 :: v_dual_mov_b32 v118, v135
	v_dual_mul_f32 v191, v176, v129 :: v_dual_mul_f32 v193, v178, v131
	v_dual_add_f32 v7, v7, v13 :: v_dual_fma_f32 v13, v174, v126, -v29
	v_dual_add_f32 v9, v9, v19 :: v_dual_fmac_f32 v17, v175, v126
	v_pk_mul_f32 v[116:117], v[148:149], v[132:133] op_sel:[1,1] op_sel_hi:[0,1]
	s_delay_alu instid0(VALU_DEP_3) | instskip(SKIP_1) | instid1(VALU_DEP_3)
	v_dual_add_f32 v7, v7, v15 :: v_dual_fmac_f32 v191, v177, v128
	s_wait_loadcnt 0x3
	v_dual_add_f32 v9, v9, v11 :: v_dual_mov_b32 v122, v139
	s_delay_alu instid0(VALU_DEP_2) | instskip(NEXT) | instid1(VALU_DEP_2)
	v_dual_fma_f32 v190, v176, v128, -v31 :: v_dual_add_f32 v125, v7, v17
	v_dual_fma_f32 v192, v178, v130, -v33 :: v_dual_add_f32 v124, v9, v13
	v_fmac_f32_e32 v193, v179, v130
	v_pk_fma_f32 v[126:127], v[148:149], v[132:133], v[116:117] op_sel_hi:[1,0,1]
	v_pk_mul_f32 v[118:119], v[182:183], v[118:119] op_sel_hi:[1,0]
	v_pk_fma_f32 v[116:117], v[148:149], v[132:133], v[116:117] neg_lo:[0,0,1] neg_hi:[0,0,1]
	v_pk_add_f32 v[124:125], v[124:125], v[190:191]
	v_pk_mul_f32 v[120:121], v[152:153], v[136:137] op_sel:[1,1] op_sel_hi:[0,1]
	v_mov_b32_e32 v117, v127
	v_pk_fma_f32 v[126:127], v[150:151], v[134:135], v[118:119] op_sel_hi:[1,0,1]
	v_pk_fma_f32 v[118:119], v[150:151], v[134:135], v[118:119] neg_lo:[0,0,1] neg_hi:[0,0,1]
	v_pk_add_f32 v[124:125], v[124:125], v[192:193]
	v_pk_fma_f32 v[130:131], v[152:153], v[136:137], v[120:121] op_sel_hi:[1,0,1]
	v_pk_mul_f32 v[122:123], v[184:185], v[122:123] op_sel_hi:[1,0]
	v_mov_b32_e32 v119, v127
	s_wait_loadcnt 0x2
	v_pk_mul_f32 v[128:129], v[156:157], v[140:141] op_sel:[1,1] op_sel_hi:[0,1]
	v_pk_add_f32 v[116:117], v[124:125], v[116:117]
	v_mov_b32_e32 v124, v143
	v_pk_fma_f32 v[120:121], v[152:153], v[136:137], v[120:121] neg_lo:[0,0,1] neg_hi:[0,0,1]
	v_mov_b32_e32 v121, v131
	v_pk_fma_f32 v[126:127], v[154:155], v[138:139], v[122:123] op_sel_hi:[1,0,1]
	v_pk_add_f32 v[116:117], v[116:117], v[118:119]
	v_pk_fma_f32 v[118:119], v[156:157], v[140:141], v[128:129] op_sel_hi:[1,0,1]
	v_pk_mul_f32 v[124:125], v[186:187], v[124:125] op_sel_hi:[1,0]
	v_pk_fma_f32 v[122:123], v[154:155], v[138:139], v[122:123] neg_lo:[0,0,1] neg_hi:[0,0,1]
	v_mov_b32_e32 v123, v127
	v_pk_add_f32 v[116:117], v[116:117], v[120:121]
	v_pk_fma_f32 v[126:127], v[156:157], v[140:141], v[128:129] neg_lo:[0,0,1] neg_hi:[0,0,1]
	v_mov_b32_e32 v127, v119
	v_pk_fma_f32 v[118:119], v[158:159], v[142:143], v[124:125] op_sel_hi:[1,0,1]
	s_wait_loadcnt 0x1
	v_pk_mul_f32 v[120:121], v[160:161], v[144:145] op_sel:[1,1] op_sel_hi:[0,1]
	v_pk_add_f32 v[116:117], v[116:117], v[122:123]
	v_mov_b32_e32 v118, v147
	v_pk_fma_f32 v[124:125], v[158:159], v[142:143], v[124:125] neg_lo:[0,0,1] neg_hi:[0,0,1]
	v_mov_b32_e32 v125, v119
	v_pk_fma_f32 v[122:123], v[160:161], v[144:145], v[120:121] op_sel_hi:[1,0,1]
	v_pk_add_f32 v[116:117], v[116:117], v[126:127]
	v_pk_mul_f32 v[118:119], v[188:189], v[118:119] op_sel_hi:[1,0]
	v_pk_fma_f32 v[120:121], v[160:161], v[144:145], v[120:121] neg_lo:[0,0,1] neg_hi:[0,0,1]
	s_delay_alu instid0(VALU_DEP_4) | instskip(NEXT) | instid1(VALU_DEP_4)
	v_mov_b32_e32 v121, v123
	v_pk_add_f32 v[116:117], v[116:117], v[124:125]
	s_delay_alu instid0(VALU_DEP_4) | instskip(SKIP_1) | instid1(VALU_DEP_2)
	v_pk_fma_f32 v[122:123], v[162:163], v[146:147], v[118:119] op_sel_hi:[1,0,1]
	v_pk_fma_f32 v[118:119], v[162:163], v[146:147], v[118:119] neg_lo:[0,0,1] neg_hi:[0,0,1]
	v_mov_b32_e32 v119, v123
	s_delay_alu instid0(VALU_DEP_4) | instskip(NEXT) | instid1(VALU_DEP_1)
	v_pk_add_f32 v[116:117], v[116:117], v[120:121]
	v_pk_add_f32 v[116:117], v[116:117], v[118:119]
	s_wait_loadcnt 0x0
	s_delay_alu instid0(VALU_DEP_1)
	v_pk_add_f32 v[116:117], v[180:181], v[116:117] neg_lo:[0,1] neg_hi:[0,1]
	scratch_store_b64 off, v[116:117], off offset:320
	s_wait_xcnt 0x0
	v_cmpx_lt_u32_e32 39, v0
	s_cbranch_execz .LBB56_277
; %bb.276:
	scratch_load_b64 v[116:117], off, off offset:312
	v_mov_b64_e32 v[118:119], 0
	scratch_store_b64 off, v[118:119], off offset:312
	s_wait_loadcnt 0x0
	ds_store_b64 v1, v[116:117]
.LBB56_277:
	s_wait_xcnt 0x0
	s_or_b32 exec_lo, exec_lo, s0
	s_wait_storecnt_dscnt 0x0
	s_barrier_signal -1
	s_barrier_wait -1
	s_clause 0x9
	scratch_load_b128 v[116:119], off, off offset:320
	scratch_load_b128 v[120:123], off, off offset:336
	;; [unrolled: 1-line block ×8, first 2 shown]
	scratch_load_b64 v[180:181], off, off offset:448
	scratch_load_b64 v[182:183], off, off offset:312
	v_mov_b32_e32 v7, 0
	ds_load_b128 v[148:151], v7 offset:848
	ds_load_b128 v[152:155], v7 offset:864
	;; [unrolled: 1-line block ×8, first 2 shown]
	ds_load_b64 v[184:185], v7 offset:912
	s_mov_b32 s0, exec_lo
	s_wait_dscnt 0x8
	v_dual_mov_b32 v186, v151 :: v_dual_mov_b32 v187, v150
	s_wait_dscnt 0x5
	v_dual_mov_b32 v188, v155 :: v_dual_mov_b32 v193, v162
	v_dual_mov_b32 v189, v154 :: v_dual_mov_b32 v190, v159
	;; [unrolled: 1-line block ×3, first 2 shown]
	s_wait_loadcnt_dscnt 0x904
	v_dual_mul_f32 v9, v164, v117 :: v_dual_mul_f32 v23, v165, v117
	v_dual_mul_f32 v25, v167, v119 :: v_dual_mul_f32 v11, v166, v119
	s_wait_loadcnt_dscnt 0x803
	v_mul_f32_e32 v13, v168, v121
	s_wait_loadcnt_dscnt 0x601
	v_dual_mul_f32 v35, v177, v129 :: v_dual_fma_f32 v23, v164, v116, -v23
	v_dual_fmac_f32 v9, v165, v116 :: v_dual_mul_f32 v37, v179, v131
	v_dual_mul_f32 v27, v169, v121 :: v_dual_mul_f32 v29, v171, v123
	v_dual_fmac_f32 v11, v167, v118 :: v_dual_fma_f32 v25, v166, v118, -v25
	s_delay_alu instid0(VALU_DEP_3)
	v_dual_add_f32 v9, 0, v9 :: v_dual_add_f32 v23, 0, v23
	v_dual_mul_f32 v15, v170, v123 :: v_dual_mul_f32 v17, v172, v125
	s_wait_loadcnt 0x5
	v_dual_mul_f32 v39, v149, v133 :: v_dual_fma_f32 v27, v168, v120, -v27
	v_fmac_f32_e32 v13, v169, v120
	v_dual_add_f32 v9, v9, v11 :: v_dual_mov_b32 v116, v135
	v_add_f32_e32 v11, v23, v25
	v_dual_mul_f32 v31, v173, v125 :: v_dual_mul_f32 v33, v175, v127
	v_dual_fmac_f32 v15, v171, v122 :: v_dual_fma_f32 v23, v170, v122, -v29
	s_delay_alu instid0(VALU_DEP_3) | instskip(SKIP_1) | instid1(VALU_DEP_4)
	v_dual_add_f32 v9, v9, v13 :: v_dual_add_f32 v11, v11, v27
	v_dual_mul_f32 v19, v174, v127 :: v_dual_mul_f32 v21, v176, v129
	v_dual_fmac_f32 v17, v173, v124 :: v_dual_fma_f32 v13, v172, v124, -v31
	s_wait_loadcnt 0x4
	s_delay_alu instid0(VALU_DEP_3) | instskip(SKIP_1) | instid1(VALU_DEP_2)
	v_dual_add_f32 v9, v9, v15 :: v_dual_mov_b32 v120, v139
	v_dual_add_f32 v11, v11, v23 :: v_dual_fma_f32 v15, v174, v126, -v33
	v_dual_fmac_f32 v19, v175, v126 :: v_dual_add_f32 v9, v9, v17
	v_dual_mul_f32 v195, v178, v131 :: v_dual_mul_f32 v197, v148, v133
	s_delay_alu instid0(VALU_DEP_3) | instskip(NEXT) | instid1(VALU_DEP_3)
	v_dual_add_f32 v11, v11, v13 :: v_dual_fmac_f32 v21, v177, v128
	v_dual_fma_f32 v13, v176, v128, -v35 :: v_dual_add_f32 v9, v9, v19
	s_delay_alu instid0(VALU_DEP_3) | instskip(NEXT) | instid1(VALU_DEP_3)
	v_fmac_f32_e32 v195, v179, v130
	v_dual_add_f32 v11, v11, v15 :: v_dual_fma_f32 v194, v178, v130, -v37
	v_pk_mul_f32 v[116:117], v[186:187], v[116:117] op_sel_hi:[1,0]
	s_delay_alu instid0(VALU_DEP_4) | instskip(SKIP_1) | instid1(VALU_DEP_4)
	v_add_f32_e32 v125, v9, v21
	v_pk_mul_f32 v[118:119], v[152:153], v[136:137] op_sel:[1,1] op_sel_hi:[0,1]
	v_dual_add_f32 v124, v11, v13 :: v_dual_fmac_f32 v197, v149, v132
	s_wait_loadcnt 0x3
	v_dual_mov_b32 v126, v143 :: v_dual_fma_f32 v196, v148, v132, -v39
	v_pk_fma_f32 v[128:129], v[150:151], v[134:135], v[116:117] op_sel_hi:[1,0,1]
	s_delay_alu instid0(VALU_DEP_3)
	v_pk_add_f32 v[124:125], v[124:125], v[194:195]
	v_pk_fma_f32 v[116:117], v[150:151], v[134:135], v[116:117] neg_lo:[0,0,1] neg_hi:[0,0,1]
	v_pk_fma_f32 v[130:131], v[152:153], v[136:137], v[118:119] op_sel_hi:[1,0,1]
	v_pk_mul_f32 v[120:121], v[188:189], v[120:121] op_sel_hi:[1,0]
	v_mov_b32_e32 v117, v129
	v_pk_add_f32 v[124:125], v[124:125], v[196:197]
	v_pk_fma_f32 v[118:119], v[152:153], v[136:137], v[118:119] neg_lo:[0,0,1] neg_hi:[0,0,1]
	v_pk_mul_f32 v[122:123], v[156:157], v[140:141] op_sel:[1,1] op_sel_hi:[0,1]
	v_mov_b32_e32 v119, v131
	v_pk_fma_f32 v[130:131], v[154:155], v[138:139], v[120:121] op_sel_hi:[1,0,1]
	v_pk_add_f32 v[116:117], v[124:125], v[116:117]
	v_pk_fma_f32 v[120:121], v[154:155], v[138:139], v[120:121] neg_lo:[0,0,1] neg_hi:[0,0,1]
	v_pk_fma_f32 v[124:125], v[156:157], v[140:141], v[122:123] op_sel_hi:[1,0,1]
	v_pk_mul_f32 v[126:127], v[190:191], v[126:127] op_sel_hi:[1,0]
	v_mov_b32_e32 v121, v131
	v_pk_add_f32 v[116:117], v[116:117], v[118:119]
	v_pk_fma_f32 v[122:123], v[156:157], v[140:141], v[122:123] neg_lo:[0,0,1] neg_hi:[0,0,1]
	s_wait_loadcnt 0x2
	v_pk_mul_f32 v[128:129], v[160:161], v[144:145] op_sel:[1,1] op_sel_hi:[0,1]
	v_dual_mov_b32 v118, v147 :: v_dual_mov_b32 v123, v125
	v_pk_fma_f32 v[124:125], v[158:159], v[142:143], v[126:127] op_sel_hi:[1,0,1]
	v_pk_add_f32 v[116:117], v[116:117], v[120:121]
	v_pk_fma_f32 v[126:127], v[158:159], v[142:143], v[126:127] neg_lo:[0,0,1] neg_hi:[0,0,1]
	v_pk_fma_f32 v[120:121], v[160:161], v[144:145], v[128:129] op_sel_hi:[1,0,1]
	v_pk_mul_f32 v[118:119], v[192:193], v[118:119] op_sel_hi:[1,0]
	v_mov_b32_e32 v127, v125
	v_pk_add_f32 v[116:117], v[116:117], v[122:123]
	v_pk_fma_f32 v[122:123], v[160:161], v[144:145], v[128:129] neg_lo:[0,0,1] neg_hi:[0,0,1]
	v_mov_b32_e32 v123, v121
	v_pk_fma_f32 v[120:121], v[162:163], v[146:147], v[118:119] op_sel_hi:[1,0,1]
	s_wait_loadcnt_dscnt 0x100
	v_pk_mul_f32 v[124:125], v[184:185], v[180:181] op_sel:[1,1] op_sel_hi:[0,1]
	v_pk_add_f32 v[116:117], v[116:117], v[126:127]
	v_pk_fma_f32 v[118:119], v[162:163], v[146:147], v[118:119] neg_lo:[0,0,1] neg_hi:[0,0,1]
	v_mov_b32_e32 v119, v121
	s_delay_alu instid0(VALU_DEP_4) | instskip(NEXT) | instid1(VALU_DEP_4)
	v_pk_fma_f32 v[120:121], v[184:185], v[180:181], v[124:125] op_sel_hi:[1,0,1]
	v_pk_add_f32 v[116:117], v[116:117], v[122:123]
	v_pk_fma_f32 v[122:123], v[184:185], v[180:181], v[124:125] neg_lo:[0,0,1] neg_hi:[0,0,1]
	s_delay_alu instid0(VALU_DEP_3) | instskip(NEXT) | instid1(VALU_DEP_3)
	v_mov_b32_e32 v123, v121
	v_pk_add_f32 v[116:117], v[116:117], v[118:119]
	s_delay_alu instid0(VALU_DEP_1) | instskip(SKIP_1) | instid1(VALU_DEP_1)
	v_pk_add_f32 v[116:117], v[116:117], v[122:123]
	s_wait_loadcnt 0x0
	v_pk_add_f32 v[116:117], v[182:183], v[116:117] neg_lo:[0,1] neg_hi:[0,1]
	scratch_store_b64 off, v[116:117], off offset:312
	s_wait_xcnt 0x0
	v_cmpx_lt_u32_e32 38, v0
	s_cbranch_execz .LBB56_279
; %bb.278:
	scratch_load_b64 v[116:117], off, off offset:304
	v_mov_b64_e32 v[118:119], 0
	scratch_store_b64 off, v[118:119], off offset:304
	s_wait_loadcnt 0x0
	ds_store_b64 v1, v[116:117]
.LBB56_279:
	s_wait_xcnt 0x0
	s_or_b32 exec_lo, exec_lo, s0
	s_wait_storecnt_dscnt 0x0
	s_barrier_signal -1
	s_barrier_wait -1
	s_clause 0x9
	scratch_load_b128 v[116:119], off, off offset:312
	scratch_load_b128 v[120:123], off, off offset:328
	;; [unrolled: 1-line block ×9, first 2 shown]
	scratch_load_b64 v[188:189], off, off offset:304
	ds_load_2addr_b64 v[152:155], v7 offset0:107 offset1:108
	ds_load_2addr_b64 v[156:159], v7 offset0:109 offset1:110
	;; [unrolled: 1-line block ×9, first 2 shown]
	s_mov_b32 s0, exec_lo
	s_wait_dscnt 0x8
	v_dual_mov_b32 v190, v155 :: v_dual_mov_b32 v191, v154
	s_wait_dscnt 0x7
	v_dual_mov_b32 v192, v159 :: v_dual_mov_b32 v193, v158
	;; [unrolled: 2-line block ×4, first 2 shown]
	s_wait_loadcnt_dscnt 0x904
	v_dual_mul_f32 v7, v168, v117 :: v_dual_mul_f32 v9, v170, v119
	v_dual_mul_f32 v23, v169, v117 :: v_dual_mul_f32 v25, v171, v119
	s_wait_loadcnt_dscnt 0x803
	v_dual_mul_f32 v11, v172, v121 :: v_dual_mul_f32 v13, v174, v123
	s_delay_alu instid0(VALU_DEP_3) | instskip(SKIP_3) | instid1(VALU_DEP_3)
	v_dual_fmac_f32 v7, v169, v116 :: v_dual_fmac_f32 v9, v171, v118
	s_wait_loadcnt_dscnt 0x601
	v_dual_fma_f32 v23, v168, v116, -v23 :: v_dual_mul_f32 v35, v181, v129
	v_dual_mul_f32 v27, v173, v121 :: v_dual_mul_f32 v29, v175, v123
	v_dual_fma_f32 v25, v170, v118, -v25 :: v_dual_add_f32 v7, 0, v7
	s_delay_alu instid0(VALU_DEP_3) | instskip(SKIP_1) | instid1(VALU_DEP_4)
	v_dual_add_f32 v23, 0, v23 :: v_dual_fmac_f32 v11, v173, v120
	v_dual_mul_f32 v15, v176, v125 :: v_dual_mul_f32 v17, v178, v127
	v_dual_mul_f32 v37, v183, v131 :: v_dual_fma_f32 v27, v172, v120, -v27
	s_delay_alu instid0(VALU_DEP_4) | instskip(NEXT) | instid1(VALU_DEP_3)
	v_add_f32_e32 v7, v7, v9
	v_dual_add_f32 v9, v23, v25 :: v_dual_fmac_f32 v15, v177, v124
	v_dual_mul_f32 v31, v177, v125 :: v_dual_mul_f32 v33, v179, v127
	s_wait_loadcnt_dscnt 0x500
	v_dual_mul_f32 v23, v185, v133 :: v_dual_fmac_f32 v13, v175, v122
	v_dual_fma_f32 v25, v174, v122, -v29 :: v_dual_add_f32 v7, v7, v11
	s_delay_alu instid0(VALU_DEP_3) | instskip(SKIP_1) | instid1(VALU_DEP_3)
	v_dual_add_f32 v9, v9, v27 :: v_dual_fma_f32 v27, v176, v124, -v31
	v_dual_mul_f32 v19, v180, v129 :: v_dual_mul_f32 v21, v182, v131
	v_add_f32_e32 v7, v7, v13
	s_delay_alu instid0(VALU_DEP_3) | instskip(SKIP_1) | instid1(VALU_DEP_3)
	v_dual_mul_f32 v11, v187, v135 :: v_dual_add_f32 v9, v9, v25
	v_fmac_f32_e32 v17, v179, v126
	v_dual_fma_f32 v13, v178, v126, -v33 :: v_dual_add_f32 v7, v7, v15
	s_wait_loadcnt 0x4
	v_dual_mov_b32 v118, v139 :: v_dual_fmac_f32 v19, v181, v128
	v_dual_add_f32 v9, v9, v27 :: v_dual_fma_f32 v15, v180, v128, -v35
	s_delay_alu instid0(VALU_DEP_3) | instskip(SKIP_1) | instid1(VALU_DEP_3)
	v_add_f32_e32 v7, v7, v17
	v_dual_mul_f32 v199, v184, v133 :: v_dual_mul_f32 v201, v186, v135
	v_dual_add_f32 v9, v9, v13 :: v_dual_fmac_f32 v21, v183, v130
	s_delay_alu instid0(VALU_DEP_3) | instskip(SKIP_2) | instid1(VALU_DEP_3)
	v_dual_fma_f32 v13, v182, v130, -v37 :: v_dual_add_f32 v7, v7, v19
	v_pk_mul_f32 v[116:117], v[152:153], v[136:137] op_sel:[1,1] op_sel_hi:[0,1]
	s_wait_loadcnt 0x3
	v_dual_add_f32 v9, v9, v15 :: v_dual_mov_b32 v122, v143
	s_delay_alu instid0(VALU_DEP_3) | instskip(NEXT) | instid1(VALU_DEP_2)
	v_dual_fmac_f32 v199, v185, v132 :: v_dual_add_f32 v125, v7, v21
	v_dual_fma_f32 v198, v184, v132, -v23 :: v_dual_add_f32 v124, v9, v13
	v_dual_fmac_f32 v201, v187, v134 :: v_dual_fma_f32 v200, v186, v134, -v11
	v_pk_fma_f32 v[126:127], v[152:153], v[136:137], v[116:117] op_sel_hi:[1,0,1]
	v_pk_mul_f32 v[118:119], v[190:191], v[118:119] op_sel_hi:[1,0]
	s_delay_alu instid0(VALU_DEP_4)
	v_pk_add_f32 v[124:125], v[124:125], v[198:199]
	v_pk_fma_f32 v[116:117], v[152:153], v[136:137], v[116:117] neg_lo:[0,0,1] neg_hi:[0,0,1]
	v_pk_mul_f32 v[120:121], v[156:157], v[140:141] op_sel:[1,1] op_sel_hi:[0,1]
	v_mov_b32_e32 v117, v127
	v_pk_fma_f32 v[126:127], v[154:155], v[138:139], v[118:119] op_sel_hi:[1,0,1]
	v_pk_add_f32 v[124:125], v[124:125], v[200:201]
	v_pk_fma_f32 v[118:119], v[154:155], v[138:139], v[118:119] neg_lo:[0,0,1] neg_hi:[0,0,1]
	v_pk_fma_f32 v[130:131], v[156:157], v[140:141], v[120:121] op_sel_hi:[1,0,1]
	v_pk_mul_f32 v[122:123], v[192:193], v[122:123] op_sel_hi:[1,0]
	v_mov_b32_e32 v119, v127
	v_pk_add_f32 v[116:117], v[124:125], v[116:117]
	s_wait_loadcnt 0x2
	v_pk_mul_f32 v[128:129], v[160:161], v[144:145] op_sel:[1,1] op_sel_hi:[0,1]
	v_mov_b32_e32 v124, v147
	v_pk_fma_f32 v[120:121], v[156:157], v[140:141], v[120:121] neg_lo:[0,0,1] neg_hi:[0,0,1]
	v_mov_b32_e32 v121, v131
	v_pk_fma_f32 v[126:127], v[158:159], v[142:143], v[122:123] op_sel_hi:[1,0,1]
	v_pk_add_f32 v[116:117], v[116:117], v[118:119]
	v_pk_fma_f32 v[118:119], v[160:161], v[144:145], v[128:129] op_sel_hi:[1,0,1]
	v_pk_mul_f32 v[124:125], v[194:195], v[124:125] op_sel_hi:[1,0]
	v_pk_fma_f32 v[122:123], v[158:159], v[142:143], v[122:123] neg_lo:[0,0,1] neg_hi:[0,0,1]
	v_mov_b32_e32 v123, v127
	v_pk_add_f32 v[116:117], v[116:117], v[120:121]
	v_pk_fma_f32 v[126:127], v[160:161], v[144:145], v[128:129] neg_lo:[0,0,1] neg_hi:[0,0,1]
	v_mov_b32_e32 v127, v119
	v_pk_fma_f32 v[118:119], v[162:163], v[146:147], v[124:125] op_sel_hi:[1,0,1]
	s_wait_loadcnt 0x1
	v_pk_mul_f32 v[120:121], v[164:165], v[148:149] op_sel:[1,1] op_sel_hi:[0,1]
	v_pk_add_f32 v[116:117], v[116:117], v[122:123]
	v_mov_b32_e32 v118, v151
	v_pk_fma_f32 v[124:125], v[162:163], v[146:147], v[124:125] neg_lo:[0,0,1] neg_hi:[0,0,1]
	v_mov_b32_e32 v125, v119
	v_pk_fma_f32 v[122:123], v[164:165], v[148:149], v[120:121] op_sel_hi:[1,0,1]
	v_pk_add_f32 v[116:117], v[116:117], v[126:127]
	v_pk_mul_f32 v[118:119], v[196:197], v[118:119] op_sel_hi:[1,0]
	v_pk_fma_f32 v[120:121], v[164:165], v[148:149], v[120:121] neg_lo:[0,0,1] neg_hi:[0,0,1]
	s_delay_alu instid0(VALU_DEP_4) | instskip(NEXT) | instid1(VALU_DEP_4)
	v_mov_b32_e32 v121, v123
	v_pk_add_f32 v[116:117], v[116:117], v[124:125]
	s_delay_alu instid0(VALU_DEP_4) | instskip(SKIP_1) | instid1(VALU_DEP_2)
	v_pk_fma_f32 v[122:123], v[166:167], v[150:151], v[118:119] op_sel_hi:[1,0,1]
	v_pk_fma_f32 v[118:119], v[166:167], v[150:151], v[118:119] neg_lo:[0,0,1] neg_hi:[0,0,1]
	v_mov_b32_e32 v119, v123
	s_delay_alu instid0(VALU_DEP_4) | instskip(NEXT) | instid1(VALU_DEP_1)
	v_pk_add_f32 v[116:117], v[116:117], v[120:121]
	v_pk_add_f32 v[116:117], v[116:117], v[118:119]
	s_wait_loadcnt 0x0
	s_delay_alu instid0(VALU_DEP_1)
	v_pk_add_f32 v[116:117], v[188:189], v[116:117] neg_lo:[0,1] neg_hi:[0,1]
	scratch_store_b64 off, v[116:117], off offset:304
	s_wait_xcnt 0x0
	v_cmpx_lt_u32_e32 37, v0
	s_cbranch_execz .LBB56_281
; %bb.280:
	scratch_load_b64 v[116:117], off, off offset:296
	v_mov_b64_e32 v[118:119], 0
	scratch_store_b64 off, v[118:119], off offset:296
	s_wait_loadcnt 0x0
	ds_store_b64 v1, v[116:117]
.LBB56_281:
	s_wait_xcnt 0x0
	s_or_b32 exec_lo, exec_lo, s0
	s_wait_storecnt_dscnt 0x0
	s_barrier_signal -1
	s_barrier_wait -1
	s_clause 0xa
	scratch_load_b128 v[116:119], off, off offset:304
	scratch_load_b128 v[120:123], off, off offset:320
	;; [unrolled: 1-line block ×9, first 2 shown]
	scratch_load_b64 v[188:189], off, off offset:448
	scratch_load_b64 v[190:191], off, off offset:296
	v_mov_b32_e32 v7, 0
	ds_load_b128 v[152:155], v7 offset:848
	ds_load_b128 v[156:159], v7 offset:864
	;; [unrolled: 1-line block ×9, first 2 shown]
	ds_load_b64 v[192:193], v7 offset:912
	s_mov_b32 s0, exec_lo
	s_wait_dscnt 0x9
	v_dual_mov_b32 v194, v155 :: v_dual_mov_b32 v195, v154
	s_wait_dscnt 0x6
	v_dual_mov_b32 v196, v159 :: v_dual_mov_b32 v201, v166
	v_dual_mov_b32 v197, v158 :: v_dual_mov_b32 v198, v163
	;; [unrolled: 1-line block ×3, first 2 shown]
	s_wait_loadcnt_dscnt 0xa05
	v_dual_mul_f32 v9, v168, v117 :: v_dual_mul_f32 v27, v169, v117
	v_dual_mul_f32 v29, v171, v119 :: v_dual_mul_f32 v11, v170, v119
	s_wait_loadcnt_dscnt 0x904
	v_mul_f32_e32 v13, v172, v121
	s_wait_loadcnt_dscnt 0x702
	v_dual_mul_f32 v39, v181, v129 :: v_dual_fma_f32 v27, v168, v116, -v27
	v_dual_fmac_f32 v9, v169, v116 :: v_dual_mul_f32 v41, v183, v131
	v_dual_mul_f32 v31, v173, v121 :: v_dual_mul_f32 v33, v175, v123
	v_dual_fmac_f32 v11, v171, v118 :: v_dual_fma_f32 v29, v170, v118, -v29
	s_delay_alu instid0(VALU_DEP_3) | instskip(SKIP_4) | instid1(VALU_DEP_3)
	v_dual_add_f32 v9, 0, v9 :: v_dual_add_f32 v27, 0, v27
	v_dual_mul_f32 v15, v174, v123 :: v_dual_mul_f32 v17, v176, v125
	s_wait_loadcnt_dscnt 0x601
	v_dual_mul_f32 v43, v185, v133 :: v_dual_fma_f32 v31, v172, v120, -v31
	v_fmac_f32_e32 v13, v173, v120
	v_dual_add_f32 v9, v9, v11 :: v_dual_fmac_f32 v15, v175, v122
	v_add_f32_e32 v11, v27, v29
	v_dual_mul_f32 v35, v177, v125 :: v_dual_mul_f32 v37, v179, v127
	v_dual_mul_f32 v27, v187, v135 :: v_dual_fma_f32 v29, v174, v122, -v33
	s_delay_alu instid0(VALU_DEP_3) | instskip(SKIP_3) | instid1(VALU_DEP_3)
	v_dual_add_f32 v9, v9, v13 :: v_dual_add_f32 v11, v11, v31
	v_dual_mul_f32 v19, v178, v127 :: v_dual_mul_f32 v21, v180, v129
	s_wait_loadcnt 0x5
	v_dual_mul_f32 v13, v153, v137 :: v_dual_fma_f32 v31, v176, v124, -v35
	v_dual_fmac_f32 v17, v177, v124 :: v_dual_add_f32 v11, v11, v29
	v_dual_add_f32 v9, v9, v15 :: v_dual_mov_b32 v116, v139
	v_dual_fmac_f32 v19, v179, v126 :: v_dual_fma_f32 v15, v178, v126, -v37
	s_delay_alu instid0(VALU_DEP_2) | instskip(SKIP_3) | instid1(VALU_DEP_3)
	v_dual_add_f32 v11, v11, v31 :: v_dual_add_f32 v9, v9, v17
	v_dual_mul_f32 v23, v182, v131 :: v_dual_mul_f32 v25, v184, v133
	v_dual_fmac_f32 v21, v181, v128 :: v_dual_fma_f32 v17, v180, v128, -v39
	s_wait_loadcnt 0x4
	v_dual_add_f32 v9, v9, v19 :: v_dual_mov_b32 v120, v143
	v_dual_add_f32 v11, v11, v15 :: v_dual_fma_f32 v15, v182, v130, -v41
	s_delay_alu instid0(VALU_DEP_2) | instskip(SKIP_1) | instid1(VALU_DEP_3)
	v_dual_fmac_f32 v23, v183, v130 :: v_dual_add_f32 v9, v9, v21
	v_dual_mul_f32 v203, v186, v135 :: v_dual_mul_f32 v205, v152, v137
	v_dual_add_f32 v11, v11, v17 :: v_dual_fmac_f32 v25, v185, v132
	s_delay_alu instid0(VALU_DEP_3) | instskip(NEXT) | instid1(VALU_DEP_3)
	v_dual_fma_f32 v17, v184, v132, -v43 :: v_dual_add_f32 v9, v9, v23
	v_fmac_f32_e32 v203, v187, v134
	s_delay_alu instid0(VALU_DEP_3) | instskip(SKIP_1) | instid1(VALU_DEP_4)
	v_dual_add_f32 v11, v11, v15 :: v_dual_fma_f32 v202, v186, v134, -v27
	v_pk_mul_f32 v[116:117], v[194:195], v[116:117] op_sel_hi:[1,0]
	v_add_f32_e32 v125, v9, v25
	v_pk_mul_f32 v[118:119], v[156:157], v[140:141] op_sel:[1,1] op_sel_hi:[0,1]
	s_delay_alu instid0(VALU_DEP_4) | instskip(SKIP_3) | instid1(VALU_DEP_3)
	v_dual_add_f32 v124, v11, v17 :: v_dual_fmac_f32 v205, v153, v136
	s_wait_loadcnt 0x3
	v_dual_mov_b32 v126, v147 :: v_dual_fma_f32 v204, v152, v136, -v13
	v_pk_fma_f32 v[128:129], v[154:155], v[138:139], v[116:117] op_sel_hi:[1,0,1]
	v_pk_add_f32 v[124:125], v[124:125], v[202:203]
	v_pk_fma_f32 v[116:117], v[154:155], v[138:139], v[116:117] neg_lo:[0,0,1] neg_hi:[0,0,1]
	v_pk_fma_f32 v[130:131], v[156:157], v[140:141], v[118:119] op_sel_hi:[1,0,1]
	v_pk_mul_f32 v[120:121], v[196:197], v[120:121] op_sel_hi:[1,0]
	v_mov_b32_e32 v117, v129
	v_pk_add_f32 v[124:125], v[124:125], v[204:205]
	v_pk_fma_f32 v[118:119], v[156:157], v[140:141], v[118:119] neg_lo:[0,0,1] neg_hi:[0,0,1]
	v_pk_mul_f32 v[122:123], v[160:161], v[144:145] op_sel:[1,1] op_sel_hi:[0,1]
	v_mov_b32_e32 v119, v131
	v_pk_fma_f32 v[130:131], v[158:159], v[142:143], v[120:121] op_sel_hi:[1,0,1]
	v_pk_add_f32 v[116:117], v[124:125], v[116:117]
	v_pk_fma_f32 v[120:121], v[158:159], v[142:143], v[120:121] neg_lo:[0,0,1] neg_hi:[0,0,1]
	v_pk_fma_f32 v[124:125], v[160:161], v[144:145], v[122:123] op_sel_hi:[1,0,1]
	v_pk_mul_f32 v[126:127], v[198:199], v[126:127] op_sel_hi:[1,0]
	v_mov_b32_e32 v121, v131
	v_pk_add_f32 v[116:117], v[116:117], v[118:119]
	v_pk_fma_f32 v[122:123], v[160:161], v[144:145], v[122:123] neg_lo:[0,0,1] neg_hi:[0,0,1]
	s_wait_loadcnt 0x2
	v_pk_mul_f32 v[128:129], v[164:165], v[148:149] op_sel:[1,1] op_sel_hi:[0,1]
	v_dual_mov_b32 v118, v151 :: v_dual_mov_b32 v123, v125
	v_pk_fma_f32 v[124:125], v[162:163], v[146:147], v[126:127] op_sel_hi:[1,0,1]
	v_pk_add_f32 v[116:117], v[116:117], v[120:121]
	v_pk_fma_f32 v[126:127], v[162:163], v[146:147], v[126:127] neg_lo:[0,0,1] neg_hi:[0,0,1]
	v_pk_fma_f32 v[120:121], v[164:165], v[148:149], v[128:129] op_sel_hi:[1,0,1]
	v_pk_mul_f32 v[118:119], v[200:201], v[118:119] op_sel_hi:[1,0]
	v_mov_b32_e32 v127, v125
	v_pk_add_f32 v[116:117], v[116:117], v[122:123]
	v_pk_fma_f32 v[122:123], v[164:165], v[148:149], v[128:129] neg_lo:[0,0,1] neg_hi:[0,0,1]
	v_mov_b32_e32 v123, v121
	v_pk_fma_f32 v[120:121], v[166:167], v[150:151], v[118:119] op_sel_hi:[1,0,1]
	s_wait_loadcnt_dscnt 0x100
	v_pk_mul_f32 v[124:125], v[192:193], v[188:189] op_sel:[1,1] op_sel_hi:[0,1]
	v_pk_add_f32 v[116:117], v[116:117], v[126:127]
	v_pk_fma_f32 v[118:119], v[166:167], v[150:151], v[118:119] neg_lo:[0,0,1] neg_hi:[0,0,1]
	v_mov_b32_e32 v119, v121
	s_delay_alu instid0(VALU_DEP_4) | instskip(NEXT) | instid1(VALU_DEP_4)
	v_pk_fma_f32 v[120:121], v[192:193], v[188:189], v[124:125] op_sel_hi:[1,0,1]
	v_pk_add_f32 v[116:117], v[116:117], v[122:123]
	v_pk_fma_f32 v[122:123], v[192:193], v[188:189], v[124:125] neg_lo:[0,0,1] neg_hi:[0,0,1]
	s_delay_alu instid0(VALU_DEP_3) | instskip(NEXT) | instid1(VALU_DEP_3)
	v_mov_b32_e32 v123, v121
	v_pk_add_f32 v[116:117], v[116:117], v[118:119]
	s_delay_alu instid0(VALU_DEP_1) | instskip(SKIP_1) | instid1(VALU_DEP_1)
	v_pk_add_f32 v[116:117], v[116:117], v[122:123]
	s_wait_loadcnt 0x0
	v_pk_add_f32 v[116:117], v[190:191], v[116:117] neg_lo:[0,1] neg_hi:[0,1]
	scratch_store_b64 off, v[116:117], off offset:296
	s_wait_xcnt 0x0
	v_cmpx_lt_u32_e32 36, v0
	s_cbranch_execz .LBB56_283
; %bb.282:
	scratch_load_b64 v[116:117], off, off offset:288
	v_mov_b64_e32 v[118:119], 0
	scratch_store_b64 off, v[118:119], off offset:288
	s_wait_loadcnt 0x0
	ds_store_b64 v1, v[116:117]
.LBB56_283:
	s_wait_xcnt 0x0
	s_or_b32 exec_lo, exec_lo, s0
	s_wait_storecnt_dscnt 0x0
	s_barrier_signal -1
	s_barrier_wait -1
	s_clause 0xa
	scratch_load_b128 v[116:119], off, off offset:296
	scratch_load_b128 v[120:123], off, off offset:312
	scratch_load_b128 v[124:127], off, off offset:328
	scratch_load_b128 v[128:131], off, off offset:344
	scratch_load_b128 v[132:135], off, off offset:360
	scratch_load_b128 v[136:139], off, off offset:376
	scratch_load_b128 v[140:143], off, off offset:392
	scratch_load_b128 v[144:147], off, off offset:408
	scratch_load_b128 v[148:151], off, off offset:424
	scratch_load_b128 v[152:155], off, off offset:440
	scratch_load_b64 v[196:197], off, off offset:288
	ds_load_2addr_b64 v[156:159], v7 offset0:107 offset1:108
	ds_load_2addr_b64 v[160:163], v7 offset0:109 offset1:110
	;; [unrolled: 1-line block ×10, first 2 shown]
	s_mov_b32 s0, exec_lo
	s_wait_dscnt 0x9
	v_dual_mov_b32 v198, v159 :: v_dual_mov_b32 v199, v158
	s_wait_dscnt 0x8
	v_dual_mov_b32 v200, v163 :: v_dual_mov_b32 v201, v162
	s_wait_dscnt 0x7
	v_dual_mov_b32 v202, v167 :: v_dual_mov_b32 v203, v166
	s_wait_dscnt 0x6
	v_dual_mov_b32 v204, v171 :: v_dual_mov_b32 v205, v170
	s_wait_loadcnt_dscnt 0xa05
	v_dual_mul_f32 v7, v172, v117 :: v_dual_mul_f32 v9, v174, v119
	v_dual_mul_f32 v27, v173, v117 :: v_dual_mul_f32 v29, v175, v119
	s_wait_loadcnt_dscnt 0x904
	v_dual_mul_f32 v11, v176, v121 :: v_dual_mul_f32 v13, v178, v123
	s_delay_alu instid0(VALU_DEP_3) | instskip(SKIP_3) | instid1(VALU_DEP_3)
	v_dual_fmac_f32 v7, v173, v116 :: v_dual_fmac_f32 v9, v175, v118
	s_wait_loadcnt_dscnt 0x702
	v_dual_fma_f32 v27, v172, v116, -v27 :: v_dual_mul_f32 v39, v185, v129
	v_dual_mul_f32 v31, v177, v121 :: v_dual_mul_f32 v33, v179, v123
	v_dual_fma_f32 v29, v174, v118, -v29 :: v_dual_add_f32 v7, 0, v7
	s_delay_alu instid0(VALU_DEP_3) | instskip(SKIP_1) | instid1(VALU_DEP_4)
	v_dual_add_f32 v27, 0, v27 :: v_dual_fmac_f32 v11, v177, v120
	v_dual_mul_f32 v15, v180, v125 :: v_dual_mul_f32 v17, v182, v127
	v_dual_mul_f32 v41, v187, v131 :: v_dual_fma_f32 v31, v176, v120, -v31
	s_delay_alu instid0(VALU_DEP_4) | instskip(NEXT) | instid1(VALU_DEP_3)
	v_add_f32_e32 v7, v7, v9
	v_dual_add_f32 v9, v27, v29 :: v_dual_fmac_f32 v15, v181, v124
	v_dual_mul_f32 v35, v181, v125 :: v_dual_mul_f32 v37, v183, v127
	s_wait_loadcnt_dscnt 0x601
	v_dual_mul_f32 v27, v189, v133 :: v_dual_fmac_f32 v13, v179, v122
	v_dual_fma_f32 v29, v178, v122, -v33 :: v_dual_add_f32 v7, v7, v11
	s_delay_alu instid0(VALU_DEP_3) | instskip(SKIP_1) | instid1(VALU_DEP_3)
	v_dual_add_f32 v9, v9, v31 :: v_dual_fma_f32 v31, v180, v124, -v35
	v_dual_mul_f32 v19, v184, v129 :: v_dual_mul_f32 v21, v186, v131
	v_add_f32_e32 v7, v7, v13
	s_delay_alu instid0(VALU_DEP_3) | instskip(SKIP_2) | instid1(VALU_DEP_3)
	v_dual_mul_f32 v11, v191, v135 :: v_dual_add_f32 v9, v9, v29
	s_wait_loadcnt_dscnt 0x500
	v_dual_mul_f32 v13, v193, v137 :: v_dual_fmac_f32 v17, v183, v126
	v_dual_fma_f32 v29, v182, v126, -v37 :: v_dual_add_f32 v7, v7, v15
	s_delay_alu instid0(VALU_DEP_3) | instskip(SKIP_1) | instid1(VALU_DEP_3)
	v_dual_add_f32 v9, v9, v31 :: v_dual_fma_f32 v31, v184, v128, -v39
	v_dual_mul_f32 v15, v195, v139 :: v_dual_fmac_f32 v19, v185, v128
	v_dual_add_f32 v7, v7, v17 :: v_dual_fma_f32 v17, v186, v130, -v41
	s_delay_alu instid0(VALU_DEP_3) | instskip(SKIP_1) | instid1(VALU_DEP_3)
	v_dual_add_f32 v9, v9, v29 :: v_dual_fmac_f32 v21, v187, v130
	v_dual_mul_f32 v23, v188, v133 :: v_dual_mul_f32 v25, v190, v135
	v_add_f32_e32 v7, v7, v19
	s_wait_loadcnt 0x4
	s_delay_alu instid0(VALU_DEP_3) | instskip(NEXT) | instid1(VALU_DEP_3)
	v_dual_add_f32 v9, v9, v31 :: v_dual_mov_b32 v118, v143
	v_fmac_f32_e32 v23, v189, v132
	s_delay_alu instid0(VALU_DEP_3) | instskip(NEXT) | instid1(VALU_DEP_3)
	v_dual_fma_f32 v19, v188, v132, -v27 :: v_dual_add_f32 v7, v7, v21
	v_dual_add_f32 v9, v9, v17 :: v_dual_fmac_f32 v25, v191, v134
	v_dual_mul_f32 v207, v192, v137 :: v_dual_mul_f32 v209, v194, v139
	s_delay_alu instid0(VALU_DEP_3) | instskip(SKIP_1) | instid1(VALU_DEP_3)
	v_dual_fma_f32 v11, v190, v134, -v11 :: v_dual_add_f32 v7, v7, v23
	s_wait_loadcnt 0x3
	v_dual_add_f32 v9, v9, v19 :: v_dual_mov_b32 v122, v147
	v_pk_mul_f32 v[116:117], v[156:157], v[140:141] op_sel:[1,1] op_sel_hi:[0,1]
	v_dual_fmac_f32 v207, v193, v136 :: v_dual_fma_f32 v206, v192, v136, -v13
	s_delay_alu instid0(VALU_DEP_3) | instskip(SKIP_1) | instid1(VALU_DEP_4)
	v_dual_add_f32 v125, v7, v25 :: v_dual_add_f32 v124, v9, v11
	v_dual_fmac_f32 v209, v195, v138 :: v_dual_fma_f32 v208, v194, v138, -v15
	v_pk_fma_f32 v[126:127], v[156:157], v[140:141], v[116:117] op_sel_hi:[1,0,1]
	v_pk_mul_f32 v[118:119], v[198:199], v[118:119] op_sel_hi:[1,0]
	s_delay_alu instid0(VALU_DEP_4)
	v_pk_add_f32 v[124:125], v[124:125], v[206:207]
	v_pk_fma_f32 v[116:117], v[156:157], v[140:141], v[116:117] neg_lo:[0,0,1] neg_hi:[0,0,1]
	v_pk_mul_f32 v[120:121], v[160:161], v[144:145] op_sel:[1,1] op_sel_hi:[0,1]
	v_mov_b32_e32 v117, v127
	v_pk_fma_f32 v[126:127], v[158:159], v[142:143], v[118:119] op_sel_hi:[1,0,1]
	v_pk_add_f32 v[124:125], v[124:125], v[208:209]
	v_pk_fma_f32 v[118:119], v[158:159], v[142:143], v[118:119] neg_lo:[0,0,1] neg_hi:[0,0,1]
	v_pk_fma_f32 v[130:131], v[160:161], v[144:145], v[120:121] op_sel_hi:[1,0,1]
	v_pk_mul_f32 v[122:123], v[200:201], v[122:123] op_sel_hi:[1,0]
	v_mov_b32_e32 v119, v127
	v_pk_add_f32 v[116:117], v[124:125], v[116:117]
	s_wait_loadcnt 0x2
	v_pk_mul_f32 v[128:129], v[164:165], v[148:149] op_sel:[1,1] op_sel_hi:[0,1]
	v_mov_b32_e32 v124, v151
	v_pk_fma_f32 v[120:121], v[160:161], v[144:145], v[120:121] neg_lo:[0,0,1] neg_hi:[0,0,1]
	v_mov_b32_e32 v121, v131
	v_pk_fma_f32 v[126:127], v[162:163], v[146:147], v[122:123] op_sel_hi:[1,0,1]
	v_pk_add_f32 v[116:117], v[116:117], v[118:119]
	v_pk_fma_f32 v[118:119], v[164:165], v[148:149], v[128:129] op_sel_hi:[1,0,1]
	v_pk_mul_f32 v[124:125], v[202:203], v[124:125] op_sel_hi:[1,0]
	v_pk_fma_f32 v[122:123], v[162:163], v[146:147], v[122:123] neg_lo:[0,0,1] neg_hi:[0,0,1]
	v_mov_b32_e32 v123, v127
	v_pk_add_f32 v[116:117], v[116:117], v[120:121]
	v_pk_fma_f32 v[126:127], v[164:165], v[148:149], v[128:129] neg_lo:[0,0,1] neg_hi:[0,0,1]
	v_mov_b32_e32 v127, v119
	v_pk_fma_f32 v[118:119], v[166:167], v[150:151], v[124:125] op_sel_hi:[1,0,1]
	s_wait_loadcnt 0x1
	v_pk_mul_f32 v[120:121], v[168:169], v[152:153] op_sel:[1,1] op_sel_hi:[0,1]
	v_pk_add_f32 v[116:117], v[116:117], v[122:123]
	v_mov_b32_e32 v118, v155
	v_pk_fma_f32 v[124:125], v[166:167], v[150:151], v[124:125] neg_lo:[0,0,1] neg_hi:[0,0,1]
	v_mov_b32_e32 v125, v119
	v_pk_fma_f32 v[122:123], v[168:169], v[152:153], v[120:121] op_sel_hi:[1,0,1]
	v_pk_add_f32 v[116:117], v[116:117], v[126:127]
	v_pk_mul_f32 v[118:119], v[204:205], v[118:119] op_sel_hi:[1,0]
	v_pk_fma_f32 v[120:121], v[168:169], v[152:153], v[120:121] neg_lo:[0,0,1] neg_hi:[0,0,1]
	s_delay_alu instid0(VALU_DEP_4) | instskip(NEXT) | instid1(VALU_DEP_4)
	v_mov_b32_e32 v121, v123
	v_pk_add_f32 v[116:117], v[116:117], v[124:125]
	s_delay_alu instid0(VALU_DEP_4) | instskip(SKIP_1) | instid1(VALU_DEP_2)
	v_pk_fma_f32 v[122:123], v[170:171], v[154:155], v[118:119] op_sel_hi:[1,0,1]
	v_pk_fma_f32 v[118:119], v[170:171], v[154:155], v[118:119] neg_lo:[0,0,1] neg_hi:[0,0,1]
	v_mov_b32_e32 v119, v123
	s_delay_alu instid0(VALU_DEP_4) | instskip(NEXT) | instid1(VALU_DEP_1)
	v_pk_add_f32 v[116:117], v[116:117], v[120:121]
	v_pk_add_f32 v[116:117], v[116:117], v[118:119]
	s_wait_loadcnt 0x0
	s_delay_alu instid0(VALU_DEP_1)
	v_pk_add_f32 v[116:117], v[196:197], v[116:117] neg_lo:[0,1] neg_hi:[0,1]
	scratch_store_b64 off, v[116:117], off offset:288
	s_wait_xcnt 0x0
	v_cmpx_lt_u32_e32 35, v0
	s_cbranch_execz .LBB56_285
; %bb.284:
	scratch_load_b64 v[116:117], off, off offset:280
	v_mov_b64_e32 v[118:119], 0
	scratch_store_b64 off, v[118:119], off offset:280
	s_wait_loadcnt 0x0
	ds_store_b64 v1, v[116:117]
.LBB56_285:
	s_wait_xcnt 0x0
	s_or_b32 exec_lo, exec_lo, s0
	s_wait_storecnt_dscnt 0x0
	s_barrier_signal -1
	s_barrier_wait -1
	s_clause 0xb
	scratch_load_b128 v[116:119], off, off offset:288
	scratch_load_b128 v[120:123], off, off offset:304
	;; [unrolled: 1-line block ×10, first 2 shown]
	scratch_load_b64 v[196:197], off, off offset:448
	scratch_load_b64 v[198:199], off, off offset:280
	v_mov_b32_e32 v7, 0
	ds_load_b128 v[156:159], v7 offset:848
	ds_load_b128 v[160:163], v7 offset:864
	;; [unrolled: 1-line block ×10, first 2 shown]
	ds_load_b64 v[200:201], v7 offset:912
	s_mov_b32 s0, exec_lo
	s_wait_dscnt 0xa
	v_dual_mov_b32 v202, v159 :: v_dual_mov_b32 v203, v158
	s_wait_dscnt 0x7
	v_dual_mov_b32 v204, v163 :: v_dual_mov_b32 v209, v170
	v_dual_mov_b32 v205, v162 :: v_dual_mov_b32 v206, v167
	;; [unrolled: 1-line block ×3, first 2 shown]
	s_wait_loadcnt_dscnt 0xb06
	v_dual_mul_f32 v9, v172, v117 :: v_dual_mul_f32 v31, v173, v117
	v_dual_mul_f32 v33, v175, v119 :: v_dual_mul_f32 v11, v174, v119
	s_wait_loadcnt_dscnt 0xa05
	v_mul_f32_e32 v13, v176, v121
	s_wait_loadcnt_dscnt 0x803
	v_dual_mul_f32 v43, v185, v129 :: v_dual_fma_f32 v31, v172, v116, -v31
	v_dual_fmac_f32 v9, v173, v116 :: v_dual_mul_f32 v45, v187, v131
	v_dual_mul_f32 v35, v177, v121 :: v_dual_mul_f32 v37, v179, v123
	v_dual_fmac_f32 v11, v175, v118 :: v_dual_fma_f32 v33, v174, v118, -v33
	s_delay_alu instid0(VALU_DEP_3) | instskip(SKIP_4) | instid1(VALU_DEP_3)
	v_dual_add_f32 v9, 0, v9 :: v_dual_add_f32 v31, 0, v31
	v_dual_mul_f32 v15, v178, v123 :: v_dual_mul_f32 v17, v180, v125
	s_wait_loadcnt_dscnt 0x702
	v_dual_mul_f32 v47, v189, v133 :: v_dual_fma_f32 v35, v176, v120, -v35
	v_fmac_f32_e32 v13, v177, v120
	v_dual_add_f32 v9, v9, v11 :: v_dual_fmac_f32 v15, v179, v122
	v_add_f32_e32 v11, v31, v33
	v_dual_mul_f32 v39, v181, v125 :: v_dual_mul_f32 v41, v183, v127
	v_dual_mul_f32 v31, v191, v135 :: v_dual_fma_f32 v33, v178, v122, -v37
	s_delay_alu instid0(VALU_DEP_3) | instskip(SKIP_3) | instid1(VALU_DEP_3)
	v_dual_add_f32 v9, v9, v13 :: v_dual_add_f32 v11, v11, v35
	v_dual_mul_f32 v19, v182, v127 :: v_dual_mul_f32 v21, v184, v129
	s_wait_loadcnt_dscnt 0x601
	v_dual_mul_f32 v13, v193, v137 :: v_dual_fma_f32 v35, v180, v124, -v39
	v_dual_fmac_f32 v17, v181, v124 :: v_dual_add_f32 v11, v11, v33
	s_delay_alu instid0(VALU_DEP_3) | instskip(SKIP_1) | instid1(VALU_DEP_2)
	v_dual_add_f32 v9, v9, v15 :: v_dual_fmac_f32 v19, v183, v126
	v_dual_mul_f32 v15, v195, v139 :: v_dual_fma_f32 v33, v182, v126, -v41
	v_dual_add_f32 v11, v11, v35 :: v_dual_add_f32 v9, v9, v17
	v_dual_mul_f32 v23, v186, v131 :: v_dual_mul_f32 v25, v188, v133
	s_wait_loadcnt 0x5
	v_dual_mul_f32 v17, v157, v141 :: v_dual_fma_f32 v35, v184, v128, -v43
	s_delay_alu instid0(VALU_DEP_3) | instskip(SKIP_2) | instid1(VALU_DEP_2)
	v_dual_fmac_f32 v21, v185, v128 :: v_dual_add_f32 v11, v11, v33
	v_dual_add_f32 v9, v9, v19 :: v_dual_mov_b32 v116, v143
	v_dual_fmac_f32 v23, v187, v130 :: v_dual_fma_f32 v19, v186, v130, -v45
	v_dual_add_f32 v11, v11, v35 :: v_dual_add_f32 v9, v9, v21
	v_dual_mul_f32 v27, v190, v135 :: v_dual_mul_f32 v29, v192, v137
	v_dual_fmac_f32 v25, v189, v132 :: v_dual_fma_f32 v21, v188, v132, -v47
	s_wait_loadcnt 0x4
	s_delay_alu instid0(VALU_DEP_3) | instskip(SKIP_1) | instid1(VALU_DEP_2)
	v_dual_add_f32 v9, v9, v23 :: v_dual_mov_b32 v120, v147
	v_dual_add_f32 v11, v11, v19 :: v_dual_fma_f32 v19, v190, v134, -v31
	v_dual_fmac_f32 v27, v191, v134 :: v_dual_add_f32 v9, v9, v25
	v_dual_mul_f32 v211, v194, v139 :: v_dual_mul_f32 v213, v156, v141
	s_delay_alu instid0(VALU_DEP_3) | instskip(NEXT) | instid1(VALU_DEP_3)
	v_dual_add_f32 v11, v11, v21 :: v_dual_fmac_f32 v29, v193, v136
	v_dual_fma_f32 v13, v192, v136, -v13 :: v_dual_add_f32 v9, v9, v27
	s_delay_alu instid0(VALU_DEP_3) | instskip(NEXT) | instid1(VALU_DEP_3)
	v_fmac_f32_e32 v211, v195, v138
	v_dual_add_f32 v11, v11, v19 :: v_dual_fma_f32 v210, v194, v138, -v15
	v_pk_mul_f32 v[116:117], v[202:203], v[116:117] op_sel_hi:[1,0]
	s_delay_alu instid0(VALU_DEP_4) | instskip(SKIP_1) | instid1(VALU_DEP_4)
	v_add_f32_e32 v125, v9, v29
	v_pk_mul_f32 v[118:119], v[160:161], v[144:145] op_sel:[1,1] op_sel_hi:[0,1]
	v_dual_add_f32 v124, v11, v13 :: v_dual_fmac_f32 v213, v157, v140
	s_wait_loadcnt 0x3
	v_dual_mov_b32 v126, v151 :: v_dual_fma_f32 v212, v156, v140, -v17
	v_pk_fma_f32 v[128:129], v[158:159], v[142:143], v[116:117] op_sel_hi:[1,0,1]
	s_delay_alu instid0(VALU_DEP_3)
	v_pk_add_f32 v[124:125], v[124:125], v[210:211]
	v_pk_fma_f32 v[116:117], v[158:159], v[142:143], v[116:117] neg_lo:[0,0,1] neg_hi:[0,0,1]
	v_pk_fma_f32 v[130:131], v[160:161], v[144:145], v[118:119] op_sel_hi:[1,0,1]
	v_pk_mul_f32 v[120:121], v[204:205], v[120:121] op_sel_hi:[1,0]
	v_mov_b32_e32 v117, v129
	v_pk_add_f32 v[124:125], v[124:125], v[212:213]
	v_pk_fma_f32 v[118:119], v[160:161], v[144:145], v[118:119] neg_lo:[0,0,1] neg_hi:[0,0,1]
	v_pk_mul_f32 v[122:123], v[164:165], v[148:149] op_sel:[1,1] op_sel_hi:[0,1]
	v_mov_b32_e32 v119, v131
	v_pk_fma_f32 v[130:131], v[162:163], v[146:147], v[120:121] op_sel_hi:[1,0,1]
	v_pk_add_f32 v[116:117], v[124:125], v[116:117]
	v_pk_fma_f32 v[120:121], v[162:163], v[146:147], v[120:121] neg_lo:[0,0,1] neg_hi:[0,0,1]
	v_pk_fma_f32 v[124:125], v[164:165], v[148:149], v[122:123] op_sel_hi:[1,0,1]
	v_pk_mul_f32 v[126:127], v[206:207], v[126:127] op_sel_hi:[1,0]
	v_mov_b32_e32 v121, v131
	v_pk_add_f32 v[116:117], v[116:117], v[118:119]
	v_pk_fma_f32 v[122:123], v[164:165], v[148:149], v[122:123] neg_lo:[0,0,1] neg_hi:[0,0,1]
	s_wait_loadcnt 0x2
	v_pk_mul_f32 v[128:129], v[168:169], v[152:153] op_sel:[1,1] op_sel_hi:[0,1]
	v_dual_mov_b32 v118, v155 :: v_dual_mov_b32 v123, v125
	v_pk_fma_f32 v[124:125], v[166:167], v[150:151], v[126:127] op_sel_hi:[1,0,1]
	v_pk_add_f32 v[116:117], v[116:117], v[120:121]
	v_pk_fma_f32 v[126:127], v[166:167], v[150:151], v[126:127] neg_lo:[0,0,1] neg_hi:[0,0,1]
	v_pk_fma_f32 v[120:121], v[168:169], v[152:153], v[128:129] op_sel_hi:[1,0,1]
	v_pk_mul_f32 v[118:119], v[208:209], v[118:119] op_sel_hi:[1,0]
	v_mov_b32_e32 v127, v125
	v_pk_add_f32 v[116:117], v[116:117], v[122:123]
	v_pk_fma_f32 v[122:123], v[168:169], v[152:153], v[128:129] neg_lo:[0,0,1] neg_hi:[0,0,1]
	v_mov_b32_e32 v123, v121
	v_pk_fma_f32 v[120:121], v[170:171], v[154:155], v[118:119] op_sel_hi:[1,0,1]
	s_wait_loadcnt_dscnt 0x100
	v_pk_mul_f32 v[124:125], v[200:201], v[196:197] op_sel:[1,1] op_sel_hi:[0,1]
	v_pk_add_f32 v[116:117], v[116:117], v[126:127]
	v_pk_fma_f32 v[118:119], v[170:171], v[154:155], v[118:119] neg_lo:[0,0,1] neg_hi:[0,0,1]
	v_mov_b32_e32 v119, v121
	s_delay_alu instid0(VALU_DEP_4) | instskip(NEXT) | instid1(VALU_DEP_4)
	v_pk_fma_f32 v[120:121], v[200:201], v[196:197], v[124:125] op_sel_hi:[1,0,1]
	v_pk_add_f32 v[116:117], v[116:117], v[122:123]
	v_pk_fma_f32 v[122:123], v[200:201], v[196:197], v[124:125] neg_lo:[0,0,1] neg_hi:[0,0,1]
	s_delay_alu instid0(VALU_DEP_3) | instskip(NEXT) | instid1(VALU_DEP_3)
	v_mov_b32_e32 v123, v121
	v_pk_add_f32 v[116:117], v[116:117], v[118:119]
	s_delay_alu instid0(VALU_DEP_1) | instskip(SKIP_1) | instid1(VALU_DEP_1)
	v_pk_add_f32 v[116:117], v[116:117], v[122:123]
	s_wait_loadcnt 0x0
	v_pk_add_f32 v[116:117], v[198:199], v[116:117] neg_lo:[0,1] neg_hi:[0,1]
	scratch_store_b64 off, v[116:117], off offset:280
	s_wait_xcnt 0x0
	v_cmpx_lt_u32_e32 34, v0
	s_cbranch_execz .LBB56_287
; %bb.286:
	scratch_load_b64 v[116:117], off, off offset:272
	v_mov_b64_e32 v[118:119], 0
	scratch_store_b64 off, v[118:119], off offset:272
	s_wait_loadcnt 0x0
	ds_store_b64 v1, v[116:117]
.LBB56_287:
	s_wait_xcnt 0x0
	s_or_b32 exec_lo, exec_lo, s0
	s_wait_storecnt_dscnt 0x0
	s_barrier_signal -1
	s_barrier_wait -1
	s_clause 0xb
	scratch_load_b128 v[116:119], off, off offset:280
	scratch_load_b128 v[120:123], off, off offset:296
	;; [unrolled: 1-line block ×11, first 2 shown]
	scratch_load_b64 v[204:205], off, off offset:272
	ds_load_2addr_b64 v[160:163], v7 offset0:107 offset1:108
	ds_load_2addr_b64 v[164:167], v7 offset0:109 offset1:110
	;; [unrolled: 1-line block ×11, first 2 shown]
	s_mov_b32 s0, exec_lo
	s_wait_dscnt 0xa
	v_dual_mov_b32 v206, v163 :: v_dual_mov_b32 v207, v162
	s_wait_dscnt 0x9
	v_dual_mov_b32 v208, v167 :: v_dual_mov_b32 v209, v166
	;; [unrolled: 2-line block ×4, first 2 shown]
	s_wait_loadcnt_dscnt 0xb06
	v_dual_mul_f32 v7, v176, v117 :: v_dual_mul_f32 v9, v178, v119
	v_dual_mul_f32 v31, v177, v117 :: v_dual_mul_f32 v33, v179, v119
	s_wait_loadcnt_dscnt 0xa05
	v_dual_mul_f32 v11, v180, v121 :: v_dual_mul_f32 v13, v182, v123
	s_delay_alu instid0(VALU_DEP_3) | instskip(SKIP_3) | instid1(VALU_DEP_3)
	v_dual_fmac_f32 v7, v177, v116 :: v_dual_fmac_f32 v9, v179, v118
	s_wait_loadcnt_dscnt 0x803
	v_dual_fma_f32 v31, v176, v116, -v31 :: v_dual_mul_f32 v43, v189, v129
	v_dual_mul_f32 v35, v181, v121 :: v_dual_mul_f32 v37, v183, v123
	v_dual_fma_f32 v33, v178, v118, -v33 :: v_dual_add_f32 v7, 0, v7
	s_delay_alu instid0(VALU_DEP_3) | instskip(SKIP_1) | instid1(VALU_DEP_4)
	v_dual_add_f32 v31, 0, v31 :: v_dual_fmac_f32 v11, v181, v120
	v_dual_mul_f32 v15, v184, v125 :: v_dual_mul_f32 v17, v186, v127
	v_dual_mul_f32 v45, v191, v131 :: v_dual_fma_f32 v35, v180, v120, -v35
	s_delay_alu instid0(VALU_DEP_4) | instskip(NEXT) | instid1(VALU_DEP_3)
	v_add_f32_e32 v7, v7, v9
	v_dual_add_f32 v9, v31, v33 :: v_dual_fmac_f32 v15, v185, v124
	v_dual_mul_f32 v39, v185, v125 :: v_dual_mul_f32 v41, v187, v127
	s_wait_loadcnt_dscnt 0x702
	v_dual_mul_f32 v31, v193, v133 :: v_dual_fmac_f32 v13, v183, v122
	v_dual_fma_f32 v33, v182, v122, -v37 :: v_dual_add_f32 v7, v7, v11
	s_delay_alu instid0(VALU_DEP_3) | instskip(SKIP_1) | instid1(VALU_DEP_3)
	v_dual_add_f32 v9, v9, v35 :: v_dual_fma_f32 v35, v184, v124, -v39
	v_dual_mul_f32 v19, v188, v129 :: v_dual_mul_f32 v21, v190, v131
	v_add_f32_e32 v7, v7, v13
	s_delay_alu instid0(VALU_DEP_3) | instskip(SKIP_2) | instid1(VALU_DEP_3)
	v_dual_mul_f32 v11, v195, v135 :: v_dual_add_f32 v9, v9, v33
	s_wait_loadcnt_dscnt 0x601
	v_dual_mul_f32 v13, v197, v137 :: v_dual_fmac_f32 v17, v187, v126
	v_dual_fma_f32 v33, v186, v126, -v41 :: v_dual_add_f32 v7, v7, v15
	s_delay_alu instid0(VALU_DEP_3) | instskip(SKIP_1) | instid1(VALU_DEP_3)
	v_dual_add_f32 v9, v9, v35 :: v_dual_fma_f32 v35, v188, v128, -v43
	v_dual_mul_f32 v15, v199, v139 :: v_dual_fmac_f32 v19, v189, v128
	v_add_f32_e32 v7, v7, v17
	s_delay_alu instid0(VALU_DEP_3)
	v_dual_add_f32 v9, v9, v33 :: v_dual_fmac_f32 v21, v191, v130
	v_dual_mul_f32 v23, v192, v133 :: v_dual_mul_f32 v25, v194, v135
	s_wait_loadcnt_dscnt 0x500
	v_dual_fma_f32 v33, v190, v130, -v45 :: v_dual_mul_f32 v17, v201, v141
	v_add_f32_e32 v7, v7, v19
	v_dual_add_f32 v9, v9, v35 :: v_dual_fma_f32 v31, v192, v132, -v31
	v_dual_mul_f32 v19, v203, v143 :: v_dual_fmac_f32 v23, v193, v132
	s_delay_alu instid0(VALU_DEP_3) | instskip(NEXT) | instid1(VALU_DEP_3)
	v_dual_add_f32 v7, v7, v21 :: v_dual_fma_f32 v11, v194, v134, -v11
	v_dual_add_f32 v9, v9, v33 :: v_dual_fmac_f32 v25, v195, v134
	v_dual_mul_f32 v27, v196, v137 :: v_dual_mul_f32 v29, v198, v139
	s_delay_alu instid0(VALU_DEP_3) | instskip(SKIP_1) | instid1(VALU_DEP_3)
	v_add_f32_e32 v7, v7, v23
	s_wait_loadcnt 0x4
	v_dual_add_f32 v9, v9, v31 :: v_dual_mov_b32 v118, v147
	s_delay_alu instid0(VALU_DEP_3) | instskip(NEXT) | instid1(VALU_DEP_2)
	v_dual_fmac_f32 v27, v197, v136 :: v_dual_fma_f32 v13, v196, v136, -v13
	v_dual_add_f32 v7, v7, v25 :: v_dual_add_f32 v9, v9, v11
	v_dual_fmac_f32 v29, v199, v138 :: v_dual_mul_f32 v215, v200, v141
	v_mul_f32_e32 v217, v202, v143
	s_delay_alu instid0(VALU_DEP_3) | instskip(SKIP_4) | instid1(VALU_DEP_3)
	v_dual_fma_f32 v11, v198, v138, -v15 :: v_dual_add_f32 v7, v7, v27
	s_wait_loadcnt 0x3
	v_dual_add_f32 v9, v9, v13 :: v_dual_mov_b32 v122, v151
	v_pk_mul_f32 v[116:117], v[160:161], v[144:145] op_sel:[1,1] op_sel_hi:[0,1]
	v_dual_fmac_f32 v215, v201, v140 :: v_dual_fma_f32 v214, v200, v140, -v17
	v_dual_add_f32 v125, v7, v29 :: v_dual_add_f32 v124, v9, v11
	v_dual_fmac_f32 v217, v203, v142 :: v_dual_fma_f32 v216, v202, v142, -v19
	s_delay_alu instid0(VALU_DEP_4) | instskip(SKIP_1) | instid1(VALU_DEP_4)
	v_pk_fma_f32 v[126:127], v[160:161], v[144:145], v[116:117] op_sel_hi:[1,0,1]
	v_pk_mul_f32 v[118:119], v[206:207], v[118:119] op_sel_hi:[1,0]
	v_pk_add_f32 v[124:125], v[124:125], v[214:215]
	v_pk_fma_f32 v[116:117], v[160:161], v[144:145], v[116:117] neg_lo:[0,0,1] neg_hi:[0,0,1]
	v_pk_mul_f32 v[120:121], v[164:165], v[148:149] op_sel:[1,1] op_sel_hi:[0,1]
	v_mov_b32_e32 v117, v127
	v_pk_fma_f32 v[126:127], v[162:163], v[146:147], v[118:119] op_sel_hi:[1,0,1]
	v_pk_add_f32 v[124:125], v[124:125], v[216:217]
	v_pk_fma_f32 v[118:119], v[162:163], v[146:147], v[118:119] neg_lo:[0,0,1] neg_hi:[0,0,1]
	v_pk_fma_f32 v[130:131], v[164:165], v[148:149], v[120:121] op_sel_hi:[1,0,1]
	v_pk_mul_f32 v[122:123], v[208:209], v[122:123] op_sel_hi:[1,0]
	v_mov_b32_e32 v119, v127
	v_pk_add_f32 v[116:117], v[124:125], v[116:117]
	s_wait_loadcnt 0x2
	v_pk_mul_f32 v[128:129], v[168:169], v[152:153] op_sel:[1,1] op_sel_hi:[0,1]
	v_mov_b32_e32 v124, v155
	v_pk_fma_f32 v[120:121], v[164:165], v[148:149], v[120:121] neg_lo:[0,0,1] neg_hi:[0,0,1]
	v_mov_b32_e32 v121, v131
	v_pk_fma_f32 v[126:127], v[166:167], v[150:151], v[122:123] op_sel_hi:[1,0,1]
	v_pk_add_f32 v[116:117], v[116:117], v[118:119]
	v_pk_fma_f32 v[118:119], v[168:169], v[152:153], v[128:129] op_sel_hi:[1,0,1]
	v_pk_mul_f32 v[124:125], v[210:211], v[124:125] op_sel_hi:[1,0]
	v_pk_fma_f32 v[122:123], v[166:167], v[150:151], v[122:123] neg_lo:[0,0,1] neg_hi:[0,0,1]
	v_mov_b32_e32 v123, v127
	v_pk_add_f32 v[116:117], v[116:117], v[120:121]
	v_pk_fma_f32 v[126:127], v[168:169], v[152:153], v[128:129] neg_lo:[0,0,1] neg_hi:[0,0,1]
	v_mov_b32_e32 v127, v119
	v_pk_fma_f32 v[118:119], v[170:171], v[154:155], v[124:125] op_sel_hi:[1,0,1]
	s_wait_loadcnt 0x1
	v_pk_mul_f32 v[120:121], v[172:173], v[156:157] op_sel:[1,1] op_sel_hi:[0,1]
	v_pk_add_f32 v[116:117], v[116:117], v[122:123]
	v_mov_b32_e32 v118, v159
	v_pk_fma_f32 v[124:125], v[170:171], v[154:155], v[124:125] neg_lo:[0,0,1] neg_hi:[0,0,1]
	v_mov_b32_e32 v125, v119
	v_pk_fma_f32 v[122:123], v[172:173], v[156:157], v[120:121] op_sel_hi:[1,0,1]
	v_pk_add_f32 v[116:117], v[116:117], v[126:127]
	v_pk_mul_f32 v[118:119], v[212:213], v[118:119] op_sel_hi:[1,0]
	v_pk_fma_f32 v[120:121], v[172:173], v[156:157], v[120:121] neg_lo:[0,0,1] neg_hi:[0,0,1]
	s_delay_alu instid0(VALU_DEP_4) | instskip(NEXT) | instid1(VALU_DEP_4)
	v_mov_b32_e32 v121, v123
	v_pk_add_f32 v[116:117], v[116:117], v[124:125]
	s_delay_alu instid0(VALU_DEP_4) | instskip(SKIP_1) | instid1(VALU_DEP_2)
	v_pk_fma_f32 v[122:123], v[174:175], v[158:159], v[118:119] op_sel_hi:[1,0,1]
	v_pk_fma_f32 v[118:119], v[174:175], v[158:159], v[118:119] neg_lo:[0,0,1] neg_hi:[0,0,1]
	v_mov_b32_e32 v119, v123
	s_delay_alu instid0(VALU_DEP_4) | instskip(NEXT) | instid1(VALU_DEP_1)
	v_pk_add_f32 v[116:117], v[116:117], v[120:121]
	v_pk_add_f32 v[116:117], v[116:117], v[118:119]
	s_wait_loadcnt 0x0
	s_delay_alu instid0(VALU_DEP_1)
	v_pk_add_f32 v[116:117], v[204:205], v[116:117] neg_lo:[0,1] neg_hi:[0,1]
	scratch_store_b64 off, v[116:117], off offset:272
	s_wait_xcnt 0x0
	v_cmpx_lt_u32_e32 33, v0
	s_cbranch_execz .LBB56_289
; %bb.288:
	scratch_load_b64 v[116:117], off, off offset:264
	v_mov_b64_e32 v[118:119], 0
	scratch_store_b64 off, v[118:119], off offset:264
	s_wait_loadcnt 0x0
	ds_store_b64 v1, v[116:117]
.LBB56_289:
	s_wait_xcnt 0x0
	s_or_b32 exec_lo, exec_lo, s0
	s_wait_storecnt_dscnt 0x0
	s_barrier_signal -1
	s_barrier_wait -1
	s_clause 0xc
	scratch_load_b128 v[116:119], off, off offset:272
	scratch_load_b128 v[120:123], off, off offset:288
	scratch_load_b128 v[124:127], off, off offset:304
	scratch_load_b128 v[128:131], off, off offset:320
	scratch_load_b128 v[132:135], off, off offset:336
	scratch_load_b128 v[136:139], off, off offset:352
	scratch_load_b128 v[140:143], off, off offset:368
	scratch_load_b128 v[144:147], off, off offset:384
	scratch_load_b128 v[148:151], off, off offset:400
	scratch_load_b128 v[152:155], off, off offset:416
	scratch_load_b128 v[156:159], off, off offset:432
	scratch_load_b64 v[204:205], off, off offset:448
	scratch_load_b64 v[206:207], off, off offset:264
	v_mov_b32_e32 v7, 0
	ds_load_b128 v[160:163], v7 offset:848
	ds_load_b128 v[164:167], v7 offset:864
	;; [unrolled: 1-line block ×11, first 2 shown]
	ds_load_b64 v[208:209], v7 offset:912
	s_mov_b32 s0, exec_lo
	s_wait_dscnt 0xb
	v_dual_mov_b32 v210, v163 :: v_dual_mov_b32 v211, v162
	s_wait_dscnt 0x8
	v_dual_mov_b32 v212, v167 :: v_dual_mov_b32 v217, v174
	v_dual_mov_b32 v213, v166 :: v_dual_mov_b32 v214, v171
	;; [unrolled: 1-line block ×3, first 2 shown]
	s_wait_loadcnt_dscnt 0xc07
	v_dual_mul_f32 v9, v176, v117 :: v_dual_mul_f32 v35, v177, v117
	v_dual_mul_f32 v37, v179, v119 :: v_dual_mul_f32 v11, v178, v119
	s_wait_loadcnt_dscnt 0xb06
	v_mul_f32_e32 v13, v180, v121
	s_wait_loadcnt_dscnt 0x904
	v_dual_mul_f32 v47, v189, v129 :: v_dual_fma_f32 v35, v176, v116, -v35
	v_dual_fmac_f32 v9, v177, v116 :: v_dual_mul_f32 v49, v191, v131
	v_dual_mul_f32 v39, v181, v121 :: v_dual_mul_f32 v41, v183, v123
	v_dual_fmac_f32 v11, v179, v118 :: v_dual_fma_f32 v37, v178, v118, -v37
	s_delay_alu instid0(VALU_DEP_3) | instskip(SKIP_4) | instid1(VALU_DEP_3)
	v_dual_add_f32 v9, 0, v9 :: v_dual_add_f32 v35, 0, v35
	v_dual_mul_f32 v15, v182, v123 :: v_dual_mul_f32 v17, v184, v125
	s_wait_loadcnt_dscnt 0x803
	v_dual_mul_f32 v51, v193, v133 :: v_dual_fma_f32 v39, v180, v120, -v39
	v_fmac_f32_e32 v13, v181, v120
	v_dual_add_f32 v9, v9, v11 :: v_dual_fmac_f32 v15, v183, v122
	v_add_f32_e32 v11, v35, v37
	v_dual_mul_f32 v43, v185, v125 :: v_dual_mul_f32 v45, v187, v127
	v_dual_mul_f32 v35, v195, v135 :: v_dual_fma_f32 v37, v182, v122, -v41
	s_delay_alu instid0(VALU_DEP_3) | instskip(SKIP_3) | instid1(VALU_DEP_3)
	v_dual_add_f32 v9, v9, v13 :: v_dual_add_f32 v11, v11, v39
	v_dual_mul_f32 v19, v186, v127 :: v_dual_mul_f32 v21, v188, v129
	s_wait_loadcnt_dscnt 0x701
	v_dual_mul_f32 v13, v201, v137 :: v_dual_fma_f32 v39, v184, v124, -v43
	v_dual_fmac_f32 v17, v185, v124 :: v_dual_add_f32 v11, v11, v37
	s_delay_alu instid0(VALU_DEP_3) | instskip(SKIP_1) | instid1(VALU_DEP_2)
	v_dual_add_f32 v9, v9, v15 :: v_dual_fmac_f32 v19, v187, v126
	v_dual_mul_f32 v15, v203, v139 :: v_dual_fma_f32 v37, v186, v126, -v45
	v_dual_add_f32 v11, v11, v39 :: v_dual_add_f32 v9, v9, v17
	v_dual_mul_f32 v23, v190, v131 :: v_dual_mul_f32 v25, v192, v133
	s_wait_loadcnt 0x6
	v_dual_mul_f32 v17, v197, v141 :: v_dual_fma_f32 v39, v188, v128, -v47
	s_delay_alu instid0(VALU_DEP_3) | instskip(NEXT) | instid1(VALU_DEP_3)
	v_dual_fmac_f32 v21, v189, v128 :: v_dual_add_f32 v11, v11, v37
	v_dual_add_f32 v9, v9, v19 :: v_dual_fmac_f32 v23, v191, v130
	v_dual_mul_f32 v19, v199, v143 :: v_dual_fma_f32 v37, v190, v130, -v49
	s_delay_alu instid0(VALU_DEP_2) | instskip(SKIP_3) | instid1(VALU_DEP_3)
	v_dual_add_f32 v11, v11, v39 :: v_dual_add_f32 v9, v9, v21
	v_dual_mul_f32 v27, v194, v135 :: v_dual_mul_f32 v29, v200, v137
	s_wait_loadcnt 0x5
	v_dual_mul_f32 v21, v161, v145 :: v_dual_fma_f32 v39, v192, v132, -v51
	v_dual_fmac_f32 v25, v193, v132 :: v_dual_add_f32 v11, v11, v37
	v_dual_add_f32 v9, v9, v23 :: v_dual_mov_b32 v116, v147
	v_fmac_f32_e32 v27, v195, v134
	s_delay_alu instid0(VALU_DEP_3) | instskip(NEXT) | instid1(VALU_DEP_3)
	v_dual_fma_f32 v23, v194, v134, -v35 :: v_dual_add_f32 v11, v11, v39
	v_dual_add_f32 v9, v9, v25 :: v_dual_mul_f32 v31, v202, v139
	v_dual_mul_f32 v33, v196, v141 :: v_dual_fmac_f32 v29, v201, v136
	s_delay_alu instid0(VALU_DEP_3) | instskip(SKIP_1) | instid1(VALU_DEP_3)
	v_dual_add_f32 v11, v11, v23 :: v_dual_fma_f32 v13, v200, v136, -v13
	s_wait_loadcnt 0x4
	v_dual_add_f32 v9, v9, v27 :: v_dual_mov_b32 v120, v151
	v_fma_f32 v15, v202, v138, -v15
	v_fmac_f32_e32 v31, v203, v138
	v_dual_add_f32 v11, v11, v13 :: v_dual_fmac_f32 v33, v197, v140
	s_delay_alu instid0(VALU_DEP_4) | instskip(SKIP_1) | instid1(VALU_DEP_3)
	v_dual_add_f32 v9, v9, v29 :: v_dual_mul_f32 v219, v198, v143
	v_mul_f32_e32 v221, v160, v145
	v_dual_fma_f32 v13, v196, v140, -v17 :: v_dual_add_f32 v11, v11, v15
	s_delay_alu instid0(VALU_DEP_3) | instskip(NEXT) | instid1(VALU_DEP_4)
	v_dual_fma_f32 v218, v198, v142, -v19 :: v_dual_add_f32 v9, v9, v31
	v_fmac_f32_e32 v219, v199, v142
	v_pk_mul_f32 v[116:117], v[210:211], v[116:117] op_sel_hi:[1,0]
	s_delay_alu instid0(VALU_DEP_4) | instskip(NEXT) | instid1(VALU_DEP_4)
	v_dual_add_f32 v124, v11, v13 :: v_dual_fmac_f32 v221, v161, v144
	v_add_f32_e32 v125, v9, v33
	v_pk_mul_f32 v[118:119], v[164:165], v[148:149] op_sel:[1,1] op_sel_hi:[0,1]
	s_wait_loadcnt 0x3
	v_dual_mov_b32 v126, v155 :: v_dual_fma_f32 v220, v160, v144, -v21
	v_pk_fma_f32 v[128:129], v[162:163], v[146:147], v[116:117] op_sel_hi:[1,0,1]
	v_pk_add_f32 v[124:125], v[124:125], v[218:219]
	v_pk_fma_f32 v[116:117], v[162:163], v[146:147], v[116:117] neg_lo:[0,0,1] neg_hi:[0,0,1]
	v_pk_fma_f32 v[130:131], v[164:165], v[148:149], v[118:119] op_sel_hi:[1,0,1]
	v_pk_mul_f32 v[120:121], v[212:213], v[120:121] op_sel_hi:[1,0]
	v_mov_b32_e32 v117, v129
	v_pk_add_f32 v[124:125], v[124:125], v[220:221]
	v_pk_fma_f32 v[118:119], v[164:165], v[148:149], v[118:119] neg_lo:[0,0,1] neg_hi:[0,0,1]
	v_pk_mul_f32 v[122:123], v[168:169], v[152:153] op_sel:[1,1] op_sel_hi:[0,1]
	v_mov_b32_e32 v119, v131
	v_pk_fma_f32 v[130:131], v[166:167], v[150:151], v[120:121] op_sel_hi:[1,0,1]
	v_pk_add_f32 v[116:117], v[124:125], v[116:117]
	v_pk_fma_f32 v[120:121], v[166:167], v[150:151], v[120:121] neg_lo:[0,0,1] neg_hi:[0,0,1]
	v_pk_fma_f32 v[124:125], v[168:169], v[152:153], v[122:123] op_sel_hi:[1,0,1]
	v_pk_mul_f32 v[126:127], v[214:215], v[126:127] op_sel_hi:[1,0]
	v_mov_b32_e32 v121, v131
	v_pk_add_f32 v[116:117], v[116:117], v[118:119]
	v_pk_fma_f32 v[122:123], v[168:169], v[152:153], v[122:123] neg_lo:[0,0,1] neg_hi:[0,0,1]
	s_wait_loadcnt 0x2
	v_pk_mul_f32 v[128:129], v[172:173], v[156:157] op_sel:[1,1] op_sel_hi:[0,1]
	v_dual_mov_b32 v118, v159 :: v_dual_mov_b32 v123, v125
	v_pk_fma_f32 v[124:125], v[170:171], v[154:155], v[126:127] op_sel_hi:[1,0,1]
	v_pk_add_f32 v[116:117], v[116:117], v[120:121]
	v_pk_fma_f32 v[126:127], v[170:171], v[154:155], v[126:127] neg_lo:[0,0,1] neg_hi:[0,0,1]
	v_pk_fma_f32 v[120:121], v[172:173], v[156:157], v[128:129] op_sel_hi:[1,0,1]
	v_pk_mul_f32 v[118:119], v[216:217], v[118:119] op_sel_hi:[1,0]
	v_mov_b32_e32 v127, v125
	v_pk_add_f32 v[116:117], v[116:117], v[122:123]
	v_pk_fma_f32 v[122:123], v[172:173], v[156:157], v[128:129] neg_lo:[0,0,1] neg_hi:[0,0,1]
	v_mov_b32_e32 v123, v121
	v_pk_fma_f32 v[120:121], v[174:175], v[158:159], v[118:119] op_sel_hi:[1,0,1]
	s_wait_loadcnt_dscnt 0x100
	v_pk_mul_f32 v[124:125], v[208:209], v[204:205] op_sel:[1,1] op_sel_hi:[0,1]
	v_pk_add_f32 v[116:117], v[116:117], v[126:127]
	v_pk_fma_f32 v[118:119], v[174:175], v[158:159], v[118:119] neg_lo:[0,0,1] neg_hi:[0,0,1]
	v_mov_b32_e32 v119, v121
	s_delay_alu instid0(VALU_DEP_4) | instskip(NEXT) | instid1(VALU_DEP_4)
	v_pk_fma_f32 v[120:121], v[208:209], v[204:205], v[124:125] op_sel_hi:[1,0,1]
	v_pk_add_f32 v[116:117], v[116:117], v[122:123]
	v_pk_fma_f32 v[122:123], v[208:209], v[204:205], v[124:125] neg_lo:[0,0,1] neg_hi:[0,0,1]
	s_delay_alu instid0(VALU_DEP_3) | instskip(NEXT) | instid1(VALU_DEP_3)
	v_mov_b32_e32 v123, v121
	v_pk_add_f32 v[116:117], v[116:117], v[118:119]
	s_delay_alu instid0(VALU_DEP_1) | instskip(SKIP_1) | instid1(VALU_DEP_1)
	v_pk_add_f32 v[116:117], v[116:117], v[122:123]
	s_wait_loadcnt 0x0
	v_pk_add_f32 v[116:117], v[206:207], v[116:117] neg_lo:[0,1] neg_hi:[0,1]
	scratch_store_b64 off, v[116:117], off offset:264
	s_wait_xcnt 0x0
	v_cmpx_lt_u32_e32 32, v0
	s_cbranch_execz .LBB56_291
; %bb.290:
	scratch_load_b64 v[116:117], off, off offset:256
	v_mov_b64_e32 v[118:119], 0
	scratch_store_b64 off, v[118:119], off offset:256
	s_wait_loadcnt 0x0
	ds_store_b64 v1, v[116:117]
.LBB56_291:
	s_wait_xcnt 0x0
	s_or_b32 exec_lo, exec_lo, s0
	s_wait_storecnt_dscnt 0x0
	s_barrier_signal -1
	s_barrier_wait -1
	s_clause 0xc
	scratch_load_b128 v[116:119], off, off offset:264
	scratch_load_b128 v[120:123], off, off offset:280
	scratch_load_b128 v[124:127], off, off offset:296
	scratch_load_b128 v[128:131], off, off offset:312
	scratch_load_b128 v[132:135], off, off offset:328
	scratch_load_b128 v[136:139], off, off offset:344
	scratch_load_b128 v[140:143], off, off offset:360
	scratch_load_b128 v[144:147], off, off offset:376
	scratch_load_b128 v[148:151], off, off offset:392
	scratch_load_b128 v[152:155], off, off offset:408
	scratch_load_b128 v[156:159], off, off offset:424
	scratch_load_b128 v[160:163], off, off offset:440
	scratch_load_b64 v[212:213], off, off offset:256
	ds_load_2addr_b64 v[164:167], v7 offset0:107 offset1:108
	ds_load_2addr_b64 v[168:171], v7 offset0:109 offset1:110
	;; [unrolled: 1-line block ×12, first 2 shown]
	s_mov_b32 s0, exec_lo
	s_wait_dscnt 0xb
	v_dual_mov_b32 v214, v167 :: v_dual_mov_b32 v215, v166
	s_wait_dscnt 0xa
	v_dual_mov_b32 v216, v171 :: v_dual_mov_b32 v217, v170
	;; [unrolled: 2-line block ×4, first 2 shown]
	s_wait_loadcnt_dscnt 0xc07
	v_dual_mul_f32 v7, v180, v117 :: v_dual_mul_f32 v9, v182, v119
	v_dual_mul_f32 v35, v181, v117 :: v_dual_mul_f32 v37, v183, v119
	s_wait_loadcnt_dscnt 0xb06
	v_dual_mul_f32 v11, v184, v121 :: v_dual_mul_f32 v13, v186, v123
	s_delay_alu instid0(VALU_DEP_3) | instskip(SKIP_3) | instid1(VALU_DEP_3)
	v_dual_fmac_f32 v7, v181, v116 :: v_dual_fmac_f32 v9, v183, v118
	s_wait_loadcnt_dscnt 0x904
	v_dual_fma_f32 v35, v180, v116, -v35 :: v_dual_mul_f32 v47, v193, v129
	v_dual_mul_f32 v39, v185, v121 :: v_dual_mul_f32 v41, v187, v123
	v_dual_fma_f32 v37, v182, v118, -v37 :: v_dual_add_f32 v7, 0, v7
	s_delay_alu instid0(VALU_DEP_3) | instskip(SKIP_1) | instid1(VALU_DEP_4)
	v_dual_add_f32 v35, 0, v35 :: v_dual_fmac_f32 v11, v185, v120
	v_dual_mul_f32 v15, v188, v125 :: v_dual_mul_f32 v17, v190, v127
	v_dual_mul_f32 v49, v195, v131 :: v_dual_fma_f32 v39, v184, v120, -v39
	s_delay_alu instid0(VALU_DEP_4) | instskip(NEXT) | instid1(VALU_DEP_3)
	v_add_f32_e32 v7, v7, v9
	v_dual_add_f32 v9, v35, v37 :: v_dual_fmac_f32 v15, v189, v124
	v_dual_mul_f32 v43, v189, v125 :: v_dual_mul_f32 v45, v191, v127
	s_wait_loadcnt_dscnt 0x803
	v_dual_mul_f32 v35, v197, v133 :: v_dual_fmac_f32 v13, v187, v122
	v_dual_fma_f32 v37, v186, v122, -v41 :: v_dual_add_f32 v7, v7, v11
	s_delay_alu instid0(VALU_DEP_3) | instskip(SKIP_1) | instid1(VALU_DEP_3)
	v_dual_add_f32 v9, v9, v39 :: v_dual_fma_f32 v39, v188, v124, -v43
	v_dual_mul_f32 v19, v192, v129 :: v_dual_mul_f32 v21, v194, v131
	v_add_f32_e32 v7, v7, v13
	s_delay_alu instid0(VALU_DEP_3) | instskip(SKIP_2) | instid1(VALU_DEP_3)
	v_dual_mul_f32 v11, v199, v135 :: v_dual_add_f32 v9, v9, v37
	s_wait_loadcnt_dscnt 0x702
	v_dual_mul_f32 v13, v201, v137 :: v_dual_fmac_f32 v17, v191, v126
	v_dual_fma_f32 v37, v190, v126, -v45 :: v_dual_add_f32 v7, v7, v15
	s_delay_alu instid0(VALU_DEP_3) | instskip(SKIP_1) | instid1(VALU_DEP_3)
	v_dual_add_f32 v9, v9, v39 :: v_dual_fma_f32 v39, v192, v128, -v47
	v_dual_mul_f32 v15, v203, v139 :: v_dual_fmac_f32 v19, v193, v128
	v_add_f32_e32 v7, v7, v17
	s_delay_alu instid0(VALU_DEP_3)
	v_dual_add_f32 v9, v9, v37 :: v_dual_fmac_f32 v21, v195, v130
	v_dual_mul_f32 v23, v196, v133 :: v_dual_mul_f32 v25, v198, v135
	s_wait_loadcnt_dscnt 0x601
	v_dual_fma_f32 v37, v194, v130, -v49 :: v_dual_mul_f32 v17, v205, v141
	v_add_f32_e32 v7, v7, v19
	v_dual_add_f32 v9, v9, v39 :: v_dual_fma_f32 v35, v196, v132, -v35
	v_dual_mul_f32 v19, v207, v143 :: v_dual_fmac_f32 v23, v197, v132
	s_delay_alu instid0(VALU_DEP_3) | instskip(NEXT) | instid1(VALU_DEP_3)
	v_dual_add_f32 v7, v7, v21 :: v_dual_fma_f32 v11, v198, v134, -v11
	v_dual_add_f32 v9, v9, v37 :: v_dual_fmac_f32 v25, v199, v134
	v_dual_mul_f32 v27, v200, v137 :: v_dual_mul_f32 v29, v202, v139
	s_wait_loadcnt_dscnt 0x500
	s_delay_alu instid0(VALU_DEP_3) | instskip(NEXT) | instid1(VALU_DEP_3)
	v_dual_mul_f32 v21, v209, v145 :: v_dual_add_f32 v7, v7, v23
	v_dual_add_f32 v9, v9, v35 :: v_dual_fma_f32 v13, v200, v136, -v13
	s_delay_alu instid0(VALU_DEP_3) | instskip(NEXT) | instid1(VALU_DEP_2)
	v_dual_mul_f32 v23, v211, v147 :: v_dual_fmac_f32 v27, v201, v136
	v_dual_add_f32 v7, v7, v25 :: v_dual_add_f32 v9, v9, v11
	v_dual_mul_f32 v31, v204, v141 :: v_dual_mul_f32 v33, v206, v143
	v_dual_fmac_f32 v29, v203, v138 :: v_dual_fma_f32 v11, v202, v138, -v15
	s_delay_alu instid0(VALU_DEP_3) | instskip(SKIP_1) | instid1(VALU_DEP_3)
	v_dual_add_f32 v7, v7, v27 :: v_dual_add_f32 v9, v9, v13
	s_wait_loadcnt 0x4
	v_dual_mov_b32 v118, v151 :: v_dual_fmac_f32 v31, v205, v140
	s_delay_alu instid0(VALU_DEP_2) | instskip(NEXT) | instid1(VALU_DEP_3)
	v_dual_fma_f32 v13, v204, v140, -v17 :: v_dual_add_f32 v7, v7, v29
	v_dual_add_f32 v9, v9, v11 :: v_dual_fmac_f32 v33, v207, v142
	v_dual_mul_f32 v223, v208, v145 :: v_dual_mul_f32 v225, v210, v147
	s_delay_alu instid0(VALU_DEP_3) | instskip(SKIP_1) | instid1(VALU_DEP_3)
	v_dual_fma_f32 v11, v206, v142, -v19 :: v_dual_add_f32 v7, v7, v31
	s_wait_loadcnt 0x3
	v_dual_add_f32 v9, v9, v13 :: v_dual_mov_b32 v122, v155
	v_pk_mul_f32 v[116:117], v[164:165], v[148:149] op_sel:[1,1] op_sel_hi:[0,1]
	v_dual_fmac_f32 v223, v209, v144 :: v_dual_fma_f32 v222, v208, v144, -v21
	s_delay_alu instid0(VALU_DEP_3) | instskip(SKIP_1) | instid1(VALU_DEP_4)
	v_dual_add_f32 v125, v7, v33 :: v_dual_add_f32 v124, v9, v11
	v_dual_fmac_f32 v225, v211, v146 :: v_dual_fma_f32 v224, v210, v146, -v23
	v_pk_fma_f32 v[126:127], v[164:165], v[148:149], v[116:117] op_sel_hi:[1,0,1]
	v_pk_mul_f32 v[118:119], v[214:215], v[118:119] op_sel_hi:[1,0]
	s_delay_alu instid0(VALU_DEP_4)
	v_pk_add_f32 v[124:125], v[124:125], v[222:223]
	v_pk_fma_f32 v[116:117], v[164:165], v[148:149], v[116:117] neg_lo:[0,0,1] neg_hi:[0,0,1]
	v_pk_mul_f32 v[120:121], v[168:169], v[152:153] op_sel:[1,1] op_sel_hi:[0,1]
	v_mov_b32_e32 v117, v127
	v_pk_fma_f32 v[126:127], v[166:167], v[150:151], v[118:119] op_sel_hi:[1,0,1]
	v_pk_add_f32 v[124:125], v[124:125], v[224:225]
	v_pk_fma_f32 v[118:119], v[166:167], v[150:151], v[118:119] neg_lo:[0,0,1] neg_hi:[0,0,1]
	v_pk_fma_f32 v[130:131], v[168:169], v[152:153], v[120:121] op_sel_hi:[1,0,1]
	v_pk_mul_f32 v[122:123], v[216:217], v[122:123] op_sel_hi:[1,0]
	v_mov_b32_e32 v119, v127
	v_pk_add_f32 v[116:117], v[124:125], v[116:117]
	s_wait_loadcnt 0x2
	v_pk_mul_f32 v[128:129], v[172:173], v[156:157] op_sel:[1,1] op_sel_hi:[0,1]
	v_mov_b32_e32 v124, v159
	v_pk_fma_f32 v[120:121], v[168:169], v[152:153], v[120:121] neg_lo:[0,0,1] neg_hi:[0,0,1]
	v_mov_b32_e32 v121, v131
	v_pk_fma_f32 v[126:127], v[170:171], v[154:155], v[122:123] op_sel_hi:[1,0,1]
	v_pk_add_f32 v[116:117], v[116:117], v[118:119]
	v_pk_fma_f32 v[118:119], v[172:173], v[156:157], v[128:129] op_sel_hi:[1,0,1]
	v_pk_mul_f32 v[124:125], v[218:219], v[124:125] op_sel_hi:[1,0]
	v_pk_fma_f32 v[122:123], v[170:171], v[154:155], v[122:123] neg_lo:[0,0,1] neg_hi:[0,0,1]
	v_mov_b32_e32 v123, v127
	v_pk_add_f32 v[116:117], v[116:117], v[120:121]
	v_pk_fma_f32 v[126:127], v[172:173], v[156:157], v[128:129] neg_lo:[0,0,1] neg_hi:[0,0,1]
	v_mov_b32_e32 v127, v119
	v_pk_fma_f32 v[118:119], v[174:175], v[158:159], v[124:125] op_sel_hi:[1,0,1]
	s_wait_loadcnt 0x1
	v_pk_mul_f32 v[120:121], v[176:177], v[160:161] op_sel:[1,1] op_sel_hi:[0,1]
	v_pk_add_f32 v[116:117], v[116:117], v[122:123]
	v_mov_b32_e32 v118, v163
	v_pk_fma_f32 v[124:125], v[174:175], v[158:159], v[124:125] neg_lo:[0,0,1] neg_hi:[0,0,1]
	v_mov_b32_e32 v125, v119
	v_pk_fma_f32 v[122:123], v[176:177], v[160:161], v[120:121] op_sel_hi:[1,0,1]
	v_pk_add_f32 v[116:117], v[116:117], v[126:127]
	v_pk_mul_f32 v[118:119], v[220:221], v[118:119] op_sel_hi:[1,0]
	v_pk_fma_f32 v[120:121], v[176:177], v[160:161], v[120:121] neg_lo:[0,0,1] neg_hi:[0,0,1]
	s_delay_alu instid0(VALU_DEP_4) | instskip(NEXT) | instid1(VALU_DEP_4)
	v_mov_b32_e32 v121, v123
	v_pk_add_f32 v[116:117], v[116:117], v[124:125]
	s_delay_alu instid0(VALU_DEP_4) | instskip(SKIP_1) | instid1(VALU_DEP_2)
	v_pk_fma_f32 v[122:123], v[178:179], v[162:163], v[118:119] op_sel_hi:[1,0,1]
	v_pk_fma_f32 v[118:119], v[178:179], v[162:163], v[118:119] neg_lo:[0,0,1] neg_hi:[0,0,1]
	v_mov_b32_e32 v119, v123
	s_delay_alu instid0(VALU_DEP_4) | instskip(NEXT) | instid1(VALU_DEP_1)
	v_pk_add_f32 v[116:117], v[116:117], v[120:121]
	v_pk_add_f32 v[116:117], v[116:117], v[118:119]
	s_wait_loadcnt 0x0
	s_delay_alu instid0(VALU_DEP_1)
	v_pk_add_f32 v[116:117], v[212:213], v[116:117] neg_lo:[0,1] neg_hi:[0,1]
	scratch_store_b64 off, v[116:117], off offset:256
	s_wait_xcnt 0x0
	v_cmpx_lt_u32_e32 31, v0
	s_cbranch_execz .LBB56_293
; %bb.292:
	scratch_load_b64 v[116:117], off, off offset:248
	v_mov_b64_e32 v[118:119], 0
	scratch_store_b64 off, v[118:119], off offset:248
	s_wait_loadcnt 0x0
	ds_store_b64 v1, v[116:117]
.LBB56_293:
	s_wait_xcnt 0x0
	s_or_b32 exec_lo, exec_lo, s0
	s_wait_storecnt_dscnt 0x0
	s_barrier_signal -1
	s_barrier_wait -1
	s_clause 0xd
	scratch_load_b128 v[116:119], off, off offset:256
	scratch_load_b128 v[120:123], off, off offset:272
	;; [unrolled: 1-line block ×12, first 2 shown]
	scratch_load_b64 v[212:213], off, off offset:448
	scratch_load_b64 v[214:215], off, off offset:248
	v_mov_b32_e32 v7, 0
	ds_load_b128 v[164:167], v7 offset:848
	ds_load_b128 v[168:171], v7 offset:864
	;; [unrolled: 1-line block ×12, first 2 shown]
	ds_load_b64 v[216:217], v7 offset:912
	s_mov_b32 s0, exec_lo
	s_wait_dscnt 0xc
	v_dual_mov_b32 v218, v167 :: v_dual_mov_b32 v219, v166
	s_wait_dscnt 0x9
	v_dual_mov_b32 v220, v171 :: v_dual_mov_b32 v225, v178
	v_dual_mov_b32 v221, v170 :: v_dual_mov_b32 v222, v175
	;; [unrolled: 1-line block ×3, first 2 shown]
	s_wait_loadcnt_dscnt 0xd08
	v_dual_mul_f32 v9, v180, v117 :: v_dual_mul_f32 v39, v181, v117
	v_dual_mul_f32 v41, v183, v119 :: v_dual_mul_f32 v11, v182, v119
	s_wait_loadcnt_dscnt 0xc07
	v_mul_f32_e32 v13, v184, v121
	s_wait_loadcnt_dscnt 0xa05
	v_dual_mul_f32 v51, v193, v129 :: v_dual_fma_f32 v39, v180, v116, -v39
	v_dual_fmac_f32 v9, v181, v116 :: v_dual_mul_f32 v53, v195, v131
	v_dual_mul_f32 v43, v185, v121 :: v_dual_mul_f32 v45, v187, v123
	v_dual_fmac_f32 v11, v183, v118 :: v_dual_fma_f32 v41, v182, v118, -v41
	s_delay_alu instid0(VALU_DEP_3) | instskip(SKIP_4) | instid1(VALU_DEP_3)
	v_dual_add_f32 v9, 0, v9 :: v_dual_add_f32 v39, 0, v39
	v_dual_mul_f32 v15, v186, v123 :: v_dual_mul_f32 v17, v188, v125
	s_wait_loadcnt_dscnt 0x904
	v_dual_mul_f32 v55, v197, v133 :: v_dual_fma_f32 v43, v184, v120, -v43
	v_fmac_f32_e32 v13, v185, v120
	v_dual_add_f32 v9, v9, v11 :: v_dual_fmac_f32 v15, v187, v122
	v_add_f32_e32 v11, v39, v41
	v_dual_mul_f32 v47, v189, v125 :: v_dual_mul_f32 v49, v191, v127
	v_dual_mul_f32 v39, v199, v135 :: v_dual_fma_f32 v41, v186, v122, -v45
	s_delay_alu instid0(VALU_DEP_3) | instskip(SKIP_3) | instid1(VALU_DEP_3)
	v_dual_add_f32 v9, v9, v13 :: v_dual_add_f32 v11, v11, v43
	v_dual_mul_f32 v19, v190, v127 :: v_dual_mul_f32 v21, v192, v129
	s_wait_loadcnt_dscnt 0x803
	v_dual_mul_f32 v13, v201, v137 :: v_dual_fma_f32 v43, v188, v124, -v47
	v_dual_fmac_f32 v17, v189, v124 :: v_dual_add_f32 v11, v11, v41
	s_delay_alu instid0(VALU_DEP_3) | instskip(SKIP_1) | instid1(VALU_DEP_2)
	v_dual_add_f32 v9, v9, v15 :: v_dual_fmac_f32 v19, v191, v126
	v_dual_mul_f32 v15, v203, v139 :: v_dual_fma_f32 v41, v190, v126, -v49
	v_dual_add_f32 v11, v11, v43 :: v_dual_add_f32 v9, v9, v17
	v_dual_mul_f32 v23, v194, v131 :: v_dual_mul_f32 v25, v196, v133
	s_wait_loadcnt_dscnt 0x702
	v_dual_mul_f32 v17, v205, v141 :: v_dual_fma_f32 v43, v192, v128, -v51
	s_delay_alu instid0(VALU_DEP_3) | instskip(NEXT) | instid1(VALU_DEP_3)
	v_dual_fmac_f32 v21, v193, v128 :: v_dual_add_f32 v11, v11, v41
	v_dual_add_f32 v9, v9, v19 :: v_dual_fmac_f32 v23, v195, v130
	v_dual_mul_f32 v19, v207, v143 :: v_dual_fma_f32 v41, v194, v130, -v53
	s_delay_alu instid0(VALU_DEP_2) | instskip(SKIP_3) | instid1(VALU_DEP_3)
	v_dual_add_f32 v11, v11, v43 :: v_dual_add_f32 v9, v9, v21
	v_dual_mul_f32 v27, v198, v135 :: v_dual_mul_f32 v29, v200, v137
	s_wait_loadcnt_dscnt 0x601
	v_dual_mul_f32 v21, v209, v145 :: v_dual_fma_f32 v43, v196, v132, -v55
	v_dual_fmac_f32 v25, v197, v132 :: v_dual_add_f32 v11, v11, v41
	s_delay_alu instid0(VALU_DEP_3) | instskip(SKIP_1) | instid1(VALU_DEP_2)
	v_dual_add_f32 v9, v9, v23 :: v_dual_fmac_f32 v27, v199, v134
	v_dual_mul_f32 v23, v211, v147 :: v_dual_fma_f32 v39, v198, v134, -v39
	v_dual_add_f32 v11, v11, v43 :: v_dual_add_f32 v9, v9, v25
	v_dual_mul_f32 v31, v202, v139 :: v_dual_mul_f32 v33, v204, v141
	s_wait_loadcnt 0x5
	v_dual_mul_f32 v25, v165, v149 :: v_dual_fma_f32 v13, v200, v136, -v13
	s_delay_alu instid0(VALU_DEP_3) | instskip(SKIP_2) | instid1(VALU_DEP_3)
	v_dual_fmac_f32 v29, v201, v136 :: v_dual_add_f32 v11, v11, v39
	v_dual_add_f32 v9, v9, v27 :: v_dual_mov_b32 v116, v151
	v_fmac_f32_e32 v31, v203, v138
	v_dual_fma_f32 v15, v202, v138, -v15 :: v_dual_add_f32 v11, v11, v13
	s_delay_alu instid0(VALU_DEP_3) | instskip(SKIP_1) | instid1(VALU_DEP_3)
	v_dual_add_f32 v9, v9, v29 :: v_dual_mul_f32 v35, v206, v143
	v_dual_mul_f32 v37, v208, v145 :: v_dual_fmac_f32 v33, v205, v140
	v_dual_add_f32 v11, v11, v15 :: v_dual_fma_f32 v13, v204, v140, -v17
	s_wait_loadcnt 0x4
	s_delay_alu instid0(VALU_DEP_3) | instskip(SKIP_3) | instid1(VALU_DEP_4)
	v_dual_add_f32 v9, v9, v31 :: v_dual_mov_b32 v120, v155
	v_fma_f32 v15, v206, v142, -v19
	v_fmac_f32_e32 v35, v207, v142
	v_dual_add_f32 v11, v11, v13 :: v_dual_fmac_f32 v37, v209, v144
	v_dual_add_f32 v9, v9, v33 :: v_dual_mul_f32 v227, v210, v147
	v_mul_f32_e32 v229, v164, v149
	s_delay_alu instid0(VALU_DEP_3) | instskip(NEXT) | instid1(VALU_DEP_3)
	v_dual_fma_f32 v13, v208, v144, -v21 :: v_dual_add_f32 v11, v11, v15
	v_dual_fma_f32 v226, v210, v146, -v23 :: v_dual_add_f32 v9, v9, v35
	s_delay_alu instid0(VALU_DEP_4) | instskip(SKIP_1) | instid1(VALU_DEP_4)
	v_fmac_f32_e32 v227, v211, v146
	v_pk_mul_f32 v[116:117], v[218:219], v[116:117] op_sel_hi:[1,0]
	v_dual_add_f32 v124, v11, v13 :: v_dual_fmac_f32 v229, v165, v148
	s_delay_alu instid0(VALU_DEP_4)
	v_add_f32_e32 v125, v9, v37
	v_pk_mul_f32 v[118:119], v[168:169], v[152:153] op_sel:[1,1] op_sel_hi:[0,1]
	s_wait_loadcnt 0x3
	v_dual_mov_b32 v126, v159 :: v_dual_fma_f32 v228, v164, v148, -v25
	v_pk_fma_f32 v[128:129], v[166:167], v[150:151], v[116:117] op_sel_hi:[1,0,1]
	v_pk_add_f32 v[124:125], v[124:125], v[226:227]
	v_pk_fma_f32 v[116:117], v[166:167], v[150:151], v[116:117] neg_lo:[0,0,1] neg_hi:[0,0,1]
	v_pk_fma_f32 v[130:131], v[168:169], v[152:153], v[118:119] op_sel_hi:[1,0,1]
	v_pk_mul_f32 v[120:121], v[220:221], v[120:121] op_sel_hi:[1,0]
	v_mov_b32_e32 v117, v129
	v_pk_add_f32 v[124:125], v[124:125], v[228:229]
	v_pk_fma_f32 v[118:119], v[168:169], v[152:153], v[118:119] neg_lo:[0,0,1] neg_hi:[0,0,1]
	v_pk_mul_f32 v[122:123], v[172:173], v[156:157] op_sel:[1,1] op_sel_hi:[0,1]
	v_mov_b32_e32 v119, v131
	v_pk_fma_f32 v[130:131], v[170:171], v[154:155], v[120:121] op_sel_hi:[1,0,1]
	v_pk_add_f32 v[116:117], v[124:125], v[116:117]
	v_pk_fma_f32 v[120:121], v[170:171], v[154:155], v[120:121] neg_lo:[0,0,1] neg_hi:[0,0,1]
	v_pk_fma_f32 v[124:125], v[172:173], v[156:157], v[122:123] op_sel_hi:[1,0,1]
	v_pk_mul_f32 v[126:127], v[222:223], v[126:127] op_sel_hi:[1,0]
	v_mov_b32_e32 v121, v131
	v_pk_add_f32 v[116:117], v[116:117], v[118:119]
	v_pk_fma_f32 v[122:123], v[172:173], v[156:157], v[122:123] neg_lo:[0,0,1] neg_hi:[0,0,1]
	s_wait_loadcnt 0x2
	v_pk_mul_f32 v[128:129], v[176:177], v[160:161] op_sel:[1,1] op_sel_hi:[0,1]
	v_dual_mov_b32 v118, v163 :: v_dual_mov_b32 v123, v125
	v_pk_fma_f32 v[124:125], v[174:175], v[158:159], v[126:127] op_sel_hi:[1,0,1]
	v_pk_add_f32 v[116:117], v[116:117], v[120:121]
	v_pk_fma_f32 v[126:127], v[174:175], v[158:159], v[126:127] neg_lo:[0,0,1] neg_hi:[0,0,1]
	v_pk_fma_f32 v[120:121], v[176:177], v[160:161], v[128:129] op_sel_hi:[1,0,1]
	v_pk_mul_f32 v[118:119], v[224:225], v[118:119] op_sel_hi:[1,0]
	v_mov_b32_e32 v127, v125
	v_pk_add_f32 v[116:117], v[116:117], v[122:123]
	v_pk_fma_f32 v[122:123], v[176:177], v[160:161], v[128:129] neg_lo:[0,0,1] neg_hi:[0,0,1]
	v_mov_b32_e32 v123, v121
	v_pk_fma_f32 v[120:121], v[178:179], v[162:163], v[118:119] op_sel_hi:[1,0,1]
	s_wait_loadcnt_dscnt 0x100
	v_pk_mul_f32 v[124:125], v[216:217], v[212:213] op_sel:[1,1] op_sel_hi:[0,1]
	v_pk_add_f32 v[116:117], v[116:117], v[126:127]
	v_pk_fma_f32 v[118:119], v[178:179], v[162:163], v[118:119] neg_lo:[0,0,1] neg_hi:[0,0,1]
	v_mov_b32_e32 v119, v121
	s_delay_alu instid0(VALU_DEP_4) | instskip(NEXT) | instid1(VALU_DEP_4)
	v_pk_fma_f32 v[120:121], v[216:217], v[212:213], v[124:125] op_sel_hi:[1,0,1]
	v_pk_add_f32 v[116:117], v[116:117], v[122:123]
	v_pk_fma_f32 v[122:123], v[216:217], v[212:213], v[124:125] neg_lo:[0,0,1] neg_hi:[0,0,1]
	s_delay_alu instid0(VALU_DEP_3) | instskip(NEXT) | instid1(VALU_DEP_3)
	v_mov_b32_e32 v123, v121
	v_pk_add_f32 v[116:117], v[116:117], v[118:119]
	s_delay_alu instid0(VALU_DEP_1) | instskip(SKIP_1) | instid1(VALU_DEP_1)
	v_pk_add_f32 v[116:117], v[116:117], v[122:123]
	s_wait_loadcnt 0x0
	v_pk_add_f32 v[116:117], v[214:215], v[116:117] neg_lo:[0,1] neg_hi:[0,1]
	scratch_store_b64 off, v[116:117], off offset:248
	s_wait_xcnt 0x0
	v_cmpx_lt_u32_e32 30, v0
	s_cbranch_execz .LBB56_295
; %bb.294:
	scratch_load_b64 v[116:117], off, off offset:240
	v_mov_b64_e32 v[118:119], 0
	scratch_store_b64 off, v[118:119], off offset:240
	s_wait_loadcnt 0x0
	ds_store_b64 v1, v[116:117]
.LBB56_295:
	s_wait_xcnt 0x0
	s_or_b32 exec_lo, exec_lo, s0
	s_wait_storecnt_dscnt 0x0
	s_barrier_signal -1
	s_barrier_wait -1
	s_clause 0xd
	scratch_load_b128 v[116:119], off, off offset:248
	scratch_load_b128 v[120:123], off, off offset:264
	;; [unrolled: 1-line block ×13, first 2 shown]
	scratch_load_b64 v[220:221], off, off offset:240
	ds_load_2addr_b64 v[168:171], v7 offset0:107 offset1:108
	ds_load_2addr_b64 v[172:175], v7 offset0:109 offset1:110
	;; [unrolled: 1-line block ×13, first 2 shown]
	s_mov_b32 s0, exec_lo
	s_wait_dscnt 0xc
	v_dual_mov_b32 v222, v171 :: v_dual_mov_b32 v223, v170
	s_wait_dscnt 0xb
	v_dual_mov_b32 v224, v175 :: v_dual_mov_b32 v225, v174
	;; [unrolled: 2-line block ×4, first 2 shown]
	s_wait_loadcnt_dscnt 0xd08
	v_dual_mul_f32 v7, v184, v117 :: v_dual_mul_f32 v9, v186, v119
	v_dual_mul_f32 v39, v185, v117 :: v_dual_mul_f32 v41, v187, v119
	s_wait_loadcnt_dscnt 0xc07
	v_dual_mul_f32 v11, v188, v121 :: v_dual_mul_f32 v13, v190, v123
	s_delay_alu instid0(VALU_DEP_3) | instskip(SKIP_3) | instid1(VALU_DEP_3)
	v_dual_fmac_f32 v7, v185, v116 :: v_dual_fmac_f32 v9, v187, v118
	s_wait_loadcnt_dscnt 0xa05
	v_dual_fma_f32 v39, v184, v116, -v39 :: v_dual_mul_f32 v51, v197, v129
	v_dual_mul_f32 v43, v189, v121 :: v_dual_mul_f32 v45, v191, v123
	v_dual_fma_f32 v41, v186, v118, -v41 :: v_dual_add_f32 v7, 0, v7
	s_delay_alu instid0(VALU_DEP_3) | instskip(SKIP_1) | instid1(VALU_DEP_4)
	v_dual_add_f32 v39, 0, v39 :: v_dual_fmac_f32 v11, v189, v120
	v_dual_mul_f32 v15, v192, v125 :: v_dual_mul_f32 v17, v194, v127
	v_dual_mul_f32 v53, v199, v131 :: v_dual_fma_f32 v43, v188, v120, -v43
	s_delay_alu instid0(VALU_DEP_4) | instskip(NEXT) | instid1(VALU_DEP_3)
	v_add_f32_e32 v7, v7, v9
	v_dual_add_f32 v9, v39, v41 :: v_dual_fmac_f32 v15, v193, v124
	v_dual_mul_f32 v47, v193, v125 :: v_dual_mul_f32 v49, v195, v127
	s_wait_loadcnt_dscnt 0x903
	v_dual_mul_f32 v39, v205, v133 :: v_dual_fmac_f32 v13, v191, v122
	v_dual_fma_f32 v41, v190, v122, -v45 :: v_dual_add_f32 v7, v7, v11
	s_delay_alu instid0(VALU_DEP_3) | instskip(SKIP_1) | instid1(VALU_DEP_3)
	v_dual_add_f32 v9, v9, v43 :: v_dual_fma_f32 v43, v192, v124, -v47
	v_dual_mul_f32 v19, v196, v129 :: v_dual_mul_f32 v21, v198, v131
	v_add_f32_e32 v7, v7, v13
	s_delay_alu instid0(VALU_DEP_3) | instskip(SKIP_2) | instid1(VALU_DEP_3)
	v_dual_mul_f32 v11, v207, v135 :: v_dual_add_f32 v9, v9, v41
	s_wait_loadcnt_dscnt 0x802
	v_dual_mul_f32 v13, v209, v137 :: v_dual_fmac_f32 v17, v195, v126
	v_dual_fma_f32 v41, v194, v126, -v49 :: v_dual_add_f32 v7, v7, v15
	s_delay_alu instid0(VALU_DEP_3) | instskip(SKIP_1) | instid1(VALU_DEP_3)
	v_dual_add_f32 v9, v9, v43 :: v_dual_fma_f32 v43, v196, v128, -v51
	v_dual_mul_f32 v15, v211, v139 :: v_dual_fmac_f32 v19, v197, v128
	v_add_f32_e32 v7, v7, v17
	s_delay_alu instid0(VALU_DEP_3)
	v_dual_add_f32 v9, v9, v41 :: v_dual_fmac_f32 v21, v199, v130
	v_dual_mul_f32 v23, v204, v133 :: v_dual_mul_f32 v25, v206, v135
	s_wait_loadcnt_dscnt 0x701
	v_dual_fma_f32 v41, v198, v130, -v53 :: v_dual_mul_f32 v17, v213, v141
	v_add_f32_e32 v7, v7, v19
	v_dual_add_f32 v9, v9, v43 :: v_dual_fma_f32 v39, v204, v132, -v39
	v_dual_mul_f32 v19, v215, v143 :: v_dual_fmac_f32 v23, v205, v132
	s_delay_alu instid0(VALU_DEP_3) | instskip(NEXT) | instid1(VALU_DEP_3)
	v_dual_add_f32 v7, v7, v21 :: v_dual_fma_f32 v11, v206, v134, -v11
	v_dual_add_f32 v9, v9, v41 :: v_dual_fmac_f32 v25, v207, v134
	v_dual_mul_f32 v27, v208, v137 :: v_dual_mul_f32 v29, v210, v139
	s_wait_loadcnt_dscnt 0x600
	s_delay_alu instid0(VALU_DEP_3) | instskip(NEXT) | instid1(VALU_DEP_3)
	v_dual_mul_f32 v21, v217, v145 :: v_dual_add_f32 v7, v7, v23
	v_dual_add_f32 v9, v9, v39 :: v_dual_fma_f32 v13, v208, v136, -v13
	s_delay_alu instid0(VALU_DEP_3) | instskip(NEXT) | instid1(VALU_DEP_2)
	v_dual_mul_f32 v23, v219, v147 :: v_dual_fmac_f32 v27, v209, v136
	v_dual_add_f32 v7, v7, v25 :: v_dual_add_f32 v9, v9, v11
	v_dual_mul_f32 v31, v212, v141 :: v_dual_mul_f32 v33, v214, v143
	s_wait_loadcnt 0x5
	v_dual_mul_f32 v11, v201, v149 :: v_dual_fmac_f32 v29, v211, v138
	s_delay_alu instid0(VALU_DEP_3) | instskip(SKIP_2) | instid1(VALU_DEP_2)
	v_dual_fma_f32 v15, v210, v138, -v15 :: v_dual_add_f32 v7, v7, v27
	v_dual_add_f32 v9, v9, v13 :: v_dual_mul_f32 v13, v203, v151
	v_dual_fmac_f32 v31, v213, v140 :: v_dual_fma_f32 v17, v212, v140, -v17
	v_dual_add_f32 v7, v7, v29 :: v_dual_add_f32 v9, v9, v15
	v_dual_mul_f32 v35, v216, v145 :: v_dual_mul_f32 v37, v218, v147
	v_dual_fmac_f32 v33, v215, v142 :: v_dual_fma_f32 v15, v214, v142, -v19
	s_delay_alu instid0(VALU_DEP_3) | instskip(SKIP_1) | instid1(VALU_DEP_3)
	v_dual_add_f32 v7, v7, v31 :: v_dual_add_f32 v9, v9, v17
	s_wait_loadcnt 0x4
	v_dual_mov_b32 v118, v155 :: v_dual_fmac_f32 v35, v217, v144
	s_delay_alu instid0(VALU_DEP_2) | instskip(NEXT) | instid1(VALU_DEP_3)
	v_dual_fma_f32 v17, v216, v144, -v21 :: v_dual_add_f32 v7, v7, v33
	v_dual_add_f32 v9, v9, v15 :: v_dual_fmac_f32 v37, v219, v146
	v_dual_mul_f32 v231, v200, v149 :: v_dual_mul_f32 v233, v202, v151
	s_delay_alu instid0(VALU_DEP_3) | instskip(SKIP_1) | instid1(VALU_DEP_3)
	v_dual_fma_f32 v15, v218, v146, -v23 :: v_dual_add_f32 v7, v7, v35
	s_wait_loadcnt 0x3
	v_dual_add_f32 v9, v9, v17 :: v_dual_mov_b32 v122, v159
	v_pk_mul_f32 v[116:117], v[168:169], v[152:153] op_sel:[1,1] op_sel_hi:[0,1]
	s_delay_alu instid0(VALU_DEP_3) | instskip(NEXT) | instid1(VALU_DEP_3)
	v_dual_fmac_f32 v231, v201, v148 :: v_dual_add_f32 v125, v7, v37
	v_dual_fma_f32 v230, v200, v148, -v11 :: v_dual_add_f32 v124, v9, v15
	v_fmac_f32_e32 v233, v203, v150
	s_delay_alu instid0(VALU_DEP_4)
	v_pk_fma_f32 v[126:127], v[168:169], v[152:153], v[116:117] op_sel_hi:[1,0,1]
	v_fma_f32 v232, v202, v150, -v13
	v_pk_mul_f32 v[118:119], v[222:223], v[118:119] op_sel_hi:[1,0]
	v_pk_add_f32 v[124:125], v[124:125], v[230:231]
	v_pk_fma_f32 v[116:117], v[168:169], v[152:153], v[116:117] neg_lo:[0,0,1] neg_hi:[0,0,1]
	v_pk_mul_f32 v[120:121], v[172:173], v[156:157] op_sel:[1,1] op_sel_hi:[0,1]
	v_mov_b32_e32 v117, v127
	v_pk_fma_f32 v[126:127], v[170:171], v[154:155], v[118:119] op_sel_hi:[1,0,1]
	v_pk_add_f32 v[124:125], v[124:125], v[232:233]
	v_pk_fma_f32 v[118:119], v[170:171], v[154:155], v[118:119] neg_lo:[0,0,1] neg_hi:[0,0,1]
	v_pk_fma_f32 v[130:131], v[172:173], v[156:157], v[120:121] op_sel_hi:[1,0,1]
	v_pk_mul_f32 v[122:123], v[224:225], v[122:123] op_sel_hi:[1,0]
	v_mov_b32_e32 v119, v127
	v_pk_add_f32 v[116:117], v[124:125], v[116:117]
	s_wait_loadcnt 0x2
	v_pk_mul_f32 v[128:129], v[176:177], v[160:161] op_sel:[1,1] op_sel_hi:[0,1]
	v_mov_b32_e32 v124, v163
	v_pk_fma_f32 v[120:121], v[172:173], v[156:157], v[120:121] neg_lo:[0,0,1] neg_hi:[0,0,1]
	v_pk_fma_f32 v[126:127], v[174:175], v[158:159], v[122:123] op_sel_hi:[1,0,1]
	v_mov_b32_e32 v121, v131
	v_pk_add_f32 v[116:117], v[116:117], v[118:119]
	v_pk_fma_f32 v[118:119], v[176:177], v[160:161], v[128:129] op_sel_hi:[1,0,1]
	v_pk_mul_f32 v[124:125], v[226:227], v[124:125] op_sel_hi:[1,0]
	v_pk_fma_f32 v[122:123], v[174:175], v[158:159], v[122:123] neg_lo:[0,0,1] neg_hi:[0,0,1]
	v_mov_b32_e32 v123, v127
	v_pk_add_f32 v[116:117], v[116:117], v[120:121]
	v_pk_fma_f32 v[126:127], v[176:177], v[160:161], v[128:129] neg_lo:[0,0,1] neg_hi:[0,0,1]
	v_mov_b32_e32 v127, v119
	v_pk_fma_f32 v[118:119], v[178:179], v[162:163], v[124:125] op_sel_hi:[1,0,1]
	s_wait_loadcnt 0x1
	v_pk_mul_f32 v[120:121], v[180:181], v[164:165] op_sel:[1,1] op_sel_hi:[0,1]
	v_pk_add_f32 v[116:117], v[116:117], v[122:123]
	v_mov_b32_e32 v118, v167
	v_pk_fma_f32 v[124:125], v[178:179], v[162:163], v[124:125] neg_lo:[0,0,1] neg_hi:[0,0,1]
	s_delay_alu instid0(VALU_DEP_4)
	v_pk_fma_f32 v[122:123], v[180:181], v[164:165], v[120:121] op_sel_hi:[1,0,1]
	v_mov_b32_e32 v125, v119
	v_pk_add_f32 v[116:117], v[116:117], v[126:127]
	v_pk_mul_f32 v[118:119], v[228:229], v[118:119] op_sel_hi:[1,0]
	v_pk_fma_f32 v[120:121], v[180:181], v[164:165], v[120:121] neg_lo:[0,0,1] neg_hi:[0,0,1]
	v_mov_b32_e32 v121, v123
	s_delay_alu instid0(VALU_DEP_4) | instskip(NEXT) | instid1(VALU_DEP_4)
	v_pk_add_f32 v[116:117], v[116:117], v[124:125]
	v_pk_fma_f32 v[122:123], v[182:183], v[166:167], v[118:119] op_sel_hi:[1,0,1]
	v_pk_fma_f32 v[118:119], v[182:183], v[166:167], v[118:119] neg_lo:[0,0,1] neg_hi:[0,0,1]
	s_delay_alu instid0(VALU_DEP_3) | instskip(NEXT) | instid1(VALU_DEP_3)
	v_pk_add_f32 v[116:117], v[116:117], v[120:121]
	v_mov_b32_e32 v119, v123
	s_delay_alu instid0(VALU_DEP_1) | instskip(SKIP_1) | instid1(VALU_DEP_1)
	v_pk_add_f32 v[116:117], v[116:117], v[118:119]
	s_wait_loadcnt 0x0
	v_pk_add_f32 v[116:117], v[220:221], v[116:117] neg_lo:[0,1] neg_hi:[0,1]
	scratch_store_b64 off, v[116:117], off offset:240
	s_wait_xcnt 0x0
	v_cmpx_lt_u32_e32 29, v0
	s_cbranch_execz .LBB56_297
; %bb.296:
	scratch_load_b64 v[116:117], off, off offset:232
	v_mov_b64_e32 v[118:119], 0
	scratch_store_b64 off, v[118:119], off offset:232
	s_wait_loadcnt 0x0
	ds_store_b64 v1, v[116:117]
.LBB56_297:
	s_wait_xcnt 0x0
	s_or_b32 exec_lo, exec_lo, s0
	s_wait_storecnt_dscnt 0x0
	s_barrier_signal -1
	s_barrier_wait -1
	s_clause 0xe
	scratch_load_b128 v[116:119], off, off offset:240
	scratch_load_b128 v[120:123], off, off offset:256
	;; [unrolled: 1-line block ×13, first 2 shown]
	scratch_load_b64 v[220:221], off, off offset:448
	scratch_load_b64 v[222:223], off, off offset:232
	v_mov_b32_e32 v7, 0
	ds_load_b128 v[168:171], v7 offset:848
	ds_load_b128 v[172:175], v7 offset:864
	;; [unrolled: 1-line block ×13, first 2 shown]
	ds_load_b64 v[224:225], v7 offset:912
	s_mov_b32 s0, exec_lo
	s_wait_dscnt 0xd
	v_dual_mov_b32 v226, v171 :: v_dual_mov_b32 v227, v170
	s_wait_dscnt 0xa
	v_dual_mov_b32 v228, v175 :: v_dual_mov_b32 v233, v182
	v_dual_mov_b32 v229, v174 :: v_dual_mov_b32 v230, v179
	;; [unrolled: 1-line block ×3, first 2 shown]
	s_wait_loadcnt_dscnt 0xe09
	v_dual_mul_f32 v9, v184, v117 :: v_dual_mul_f32 v43, v185, v117
	v_dual_mul_f32 v45, v187, v119 :: v_dual_mul_f32 v11, v186, v119
	s_wait_loadcnt_dscnt 0xd08
	v_mul_f32_e32 v13, v188, v121
	s_wait_loadcnt_dscnt 0xb05
	v_dual_mul_f32 v55, v201, v129 :: v_dual_fma_f32 v43, v184, v116, -v43
	v_dual_fmac_f32 v9, v185, v116 :: v_dual_mul_f32 v57, v203, v131
	v_dual_mul_f32 v47, v189, v121 :: v_dual_mul_f32 v49, v191, v123
	v_dual_fmac_f32 v11, v187, v118 :: v_dual_fma_f32 v45, v186, v118, -v45
	s_delay_alu instid0(VALU_DEP_3) | instskip(SKIP_4) | instid1(VALU_DEP_3)
	v_dual_add_f32 v9, 0, v9 :: v_dual_add_f32 v43, 0, v43
	v_dual_mul_f32 v15, v190, v123 :: v_dual_mul_f32 v17, v192, v125
	s_wait_loadcnt_dscnt 0xa04
	v_dual_mul_f32 v59, v205, v133 :: v_dual_fma_f32 v47, v188, v120, -v47
	v_fmac_f32_e32 v13, v189, v120
	v_dual_add_f32 v9, v9, v11 :: v_dual_fmac_f32 v15, v191, v122
	v_add_f32_e32 v11, v43, v45
	v_dual_mul_f32 v51, v193, v125 :: v_dual_mul_f32 v53, v195, v127
	v_dual_mul_f32 v43, v207, v135 :: v_dual_fma_f32 v45, v190, v122, -v49
	s_delay_alu instid0(VALU_DEP_3) | instskip(SKIP_3) | instid1(VALU_DEP_3)
	v_dual_add_f32 v9, v9, v13 :: v_dual_add_f32 v11, v11, v47
	v_dual_mul_f32 v19, v194, v127 :: v_dual_mul_f32 v21, v200, v129
	s_wait_loadcnt_dscnt 0x903
	v_dual_mul_f32 v13, v209, v137 :: v_dual_fma_f32 v47, v192, v124, -v51
	v_dual_fmac_f32 v17, v193, v124 :: v_dual_add_f32 v11, v11, v45
	s_delay_alu instid0(VALU_DEP_3) | instskip(SKIP_1) | instid1(VALU_DEP_2)
	v_dual_add_f32 v9, v9, v15 :: v_dual_fmac_f32 v19, v195, v126
	v_dual_mul_f32 v15, v211, v139 :: v_dual_fma_f32 v45, v194, v126, -v53
	v_dual_add_f32 v11, v11, v47 :: v_dual_add_f32 v9, v9, v17
	v_dual_mul_f32 v23, v202, v131 :: v_dual_mul_f32 v25, v204, v133
	s_wait_loadcnt_dscnt 0x802
	v_dual_mul_f32 v17, v213, v141 :: v_dual_fma_f32 v47, v200, v128, -v55
	s_delay_alu instid0(VALU_DEP_3) | instskip(NEXT) | instid1(VALU_DEP_3)
	v_dual_fmac_f32 v21, v201, v128 :: v_dual_add_f32 v11, v11, v45
	v_dual_add_f32 v9, v9, v19 :: v_dual_fmac_f32 v23, v203, v130
	v_dual_mul_f32 v19, v215, v143 :: v_dual_fma_f32 v45, v202, v130, -v57
	s_delay_alu instid0(VALU_DEP_2) | instskip(SKIP_3) | instid1(VALU_DEP_3)
	v_dual_add_f32 v11, v11, v47 :: v_dual_add_f32 v9, v9, v21
	v_dual_mul_f32 v27, v206, v135 :: v_dual_mul_f32 v29, v208, v137
	s_wait_loadcnt_dscnt 0x701
	v_dual_mul_f32 v21, v217, v145 :: v_dual_fma_f32 v47, v204, v132, -v59
	v_dual_fmac_f32 v25, v205, v132 :: v_dual_add_f32 v11, v11, v45
	s_delay_alu instid0(VALU_DEP_3) | instskip(SKIP_1) | instid1(VALU_DEP_2)
	v_dual_add_f32 v9, v9, v23 :: v_dual_fmac_f32 v27, v207, v134
	v_dual_mul_f32 v23, v219, v147 :: v_dual_fma_f32 v43, v206, v134, -v43
	v_dual_add_f32 v11, v11, v47 :: v_dual_add_f32 v9, v9, v25
	v_dual_mul_f32 v31, v210, v139 :: v_dual_mul_f32 v33, v212, v141
	s_wait_loadcnt 0x6
	v_dual_mul_f32 v25, v197, v149 :: v_dual_fma_f32 v13, v208, v136, -v13
	s_delay_alu instid0(VALU_DEP_3) | instskip(NEXT) | instid1(VALU_DEP_3)
	v_dual_fmac_f32 v29, v209, v136 :: v_dual_add_f32 v11, v11, v43
	v_dual_add_f32 v9, v9, v27 :: v_dual_fmac_f32 v31, v211, v138
	v_dual_mul_f32 v27, v199, v151 :: v_dual_fma_f32 v15, v210, v138, -v15
	s_delay_alu instid0(VALU_DEP_3) | instskip(NEXT) | instid1(VALU_DEP_3)
	v_dual_add_f32 v11, v11, v13 :: v_dual_fmac_f32 v33, v213, v140
	v_dual_add_f32 v9, v9, v29 :: v_dual_fma_f32 v17, v212, v140, -v17
	v_dual_mul_f32 v35, v214, v143 :: v_dual_mul_f32 v37, v216, v145
	s_wait_loadcnt 0x5
	s_delay_alu instid0(VALU_DEP_3) | instskip(NEXT) | instid1(VALU_DEP_3)
	v_dual_mul_f32 v13, v169, v153 :: v_dual_add_f32 v11, v11, v15
	v_dual_add_f32 v9, v9, v31 :: v_dual_mov_b32 v116, v155
	s_delay_alu instid0(VALU_DEP_3) | instskip(NEXT) | instid1(VALU_DEP_3)
	v_fmac_f32_e32 v35, v215, v142
	v_dual_fma_f32 v15, v214, v142, -v19 :: v_dual_add_f32 v11, v11, v17
	s_delay_alu instid0(VALU_DEP_3) | instskip(SKIP_1) | instid1(VALU_DEP_3)
	v_dual_add_f32 v9, v9, v33 :: v_dual_mul_f32 v39, v218, v147
	v_dual_mul_f32 v41, v196, v149 :: v_dual_fmac_f32 v37, v217, v144
	v_dual_add_f32 v11, v11, v15 :: v_dual_fma_f32 v17, v216, v144, -v21
	s_wait_loadcnt 0x4
	s_delay_alu instid0(VALU_DEP_3) | instskip(SKIP_3) | instid1(VALU_DEP_4)
	v_dual_add_f32 v9, v9, v35 :: v_dual_mov_b32 v120, v159
	v_fma_f32 v15, v218, v146, -v23
	v_fmac_f32_e32 v39, v219, v146
	v_dual_add_f32 v11, v11, v17 :: v_dual_fmac_f32 v41, v197, v148
	v_dual_add_f32 v9, v9, v37 :: v_dual_mul_f32 v235, v198, v151
	v_mul_f32_e32 v237, v168, v153
	s_delay_alu instid0(VALU_DEP_3) | instskip(NEXT) | instid1(VALU_DEP_3)
	v_dual_fma_f32 v17, v196, v148, -v25 :: v_dual_add_f32 v11, v11, v15
	v_dual_fma_f32 v234, v198, v150, -v27 :: v_dual_add_f32 v9, v9, v39
	s_delay_alu instid0(VALU_DEP_4) | instskip(SKIP_1) | instid1(VALU_DEP_4)
	v_fmac_f32_e32 v235, v199, v150
	v_pk_mul_f32 v[116:117], v[226:227], v[116:117] op_sel_hi:[1,0]
	v_dual_add_f32 v124, v11, v17 :: v_dual_fmac_f32 v237, v169, v152
	s_delay_alu instid0(VALU_DEP_4)
	v_add_f32_e32 v125, v9, v41
	v_pk_mul_f32 v[118:119], v[172:173], v[156:157] op_sel:[1,1] op_sel_hi:[0,1]
	s_wait_loadcnt 0x3
	v_dual_mov_b32 v126, v163 :: v_dual_fma_f32 v236, v168, v152, -v13
	v_pk_fma_f32 v[128:129], v[170:171], v[154:155], v[116:117] op_sel_hi:[1,0,1]
	v_pk_add_f32 v[124:125], v[124:125], v[234:235]
	v_pk_fma_f32 v[116:117], v[170:171], v[154:155], v[116:117] neg_lo:[0,0,1] neg_hi:[0,0,1]
	v_pk_fma_f32 v[130:131], v[172:173], v[156:157], v[118:119] op_sel_hi:[1,0,1]
	v_pk_mul_f32 v[120:121], v[228:229], v[120:121] op_sel_hi:[1,0]
	v_mov_b32_e32 v117, v129
	v_pk_add_f32 v[124:125], v[124:125], v[236:237]
	v_pk_fma_f32 v[118:119], v[172:173], v[156:157], v[118:119] neg_lo:[0,0,1] neg_hi:[0,0,1]
	v_pk_mul_f32 v[122:123], v[176:177], v[160:161] op_sel:[1,1] op_sel_hi:[0,1]
	v_mov_b32_e32 v119, v131
	v_pk_fma_f32 v[130:131], v[174:175], v[158:159], v[120:121] op_sel_hi:[1,0,1]
	v_pk_add_f32 v[116:117], v[124:125], v[116:117]
	v_pk_fma_f32 v[120:121], v[174:175], v[158:159], v[120:121] neg_lo:[0,0,1] neg_hi:[0,0,1]
	v_pk_fma_f32 v[124:125], v[176:177], v[160:161], v[122:123] op_sel_hi:[1,0,1]
	v_pk_mul_f32 v[126:127], v[230:231], v[126:127] op_sel_hi:[1,0]
	v_mov_b32_e32 v121, v131
	v_pk_add_f32 v[116:117], v[116:117], v[118:119]
	v_pk_fma_f32 v[122:123], v[176:177], v[160:161], v[122:123] neg_lo:[0,0,1] neg_hi:[0,0,1]
	s_wait_loadcnt 0x2
	v_pk_mul_f32 v[128:129], v[180:181], v[164:165] op_sel:[1,1] op_sel_hi:[0,1]
	v_dual_mov_b32 v118, v167 :: v_dual_mov_b32 v123, v125
	v_pk_fma_f32 v[124:125], v[178:179], v[162:163], v[126:127] op_sel_hi:[1,0,1]
	v_pk_add_f32 v[116:117], v[116:117], v[120:121]
	v_pk_fma_f32 v[126:127], v[178:179], v[162:163], v[126:127] neg_lo:[0,0,1] neg_hi:[0,0,1]
	v_pk_fma_f32 v[120:121], v[180:181], v[164:165], v[128:129] op_sel_hi:[1,0,1]
	v_pk_mul_f32 v[118:119], v[232:233], v[118:119] op_sel_hi:[1,0]
	v_mov_b32_e32 v127, v125
	v_pk_add_f32 v[116:117], v[116:117], v[122:123]
	v_pk_fma_f32 v[122:123], v[180:181], v[164:165], v[128:129] neg_lo:[0,0,1] neg_hi:[0,0,1]
	v_mov_b32_e32 v123, v121
	v_pk_fma_f32 v[120:121], v[182:183], v[166:167], v[118:119] op_sel_hi:[1,0,1]
	s_wait_loadcnt_dscnt 0x100
	v_pk_mul_f32 v[124:125], v[224:225], v[220:221] op_sel:[1,1] op_sel_hi:[0,1]
	v_pk_add_f32 v[116:117], v[116:117], v[126:127]
	v_pk_fma_f32 v[118:119], v[182:183], v[166:167], v[118:119] neg_lo:[0,0,1] neg_hi:[0,0,1]
	v_mov_b32_e32 v119, v121
	s_delay_alu instid0(VALU_DEP_4) | instskip(NEXT) | instid1(VALU_DEP_4)
	v_pk_fma_f32 v[120:121], v[224:225], v[220:221], v[124:125] op_sel_hi:[1,0,1]
	v_pk_add_f32 v[116:117], v[116:117], v[122:123]
	v_pk_fma_f32 v[122:123], v[224:225], v[220:221], v[124:125] neg_lo:[0,0,1] neg_hi:[0,0,1]
	s_delay_alu instid0(VALU_DEP_3) | instskip(NEXT) | instid1(VALU_DEP_3)
	v_mov_b32_e32 v123, v121
	v_pk_add_f32 v[116:117], v[116:117], v[118:119]
	s_delay_alu instid0(VALU_DEP_1) | instskip(SKIP_1) | instid1(VALU_DEP_1)
	v_pk_add_f32 v[116:117], v[116:117], v[122:123]
	s_wait_loadcnt 0x0
	v_pk_add_f32 v[116:117], v[222:223], v[116:117] neg_lo:[0,1] neg_hi:[0,1]
	scratch_store_b64 off, v[116:117], off offset:232
	s_wait_xcnt 0x0
	v_cmpx_lt_u32_e32 28, v0
	s_cbranch_execz .LBB56_299
; %bb.298:
	scratch_load_b64 v[116:117], off, off offset:224
	v_mov_b64_e32 v[118:119], 0
	scratch_store_b64 off, v[118:119], off offset:224
	s_wait_loadcnt 0x0
	ds_store_b64 v1, v[116:117]
.LBB56_299:
	s_wait_xcnt 0x0
	s_or_b32 exec_lo, exec_lo, s0
	s_wait_storecnt_dscnt 0x0
	s_barrier_signal -1
	s_barrier_wait -1
	s_clause 0xe
	scratch_load_b128 v[116:119], off, off offset:232
	scratch_load_b128 v[120:123], off, off offset:248
	;; [unrolled: 1-line block ×14, first 2 shown]
	scratch_load_b64 v[228:229], off, off offset:224
	ds_load_2addr_b64 v[172:175], v7 offset0:107 offset1:108
	ds_load_2addr_b64 v[176:179], v7 offset0:109 offset1:110
	ds_load_2addr_b64 v[180:183], v7 offset0:111 offset1:112
	ds_load_2addr_b64 v[184:187], v7 offset0:113 offset1:114
	ds_load_2addr_b64 v[188:191], v7 offset0:87 offset1:88
	ds_load_2addr_b64 v[192:195], v7 offset0:89 offset1:90
	ds_load_2addr_b64 v[196:199], v7 offset0:91 offset1:92
	ds_load_2addr_b64 v[200:203], v7 offset0:93 offset1:94
	ds_load_2addr_b64 v[204:207], v7 offset0:95 offset1:96
	ds_load_2addr_b64 v[208:211], v7 offset0:97 offset1:98
	ds_load_2addr_b64 v[212:215], v7 offset0:99 offset1:100
	ds_load_2addr_b64 v[216:219], v7 offset0:101 offset1:102
	ds_load_2addr_b64 v[220:223], v7 offset0:103 offset1:104
	ds_load_2addr_b64 v[224:227], v7 offset0:105 offset1:106
	s_mov_b32 s0, exec_lo
	s_wait_dscnt 0xd
	v_dual_mov_b32 v230, v175 :: v_dual_mov_b32 v231, v174
	s_wait_dscnt 0xc
	v_dual_mov_b32 v232, v179 :: v_dual_mov_b32 v233, v178
	s_wait_dscnt 0xb
	v_dual_mov_b32 v234, v183 :: v_dual_mov_b32 v235, v182
	s_wait_dscnt 0xa
	v_dual_mov_b32 v236, v187 :: v_dual_mov_b32 v237, v186
	s_wait_loadcnt_dscnt 0xe09
	v_dual_mul_f32 v7, v188, v117 :: v_dual_mul_f32 v9, v190, v119
	v_dual_mul_f32 v43, v189, v117 :: v_dual_mul_f32 v45, v191, v119
	s_wait_loadcnt_dscnt 0xd08
	v_dual_mul_f32 v11, v192, v121 :: v_dual_mul_f32 v13, v194, v123
	s_delay_alu instid0(VALU_DEP_3) | instskip(SKIP_3) | instid1(VALU_DEP_3)
	v_dual_fmac_f32 v7, v189, v116 :: v_dual_fmac_f32 v9, v191, v118
	s_wait_loadcnt_dscnt 0xb06
	v_dual_fma_f32 v43, v188, v116, -v43 :: v_dual_mul_f32 v55, v201, v129
	v_dual_mul_f32 v47, v193, v121 :: v_dual_mul_f32 v49, v195, v123
	v_dual_fma_f32 v45, v190, v118, -v45 :: v_dual_add_f32 v7, 0, v7
	s_delay_alu instid0(VALU_DEP_3) | instskip(SKIP_1) | instid1(VALU_DEP_4)
	v_dual_add_f32 v43, 0, v43 :: v_dual_fmac_f32 v11, v193, v120
	v_dual_mul_f32 v15, v196, v125 :: v_dual_mul_f32 v17, v198, v127
	v_dual_mul_f32 v57, v203, v131 :: v_dual_fma_f32 v47, v192, v120, -v47
	s_delay_alu instid0(VALU_DEP_4) | instskip(NEXT) | instid1(VALU_DEP_3)
	v_add_f32_e32 v7, v7, v9
	v_dual_add_f32 v9, v43, v45 :: v_dual_fmac_f32 v15, v197, v124
	v_dual_mul_f32 v51, v197, v125 :: v_dual_mul_f32 v53, v199, v127
	s_wait_loadcnt_dscnt 0xa05
	v_dual_mul_f32 v43, v205, v133 :: v_dual_fmac_f32 v13, v195, v122
	v_dual_fma_f32 v45, v194, v122, -v49 :: v_dual_add_f32 v7, v7, v11
	s_delay_alu instid0(VALU_DEP_3) | instskip(SKIP_1) | instid1(VALU_DEP_3)
	v_dual_add_f32 v9, v9, v47 :: v_dual_fma_f32 v47, v196, v124, -v51
	v_dual_mul_f32 v19, v200, v129 :: v_dual_mul_f32 v21, v202, v131
	v_add_f32_e32 v7, v7, v13
	s_delay_alu instid0(VALU_DEP_3) | instskip(SKIP_2) | instid1(VALU_DEP_3)
	v_dual_mul_f32 v11, v207, v135 :: v_dual_add_f32 v9, v9, v45
	s_wait_loadcnt_dscnt 0x904
	v_dual_mul_f32 v13, v209, v137 :: v_dual_fmac_f32 v17, v199, v126
	v_dual_fma_f32 v45, v198, v126, -v53 :: v_dual_add_f32 v7, v7, v15
	s_delay_alu instid0(VALU_DEP_3) | instskip(SKIP_1) | instid1(VALU_DEP_3)
	v_dual_add_f32 v9, v9, v47 :: v_dual_fma_f32 v47, v200, v128, -v55
	v_dual_mul_f32 v15, v211, v139 :: v_dual_fmac_f32 v19, v201, v128
	v_add_f32_e32 v7, v7, v17
	s_delay_alu instid0(VALU_DEP_3)
	v_dual_add_f32 v9, v9, v45 :: v_dual_fmac_f32 v21, v203, v130
	v_dual_mul_f32 v23, v204, v133 :: v_dual_mul_f32 v25, v206, v135
	s_wait_loadcnt_dscnt 0x803
	v_dual_fma_f32 v45, v202, v130, -v57 :: v_dual_mul_f32 v17, v213, v141
	v_add_f32_e32 v7, v7, v19
	v_dual_add_f32 v9, v9, v47 :: v_dual_fma_f32 v43, v204, v132, -v43
	v_dual_mul_f32 v19, v215, v143 :: v_dual_fmac_f32 v23, v205, v132
	s_delay_alu instid0(VALU_DEP_3) | instskip(NEXT) | instid1(VALU_DEP_3)
	v_dual_add_f32 v7, v7, v21 :: v_dual_fma_f32 v11, v206, v134, -v11
	v_dual_add_f32 v9, v9, v45 :: v_dual_fmac_f32 v25, v207, v134
	v_dual_mul_f32 v27, v208, v137 :: v_dual_mul_f32 v29, v210, v139
	s_wait_loadcnt_dscnt 0x702
	s_delay_alu instid0(VALU_DEP_3) | instskip(NEXT) | instid1(VALU_DEP_3)
	v_dual_mul_f32 v21, v217, v145 :: v_dual_add_f32 v7, v7, v23
	v_dual_add_f32 v9, v9, v43 :: v_dual_fma_f32 v13, v208, v136, -v13
	s_delay_alu instid0(VALU_DEP_3) | instskip(NEXT) | instid1(VALU_DEP_2)
	v_dual_mul_f32 v23, v219, v147 :: v_dual_fmac_f32 v27, v209, v136
	v_dual_add_f32 v7, v7, v25 :: v_dual_add_f32 v9, v9, v11
	v_dual_mul_f32 v31, v212, v141 :: v_dual_mul_f32 v33, v214, v143
	s_wait_loadcnt_dscnt 0x601
	v_dual_mul_f32 v11, v221, v149 :: v_dual_fmac_f32 v29, v211, v138
	s_delay_alu instid0(VALU_DEP_3) | instskip(SKIP_2) | instid1(VALU_DEP_2)
	v_dual_fma_f32 v15, v210, v138, -v15 :: v_dual_add_f32 v7, v7, v27
	v_dual_add_f32 v9, v9, v13 :: v_dual_mul_f32 v13, v223, v151
	v_dual_fmac_f32 v31, v213, v140 :: v_dual_fma_f32 v17, v212, v140, -v17
	v_dual_add_f32 v7, v7, v29 :: v_dual_add_f32 v9, v9, v15
	v_dual_mul_f32 v35, v216, v145 :: v_dual_mul_f32 v37, v218, v147
	s_wait_loadcnt_dscnt 0x500
	v_dual_mul_f32 v15, v225, v153 :: v_dual_fmac_f32 v33, v215, v142
	s_delay_alu instid0(VALU_DEP_3) | instskip(SKIP_2) | instid1(VALU_DEP_2)
	v_dual_fma_f32 v19, v214, v142, -v19 :: v_dual_add_f32 v7, v7, v31
	v_dual_add_f32 v9, v9, v17 :: v_dual_mul_f32 v17, v227, v155
	v_dual_fmac_f32 v35, v217, v144 :: v_dual_fma_f32 v21, v216, v144, -v21
	v_dual_add_f32 v7, v7, v33 :: v_dual_add_f32 v9, v9, v19
	v_dual_mul_f32 v39, v220, v149 :: v_dual_mul_f32 v41, v222, v151
	v_dual_fmac_f32 v37, v219, v146 :: v_dual_fma_f32 v19, v218, v146, -v23
	s_delay_alu instid0(VALU_DEP_3) | instskip(SKIP_1) | instid1(VALU_DEP_3)
	v_dual_add_f32 v7, v7, v35 :: v_dual_add_f32 v9, v9, v21
	s_wait_loadcnt 0x4
	v_dual_mov_b32 v118, v159 :: v_dual_fmac_f32 v39, v221, v148
	s_delay_alu instid0(VALU_DEP_2) | instskip(NEXT) | instid1(VALU_DEP_3)
	v_dual_fma_f32 v11, v220, v148, -v11 :: v_dual_add_f32 v7, v7, v37
	v_dual_add_f32 v9, v9, v19 :: v_dual_fmac_f32 v41, v223, v150
	v_dual_mul_f32 v239, v224, v153 :: v_dual_mul_f32 v241, v226, v155
	s_delay_alu instid0(VALU_DEP_3) | instskip(SKIP_1) | instid1(VALU_DEP_3)
	v_dual_fma_f32 v13, v222, v150, -v13 :: v_dual_add_f32 v7, v7, v39
	s_wait_loadcnt 0x3
	v_dual_add_f32 v9, v9, v11 :: v_dual_mov_b32 v122, v163
	v_pk_mul_f32 v[116:117], v[172:173], v[156:157] op_sel:[1,1] op_sel_hi:[0,1]
	s_delay_alu instid0(VALU_DEP_3) | instskip(NEXT) | instid1(VALU_DEP_3)
	v_dual_fmac_f32 v239, v225, v152 :: v_dual_add_f32 v125, v7, v41
	v_dual_fma_f32 v238, v224, v152, -v15 :: v_dual_add_f32 v124, v9, v13
	v_fmac_f32_e32 v241, v227, v154
	s_delay_alu instid0(VALU_DEP_4)
	v_pk_fma_f32 v[126:127], v[172:173], v[156:157], v[116:117] op_sel_hi:[1,0,1]
	v_fma_f32 v240, v226, v154, -v17
	v_pk_mul_f32 v[118:119], v[230:231], v[118:119] op_sel_hi:[1,0]
	v_pk_add_f32 v[124:125], v[124:125], v[238:239]
	v_pk_fma_f32 v[116:117], v[172:173], v[156:157], v[116:117] neg_lo:[0,0,1] neg_hi:[0,0,1]
	v_pk_mul_f32 v[120:121], v[176:177], v[160:161] op_sel:[1,1] op_sel_hi:[0,1]
	v_mov_b32_e32 v117, v127
	v_pk_fma_f32 v[126:127], v[174:175], v[158:159], v[118:119] op_sel_hi:[1,0,1]
	v_pk_add_f32 v[124:125], v[124:125], v[240:241]
	v_pk_fma_f32 v[118:119], v[174:175], v[158:159], v[118:119] neg_lo:[0,0,1] neg_hi:[0,0,1]
	v_pk_fma_f32 v[130:131], v[176:177], v[160:161], v[120:121] op_sel_hi:[1,0,1]
	v_pk_mul_f32 v[122:123], v[232:233], v[122:123] op_sel_hi:[1,0]
	v_mov_b32_e32 v119, v127
	v_pk_add_f32 v[116:117], v[124:125], v[116:117]
	s_wait_loadcnt 0x2
	v_pk_mul_f32 v[128:129], v[180:181], v[164:165] op_sel:[1,1] op_sel_hi:[0,1]
	v_mov_b32_e32 v124, v167
	v_pk_fma_f32 v[120:121], v[176:177], v[160:161], v[120:121] neg_lo:[0,0,1] neg_hi:[0,0,1]
	v_pk_fma_f32 v[126:127], v[178:179], v[162:163], v[122:123] op_sel_hi:[1,0,1]
	v_mov_b32_e32 v121, v131
	v_pk_add_f32 v[116:117], v[116:117], v[118:119]
	v_pk_fma_f32 v[118:119], v[180:181], v[164:165], v[128:129] op_sel_hi:[1,0,1]
	v_pk_mul_f32 v[124:125], v[234:235], v[124:125] op_sel_hi:[1,0]
	v_pk_fma_f32 v[122:123], v[178:179], v[162:163], v[122:123] neg_lo:[0,0,1] neg_hi:[0,0,1]
	v_mov_b32_e32 v123, v127
	v_pk_add_f32 v[116:117], v[116:117], v[120:121]
	v_pk_fma_f32 v[126:127], v[180:181], v[164:165], v[128:129] neg_lo:[0,0,1] neg_hi:[0,0,1]
	v_mov_b32_e32 v127, v119
	v_pk_fma_f32 v[118:119], v[182:183], v[166:167], v[124:125] op_sel_hi:[1,0,1]
	s_wait_loadcnt 0x1
	v_pk_mul_f32 v[120:121], v[184:185], v[168:169] op_sel:[1,1] op_sel_hi:[0,1]
	v_pk_add_f32 v[116:117], v[116:117], v[122:123]
	v_mov_b32_e32 v118, v171
	v_pk_fma_f32 v[124:125], v[182:183], v[166:167], v[124:125] neg_lo:[0,0,1] neg_hi:[0,0,1]
	s_delay_alu instid0(VALU_DEP_4)
	v_pk_fma_f32 v[122:123], v[184:185], v[168:169], v[120:121] op_sel_hi:[1,0,1]
	v_mov_b32_e32 v125, v119
	v_pk_add_f32 v[116:117], v[116:117], v[126:127]
	v_pk_mul_f32 v[118:119], v[236:237], v[118:119] op_sel_hi:[1,0]
	v_pk_fma_f32 v[120:121], v[184:185], v[168:169], v[120:121] neg_lo:[0,0,1] neg_hi:[0,0,1]
	v_mov_b32_e32 v121, v123
	s_delay_alu instid0(VALU_DEP_4) | instskip(NEXT) | instid1(VALU_DEP_4)
	v_pk_add_f32 v[116:117], v[116:117], v[124:125]
	v_pk_fma_f32 v[122:123], v[186:187], v[170:171], v[118:119] op_sel_hi:[1,0,1]
	v_pk_fma_f32 v[118:119], v[186:187], v[170:171], v[118:119] neg_lo:[0,0,1] neg_hi:[0,0,1]
	s_delay_alu instid0(VALU_DEP_3) | instskip(NEXT) | instid1(VALU_DEP_3)
	v_pk_add_f32 v[116:117], v[116:117], v[120:121]
	v_mov_b32_e32 v119, v123
	s_delay_alu instid0(VALU_DEP_1) | instskip(SKIP_1) | instid1(VALU_DEP_1)
	v_pk_add_f32 v[116:117], v[116:117], v[118:119]
	s_wait_loadcnt 0x0
	v_pk_add_f32 v[116:117], v[228:229], v[116:117] neg_lo:[0,1] neg_hi:[0,1]
	scratch_store_b64 off, v[116:117], off offset:224
	s_wait_xcnt 0x0
	v_cmpx_lt_u32_e32 27, v0
	s_cbranch_execz .LBB56_301
; %bb.300:
	scratch_load_b64 v[116:117], off, off offset:216
	v_mov_b64_e32 v[118:119], 0
	scratch_store_b64 off, v[118:119], off offset:216
	s_wait_loadcnt 0x0
	ds_store_b64 v1, v[116:117]
.LBB56_301:
	s_wait_xcnt 0x0
	s_or_b32 exec_lo, exec_lo, s0
	s_wait_storecnt_dscnt 0x0
	s_barrier_signal -1
	s_barrier_wait -1
	s_clause 0xf
	scratch_load_b128 v[116:119], off, off offset:224
	scratch_load_b128 v[120:123], off, off offset:240
	scratch_load_b128 v[124:127], off, off offset:256
	scratch_load_b128 v[128:131], off, off offset:272
	scratch_load_b128 v[132:135], off, off offset:288
	scratch_load_b128 v[136:139], off, off offset:304
	scratch_load_b128 v[140:143], off, off offset:320
	scratch_load_b128 v[144:147], off, off offset:336
	scratch_load_b128 v[148:151], off, off offset:352
	scratch_load_b128 v[152:155], off, off offset:368
	scratch_load_b128 v[156:159], off, off offset:384
	scratch_load_b128 v[160:163], off, off offset:400
	scratch_load_b128 v[164:167], off, off offset:416
	scratch_load_b128 v[168:171], off, off offset:432
	scratch_load_b64 v[228:229], off, off offset:448
	scratch_load_b64 v[230:231], off, off offset:216
	v_mov_b32_e32 v7, 0
	ds_load_b128 v[172:175], v7 offset:848
	ds_load_b128 v[176:179], v7 offset:864
	;; [unrolled: 1-line block ×14, first 2 shown]
	ds_load_b64 v[232:233], v7 offset:912
	s_mov_b32 s0, exec_lo
	s_wait_dscnt 0xe
	v_dual_mov_b32 v234, v175 :: v_dual_mov_b32 v235, v174
	s_wait_dscnt 0xb
	v_dual_mov_b32 v236, v179 :: v_dual_mov_b32 v241, v186
	v_dual_mov_b32 v237, v178 :: v_dual_mov_b32 v238, v183
	;; [unrolled: 1-line block ×3, first 2 shown]
	s_wait_loadcnt_dscnt 0xf0a
	v_dual_mul_f32 v9, v188, v117 :: v_dual_mul_f32 v47, v189, v117
	v_dual_mul_f32 v49, v191, v119 :: v_dual_mul_f32 v11, v190, v119
	s_wait_loadcnt_dscnt 0xe09
	v_mul_f32_e32 v13, v192, v121
	s_wait_loadcnt_dscnt 0xc07
	v_dual_mul_f32 v59, v201, v129 :: v_dual_fma_f32 v47, v188, v116, -v47
	v_dual_fmac_f32 v9, v189, v116 :: v_dual_mul_f32 v61, v203, v131
	v_dual_mul_f32 v51, v193, v121 :: v_dual_mul_f32 v53, v195, v123
	v_dual_fmac_f32 v11, v191, v118 :: v_dual_fma_f32 v49, v190, v118, -v49
	s_delay_alu instid0(VALU_DEP_3) | instskip(SKIP_4) | instid1(VALU_DEP_3)
	v_dual_add_f32 v9, 0, v9 :: v_dual_add_f32 v47, 0, v47
	v_dual_mul_f32 v15, v194, v123 :: v_dual_mul_f32 v17, v196, v125
	s_wait_loadcnt_dscnt 0xb06
	v_dual_mul_f32 v63, v205, v133 :: v_dual_fma_f32 v51, v192, v120, -v51
	v_fmac_f32_e32 v13, v193, v120
	v_dual_add_f32 v9, v9, v11 :: v_dual_fmac_f32 v15, v195, v122
	v_add_f32_e32 v11, v47, v49
	v_dual_mul_f32 v55, v197, v125 :: v_dual_mul_f32 v57, v199, v127
	v_dual_mul_f32 v47, v207, v135 :: v_dual_fma_f32 v49, v194, v122, -v53
	s_delay_alu instid0(VALU_DEP_3) | instskip(SKIP_3) | instid1(VALU_DEP_3)
	v_dual_add_f32 v9, v9, v13 :: v_dual_add_f32 v11, v11, v51
	v_dual_mul_f32 v19, v198, v127 :: v_dual_mul_f32 v21, v200, v129
	s_wait_loadcnt_dscnt 0xa05
	v_dual_mul_f32 v13, v209, v137 :: v_dual_fma_f32 v51, v196, v124, -v55
	v_dual_fmac_f32 v17, v197, v124 :: v_dual_add_f32 v11, v11, v49
	s_delay_alu instid0(VALU_DEP_3) | instskip(SKIP_1) | instid1(VALU_DEP_2)
	v_dual_add_f32 v9, v9, v15 :: v_dual_fmac_f32 v19, v199, v126
	v_dual_mul_f32 v15, v211, v139 :: v_dual_fma_f32 v49, v198, v126, -v57
	v_dual_add_f32 v11, v11, v51 :: v_dual_add_f32 v9, v9, v17
	v_dual_mul_f32 v23, v202, v131 :: v_dual_mul_f32 v25, v204, v133
	s_wait_loadcnt_dscnt 0x904
	v_dual_mul_f32 v17, v213, v141 :: v_dual_fma_f32 v51, v200, v128, -v59
	s_delay_alu instid0(VALU_DEP_3) | instskip(NEXT) | instid1(VALU_DEP_3)
	v_dual_fmac_f32 v21, v201, v128 :: v_dual_add_f32 v11, v11, v49
	v_dual_add_f32 v9, v9, v19 :: v_dual_fmac_f32 v23, v203, v130
	v_dual_mul_f32 v19, v215, v143 :: v_dual_fma_f32 v49, v202, v130, -v61
	s_delay_alu instid0(VALU_DEP_2) | instskip(SKIP_3) | instid1(VALU_DEP_3)
	v_dual_add_f32 v11, v11, v51 :: v_dual_add_f32 v9, v9, v21
	v_dual_mul_f32 v27, v206, v135 :: v_dual_mul_f32 v29, v208, v137
	s_wait_loadcnt_dscnt 0x803
	v_dual_mul_f32 v21, v217, v145 :: v_dual_fma_f32 v51, v204, v132, -v63
	v_dual_fmac_f32 v25, v205, v132 :: v_dual_add_f32 v11, v11, v49
	s_delay_alu instid0(VALU_DEP_3) | instskip(SKIP_1) | instid1(VALU_DEP_2)
	v_dual_add_f32 v9, v9, v23 :: v_dual_fmac_f32 v27, v207, v134
	v_dual_mul_f32 v23, v219, v147 :: v_dual_fma_f32 v47, v206, v134, -v47
	v_dual_add_f32 v11, v11, v51 :: v_dual_add_f32 v9, v9, v25
	v_dual_mul_f32 v31, v210, v139 :: v_dual_mul_f32 v33, v212, v141
	s_wait_loadcnt_dscnt 0x702
	v_dual_mul_f32 v25, v221, v149 :: v_dual_fma_f32 v13, v208, v136, -v13
	s_delay_alu instid0(VALU_DEP_3) | instskip(NEXT) | instid1(VALU_DEP_3)
	v_dual_fmac_f32 v29, v209, v136 :: v_dual_add_f32 v11, v11, v47
	v_dual_add_f32 v9, v9, v27 :: v_dual_fmac_f32 v31, v211, v138
	v_dual_mul_f32 v27, v223, v151 :: v_dual_fma_f32 v15, v210, v138, -v15
	s_delay_alu instid0(VALU_DEP_3) | instskip(NEXT) | instid1(VALU_DEP_3)
	v_dual_add_f32 v11, v11, v13 :: v_dual_fmac_f32 v33, v213, v140
	v_dual_add_f32 v9, v9, v29 :: v_dual_fma_f32 v17, v212, v140, -v17
	v_dual_mul_f32 v35, v214, v143 :: v_dual_mul_f32 v37, v216, v145
	s_wait_loadcnt_dscnt 0x601
	s_delay_alu instid0(VALU_DEP_3) | instskip(NEXT) | instid1(VALU_DEP_2)
	v_dual_mul_f32 v13, v225, v153 :: v_dual_add_f32 v11, v11, v15
	v_dual_add_f32 v9, v9, v31 :: v_dual_fmac_f32 v35, v215, v142
	v_dual_mul_f32 v15, v227, v155 :: v_dual_fma_f32 v19, v214, v142, -v19
	s_delay_alu instid0(VALU_DEP_3) | instskip(NEXT) | instid1(VALU_DEP_3)
	v_dual_add_f32 v11, v11, v17 :: v_dual_fmac_f32 v37, v217, v144
	v_dual_add_f32 v9, v9, v33 :: v_dual_fma_f32 v21, v216, v144, -v21
	v_dual_mul_f32 v39, v218, v147 :: v_dual_mul_f32 v41, v220, v149
	s_wait_loadcnt 0x5
	s_delay_alu instid0(VALU_DEP_3) | instskip(NEXT) | instid1(VALU_DEP_3)
	v_dual_mul_f32 v17, v173, v157 :: v_dual_add_f32 v11, v11, v19
	v_dual_add_f32 v9, v9, v35 :: v_dual_mov_b32 v116, v159
	s_delay_alu instid0(VALU_DEP_3) | instskip(NEXT) | instid1(VALU_DEP_3)
	v_fmac_f32_e32 v39, v219, v146
	v_dual_fma_f32 v19, v218, v146, -v23 :: v_dual_add_f32 v11, v11, v21
	s_delay_alu instid0(VALU_DEP_3) | instskip(SKIP_1) | instid1(VALU_DEP_3)
	v_dual_add_f32 v9, v9, v37 :: v_dual_mul_f32 v43, v222, v151
	v_dual_mul_f32 v45, v224, v153 :: v_dual_fmac_f32 v41, v221, v148
	v_dual_add_f32 v11, v11, v19 :: v_dual_fma_f32 v21, v220, v148, -v25
	s_wait_loadcnt 0x4
	s_delay_alu instid0(VALU_DEP_3) | instskip(SKIP_3) | instid1(VALU_DEP_4)
	v_dual_add_f32 v9, v9, v39 :: v_dual_mov_b32 v120, v163
	v_fma_f32 v19, v222, v150, -v27
	v_fmac_f32_e32 v43, v223, v150
	v_dual_add_f32 v11, v11, v21 :: v_dual_fmac_f32 v45, v225, v152
	v_dual_add_f32 v9, v9, v41 :: v_dual_mul_f32 v243, v226, v155
	v_mul_f32_e32 v245, v172, v157
	s_delay_alu instid0(VALU_DEP_3) | instskip(NEXT) | instid1(VALU_DEP_3)
	v_dual_fma_f32 v13, v224, v152, -v13 :: v_dual_add_f32 v11, v11, v19
	v_dual_fma_f32 v242, v226, v154, -v15 :: v_dual_add_f32 v9, v9, v43
	s_delay_alu instid0(VALU_DEP_4) | instskip(SKIP_1) | instid1(VALU_DEP_4)
	v_fmac_f32_e32 v243, v227, v154
	v_pk_mul_f32 v[116:117], v[234:235], v[116:117] op_sel_hi:[1,0]
	v_dual_add_f32 v124, v11, v13 :: v_dual_fmac_f32 v245, v173, v156
	s_delay_alu instid0(VALU_DEP_4)
	v_add_f32_e32 v125, v9, v45
	v_pk_mul_f32 v[118:119], v[176:177], v[160:161] op_sel:[1,1] op_sel_hi:[0,1]
	s_wait_loadcnt 0x3
	v_dual_mov_b32 v126, v167 :: v_dual_fma_f32 v244, v172, v156, -v17
	v_pk_fma_f32 v[128:129], v[174:175], v[158:159], v[116:117] op_sel_hi:[1,0,1]
	v_pk_add_f32 v[124:125], v[124:125], v[242:243]
	v_pk_fma_f32 v[116:117], v[174:175], v[158:159], v[116:117] neg_lo:[0,0,1] neg_hi:[0,0,1]
	v_pk_fma_f32 v[130:131], v[176:177], v[160:161], v[118:119] op_sel_hi:[1,0,1]
	v_pk_mul_f32 v[120:121], v[236:237], v[120:121] op_sel_hi:[1,0]
	v_mov_b32_e32 v117, v129
	v_pk_add_f32 v[124:125], v[124:125], v[244:245]
	v_pk_fma_f32 v[118:119], v[176:177], v[160:161], v[118:119] neg_lo:[0,0,1] neg_hi:[0,0,1]
	v_pk_mul_f32 v[122:123], v[180:181], v[164:165] op_sel:[1,1] op_sel_hi:[0,1]
	v_mov_b32_e32 v119, v131
	v_pk_fma_f32 v[130:131], v[178:179], v[162:163], v[120:121] op_sel_hi:[1,0,1]
	v_pk_add_f32 v[116:117], v[124:125], v[116:117]
	v_pk_fma_f32 v[120:121], v[178:179], v[162:163], v[120:121] neg_lo:[0,0,1] neg_hi:[0,0,1]
	v_pk_fma_f32 v[124:125], v[180:181], v[164:165], v[122:123] op_sel_hi:[1,0,1]
	v_pk_mul_f32 v[126:127], v[238:239], v[126:127] op_sel_hi:[1,0]
	v_mov_b32_e32 v121, v131
	v_pk_add_f32 v[116:117], v[116:117], v[118:119]
	v_pk_fma_f32 v[122:123], v[180:181], v[164:165], v[122:123] neg_lo:[0,0,1] neg_hi:[0,0,1]
	s_wait_loadcnt 0x2
	v_pk_mul_f32 v[128:129], v[184:185], v[168:169] op_sel:[1,1] op_sel_hi:[0,1]
	v_dual_mov_b32 v118, v171 :: v_dual_mov_b32 v123, v125
	v_pk_fma_f32 v[124:125], v[182:183], v[166:167], v[126:127] op_sel_hi:[1,0,1]
	v_pk_add_f32 v[116:117], v[116:117], v[120:121]
	v_pk_fma_f32 v[126:127], v[182:183], v[166:167], v[126:127] neg_lo:[0,0,1] neg_hi:[0,0,1]
	v_pk_fma_f32 v[120:121], v[184:185], v[168:169], v[128:129] op_sel_hi:[1,0,1]
	v_pk_mul_f32 v[118:119], v[240:241], v[118:119] op_sel_hi:[1,0]
	v_mov_b32_e32 v127, v125
	v_pk_add_f32 v[116:117], v[116:117], v[122:123]
	v_pk_fma_f32 v[122:123], v[184:185], v[168:169], v[128:129] neg_lo:[0,0,1] neg_hi:[0,0,1]
	v_mov_b32_e32 v123, v121
	v_pk_fma_f32 v[120:121], v[186:187], v[170:171], v[118:119] op_sel_hi:[1,0,1]
	s_wait_loadcnt_dscnt 0x100
	v_pk_mul_f32 v[124:125], v[232:233], v[228:229] op_sel:[1,1] op_sel_hi:[0,1]
	v_pk_add_f32 v[116:117], v[116:117], v[126:127]
	v_pk_fma_f32 v[118:119], v[186:187], v[170:171], v[118:119] neg_lo:[0,0,1] neg_hi:[0,0,1]
	v_mov_b32_e32 v119, v121
	s_delay_alu instid0(VALU_DEP_4) | instskip(NEXT) | instid1(VALU_DEP_4)
	v_pk_fma_f32 v[120:121], v[232:233], v[228:229], v[124:125] op_sel_hi:[1,0,1]
	v_pk_add_f32 v[116:117], v[116:117], v[122:123]
	v_pk_fma_f32 v[122:123], v[232:233], v[228:229], v[124:125] neg_lo:[0,0,1] neg_hi:[0,0,1]
	s_delay_alu instid0(VALU_DEP_3) | instskip(NEXT) | instid1(VALU_DEP_3)
	v_mov_b32_e32 v123, v121
	v_pk_add_f32 v[116:117], v[116:117], v[118:119]
	s_delay_alu instid0(VALU_DEP_1) | instskip(SKIP_1) | instid1(VALU_DEP_1)
	v_pk_add_f32 v[116:117], v[116:117], v[122:123]
	s_wait_loadcnt 0x0
	v_pk_add_f32 v[116:117], v[230:231], v[116:117] neg_lo:[0,1] neg_hi:[0,1]
	scratch_store_b64 off, v[116:117], off offset:216
	s_wait_xcnt 0x0
	v_cmpx_lt_u32_e32 26, v0
	s_cbranch_execz .LBB56_303
; %bb.302:
	scratch_load_b64 v[116:117], off, off offset:208
	v_mov_b64_e32 v[118:119], 0
	scratch_store_b64 off, v[118:119], off offset:208
	s_wait_loadcnt 0x0
	ds_store_b64 v1, v[116:117]
.LBB56_303:
	s_wait_xcnt 0x0
	s_or_b32 exec_lo, exec_lo, s0
	s_wait_storecnt_dscnt 0x0
	s_barrier_signal -1
	s_barrier_wait -1
	s_clause 0xf
	scratch_load_b128 v[116:119], off, off offset:216
	scratch_load_b128 v[120:123], off, off offset:232
	;; [unrolled: 1-line block ×15, first 2 shown]
	scratch_load_b64 v[236:237], off, off offset:208
	ds_load_2addr_b64 v[176:179], v7 offset0:107 offset1:108
	ds_load_2addr_b64 v[180:183], v7 offset0:109 offset1:110
	;; [unrolled: 1-line block ×15, first 2 shown]
	s_mov_b32 s0, exec_lo
	s_wait_dscnt 0xe
	v_dual_mov_b32 v238, v179 :: v_dual_mov_b32 v239, v178
	s_wait_dscnt 0xd
	v_dual_mov_b32 v240, v183 :: v_dual_mov_b32 v241, v182
	;; [unrolled: 2-line block ×4, first 2 shown]
	s_wait_loadcnt_dscnt 0xf0a
	v_dual_mul_f32 v7, v192, v117 :: v_dual_mul_f32 v9, v194, v119
	v_dual_mul_f32 v47, v193, v117 :: v_dual_mul_f32 v49, v195, v119
	s_wait_loadcnt_dscnt 0xe09
	v_dual_mul_f32 v11, v196, v121 :: v_dual_mul_f32 v13, v198, v123
	s_delay_alu instid0(VALU_DEP_3) | instskip(SKIP_3) | instid1(VALU_DEP_3)
	v_dual_fmac_f32 v7, v193, v116 :: v_dual_fmac_f32 v9, v195, v118
	s_wait_loadcnt_dscnt 0xc06
	v_dual_fma_f32 v47, v192, v116, -v47 :: v_dual_mul_f32 v59, v209, v129
	v_dual_mul_f32 v51, v197, v121 :: v_dual_mul_f32 v53, v199, v123
	v_dual_fma_f32 v49, v194, v118, -v49 :: v_dual_add_f32 v7, 0, v7
	s_delay_alu instid0(VALU_DEP_3) | instskip(SKIP_1) | instid1(VALU_DEP_4)
	v_dual_add_f32 v47, 0, v47 :: v_dual_fmac_f32 v11, v197, v120
	v_dual_mul_f32 v15, v204, v125 :: v_dual_mul_f32 v17, v206, v127
	v_dual_mul_f32 v61, v211, v131 :: v_dual_fma_f32 v51, v196, v120, -v51
	s_delay_alu instid0(VALU_DEP_4) | instskip(NEXT) | instid1(VALU_DEP_3)
	v_add_f32_e32 v7, v7, v9
	v_dual_add_f32 v9, v47, v49 :: v_dual_fmac_f32 v15, v205, v124
	v_dual_mul_f32 v55, v205, v125 :: v_dual_mul_f32 v57, v207, v127
	s_wait_loadcnt_dscnt 0xb05
	v_dual_mul_f32 v47, v213, v133 :: v_dual_fmac_f32 v13, v199, v122
	v_dual_fma_f32 v49, v198, v122, -v53 :: v_dual_add_f32 v7, v7, v11
	s_delay_alu instid0(VALU_DEP_3) | instskip(SKIP_1) | instid1(VALU_DEP_3)
	v_dual_add_f32 v9, v9, v51 :: v_dual_fma_f32 v51, v204, v124, -v55
	v_dual_mul_f32 v19, v208, v129 :: v_dual_mul_f32 v21, v210, v131
	v_add_f32_e32 v7, v7, v13
	s_delay_alu instid0(VALU_DEP_3) | instskip(SKIP_2) | instid1(VALU_DEP_3)
	v_dual_mul_f32 v11, v215, v135 :: v_dual_add_f32 v9, v9, v49
	s_wait_loadcnt_dscnt 0xa04
	v_dual_mul_f32 v13, v217, v137 :: v_dual_fmac_f32 v17, v207, v126
	v_dual_fma_f32 v49, v206, v126, -v57 :: v_dual_add_f32 v7, v7, v15
	s_delay_alu instid0(VALU_DEP_3) | instskip(SKIP_1) | instid1(VALU_DEP_3)
	v_dual_add_f32 v9, v9, v51 :: v_dual_fma_f32 v51, v208, v128, -v59
	v_dual_mul_f32 v15, v219, v139 :: v_dual_fmac_f32 v19, v209, v128
	v_add_f32_e32 v7, v7, v17
	s_delay_alu instid0(VALU_DEP_3)
	v_dual_add_f32 v9, v9, v49 :: v_dual_fmac_f32 v21, v211, v130
	v_dual_mul_f32 v23, v212, v133 :: v_dual_mul_f32 v25, v214, v135
	s_wait_loadcnt_dscnt 0x903
	v_dual_fma_f32 v49, v210, v130, -v61 :: v_dual_mul_f32 v17, v221, v141
	v_add_f32_e32 v7, v7, v19
	v_dual_add_f32 v9, v9, v51 :: v_dual_fma_f32 v47, v212, v132, -v47
	v_dual_mul_f32 v19, v223, v143 :: v_dual_fmac_f32 v23, v213, v132
	s_delay_alu instid0(VALU_DEP_3) | instskip(NEXT) | instid1(VALU_DEP_3)
	v_dual_add_f32 v7, v7, v21 :: v_dual_fma_f32 v11, v214, v134, -v11
	v_dual_add_f32 v9, v9, v49 :: v_dual_fmac_f32 v25, v215, v134
	v_dual_mul_f32 v27, v216, v137 :: v_dual_mul_f32 v29, v218, v139
	s_wait_loadcnt_dscnt 0x802
	s_delay_alu instid0(VALU_DEP_3) | instskip(NEXT) | instid1(VALU_DEP_3)
	v_dual_mul_f32 v21, v225, v145 :: v_dual_add_f32 v7, v7, v23
	v_dual_add_f32 v9, v9, v47 :: v_dual_fma_f32 v13, v216, v136, -v13
	s_delay_alu instid0(VALU_DEP_3) | instskip(NEXT) | instid1(VALU_DEP_2)
	v_dual_mul_f32 v23, v227, v147 :: v_dual_fmac_f32 v27, v217, v136
	v_dual_add_f32 v7, v7, v25 :: v_dual_add_f32 v9, v9, v11
	v_dual_mul_f32 v31, v220, v141 :: v_dual_mul_f32 v33, v222, v143
	s_wait_loadcnt_dscnt 0x701
	v_dual_mul_f32 v11, v229, v149 :: v_dual_fmac_f32 v29, v219, v138
	s_delay_alu instid0(VALU_DEP_3) | instskip(SKIP_2) | instid1(VALU_DEP_2)
	v_dual_fma_f32 v15, v218, v138, -v15 :: v_dual_add_f32 v7, v7, v27
	v_dual_add_f32 v9, v9, v13 :: v_dual_mul_f32 v13, v231, v151
	v_dual_fmac_f32 v31, v221, v140 :: v_dual_fma_f32 v17, v220, v140, -v17
	v_dual_add_f32 v7, v7, v29 :: v_dual_add_f32 v9, v9, v15
	v_dual_mul_f32 v35, v224, v145 :: v_dual_mul_f32 v37, v226, v147
	s_wait_loadcnt_dscnt 0x600
	v_dual_mul_f32 v15, v233, v153 :: v_dual_fmac_f32 v33, v223, v142
	s_delay_alu instid0(VALU_DEP_3) | instskip(SKIP_2) | instid1(VALU_DEP_2)
	v_dual_fma_f32 v19, v222, v142, -v19 :: v_dual_add_f32 v7, v7, v31
	v_dual_add_f32 v9, v9, v17 :: v_dual_mul_f32 v17, v235, v155
	v_dual_fmac_f32 v35, v225, v144 :: v_dual_fma_f32 v21, v224, v144, -v21
	v_dual_add_f32 v7, v7, v33 :: v_dual_add_f32 v9, v9, v19
	v_dual_mul_f32 v39, v228, v149 :: v_dual_mul_f32 v41, v230, v151
	s_wait_loadcnt 0x5
	v_dual_mul_f32 v19, v201, v157 :: v_dual_fmac_f32 v37, v227, v146
	s_delay_alu instid0(VALU_DEP_3) | instskip(SKIP_2) | instid1(VALU_DEP_3)
	v_dual_fma_f32 v23, v226, v146, -v23 :: v_dual_add_f32 v7, v7, v35
	v_dual_add_f32 v9, v9, v21 :: v_dual_mul_f32 v21, v203, v159
	v_fmac_f32_e32 v39, v229, v148
	v_dual_fma_f32 v11, v228, v148, -v11 :: v_dual_add_f32 v7, v7, v37
	s_delay_alu instid0(VALU_DEP_3) | instskip(SKIP_1) | instid1(VALU_DEP_3)
	v_dual_add_f32 v9, v9, v23 :: v_dual_mul_f32 v43, v232, v153
	v_dual_mul_f32 v45, v234, v155 :: v_dual_fmac_f32 v41, v231, v150
	v_dual_fma_f32 v13, v230, v150, -v13 :: v_dual_add_f32 v7, v7, v39
	s_wait_loadcnt 0x4
	s_delay_alu instid0(VALU_DEP_3) | instskip(SKIP_1) | instid1(VALU_DEP_3)
	v_dual_add_f32 v9, v9, v11 :: v_dual_mov_b32 v118, v163
	v_fmac_f32_e32 v43, v233, v152
	v_dual_fma_f32 v11, v232, v152, -v15 :: v_dual_add_f32 v7, v7, v41
	s_delay_alu instid0(VALU_DEP_3) | instskip(SKIP_1) | instid1(VALU_DEP_3)
	v_dual_add_f32 v9, v9, v13 :: v_dual_fmac_f32 v45, v235, v154
	v_dual_mul_f32 v247, v200, v157 :: v_dual_mul_f32 v249, v202, v159
	v_dual_fma_f32 v13, v234, v154, -v17 :: v_dual_add_f32 v7, v7, v43
	s_wait_loadcnt 0x3
	s_delay_alu instid0(VALU_DEP_3) | instskip(SKIP_1) | instid1(VALU_DEP_3)
	v_dual_add_f32 v9, v9, v11 :: v_dual_mov_b32 v122, v167
	v_pk_mul_f32 v[116:117], v[176:177], v[160:161] op_sel:[1,1] op_sel_hi:[0,1]
	v_dual_fmac_f32 v247, v201, v156 :: v_dual_add_f32 v125, v7, v45
	s_delay_alu instid0(VALU_DEP_3) | instskip(SKIP_1) | instid1(VALU_DEP_4)
	v_dual_fma_f32 v246, v200, v156, -v19 :: v_dual_add_f32 v124, v9, v13
	v_fmac_f32_e32 v249, v203, v158
	v_pk_fma_f32 v[126:127], v[176:177], v[160:161], v[116:117] op_sel_hi:[1,0,1]
	v_fma_f32 v248, v202, v158, -v21
	v_pk_mul_f32 v[118:119], v[238:239], v[118:119] op_sel_hi:[1,0]
	v_pk_add_f32 v[124:125], v[124:125], v[246:247]
	v_pk_fma_f32 v[116:117], v[176:177], v[160:161], v[116:117] neg_lo:[0,0,1] neg_hi:[0,0,1]
	v_pk_mul_f32 v[120:121], v[180:181], v[164:165] op_sel:[1,1] op_sel_hi:[0,1]
	v_mov_b32_e32 v117, v127
	v_pk_fma_f32 v[126:127], v[178:179], v[162:163], v[118:119] op_sel_hi:[1,0,1]
	v_pk_add_f32 v[124:125], v[124:125], v[248:249]
	v_pk_fma_f32 v[118:119], v[178:179], v[162:163], v[118:119] neg_lo:[0,0,1] neg_hi:[0,0,1]
	v_pk_fma_f32 v[130:131], v[180:181], v[164:165], v[120:121] op_sel_hi:[1,0,1]
	v_pk_mul_f32 v[122:123], v[240:241], v[122:123] op_sel_hi:[1,0]
	v_mov_b32_e32 v119, v127
	v_pk_add_f32 v[116:117], v[124:125], v[116:117]
	s_wait_loadcnt 0x2
	v_pk_mul_f32 v[128:129], v[184:185], v[168:169] op_sel:[1,1] op_sel_hi:[0,1]
	v_mov_b32_e32 v124, v171
	v_pk_fma_f32 v[120:121], v[180:181], v[164:165], v[120:121] neg_lo:[0,0,1] neg_hi:[0,0,1]
	v_pk_fma_f32 v[126:127], v[182:183], v[166:167], v[122:123] op_sel_hi:[1,0,1]
	v_mov_b32_e32 v121, v131
	v_pk_add_f32 v[116:117], v[116:117], v[118:119]
	v_pk_fma_f32 v[118:119], v[184:185], v[168:169], v[128:129] op_sel_hi:[1,0,1]
	v_pk_mul_f32 v[124:125], v[242:243], v[124:125] op_sel_hi:[1,0]
	v_pk_fma_f32 v[122:123], v[182:183], v[166:167], v[122:123] neg_lo:[0,0,1] neg_hi:[0,0,1]
	v_mov_b32_e32 v123, v127
	v_pk_add_f32 v[116:117], v[116:117], v[120:121]
	v_pk_fma_f32 v[126:127], v[184:185], v[168:169], v[128:129] neg_lo:[0,0,1] neg_hi:[0,0,1]
	v_mov_b32_e32 v127, v119
	v_pk_fma_f32 v[118:119], v[186:187], v[170:171], v[124:125] op_sel_hi:[1,0,1]
	s_wait_loadcnt 0x1
	v_pk_mul_f32 v[120:121], v[188:189], v[172:173] op_sel:[1,1] op_sel_hi:[0,1]
	v_pk_add_f32 v[116:117], v[116:117], v[122:123]
	v_mov_b32_e32 v118, v175
	v_pk_fma_f32 v[124:125], v[186:187], v[170:171], v[124:125] neg_lo:[0,0,1] neg_hi:[0,0,1]
	s_delay_alu instid0(VALU_DEP_4)
	v_pk_fma_f32 v[122:123], v[188:189], v[172:173], v[120:121] op_sel_hi:[1,0,1]
	v_mov_b32_e32 v125, v119
	v_pk_add_f32 v[116:117], v[116:117], v[126:127]
	v_pk_mul_f32 v[118:119], v[244:245], v[118:119] op_sel_hi:[1,0]
	v_pk_fma_f32 v[120:121], v[188:189], v[172:173], v[120:121] neg_lo:[0,0,1] neg_hi:[0,0,1]
	v_mov_b32_e32 v121, v123
	s_delay_alu instid0(VALU_DEP_4) | instskip(NEXT) | instid1(VALU_DEP_4)
	v_pk_add_f32 v[116:117], v[116:117], v[124:125]
	v_pk_fma_f32 v[122:123], v[190:191], v[174:175], v[118:119] op_sel_hi:[1,0,1]
	v_pk_fma_f32 v[118:119], v[190:191], v[174:175], v[118:119] neg_lo:[0,0,1] neg_hi:[0,0,1]
	s_delay_alu instid0(VALU_DEP_3) | instskip(NEXT) | instid1(VALU_DEP_3)
	v_pk_add_f32 v[116:117], v[116:117], v[120:121]
	v_mov_b32_e32 v119, v123
	s_delay_alu instid0(VALU_DEP_1) | instskip(SKIP_1) | instid1(VALU_DEP_1)
	v_pk_add_f32 v[116:117], v[116:117], v[118:119]
	s_wait_loadcnt 0x0
	v_pk_add_f32 v[116:117], v[236:237], v[116:117] neg_lo:[0,1] neg_hi:[0,1]
	scratch_store_b64 off, v[116:117], off offset:208
	s_wait_xcnt 0x0
	v_cmpx_lt_u32_e32 25, v0
	s_cbranch_execz .LBB56_305
; %bb.304:
	scratch_load_b64 v[116:117], off, off offset:200
	v_mov_b64_e32 v[118:119], 0
	scratch_store_b64 off, v[118:119], off offset:200
	s_wait_loadcnt 0x0
	ds_store_b64 v1, v[116:117]
.LBB56_305:
	s_wait_xcnt 0x0
	s_or_b32 exec_lo, exec_lo, s0
	s_wait_storecnt_dscnt 0x0
	s_barrier_signal -1
	s_barrier_wait -1
	s_clause 0x10
	scratch_load_b128 v[116:119], off, off offset:208
	scratch_load_b128 v[120:123], off, off offset:224
	;; [unrolled: 1-line block ×15, first 2 shown]
	scratch_load_b64 v[236:237], off, off offset:448
	scratch_load_b64 v[238:239], off, off offset:200
	v_mov_b32_e32 v7, 0
	ds_load_b128 v[176:179], v7 offset:848
	ds_load_b128 v[180:183], v7 offset:864
	;; [unrolled: 1-line block ×15, first 2 shown]
	ds_load_b64 v[240:241], v7 offset:912
	s_mov_b32 s0, exec_lo
	s_wait_dscnt 0xf
	v_dual_mov_b32 v242, v179 :: v_dual_mov_b32 v243, v178
	s_wait_dscnt 0xc
	v_dual_mov_b32 v244, v183 :: v_dual_mov_b32 v249, v190
	v_dual_mov_b32 v245, v182 :: v_dual_mov_b32 v246, v187
	;; [unrolled: 1-line block ×3, first 2 shown]
	s_wait_loadcnt_dscnt 0x100b
	v_dual_mul_f32 v9, v192, v117 :: v_dual_mul_f32 v51, v193, v117
	v_dual_mul_f32 v53, v195, v119 :: v_dual_mul_f32 v11, v194, v119
	s_wait_loadcnt_dscnt 0xf09
	v_mul_f32_e32 v13, v200, v121
	s_wait_loadcnt_dscnt 0xd07
	v_dual_mul_f32 v63, v209, v129 :: v_dual_fma_f32 v51, v192, v116, -v51
	v_dual_fmac_f32 v9, v193, v116 :: v_dual_mul_f32 v65, v211, v131
	v_dual_mul_f32 v55, v201, v121 :: v_dual_mul_f32 v57, v203, v123
	v_dual_fmac_f32 v11, v195, v118 :: v_dual_fma_f32 v53, v194, v118, -v53
	s_delay_alu instid0(VALU_DEP_3) | instskip(SKIP_4) | instid1(VALU_DEP_3)
	v_dual_add_f32 v9, 0, v9 :: v_dual_add_f32 v51, 0, v51
	v_dual_mul_f32 v15, v202, v123 :: v_dual_mul_f32 v17, v204, v125
	s_wait_loadcnt_dscnt 0xc06
	v_dual_mul_f32 v67, v213, v133 :: v_dual_fma_f32 v55, v200, v120, -v55
	v_fmac_f32_e32 v13, v201, v120
	v_dual_add_f32 v9, v9, v11 :: v_dual_fmac_f32 v15, v203, v122
	v_add_f32_e32 v11, v51, v53
	v_dual_mul_f32 v59, v205, v125 :: v_dual_mul_f32 v61, v207, v127
	v_dual_mul_f32 v51, v215, v135 :: v_dual_fma_f32 v53, v202, v122, -v57
	s_delay_alu instid0(VALU_DEP_3) | instskip(SKIP_3) | instid1(VALU_DEP_3)
	v_dual_add_f32 v9, v9, v13 :: v_dual_add_f32 v11, v11, v55
	v_dual_mul_f32 v19, v206, v127 :: v_dual_mul_f32 v21, v208, v129
	s_wait_loadcnt_dscnt 0xb05
	v_dual_mul_f32 v13, v217, v137 :: v_dual_fma_f32 v55, v204, v124, -v59
	v_dual_fmac_f32 v17, v205, v124 :: v_dual_add_f32 v11, v11, v53
	s_delay_alu instid0(VALU_DEP_3) | instskip(SKIP_1) | instid1(VALU_DEP_2)
	v_dual_add_f32 v9, v9, v15 :: v_dual_fmac_f32 v19, v207, v126
	v_dual_mul_f32 v15, v219, v139 :: v_dual_fma_f32 v53, v206, v126, -v61
	v_dual_add_f32 v11, v11, v55 :: v_dual_add_f32 v9, v9, v17
	v_dual_mul_f32 v23, v210, v131 :: v_dual_mul_f32 v25, v212, v133
	s_wait_loadcnt_dscnt 0xa04
	v_dual_mul_f32 v17, v221, v141 :: v_dual_fma_f32 v55, v208, v128, -v63
	s_delay_alu instid0(VALU_DEP_3) | instskip(NEXT) | instid1(VALU_DEP_3)
	v_dual_fmac_f32 v21, v209, v128 :: v_dual_add_f32 v11, v11, v53
	v_dual_add_f32 v9, v9, v19 :: v_dual_fmac_f32 v23, v211, v130
	v_dual_mul_f32 v19, v223, v143 :: v_dual_fma_f32 v53, v210, v130, -v65
	s_delay_alu instid0(VALU_DEP_2) | instskip(SKIP_3) | instid1(VALU_DEP_3)
	v_dual_add_f32 v11, v11, v55 :: v_dual_add_f32 v9, v9, v21
	v_dual_mul_f32 v27, v214, v135 :: v_dual_mul_f32 v29, v216, v137
	s_wait_loadcnt_dscnt 0x903
	v_dual_mul_f32 v21, v225, v145 :: v_dual_fma_f32 v55, v212, v132, -v67
	v_dual_fmac_f32 v25, v213, v132 :: v_dual_add_f32 v11, v11, v53
	s_delay_alu instid0(VALU_DEP_3) | instskip(SKIP_1) | instid1(VALU_DEP_2)
	v_dual_add_f32 v9, v9, v23 :: v_dual_fmac_f32 v27, v215, v134
	v_dual_mul_f32 v23, v227, v147 :: v_dual_fma_f32 v51, v214, v134, -v51
	v_dual_add_f32 v11, v11, v55 :: v_dual_add_f32 v9, v9, v25
	v_dual_mul_f32 v31, v218, v139 :: v_dual_mul_f32 v33, v220, v141
	s_wait_loadcnt_dscnt 0x802
	v_dual_mul_f32 v25, v229, v149 :: v_dual_fma_f32 v13, v216, v136, -v13
	s_delay_alu instid0(VALU_DEP_3) | instskip(NEXT) | instid1(VALU_DEP_3)
	v_dual_fmac_f32 v29, v217, v136 :: v_dual_add_f32 v11, v11, v51
	v_dual_add_f32 v9, v9, v27 :: v_dual_fmac_f32 v31, v219, v138
	v_dual_mul_f32 v27, v231, v151 :: v_dual_fma_f32 v15, v218, v138, -v15
	s_delay_alu instid0(VALU_DEP_3) | instskip(NEXT) | instid1(VALU_DEP_3)
	v_dual_add_f32 v11, v11, v13 :: v_dual_fmac_f32 v33, v221, v140
	v_dual_add_f32 v9, v9, v29 :: v_dual_fma_f32 v17, v220, v140, -v17
	v_dual_mul_f32 v35, v222, v143 :: v_dual_mul_f32 v37, v224, v145
	s_wait_loadcnt_dscnt 0x701
	s_delay_alu instid0(VALU_DEP_3) | instskip(NEXT) | instid1(VALU_DEP_2)
	v_dual_mul_f32 v13, v233, v153 :: v_dual_add_f32 v11, v11, v15
	v_dual_add_f32 v9, v9, v31 :: v_dual_fmac_f32 v35, v223, v142
	v_dual_mul_f32 v15, v235, v155 :: v_dual_fma_f32 v19, v222, v142, -v19
	s_delay_alu instid0(VALU_DEP_3) | instskip(NEXT) | instid1(VALU_DEP_3)
	v_dual_add_f32 v11, v11, v17 :: v_dual_fmac_f32 v37, v225, v144
	v_dual_add_f32 v9, v9, v33 :: v_dual_fma_f32 v21, v224, v144, -v21
	v_dual_mul_f32 v39, v226, v147 :: v_dual_mul_f32 v41, v228, v149
	s_wait_loadcnt 0x6
	s_delay_alu instid0(VALU_DEP_3) | instskip(NEXT) | instid1(VALU_DEP_2)
	v_dual_mul_f32 v17, v197, v157 :: v_dual_add_f32 v11, v11, v19
	v_dual_add_f32 v9, v9, v35 :: v_dual_fmac_f32 v39, v227, v146
	v_dual_mul_f32 v19, v199, v159 :: v_dual_fma_f32 v23, v226, v146, -v23
	s_delay_alu instid0(VALU_DEP_3) | instskip(NEXT) | instid1(VALU_DEP_3)
	v_dual_add_f32 v11, v11, v21 :: v_dual_fmac_f32 v41, v229, v148
	v_dual_add_f32 v9, v9, v37 :: v_dual_fma_f32 v25, v228, v148, -v25
	v_dual_mul_f32 v43, v230, v151 :: v_dual_mul_f32 v45, v232, v153
	s_wait_loadcnt 0x5
	s_delay_alu instid0(VALU_DEP_3) | instskip(NEXT) | instid1(VALU_DEP_3)
	v_dual_mul_f32 v21, v177, v161 :: v_dual_add_f32 v11, v11, v23
	v_dual_add_f32 v9, v9, v39 :: v_dual_mov_b32 v116, v163
	s_delay_alu instid0(VALU_DEP_3) | instskip(NEXT) | instid1(VALU_DEP_3)
	v_fmac_f32_e32 v43, v231, v150
	v_dual_fma_f32 v23, v230, v150, -v27 :: v_dual_add_f32 v11, v11, v25
	s_delay_alu instid0(VALU_DEP_3) | instskip(SKIP_1) | instid1(VALU_DEP_3)
	v_dual_add_f32 v9, v9, v41 :: v_dual_mul_f32 v47, v234, v155
	v_dual_mul_f32 v49, v196, v157 :: v_dual_fmac_f32 v45, v233, v152
	v_dual_add_f32 v11, v11, v23 :: v_dual_fma_f32 v13, v232, v152, -v13
	s_wait_loadcnt 0x4
	s_delay_alu instid0(VALU_DEP_3) | instskip(SKIP_3) | instid1(VALU_DEP_4)
	v_dual_add_f32 v9, v9, v43 :: v_dual_mov_b32 v120, v167
	v_fma_f32 v15, v234, v154, -v15
	v_fmac_f32_e32 v47, v235, v154
	v_dual_add_f32 v11, v11, v13 :: v_dual_fmac_f32 v49, v197, v156
	v_dual_add_f32 v9, v9, v45 :: v_dual_mul_f32 v251, v198, v159
	v_mul_f32_e32 v253, v176, v161
	s_delay_alu instid0(VALU_DEP_3) | instskip(NEXT) | instid1(VALU_DEP_3)
	v_dual_fma_f32 v13, v196, v156, -v17 :: v_dual_add_f32 v11, v11, v15
	v_dual_fma_f32 v250, v198, v158, -v19 :: v_dual_add_f32 v9, v9, v47
	s_delay_alu instid0(VALU_DEP_4) | instskip(SKIP_1) | instid1(VALU_DEP_4)
	v_fmac_f32_e32 v251, v199, v158
	v_pk_mul_f32 v[116:117], v[242:243], v[116:117] op_sel_hi:[1,0]
	v_dual_add_f32 v124, v11, v13 :: v_dual_fmac_f32 v253, v177, v160
	s_delay_alu instid0(VALU_DEP_4)
	v_add_f32_e32 v125, v9, v49
	v_pk_mul_f32 v[118:119], v[180:181], v[164:165] op_sel:[1,1] op_sel_hi:[0,1]
	s_wait_loadcnt 0x3
	v_dual_mov_b32 v126, v171 :: v_dual_fma_f32 v252, v176, v160, -v21
	v_pk_fma_f32 v[128:129], v[178:179], v[162:163], v[116:117] op_sel_hi:[1,0,1]
	v_pk_add_f32 v[124:125], v[124:125], v[250:251]
	v_pk_fma_f32 v[116:117], v[178:179], v[162:163], v[116:117] neg_lo:[0,0,1] neg_hi:[0,0,1]
	v_pk_fma_f32 v[130:131], v[180:181], v[164:165], v[118:119] op_sel_hi:[1,0,1]
	v_pk_mul_f32 v[120:121], v[244:245], v[120:121] op_sel_hi:[1,0]
	v_mov_b32_e32 v117, v129
	v_pk_add_f32 v[124:125], v[124:125], v[252:253]
	v_pk_fma_f32 v[118:119], v[180:181], v[164:165], v[118:119] neg_lo:[0,0,1] neg_hi:[0,0,1]
	v_pk_mul_f32 v[122:123], v[184:185], v[168:169] op_sel:[1,1] op_sel_hi:[0,1]
	v_mov_b32_e32 v119, v131
	v_pk_fma_f32 v[130:131], v[182:183], v[166:167], v[120:121] op_sel_hi:[1,0,1]
	v_pk_add_f32 v[116:117], v[124:125], v[116:117]
	v_pk_fma_f32 v[120:121], v[182:183], v[166:167], v[120:121] neg_lo:[0,0,1] neg_hi:[0,0,1]
	v_pk_fma_f32 v[124:125], v[184:185], v[168:169], v[122:123] op_sel_hi:[1,0,1]
	v_pk_mul_f32 v[126:127], v[246:247], v[126:127] op_sel_hi:[1,0]
	v_mov_b32_e32 v121, v131
	v_pk_add_f32 v[116:117], v[116:117], v[118:119]
	v_pk_fma_f32 v[122:123], v[184:185], v[168:169], v[122:123] neg_lo:[0,0,1] neg_hi:[0,0,1]
	s_wait_loadcnt 0x2
	v_pk_mul_f32 v[128:129], v[188:189], v[172:173] op_sel:[1,1] op_sel_hi:[0,1]
	v_dual_mov_b32 v118, v175 :: v_dual_mov_b32 v123, v125
	v_pk_fma_f32 v[124:125], v[186:187], v[170:171], v[126:127] op_sel_hi:[1,0,1]
	v_pk_add_f32 v[116:117], v[116:117], v[120:121]
	v_pk_fma_f32 v[126:127], v[186:187], v[170:171], v[126:127] neg_lo:[0,0,1] neg_hi:[0,0,1]
	v_pk_fma_f32 v[120:121], v[188:189], v[172:173], v[128:129] op_sel_hi:[1,0,1]
	v_pk_mul_f32 v[118:119], v[248:249], v[118:119] op_sel_hi:[1,0]
	v_mov_b32_e32 v127, v125
	v_pk_add_f32 v[116:117], v[116:117], v[122:123]
	v_pk_fma_f32 v[122:123], v[188:189], v[172:173], v[128:129] neg_lo:[0,0,1] neg_hi:[0,0,1]
	v_mov_b32_e32 v123, v121
	v_pk_fma_f32 v[120:121], v[190:191], v[174:175], v[118:119] op_sel_hi:[1,0,1]
	s_wait_loadcnt_dscnt 0x100
	v_pk_mul_f32 v[124:125], v[240:241], v[236:237] op_sel:[1,1] op_sel_hi:[0,1]
	v_pk_add_f32 v[116:117], v[116:117], v[126:127]
	v_pk_fma_f32 v[118:119], v[190:191], v[174:175], v[118:119] neg_lo:[0,0,1] neg_hi:[0,0,1]
	v_mov_b32_e32 v119, v121
	s_delay_alu instid0(VALU_DEP_4) | instskip(NEXT) | instid1(VALU_DEP_4)
	v_pk_fma_f32 v[120:121], v[240:241], v[236:237], v[124:125] op_sel_hi:[1,0,1]
	v_pk_add_f32 v[116:117], v[116:117], v[122:123]
	v_pk_fma_f32 v[122:123], v[240:241], v[236:237], v[124:125] neg_lo:[0,0,1] neg_hi:[0,0,1]
	s_delay_alu instid0(VALU_DEP_3) | instskip(NEXT) | instid1(VALU_DEP_3)
	v_mov_b32_e32 v123, v121
	v_pk_add_f32 v[116:117], v[116:117], v[118:119]
	s_delay_alu instid0(VALU_DEP_1) | instskip(SKIP_1) | instid1(VALU_DEP_1)
	v_pk_add_f32 v[116:117], v[116:117], v[122:123]
	s_wait_loadcnt 0x0
	v_pk_add_f32 v[116:117], v[238:239], v[116:117] neg_lo:[0,1] neg_hi:[0,1]
	scratch_store_b64 off, v[116:117], off offset:200
	s_wait_xcnt 0x0
	v_cmpx_lt_u32_e32 24, v0
	s_cbranch_execz .LBB56_307
; %bb.306:
	scratch_load_b64 v[116:117], off, off offset:192
	v_mov_b64_e32 v[118:119], 0
	scratch_store_b64 off, v[118:119], off offset:192
	s_wait_loadcnt 0x0
	ds_store_b64 v1, v[116:117]
.LBB56_307:
	s_wait_xcnt 0x0
	s_or_b32 exec_lo, exec_lo, s0
	s_wait_storecnt_dscnt 0x0
	s_barrier_signal -1
	s_barrier_wait -1
	s_clause 0x10
	scratch_load_b128 v[116:119], off, off offset:200
	scratch_load_b128 v[120:123], off, off offset:216
	;; [unrolled: 1-line block ×16, first 2 shown]
	scratch_load_b64 v[244:245], off, off offset:192
	ds_load_2addr_b64 v[180:183], v7 offset0:107 offset1:108
	ds_load_2addr_b64 v[184:187], v7 offset0:109 offset1:110
	;; [unrolled: 1-line block ×16, first 2 shown]
	s_mov_b32 s0, exec_lo
	s_wait_dscnt 0xf
	v_dual_mov_b32 v246, v183 :: v_dual_mov_b32 v247, v182
	s_wait_dscnt 0xe
	v_dual_mov_b32 v248, v187 :: v_dual_mov_b32 v249, v186
	;; [unrolled: 2-line block ×4, first 2 shown]
	s_wait_loadcnt_dscnt 0x100b
	v_dual_mul_f32 v7, v196, v117 :: v_dual_mul_f32 v9, v198, v119
	s_wait_loadcnt_dscnt 0xf0a
	v_dual_mul_f32 v51, v197, v117 :: v_dual_mul_f32 v57, v203, v123
	s_wait_loadcnt_dscnt 0xe09
	v_mul_f32_e32 v59, v205, v125
	v_dual_fmac_f32 v7, v197, v116 :: v_dual_fmac_f32 v9, v199, v118
	s_delay_alu instid0(VALU_DEP_3)
	v_dual_mul_f32 v53, v199, v119 :: v_dual_fma_f32 v51, v196, v116, -v51
	v_dual_mul_f32 v11, v200, v121 :: v_dual_mul_f32 v13, v202, v123
	s_wait_loadcnt_dscnt 0x500
	v_mul_f32_e32 v255, v240, v161
	v_dual_mul_f32 v55, v201, v121 :: v_dual_mul_f32 v61, v207, v127
	v_dual_mul_f32 v63, v209, v129 :: v_dual_fma_f32 v53, v198, v118, -v53
	v_dual_add_f32 v7, 0, v7 :: v_dual_fmac_f32 v11, v201, v120
	s_delay_alu instid0(VALU_DEP_3) | instskip(SKIP_1) | instid1(VALU_DEP_3)
	v_dual_add_f32 v51, 0, v51 :: v_dual_fma_f32 v55, v200, v120, -v55
	v_dual_mul_f32 v15, v204, v125 :: v_dual_mul_f32 v17, v206, v127
	v_add_f32_e32 v7, v7, v9
	s_delay_alu instid0(VALU_DEP_3) | instskip(NEXT) | instid1(VALU_DEP_3)
	v_dual_add_f32 v9, v51, v53 :: v_dual_fma_f32 v53, v202, v122, -v57
	v_dual_fmac_f32 v15, v205, v124 :: v_dual_fmac_f32 v13, v203, v122
	s_delay_alu instid0(VALU_DEP_3) | instskip(NEXT) | instid1(VALU_DEP_3)
	v_add_f32_e32 v7, v7, v11
	v_add_f32_e32 v9, v9, v55
	v_dual_mul_f32 v11, v215, v135 :: v_dual_fma_f32 v55, v204, v124, -v59
	v_dual_mul_f32 v19, v208, v129 :: v_dual_mul_f32 v21, v210, v131
	s_delay_alu instid0(VALU_DEP_4) | instskip(NEXT) | instid1(VALU_DEP_4)
	v_add_f32_e32 v7, v7, v13
	v_add_f32_e32 v9, v9, v53
	v_dual_mul_f32 v13, v217, v137 :: v_dual_fmac_f32 v17, v207, v126
	s_delay_alu instid0(VALU_DEP_3) | instskip(SKIP_1) | instid1(VALU_DEP_4)
	v_dual_fma_f32 v53, v206, v126, -v61 :: v_dual_add_f32 v7, v7, v15
	v_fmac_f32_e32 v19, v209, v128
	v_dual_add_f32 v9, v9, v55 :: v_dual_fma_f32 v55, v208, v128, -v63
	v_dual_mul_f32 v65, v211, v131 :: v_dual_mul_f32 v51, v213, v133
	s_delay_alu instid0(VALU_DEP_2) | instskip(NEXT) | instid1(VALU_DEP_2)
	v_dual_mul_f32 v15, v219, v139 :: v_dual_add_f32 v9, v9, v53
	v_dual_add_f32 v7, v7, v17 :: v_dual_fma_f32 v53, v210, v130, -v65
	v_dual_mul_f32 v23, v212, v133 :: v_dual_mul_f32 v25, v214, v135
	v_dual_mul_f32 v17, v221, v141 :: v_dual_fmac_f32 v21, v211, v130
	s_delay_alu instid0(VALU_DEP_2) | instskip(SKIP_2) | instid1(VALU_DEP_3)
	v_dual_add_f32 v7, v7, v19 :: v_dual_fmac_f32 v23, v213, v132
	v_dual_add_f32 v9, v9, v55 :: v_dual_fma_f32 v51, v212, v132, -v51
	v_mul_f32_e32 v19, v223, v143
	v_dual_add_f32 v7, v7, v21 :: v_dual_fma_f32 v11, v214, v134, -v11
	s_delay_alu instid0(VALU_DEP_3) | instskip(SKIP_2) | instid1(VALU_DEP_2)
	v_add_f32_e32 v9, v9, v53
	v_dual_mul_f32 v27, v216, v137 :: v_dual_mul_f32 v29, v218, v139
	v_dual_mul_f32 v21, v225, v145 :: v_dual_fmac_f32 v25, v215, v134
	v_dual_add_f32 v7, v7, v23 :: v_dual_fmac_f32 v27, v217, v136
	s_delay_alu instid0(VALU_DEP_4) | instskip(SKIP_1) | instid1(VALU_DEP_2)
	v_dual_add_f32 v9, v9, v51 :: v_dual_fma_f32 v13, v216, v136, -v13
	v_dual_mul_f32 v31, v220, v141 :: v_dual_mul_f32 v33, v222, v143
	v_dual_add_f32 v7, v7, v25 :: v_dual_add_f32 v9, v9, v11
	v_dual_fmac_f32 v29, v219, v138 :: v_dual_fma_f32 v15, v218, v138, -v15
	s_delay_alu instid0(VALU_DEP_2) | instskip(NEXT) | instid1(VALU_DEP_3)
	v_dual_fmac_f32 v31, v221, v140 :: v_dual_add_f32 v7, v7, v27
	v_dual_add_f32 v9, v9, v13 :: v_dual_mul_f32 v13, v231, v151
	v_fma_f32 v17, v220, v140, -v17
	v_dual_mul_f32 v35, v224, v145 :: v_dual_mul_f32 v37, v226, v147
	s_delay_alu instid0(VALU_DEP_3) | instskip(SKIP_1) | instid1(VALU_DEP_2)
	v_dual_add_f32 v7, v7, v29 :: v_dual_add_f32 v9, v9, v15
	v_dual_fmac_f32 v33, v223, v142 :: v_dual_mul_f32 v15, v233, v153
	v_dual_fma_f32 v19, v222, v142, -v19 :: v_dual_add_f32 v7, v7, v31
	s_delay_alu instid0(VALU_DEP_3) | instskip(SKIP_2) | instid1(VALU_DEP_3)
	v_dual_add_f32 v9, v9, v17 :: v_dual_mul_f32 v23, v227, v147
	v_dual_mul_f32 v11, v229, v149 :: v_dual_mul_f32 v17, v235, v155
	v_dual_fmac_f32 v35, v225, v144 :: v_dual_fma_f32 v21, v224, v144, -v21
	v_dual_add_f32 v7, v7, v33 :: v_dual_add_f32 v9, v9, v19
	v_dual_fmac_f32 v37, v227, v146 :: v_dual_mul_f32 v39, v228, v149
	v_dual_mul_f32 v41, v230, v151 :: v_dual_mul_f32 v19, v237, v157
	s_delay_alu instid0(VALU_DEP_3) | instskip(NEXT) | instid1(VALU_DEP_4)
	v_dual_fma_f32 v23, v226, v146, -v23 :: v_dual_add_f32 v7, v7, v35
	v_dual_add_f32 v9, v9, v21 :: v_dual_mul_f32 v21, v239, v159
	s_delay_alu instid0(VALU_DEP_4) | instskip(NEXT) | instid1(VALU_DEP_3)
	v_fmac_f32_e32 v39, v229, v148
	v_dual_fma_f32 v11, v228, v148, -v11 :: v_dual_add_f32 v7, v7, v37
	s_delay_alu instid0(VALU_DEP_3) | instskip(SKIP_2) | instid1(VALU_DEP_2)
	v_dual_add_f32 v9, v9, v23 :: v_dual_fmac_f32 v41, v231, v150
	v_dual_mul_f32 v43, v232, v153 :: v_dual_mul_f32 v45, v234, v155
	v_dual_mul_f32 v23, v241, v161 :: v_dual_fma_f32 v13, v230, v150, -v13
	v_dual_add_f32 v7, v7, v39 :: v_dual_fmac_f32 v43, v233, v152
	s_delay_alu instid0(VALU_DEP_4) | instskip(SKIP_1) | instid1(VALU_DEP_3)
	v_dual_add_f32 v9, v9, v11 :: v_dual_fma_f32 v15, v232, v152, -v15
	v_mul_f32_e32 v11, v243, v163
	v_add_f32_e32 v7, v7, v41
	v_dual_mul_f32 v47, v236, v157 :: v_dual_mul_f32 v49, v238, v159
	s_delay_alu instid0(VALU_DEP_4) | instskip(NEXT) | instid1(VALU_DEP_3)
	v_dual_add_f32 v9, v9, v13 :: v_dual_fmac_f32 v45, v235, v154
	v_dual_fma_f32 v13, v234, v154, -v17 :: v_dual_add_f32 v7, v7, v43
	s_delay_alu instid0(VALU_DEP_3) | instskip(SKIP_1) | instid1(VALU_DEP_3)
	v_fmac_f32_e32 v47, v237, v156
	s_wait_loadcnt 0x4
	v_dual_add_f32 v9, v9, v15 :: v_dual_mov_b32 v118, v167
	s_delay_alu instid0(VALU_DEP_3) | instskip(SKIP_1) | instid1(VALU_DEP_3)
	v_dual_fma_f32 v15, v236, v156, -v19 :: v_dual_add_f32 v7, v7, v45
	v_pk_mul_f32 v[116:117], v[180:181], v[164:165] op_sel:[1,1] op_sel_hi:[0,1]
	v_dual_add_f32 v9, v9, v13 :: v_dual_fmac_f32 v49, v239, v158
	s_delay_alu instid0(VALU_DEP_3) | instskip(SKIP_2) | instid1(VALU_DEP_3)
	v_dual_fma_f32 v13, v238, v158, -v21 :: v_dual_add_f32 v7, v7, v47
	v_fmac_f32_e32 v255, v241, v160
	s_wait_loadcnt 0x3
	v_dual_add_f32 v9, v9, v15 :: v_dual_mov_b32 v122, v171
	s_set_vgpr_msb 64                       ;  msbs: dst=1 src0=0 src1=0 src2=0
	v_dual_mul_f32 v1 /*v257*/, v242, v163 :: v_dual_fma_f32 v0 /*v256*/, v242, v162, -v11
	s_set_vgpr_msb 0                        ;  msbs: dst=0 src0=0 src1=0 src2=0
	v_dual_fma_f32 v254, v240, v160, -v23 :: v_dual_add_f32 v125, v7, v49
	v_pk_fma_f32 v[126:127], v[180:181], v[164:165], v[116:117] op_sel_hi:[1,0,1]
	v_add_f32_e32 v124, v9, v13
	v_pk_fma_f32 v[116:117], v[180:181], v[164:165], v[116:117] neg_lo:[0,0,1] neg_hi:[0,0,1]
	s_set_vgpr_msb 64                       ;  msbs: dst=1 src0=0 src1=0 src2=0
	v_fmac_f32_e32 v1 /*v257*/, v243, v162
	s_set_vgpr_msb 0                        ;  msbs: dst=0 src0=0 src1=0 src2=0
	v_pk_mul_f32 v[118:119], v[246:247], v[118:119] op_sel_hi:[1,0]
	v_mov_b32_e32 v117, v127
	v_pk_add_f32 v[124:125], v[124:125], v[254:255]
	v_pk_mul_f32 v[120:121], v[184:185], v[168:169] op_sel:[1,1] op_sel_hi:[0,1]
	v_pk_mul_f32 v[122:123], v[248:249], v[122:123] op_sel_hi:[1,0]
	v_pk_fma_f32 v[126:127], v[182:183], v[166:167], v[118:119] op_sel_hi:[1,0,1]
	v_pk_fma_f32 v[118:119], v[182:183], v[166:167], v[118:119] neg_lo:[0,0,1] neg_hi:[0,0,1]
	s_set_vgpr_msb 4                        ;  msbs: dst=0 src0=0 src1=1 src2=0
	v_pk_add_f32 v[124:125], v[124:125], v[0:1] /*v[256:257]*/
	s_set_vgpr_msb 0                        ;  msbs: dst=0 src0=0 src1=0 src2=0
	v_pk_fma_f32 v[130:131], v[184:185], v[168:169], v[120:121] op_sel_hi:[1,0,1]
	s_wait_loadcnt 0x2
	v_pk_mul_f32 v[128:129], v[188:189], v[172:173] op_sel:[1,1] op_sel_hi:[0,1]
	v_mov_b32_e32 v119, v127
	v_pk_fma_f32 v[120:121], v[184:185], v[168:169], v[120:121] neg_lo:[0,0,1] neg_hi:[0,0,1]
	v_pk_add_f32 v[116:117], v[124:125], v[116:117]
	v_mov_b32_e32 v124, v175
	v_pk_fma_f32 v[126:127], v[186:187], v[170:171], v[122:123] op_sel_hi:[1,0,1]
	v_mov_b32_e32 v121, v131
	v_pk_fma_f32 v[122:123], v[186:187], v[170:171], v[122:123] neg_lo:[0,0,1] neg_hi:[0,0,1]
	v_pk_add_f32 v[116:117], v[116:117], v[118:119]
	v_pk_fma_f32 v[118:119], v[188:189], v[172:173], v[128:129] op_sel_hi:[1,0,1]
	v_pk_mul_f32 v[124:125], v[250:251], v[124:125] op_sel_hi:[1,0]
	v_mov_b32_e32 v123, v127
	v_pk_fma_f32 v[126:127], v[188:189], v[172:173], v[128:129] neg_lo:[0,0,1] neg_hi:[0,0,1]
	v_pk_add_f32 v[116:117], v[116:117], v[120:121]
	v_mov_b32_e32 v127, v119
	v_pk_fma_f32 v[118:119], v[190:191], v[174:175], v[124:125] op_sel_hi:[1,0,1]
	s_wait_loadcnt 0x1
	v_pk_mul_f32 v[120:121], v[192:193], v[176:177] op_sel:[1,1] op_sel_hi:[0,1]
	v_mov_b32_e32 v118, v179
	v_pk_add_f32 v[116:117], v[116:117], v[122:123]
	v_pk_fma_f32 v[124:125], v[190:191], v[174:175], v[124:125] neg_lo:[0,0,1] neg_hi:[0,0,1]
	s_delay_alu instid0(VALU_DEP_4) | instskip(SKIP_1) | instid1(VALU_DEP_4)
	v_pk_fma_f32 v[122:123], v[192:193], v[176:177], v[120:121] op_sel_hi:[1,0,1]
	v_mov_b32_e32 v125, v119
	v_pk_add_f32 v[116:117], v[116:117], v[126:127]
	v_pk_mul_f32 v[118:119], v[252:253], v[118:119] op_sel_hi:[1,0]
	v_pk_fma_f32 v[120:121], v[192:193], v[176:177], v[120:121] neg_lo:[0,0,1] neg_hi:[0,0,1]
	v_mov_b32_e32 v121, v123
	s_delay_alu instid0(VALU_DEP_4) | instskip(NEXT) | instid1(VALU_DEP_4)
	v_pk_add_f32 v[116:117], v[116:117], v[124:125]
	v_pk_fma_f32 v[122:123], v[194:195], v[178:179], v[118:119] op_sel_hi:[1,0,1]
	v_pk_fma_f32 v[118:119], v[194:195], v[178:179], v[118:119] neg_lo:[0,0,1] neg_hi:[0,0,1]
	s_delay_alu instid0(VALU_DEP_3) | instskip(NEXT) | instid1(VALU_DEP_3)
	v_pk_add_f32 v[116:117], v[116:117], v[120:121]
	v_mov_b32_e32 v119, v123
	s_delay_alu instid0(VALU_DEP_1) | instskip(SKIP_1) | instid1(VALU_DEP_1)
	v_pk_add_f32 v[116:117], v[116:117], v[118:119]
	s_wait_loadcnt 0x0
	v_pk_add_f32 v[116:117], v[244:245], v[116:117] neg_lo:[0,1] neg_hi:[0,1]
	scratch_store_b64 off, v[116:117], off offset:192
	s_wait_xcnt 0x0
	v_cmpx_lt_u32_e32 23, v0
	s_cbranch_execz .LBB56_309
; %bb.308:
	scratch_load_b64 v[116:117], off, off offset:184
	v_mov_b64_e32 v[118:119], 0
	scratch_store_b64 off, v[118:119], off offset:184
	s_wait_loadcnt 0x0
	ds_store_b64 v1, v[116:117]
.LBB56_309:
	s_wait_xcnt 0x0
	s_or_b32 exec_lo, exec_lo, s0
	s_wait_storecnt_dscnt 0x0
	s_barrier_signal -1
	s_barrier_wait -1
	s_clause 0x11
	scratch_load_b128 v[116:119], off, off offset:192
	scratch_load_b128 v[120:123], off, off offset:208
	;; [unrolled: 1-line block ×16, first 2 shown]
	scratch_load_b64 v[244:245], off, off offset:448
	scratch_load_b64 v[246:247], off, off offset:184
	v_mov_b32_e32 v7, 0
	ds_load_b128 v[180:183], v7 offset:848
	ds_load_b128 v[184:187], v7 offset:864
	;; [unrolled: 1-line block ×16, first 2 shown]
	ds_load_b64 v[248:249], v7 offset:912
	s_mov_b32 s0, exec_lo
	s_wait_dscnt 0x10
	v_dual_mov_b32 v250, v183 :: v_dual_mov_b32 v251, v182
	s_wait_dscnt 0xe
	v_dual_mov_b32 v252, v187 :: v_dual_mov_b32 v255, v190
	v_dual_mov_b32 v253, v186 :: v_dual_mov_b32 v254, v191
	s_wait_dscnt 0xd
	s_set_vgpr_msb 64                       ;  msbs: dst=1 src0=0 src1=0 src2=0
	v_dual_mov_b32 v0 /*v256*/, v195 :: v_dual_mov_b32 v1 /*v257*/, v194
	s_wait_loadcnt_dscnt 0x110c
	s_set_vgpr_msb 0                        ;  msbs: dst=0 src0=0 src1=0 src2=0
	v_dual_mul_f32 v9, v196, v117 :: v_dual_mul_f32 v55, v197, v117
	v_dual_mul_f32 v57, v199, v119 :: v_dual_mul_f32 v11, v198, v119
	s_wait_loadcnt_dscnt 0x100b
	v_mul_f32_e32 v13, v200, v121
	s_wait_loadcnt_dscnt 0xe09
	v_dual_mul_f32 v67, v209, v129 :: v_dual_fma_f32 v55, v196, v116, -v55
	v_dual_fmac_f32 v9, v197, v116 :: v_dual_mul_f32 v69, v211, v131
	v_dual_mul_f32 v59, v201, v121 :: v_dual_mul_f32 v61, v203, v123
	v_dual_fmac_f32 v11, v199, v118 :: v_dual_fma_f32 v57, v198, v118, -v57
	s_delay_alu instid0(VALU_DEP_3) | instskip(SKIP_4) | instid1(VALU_DEP_3)
	v_dual_add_f32 v9, 0, v9 :: v_dual_add_f32 v55, 0, v55
	v_dual_mul_f32 v15, v202, v123 :: v_dual_mul_f32 v17, v204, v125
	s_wait_loadcnt_dscnt 0xd08
	v_dual_mul_f32 v71, v213, v133 :: v_dual_fma_f32 v59, v200, v120, -v59
	v_fmac_f32_e32 v13, v201, v120
	v_dual_add_f32 v9, v9, v11 :: v_dual_fmac_f32 v15, v203, v122
	v_add_f32_e32 v11, v55, v57
	v_dual_mul_f32 v63, v205, v125 :: v_dual_mul_f32 v65, v207, v127
	v_dual_mul_f32 v55, v215, v135 :: v_dual_fma_f32 v57, v202, v122, -v61
	s_delay_alu instid0(VALU_DEP_3) | instskip(SKIP_3) | instid1(VALU_DEP_3)
	v_dual_add_f32 v9, v9, v13 :: v_dual_add_f32 v11, v11, v59
	v_dual_mul_f32 v19, v206, v127 :: v_dual_mul_f32 v21, v208, v129
	s_wait_loadcnt_dscnt 0xc07
	v_dual_mul_f32 v13, v217, v137 :: v_dual_fma_f32 v59, v204, v124, -v63
	v_dual_fmac_f32 v17, v205, v124 :: v_dual_add_f32 v11, v11, v57
	s_delay_alu instid0(VALU_DEP_3) | instskip(SKIP_1) | instid1(VALU_DEP_2)
	v_dual_add_f32 v9, v9, v15 :: v_dual_fmac_f32 v19, v207, v126
	v_dual_mul_f32 v15, v219, v139 :: v_dual_fma_f32 v57, v206, v126, -v65
	v_dual_add_f32 v11, v11, v59 :: v_dual_add_f32 v9, v9, v17
	v_dual_mul_f32 v23, v210, v131 :: v_dual_mul_f32 v25, v212, v133
	s_wait_loadcnt_dscnt 0xb06
	v_dual_mul_f32 v17, v221, v141 :: v_dual_fma_f32 v59, v208, v128, -v67
	s_delay_alu instid0(VALU_DEP_3) | instskip(NEXT) | instid1(VALU_DEP_3)
	v_dual_fmac_f32 v21, v209, v128 :: v_dual_add_f32 v11, v11, v57
	v_dual_add_f32 v9, v9, v19 :: v_dual_fmac_f32 v23, v211, v130
	v_dual_mul_f32 v19, v223, v143 :: v_dual_fma_f32 v57, v210, v130, -v69
	s_delay_alu instid0(VALU_DEP_2) | instskip(SKIP_3) | instid1(VALU_DEP_3)
	v_dual_add_f32 v11, v11, v59 :: v_dual_add_f32 v9, v9, v21
	v_dual_mul_f32 v27, v214, v135 :: v_dual_mul_f32 v29, v216, v137
	s_wait_loadcnt_dscnt 0xa05
	v_dual_mul_f32 v21, v225, v145 :: v_dual_fma_f32 v59, v212, v132, -v71
	v_dual_fmac_f32 v25, v213, v132 :: v_dual_add_f32 v11, v11, v57
	s_delay_alu instid0(VALU_DEP_3) | instskip(SKIP_1) | instid1(VALU_DEP_2)
	v_dual_add_f32 v9, v9, v23 :: v_dual_fmac_f32 v27, v215, v134
	v_dual_mul_f32 v23, v227, v147 :: v_dual_fma_f32 v55, v214, v134, -v55
	v_dual_add_f32 v11, v11, v59 :: v_dual_add_f32 v9, v9, v25
	v_dual_mul_f32 v31, v218, v139 :: v_dual_mul_f32 v33, v220, v141
	s_wait_loadcnt_dscnt 0x904
	v_dual_mul_f32 v25, v229, v149 :: v_dual_fma_f32 v13, v216, v136, -v13
	s_delay_alu instid0(VALU_DEP_3) | instskip(NEXT) | instid1(VALU_DEP_3)
	v_dual_fmac_f32 v29, v217, v136 :: v_dual_add_f32 v11, v11, v55
	v_dual_add_f32 v9, v9, v27 :: v_dual_fmac_f32 v31, v219, v138
	v_dual_mul_f32 v27, v231, v151 :: v_dual_fma_f32 v15, v218, v138, -v15
	s_delay_alu instid0(VALU_DEP_3) | instskip(NEXT) | instid1(VALU_DEP_3)
	v_dual_add_f32 v11, v11, v13 :: v_dual_fmac_f32 v33, v221, v140
	v_dual_add_f32 v9, v9, v29 :: v_dual_fma_f32 v17, v220, v140, -v17
	v_dual_mul_f32 v35, v222, v143 :: v_dual_mul_f32 v37, v224, v145
	s_wait_loadcnt_dscnt 0x803
	s_delay_alu instid0(VALU_DEP_3) | instskip(NEXT) | instid1(VALU_DEP_2)
	v_dual_mul_f32 v13, v233, v153 :: v_dual_add_f32 v11, v11, v15
	v_dual_add_f32 v9, v9, v31 :: v_dual_fmac_f32 v35, v223, v142
	v_dual_mul_f32 v15, v235, v155 :: v_dual_fma_f32 v19, v222, v142, -v19
	s_delay_alu instid0(VALU_DEP_3) | instskip(NEXT) | instid1(VALU_DEP_3)
	v_dual_add_f32 v11, v11, v17 :: v_dual_fmac_f32 v37, v225, v144
	v_dual_add_f32 v9, v9, v33 :: v_dual_fma_f32 v21, v224, v144, -v21
	v_dual_mul_f32 v39, v226, v147 :: v_dual_mul_f32 v41, v228, v149
	s_wait_loadcnt_dscnt 0x702
	s_delay_alu instid0(VALU_DEP_3) | instskip(NEXT) | instid1(VALU_DEP_2)
	v_dual_mul_f32 v17, v237, v157 :: v_dual_add_f32 v11, v11, v19
	v_dual_add_f32 v9, v9, v35 :: v_dual_fmac_f32 v39, v227, v146
	v_dual_mul_f32 v19, v239, v159 :: v_dual_fma_f32 v23, v226, v146, -v23
	s_delay_alu instid0(VALU_DEP_3) | instskip(NEXT) | instid1(VALU_DEP_3)
	v_dual_add_f32 v11, v11, v21 :: v_dual_fmac_f32 v41, v229, v148
	v_dual_add_f32 v9, v9, v37 :: v_dual_fma_f32 v25, v228, v148, -v25
	v_dual_mul_f32 v43, v230, v151 :: v_dual_mul_f32 v45, v232, v153
	s_wait_loadcnt_dscnt 0x601
	s_delay_alu instid0(VALU_DEP_3) | instskip(NEXT) | instid1(VALU_DEP_2)
	v_dual_mul_f32 v21, v241, v161 :: v_dual_add_f32 v11, v11, v23
	v_dual_add_f32 v9, v9, v39 :: v_dual_fmac_f32 v43, v231, v150
	v_dual_mul_f32 v23, v243, v163 :: v_dual_fma_f32 v27, v230, v150, -v27
	s_delay_alu instid0(VALU_DEP_3) | instskip(NEXT) | instid1(VALU_DEP_3)
	v_dual_add_f32 v11, v11, v25 :: v_dual_fmac_f32 v45, v233, v152
	v_dual_add_f32 v9, v9, v41 :: v_dual_fma_f32 v13, v232, v152, -v13
	v_dual_mul_f32 v47, v234, v155 :: v_dual_mul_f32 v49, v236, v157
	s_wait_loadcnt 0x5
	s_delay_alu instid0(VALU_DEP_3) | instskip(NEXT) | instid1(VALU_DEP_3)
	v_dual_mul_f32 v25, v181, v165 :: v_dual_add_f32 v11, v11, v27
	v_dual_add_f32 v9, v9, v43 :: v_dual_mov_b32 v116, v167
	s_delay_alu instid0(VALU_DEP_3) | instskip(NEXT) | instid1(VALU_DEP_3)
	v_fmac_f32_e32 v47, v235, v154
	v_dual_fma_f32 v15, v234, v154, -v15 :: v_dual_add_f32 v11, v11, v13
	s_delay_alu instid0(VALU_DEP_3) | instskip(SKIP_1) | instid1(VALU_DEP_3)
	v_dual_add_f32 v9, v9, v45 :: v_dual_mul_f32 v51, v238, v159
	v_dual_mul_f32 v53, v240, v161 :: v_dual_fmac_f32 v49, v237, v156
	v_dual_add_f32 v11, v11, v15 :: v_dual_fma_f32 v13, v236, v156, -v17
	s_wait_loadcnt 0x4
	s_delay_alu instid0(VALU_DEP_3) | instskip(SKIP_3) | instid1(VALU_DEP_4)
	v_dual_add_f32 v9, v9, v47 :: v_dual_mov_b32 v120, v171
	v_fma_f32 v15, v238, v158, -v19
	v_fmac_f32_e32 v51, v239, v158
	v_dual_add_f32 v11, v11, v13 :: v_dual_fmac_f32 v53, v241, v160
	v_add_f32_e32 v9, v9, v49
	s_set_vgpr_msb 64                       ;  msbs: dst=1 src0=0 src1=0 src2=0
	v_dual_mul_f32 v3 /*v259*/, v242, v163 :: v_dual_mul_f32 v5 /*v261*/, v180, v165
	s_set_vgpr_msb 0                        ;  msbs: dst=0 src0=0 src1=0 src2=0
	v_fma_f32 v13, v240, v160, -v21
	v_pk_mul_f32 v[116:117], v[250:251], v[116:117] op_sel_hi:[1,0]
	v_add_f32_e32 v9, v9, v51
	v_add_f32_e32 v11, v11, v15
	s_set_vgpr_msb 64                       ;  msbs: dst=1 src0=0 src1=0 src2=0
	v_dual_fmac_f32 v3 /*v259*/, v243, v162 :: v_dual_fmac_f32 v5 /*v261*/, v181, v164
	v_dual_fma_f32 v2 /*v258*/, v242, v162, -v23 :: v_dual_fma_f32 v4 /*v260*/, v180, v164, -v25
	s_set_vgpr_msb 0                        ;  msbs: dst=0 src0=0 src1=0 src2=0
	v_add_f32_e32 v125, v9, v53
	v_pk_fma_f32 v[128:129], v[182:183], v[166:167], v[116:117] op_sel_hi:[1,0,1]
	v_add_f32_e32 v124, v11, v13
	v_pk_fma_f32 v[116:117], v[182:183], v[166:167], v[116:117] neg_lo:[0,0,1] neg_hi:[0,0,1]
	v_pk_mul_f32 v[118:119], v[184:185], v[168:169] op_sel:[1,1] op_sel_hi:[0,1]
	v_pk_mul_f32 v[120:121], v[252:253], v[120:121] op_sel_hi:[1,0]
	v_mov_b32_e32 v117, v129
	s_set_vgpr_msb 4                        ;  msbs: dst=0 src0=0 src1=1 src2=0
	v_pk_add_f32 v[124:125], v[124:125], v[2:3] /*v[258:259]*/
	s_wait_loadcnt 0x3
	s_set_vgpr_msb 0                        ;  msbs: dst=0 src0=0 src1=0 src2=0
	v_pk_mul_f32 v[122:123], v[188:189], v[172:173] op_sel:[1,1] op_sel_hi:[0,1]
	v_pk_fma_f32 v[130:131], v[184:185], v[168:169], v[118:119] op_sel_hi:[1,0,1]
	v_pk_fma_f32 v[118:119], v[184:185], v[168:169], v[118:119] neg_lo:[0,0,1] neg_hi:[0,0,1]
	v_mov_b32_e32 v126, v175
	s_set_vgpr_msb 4                        ;  msbs: dst=0 src0=0 src1=1 src2=0
	v_pk_add_f32 v[124:125], v[124:125], v[4:5] /*v[260:261]*/
	s_wait_loadcnt 0x2
	s_set_vgpr_msb 0                        ;  msbs: dst=0 src0=0 src1=0 src2=0
	v_pk_mul_f32 v[128:129], v[192:193], v[176:177] op_sel:[1,1] op_sel_hi:[0,1]
	v_mov_b32_e32 v119, v131
	v_pk_fma_f32 v[130:131], v[186:187], v[170:171], v[120:121] op_sel_hi:[1,0,1]
	v_pk_fma_f32 v[120:121], v[186:187], v[170:171], v[120:121] neg_lo:[0,0,1] neg_hi:[0,0,1]
	v_pk_add_f32 v[116:117], v[124:125], v[116:117]
	v_pk_fma_f32 v[124:125], v[188:189], v[172:173], v[122:123] op_sel_hi:[1,0,1]
	v_pk_mul_f32 v[126:127], v[254:255], v[126:127] op_sel_hi:[1,0]
	v_mov_b32_e32 v121, v131
	v_pk_fma_f32 v[122:123], v[188:189], v[172:173], v[122:123] neg_lo:[0,0,1] neg_hi:[0,0,1]
	v_pk_add_f32 v[116:117], v[116:117], v[118:119]
	v_dual_mov_b32 v118, v179 :: v_dual_mov_b32 v123, v125
	v_pk_fma_f32 v[124:125], v[190:191], v[174:175], v[126:127] op_sel_hi:[1,0,1]
	v_pk_fma_f32 v[126:127], v[190:191], v[174:175], v[126:127] neg_lo:[0,0,1] neg_hi:[0,0,1]
	s_delay_alu instid0(VALU_DEP_4)
	v_pk_add_f32 v[116:117], v[116:117], v[120:121]
	v_pk_fma_f32 v[120:121], v[192:193], v[176:177], v[128:129] op_sel_hi:[1,0,1]
	s_set_vgpr_msb 1                        ;  msbs: dst=0 src0=1 src1=0 src2=0
	v_pk_mul_f32 v[118:119], v[0:1] /*v[256:257]*/, v[118:119] op_sel_hi:[1,0]
	s_set_vgpr_msb 0                        ;  msbs: dst=0 src0=0 src1=0 src2=0
	v_mov_b32_e32 v127, v125
	s_wait_loadcnt_dscnt 0x100
	v_pk_mul_f32 v[124:125], v[248:249], v[244:245] op_sel:[1,1] op_sel_hi:[0,1]
	v_pk_add_f32 v[116:117], v[116:117], v[122:123]
	v_pk_fma_f32 v[122:123], v[192:193], v[176:177], v[128:129] neg_lo:[0,0,1] neg_hi:[0,0,1]
	v_mov_b32_e32 v123, v121
	v_pk_fma_f32 v[120:121], v[194:195], v[178:179], v[118:119] op_sel_hi:[1,0,1]
	v_pk_fma_f32 v[118:119], v[194:195], v[178:179], v[118:119] neg_lo:[0,0,1] neg_hi:[0,0,1]
	v_pk_add_f32 v[116:117], v[116:117], v[126:127]
	s_delay_alu instid0(VALU_DEP_3) | instskip(SKIP_1) | instid1(VALU_DEP_3)
	v_mov_b32_e32 v119, v121
	v_pk_fma_f32 v[120:121], v[248:249], v[244:245], v[124:125] op_sel_hi:[1,0,1]
	v_pk_add_f32 v[116:117], v[116:117], v[122:123]
	v_pk_fma_f32 v[122:123], v[248:249], v[244:245], v[124:125] neg_lo:[0,0,1] neg_hi:[0,0,1]
	s_delay_alu instid0(VALU_DEP_3) | instskip(NEXT) | instid1(VALU_DEP_3)
	v_mov_b32_e32 v123, v121
	v_pk_add_f32 v[116:117], v[116:117], v[118:119]
	s_delay_alu instid0(VALU_DEP_1) | instskip(SKIP_1) | instid1(VALU_DEP_1)
	v_pk_add_f32 v[116:117], v[116:117], v[122:123]
	s_wait_loadcnt 0x0
	v_pk_add_f32 v[116:117], v[246:247], v[116:117] neg_lo:[0,1] neg_hi:[0,1]
	scratch_store_b64 off, v[116:117], off offset:184
	s_wait_xcnt 0x0
	v_cmpx_lt_u32_e32 22, v0
	s_cbranch_execz .LBB56_311
; %bb.310:
	scratch_load_b64 v[116:117], off, off offset:176
	v_mov_b64_e32 v[118:119], 0
	scratch_store_b64 off, v[118:119], off offset:176
	s_wait_loadcnt 0x0
	ds_store_b64 v1, v[116:117]
.LBB56_311:
	s_wait_xcnt 0x0
	s_or_b32 exec_lo, exec_lo, s0
	s_wait_storecnt_dscnt 0x0
	s_barrier_signal -1
	s_barrier_wait -1
	s_clause 0x11
	scratch_load_b128 v[116:119], off, off offset:184
	scratch_load_b128 v[120:123], off, off offset:200
	;; [unrolled: 1-line block ×17, first 2 shown]
	scratch_load_b64 v[252:253], off, off offset:176
	ds_load_2addr_b64 v[184:187], v7 offset0:107 offset1:108
	ds_load_2addr_b64 v[188:191], v7 offset0:109 offset1:110
	;; [unrolled: 1-line block ×17, first 2 shown]
	s_mov_b32 s0, exec_lo
	s_wait_dscnt 0x10
	v_dual_mov_b32 v254, v187 :: v_dual_mov_b32 v255, v186
	s_wait_dscnt 0xf
	s_set_vgpr_msb 64                       ;  msbs: dst=1 src0=0 src1=0 src2=0
	v_dual_mov_b32 v0 /*v256*/, v191 :: v_dual_mov_b32 v1 /*v257*/, v190
	s_wait_dscnt 0xe
	v_dual_mov_b32 v2 /*v258*/, v195 :: v_dual_mov_b32 v3 /*v259*/, v194
	s_wait_dscnt 0xd
	v_dual_mov_b32 v4 /*v260*/, v199 :: v_dual_mov_b32 v5 /*v261*/, v198
	s_wait_loadcnt_dscnt 0x110b
	s_set_vgpr_msb 0                        ;  msbs: dst=0 src0=0 src1=0 src2=0
	v_dual_mul_f32 v7, v204, v117 :: v_dual_mul_f32 v9, v206, v119
	v_dual_mul_f32 v55, v205, v117 :: v_dual_mul_f32 v57, v207, v119
	s_wait_loadcnt_dscnt 0x100a
	v_dual_mul_f32 v11, v208, v121 :: v_dual_mul_f32 v13, v210, v123
	s_delay_alu instid0(VALU_DEP_3) | instskip(SKIP_3) | instid1(VALU_DEP_3)
	v_dual_fmac_f32 v7, v205, v116 :: v_dual_fmac_f32 v9, v207, v118
	s_wait_loadcnt_dscnt 0xe08
	v_dual_fma_f32 v55, v204, v116, -v55 :: v_dual_mul_f32 v67, v217, v129
	v_dual_mul_f32 v59, v209, v121 :: v_dual_mul_f32 v61, v211, v123
	v_dual_fma_f32 v57, v206, v118, -v57 :: v_dual_add_f32 v7, 0, v7
	s_delay_alu instid0(VALU_DEP_3) | instskip(SKIP_1) | instid1(VALU_DEP_4)
	v_dual_add_f32 v55, 0, v55 :: v_dual_fmac_f32 v11, v209, v120
	v_dual_mul_f32 v15, v212, v125 :: v_dual_mul_f32 v17, v214, v127
	v_dual_mul_f32 v69, v219, v131 :: v_dual_fma_f32 v59, v208, v120, -v59
	s_delay_alu instid0(VALU_DEP_4) | instskip(NEXT) | instid1(VALU_DEP_3)
	v_add_f32_e32 v7, v7, v9
	v_dual_add_f32 v9, v55, v57 :: v_dual_fmac_f32 v15, v213, v124
	v_dual_mul_f32 v63, v213, v125 :: v_dual_mul_f32 v65, v215, v127
	s_wait_loadcnt_dscnt 0xd07
	v_dual_mul_f32 v55, v221, v133 :: v_dual_fmac_f32 v13, v211, v122
	v_dual_fma_f32 v57, v210, v122, -v61 :: v_dual_add_f32 v7, v7, v11
	s_delay_alu instid0(VALU_DEP_3) | instskip(SKIP_1) | instid1(VALU_DEP_3)
	v_dual_add_f32 v9, v9, v59 :: v_dual_fma_f32 v59, v212, v124, -v63
	v_dual_mul_f32 v19, v216, v129 :: v_dual_mul_f32 v21, v218, v131
	v_add_f32_e32 v7, v7, v13
	s_delay_alu instid0(VALU_DEP_3) | instskip(SKIP_2) | instid1(VALU_DEP_3)
	v_dual_mul_f32 v11, v223, v135 :: v_dual_add_f32 v9, v9, v57
	s_wait_loadcnt_dscnt 0xc06
	v_dual_mul_f32 v13, v225, v137 :: v_dual_fmac_f32 v17, v215, v126
	v_dual_fma_f32 v57, v214, v126, -v65 :: v_dual_add_f32 v7, v7, v15
	s_delay_alu instid0(VALU_DEP_3) | instskip(SKIP_1) | instid1(VALU_DEP_3)
	v_dual_add_f32 v9, v9, v59 :: v_dual_fma_f32 v59, v216, v128, -v67
	v_dual_mul_f32 v15, v227, v139 :: v_dual_fmac_f32 v19, v217, v128
	v_add_f32_e32 v7, v7, v17
	s_delay_alu instid0(VALU_DEP_3)
	v_dual_add_f32 v9, v9, v57 :: v_dual_fmac_f32 v21, v219, v130
	v_dual_mul_f32 v23, v220, v133 :: v_dual_mul_f32 v25, v222, v135
	s_wait_loadcnt_dscnt 0xb05
	v_dual_fma_f32 v57, v218, v130, -v69 :: v_dual_mul_f32 v17, v229, v141
	v_add_f32_e32 v7, v7, v19
	v_dual_add_f32 v9, v9, v59 :: v_dual_fma_f32 v55, v220, v132, -v55
	v_dual_mul_f32 v19, v231, v143 :: v_dual_fmac_f32 v23, v221, v132
	s_delay_alu instid0(VALU_DEP_3) | instskip(NEXT) | instid1(VALU_DEP_3)
	v_dual_add_f32 v7, v7, v21 :: v_dual_fma_f32 v11, v222, v134, -v11
	v_dual_add_f32 v9, v9, v57 :: v_dual_fmac_f32 v25, v223, v134
	v_dual_mul_f32 v27, v224, v137 :: v_dual_mul_f32 v29, v226, v139
	s_wait_loadcnt_dscnt 0xa04
	s_delay_alu instid0(VALU_DEP_3) | instskip(NEXT) | instid1(VALU_DEP_3)
	v_dual_mul_f32 v21, v233, v145 :: v_dual_add_f32 v7, v7, v23
	v_dual_add_f32 v9, v9, v55 :: v_dual_fma_f32 v13, v224, v136, -v13
	s_delay_alu instid0(VALU_DEP_3) | instskip(NEXT) | instid1(VALU_DEP_2)
	v_dual_mul_f32 v23, v235, v147 :: v_dual_fmac_f32 v27, v225, v136
	v_dual_add_f32 v7, v7, v25 :: v_dual_add_f32 v9, v9, v11
	v_dual_mul_f32 v31, v228, v141 :: v_dual_mul_f32 v33, v230, v143
	s_wait_loadcnt_dscnt 0x903
	v_dual_mul_f32 v11, v237, v149 :: v_dual_fmac_f32 v29, v227, v138
	s_delay_alu instid0(VALU_DEP_3) | instskip(SKIP_2) | instid1(VALU_DEP_2)
	v_dual_fma_f32 v15, v226, v138, -v15 :: v_dual_add_f32 v7, v7, v27
	v_dual_add_f32 v9, v9, v13 :: v_dual_mul_f32 v13, v239, v151
	v_dual_fmac_f32 v31, v229, v140 :: v_dual_fma_f32 v17, v228, v140, -v17
	v_dual_add_f32 v7, v7, v29 :: v_dual_add_f32 v9, v9, v15
	v_dual_mul_f32 v35, v232, v145 :: v_dual_mul_f32 v37, v234, v147
	s_wait_loadcnt_dscnt 0x802
	v_dual_mul_f32 v15, v241, v153 :: v_dual_fmac_f32 v33, v231, v142
	s_delay_alu instid0(VALU_DEP_3) | instskip(SKIP_2) | instid1(VALU_DEP_2)
	v_dual_fma_f32 v19, v230, v142, -v19 :: v_dual_add_f32 v7, v7, v31
	v_dual_add_f32 v9, v9, v17 :: v_dual_mul_f32 v17, v243, v155
	v_dual_fmac_f32 v35, v233, v144 :: v_dual_fma_f32 v21, v232, v144, -v21
	v_dual_add_f32 v7, v7, v33 :: v_dual_add_f32 v9, v9, v19
	v_dual_mul_f32 v39, v236, v149 :: v_dual_mul_f32 v41, v238, v151
	s_wait_loadcnt_dscnt 0x701
	v_dual_mul_f32 v19, v245, v157 :: v_dual_fmac_f32 v37, v235, v146
	s_delay_alu instid0(VALU_DEP_3) | instskip(SKIP_2) | instid1(VALU_DEP_3)
	v_dual_fma_f32 v23, v234, v146, -v23 :: v_dual_add_f32 v7, v7, v35
	v_dual_add_f32 v9, v9, v21 :: v_dual_mul_f32 v21, v247, v159
	v_fmac_f32_e32 v39, v237, v148
	v_dual_fma_f32 v11, v236, v148, -v11 :: v_dual_add_f32 v7, v7, v37
	s_delay_alu instid0(VALU_DEP_3)
	v_dual_add_f32 v9, v9, v23 :: v_dual_mul_f32 v43, v240, v153
	s_wait_loadcnt_dscnt 0x600
	v_dual_mul_f32 v45, v242, v155 :: v_dual_mul_f32 v23, v249, v161
	v_fmac_f32_e32 v41, v239, v150
	v_dual_fma_f32 v13, v238, v150, -v13 :: v_dual_add_f32 v7, v7, v39
	v_dual_add_f32 v9, v9, v11 :: v_dual_fma_f32 v15, v240, v152, -v15
	v_dual_mul_f32 v11, v251, v163 :: v_dual_fmac_f32 v43, v241, v152
	s_delay_alu instid0(VALU_DEP_3) | instskip(NEXT) | instid1(VALU_DEP_3)
	v_dual_add_f32 v7, v7, v41 :: v_dual_fma_f32 v17, v242, v154, -v17
	v_dual_add_f32 v9, v9, v13 :: v_dual_fmac_f32 v45, v243, v154
	v_dual_mul_f32 v47, v244, v157 :: v_dual_mul_f32 v49, v246, v159
	s_wait_loadcnt 0x5
	s_delay_alu instid0(VALU_DEP_3) | instskip(NEXT) | instid1(VALU_DEP_3)
	v_dual_mul_f32 v13, v201, v165 :: v_dual_add_f32 v7, v7, v43
	v_dual_add_f32 v9, v9, v15 :: v_dual_fma_f32 v19, v244, v156, -v19
	s_delay_alu instid0(VALU_DEP_3) | instskip(NEXT) | instid1(VALU_DEP_3)
	v_dual_mul_f32 v15, v203, v167 :: v_dual_fmac_f32 v47, v245, v156
	v_add_f32_e32 v7, v7, v45
	s_delay_alu instid0(VALU_DEP_3) | instskip(SKIP_1) | instid1(VALU_DEP_3)
	v_dual_add_f32 v9, v9, v17 :: v_dual_fmac_f32 v49, v247, v158
	v_dual_mul_f32 v51, v248, v161 :: v_dual_mul_f32 v53, v250, v163
	v_dual_fma_f32 v17, v246, v158, -v21 :: v_dual_add_f32 v7, v7, v47
	s_wait_loadcnt 0x4
	s_delay_alu instid0(VALU_DEP_3) | instskip(NEXT) | instid1(VALU_DEP_3)
	v_dual_add_f32 v9, v9, v19 :: v_dual_mov_b32 v118, v171
	v_fmac_f32_e32 v51, v249, v160
	s_delay_alu instid0(VALU_DEP_3) | instskip(NEXT) | instid1(VALU_DEP_3)
	v_dual_fma_f32 v19, v248, v160, -v23 :: v_dual_add_f32 v7, v7, v49
	v_dual_add_f32 v9, v9, v17 :: v_dual_fmac_f32 v53, v251, v162
	s_set_vgpr_msb 64                       ;  msbs: dst=1 src0=0 src1=0 src2=0
	v_dual_mul_f32 v7 /*v263*/, v200, v165 :: v_dual_mul_f32 v9 /*v265*/, v202, v167
	s_set_vgpr_msb 0                        ;  msbs: dst=0 src0=0 src1=0 src2=0
	v_dual_fma_f32 v11, v250, v162, -v11 :: v_dual_add_f32 v7, v7, v51
	s_wait_loadcnt 0x3
	v_dual_add_f32 v9, v9, v19 :: v_dual_mov_b32 v122, v175
	v_pk_mul_f32 v[116:117], v[184:185], v[168:169] op_sel:[1,1] op_sel_hi:[0,1]
	s_set_vgpr_msb 64                       ;  msbs: dst=1 src0=0 src1=0 src2=0
	v_dual_fmac_f32 v7 /*v263*/, v201, v164 :: v_dual_fmac_f32 v9 /*v265*/, v203, v166
	v_dual_fma_f32 v6 /*v262*/, v200, v164, -v13 :: v_dual_fma_f32 v8 /*v264*/, v202, v166, -v15
	s_set_vgpr_msb 0                        ;  msbs: dst=0 src0=0 src1=0 src2=0
	v_dual_add_f32 v125, v7, v53 :: v_dual_add_f32 v124, v9, v11
	v_pk_fma_f32 v[126:127], v[184:185], v[168:169], v[116:117] op_sel_hi:[1,0,1]
	v_pk_mul_f32 v[118:119], v[254:255], v[118:119] op_sel_hi:[1,0]
	v_pk_fma_f32 v[116:117], v[184:185], v[168:169], v[116:117] neg_lo:[0,0,1] neg_hi:[0,0,1]
	v_pk_mul_f32 v[120:121], v[188:189], v[172:173] op_sel:[1,1] op_sel_hi:[0,1]
	s_set_vgpr_msb 4                        ;  msbs: dst=0 src0=0 src1=1 src2=0
	v_pk_add_f32 v[124:125], v[124:125], v[6:7] /*v[262:263]*/
	v_mov_b32_e32 v117, v127
	s_set_vgpr_msb 0                        ;  msbs: dst=0 src0=0 src1=0 src2=0
	v_pk_fma_f32 v[126:127], v[186:187], v[170:171], v[118:119] op_sel_hi:[1,0,1]
	v_pk_fma_f32 v[118:119], v[186:187], v[170:171], v[118:119] neg_lo:[0,0,1] neg_hi:[0,0,1]
	v_pk_fma_f32 v[130:131], v[188:189], v[172:173], v[120:121] op_sel_hi:[1,0,1]
	s_set_vgpr_msb 4                        ;  msbs: dst=0 src0=0 src1=1 src2=0
	v_pk_add_f32 v[124:125], v[124:125], v[8:9] /*v[264:265]*/
	s_set_vgpr_msb 1                        ;  msbs: dst=0 src0=1 src1=0 src2=0
	v_pk_mul_f32 v[122:123], v[0:1] /*v[256:257]*/, v[122:123] op_sel_hi:[1,0]
	s_set_vgpr_msb 0                        ;  msbs: dst=0 src0=0 src1=0 src2=0
	v_mov_b32_e32 v119, v127
	s_wait_loadcnt 0x2
	v_pk_mul_f32 v[128:129], v[192:193], v[176:177] op_sel:[1,1] op_sel_hi:[0,1]
	v_pk_fma_f32 v[120:121], v[188:189], v[172:173], v[120:121] neg_lo:[0,0,1] neg_hi:[0,0,1]
	v_pk_add_f32 v[116:117], v[124:125], v[116:117]
	v_dual_mov_b32 v124, v179 :: v_dual_mov_b32 v121, v131
	v_pk_fma_f32 v[126:127], v[190:191], v[174:175], v[122:123] op_sel_hi:[1,0,1]
	v_pk_fma_f32 v[122:123], v[190:191], v[174:175], v[122:123] neg_lo:[0,0,1] neg_hi:[0,0,1]
	s_delay_alu instid0(VALU_DEP_4)
	v_pk_add_f32 v[116:117], v[116:117], v[118:119]
	v_pk_fma_f32 v[118:119], v[192:193], v[176:177], v[128:129] op_sel_hi:[1,0,1]
	s_set_vgpr_msb 1                        ;  msbs: dst=0 src0=1 src1=0 src2=0
	v_pk_mul_f32 v[124:125], v[2:3] /*v[258:259]*/, v[124:125] op_sel_hi:[1,0]
	s_set_vgpr_msb 0                        ;  msbs: dst=0 src0=0 src1=0 src2=0
	v_mov_b32_e32 v123, v127
	v_pk_fma_f32 v[126:127], v[192:193], v[176:177], v[128:129] neg_lo:[0,0,1] neg_hi:[0,0,1]
	v_pk_add_f32 v[116:117], v[116:117], v[120:121]
	v_mov_b32_e32 v127, v119
	v_pk_fma_f32 v[118:119], v[194:195], v[178:179], v[124:125] op_sel_hi:[1,0,1]
	s_wait_loadcnt 0x1
	v_pk_mul_f32 v[120:121], v[196:197], v[180:181] op_sel:[1,1] op_sel_hi:[0,1]
	v_mov_b32_e32 v118, v183
	v_pk_add_f32 v[116:117], v[116:117], v[122:123]
	v_pk_fma_f32 v[124:125], v[194:195], v[178:179], v[124:125] neg_lo:[0,0,1] neg_hi:[0,0,1]
	v_mov_b32_e32 v125, v119
	v_pk_fma_f32 v[122:123], v[196:197], v[180:181], v[120:121] op_sel_hi:[1,0,1]
	s_set_vgpr_msb 1                        ;  msbs: dst=0 src0=1 src1=0 src2=0
	v_pk_mul_f32 v[118:119], v[4:5] /*v[260:261]*/, v[118:119] op_sel_hi:[1,0]
	s_set_vgpr_msb 0                        ;  msbs: dst=0 src0=0 src1=0 src2=0
	v_pk_add_f32 v[116:117], v[116:117], v[126:127]
	v_pk_fma_f32 v[120:121], v[196:197], v[180:181], v[120:121] neg_lo:[0,0,1] neg_hi:[0,0,1]
	v_mov_b32_e32 v121, v123
	v_pk_fma_f32 v[122:123], v[198:199], v[182:183], v[118:119] op_sel_hi:[1,0,1]
	s_delay_alu instid0(VALU_DEP_4) | instskip(SKIP_1) | instid1(VALU_DEP_3)
	v_pk_add_f32 v[116:117], v[116:117], v[124:125]
	v_pk_fma_f32 v[118:119], v[198:199], v[182:183], v[118:119] neg_lo:[0,0,1] neg_hi:[0,0,1]
	v_mov_b32_e32 v119, v123
	s_delay_alu instid0(VALU_DEP_3) | instskip(NEXT) | instid1(VALU_DEP_1)
	v_pk_add_f32 v[116:117], v[116:117], v[120:121]
	v_pk_add_f32 v[116:117], v[116:117], v[118:119]
	s_wait_loadcnt 0x0
	s_delay_alu instid0(VALU_DEP_1)
	v_pk_add_f32 v[116:117], v[252:253], v[116:117] neg_lo:[0,1] neg_hi:[0,1]
	scratch_store_b64 off, v[116:117], off offset:176
	s_wait_xcnt 0x0
	v_cmpx_lt_u32_e32 21, v0
	s_cbranch_execz .LBB56_313
; %bb.312:
	scratch_load_b64 v[116:117], off, off offset:168
	v_mov_b64_e32 v[118:119], 0
	scratch_store_b64 off, v[118:119], off offset:168
	s_wait_loadcnt 0x0
	ds_store_b64 v1, v[116:117]
.LBB56_313:
	s_wait_xcnt 0x0
	s_or_b32 exec_lo, exec_lo, s0
	s_wait_storecnt_dscnt 0x0
	s_barrier_signal -1
	s_barrier_wait -1
	s_clause 0x12
	scratch_load_b128 v[116:119], off, off offset:176
	scratch_load_b128 v[120:123], off, off offset:192
	scratch_load_b128 v[124:127], off, off offset:208
	scratch_load_b128 v[128:131], off, off offset:224
	scratch_load_b128 v[132:135], off, off offset:240
	scratch_load_b128 v[136:139], off, off offset:256
	scratch_load_b128 v[140:143], off, off offset:272
	scratch_load_b128 v[144:147], off, off offset:288
	scratch_load_b128 v[148:151], off, off offset:304
	scratch_load_b128 v[152:155], off, off offset:320
	scratch_load_b128 v[156:159], off, off offset:336
	scratch_load_b128 v[160:163], off, off offset:352
	scratch_load_b128 v[164:167], off, off offset:368
	scratch_load_b128 v[168:171], off, off offset:384
	scratch_load_b128 v[172:175], off, off offset:400
	scratch_load_b128 v[176:179], off, off offset:416
	scratch_load_b128 v[180:183], off, off offset:432
	scratch_load_b64 v[252:253], off, off offset:448
	scratch_load_b64 v[254:255], off, off offset:168
	v_mov_b32_e32 v7, 0
	ds_load_b128 v[184:187], v7 offset:848
	ds_load_b128 v[188:191], v7 offset:864
	;; [unrolled: 1-line block ×17, first 2 shown]
	s_set_vgpr_msb 64                       ;  msbs: dst=1 src0=0 src1=0 src2=0
	ds_load_b64 v[0:1] /*v[256:257]*/, v7 offset:912
	s_mov_b32 s0, exec_lo
	s_wait_dscnt 0x11
	v_dual_mov_b32 v2 /*v258*/, v187 :: v_dual_mov_b32 v3 /*v259*/, v186
	s_wait_dscnt 0x10
	v_dual_mov_b32 v4 /*v260*/, v191 :: v_dual_mov_b32 v5 /*v261*/, v190
	;; [unrolled: 2-line block ×4, first 2 shown]
	s_wait_loadcnt_dscnt 0x120c
	s_set_vgpr_msb 0                        ;  msbs: dst=0 src0=0 src1=0 src2=0
	v_dual_mul_f32 v9, v204, v117 :: v_dual_mul_f32 v59, v205, v117
	v_dual_mul_f32 v61, v207, v119 :: v_dual_mul_f32 v11, v206, v119
	s_wait_loadcnt_dscnt 0x110b
	v_mul_f32_e32 v13, v208, v121
	s_wait_loadcnt_dscnt 0xf09
	v_dual_mul_f32 v71, v217, v129 :: v_dual_fma_f32 v59, v204, v116, -v59
	v_dual_fmac_f32 v9, v205, v116 :: v_dual_mul_f32 v73, v219, v131
	v_dual_mul_f32 v63, v209, v121 :: v_dual_mul_f32 v65, v211, v123
	v_dual_fmac_f32 v11, v207, v118 :: v_dual_fma_f32 v61, v206, v118, -v61
	s_delay_alu instid0(VALU_DEP_3) | instskip(SKIP_4) | instid1(VALU_DEP_3)
	v_dual_add_f32 v9, 0, v9 :: v_dual_add_f32 v59, 0, v59
	v_dual_mul_f32 v15, v210, v123 :: v_dual_mul_f32 v17, v212, v125
	s_wait_loadcnt_dscnt 0xe08
	v_dual_mul_f32 v75, v221, v133 :: v_dual_fma_f32 v63, v208, v120, -v63
	v_fmac_f32_e32 v13, v209, v120
	v_dual_add_f32 v9, v9, v11 :: v_dual_fmac_f32 v15, v211, v122
	v_add_f32_e32 v11, v59, v61
	v_dual_mul_f32 v67, v213, v125 :: v_dual_mul_f32 v69, v215, v127
	v_dual_mul_f32 v59, v223, v135 :: v_dual_fma_f32 v61, v210, v122, -v65
	s_delay_alu instid0(VALU_DEP_3) | instskip(SKIP_3) | instid1(VALU_DEP_3)
	v_dual_add_f32 v9, v9, v13 :: v_dual_add_f32 v11, v11, v63
	v_dual_mul_f32 v19, v214, v127 :: v_dual_mul_f32 v21, v216, v129
	s_wait_loadcnt_dscnt 0xd07
	v_dual_mul_f32 v13, v225, v137 :: v_dual_fma_f32 v63, v212, v124, -v67
	v_dual_fmac_f32 v17, v213, v124 :: v_dual_add_f32 v11, v11, v61
	s_delay_alu instid0(VALU_DEP_3) | instskip(SKIP_1) | instid1(VALU_DEP_2)
	v_dual_add_f32 v9, v9, v15 :: v_dual_fmac_f32 v19, v215, v126
	v_dual_mul_f32 v15, v227, v139 :: v_dual_fma_f32 v61, v214, v126, -v69
	v_dual_add_f32 v11, v11, v63 :: v_dual_add_f32 v9, v9, v17
	v_dual_mul_f32 v23, v218, v131 :: v_dual_mul_f32 v25, v220, v133
	s_wait_loadcnt_dscnt 0xc06
	v_dual_mul_f32 v17, v229, v141 :: v_dual_fma_f32 v63, v216, v128, -v71
	s_delay_alu instid0(VALU_DEP_3) | instskip(NEXT) | instid1(VALU_DEP_3)
	v_dual_fmac_f32 v21, v217, v128 :: v_dual_add_f32 v11, v11, v61
	v_dual_add_f32 v9, v9, v19 :: v_dual_fmac_f32 v23, v219, v130
	v_dual_mul_f32 v19, v231, v143 :: v_dual_fma_f32 v61, v218, v130, -v73
	s_delay_alu instid0(VALU_DEP_2) | instskip(SKIP_3) | instid1(VALU_DEP_3)
	v_dual_add_f32 v11, v11, v63 :: v_dual_add_f32 v9, v9, v21
	v_dual_mul_f32 v27, v222, v135 :: v_dual_mul_f32 v29, v224, v137
	s_wait_loadcnt_dscnt 0xb05
	v_dual_mul_f32 v21, v233, v145 :: v_dual_fma_f32 v63, v220, v132, -v75
	v_dual_fmac_f32 v25, v221, v132 :: v_dual_add_f32 v11, v11, v61
	s_delay_alu instid0(VALU_DEP_3) | instskip(SKIP_1) | instid1(VALU_DEP_2)
	v_dual_add_f32 v9, v9, v23 :: v_dual_fmac_f32 v27, v223, v134
	v_dual_mul_f32 v23, v235, v147 :: v_dual_fma_f32 v59, v222, v134, -v59
	v_dual_add_f32 v11, v11, v63 :: v_dual_add_f32 v9, v9, v25
	v_dual_mul_f32 v31, v226, v139 :: v_dual_mul_f32 v33, v228, v141
	s_wait_loadcnt_dscnt 0xa04
	v_dual_mul_f32 v25, v237, v149 :: v_dual_fma_f32 v13, v224, v136, -v13
	s_delay_alu instid0(VALU_DEP_3) | instskip(NEXT) | instid1(VALU_DEP_3)
	v_dual_fmac_f32 v29, v225, v136 :: v_dual_add_f32 v11, v11, v59
	v_dual_add_f32 v9, v9, v27 :: v_dual_fmac_f32 v31, v227, v138
	v_dual_mul_f32 v27, v239, v151 :: v_dual_fma_f32 v15, v226, v138, -v15
	s_delay_alu instid0(VALU_DEP_3) | instskip(NEXT) | instid1(VALU_DEP_3)
	v_dual_add_f32 v11, v11, v13 :: v_dual_fmac_f32 v33, v229, v140
	v_dual_add_f32 v9, v9, v29 :: v_dual_fma_f32 v17, v228, v140, -v17
	v_dual_mul_f32 v35, v230, v143 :: v_dual_mul_f32 v37, v232, v145
	s_wait_loadcnt_dscnt 0x903
	s_delay_alu instid0(VALU_DEP_3) | instskip(NEXT) | instid1(VALU_DEP_2)
	v_dual_mul_f32 v13, v241, v153 :: v_dual_add_f32 v11, v11, v15
	v_dual_add_f32 v9, v9, v31 :: v_dual_fmac_f32 v35, v231, v142
	v_dual_mul_f32 v15, v243, v155 :: v_dual_fma_f32 v19, v230, v142, -v19
	s_delay_alu instid0(VALU_DEP_3) | instskip(NEXT) | instid1(VALU_DEP_3)
	v_dual_add_f32 v11, v11, v17 :: v_dual_fmac_f32 v37, v233, v144
	v_dual_add_f32 v9, v9, v33 :: v_dual_fma_f32 v21, v232, v144, -v21
	v_dual_mul_f32 v39, v234, v147 :: v_dual_mul_f32 v41, v236, v149
	s_wait_loadcnt_dscnt 0x802
	s_delay_alu instid0(VALU_DEP_3) | instskip(NEXT) | instid1(VALU_DEP_2)
	v_dual_mul_f32 v17, v245, v157 :: v_dual_add_f32 v11, v11, v19
	v_dual_add_f32 v9, v9, v35 :: v_dual_fmac_f32 v39, v235, v146
	v_dual_mul_f32 v19, v247, v159 :: v_dual_fma_f32 v23, v234, v146, -v23
	s_delay_alu instid0(VALU_DEP_3) | instskip(NEXT) | instid1(VALU_DEP_3)
	v_dual_add_f32 v11, v11, v21 :: v_dual_fmac_f32 v41, v237, v148
	v_dual_add_f32 v9, v9, v37 :: v_dual_fma_f32 v25, v236, v148, -v25
	v_dual_mul_f32 v43, v238, v151 :: v_dual_mul_f32 v45, v240, v153
	s_wait_loadcnt_dscnt 0x701
	s_delay_alu instid0(VALU_DEP_3) | instskip(NEXT) | instid1(VALU_DEP_2)
	v_dual_mul_f32 v21, v249, v161 :: v_dual_add_f32 v11, v11, v23
	v_dual_add_f32 v9, v9, v39 :: v_dual_fmac_f32 v43, v239, v150
	v_dual_mul_f32 v23, v251, v163 :: v_dual_fma_f32 v27, v238, v150, -v27
	s_delay_alu instid0(VALU_DEP_3) | instskip(NEXT) | instid1(VALU_DEP_3)
	v_dual_add_f32 v11, v11, v25 :: v_dual_fmac_f32 v45, v241, v152
	v_dual_add_f32 v9, v9, v41 :: v_dual_fma_f32 v13, v240, v152, -v13
	v_dual_mul_f32 v47, v242, v155 :: v_dual_mul_f32 v49, v244, v157
	s_wait_loadcnt 0x6
	s_delay_alu instid0(VALU_DEP_3) | instskip(NEXT) | instid1(VALU_DEP_2)
	v_dual_mul_f32 v25, v197, v165 :: v_dual_add_f32 v11, v11, v27
	v_dual_add_f32 v9, v9, v43 :: v_dual_fmac_f32 v47, v243, v154
	v_dual_mul_f32 v27, v199, v167 :: v_dual_fma_f32 v15, v242, v154, -v15
	s_delay_alu instid0(VALU_DEP_3) | instskip(NEXT) | instid1(VALU_DEP_3)
	v_dual_add_f32 v11, v11, v13 :: v_dual_fmac_f32 v49, v245, v156
	v_dual_add_f32 v9, v9, v45 :: v_dual_fma_f32 v17, v244, v156, -v17
	v_dual_mul_f32 v51, v246, v159 :: v_dual_mul_f32 v53, v248, v161
	s_wait_loadcnt 0x5
	s_delay_alu instid0(VALU_DEP_3) | instskip(NEXT) | instid1(VALU_DEP_3)
	v_dual_mul_f32 v13, v185, v169 :: v_dual_add_f32 v11, v11, v15
	v_dual_add_f32 v9, v9, v47 :: v_dual_mov_b32 v116, v171
	s_delay_alu instid0(VALU_DEP_3) | instskip(NEXT) | instid1(VALU_DEP_3)
	v_fmac_f32_e32 v51, v247, v158
	v_dual_fma_f32 v15, v246, v158, -v19 :: v_dual_add_f32 v11, v11, v17
	s_delay_alu instid0(VALU_DEP_3) | instskip(SKIP_1) | instid1(VALU_DEP_3)
	v_dual_add_f32 v9, v9, v49 :: v_dual_mul_f32 v55, v250, v163
	v_dual_mul_f32 v57, v196, v165 :: v_dual_fmac_f32 v53, v249, v160
	v_dual_add_f32 v11, v11, v15 :: v_dual_fma_f32 v17, v248, v160, -v21
	s_wait_loadcnt 0x4
	s_delay_alu instid0(VALU_DEP_3) | instskip(SKIP_3) | instid1(VALU_DEP_4)
	v_dual_add_f32 v9, v9, v51 :: v_dual_mov_b32 v120, v175
	v_fma_f32 v15, v250, v162, -v23
	v_fmac_f32_e32 v55, v251, v162
	v_dual_add_f32 v11, v11, v17 :: v_dual_fmac_f32 v57, v197, v164
	v_add_f32_e32 v9, v9, v53
	s_set_vgpr_msb 64                       ;  msbs: dst=1 src0=0 src1=0 src2=0
	v_dual_mul_f32 v11 /*v267*/, v198, v167 :: v_dual_mul_f32 v13 /*v269*/, v184, v169
	s_set_vgpr_msb 0                        ;  msbs: dst=0 src0=0 src1=0 src2=0
	v_fma_f32 v17, v196, v164, -v25
	s_set_vgpr_msb 1                        ;  msbs: dst=0 src0=1 src1=0 src2=0
	v_pk_mul_f32 v[116:117], v[2:3] /*v[258:259]*/, v[116:117] op_sel_hi:[1,0]
	s_set_vgpr_msb 0                        ;  msbs: dst=0 src0=0 src1=0 src2=0
	v_add_f32_e32 v9, v9, v55
	v_add_f32_e32 v11, v11, v15
	s_set_vgpr_msb 64                       ;  msbs: dst=1 src0=0 src1=0 src2=0
	v_dual_fmac_f32 v11 /*v267*/, v199, v166 :: v_dual_fmac_f32 v13 /*v269*/, v185, v168
	v_dual_fma_f32 v10 /*v266*/, v198, v166, -v27 :: v_dual_fma_f32 v12 /*v268*/, v184, v168, -v13
	s_set_vgpr_msb 0                        ;  msbs: dst=0 src0=0 src1=0 src2=0
	v_add_f32_e32 v125, v9, v57
	v_pk_fma_f32 v[128:129], v[186:187], v[170:171], v[116:117] op_sel_hi:[1,0,1]
	v_add_f32_e32 v124, v11, v17
	v_pk_fma_f32 v[116:117], v[186:187], v[170:171], v[116:117] neg_lo:[0,0,1] neg_hi:[0,0,1]
	v_pk_mul_f32 v[118:119], v[188:189], v[172:173] op_sel:[1,1] op_sel_hi:[0,1]
	s_set_vgpr_msb 1                        ;  msbs: dst=0 src0=1 src1=0 src2=0
	v_pk_mul_f32 v[120:121], v[4:5] /*v[260:261]*/, v[120:121] op_sel_hi:[1,0]
	s_set_vgpr_msb 4                        ;  msbs: dst=0 src0=0 src1=1 src2=0
	v_mov_b32_e32 v117, v129
	v_pk_add_f32 v[124:125], v[124:125], v[10:11] /*v[266:267]*/
	s_wait_loadcnt 0x3
	s_set_vgpr_msb 0                        ;  msbs: dst=0 src0=0 src1=0 src2=0
	v_pk_mul_f32 v[122:123], v[192:193], v[176:177] op_sel:[1,1] op_sel_hi:[0,1]
	v_pk_fma_f32 v[130:131], v[188:189], v[172:173], v[118:119] op_sel_hi:[1,0,1]
	v_pk_fma_f32 v[118:119], v[188:189], v[172:173], v[118:119] neg_lo:[0,0,1] neg_hi:[0,0,1]
	v_mov_b32_e32 v126, v179
	s_set_vgpr_msb 4                        ;  msbs: dst=0 src0=0 src1=1 src2=0
	v_pk_add_f32 v[124:125], v[124:125], v[12:13] /*v[268:269]*/
	s_wait_loadcnt 0x2
	s_set_vgpr_msb 0                        ;  msbs: dst=0 src0=0 src1=0 src2=0
	v_pk_mul_f32 v[128:129], v[200:201], v[180:181] op_sel:[1,1] op_sel_hi:[0,1]
	v_mov_b32_e32 v119, v131
	v_pk_fma_f32 v[130:131], v[190:191], v[174:175], v[120:121] op_sel_hi:[1,0,1]
	v_pk_fma_f32 v[120:121], v[190:191], v[174:175], v[120:121] neg_lo:[0,0,1] neg_hi:[0,0,1]
	v_pk_add_f32 v[116:117], v[124:125], v[116:117]
	v_pk_fma_f32 v[124:125], v[192:193], v[176:177], v[122:123] op_sel_hi:[1,0,1]
	s_set_vgpr_msb 1                        ;  msbs: dst=0 src0=1 src1=0 src2=0
	v_pk_mul_f32 v[126:127], v[6:7] /*v[262:263]*/, v[126:127] op_sel_hi:[1,0]
	s_set_vgpr_msb 0                        ;  msbs: dst=0 src0=0 src1=0 src2=0
	v_mov_b32_e32 v121, v131
	v_pk_fma_f32 v[122:123], v[192:193], v[176:177], v[122:123] neg_lo:[0,0,1] neg_hi:[0,0,1]
	v_pk_add_f32 v[116:117], v[116:117], v[118:119]
	v_dual_mov_b32 v118, v183 :: v_dual_mov_b32 v123, v125
	v_pk_fma_f32 v[124:125], v[194:195], v[178:179], v[126:127] op_sel_hi:[1,0,1]
	v_pk_fma_f32 v[126:127], v[194:195], v[178:179], v[126:127] neg_lo:[0,0,1] neg_hi:[0,0,1]
	s_delay_alu instid0(VALU_DEP_4)
	v_pk_add_f32 v[116:117], v[116:117], v[120:121]
	v_pk_fma_f32 v[120:121], v[200:201], v[180:181], v[128:129] op_sel_hi:[1,0,1]
	s_set_vgpr_msb 1                        ;  msbs: dst=0 src0=1 src1=0 src2=0
	v_pk_mul_f32 v[118:119], v[8:9] /*v[264:265]*/, v[118:119] op_sel_hi:[1,0]
	s_set_vgpr_msb 0                        ;  msbs: dst=0 src0=0 src1=0 src2=0
	v_mov_b32_e32 v127, v125
	s_wait_loadcnt_dscnt 0x100
	s_set_vgpr_msb 1                        ;  msbs: dst=0 src0=1 src1=0 src2=0
	v_pk_mul_f32 v[124:125], v[0:1] /*v[256:257]*/, v[252:253] op_sel:[1,1] op_sel_hi:[0,1]
	s_set_vgpr_msb 0                        ;  msbs: dst=0 src0=0 src1=0 src2=0
	v_pk_add_f32 v[116:117], v[116:117], v[122:123]
	v_pk_fma_f32 v[122:123], v[200:201], v[180:181], v[128:129] neg_lo:[0,0,1] neg_hi:[0,0,1]
	v_mov_b32_e32 v123, v121
	v_pk_fma_f32 v[120:121], v[202:203], v[182:183], v[118:119] op_sel_hi:[1,0,1]
	v_pk_fma_f32 v[118:119], v[202:203], v[182:183], v[118:119] neg_lo:[0,0,1] neg_hi:[0,0,1]
	v_pk_add_f32 v[116:117], v[116:117], v[126:127]
	s_delay_alu instid0(VALU_DEP_3)
	v_mov_b32_e32 v119, v121
	s_set_vgpr_msb 1                        ;  msbs: dst=0 src0=1 src1=0 src2=0
	v_pk_fma_f32 v[120:121], v[0:1] /*v[256:257]*/, v[252:253], v[124:125] op_sel_hi:[1,0,1]
	s_set_vgpr_msb 0                        ;  msbs: dst=0 src0=0 src1=0 src2=0
	v_pk_add_f32 v[116:117], v[116:117], v[122:123]
	s_set_vgpr_msb 1                        ;  msbs: dst=0 src0=1 src1=0 src2=0
	v_pk_fma_f32 v[122:123], v[0:1] /*v[256:257]*/, v[252:253], v[124:125] neg_lo:[0,0,1] neg_hi:[0,0,1]
	s_set_vgpr_msb 0                        ;  msbs: dst=0 src0=0 src1=0 src2=0
	v_mov_b32_e32 v123, v121
	v_pk_add_f32 v[116:117], v[116:117], v[118:119]
	s_delay_alu instid0(VALU_DEP_1) | instskip(SKIP_1) | instid1(VALU_DEP_1)
	v_pk_add_f32 v[116:117], v[116:117], v[122:123]
	s_wait_loadcnt 0x0
	v_pk_add_f32 v[116:117], v[254:255], v[116:117] neg_lo:[0,1] neg_hi:[0,1]
	scratch_store_b64 off, v[116:117], off offset:168
	s_wait_xcnt 0x0
	v_cmpx_lt_u32_e32 20, v0
	s_cbranch_execz .LBB56_315
; %bb.314:
	scratch_load_b64 v[116:117], off, off offset:160
	v_mov_b64_e32 v[118:119], 0
	scratch_store_b64 off, v[118:119], off offset:160
	s_wait_loadcnt 0x0
	ds_store_b64 v1, v[116:117]
.LBB56_315:
	s_wait_xcnt 0x0
	s_or_b32 exec_lo, exec_lo, s0
	s_wait_storecnt_dscnt 0x0
	s_barrier_signal -1
	s_barrier_wait -1
	s_clause 0x13
	scratch_load_b128 v[116:119], off, off offset:168
	scratch_load_b128 v[120:123], off, off offset:184
	;; [unrolled: 1-line block ×18, first 2 shown]
	s_set_vgpr_msb 64                       ;  msbs: dst=1 src0=0 src1=0 src2=0
	scratch_load_b64 v[4:5] /*v[260:261]*/, off, off offset:160
	s_set_vgpr_msb 0                        ;  msbs: dst=0 src0=0 src1=0 src2=0
	ds_load_2addr_b64 v[188:191], v7 offset0:107 offset1:108
	ds_load_2addr_b64 v[192:195], v7 offset0:109 offset1:110
	;; [unrolled: 1-line block ×17, first 2 shown]
	s_set_vgpr_msb 64                       ;  msbs: dst=1 src0=0 src1=0 src2=0
	ds_load_2addr_b64 v[0:3] /*v[256:259]*/, v7 offset0:105 offset1:106
	s_mov_b32 s0, exec_lo
	s_wait_dscnt 0x11
	v_dual_mov_b32 v6 /*v262*/, v191 :: v_dual_mov_b32 v7 /*v263*/, v190
	s_wait_dscnt 0x10
	v_dual_mov_b32 v8 /*v264*/, v195 :: v_dual_mov_b32 v9 /*v265*/, v194
	;; [unrolled: 2-line block ×4, first 2 shown]
	s_wait_loadcnt_dscnt 0x120d
	s_set_vgpr_msb 0                        ;  msbs: dst=0 src0=0 src1=0 src2=0
	v_dual_mul_f32 v7, v204, v117 :: v_dual_mul_f32 v9, v206, v119
	v_dual_mul_f32 v59, v205, v117 :: v_dual_mul_f32 v61, v207, v119
	s_wait_loadcnt_dscnt 0x110c
	v_dual_mul_f32 v11, v208, v121 :: v_dual_mul_f32 v13, v210, v123
	s_delay_alu instid0(VALU_DEP_3) | instskip(SKIP_3) | instid1(VALU_DEP_3)
	v_dual_fmac_f32 v7, v205, v116 :: v_dual_fmac_f32 v9, v207, v118
	s_wait_loadcnt_dscnt 0xf0a
	v_dual_fma_f32 v59, v204, v116, -v59 :: v_dual_mul_f32 v71, v217, v129
	v_dual_mul_f32 v63, v209, v121 :: v_dual_mul_f32 v65, v211, v123
	v_dual_fma_f32 v61, v206, v118, -v61 :: v_dual_add_f32 v7, 0, v7
	s_delay_alu instid0(VALU_DEP_3) | instskip(SKIP_1) | instid1(VALU_DEP_4)
	v_dual_add_f32 v59, 0, v59 :: v_dual_fmac_f32 v11, v209, v120
	v_dual_mul_f32 v15, v212, v125 :: v_dual_mul_f32 v17, v214, v127
	v_dual_mul_f32 v73, v219, v131 :: v_dual_fma_f32 v63, v208, v120, -v63
	s_delay_alu instid0(VALU_DEP_4) | instskip(NEXT) | instid1(VALU_DEP_3)
	v_add_f32_e32 v7, v7, v9
	v_dual_add_f32 v9, v59, v61 :: v_dual_fmac_f32 v15, v213, v124
	v_dual_mul_f32 v67, v213, v125 :: v_dual_mul_f32 v69, v215, v127
	s_wait_loadcnt_dscnt 0xe09
	v_dual_mul_f32 v59, v221, v133 :: v_dual_fmac_f32 v13, v211, v122
	v_dual_fma_f32 v61, v210, v122, -v65 :: v_dual_add_f32 v7, v7, v11
	s_delay_alu instid0(VALU_DEP_3) | instskip(SKIP_1) | instid1(VALU_DEP_3)
	v_dual_add_f32 v9, v9, v63 :: v_dual_fma_f32 v63, v212, v124, -v67
	v_dual_mul_f32 v19, v216, v129 :: v_dual_mul_f32 v21, v218, v131
	v_add_f32_e32 v7, v7, v13
	s_delay_alu instid0(VALU_DEP_3) | instskip(SKIP_2) | instid1(VALU_DEP_3)
	v_dual_mul_f32 v11, v223, v135 :: v_dual_add_f32 v9, v9, v61
	s_wait_loadcnt_dscnt 0xd08
	v_dual_mul_f32 v13, v225, v137 :: v_dual_fmac_f32 v17, v215, v126
	v_dual_fma_f32 v61, v214, v126, -v69 :: v_dual_add_f32 v7, v7, v15
	s_delay_alu instid0(VALU_DEP_3) | instskip(SKIP_1) | instid1(VALU_DEP_3)
	v_dual_add_f32 v9, v9, v63 :: v_dual_fma_f32 v63, v216, v128, -v71
	v_dual_mul_f32 v15, v227, v139 :: v_dual_fmac_f32 v19, v217, v128
	v_add_f32_e32 v7, v7, v17
	s_delay_alu instid0(VALU_DEP_3)
	v_dual_add_f32 v9, v9, v61 :: v_dual_fmac_f32 v21, v219, v130
	v_dual_mul_f32 v23, v220, v133 :: v_dual_mul_f32 v25, v222, v135
	s_wait_loadcnt_dscnt 0xc07
	v_dual_fma_f32 v61, v218, v130, -v73 :: v_dual_mul_f32 v17, v229, v141
	v_add_f32_e32 v7, v7, v19
	v_dual_add_f32 v9, v9, v63 :: v_dual_fma_f32 v59, v220, v132, -v59
	v_dual_mul_f32 v19, v231, v143 :: v_dual_fmac_f32 v23, v221, v132
	s_delay_alu instid0(VALU_DEP_3) | instskip(NEXT) | instid1(VALU_DEP_3)
	v_dual_add_f32 v7, v7, v21 :: v_dual_fma_f32 v11, v222, v134, -v11
	v_dual_add_f32 v9, v9, v61 :: v_dual_fmac_f32 v25, v223, v134
	v_dual_mul_f32 v27, v224, v137 :: v_dual_mul_f32 v29, v226, v139
	s_wait_loadcnt_dscnt 0xb06
	s_delay_alu instid0(VALU_DEP_3) | instskip(NEXT) | instid1(VALU_DEP_3)
	v_dual_mul_f32 v21, v233, v145 :: v_dual_add_f32 v7, v7, v23
	v_dual_add_f32 v9, v9, v59 :: v_dual_fma_f32 v13, v224, v136, -v13
	s_delay_alu instid0(VALU_DEP_3) | instskip(NEXT) | instid1(VALU_DEP_2)
	v_dual_mul_f32 v23, v235, v147 :: v_dual_fmac_f32 v27, v225, v136
	v_dual_add_f32 v7, v7, v25 :: v_dual_add_f32 v9, v9, v11
	v_dual_mul_f32 v31, v228, v141 :: v_dual_mul_f32 v33, v230, v143
	s_wait_loadcnt_dscnt 0xa05
	v_dual_mul_f32 v11, v237, v149 :: v_dual_fmac_f32 v29, v227, v138
	s_delay_alu instid0(VALU_DEP_3) | instskip(SKIP_2) | instid1(VALU_DEP_2)
	v_dual_fma_f32 v15, v226, v138, -v15 :: v_dual_add_f32 v7, v7, v27
	v_dual_add_f32 v9, v9, v13 :: v_dual_mul_f32 v13, v239, v151
	v_dual_fmac_f32 v31, v229, v140 :: v_dual_fma_f32 v17, v228, v140, -v17
	v_dual_add_f32 v7, v7, v29 :: v_dual_add_f32 v9, v9, v15
	v_dual_mul_f32 v35, v232, v145 :: v_dual_mul_f32 v37, v234, v147
	s_wait_loadcnt_dscnt 0x904
	v_dual_mul_f32 v15, v241, v153 :: v_dual_fmac_f32 v33, v231, v142
	s_delay_alu instid0(VALU_DEP_3) | instskip(SKIP_2) | instid1(VALU_DEP_2)
	v_dual_fma_f32 v19, v230, v142, -v19 :: v_dual_add_f32 v7, v7, v31
	v_dual_add_f32 v9, v9, v17 :: v_dual_mul_f32 v17, v243, v155
	v_dual_fmac_f32 v35, v233, v144 :: v_dual_fma_f32 v21, v232, v144, -v21
	v_dual_add_f32 v7, v7, v33 :: v_dual_add_f32 v9, v9, v19
	v_dual_mul_f32 v39, v236, v149 :: v_dual_mul_f32 v41, v238, v151
	s_wait_loadcnt_dscnt 0x803
	v_dual_mul_f32 v19, v245, v157 :: v_dual_fmac_f32 v37, v235, v146
	s_delay_alu instid0(VALU_DEP_3) | instskip(SKIP_2) | instid1(VALU_DEP_3)
	v_dual_fma_f32 v23, v234, v146, -v23 :: v_dual_add_f32 v7, v7, v35
	v_dual_add_f32 v9, v9, v21 :: v_dual_mul_f32 v21, v247, v159
	v_fmac_f32_e32 v39, v237, v148
	v_dual_fma_f32 v11, v236, v148, -v11 :: v_dual_add_f32 v7, v7, v37
	s_delay_alu instid0(VALU_DEP_3)
	v_dual_add_f32 v9, v9, v23 :: v_dual_mul_f32 v43, v240, v153
	s_wait_loadcnt_dscnt 0x702
	v_dual_mul_f32 v45, v242, v155 :: v_dual_mul_f32 v23, v249, v161
	v_fmac_f32_e32 v41, v239, v150
	v_dual_fma_f32 v13, v238, v150, -v13 :: v_dual_add_f32 v7, v7, v39
	v_dual_add_f32 v9, v9, v11 :: v_dual_fma_f32 v15, v240, v152, -v15
	v_dual_mul_f32 v11, v251, v163 :: v_dual_fmac_f32 v43, v241, v152
	s_delay_alu instid0(VALU_DEP_3) | instskip(NEXT) | instid1(VALU_DEP_3)
	v_dual_add_f32 v7, v7, v41 :: v_dual_fma_f32 v17, v242, v154, -v17
	v_dual_add_f32 v9, v9, v13 :: v_dual_fmac_f32 v45, v243, v154
	v_dual_mul_f32 v47, v244, v157 :: v_dual_mul_f32 v49, v246, v159
	s_wait_loadcnt_dscnt 0x601
	s_delay_alu instid0(VALU_DEP_3) | instskip(NEXT) | instid1(VALU_DEP_3)
	v_dual_mul_f32 v13, v253, v165 :: v_dual_add_f32 v7, v7, v43
	v_dual_add_f32 v9, v9, v15 :: v_dual_fma_f32 v19, v244, v156, -v19
	s_delay_alu instid0(VALU_DEP_3) | instskip(NEXT) | instid1(VALU_DEP_3)
	v_dual_mul_f32 v15, v255, v167 :: v_dual_fmac_f32 v47, v245, v156
	v_dual_add_f32 v7, v7, v45 :: v_dual_fma_f32 v21, v246, v158, -v21
	s_delay_alu instid0(VALU_DEP_3) | instskip(SKIP_1) | instid1(VALU_DEP_3)
	v_dual_add_f32 v9, v9, v17 :: v_dual_fmac_f32 v49, v247, v158
	v_dual_mul_f32 v51, v248, v161 :: v_dual_mul_f32 v53, v250, v163
	v_add_f32_e32 v7, v7, v47
	s_delay_alu instid0(VALU_DEP_3) | instskip(NEXT) | instid1(VALU_DEP_3)
	v_dual_add_f32 v9, v9, v19 :: v_dual_fma_f32 v23, v248, v160, -v23
	v_dual_fmac_f32 v51, v249, v160 :: v_dual_mul_f32 v55, v252, v165
	s_delay_alu instid0(VALU_DEP_3) | instskip(NEXT) | instid1(VALU_DEP_3)
	v_dual_mul_f32 v57, v254, v167 :: v_dual_add_f32 v7, v7, v49
	v_dual_fma_f32 v11, v250, v162, -v11 :: v_dual_add_f32 v9, v9, v21
	v_fmac_f32_e32 v53, v251, v162
	s_wait_loadcnt 0x4
	v_mov_b32_e32 v118, v175
	v_dual_add_f32 v7, v7, v51 :: v_dual_fmac_f32 v55, v253, v164
	v_dual_add_f32 v9, v9, v23 :: v_dual_fma_f32 v13, v252, v164, -v13
	s_wait_dscnt 0x0
	s_set_vgpr_msb 0x41                     ;  msbs: dst=1 src0=1 src1=0 src2=0
	v_dual_mul_f32 v15 /*v271*/, v0 /*v256*/, v169 :: v_dual_mul_f32 v17 /*v273*/, v2 /*v258*/, v171
	s_set_vgpr_msb 0                        ;  msbs: dst=0 src0=0 src1=0 src2=0
	v_dual_add_f32 v7, v7, v53 :: v_dual_add_f32 v9, v9, v11
	v_fmac_f32_e32 v57, v255, v166
	s_set_vgpr_msb 1                        ;  msbs: dst=0 src0=1 src1=0 src2=0
	v_dual_mul_f32 v17, v1 /*v257*/, v169 :: v_dual_mul_f32 v19, v3 /*v259*/, v171
	s_set_vgpr_msb 0                        ;  msbs: dst=0 src0=0 src1=0 src2=0
	v_dual_fma_f32 v11, v254, v166, -v15 :: v_dual_add_f32 v7, v7, v55
	s_wait_loadcnt 0x3
	v_dual_add_f32 v9, v9, v13 :: v_dual_mov_b32 v122, v179
	v_pk_mul_f32 v[116:117], v[188:189], v[172:173] op_sel:[1,1] op_sel_hi:[0,1]
	s_set_vgpr_msb 0x41                     ;  msbs: dst=1 src0=1 src1=0 src2=0
	v_dual_fmac_f32 v15 /*v271*/, v1 /*v257*/, v168 :: v_dual_fmac_f32 v17 /*v273*/, v3 /*v259*/, v170
	v_dual_fma_f32 v14 /*v270*/, v0 /*v256*/, v168, -v17 :: v_dual_fma_f32 v16 /*v272*/, v2 /*v258*/, v170, -v19
	s_set_vgpr_msb 0                        ;  msbs: dst=0 src0=0 src1=0 src2=0
	v_dual_add_f32 v125, v7, v57 :: v_dual_add_f32 v124, v9, v11
	v_pk_fma_f32 v[126:127], v[188:189], v[172:173], v[116:117] op_sel_hi:[1,0,1]
	s_set_vgpr_msb 1                        ;  msbs: dst=0 src0=1 src1=0 src2=0
	v_pk_mul_f32 v[118:119], v[6:7] /*v[262:263]*/, v[118:119] op_sel_hi:[1,0]
	s_set_vgpr_msb 0                        ;  msbs: dst=0 src0=0 src1=0 src2=0
	v_pk_fma_f32 v[116:117], v[188:189], v[172:173], v[116:117] neg_lo:[0,0,1] neg_hi:[0,0,1]
	v_pk_mul_f32 v[120:121], v[192:193], v[176:177] op_sel:[1,1] op_sel_hi:[0,1]
	s_set_vgpr_msb 4                        ;  msbs: dst=0 src0=0 src1=1 src2=0
	v_pk_add_f32 v[124:125], v[124:125], v[14:15] /*v[270:271]*/
	v_mov_b32_e32 v117, v127
	s_set_vgpr_msb 0                        ;  msbs: dst=0 src0=0 src1=0 src2=0
	v_pk_fma_f32 v[126:127], v[190:191], v[174:175], v[118:119] op_sel_hi:[1,0,1]
	v_pk_fma_f32 v[118:119], v[190:191], v[174:175], v[118:119] neg_lo:[0,0,1] neg_hi:[0,0,1]
	v_pk_fma_f32 v[130:131], v[192:193], v[176:177], v[120:121] op_sel_hi:[1,0,1]
	s_set_vgpr_msb 4                        ;  msbs: dst=0 src0=0 src1=1 src2=0
	v_pk_add_f32 v[124:125], v[124:125], v[16:17] /*v[272:273]*/
	s_set_vgpr_msb 1                        ;  msbs: dst=0 src0=1 src1=0 src2=0
	v_pk_mul_f32 v[122:123], v[8:9] /*v[264:265]*/, v[122:123] op_sel_hi:[1,0]
	s_set_vgpr_msb 0                        ;  msbs: dst=0 src0=0 src1=0 src2=0
	v_mov_b32_e32 v119, v127
	s_wait_loadcnt 0x2
	v_pk_mul_f32 v[128:129], v[196:197], v[180:181] op_sel:[1,1] op_sel_hi:[0,1]
	v_pk_fma_f32 v[120:121], v[192:193], v[176:177], v[120:121] neg_lo:[0,0,1] neg_hi:[0,0,1]
	v_pk_add_f32 v[116:117], v[124:125], v[116:117]
	v_dual_mov_b32 v124, v183 :: v_dual_mov_b32 v121, v131
	v_pk_fma_f32 v[126:127], v[194:195], v[178:179], v[122:123] op_sel_hi:[1,0,1]
	v_pk_fma_f32 v[122:123], v[194:195], v[178:179], v[122:123] neg_lo:[0,0,1] neg_hi:[0,0,1]
	s_delay_alu instid0(VALU_DEP_4)
	v_pk_add_f32 v[116:117], v[116:117], v[118:119]
	v_pk_fma_f32 v[118:119], v[196:197], v[180:181], v[128:129] op_sel_hi:[1,0,1]
	s_set_vgpr_msb 1                        ;  msbs: dst=0 src0=1 src1=0 src2=0
	v_pk_mul_f32 v[124:125], v[10:11] /*v[266:267]*/, v[124:125] op_sel_hi:[1,0]
	s_set_vgpr_msb 0                        ;  msbs: dst=0 src0=0 src1=0 src2=0
	v_mov_b32_e32 v123, v127
	v_pk_fma_f32 v[126:127], v[196:197], v[180:181], v[128:129] neg_lo:[0,0,1] neg_hi:[0,0,1]
	v_pk_add_f32 v[116:117], v[116:117], v[120:121]
	v_mov_b32_e32 v127, v119
	v_pk_fma_f32 v[118:119], v[198:199], v[182:183], v[124:125] op_sel_hi:[1,0,1]
	s_wait_loadcnt 0x1
	v_pk_mul_f32 v[120:121], v[200:201], v[184:185] op_sel:[1,1] op_sel_hi:[0,1]
	v_mov_b32_e32 v118, v187
	v_pk_add_f32 v[116:117], v[116:117], v[122:123]
	v_pk_fma_f32 v[124:125], v[198:199], v[182:183], v[124:125] neg_lo:[0,0,1] neg_hi:[0,0,1]
	v_mov_b32_e32 v125, v119
	v_pk_fma_f32 v[122:123], v[200:201], v[184:185], v[120:121] op_sel_hi:[1,0,1]
	s_set_vgpr_msb 1                        ;  msbs: dst=0 src0=1 src1=0 src2=0
	v_pk_mul_f32 v[118:119], v[12:13] /*v[268:269]*/, v[118:119] op_sel_hi:[1,0]
	s_set_vgpr_msb 0                        ;  msbs: dst=0 src0=0 src1=0 src2=0
	v_pk_add_f32 v[116:117], v[116:117], v[126:127]
	v_pk_fma_f32 v[120:121], v[200:201], v[184:185], v[120:121] neg_lo:[0,0,1] neg_hi:[0,0,1]
	v_mov_b32_e32 v121, v123
	v_pk_fma_f32 v[122:123], v[202:203], v[186:187], v[118:119] op_sel_hi:[1,0,1]
	s_delay_alu instid0(VALU_DEP_4) | instskip(SKIP_1) | instid1(VALU_DEP_3)
	v_pk_add_f32 v[116:117], v[116:117], v[124:125]
	v_pk_fma_f32 v[118:119], v[202:203], v[186:187], v[118:119] neg_lo:[0,0,1] neg_hi:[0,0,1]
	v_mov_b32_e32 v119, v123
	s_delay_alu instid0(VALU_DEP_3) | instskip(NEXT) | instid1(VALU_DEP_1)
	v_pk_add_f32 v[116:117], v[116:117], v[120:121]
	v_pk_add_f32 v[116:117], v[116:117], v[118:119]
	s_wait_loadcnt 0x0
	s_set_vgpr_msb 1                        ;  msbs: dst=0 src0=1 src1=0 src2=0
	s_delay_alu instid0(VALU_DEP_1)
	v_pk_add_f32 v[116:117], v[4:5] /*v[260:261]*/, v[116:117] neg_lo:[0,1] neg_hi:[0,1]
	scratch_store_b64 off, v[116:117], off offset:160
	s_wait_xcnt 0x0
	v_cmpx_lt_u32_e32 19, v0
	s_set_vgpr_msb 0                        ;  msbs: dst=0 src0=0 src1=0 src2=0
	s_cbranch_execz .LBB56_317
; %bb.316:
	scratch_load_b64 v[116:117], off, off offset:152
	v_mov_b64_e32 v[118:119], 0
	scratch_store_b64 off, v[118:119], off offset:152
	s_wait_loadcnt 0x0
	ds_store_b64 v1, v[116:117]
.LBB56_317:
	s_wait_xcnt 0x0
	s_or_b32 exec_lo, exec_lo, s0
	s_wait_storecnt_dscnt 0x0
	s_barrier_signal -1
	s_barrier_wait -1
	s_clause 0x14
	scratch_load_b128 v[116:119], off, off offset:160
	scratch_load_b128 v[120:123], off, off offset:176
	;; [unrolled: 1-line block ×18, first 2 shown]
	s_set_vgpr_msb 64                       ;  msbs: dst=1 src0=0 src1=0 src2=0
	scratch_load_b64 v[4:5] /*v[260:261]*/, off, off offset:448
	scratch_load_b64 v[6:7] /*v[262:263]*/, off, off offset:152
	s_set_vgpr_msb 0                        ;  msbs: dst=0 src0=0 src1=0 src2=0
	v_mov_b32_e32 v7, 0
	ds_load_b128 v[188:191], v7 offset:848
	ds_load_b128 v[192:195], v7 offset:864
	;; [unrolled: 1-line block ×17, first 2 shown]
	s_set_vgpr_msb 64                       ;  msbs: dst=1 src0=0 src1=0 src2=0
	ds_load_b128 v[0:3] /*v[256:259]*/, v7 offset:832
	ds_load_b64 v[8:9] /*v[264:265]*/, v7 offset:912
	s_mov_b32 s0, exec_lo
	s_wait_dscnt 0x12
	v_dual_mov_b32 v10 /*v266*/, v191 :: v_dual_mov_b32 v11 /*v267*/, v190
	s_wait_dscnt 0x11
	v_dual_mov_b32 v12 /*v268*/, v195 :: v_dual_mov_b32 v13 /*v269*/, v194
	;; [unrolled: 2-line block ×4, first 2 shown]
	s_wait_loadcnt 0x13
	s_set_vgpr_msb 0                        ;  msbs: dst=0 src0=0 src1=0 src2=0
	v_dual_mul_f32 v9, v200, v117 :: v_dual_mul_f32 v11, v202, v119
	s_wait_loadcnt 0x12
	v_dual_mul_f32 v13, v204, v121 :: v_dual_mul_f32 v65, v203, v119
	s_wait_loadcnt_dscnt 0x100b
	v_dual_mul_f32 v67, v205, v121 :: v_dual_mul_f32 v77, v219, v131
	v_dual_mul_f32 v15, v206, v123 :: v_dual_mul_f32 v17, v212, v125
	v_dual_mul_f32 v63, v201, v117 :: v_dual_fmac_f32 v9, v201, v116
	v_dual_fma_f32 v65, v202, v118, -v65 :: v_dual_mul_f32 v69, v207, v123
	s_wait_loadcnt_dscnt 0x702
	v_dual_mul_f32 v71, v213, v125 :: v_dual_mul_f32 v59, v254, v167
	s_delay_alu instid0(VALU_DEP_3)
	v_fma_f32 v63, v200, v116, -v63
	s_wait_loadcnt_dscnt 0x601
	s_set_vgpr_msb 1                        ;  msbs: dst=0 src0=1 src1=0 src2=0
	v_mul_f32_e32 v61, v0 /*v256*/, v169
	s_set_vgpr_msb 0                        ;  msbs: dst=0 src0=0 src1=0 src2=0
	v_dual_fmac_f32 v11, v203, v118 :: v_dual_add_f32 v9, 0, v9
	v_dual_mul_f32 v79, v221, v133 :: v_dual_fma_f32 v67, v204, v120, -v67
	v_dual_add_f32 v63, 0, v63 :: v_dual_fmac_f32 v13, v205, v120
	s_delay_alu instid0(VALU_DEP_3) | instskip(SKIP_1) | instid1(VALU_DEP_3)
	v_dual_add_f32 v9, v9, v11 :: v_dual_fmac_f32 v15, v207, v122
	v_dual_mul_f32 v19, v214, v127 :: v_dual_mul_f32 v21, v216, v129
	v_add_f32_e32 v11, v63, v65
	v_dual_mul_f32 v63, v223, v135 :: v_dual_fma_f32 v65, v206, v122, -v69
	s_delay_alu instid0(VALU_DEP_4) | instskip(NEXT) | instid1(VALU_DEP_3)
	v_dual_add_f32 v9, v9, v13 :: v_dual_mul_f32 v73, v215, v127
	v_dual_mul_f32 v75, v217, v129 :: v_dual_add_f32 v11, v11, v67
	v_dual_mul_f32 v13, v225, v137 :: v_dual_fma_f32 v67, v212, v124, -v71
	v_fmac_f32_e32 v17, v213, v124
	s_delay_alu instid0(VALU_DEP_4) | instskip(NEXT) | instid1(VALU_DEP_4)
	v_dual_add_f32 v9, v9, v15 :: v_dual_fmac_f32 v19, v215, v126
	v_add_f32_e32 v11, v11, v65
	v_dual_mul_f32 v15, v227, v139 :: v_dual_fma_f32 v65, v214, v126, -v73
	s_delay_alu instid0(VALU_DEP_3) | instskip(NEXT) | instid1(VALU_DEP_3)
	v_dual_add_f32 v9, v9, v17 :: v_dual_mul_f32 v23, v218, v131
	v_dual_mul_f32 v25, v220, v133 :: v_dual_add_f32 v11, v11, v67
	v_dual_mul_f32 v17, v229, v141 :: v_dual_fma_f32 v67, v216, v128, -v75
	v_fmac_f32_e32 v21, v217, v128
	s_delay_alu instid0(VALU_DEP_4) | instskip(NEXT) | instid1(VALU_DEP_4)
	v_dual_add_f32 v9, v9, v19 :: v_dual_fmac_f32 v23, v219, v130
	v_add_f32_e32 v11, v11, v65
	v_dual_mul_f32 v19, v231, v143 :: v_dual_fma_f32 v65, v218, v130, -v77
	s_delay_alu instid0(VALU_DEP_3) | instskip(NEXT) | instid1(VALU_DEP_3)
	;; [unrolled: 9-line block ×4, first 2 shown]
	v_dual_add_f32 v9, v9, v29 :: v_dual_fma_f32 v17, v228, v140, -v17
	v_dual_add_f32 v11, v11, v13 :: v_dual_fmac_f32 v33, v229, v140
	v_dual_mul_f32 v35, v230, v143 :: v_dual_mul_f32 v37, v232, v145
	s_delay_alu instid0(VALU_DEP_2) | instskip(NEXT) | instid1(VALU_DEP_2)
	v_dual_mul_f32 v13, v241, v153 :: v_dual_add_f32 v11, v11, v15
	v_dual_add_f32 v9, v9, v31 :: v_dual_fmac_f32 v35, v231, v142
	v_dual_mul_f32 v15, v243, v155 :: v_dual_fma_f32 v19, v230, v142, -v19
	s_delay_alu instid0(VALU_DEP_3) | instskip(NEXT) | instid1(VALU_DEP_3)
	v_dual_add_f32 v11, v11, v17 :: v_dual_fmac_f32 v37, v233, v144
	v_dual_add_f32 v9, v9, v33 :: v_dual_fma_f32 v21, v232, v144, -v21
	v_dual_mul_f32 v39, v234, v147 :: v_dual_mul_f32 v41, v236, v149
	s_delay_alu instid0(VALU_DEP_3) | instskip(NEXT) | instid1(VALU_DEP_2)
	v_dual_mul_f32 v17, v245, v157 :: v_dual_add_f32 v11, v11, v19
	v_dual_add_f32 v9, v9, v35 :: v_dual_fmac_f32 v39, v235, v146
	v_dual_mul_f32 v19, v247, v159 :: v_dual_fma_f32 v23, v234, v146, -v23
	s_delay_alu instid0(VALU_DEP_3) | instskip(NEXT) | instid1(VALU_DEP_3)
	v_dual_add_f32 v11, v11, v21 :: v_dual_fmac_f32 v41, v237, v148
	v_dual_add_f32 v9, v9, v37 :: v_dual_fma_f32 v25, v236, v148, -v25
	v_dual_mul_f32 v43, v238, v151 :: v_dual_mul_f32 v45, v240, v153
	s_delay_alu instid0(VALU_DEP_3) | instskip(NEXT) | instid1(VALU_DEP_2)
	;; [unrolled: 8-line block ×4, first 2 shown]
	v_dual_add_f32 v11, v11, v15 :: v_dual_fma_f32 v19, v246, v158, -v19
	v_dual_add_f32 v9, v9, v47 :: v_dual_fmac_f32 v51, v247, v158
	v_dual_mul_f32 v55, v250, v163 :: v_dual_mul_f32 v57, v252, v165
	s_delay_alu instid0(VALU_DEP_3) | instskip(NEXT) | instid1(VALU_DEP_3)
	v_dual_add_f32 v11, v11, v17 :: v_dual_fmac_f32 v53, v249, v160
	v_dual_add_f32 v9, v9, v49 :: v_dual_fma_f32 v21, v248, v160, -v21
	s_wait_loadcnt 0x5
	s_delay_alu instid0(VALU_DEP_2) | instskip(NEXT) | instid1(VALU_DEP_2)
	v_dual_mul_f32 v17, v189, v173 :: v_dual_add_f32 v11, v11, v19
	v_dual_mov_b32 v116, v175 :: v_dual_add_f32 v9, v9, v51
	v_fmac_f32_e32 v55, v251, v162
	s_delay_alu instid0(VALU_DEP_3) | instskip(SKIP_1) | instid1(VALU_DEP_4)
	v_dual_fma_f32 v19, v250, v162, -v23 :: v_dual_add_f32 v11, v11, v21
	v_fmac_f32_e32 v57, v253, v164
	v_dual_add_f32 v9, v9, v53 :: v_dual_fma_f32 v21, v252, v164, -v25
	s_set_vgpr_msb 1                        ;  msbs: dst=0 src0=1 src1=0 src2=0
	v_dual_mul_f32 v13, v1 /*v257*/, v169 :: v_dual_mul_f32 v15, v3 /*v259*/, v171
	s_set_vgpr_msb 0                        ;  msbs: dst=0 src0=0 src1=0 src2=0
	v_add_f32_e32 v11, v11, v19
	s_wait_loadcnt 0x4
	v_dual_add_f32 v9, v9, v55 :: v_dual_mov_b32 v120, v179
	v_fma_f32 v19, v254, v166, -v27
	v_fmac_f32_e32 v59, v255, v166
	s_set_vgpr_msb 0x41                     ;  msbs: dst=1 src0=1 src1=0 src2=0
	v_dual_mul_f32 v19 /*v275*/, v2 /*v258*/, v171 :: v_dual_fma_f32 v18 /*v274*/, v2 /*v258*/, v170, -v15
	s_set_vgpr_msb 0                        ;  msbs: dst=0 src0=0 src1=0 src2=0
	v_add_f32_e32 v9, v9, v57
	v_add_f32_e32 v11, v11, v21
	s_set_vgpr_msb 1                        ;  msbs: dst=0 src0=1 src1=0 src2=0
	v_fmac_f32_e32 v61, v1 /*v257*/, v168
	v_fma_f32 v13, v0 /*v256*/, v168, -v13
	v_pk_mul_f32 v[116:117], v[10:11] /*v[266:267]*/, v[116:117] op_sel_hi:[1,0]
	s_set_vgpr_msb 0                        ;  msbs: dst=0 src0=0 src1=0 src2=0
	v_add_f32_e32 v9, v9, v59
	v_add_f32_e32 v11, v11, v19
	s_set_vgpr_msb 64                       ;  msbs: dst=1 src0=0 src1=0 src2=0
	v_dual_mul_f32 v21 /*v277*/, v188, v173 :: v_dual_fma_f32 v20 /*v276*/, v188, v172, -v17
	s_set_vgpr_msb 0x41                     ;  msbs: dst=1 src0=1 src1=0 src2=0
	v_fmac_f32_e32 v19 /*v275*/, v3 /*v259*/, v170
	s_set_vgpr_msb 0                        ;  msbs: dst=0 src0=0 src1=0 src2=0
	v_add_f32_e32 v125, v9, v61
	v_pk_fma_f32 v[128:129], v[190:191], v[174:175], v[116:117] op_sel_hi:[1,0,1]
	v_add_f32_e32 v124, v11, v13
	v_pk_fma_f32 v[116:117], v[190:191], v[174:175], v[116:117] neg_lo:[0,0,1] neg_hi:[0,0,1]
	v_pk_mul_f32 v[118:119], v[192:193], v[176:177] op_sel:[1,1] op_sel_hi:[0,1]
	s_set_vgpr_msb 64                       ;  msbs: dst=1 src0=0 src1=0 src2=0
	v_fmac_f32_e32 v21 /*v277*/, v189, v172
	s_set_vgpr_msb 4                        ;  msbs: dst=0 src0=0 src1=1 src2=0
	v_mov_b32_e32 v117, v129
	v_pk_add_f32 v[124:125], v[124:125], v[18:19] /*v[274:275]*/
	s_set_vgpr_msb 1                        ;  msbs: dst=0 src0=1 src1=0 src2=0
	v_pk_mul_f32 v[120:121], v[12:13] /*v[268:269]*/, v[120:121] op_sel_hi:[1,0]
	s_set_vgpr_msb 0                        ;  msbs: dst=0 src0=0 src1=0 src2=0
	v_pk_fma_f32 v[130:131], v[192:193], v[176:177], v[118:119] op_sel_hi:[1,0,1]
	v_pk_fma_f32 v[118:119], v[192:193], v[176:177], v[118:119] neg_lo:[0,0,1] neg_hi:[0,0,1]
	s_wait_loadcnt 0x3
	v_pk_mul_f32 v[122:123], v[196:197], v[180:181] op_sel:[1,1] op_sel_hi:[0,1]
	s_set_vgpr_msb 4                        ;  msbs: dst=0 src0=0 src1=1 src2=0
	v_pk_add_f32 v[124:125], v[124:125], v[20:21] /*v[276:277]*/
	v_dual_mov_b32 v126, v183 :: v_dual_mov_b32 v119, v131
	s_set_vgpr_msb 0                        ;  msbs: dst=0 src0=0 src1=0 src2=0
	v_pk_fma_f32 v[130:131], v[194:195], v[178:179], v[120:121] op_sel_hi:[1,0,1]
	v_pk_fma_f32 v[120:121], v[194:195], v[178:179], v[120:121] neg_lo:[0,0,1] neg_hi:[0,0,1]
	v_pk_add_f32 v[116:117], v[124:125], v[116:117]
	v_pk_fma_f32 v[124:125], v[196:197], v[180:181], v[122:123] op_sel_hi:[1,0,1]
	s_set_vgpr_msb 1                        ;  msbs: dst=0 src0=1 src1=0 src2=0
	v_pk_mul_f32 v[126:127], v[14:15] /*v[270:271]*/, v[126:127] op_sel_hi:[1,0]
	s_set_vgpr_msb 0                        ;  msbs: dst=0 src0=0 src1=0 src2=0
	v_mov_b32_e32 v121, v131
	v_pk_fma_f32 v[122:123], v[196:197], v[180:181], v[122:123] neg_lo:[0,0,1] neg_hi:[0,0,1]
	v_pk_add_f32 v[116:117], v[116:117], v[118:119]
	s_wait_loadcnt 0x2
	v_pk_mul_f32 v[128:129], v[208:209], v[184:185] op_sel:[1,1] op_sel_hi:[0,1]
	v_dual_mov_b32 v118, v187 :: v_dual_mov_b32 v123, v125
	v_pk_fma_f32 v[124:125], v[198:199], v[182:183], v[126:127] op_sel_hi:[1,0,1]
	v_pk_add_f32 v[116:117], v[116:117], v[120:121]
	v_pk_fma_f32 v[126:127], v[198:199], v[182:183], v[126:127] neg_lo:[0,0,1] neg_hi:[0,0,1]
	v_pk_fma_f32 v[120:121], v[208:209], v[184:185], v[128:129] op_sel_hi:[1,0,1]
	s_set_vgpr_msb 1                        ;  msbs: dst=0 src0=1 src1=0 src2=0
	v_pk_mul_f32 v[118:119], v[16:17] /*v[272:273]*/, v[118:119] op_sel_hi:[1,0]
	s_set_vgpr_msb 0                        ;  msbs: dst=0 src0=0 src1=0 src2=0
	v_mov_b32_e32 v127, v125
	v_pk_add_f32 v[116:117], v[116:117], v[122:123]
	v_pk_fma_f32 v[122:123], v[208:209], v[184:185], v[128:129] neg_lo:[0,0,1] neg_hi:[0,0,1]
	v_mov_b32_e32 v123, v121
	v_pk_fma_f32 v[120:121], v[210:211], v[186:187], v[118:119] op_sel_hi:[1,0,1]
	s_wait_loadcnt_dscnt 0x100
	s_set_vgpr_msb 5                        ;  msbs: dst=0 src0=1 src1=1 src2=0
	v_pk_mul_f32 v[124:125], v[8:9] /*v[264:265]*/, v[4:5] /*v[260:261]*/ op_sel:[1,1] op_sel_hi:[0,1]
	s_set_vgpr_msb 0                        ;  msbs: dst=0 src0=0 src1=0 src2=0
	v_pk_add_f32 v[116:117], v[116:117], v[126:127]
	v_pk_fma_f32 v[118:119], v[210:211], v[186:187], v[118:119] neg_lo:[0,0,1] neg_hi:[0,0,1]
	v_mov_b32_e32 v119, v121
	s_set_vgpr_msb 5                        ;  msbs: dst=0 src0=1 src1=1 src2=0
	v_pk_fma_f32 v[120:121], v[8:9] /*v[264:265]*/, v[4:5] /*v[260:261]*/, v[124:125] op_sel_hi:[1,0,1]
	s_set_vgpr_msb 0                        ;  msbs: dst=0 src0=0 src1=0 src2=0
	v_pk_add_f32 v[116:117], v[116:117], v[122:123]
	s_set_vgpr_msb 5                        ;  msbs: dst=0 src0=1 src1=1 src2=0
	v_pk_fma_f32 v[122:123], v[8:9] /*v[264:265]*/, v[4:5] /*v[260:261]*/, v[124:125] neg_lo:[0,0,1] neg_hi:[0,0,1]
	s_set_vgpr_msb 0                        ;  msbs: dst=0 src0=0 src1=0 src2=0
	v_mov_b32_e32 v123, v121
	v_pk_add_f32 v[116:117], v[116:117], v[118:119]
	s_delay_alu instid0(VALU_DEP_1) | instskip(SKIP_2) | instid1(VALU_DEP_1)
	v_pk_add_f32 v[116:117], v[116:117], v[122:123]
	s_wait_loadcnt 0x0
	s_set_vgpr_msb 1                        ;  msbs: dst=0 src0=1 src1=0 src2=0
	v_pk_add_f32 v[116:117], v[6:7] /*v[262:263]*/, v[116:117] neg_lo:[0,1] neg_hi:[0,1]
	scratch_store_b64 off, v[116:117], off offset:152
	s_wait_xcnt 0x0
	v_cmpx_lt_u32_e32 18, v0
	s_set_vgpr_msb 0                        ;  msbs: dst=0 src0=0 src1=0 src2=0
	s_cbranch_execz .LBB56_319
; %bb.318:
	scratch_load_b64 v[116:117], off, off offset:144
	v_mov_b64_e32 v[118:119], 0
	scratch_store_b64 off, v[118:119], off offset:144
	s_wait_loadcnt 0x0
	ds_store_b64 v1, v[116:117]
.LBB56_319:
	s_wait_xcnt 0x0
	s_or_b32 exec_lo, exec_lo, s0
	s_wait_storecnt_dscnt 0x0
	s_barrier_signal -1
	s_barrier_wait -1
	s_clause 0x14
	scratch_load_b128 v[116:119], off, off offset:152
	scratch_load_b128 v[120:123], off, off offset:168
	;; [unrolled: 1-line block ×19, first 2 shown]
	s_set_vgpr_msb 64                       ;  msbs: dst=1 src0=0 src1=0 src2=0
	scratch_load_b64 v[12:13] /*v[268:269]*/, off, off offset:144
	s_set_vgpr_msb 0                        ;  msbs: dst=0 src0=0 src1=0 src2=0
	ds_load_2addr_b64 v[192:195], v7 offset0:107 offset1:108
	ds_load_2addr_b64 v[196:199], v7 offset0:109 offset1:110
	;; [unrolled: 1-line block ×16, first 2 shown]
	s_set_vgpr_msb 64                       ;  msbs: dst=1 src0=0 src1=0 src2=0
	ds_load_2addr_b64 v[0:3] /*v[256:259]*/, v7 offset0:99 offset1:100
	ds_load_2addr_b64 v[4:7] /*v[260:263]*/, v7 offset0:101 offset1:102
	ds_load_2addr_b64 v[8:11] /*v[264:267]*/, v7 offset0:103 offset1:104
	s_mov_b32 s0, exec_lo
	s_wait_dscnt 0x12
	v_dual_mov_b32 v14 /*v270*/, v195 :: v_dual_mov_b32 v15 /*v271*/, v194
	s_wait_dscnt 0x11
	v_dual_mov_b32 v16 /*v272*/, v199 :: v_dual_mov_b32 v17 /*v273*/, v198
	;; [unrolled: 2-line block ×4, first 2 shown]
	s_wait_loadcnt_dscnt 0x130d
	s_set_vgpr_msb 0                        ;  msbs: dst=0 src0=0 src1=0 src2=0
	v_dual_mul_f32 v7, v212, v117 :: v_dual_mul_f32 v9, v214, v119
	v_dual_mul_f32 v63, v213, v117 :: v_dual_mul_f32 v65, v215, v119
	s_wait_loadcnt_dscnt 0x120c
	v_dual_mul_f32 v11, v216, v121 :: v_dual_mul_f32 v13, v218, v123
	s_delay_alu instid0(VALU_DEP_3) | instskip(SKIP_3) | instid1(VALU_DEP_3)
	v_dual_fmac_f32 v7, v213, v116 :: v_dual_fmac_f32 v9, v215, v118
	s_wait_loadcnt_dscnt 0x100a
	v_dual_fma_f32 v63, v212, v116, -v63 :: v_dual_mul_f32 v75, v225, v129
	v_dual_mul_f32 v67, v217, v121 :: v_dual_mul_f32 v69, v219, v123
	v_dual_fma_f32 v65, v214, v118, -v65 :: v_dual_add_f32 v7, 0, v7
	s_delay_alu instid0(VALU_DEP_3) | instskip(SKIP_1) | instid1(VALU_DEP_4)
	v_dual_add_f32 v63, 0, v63 :: v_dual_fmac_f32 v11, v217, v120
	v_dual_mul_f32 v15, v220, v125 :: v_dual_mul_f32 v17, v222, v127
	v_dual_mul_f32 v77, v227, v131 :: v_dual_fma_f32 v67, v216, v120, -v67
	s_delay_alu instid0(VALU_DEP_4) | instskip(NEXT) | instid1(VALU_DEP_3)
	v_add_f32_e32 v7, v7, v9
	v_dual_add_f32 v9, v63, v65 :: v_dual_fmac_f32 v15, v221, v124
	v_dual_mul_f32 v71, v221, v125 :: v_dual_mul_f32 v73, v223, v127
	s_wait_loadcnt_dscnt 0xf09
	v_dual_mul_f32 v63, v229, v133 :: v_dual_fmac_f32 v13, v219, v122
	v_dual_fma_f32 v65, v218, v122, -v69 :: v_dual_add_f32 v7, v7, v11
	s_delay_alu instid0(VALU_DEP_3) | instskip(SKIP_1) | instid1(VALU_DEP_3)
	v_dual_add_f32 v9, v9, v67 :: v_dual_fma_f32 v67, v220, v124, -v71
	v_dual_mul_f32 v19, v224, v129 :: v_dual_mul_f32 v21, v226, v131
	v_add_f32_e32 v7, v7, v13
	s_delay_alu instid0(VALU_DEP_3) | instskip(SKIP_2) | instid1(VALU_DEP_3)
	v_dual_mul_f32 v11, v231, v135 :: v_dual_add_f32 v9, v9, v65
	s_wait_loadcnt_dscnt 0xe08
	v_dual_mul_f32 v13, v233, v137 :: v_dual_fmac_f32 v17, v223, v126
	v_dual_fma_f32 v65, v222, v126, -v73 :: v_dual_add_f32 v7, v7, v15
	s_delay_alu instid0(VALU_DEP_3) | instskip(SKIP_1) | instid1(VALU_DEP_3)
	v_dual_add_f32 v9, v9, v67 :: v_dual_fma_f32 v67, v224, v128, -v75
	v_dual_mul_f32 v15, v235, v139 :: v_dual_fmac_f32 v19, v225, v128
	v_add_f32_e32 v7, v7, v17
	s_delay_alu instid0(VALU_DEP_3)
	v_dual_add_f32 v9, v9, v65 :: v_dual_fmac_f32 v21, v227, v130
	v_dual_mul_f32 v23, v228, v133 :: v_dual_mul_f32 v25, v230, v135
	s_wait_loadcnt_dscnt 0xd07
	v_dual_fma_f32 v65, v226, v130, -v77 :: v_dual_mul_f32 v17, v237, v141
	v_add_f32_e32 v7, v7, v19
	v_dual_add_f32 v9, v9, v67 :: v_dual_fma_f32 v63, v228, v132, -v63
	v_dual_mul_f32 v19, v239, v143 :: v_dual_fmac_f32 v23, v229, v132
	s_delay_alu instid0(VALU_DEP_3) | instskip(NEXT) | instid1(VALU_DEP_3)
	v_dual_add_f32 v7, v7, v21 :: v_dual_fma_f32 v11, v230, v134, -v11
	v_dual_add_f32 v9, v9, v65 :: v_dual_fmac_f32 v25, v231, v134
	v_dual_mul_f32 v27, v232, v137 :: v_dual_mul_f32 v29, v234, v139
	s_wait_loadcnt_dscnt 0xc06
	s_delay_alu instid0(VALU_DEP_3) | instskip(NEXT) | instid1(VALU_DEP_3)
	v_dual_mul_f32 v21, v241, v145 :: v_dual_add_f32 v7, v7, v23
	v_dual_add_f32 v9, v9, v63 :: v_dual_fma_f32 v13, v232, v136, -v13
	s_delay_alu instid0(VALU_DEP_3) | instskip(NEXT) | instid1(VALU_DEP_2)
	v_dual_mul_f32 v23, v243, v147 :: v_dual_fmac_f32 v27, v233, v136
	v_dual_add_f32 v7, v7, v25 :: v_dual_add_f32 v9, v9, v11
	v_dual_mul_f32 v31, v236, v141 :: v_dual_mul_f32 v33, v238, v143
	s_wait_loadcnt_dscnt 0xb05
	v_dual_mul_f32 v11, v245, v149 :: v_dual_fmac_f32 v29, v235, v138
	s_delay_alu instid0(VALU_DEP_3) | instskip(SKIP_2) | instid1(VALU_DEP_2)
	v_dual_fma_f32 v15, v234, v138, -v15 :: v_dual_add_f32 v7, v7, v27
	v_dual_add_f32 v9, v9, v13 :: v_dual_mul_f32 v13, v247, v151
	v_dual_fmac_f32 v31, v237, v140 :: v_dual_fma_f32 v17, v236, v140, -v17
	v_dual_add_f32 v7, v7, v29 :: v_dual_add_f32 v9, v9, v15
	v_dual_mul_f32 v35, v240, v145 :: v_dual_mul_f32 v37, v242, v147
	s_wait_loadcnt_dscnt 0xa04
	v_dual_mul_f32 v15, v249, v153 :: v_dual_fmac_f32 v33, v239, v142
	s_delay_alu instid0(VALU_DEP_3) | instskip(SKIP_2) | instid1(VALU_DEP_2)
	v_dual_fma_f32 v19, v238, v142, -v19 :: v_dual_add_f32 v7, v7, v31
	v_dual_add_f32 v9, v9, v17 :: v_dual_mul_f32 v17, v251, v155
	v_dual_fmac_f32 v35, v241, v144 :: v_dual_fma_f32 v21, v240, v144, -v21
	v_dual_add_f32 v7, v7, v33 :: v_dual_add_f32 v9, v9, v19
	v_dual_mul_f32 v39, v244, v149 :: v_dual_mul_f32 v41, v246, v151
	s_wait_loadcnt_dscnt 0x903
	v_dual_mul_f32 v19, v253, v157 :: v_dual_fmac_f32 v37, v243, v146
	s_delay_alu instid0(VALU_DEP_3) | instskip(SKIP_2) | instid1(VALU_DEP_3)
	v_dual_fma_f32 v23, v242, v146, -v23 :: v_dual_add_f32 v7, v7, v35
	v_dual_add_f32 v9, v9, v21 :: v_dual_mul_f32 v21, v255, v159
	v_fmac_f32_e32 v39, v245, v148
	v_dual_fma_f32 v11, v244, v148, -v11 :: v_dual_add_f32 v7, v7, v37
	s_delay_alu instid0(VALU_DEP_3) | instskip(SKIP_1) | instid1(VALU_DEP_3)
	v_dual_add_f32 v9, v9, v23 :: v_dual_mul_f32 v43, v248, v153
	v_dual_mul_f32 v45, v250, v155 :: v_dual_fmac_f32 v41, v247, v150
	v_dual_fma_f32 v13, v246, v150, -v13 :: v_dual_add_f32 v7, v7, v39
	s_delay_alu instid0(VALU_DEP_3) | instskip(NEXT) | instid1(VALU_DEP_4)
	v_add_f32_e32 v9, v9, v11
	v_fmac_f32_e32 v43, v249, v152
	v_fma_f32 v15, v248, v152, -v15
	v_dual_mul_f32 v47, v252, v157 :: v_dual_mul_f32 v49, v254, v159
	v_add_f32_e32 v7, v7, v41
	v_dual_add_f32 v9, v9, v13 :: v_dual_fmac_f32 v45, v251, v154
	v_fma_f32 v17, v250, v154, -v17
	s_wait_loadcnt_dscnt 0x802
	s_set_vgpr_msb 1                        ;  msbs: dst=0 src0=1 src1=0 src2=0
	v_dual_mul_f32 v51, v0 /*v256*/, v161 :: v_dual_mul_f32 v53, v2 /*v258*/, v163
	s_set_vgpr_msb 0                        ;  msbs: dst=0 src0=0 src1=0 src2=0
	v_add_f32_e32 v7, v7, v43
	v_add_f32_e32 v9, v9, v15
	v_fmac_f32_e32 v47, v253, v156
	v_fma_f32 v19, v252, v156, -v19
	s_wait_loadcnt_dscnt 0x701
	s_set_vgpr_msb 1                        ;  msbs: dst=0 src0=1 src1=0 src2=0
	v_dual_mul_f32 v55, v4 /*v260*/, v165 :: v_dual_mul_f32 v57, v6 /*v262*/, v167
	s_set_vgpr_msb 0                        ;  msbs: dst=0 src0=0 src1=0 src2=0
	v_add_f32_e32 v7, v7, v45
	v_add_f32_e32 v9, v9, v17
	s_set_vgpr_msb 1                        ;  msbs: dst=0 src0=1 src1=0 src2=0
	v_dual_mul_f32 v23, v1 /*v257*/, v161 :: v_dual_mul_f32 v11, v3 /*v259*/, v163
	s_set_vgpr_msb 0                        ;  msbs: dst=0 src0=0 src1=0 src2=0
	v_fmac_f32_e32 v49, v255, v158
	v_dual_fma_f32 v21, v254, v158, -v21 :: v_dual_add_f32 v7, v7, v47
	v_add_f32_e32 v9, v9, v19
	s_set_vgpr_msb 1                        ;  msbs: dst=0 src0=1 src1=0 src2=0
	v_dual_fmac_f32 v51, v1 /*v257*/, v160 :: v_dual_fmac_f32 v53, v3 /*v259*/, v162
	v_dual_fma_f32 v23, v0 /*v256*/, v160, -v23 :: v_dual_fmac_f32 v57, v7 /*v263*/, v166
	s_set_vgpr_msb 0                        ;  msbs: dst=0 src0=0 src1=0 src2=0
	v_add_f32_e32 v9, v9, v21
	v_add_f32_e32 v7, v7, v49
	s_set_vgpr_msb 1                        ;  msbs: dst=0 src0=1 src1=0 src2=0
	v_dual_mul_f32 v13, v5 /*v261*/, v165 :: v_dual_mul_f32 v15, v7 /*v263*/, v167
	v_fma_f32 v11, v2 /*v258*/, v162, -v11
	s_set_vgpr_msb 0                        ;  msbs: dst=0 src0=0 src1=0 src2=0
	v_add_f32_e32 v9, v9, v23
	v_add_f32_e32 v7, v7, v51
	s_wait_loadcnt_dscnt 0x600
	s_set_vgpr_msb 1                        ;  msbs: dst=0 src0=1 src1=0 src2=0
	v_dual_mul_f32 v59, v8 /*v264*/, v169 :: v_dual_mul_f32 v61, v10 /*v266*/, v171
	v_dual_fmac_f32 v55, v5 /*v261*/, v164 :: v_dual_fma_f32 v13, v4 /*v260*/, v164, -v13
	s_set_vgpr_msb 0                        ;  msbs: dst=0 src0=0 src1=0 src2=0
	v_dual_add_f32 v7, v7, v53 :: v_dual_add_f32 v9, v9, v11
	s_set_vgpr_msb 1                        ;  msbs: dst=0 src0=1 src1=0 src2=0
	v_dual_mul_f32 v17, v9 /*v265*/, v169 :: v_dual_mul_f32 v19, v11 /*v267*/, v171
	v_fma_f32 v11, v6 /*v262*/, v166, -v15
	v_fmac_f32_e32 v61, v11 /*v267*/, v170
	s_set_vgpr_msb 0                        ;  msbs: dst=0 src0=0 src1=0 src2=0
	v_dual_add_f32 v7, v7, v55 :: v_dual_add_f32 v9, v9, v13
	s_set_vgpr_msb 1                        ;  msbs: dst=0 src0=1 src1=0 src2=0
	v_fma_f32 v13, v8 /*v264*/, v168, -v17
	s_wait_loadcnt 0x4
	s_set_vgpr_msb 0                        ;  msbs: dst=0 src0=0 src1=0 src2=0
	v_mov_b32_e32 v118, v179
	s_set_vgpr_msb 1                        ;  msbs: dst=0 src0=1 src1=0 src2=0
	v_fmac_f32_e32 v59, v9 /*v265*/, v168
	s_wait_loadcnt 0x3
	s_set_vgpr_msb 0                        ;  msbs: dst=0 src0=0 src1=0 src2=0
	v_dual_mov_b32 v122, v183 :: v_dual_add_f32 v9, v9, v11
	s_set_vgpr_msb 1                        ;  msbs: dst=0 src0=1 src1=0 src2=0
	v_fma_f32 v11, v10 /*v266*/, v170, -v19
	s_set_vgpr_msb 64                       ;  msbs: dst=1 src0=0 src1=0 src2=0
	v_dual_mul_f32 v23 /*v279*/, v200, v173 :: v_dual_mul_f32 v25 /*v281*/, v202, v175
	s_set_vgpr_msb 0                        ;  msbs: dst=0 src0=0 src1=0 src2=0
	v_dual_mul_f32 v21, v201, v173 :: v_dual_mul_f32 v23, v203, v175
	v_add_f32_e32 v9, v9, v13
	v_add_f32_e32 v7, v7, v57
	v_pk_mul_f32 v[116:117], v[192:193], v[176:177] op_sel:[1,1] op_sel_hi:[0,1]
	s_set_vgpr_msb 64                       ;  msbs: dst=1 src0=0 src1=0 src2=0
	v_dual_fmac_f32 v23 /*v279*/, v201, v172 :: v_dual_fmac_f32 v25 /*v281*/, v203, v174
	s_set_vgpr_msb 0                        ;  msbs: dst=0 src0=0 src1=0 src2=0
	v_add_f32_e32 v124, v9, v11
	v_add_f32_e32 v7, v7, v59
	s_set_vgpr_msb 64                       ;  msbs: dst=1 src0=0 src1=0 src2=0
	v_dual_fma_f32 v22 /*v278*/, v200, v172, -v21 :: v_dual_fma_f32 v24 /*v280*/, v202, v174, -v23
	s_set_vgpr_msb 0                        ;  msbs: dst=0 src0=0 src1=0 src2=0
	v_pk_fma_f32 v[126:127], v[192:193], v[176:177], v[116:117] op_sel_hi:[1,0,1]
	s_set_vgpr_msb 1                        ;  msbs: dst=0 src0=1 src1=0 src2=0
	v_pk_mul_f32 v[118:119], v[14:15] /*v[270:271]*/, v[118:119] op_sel_hi:[1,0]
	s_set_vgpr_msb 0                        ;  msbs: dst=0 src0=0 src1=0 src2=0
	v_add_f32_e32 v125, v7, v61
	v_pk_fma_f32 v[116:117], v[192:193], v[176:177], v[116:117] neg_lo:[0,0,1] neg_hi:[0,0,1]
	v_pk_mul_f32 v[120:121], v[196:197], v[180:181] op_sel:[1,1] op_sel_hi:[0,1]
	v_mov_b32_e32 v117, v127
	v_pk_fma_f32 v[126:127], v[194:195], v[178:179], v[118:119] op_sel_hi:[1,0,1]
	s_set_vgpr_msb 4                        ;  msbs: dst=0 src0=0 src1=1 src2=0
	v_pk_add_f32 v[124:125], v[124:125], v[22:23] /*v[278:279]*/
	s_set_vgpr_msb 0                        ;  msbs: dst=0 src0=0 src1=0 src2=0
	v_pk_fma_f32 v[118:119], v[194:195], v[178:179], v[118:119] neg_lo:[0,0,1] neg_hi:[0,0,1]
	v_pk_fma_f32 v[130:131], v[196:197], v[180:181], v[120:121] op_sel_hi:[1,0,1]
	s_set_vgpr_msb 1                        ;  msbs: dst=0 src0=1 src1=0 src2=0
	v_pk_mul_f32 v[122:123], v[16:17] /*v[272:273]*/, v[122:123] op_sel_hi:[1,0]
	s_set_vgpr_msb 4                        ;  msbs: dst=0 src0=0 src1=1 src2=0
	v_mov_b32_e32 v119, v127
	v_pk_add_f32 v[124:125], v[124:125], v[24:25] /*v[280:281]*/
	s_wait_loadcnt 0x2
	s_set_vgpr_msb 0                        ;  msbs: dst=0 src0=0 src1=0 src2=0
	v_pk_mul_f32 v[128:129], v[204:205], v[184:185] op_sel:[1,1] op_sel_hi:[0,1]
	v_pk_fma_f32 v[120:121], v[196:197], v[180:181], v[120:121] neg_lo:[0,0,1] neg_hi:[0,0,1]
	v_mov_b32_e32 v121, v131
	v_pk_fma_f32 v[126:127], v[198:199], v[182:183], v[122:123] op_sel_hi:[1,0,1]
	v_pk_add_f32 v[116:117], v[124:125], v[116:117]
	v_mov_b32_e32 v124, v187
	v_pk_fma_f32 v[122:123], v[198:199], v[182:183], v[122:123] neg_lo:[0,0,1] neg_hi:[0,0,1]
	s_delay_alu instid0(VALU_DEP_3)
	v_pk_add_f32 v[116:117], v[116:117], v[118:119]
	v_pk_fma_f32 v[118:119], v[204:205], v[184:185], v[128:129] op_sel_hi:[1,0,1]
	s_set_vgpr_msb 1                        ;  msbs: dst=0 src0=1 src1=0 src2=0
	v_pk_mul_f32 v[124:125], v[18:19] /*v[274:275]*/, v[124:125] op_sel_hi:[1,0]
	s_set_vgpr_msb 0                        ;  msbs: dst=0 src0=0 src1=0 src2=0
	v_mov_b32_e32 v123, v127
	v_pk_fma_f32 v[126:127], v[204:205], v[184:185], v[128:129] neg_lo:[0,0,1] neg_hi:[0,0,1]
	v_pk_add_f32 v[116:117], v[116:117], v[120:121]
	v_mov_b32_e32 v127, v119
	v_pk_fma_f32 v[118:119], v[206:207], v[186:187], v[124:125] op_sel_hi:[1,0,1]
	s_wait_loadcnt 0x1
	v_pk_mul_f32 v[120:121], v[208:209], v[188:189] op_sel:[1,1] op_sel_hi:[0,1]
	v_mov_b32_e32 v118, v191
	v_pk_add_f32 v[116:117], v[116:117], v[122:123]
	v_pk_fma_f32 v[124:125], v[206:207], v[186:187], v[124:125] neg_lo:[0,0,1] neg_hi:[0,0,1]
	v_mov_b32_e32 v125, v119
	v_pk_fma_f32 v[122:123], v[208:209], v[188:189], v[120:121] op_sel_hi:[1,0,1]
	s_set_vgpr_msb 1                        ;  msbs: dst=0 src0=1 src1=0 src2=0
	v_pk_mul_f32 v[118:119], v[20:21] /*v[276:277]*/, v[118:119] op_sel_hi:[1,0]
	s_set_vgpr_msb 0                        ;  msbs: dst=0 src0=0 src1=0 src2=0
	v_pk_add_f32 v[116:117], v[116:117], v[126:127]
	v_pk_fma_f32 v[120:121], v[208:209], v[188:189], v[120:121] neg_lo:[0,0,1] neg_hi:[0,0,1]
	v_mov_b32_e32 v121, v123
	v_pk_fma_f32 v[122:123], v[210:211], v[190:191], v[118:119] op_sel_hi:[1,0,1]
	s_delay_alu instid0(VALU_DEP_4) | instskip(SKIP_1) | instid1(VALU_DEP_3)
	v_pk_add_f32 v[116:117], v[116:117], v[124:125]
	v_pk_fma_f32 v[118:119], v[210:211], v[190:191], v[118:119] neg_lo:[0,0,1] neg_hi:[0,0,1]
	v_mov_b32_e32 v119, v123
	s_delay_alu instid0(VALU_DEP_3) | instskip(NEXT) | instid1(VALU_DEP_1)
	v_pk_add_f32 v[116:117], v[116:117], v[120:121]
	v_pk_add_f32 v[116:117], v[116:117], v[118:119]
	s_wait_loadcnt 0x0
	s_set_vgpr_msb 1                        ;  msbs: dst=0 src0=1 src1=0 src2=0
	s_delay_alu instid0(VALU_DEP_1)
	v_pk_add_f32 v[116:117], v[12:13] /*v[268:269]*/, v[116:117] neg_lo:[0,1] neg_hi:[0,1]
	scratch_store_b64 off, v[116:117], off offset:144
	s_wait_xcnt 0x0
	v_cmpx_lt_u32_e32 17, v0
	s_set_vgpr_msb 0                        ;  msbs: dst=0 src0=0 src1=0 src2=0
	s_cbranch_execz .LBB56_321
; %bb.320:
	scratch_load_b64 v[116:117], off, off offset:136
	v_mov_b64_e32 v[118:119], 0
	scratch_store_b64 off, v[118:119], off offset:136
	s_wait_loadcnt 0x0
	ds_store_b64 v1, v[116:117]
.LBB56_321:
	s_wait_xcnt 0x0
	s_or_b32 exec_lo, exec_lo, s0
	v_mov_b32_e32 v7, 0
	s_wait_storecnt_dscnt 0x0
	s_barrier_signal -1
	s_barrier_wait -1
	ds_load_b128 v[116:119], v7 offset:608
	ds_load_b128 v[120:123], v7 offset:624
	ds_load_b128 v[124:127], v7 offset:640
	ds_load_b128 v[128:131], v7 offset:656
	s_clause 0xf
	scratch_load_b128 v[132:135], off, off offset:144
	scratch_load_b128 v[136:139], off, off offset:160
	;; [unrolled: 1-line block ×16, first 2 shown]
	s_mov_b32 s0, exec_lo
	s_wait_loadcnt_dscnt 0xf03
	v_mul_f32_e32 v9, v116, v133
	ds_load_b128 v[228:231], v7 offset:832
	ds_load_b128 v[236:239], v7 offset:848
	;; [unrolled: 1-line block ×4, first 2 shown]
	v_dual_fmac_f32 v9, v117, v132 :: v_dual_mul_f32 v11, v118, v135
	ds_load_b128 v[164:167], v7 offset:704
	ds_load_b128 v[172:175], v7 offset:720
	;; [unrolled: 1-line block ×4, first 2 shown]
	v_dual_add_f32 v9, 0, v9 :: v_dual_fmac_f32 v11, v119, v134
	ds_load_b128 v[196:199], v7 offset:768
	ds_load_b128 v[204:207], v7 offset:784
	;; [unrolled: 1-line block ×4, first 2 shown]
	s_wait_loadcnt_dscnt 0xe0e
	v_dual_add_f32 v9, v9, v11 :: v_dual_mul_f32 v11, v120, v137
	s_clause 0x4
	scratch_load_b128 v[244:247], off, off offset:400
	scratch_load_b128 v[248:251], off, off offset:416
	;; [unrolled: 1-line block ×3, first 2 shown]
	s_set_vgpr_msb 64                       ;  msbs: dst=1 src0=0 src1=0 src2=0
	scratch_load_b64 v[6:7] /*v[262:263]*/, off, off offset:448
	s_wait_loadcnt_dscnt 0x40a
	v_dual_mul_f32 v3 /*v259*/, v230, v235 :: v_dual_mul_f32 v5 /*v261*/, v236, v241
	s_set_vgpr_msb 0                        ;  msbs: dst=0 src0=0 src1=0 src2=0
	v_fmac_f32_e32 v11, v121, v136
	s_set_vgpr_msb 64                       ;  msbs: dst=1 src0=0 src1=0 src2=0
	s_delay_alu instid0(VALU_DEP_2) | instskip(SKIP_1) | instid1(VALU_DEP_2)
	v_dual_fmac_f32 v3 /*v259*/, v231, v234 :: v_dual_fmac_f32 v5 /*v261*/, v237, v240
	s_set_vgpr_msb 0                        ;  msbs: dst=0 src0=0 src1=0 src2=0
	v_add_f32_e32 v9, v9, v11
	v_mul_f32_e32 v11, v122, v139
	s_delay_alu instid0(VALU_DEP_1) | instskip(NEXT) | instid1(VALU_DEP_1)
	v_fmac_f32_e32 v11, v123, v138
	v_dual_add_f32 v9, v9, v11 :: v_dual_mul_f32 v11, v124, v141
	s_delay_alu instid0(VALU_DEP_1) | instskip(NEXT) | instid1(VALU_DEP_1)
	v_fmac_f32_e32 v11, v125, v140
	v_add_f32_e32 v9, v9, v11
	v_mul_f32_e32 v11, v126, v143
	s_delay_alu instid0(VALU_DEP_1) | instskip(NEXT) | instid1(VALU_DEP_1)
	v_fmac_f32_e32 v11, v127, v142
	v_dual_add_f32 v9, v9, v11 :: v_dual_mul_f32 v11, v128, v145
	s_delay_alu instid0(VALU_DEP_1) | instskip(NEXT) | instid1(VALU_DEP_1)
	v_fmac_f32_e32 v11, v129, v144
	v_add_f32_e32 v9, v9, v11
	v_mul_f32_e32 v11, v130, v147
	s_delay_alu instid0(VALU_DEP_1) | instskip(SKIP_1) | instid1(VALU_DEP_1)
	v_fmac_f32_e32 v11, v131, v146
	s_wait_dscnt 0x9
	v_dual_add_f32 v9, v9, v11 :: v_dual_mul_f32 v11, v148, v153
	s_delay_alu instid0(VALU_DEP_1) | instskip(NEXT) | instid1(VALU_DEP_1)
	v_fmac_f32_e32 v11, v149, v152
	v_add_f32_e32 v9, v9, v11
	v_mul_f32_e32 v11, v150, v155
	s_delay_alu instid0(VALU_DEP_1) | instskip(SKIP_1) | instid1(VALU_DEP_1)
	v_fmac_f32_e32 v11, v151, v154
	s_wait_dscnt 0x8
	;; [unrolled: 8-line block ×10, first 2 shown]
	v_dual_add_f32 v9, v9, v11 :: v_dual_mul_f32 v11, v220, v225
	s_delay_alu instid0(VALU_DEP_1) | instskip(NEXT) | instid1(VALU_DEP_1)
	v_fmac_f32_e32 v11, v221, v224
	v_add_f32_e32 v9, v9, v11
	v_mul_f32_e32 v11, v222, v227
	s_delay_alu instid0(VALU_DEP_1) | instskip(NEXT) | instid1(VALU_DEP_1)
	v_fmac_f32_e32 v11, v223, v226
	v_dual_add_f32 v9, v9, v11 :: v_dual_mul_f32 v11, v228, v233
	s_delay_alu instid0(VALU_DEP_1) | instskip(SKIP_1) | instid1(VALU_DEP_1)
	v_fmac_f32_e32 v11, v229, v232
	s_set_vgpr_msb 64                       ;  msbs: dst=1 src0=0 src1=0 src2=0
	v_add_f32_e32 v1 /*v257*/, v9, v11
	s_set_vgpr_msb 0                        ;  msbs: dst=0 src0=0 src1=0 src2=0
	v_dual_mul_f32 v9, v117, v133 :: v_dual_mul_f32 v11, v119, v135
	s_delay_alu instid0(VALU_DEP_1) | instskip(NEXT) | instid1(VALU_DEP_2)
	v_dual_mov_b32 v133, v238 :: v_dual_fma_f32 v9, v116, v132, -v9
	v_dual_fma_f32 v11, v118, v134, -v11 :: v_dual_mov_b32 v132, v239
	s_delay_alu instid0(VALU_DEP_2) | instskip(NEXT) | instid1(VALU_DEP_1)
	v_dual_mov_b32 v134, v243 :: v_dual_add_f32 v9, 0, v9
	v_pk_mul_f32 v[132:133], v[132:133], v[134:135] op_sel_hi:[1,0]
	s_delay_alu instid0(VALU_DEP_2) | instskip(SKIP_1) | instid1(VALU_DEP_3)
	v_add_f32_e32 v9, v9, v11
	v_mul_f32_e32 v11, v121, v137
	v_pk_fma_f32 v[134:135], v[238:239], v[242:243], v[132:133] neg_lo:[0,0,1] neg_hi:[0,0,1]
	v_pk_fma_f32 v[132:133], v[238:239], v[242:243], v[132:133] op_sel_hi:[1,0,1]
	s_delay_alu instid0(VALU_DEP_1) | instskip(NEXT) | instid1(VALU_DEP_1)
	v_dual_fma_f32 v11, v120, v136, -v11 :: v_dual_mov_b32 v135, v133
	v_add_f32_e32 v9, v9, v11
	v_mul_f32_e32 v11, v123, v139
	s_delay_alu instid0(VALU_DEP_1) | instskip(NEXT) | instid1(VALU_DEP_1)
	v_fma_f32 v11, v122, v138, -v11
	v_add_f32_e32 v9, v9, v11
	v_mul_f32_e32 v11, v125, v141
	s_delay_alu instid0(VALU_DEP_1) | instskip(NEXT) | instid1(VALU_DEP_1)
	v_fma_f32 v11, v124, v140, -v11
	;; [unrolled: 4-line block ×3, first 2 shown]
	v_add_f32_e32 v9, v9, v11
	v_mul_f32_e32 v11, v129, v145
	s_delay_alu instid0(VALU_DEP_1)
	v_fma_f32 v11, v128, v144, -v11
	ds_load_b128 v[116:119], v7 offset:864
	ds_load_b128 v[120:123], v7 offset:880
	;; [unrolled: 1-line block ×3, first 2 shown]
	ds_load_b64 v[128:129], v7 offset:912
	v_add_f32_e32 v9, v9, v11
	v_mul_f32_e32 v11, v131, v147
	s_delay_alu instid0(VALU_DEP_1) | instskip(NEXT) | instid1(VALU_DEP_1)
	v_fma_f32 v11, v130, v146, -v11
	v_add_f32_e32 v9, v9, v11
	v_mul_f32_e32 v11, v149, v153
	s_wait_loadcnt_dscnt 0x303
	v_pk_mul_f32 v[132:133], v[116:117], v[244:245] op_sel:[1,1] op_sel_hi:[0,1]
	s_delay_alu instid0(VALU_DEP_2) | instskip(NEXT) | instid1(VALU_DEP_1)
	v_fma_f32 v11, v148, v152, -v11
	v_add_f32_e32 v9, v9, v11
	v_mul_f32_e32 v11, v151, v155
	s_delay_alu instid0(VALU_DEP_1) | instskip(NEXT) | instid1(VALU_DEP_1)
	v_fma_f32 v11, v150, v154, -v11
	v_add_f32_e32 v9, v9, v11
	v_mul_f32_e32 v11, v157, v161
	s_delay_alu instid0(VALU_DEP_1) | instskip(NEXT) | instid1(VALU_DEP_1)
	v_fma_f32 v11, v156, v160, -v11
	v_add_f32_e32 v9, v9, v11
	v_mul_f32_e32 v11, v159, v163
	s_delay_alu instid0(VALU_DEP_1) | instskip(NEXT) | instid1(VALU_DEP_1)
	v_fma_f32 v11, v158, v162, -v11
	v_add_f32_e32 v9, v9, v11
	v_mul_f32_e32 v11, v165, v169
	s_delay_alu instid0(VALU_DEP_1) | instskip(NEXT) | instid1(VALU_DEP_1)
	v_fma_f32 v11, v164, v168, -v11
	v_add_f32_e32 v9, v9, v11
	v_mul_f32_e32 v11, v167, v171
	s_delay_alu instid0(VALU_DEP_1) | instskip(NEXT) | instid1(VALU_DEP_1)
	v_fma_f32 v11, v166, v170, -v11
	v_add_f32_e32 v9, v9, v11
	v_mul_f32_e32 v11, v173, v177
	s_delay_alu instid0(VALU_DEP_1) | instskip(NEXT) | instid1(VALU_DEP_1)
	v_fma_f32 v11, v172, v176, -v11
	v_add_f32_e32 v9, v9, v11
	v_mul_f32_e32 v11, v175, v179
	s_delay_alu instid0(VALU_DEP_1) | instskip(NEXT) | instid1(VALU_DEP_1)
	v_fma_f32 v11, v174, v178, -v11
	v_add_f32_e32 v9, v9, v11
	v_mul_f32_e32 v11, v181, v185
	s_delay_alu instid0(VALU_DEP_1) | instskip(NEXT) | instid1(VALU_DEP_1)
	v_fma_f32 v11, v180, v184, -v11
	v_add_f32_e32 v9, v9, v11
	v_mul_f32_e32 v11, v183, v187
	s_delay_alu instid0(VALU_DEP_1) | instskip(NEXT) | instid1(VALU_DEP_1)
	v_fma_f32 v11, v182, v186, -v11
	v_add_f32_e32 v9, v9, v11
	v_mul_f32_e32 v11, v189, v193
	s_delay_alu instid0(VALU_DEP_1) | instskip(NEXT) | instid1(VALU_DEP_1)
	v_fma_f32 v11, v188, v192, -v11
	v_add_f32_e32 v9, v9, v11
	v_mul_f32_e32 v11, v191, v195
	s_delay_alu instid0(VALU_DEP_1) | instskip(NEXT) | instid1(VALU_DEP_1)
	v_fma_f32 v11, v190, v194, -v11
	v_add_f32_e32 v9, v9, v11
	v_mul_f32_e32 v11, v197, v201
	s_delay_alu instid0(VALU_DEP_1) | instskip(NEXT) | instid1(VALU_DEP_1)
	v_fma_f32 v11, v196, v200, -v11
	v_add_f32_e32 v9, v9, v11
	v_mul_f32_e32 v11, v199, v203
	s_delay_alu instid0(VALU_DEP_1) | instskip(NEXT) | instid1(VALU_DEP_1)
	v_fma_f32 v11, v198, v202, -v11
	v_add_f32_e32 v9, v9, v11
	v_mul_f32_e32 v11, v205, v209
	s_delay_alu instid0(VALU_DEP_1) | instskip(NEXT) | instid1(VALU_DEP_1)
	v_fma_f32 v11, v204, v208, -v11
	v_add_f32_e32 v9, v9, v11
	v_mul_f32_e32 v11, v207, v211
	s_delay_alu instid0(VALU_DEP_1) | instskip(NEXT) | instid1(VALU_DEP_1)
	v_fma_f32 v11, v206, v210, -v11
	v_add_f32_e32 v9, v9, v11
	v_mul_f32_e32 v11, v213, v217
	s_delay_alu instid0(VALU_DEP_1) | instskip(NEXT) | instid1(VALU_DEP_1)
	v_fma_f32 v11, v212, v216, -v11
	v_add_f32_e32 v9, v9, v11
	v_mul_f32_e32 v11, v215, v219
	s_delay_alu instid0(VALU_DEP_1) | instskip(NEXT) | instid1(VALU_DEP_1)
	v_fma_f32 v11, v214, v218, -v11
	v_add_f32_e32 v9, v9, v11
	v_mul_f32_e32 v11, v221, v225
	s_delay_alu instid0(VALU_DEP_1) | instskip(NEXT) | instid1(VALU_DEP_1)
	v_fma_f32 v11, v220, v224, -v11
	v_add_f32_e32 v9, v9, v11
	v_mul_f32_e32 v11, v223, v227
	s_delay_alu instid0(VALU_DEP_1) | instskip(NEXT) | instid1(VALU_DEP_1)
	v_fma_f32 v11, v222, v226, -v11
	v_add_f32_e32 v9, v9, v11
	v_mul_f32_e32 v11, v229, v233
	s_delay_alu instid0(VALU_DEP_1) | instskip(SKIP_1) | instid1(VALU_DEP_1)
	v_fma_f32 v11, v228, v232, -v11
	s_set_vgpr_msb 64                       ;  msbs: dst=1 src0=0 src1=0 src2=0
	v_add_f32_e32 v0 /*v256*/, v9, v11
	s_set_vgpr_msb 0                        ;  msbs: dst=0 src0=0 src1=0 src2=0
	v_mul_f32_e32 v9, v231, v235
	s_set_vgpr_msb 64                       ;  msbs: dst=1 src0=0 src1=0 src2=0
	s_delay_alu instid0(VALU_DEP_1) | instskip(SKIP_3) | instid1(VALU_DEP_2)
	v_fma_f32 v2 /*v258*/, v230, v234, -v9
	s_set_vgpr_msb 0                        ;  msbs: dst=0 src0=0 src1=0 src2=0
	v_mul_f32_e32 v9, v237, v241
	s_set_vgpr_msb 5                        ;  msbs: dst=0 src0=1 src1=1 src2=0
	v_pk_add_f32 v[130:131], v[0:1] /*v[256:257]*/, v[2:3] /*v[258:259]*/
	s_set_vgpr_msb 64                       ;  msbs: dst=1 src0=0 src1=0 src2=0
	s_delay_alu instid0(VALU_DEP_2) | instskip(SKIP_1) | instid1(VALU_DEP_1)
	v_fma_f32 v4 /*v260*/, v236, v240, -v9
	s_set_vgpr_msb 4                        ;  msbs: dst=0 src0=0 src1=1 src2=0
	v_pk_add_f32 v[130:131], v[130:131], v[4:5] /*v[260:261]*/
	s_set_vgpr_msb 0                        ;  msbs: dst=0 src0=0 src1=0 src2=0
	s_delay_alu instid0(VALU_DEP_1) | instskip(SKIP_2) | instid1(VALU_DEP_1)
	v_pk_add_f32 v[130:131], v[130:131], v[134:135]
	v_pk_fma_f32 v[134:135], v[116:117], v[244:245], v[132:133] neg_lo:[0,0,1] neg_hi:[0,0,1]
	v_pk_fma_f32 v[116:117], v[116:117], v[244:245], v[132:133] op_sel_hi:[1,0,1]
	v_dual_mov_b32 v132, v247 :: v_dual_mov_b32 v135, v117
	s_delay_alu instid0(VALU_DEP_1) | instskip(SKIP_1) | instid1(VALU_DEP_1)
	v_pk_add_f32 v[116:117], v[130:131], v[134:135]
	v_dual_mov_b32 v130, v119 :: v_dual_mov_b32 v131, v118
	v_pk_mul_f32 v[130:131], v[130:131], v[132:133] op_sel_hi:[1,0]
	s_delay_alu instid0(VALU_DEP_1) | instskip(SKIP_1) | instid1(VALU_DEP_1)
	v_pk_fma_f32 v[132:133], v[118:119], v[246:247], v[130:131] neg_lo:[0,0,1] neg_hi:[0,0,1]
	v_pk_fma_f32 v[118:119], v[118:119], v[246:247], v[130:131] op_sel_hi:[1,0,1]
	v_mov_b32_e32 v133, v119
	s_wait_loadcnt_dscnt 0x202
	v_pk_mul_f32 v[118:119], v[120:121], v[248:249] op_sel:[1,1] op_sel_hi:[0,1]
	s_delay_alu instid0(VALU_DEP_2) | instskip(NEXT) | instid1(VALU_DEP_2)
	v_pk_add_f32 v[116:117], v[116:117], v[132:133]
	v_pk_fma_f32 v[130:131], v[120:121], v[248:249], v[118:119] neg_lo:[0,0,1] neg_hi:[0,0,1]
	v_pk_fma_f32 v[118:119], v[120:121], v[248:249], v[118:119] op_sel_hi:[1,0,1]
	v_dual_mov_b32 v118, v123 :: v_dual_mov_b32 v120, v251
	s_delay_alu instid0(VALU_DEP_2) | instskip(NEXT) | instid1(VALU_DEP_1)
	v_dual_mov_b32 v131, v119 :: v_dual_mov_b32 v119, v122
	v_pk_add_f32 v[116:117], v[116:117], v[130:131]
	s_delay_alu instid0(VALU_DEP_2) | instskip(NEXT) | instid1(VALU_DEP_1)
	v_pk_mul_f32 v[118:119], v[118:119], v[120:121] op_sel_hi:[1,0]
	v_pk_fma_f32 v[120:121], v[122:123], v[250:251], v[118:119] neg_lo:[0,0,1] neg_hi:[0,0,1]
	v_pk_fma_f32 v[118:119], v[122:123], v[250:251], v[118:119] op_sel_hi:[1,0,1]
	s_delay_alu instid0(VALU_DEP_1) | instskip(SKIP_2) | instid1(VALU_DEP_2)
	v_mov_b32_e32 v121, v119
	s_wait_loadcnt_dscnt 0x101
	v_pk_mul_f32 v[118:119], v[124:125], v[252:253] op_sel:[1,1] op_sel_hi:[0,1]
	v_pk_add_f32 v[116:117], v[116:117], v[120:121]
	s_delay_alu instid0(VALU_DEP_2) | instskip(SKIP_1) | instid1(VALU_DEP_1)
	v_pk_fma_f32 v[120:121], v[124:125], v[252:253], v[118:119] neg_lo:[0,0,1] neg_hi:[0,0,1]
	v_pk_fma_f32 v[118:119], v[124:125], v[252:253], v[118:119] op_sel_hi:[1,0,1]
	v_dual_mov_b32 v118, v127 :: v_dual_mov_b32 v121, v119
	v_mov_b32_e32 v119, v126
	s_delay_alu instid0(VALU_DEP_2) | instskip(SKIP_1) | instid1(VALU_DEP_1)
	v_pk_add_f32 v[116:117], v[116:117], v[120:121]
	v_mov_b32_e32 v120, v255
	v_pk_mul_f32 v[118:119], v[118:119], v[120:121] op_sel_hi:[1,0]
	s_delay_alu instid0(VALU_DEP_1) | instskip(SKIP_1) | instid1(VALU_DEP_1)
	v_pk_fma_f32 v[120:121], v[126:127], v[254:255], v[118:119] neg_lo:[0,0,1] neg_hi:[0,0,1]
	v_pk_fma_f32 v[118:119], v[126:127], v[254:255], v[118:119] op_sel_hi:[1,0,1]
	v_mov_b32_e32 v121, v119
	s_wait_loadcnt_dscnt 0x0
	s_set_vgpr_msb 4                        ;  msbs: dst=0 src0=0 src1=1 src2=0
	v_pk_mul_f32 v[118:119], v[128:129], v[6:7] /*v[262:263]*/ op_sel:[1,1] op_sel_hi:[0,1]
	s_set_vgpr_msb 0                        ;  msbs: dst=0 src0=0 src1=0 src2=0
	v_pk_add_f32 v[116:117], v[116:117], v[120:121]
	s_set_vgpr_msb 4                        ;  msbs: dst=0 src0=0 src1=1 src2=0
	s_delay_alu instid0(VALU_DEP_2) | instskip(SKIP_1) | instid1(VALU_DEP_1)
	v_pk_fma_f32 v[120:121], v[128:129], v[6:7] /*v[262:263]*/, v[118:119] neg_lo:[0,0,1] neg_hi:[0,0,1]
	v_pk_fma_f32 v[118:119], v[128:129], v[6:7] /*v[262:263]*/, v[118:119] op_sel_hi:[1,0,1]
	v_mov_b32_e32 v121, v119
	scratch_load_b64 v[118:119], off, off offset:136
	s_set_vgpr_msb 0                        ;  msbs: dst=0 src0=0 src1=0 src2=0
	v_pk_add_f32 v[116:117], v[116:117], v[120:121]
	s_wait_loadcnt 0x0
	s_delay_alu instid0(VALU_DEP_1)
	v_pk_add_f32 v[116:117], v[118:119], v[116:117] neg_lo:[0,1] neg_hi:[0,1]
	scratch_store_b64 off, v[116:117], off offset:136
	s_wait_xcnt 0x0
	v_cmpx_lt_u32_e32 16, v0
	s_cbranch_execz .LBB56_323
; %bb.322:
	scratch_load_b64 v[116:117], off, off offset:128
	v_mov_b64_e32 v[118:119], 0
	scratch_store_b64 off, v[118:119], off offset:128
	s_wait_loadcnt 0x0
	ds_store_b64 v1, v[116:117]
.LBB56_323:
	s_wait_xcnt 0x0
	s_or_b32 exec_lo, exec_lo, s0
	s_wait_storecnt_dscnt 0x0
	s_barrier_signal -1
	s_barrier_wait -1
	s_clause 0xf
	scratch_load_b128 v[120:123], off, off offset:136
	scratch_load_b128 v[128:131], off, off offset:152
	;; [unrolled: 1-line block ×16, first 2 shown]
	ds_load_2addr_b64 v[116:119], v7 offset0:75 offset1:76
	ds_load_2addr_b64 v[124:127], v7 offset0:77 offset1:78
	;; [unrolled: 1-line block ×16, first 2 shown]
	s_clause 0x4
	scratch_load_b128 v[244:247], off, off offset:392
	scratch_load_b128 v[248:251], off, off offset:408
	;; [unrolled: 1-line block ×3, first 2 shown]
	s_set_vgpr_msb 64                       ;  msbs: dst=1 src0=0 src1=0 src2=0
	scratch_load_b128 v[0:3] /*v[256:259]*/, off, off offset:440
	s_mov_b32 s0, exec_lo
	s_wait_loadcnt_dscnt 0x130f
	s_set_vgpr_msb 0                        ;  msbs: dst=0 src0=0 src1=0 src2=0
	v_dual_mul_f32 v9, v116, v121 :: v_dual_mul_f32 v11, v118, v123
	s_delay_alu instid0(VALU_DEP_1) | instskip(NEXT) | instid1(VALU_DEP_1)
	v_dual_fmac_f32 v9, v117, v120 :: v_dual_fmac_f32 v11, v119, v122
	v_add_f32_e32 v9, 0, v9
	s_wait_loadcnt_dscnt 0x120e
	s_delay_alu instid0(VALU_DEP_1)
	v_dual_add_f32 v9, v9, v11 :: v_dual_mul_f32 v11, v124, v129
	s_wait_loadcnt_dscnt 0x408
	s_set_vgpr_msb 64                       ;  msbs: dst=1 src0=0 src1=0 src2=0
	v_dual_mul_f32 v7 /*v263*/, v236, v241 :: v_dual_mul_f32 v9 /*v265*/, v238, v243
	s_set_vgpr_msb 0                        ;  msbs: dst=0 src0=0 src1=0 src2=0
	v_fmac_f32_e32 v11, v125, v128
	s_set_vgpr_msb 64                       ;  msbs: dst=1 src0=0 src1=0 src2=0
	s_delay_alu instid0(VALU_DEP_2) | instskip(SKIP_1) | instid1(VALU_DEP_2)
	v_fmac_f32_e32 v7 /*v263*/, v237, v240
	s_set_vgpr_msb 0                        ;  msbs: dst=0 src0=0 src1=0 src2=0
	v_add_f32_e32 v9, v9, v11
	v_mul_f32_e32 v11, v126, v131
	s_delay_alu instid0(VALU_DEP_1) | instskip(NEXT) | instid1(VALU_DEP_1)
	v_fmac_f32_e32 v11, v127, v130
	v_dual_add_f32 v9, v9, v11 :: v_dual_mul_f32 v11, v132, v137
	s_delay_alu instid0(VALU_DEP_1) | instskip(NEXT) | instid1(VALU_DEP_1)
	v_fmac_f32_e32 v11, v133, v136
	v_add_f32_e32 v9, v9, v11
	v_mul_f32_e32 v11, v134, v139
	s_delay_alu instid0(VALU_DEP_1) | instskip(NEXT) | instid1(VALU_DEP_1)
	v_fmac_f32_e32 v11, v135, v138
	v_dual_add_f32 v9, v9, v11 :: v_dual_mul_f32 v11, v140, v145
	s_delay_alu instid0(VALU_DEP_1) | instskip(NEXT) | instid1(VALU_DEP_1)
	v_fmac_f32_e32 v11, v141, v144
	;; [unrolled: 7-line block ×4, first 2 shown]
	v_add_f32_e32 v9, v9, v11
	v_mul_f32_e32 v11, v158, v163
	s_delay_alu instid0(VALU_DEP_1) | instskip(SKIP_1) | instid1(VALU_DEP_1)
	v_fmac_f32_e32 v11, v159, v162
	s_wait_dscnt 0x7
	v_dual_add_f32 v9, v9, v11 :: v_dual_mul_f32 v11, v164, v169
	s_delay_alu instid0(VALU_DEP_1) | instskip(NEXT) | instid1(VALU_DEP_1)
	v_fmac_f32_e32 v11, v165, v168
	v_add_f32_e32 v9, v9, v11
	v_mul_f32_e32 v11, v166, v171
	s_delay_alu instid0(VALU_DEP_1) | instskip(SKIP_1) | instid1(VALU_DEP_1)
	v_fmac_f32_e32 v11, v167, v170
	s_wait_dscnt 0x6
	v_dual_add_f32 v9, v9, v11 :: v_dual_mul_f32 v11, v172, v177
	s_delay_alu instid0(VALU_DEP_1) | instskip(NEXT) | instid1(VALU_DEP_1)
	v_fmac_f32_e32 v11, v173, v176
	v_add_f32_e32 v9, v9, v11
	v_mul_f32_e32 v11, v174, v179
	s_delay_alu instid0(VALU_DEP_1) | instskip(SKIP_1) | instid1(VALU_DEP_1)
	v_fmac_f32_e32 v11, v175, v178
	s_wait_dscnt 0x5
	v_dual_add_f32 v9, v9, v11 :: v_dual_mul_f32 v11, v180, v185
	s_delay_alu instid0(VALU_DEP_1) | instskip(NEXT) | instid1(VALU_DEP_1)
	v_fmac_f32_e32 v11, v181, v184
	v_add_f32_e32 v9, v9, v11
	v_mul_f32_e32 v11, v182, v187
	s_delay_alu instid0(VALU_DEP_1) | instskip(SKIP_1) | instid1(VALU_DEP_1)
	v_fmac_f32_e32 v11, v183, v186
	s_wait_dscnt 0x4
	v_dual_add_f32 v9, v9, v11 :: v_dual_mul_f32 v11, v188, v193
	s_delay_alu instid0(VALU_DEP_1) | instskip(NEXT) | instid1(VALU_DEP_1)
	v_fmac_f32_e32 v11, v189, v192
	v_add_f32_e32 v9, v9, v11
	v_mul_f32_e32 v11, v190, v195
	s_delay_alu instid0(VALU_DEP_1) | instskip(SKIP_1) | instid1(VALU_DEP_1)
	v_fmac_f32_e32 v11, v191, v194
	s_wait_dscnt 0x3
	v_dual_add_f32 v9, v9, v11 :: v_dual_mul_f32 v11, v196, v201
	s_delay_alu instid0(VALU_DEP_1) | instskip(NEXT) | instid1(VALU_DEP_1)
	v_fmac_f32_e32 v11, v197, v200
	v_add_f32_e32 v9, v9, v11
	v_mul_f32_e32 v11, v198, v203
	s_delay_alu instid0(VALU_DEP_1) | instskip(SKIP_1) | instid1(VALU_DEP_1)
	v_fmac_f32_e32 v11, v199, v202
	s_wait_dscnt 0x2
	v_dual_add_f32 v9, v9, v11 :: v_dual_mul_f32 v11, v204, v209
	s_delay_alu instid0(VALU_DEP_1) | instskip(NEXT) | instid1(VALU_DEP_1)
	v_fmac_f32_e32 v11, v205, v208
	v_add_f32_e32 v9, v9, v11
	v_mul_f32_e32 v11, v206, v211
	s_delay_alu instid0(VALU_DEP_1) | instskip(SKIP_1) | instid1(VALU_DEP_1)
	v_fmac_f32_e32 v11, v207, v210
	s_wait_dscnt 0x1
	v_dual_add_f32 v9, v9, v11 :: v_dual_mul_f32 v11, v212, v217
	s_delay_alu instid0(VALU_DEP_1) | instskip(NEXT) | instid1(VALU_DEP_1)
	v_fmac_f32_e32 v11, v213, v216
	v_add_f32_e32 v9, v9, v11
	v_mul_f32_e32 v11, v214, v219
	s_delay_alu instid0(VALU_DEP_1) | instskip(SKIP_1) | instid1(VALU_DEP_1)
	v_fmac_f32_e32 v11, v215, v218
	s_wait_dscnt 0x0
	v_dual_add_f32 v9, v9, v11 :: v_dual_mul_f32 v11, v220, v225
	s_delay_alu instid0(VALU_DEP_1) | instskip(NEXT) | instid1(VALU_DEP_1)
	v_fmac_f32_e32 v11, v221, v224
	v_add_f32_e32 v9, v9, v11
	v_mul_f32_e32 v11, v222, v227
	s_delay_alu instid0(VALU_DEP_1) | instskip(NEXT) | instid1(VALU_DEP_1)
	v_fmac_f32_e32 v11, v223, v226
	v_dual_add_f32 v9, v9, v11 :: v_dual_mul_f32 v11, v228, v233
	s_delay_alu instid0(VALU_DEP_1) | instskip(NEXT) | instid1(VALU_DEP_1)
	v_fmac_f32_e32 v11, v229, v232
	v_add_f32_e32 v9, v9, v11
	v_mul_f32_e32 v11, v230, v235
	s_delay_alu instid0(VALU_DEP_1) | instskip(SKIP_1) | instid1(VALU_DEP_1)
	v_fmac_f32_e32 v11, v231, v234
	s_set_vgpr_msb 64                       ;  msbs: dst=1 src0=0 src1=0 src2=0
	v_add_f32_e32 v5 /*v261*/, v9, v11
	s_set_vgpr_msb 0                        ;  msbs: dst=0 src0=0 src1=0 src2=0
	v_dual_mul_f32 v9, v117, v121 :: v_dual_mul_f32 v11, v119, v123
	s_delay_alu instid0(VALU_DEP_1) | instskip(NEXT) | instid1(VALU_DEP_1)
	v_dual_fma_f32 v9, v116, v120, -v9 :: v_dual_fma_f32 v11, v118, v122, -v11
	v_add_f32_e32 v9, 0, v9
	s_delay_alu instid0(VALU_DEP_1) | instskip(SKIP_1) | instid1(VALU_DEP_1)
	v_add_f32_e32 v9, v9, v11
	v_mul_f32_e32 v11, v125, v129
	v_fma_f32 v11, v124, v128, -v11
	s_delay_alu instid0(VALU_DEP_1) | instskip(SKIP_1) | instid1(VALU_DEP_1)
	v_add_f32_e32 v9, v9, v11
	v_mul_f32_e32 v11, v127, v131
	v_fma_f32 v11, v126, v130, -v11
	ds_load_2addr_b64 v[116:119], v7 offset0:107 offset1:108
	ds_load_2addr_b64 v[120:123], v7 offset0:109 offset1:110
	;; [unrolled: 1-line block ×4, first 2 shown]
	v_add_f32_e32 v9, v9, v11
	v_mul_f32_e32 v11, v133, v137
	s_delay_alu instid0(VALU_DEP_1) | instskip(NEXT) | instid1(VALU_DEP_1)
	v_fma_f32 v11, v132, v136, -v11
	v_add_f32_e32 v9, v9, v11
	v_mul_f32_e32 v11, v135, v139
	s_delay_alu instid0(VALU_DEP_1) | instskip(SKIP_2) | instid1(VALU_DEP_2)
	v_fma_f32 v11, v134, v138, -v11
	s_wait_loadcnt_dscnt 0x303
	v_pk_mul_f32 v[134:135], v[116:117], v[244:245] op_sel:[1,1] op_sel_hi:[0,1]
	v_add_f32_e32 v9, v9, v11
	v_mul_f32_e32 v11, v141, v145
	s_delay_alu instid0(VALU_DEP_3) | instskip(SKIP_1) | instid1(VALU_DEP_3)
	v_pk_fma_f32 v[136:137], v[116:117], v[244:245], v[134:135] neg_lo:[0,0,1] neg_hi:[0,0,1]
	v_pk_fma_f32 v[116:117], v[116:117], v[244:245], v[134:135] op_sel_hi:[1,0,1]
	v_dual_mov_b32 v134, v247 :: v_dual_fma_f32 v11, v140, v144, -v11
	s_delay_alu instid0(VALU_DEP_2) | instskip(NEXT) | instid1(VALU_DEP_2)
	v_mov_b32_e32 v137, v117
	v_add_f32_e32 v9, v9, v11
	v_mul_f32_e32 v11, v143, v147
	s_delay_alu instid0(VALU_DEP_1) | instskip(NEXT) | instid1(VALU_DEP_1)
	v_fma_f32 v11, v142, v146, -v11
	v_add_f32_e32 v9, v9, v11
	v_mul_f32_e32 v11, v149, v153
	s_delay_alu instid0(VALU_DEP_1) | instskip(NEXT) | instid1(VALU_DEP_1)
	v_fma_f32 v11, v148, v152, -v11
	;; [unrolled: 4-line block ×22, first 2 shown]
	v_add_f32_e32 v9, v9, v11
	v_mul_f32_e32 v11, v231, v235
	s_delay_alu instid0(VALU_DEP_1) | instskip(SKIP_1) | instid1(VALU_DEP_1)
	v_fma_f32 v11, v230, v234, -v11
	s_set_vgpr_msb 64                       ;  msbs: dst=1 src0=0 src1=0 src2=0
	v_dual_fmac_f32 v9 /*v265*/, v239, v242 :: v_dual_add_f32 v4 /*v260*/, v9, v11
	s_set_vgpr_msb 0                        ;  msbs: dst=0 src0=0 src1=0 src2=0
	v_mul_f32_e32 v9, v237, v241
	s_set_vgpr_msb 64                       ;  msbs: dst=1 src0=0 src1=0 src2=0
	s_delay_alu instid0(VALU_DEP_1) | instskip(SKIP_3) | instid1(VALU_DEP_1)
	v_fma_f32 v6 /*v262*/, v236, v240, -v9
	s_set_vgpr_msb 0                        ;  msbs: dst=0 src0=0 src1=0 src2=0
	v_mul_f32_e32 v9, v239, v243
	s_set_vgpr_msb 64                       ;  msbs: dst=1 src0=0 src1=0 src2=0
	v_fma_f32 v8 /*v264*/, v238, v242, -v9
	s_set_vgpr_msb 5                        ;  msbs: dst=0 src0=1 src1=1 src2=0
	v_pk_add_f32 v[132:133], v[4:5] /*v[260:261]*/, v[6:7] /*v[262:263]*/
	s_set_vgpr_msb 4                        ;  msbs: dst=0 src0=0 src1=1 src2=0
	s_delay_alu instid0(VALU_DEP_1) | instskip(SKIP_1) | instid1(VALU_DEP_1)
	v_pk_add_f32 v[132:133], v[132:133], v[8:9] /*v[264:265]*/
	s_set_vgpr_msb 0                        ;  msbs: dst=0 src0=0 src1=0 src2=0
	v_pk_add_f32 v[116:117], v[132:133], v[136:137]
	v_dual_mov_b32 v132, v119 :: v_dual_mov_b32 v133, v118
	s_delay_alu instid0(VALU_DEP_1) | instskip(NEXT) | instid1(VALU_DEP_1)
	v_pk_mul_f32 v[132:133], v[132:133], v[134:135] op_sel_hi:[1,0]
	v_pk_fma_f32 v[134:135], v[118:119], v[246:247], v[132:133] neg_lo:[0,0,1] neg_hi:[0,0,1]
	v_pk_fma_f32 v[118:119], v[118:119], v[246:247], v[132:133] op_sel_hi:[1,0,1]
	s_delay_alu instid0(VALU_DEP_1) | instskip(SKIP_2) | instid1(VALU_DEP_2)
	v_mov_b32_e32 v135, v119
	s_wait_loadcnt_dscnt 0x202
	v_pk_mul_f32 v[118:119], v[120:121], v[248:249] op_sel:[1,1] op_sel_hi:[0,1]
	v_pk_add_f32 v[116:117], v[116:117], v[134:135]
	s_delay_alu instid0(VALU_DEP_2) | instskip(SKIP_2) | instid1(VALU_DEP_2)
	v_pk_fma_f32 v[132:133], v[120:121], v[248:249], v[118:119] neg_lo:[0,0,1] neg_hi:[0,0,1]
	v_pk_fma_f32 v[118:119], v[120:121], v[248:249], v[118:119] op_sel_hi:[1,0,1]
	v_dual_mov_b32 v118, v123 :: v_dual_mov_b32 v120, v251
	v_dual_mov_b32 v133, v119 :: v_dual_mov_b32 v119, v122
	s_delay_alu instid0(VALU_DEP_1) | instskip(NEXT) | instid1(VALU_DEP_2)
	v_pk_add_f32 v[116:117], v[116:117], v[132:133]
	v_pk_mul_f32 v[118:119], v[118:119], v[120:121] op_sel_hi:[1,0]
	s_delay_alu instid0(VALU_DEP_1) | instskip(SKIP_1) | instid1(VALU_DEP_1)
	v_pk_fma_f32 v[120:121], v[122:123], v[250:251], v[118:119] neg_lo:[0,0,1] neg_hi:[0,0,1]
	v_pk_fma_f32 v[118:119], v[122:123], v[250:251], v[118:119] op_sel_hi:[1,0,1]
	v_mov_b32_e32 v121, v119
	s_wait_loadcnt_dscnt 0x101
	v_pk_mul_f32 v[118:119], v[124:125], v[252:253] op_sel:[1,1] op_sel_hi:[0,1]
	s_delay_alu instid0(VALU_DEP_2) | instskip(NEXT) | instid1(VALU_DEP_2)
	v_pk_add_f32 v[116:117], v[116:117], v[120:121]
	v_pk_fma_f32 v[120:121], v[124:125], v[252:253], v[118:119] neg_lo:[0,0,1] neg_hi:[0,0,1]
	v_pk_fma_f32 v[118:119], v[124:125], v[252:253], v[118:119] op_sel_hi:[1,0,1]
	s_delay_alu instid0(VALU_DEP_1) | instskip(SKIP_1) | instid1(VALU_DEP_2)
	v_dual_mov_b32 v118, v127 :: v_dual_mov_b32 v121, v119
	v_mov_b32_e32 v119, v126
	v_pk_add_f32 v[116:117], v[116:117], v[120:121]
	v_mov_b32_e32 v120, v255
	s_delay_alu instid0(VALU_DEP_1) | instskip(NEXT) | instid1(VALU_DEP_1)
	v_pk_mul_f32 v[118:119], v[118:119], v[120:121] op_sel_hi:[1,0]
	v_pk_fma_f32 v[120:121], v[126:127], v[254:255], v[118:119] neg_lo:[0,0,1] neg_hi:[0,0,1]
	v_pk_fma_f32 v[118:119], v[126:127], v[254:255], v[118:119] op_sel_hi:[1,0,1]
	s_delay_alu instid0(VALU_DEP_1)
	v_mov_b32_e32 v121, v119
	s_wait_loadcnt_dscnt 0x0
	s_set_vgpr_msb 4                        ;  msbs: dst=0 src0=0 src1=1 src2=0
	v_pk_mul_f32 v[118:119], v[128:129], v[0:1] /*v[256:257]*/ op_sel:[1,1] op_sel_hi:[0,1]
	s_set_vgpr_msb 0                        ;  msbs: dst=0 src0=0 src1=0 src2=0
	v_pk_add_f32 v[116:117], v[116:117], v[120:121]
	s_set_vgpr_msb 4                        ;  msbs: dst=0 src0=0 src1=1 src2=0
	s_delay_alu instid0(VALU_DEP_2) | instskip(SKIP_1) | instid1(VALU_DEP_1)
	v_pk_fma_f32 v[120:121], v[128:129], v[0:1] /*v[256:257]*/, v[118:119] neg_lo:[0,0,1] neg_hi:[0,0,1]
	v_pk_fma_f32 v[118:119], v[128:129], v[0:1] /*v[256:257]*/, v[118:119] op_sel_hi:[1,0,1]
	v_dual_mov_b32 v118, v131 :: v_dual_mov_b32 v121, v119
	v_mov_b32_e32 v119, v130
	s_set_vgpr_msb 0                        ;  msbs: dst=0 src0=0 src1=0 src2=0
	s_delay_alu instid0(VALU_DEP_2) | instskip(SKIP_3) | instid1(VALU_DEP_1)
	v_pk_add_f32 v[116:117], v[116:117], v[120:121]
	s_set_vgpr_msb 1                        ;  msbs: dst=0 src0=1 src1=0 src2=0
	v_mov_b32_e32 v120, v3 /*v259*/
	s_set_vgpr_msb 0                        ;  msbs: dst=0 src0=0 src1=0 src2=0
	v_pk_mul_f32 v[118:119], v[118:119], v[120:121] op_sel_hi:[1,0]
	s_set_vgpr_msb 4                        ;  msbs: dst=0 src0=0 src1=1 src2=0
	s_delay_alu instid0(VALU_DEP_1) | instskip(SKIP_1) | instid1(VALU_DEP_1)
	v_pk_fma_f32 v[120:121], v[130:131], v[2:3] /*v[258:259]*/, v[118:119] neg_lo:[0,0,1] neg_hi:[0,0,1]
	v_pk_fma_f32 v[118:119], v[130:131], v[2:3] /*v[258:259]*/, v[118:119] op_sel_hi:[1,0,1]
	v_mov_b32_e32 v121, v119
	scratch_load_b64 v[118:119], off, off offset:128
	s_set_vgpr_msb 0                        ;  msbs: dst=0 src0=0 src1=0 src2=0
	v_pk_add_f32 v[116:117], v[116:117], v[120:121]
	s_wait_loadcnt 0x0
	s_delay_alu instid0(VALU_DEP_1)
	v_pk_add_f32 v[116:117], v[118:119], v[116:117] neg_lo:[0,1] neg_hi:[0,1]
	scratch_store_b64 off, v[116:117], off offset:128
	s_wait_xcnt 0x0
	v_cmpx_lt_u32_e32 15, v0
	s_cbranch_execz .LBB56_325
; %bb.324:
	scratch_load_b64 v[116:117], off, off offset:120
	v_mov_b64_e32 v[118:119], 0
	scratch_store_b64 off, v[118:119], off offset:120
	s_wait_loadcnt 0x0
	ds_store_b64 v1, v[116:117]
.LBB56_325:
	s_wait_xcnt 0x0
	s_or_b32 exec_lo, exec_lo, s0
	v_mov_b32_e32 v7, 0
	s_wait_storecnt_dscnt 0x0
	s_barrier_signal -1
	s_barrier_wait -1
	ds_load_b128 v[116:119], v7 offset:592
	ds_load_b128 v[120:123], v7 offset:608
	;; [unrolled: 1-line block ×4, first 2 shown]
	s_clause 0x10
	scratch_load_b128 v[132:135], off, off offset:128
	scratch_load_b128 v[136:139], off, off offset:144
	;; [unrolled: 1-line block ×17, first 2 shown]
	s_mov_b32 s0, exec_lo
	s_wait_loadcnt_dscnt 0x1003
	v_mul_f32_e32 v9, v116, v133
	ds_load_b128 v[228:231], v7 offset:816
	ds_load_b128 v[236:239], v7 offset:832
	;; [unrolled: 1-line block ×4, first 2 shown]
	v_dual_fmac_f32 v9, v117, v132 :: v_dual_mul_f32 v11, v118, v135
	ds_load_b128 v[244:247], v7 offset:848
	ds_load_b128 v[164:167], v7 offset:688
	;; [unrolled: 1-line block ×3, first 2 shown]
	v_dual_add_f32 v9, 0, v9 :: v_dual_fmac_f32 v11, v119, v134
	ds_load_b128 v[180:183], v7 offset:720
	ds_load_b128 v[188:191], v7 offset:736
	;; [unrolled: 1-line block ×4, first 2 shown]
	s_wait_loadcnt_dscnt 0xf0d
	v_dual_add_f32 v9, v9, v11 :: v_dual_mul_f32 v11, v120, v137
	ds_load_b128 v[212:215], v7 offset:784
	ds_load_b128 v[220:223], v7 offset:800
	s_clause 0x4
	scratch_load_b128 v[252:255], off, off offset:400
	s_set_vgpr_msb 64                       ;  msbs: dst=1 src0=0 src1=0 src2=0
	scratch_load_b128 v[0:3] /*v[256:259]*/, off, off offset:416
	scratch_load_b128 v[4:7] /*v[260:263]*/, off, off offset:432
	scratch_load_b64 v[14:15] /*v[270:271]*/, off, off offset:448
	s_set_vgpr_msb 0                        ;  msbs: dst=0 src0=0 src1=0 src2=0
	v_fmac_f32_e32 v11, v121, v136
	s_wait_loadcnt_dscnt 0x408
	s_set_vgpr_msb 64                       ;  msbs: dst=1 src0=0 src1=0 src2=0
	v_dual_mul_f32 v11 /*v267*/, v238, v243 :: v_dual_mul_f32 v13 /*v269*/, v244, v249
	s_set_vgpr_msb 0                        ;  msbs: dst=0 src0=0 src1=0 src2=0
	v_add_f32_e32 v9, v9, v11
	v_mul_f32_e32 v11, v122, v139
	s_set_vgpr_msb 64                       ;  msbs: dst=1 src0=0 src1=0 src2=0
	v_dual_fmac_f32 v11 /*v267*/, v239, v242 :: v_dual_fmac_f32 v13 /*v269*/, v245, v248
	s_set_vgpr_msb 0                        ;  msbs: dst=0 src0=0 src1=0 src2=0
	s_delay_alu instid0(VALU_DEP_2) | instskip(NEXT) | instid1(VALU_DEP_1)
	v_fmac_f32_e32 v11, v123, v138
	v_dual_add_f32 v9, v9, v11 :: v_dual_mul_f32 v11, v124, v141
	s_delay_alu instid0(VALU_DEP_1) | instskip(NEXT) | instid1(VALU_DEP_1)
	v_fmac_f32_e32 v11, v125, v140
	v_add_f32_e32 v9, v9, v11
	v_mul_f32_e32 v11, v126, v143
	s_delay_alu instid0(VALU_DEP_1) | instskip(NEXT) | instid1(VALU_DEP_1)
	v_fmac_f32_e32 v11, v127, v142
	v_dual_add_f32 v9, v9, v11 :: v_dual_mul_f32 v11, v128, v145
	s_delay_alu instid0(VALU_DEP_1) | instskip(NEXT) | instid1(VALU_DEP_1)
	v_fmac_f32_e32 v11, v129, v144
	v_add_f32_e32 v9, v9, v11
	v_mul_f32_e32 v11, v130, v147
	s_delay_alu instid0(VALU_DEP_1) | instskip(NEXT) | instid1(VALU_DEP_1)
	;; [unrolled: 7-line block ×3, first 2 shown]
	v_fmac_f32_e32 v11, v151, v154
	v_dual_add_f32 v9, v9, v11 :: v_dual_mul_f32 v11, v156, v161
	s_delay_alu instid0(VALU_DEP_1) | instskip(NEXT) | instid1(VALU_DEP_1)
	v_fmac_f32_e32 v11, v157, v160
	v_add_f32_e32 v9, v9, v11
	v_mul_f32_e32 v11, v158, v163
	s_delay_alu instid0(VALU_DEP_1) | instskip(SKIP_1) | instid1(VALU_DEP_1)
	v_fmac_f32_e32 v11, v159, v162
	s_wait_dscnt 0x7
	v_dual_add_f32 v9, v9, v11 :: v_dual_mul_f32 v11, v164, v169
	s_delay_alu instid0(VALU_DEP_1) | instskip(NEXT) | instid1(VALU_DEP_1)
	v_fmac_f32_e32 v11, v165, v168
	v_add_f32_e32 v9, v9, v11
	v_mul_f32_e32 v11, v166, v171
	s_delay_alu instid0(VALU_DEP_1) | instskip(SKIP_1) | instid1(VALU_DEP_1)
	v_fmac_f32_e32 v11, v167, v170
	s_wait_dscnt 0x6
	;; [unrolled: 8-line block ×8, first 2 shown]
	v_dual_add_f32 v9, v9, v11 :: v_dual_mul_f32 v11, v220, v225
	s_delay_alu instid0(VALU_DEP_1) | instskip(NEXT) | instid1(VALU_DEP_1)
	v_fmac_f32_e32 v11, v221, v224
	v_add_f32_e32 v9, v9, v11
	v_mul_f32_e32 v11, v222, v227
	s_delay_alu instid0(VALU_DEP_1) | instskip(NEXT) | instid1(VALU_DEP_1)
	v_fmac_f32_e32 v11, v223, v226
	v_dual_add_f32 v9, v9, v11 :: v_dual_mul_f32 v11, v228, v233
	s_delay_alu instid0(VALU_DEP_1) | instskip(NEXT) | instid1(VALU_DEP_1)
	v_fmac_f32_e32 v11, v229, v232
	v_add_f32_e32 v9, v9, v11
	v_mul_f32_e32 v11, v230, v235
	s_delay_alu instid0(VALU_DEP_1) | instskip(NEXT) | instid1(VALU_DEP_1)
	v_fmac_f32_e32 v11, v231, v234
	v_dual_add_f32 v9, v9, v11 :: v_dual_mul_f32 v11, v236, v241
	s_delay_alu instid0(VALU_DEP_1) | instskip(SKIP_1) | instid1(VALU_DEP_1)
	v_fmac_f32_e32 v11, v237, v240
	s_set_vgpr_msb 64                       ;  msbs: dst=1 src0=0 src1=0 src2=0
	v_add_f32_e32 v9 /*v265*/, v9, v11
	s_set_vgpr_msb 0                        ;  msbs: dst=0 src0=0 src1=0 src2=0
	v_dual_mul_f32 v9, v117, v133 :: v_dual_mul_f32 v11, v119, v135
	s_delay_alu instid0(VALU_DEP_1) | instskip(NEXT) | instid1(VALU_DEP_2)
	v_dual_mov_b32 v133, v246 :: v_dual_fma_f32 v9, v116, v132, -v9
	v_dual_fma_f32 v11, v118, v134, -v11 :: v_dual_mov_b32 v132, v247
	s_delay_alu instid0(VALU_DEP_2) | instskip(NEXT) | instid1(VALU_DEP_1)
	v_dual_mov_b32 v134, v251 :: v_dual_add_f32 v9, 0, v9
	v_pk_mul_f32 v[132:133], v[132:133], v[134:135] op_sel_hi:[1,0]
	s_delay_alu instid0(VALU_DEP_2) | instskip(SKIP_1) | instid1(VALU_DEP_3)
	v_add_f32_e32 v9, v9, v11
	v_mul_f32_e32 v11, v121, v137
	v_pk_fma_f32 v[134:135], v[246:247], v[250:251], v[132:133] neg_lo:[0,0,1] neg_hi:[0,0,1]
	v_pk_fma_f32 v[132:133], v[246:247], v[250:251], v[132:133] op_sel_hi:[1,0,1]
	s_delay_alu instid0(VALU_DEP_1) | instskip(NEXT) | instid1(VALU_DEP_1)
	v_dual_fma_f32 v11, v120, v136, -v11 :: v_dual_mov_b32 v135, v133
	v_add_f32_e32 v9, v9, v11
	v_mul_f32_e32 v11, v123, v139
	s_delay_alu instid0(VALU_DEP_1) | instskip(NEXT) | instid1(VALU_DEP_1)
	v_fma_f32 v11, v122, v138, -v11
	v_add_f32_e32 v9, v9, v11
	v_mul_f32_e32 v11, v125, v141
	s_delay_alu instid0(VALU_DEP_1) | instskip(NEXT) | instid1(VALU_DEP_1)
	v_fma_f32 v11, v124, v140, -v11
	;; [unrolled: 4-line block ×3, first 2 shown]
	v_add_f32_e32 v9, v9, v11
	v_mul_f32_e32 v11, v129, v145
	s_delay_alu instid0(VALU_DEP_1)
	v_fma_f32 v11, v128, v144, -v11
	ds_load_b128 v[116:119], v7 offset:864
	ds_load_b128 v[120:123], v7 offset:880
	;; [unrolled: 1-line block ×3, first 2 shown]
	ds_load_b64 v[128:129], v7 offset:912
	v_add_f32_e32 v9, v9, v11
	v_mul_f32_e32 v11, v131, v147
	s_delay_alu instid0(VALU_DEP_1) | instskip(NEXT) | instid1(VALU_DEP_1)
	v_fma_f32 v11, v130, v146, -v11
	v_add_f32_e32 v9, v9, v11
	v_mul_f32_e32 v11, v149, v153
	s_wait_loadcnt_dscnt 0x303
	v_pk_mul_f32 v[132:133], v[116:117], v[252:253] op_sel:[1,1] op_sel_hi:[0,1]
	s_delay_alu instid0(VALU_DEP_2) | instskip(NEXT) | instid1(VALU_DEP_1)
	v_fma_f32 v11, v148, v152, -v11
	v_add_f32_e32 v9, v9, v11
	v_mul_f32_e32 v11, v151, v155
	s_delay_alu instid0(VALU_DEP_1) | instskip(NEXT) | instid1(VALU_DEP_1)
	v_fma_f32 v11, v150, v154, -v11
	v_add_f32_e32 v9, v9, v11
	v_mul_f32_e32 v11, v157, v161
	s_delay_alu instid0(VALU_DEP_1) | instskip(NEXT) | instid1(VALU_DEP_1)
	;; [unrolled: 4-line block ×21, first 2 shown]
	v_fma_f32 v11, v230, v234, -v11
	v_add_f32_e32 v9, v9, v11
	v_mul_f32_e32 v11, v237, v241
	s_delay_alu instid0(VALU_DEP_1) | instskip(SKIP_1) | instid1(VALU_DEP_1)
	v_fma_f32 v11, v236, v240, -v11
	s_set_vgpr_msb 64                       ;  msbs: dst=1 src0=0 src1=0 src2=0
	v_add_f32_e32 v8 /*v264*/, v9, v11
	s_set_vgpr_msb 0                        ;  msbs: dst=0 src0=0 src1=0 src2=0
	v_mul_f32_e32 v9, v239, v243
	s_set_vgpr_msb 64                       ;  msbs: dst=1 src0=0 src1=0 src2=0
	s_delay_alu instid0(VALU_DEP_1) | instskip(SKIP_3) | instid1(VALU_DEP_2)
	v_fma_f32 v10 /*v266*/, v238, v242, -v9
	s_set_vgpr_msb 0                        ;  msbs: dst=0 src0=0 src1=0 src2=0
	v_mul_f32_e32 v9, v245, v249
	s_set_vgpr_msb 5                        ;  msbs: dst=0 src0=1 src1=1 src2=0
	v_pk_add_f32 v[130:131], v[8:9] /*v[264:265]*/, v[10:11] /*v[266:267]*/
	s_set_vgpr_msb 64                       ;  msbs: dst=1 src0=0 src1=0 src2=0
	s_delay_alu instid0(VALU_DEP_2) | instskip(SKIP_1) | instid1(VALU_DEP_1)
	v_fma_f32 v12 /*v268*/, v244, v248, -v9
	s_set_vgpr_msb 4                        ;  msbs: dst=0 src0=0 src1=1 src2=0
	v_pk_add_f32 v[130:131], v[130:131], v[12:13] /*v[268:269]*/
	s_set_vgpr_msb 0                        ;  msbs: dst=0 src0=0 src1=0 src2=0
	s_delay_alu instid0(VALU_DEP_1) | instskip(SKIP_2) | instid1(VALU_DEP_1)
	v_pk_add_f32 v[130:131], v[130:131], v[134:135]
	v_pk_fma_f32 v[134:135], v[116:117], v[252:253], v[132:133] neg_lo:[0,0,1] neg_hi:[0,0,1]
	v_pk_fma_f32 v[116:117], v[116:117], v[252:253], v[132:133] op_sel_hi:[1,0,1]
	v_dual_mov_b32 v132, v255 :: v_dual_mov_b32 v135, v117
	s_delay_alu instid0(VALU_DEP_1) | instskip(SKIP_1) | instid1(VALU_DEP_1)
	v_pk_add_f32 v[116:117], v[130:131], v[134:135]
	v_dual_mov_b32 v130, v119 :: v_dual_mov_b32 v131, v118
	v_pk_mul_f32 v[130:131], v[130:131], v[132:133] op_sel_hi:[1,0]
	s_delay_alu instid0(VALU_DEP_1) | instskip(SKIP_1) | instid1(VALU_DEP_1)
	v_pk_fma_f32 v[132:133], v[118:119], v[254:255], v[130:131] neg_lo:[0,0,1] neg_hi:[0,0,1]
	v_pk_fma_f32 v[118:119], v[118:119], v[254:255], v[130:131] op_sel_hi:[1,0,1]
	v_mov_b32_e32 v133, v119
	s_wait_loadcnt_dscnt 0x202
	s_set_vgpr_msb 4                        ;  msbs: dst=0 src0=0 src1=1 src2=0
	v_pk_mul_f32 v[118:119], v[120:121], v[0:1] /*v[256:257]*/ op_sel:[1,1] op_sel_hi:[0,1]
	s_set_vgpr_msb 0                        ;  msbs: dst=0 src0=0 src1=0 src2=0
	v_pk_add_f32 v[116:117], v[116:117], v[132:133]
	s_set_vgpr_msb 4                        ;  msbs: dst=0 src0=0 src1=1 src2=0
	s_delay_alu instid0(VALU_DEP_2)
	v_pk_fma_f32 v[130:131], v[120:121], v[0:1] /*v[256:257]*/, v[118:119] neg_lo:[0,0,1] neg_hi:[0,0,1]
	v_pk_fma_f32 v[118:119], v[120:121], v[0:1] /*v[256:257]*/, v[118:119] op_sel_hi:[1,0,1]
	v_mov_b32_e32 v118, v123
	s_set_vgpr_msb 1                        ;  msbs: dst=0 src0=1 src1=0 src2=0
	v_mov_b32_e32 v120, v3 /*v259*/
	s_set_vgpr_msb 0                        ;  msbs: dst=0 src0=0 src1=0 src2=0
	v_dual_mov_b32 v131, v119 :: v_dual_mov_b32 v119, v122
	s_delay_alu instid0(VALU_DEP_1) | instskip(NEXT) | instid1(VALU_DEP_2)
	v_pk_add_f32 v[116:117], v[116:117], v[130:131]
	v_pk_mul_f32 v[118:119], v[118:119], v[120:121] op_sel_hi:[1,0]
	s_set_vgpr_msb 4                        ;  msbs: dst=0 src0=0 src1=1 src2=0
	s_delay_alu instid0(VALU_DEP_1) | instskip(SKIP_1) | instid1(VALU_DEP_1)
	v_pk_fma_f32 v[120:121], v[122:123], v[2:3] /*v[258:259]*/, v[118:119] neg_lo:[0,0,1] neg_hi:[0,0,1]
	v_pk_fma_f32 v[118:119], v[122:123], v[2:3] /*v[258:259]*/, v[118:119] op_sel_hi:[1,0,1]
	v_mov_b32_e32 v121, v119
	s_wait_loadcnt_dscnt 0x101
	v_pk_mul_f32 v[118:119], v[124:125], v[4:5] /*v[260:261]*/ op_sel:[1,1] op_sel_hi:[0,1]
	s_set_vgpr_msb 0                        ;  msbs: dst=0 src0=0 src1=0 src2=0
	s_delay_alu instid0(VALU_DEP_2) | instskip(SKIP_1) | instid1(VALU_DEP_2)
	v_pk_add_f32 v[116:117], v[116:117], v[120:121]
	s_set_vgpr_msb 4                        ;  msbs: dst=0 src0=0 src1=1 src2=0
	v_pk_fma_f32 v[120:121], v[124:125], v[4:5] /*v[260:261]*/, v[118:119] neg_lo:[0,0,1] neg_hi:[0,0,1]
	v_pk_fma_f32 v[118:119], v[124:125], v[4:5] /*v[260:261]*/, v[118:119] op_sel_hi:[1,0,1]
	s_delay_alu instid0(VALU_DEP_1) | instskip(SKIP_2) | instid1(VALU_DEP_2)
	v_dual_mov_b32 v118, v127 :: v_dual_mov_b32 v121, v119
	v_mov_b32_e32 v119, v126
	s_set_vgpr_msb 0                        ;  msbs: dst=0 src0=0 src1=0 src2=0
	v_pk_add_f32 v[116:117], v[116:117], v[120:121]
	s_set_vgpr_msb 1                        ;  msbs: dst=0 src0=1 src1=0 src2=0
	v_mov_b32_e32 v120, v7 /*v263*/
	s_set_vgpr_msb 0                        ;  msbs: dst=0 src0=0 src1=0 src2=0
	s_delay_alu instid0(VALU_DEP_1) | instskip(SKIP_1) | instid1(VALU_DEP_1)
	v_pk_mul_f32 v[118:119], v[118:119], v[120:121] op_sel_hi:[1,0]
	s_set_vgpr_msb 4                        ;  msbs: dst=0 src0=0 src1=1 src2=0
	v_pk_fma_f32 v[120:121], v[126:127], v[6:7] /*v[262:263]*/, v[118:119] neg_lo:[0,0,1] neg_hi:[0,0,1]
	v_pk_fma_f32 v[118:119], v[126:127], v[6:7] /*v[262:263]*/, v[118:119] op_sel_hi:[1,0,1]
	s_delay_alu instid0(VALU_DEP_1) | instskip(SKIP_3) | instid1(VALU_DEP_2)
	v_mov_b32_e32 v121, v119
	s_wait_loadcnt_dscnt 0x0
	v_pk_mul_f32 v[118:119], v[128:129], v[14:15] /*v[270:271]*/ op_sel:[1,1] op_sel_hi:[0,1]
	s_set_vgpr_msb 0                        ;  msbs: dst=0 src0=0 src1=0 src2=0
	v_pk_add_f32 v[116:117], v[116:117], v[120:121]
	s_set_vgpr_msb 4                        ;  msbs: dst=0 src0=0 src1=1 src2=0
	s_delay_alu instid0(VALU_DEP_2) | instskip(SKIP_1) | instid1(VALU_DEP_1)
	v_pk_fma_f32 v[120:121], v[128:129], v[14:15] /*v[270:271]*/, v[118:119] neg_lo:[0,0,1] neg_hi:[0,0,1]
	v_pk_fma_f32 v[118:119], v[128:129], v[14:15] /*v[270:271]*/, v[118:119] op_sel_hi:[1,0,1]
	v_mov_b32_e32 v121, v119
	scratch_load_b64 v[118:119], off, off offset:120
	s_set_vgpr_msb 0                        ;  msbs: dst=0 src0=0 src1=0 src2=0
	v_pk_add_f32 v[116:117], v[116:117], v[120:121]
	s_wait_loadcnt 0x0
	s_delay_alu instid0(VALU_DEP_1)
	v_pk_add_f32 v[116:117], v[118:119], v[116:117] neg_lo:[0,1] neg_hi:[0,1]
	scratch_store_b64 off, v[116:117], off offset:120
	s_wait_xcnt 0x0
	v_cmpx_lt_u32_e32 14, v0
	s_cbranch_execz .LBB56_327
; %bb.326:
	scratch_load_b64 v[116:117], off, off offset:112
	v_mov_b64_e32 v[118:119], 0
	scratch_store_b64 off, v[118:119], off offset:112
	s_wait_loadcnt 0x0
	ds_store_b64 v1, v[116:117]
.LBB56_327:
	s_wait_xcnt 0x0
	s_or_b32 exec_lo, exec_lo, s0
	s_wait_storecnt_dscnt 0x0
	s_barrier_signal -1
	s_barrier_wait -1
	s_clause 0xf
	scratch_load_b128 v[120:123], off, off offset:120
	scratch_load_b128 v[128:131], off, off offset:136
	;; [unrolled: 1-line block ×16, first 2 shown]
	ds_load_2addr_b64 v[116:119], v7 offset0:73 offset1:74
	ds_load_2addr_b64 v[124:127], v7 offset0:75 offset1:76
	;; [unrolled: 1-line block ×7, first 2 shown]
	scratch_load_b128 v[248:251], off, off offset:376
	ds_load_2addr_b64 v[164:167], v7 offset0:85 offset1:86
	ds_load_2addr_b64 v[172:175], v7 offset0:87 offset1:88
	;; [unrolled: 1-line block ×10, first 2 shown]
	s_clause 0x4
	scratch_load_b128 v[252:255], off, off offset:392
	s_set_vgpr_msb 64                       ;  msbs: dst=1 src0=0 src1=0 src2=0
	scratch_load_b128 v[0:3] /*v[256:259]*/, off, off offset:408
	scratch_load_b128 v[4:7] /*v[260:263]*/, off, off offset:424
	;; [unrolled: 1-line block ×3, first 2 shown]
	s_mov_b32 s0, exec_lo
	s_wait_loadcnt_dscnt 0x1410
	s_set_vgpr_msb 0                        ;  msbs: dst=0 src0=0 src1=0 src2=0
	v_dual_mul_f32 v9, v116, v121 :: v_dual_mul_f32 v11, v118, v123
	s_delay_alu instid0(VALU_DEP_1) | instskip(NEXT) | instid1(VALU_DEP_1)
	v_dual_fmac_f32 v9, v117, v120 :: v_dual_fmac_f32 v11, v119, v122
	v_add_f32_e32 v9, 0, v9
	s_wait_loadcnt_dscnt 0x130f
	s_delay_alu instid0(VALU_DEP_1) | instskip(NEXT) | instid1(VALU_DEP_1)
	v_dual_add_f32 v9, v9, v11 :: v_dual_mul_f32 v11, v124, v129
	v_fmac_f32_e32 v11, v125, v128
	s_wait_loadcnt_dscnt 0x40a
	s_set_vgpr_msb 64                       ;  msbs: dst=1 src0=0 src1=0 src2=0
	v_dual_mul_f32 v15 /*v271*/, v244, v249 :: v_dual_mul_f32 v17 /*v273*/, v246, v251
	s_set_vgpr_msb 0                        ;  msbs: dst=0 src0=0 src1=0 src2=0
	v_add_f32_e32 v9, v9, v11
	v_mul_f32_e32 v11, v126, v131
	s_set_vgpr_msb 64                       ;  msbs: dst=1 src0=0 src1=0 src2=0
	v_fmac_f32_e32 v15 /*v271*/, v245, v248
	s_set_vgpr_msb 0                        ;  msbs: dst=0 src0=0 src1=0 src2=0
	s_delay_alu instid0(VALU_DEP_2) | instskip(NEXT) | instid1(VALU_DEP_1)
	v_fmac_f32_e32 v11, v127, v130
	v_dual_add_f32 v9, v9, v11 :: v_dual_mul_f32 v11, v132, v137
	s_delay_alu instid0(VALU_DEP_1) | instskip(NEXT) | instid1(VALU_DEP_1)
	v_fmac_f32_e32 v11, v133, v136
	v_add_f32_e32 v9, v9, v11
	v_mul_f32_e32 v11, v134, v139
	s_delay_alu instid0(VALU_DEP_1) | instskip(NEXT) | instid1(VALU_DEP_1)
	v_fmac_f32_e32 v11, v135, v138
	v_dual_add_f32 v9, v9, v11 :: v_dual_mul_f32 v11, v140, v145
	s_delay_alu instid0(VALU_DEP_1) | instskip(NEXT) | instid1(VALU_DEP_1)
	v_fmac_f32_e32 v11, v141, v144
	v_add_f32_e32 v9, v9, v11
	v_mul_f32_e32 v11, v142, v147
	s_delay_alu instid0(VALU_DEP_1) | instskip(NEXT) | instid1(VALU_DEP_1)
	;; [unrolled: 7-line block ×3, first 2 shown]
	v_fmac_f32_e32 v11, v151, v154
	v_dual_add_f32 v9, v9, v11 :: v_dual_mul_f32 v11, v156, v161
	s_delay_alu instid0(VALU_DEP_1) | instskip(NEXT) | instid1(VALU_DEP_1)
	v_fmac_f32_e32 v11, v157, v160
	v_add_f32_e32 v9, v9, v11
	v_mul_f32_e32 v11, v158, v163
	s_delay_alu instid0(VALU_DEP_1) | instskip(SKIP_1) | instid1(VALU_DEP_1)
	v_fmac_f32_e32 v11, v159, v162
	s_wait_dscnt 0x9
	v_dual_add_f32 v9, v9, v11 :: v_dual_mul_f32 v11, v164, v169
	s_delay_alu instid0(VALU_DEP_1) | instskip(NEXT) | instid1(VALU_DEP_1)
	v_fmac_f32_e32 v11, v165, v168
	v_add_f32_e32 v9, v9, v11
	v_mul_f32_e32 v11, v166, v171
	s_delay_alu instid0(VALU_DEP_1) | instskip(SKIP_1) | instid1(VALU_DEP_1)
	v_fmac_f32_e32 v11, v167, v170
	s_wait_dscnt 0x8
	v_dual_add_f32 v9, v9, v11 :: v_dual_mul_f32 v11, v172, v177
	s_delay_alu instid0(VALU_DEP_1) | instskip(NEXT) | instid1(VALU_DEP_1)
	v_fmac_f32_e32 v11, v173, v176
	v_add_f32_e32 v9, v9, v11
	v_mul_f32_e32 v11, v174, v179
	s_delay_alu instid0(VALU_DEP_1) | instskip(SKIP_1) | instid1(VALU_DEP_1)
	v_fmac_f32_e32 v11, v175, v178
	s_wait_dscnt 0x7
	v_dual_add_f32 v9, v9, v11 :: v_dual_mul_f32 v11, v180, v185
	s_delay_alu instid0(VALU_DEP_1) | instskip(NEXT) | instid1(VALU_DEP_1)
	v_fmac_f32_e32 v11, v181, v184
	v_add_f32_e32 v9, v9, v11
	v_mul_f32_e32 v11, v182, v187
	s_delay_alu instid0(VALU_DEP_1) | instskip(SKIP_1) | instid1(VALU_DEP_1)
	v_fmac_f32_e32 v11, v183, v186
	s_wait_dscnt 0x6
	v_dual_add_f32 v9, v9, v11 :: v_dual_mul_f32 v11, v188, v193
	s_delay_alu instid0(VALU_DEP_1) | instskip(NEXT) | instid1(VALU_DEP_1)
	v_fmac_f32_e32 v11, v189, v192
	v_add_f32_e32 v9, v9, v11
	v_mul_f32_e32 v11, v190, v195
	s_delay_alu instid0(VALU_DEP_1) | instskip(SKIP_1) | instid1(VALU_DEP_1)
	v_fmac_f32_e32 v11, v191, v194
	s_wait_dscnt 0x5
	v_dual_add_f32 v9, v9, v11 :: v_dual_mul_f32 v11, v196, v201
	s_delay_alu instid0(VALU_DEP_1) | instskip(NEXT) | instid1(VALU_DEP_1)
	v_fmac_f32_e32 v11, v197, v200
	v_add_f32_e32 v9, v9, v11
	v_mul_f32_e32 v11, v198, v203
	s_delay_alu instid0(VALU_DEP_1) | instskip(SKIP_1) | instid1(VALU_DEP_1)
	v_fmac_f32_e32 v11, v199, v202
	s_wait_dscnt 0x4
	v_dual_add_f32 v9, v9, v11 :: v_dual_mul_f32 v11, v204, v209
	s_delay_alu instid0(VALU_DEP_1) | instskip(NEXT) | instid1(VALU_DEP_1)
	v_fmac_f32_e32 v11, v205, v208
	v_add_f32_e32 v9, v9, v11
	v_mul_f32_e32 v11, v206, v211
	s_delay_alu instid0(VALU_DEP_1) | instskip(SKIP_1) | instid1(VALU_DEP_1)
	v_fmac_f32_e32 v11, v207, v210
	s_wait_dscnt 0x3
	v_dual_add_f32 v9, v9, v11 :: v_dual_mul_f32 v11, v212, v217
	s_delay_alu instid0(VALU_DEP_1) | instskip(NEXT) | instid1(VALU_DEP_1)
	v_fmac_f32_e32 v11, v213, v216
	v_add_f32_e32 v9, v9, v11
	v_mul_f32_e32 v11, v214, v219
	s_delay_alu instid0(VALU_DEP_1) | instskip(SKIP_1) | instid1(VALU_DEP_1)
	v_fmac_f32_e32 v11, v215, v218
	s_wait_dscnt 0x2
	v_dual_add_f32 v9, v9, v11 :: v_dual_mul_f32 v11, v220, v225
	s_delay_alu instid0(VALU_DEP_1) | instskip(NEXT) | instid1(VALU_DEP_1)
	v_fmac_f32_e32 v11, v221, v224
	v_add_f32_e32 v9, v9, v11
	v_mul_f32_e32 v11, v222, v227
	s_delay_alu instid0(VALU_DEP_1) | instskip(SKIP_1) | instid1(VALU_DEP_1)
	v_fmac_f32_e32 v11, v223, v226
	s_wait_dscnt 0x1
	v_dual_add_f32 v9, v9, v11 :: v_dual_mul_f32 v11, v228, v233
	s_delay_alu instid0(VALU_DEP_1) | instskip(NEXT) | instid1(VALU_DEP_1)
	v_fmac_f32_e32 v11, v229, v232
	v_add_f32_e32 v9, v9, v11
	v_mul_f32_e32 v11, v230, v235
	s_delay_alu instid0(VALU_DEP_1) | instskip(SKIP_1) | instid1(VALU_DEP_1)
	v_fmac_f32_e32 v11, v231, v234
	s_wait_dscnt 0x0
	v_dual_add_f32 v9, v9, v11 :: v_dual_mul_f32 v11, v236, v241
	s_delay_alu instid0(VALU_DEP_1) | instskip(NEXT) | instid1(VALU_DEP_1)
	v_fmac_f32_e32 v11, v237, v240
	v_add_f32_e32 v9, v9, v11
	v_mul_f32_e32 v11, v238, v243
	s_delay_alu instid0(VALU_DEP_1) | instskip(SKIP_1) | instid1(VALU_DEP_1)
	v_fmac_f32_e32 v11, v239, v242
	s_set_vgpr_msb 64                       ;  msbs: dst=1 src0=0 src1=0 src2=0
	v_add_f32_e32 v13 /*v269*/, v9, v11
	s_set_vgpr_msb 0                        ;  msbs: dst=0 src0=0 src1=0 src2=0
	v_dual_mul_f32 v9, v117, v121 :: v_dual_mul_f32 v11, v119, v123
	s_delay_alu instid0(VALU_DEP_1) | instskip(NEXT) | instid1(VALU_DEP_1)
	v_dual_fma_f32 v9, v116, v120, -v9 :: v_dual_fma_f32 v11, v118, v122, -v11
	v_add_f32_e32 v9, 0, v9
	s_delay_alu instid0(VALU_DEP_1) | instskip(SKIP_1) | instid1(VALU_DEP_1)
	v_add_f32_e32 v9, v9, v11
	v_mul_f32_e32 v11, v125, v129
	v_fma_f32 v11, v124, v128, -v11
	s_delay_alu instid0(VALU_DEP_1) | instskip(SKIP_1) | instid1(VALU_DEP_1)
	v_add_f32_e32 v9, v9, v11
	v_mul_f32_e32 v11, v127, v131
	v_fma_f32 v11, v126, v130, -v11
	ds_load_2addr_b64 v[116:119], v7 offset0:107 offset1:108
	ds_load_2addr_b64 v[120:123], v7 offset0:109 offset1:110
	;; [unrolled: 1-line block ×4, first 2 shown]
	v_add_f32_e32 v9, v9, v11
	v_mul_f32_e32 v11, v133, v137
	s_delay_alu instid0(VALU_DEP_1) | instskip(NEXT) | instid1(VALU_DEP_1)
	v_fma_f32 v11, v132, v136, -v11
	v_add_f32_e32 v9, v9, v11
	v_mul_f32_e32 v11, v135, v139
	s_delay_alu instid0(VALU_DEP_1) | instskip(SKIP_2) | instid1(VALU_DEP_2)
	v_fma_f32 v11, v134, v138, -v11
	s_wait_loadcnt_dscnt 0x303
	v_pk_mul_f32 v[134:135], v[116:117], v[252:253] op_sel:[1,1] op_sel_hi:[0,1]
	v_add_f32_e32 v9, v9, v11
	v_mul_f32_e32 v11, v141, v145
	s_delay_alu instid0(VALU_DEP_3) | instskip(SKIP_1) | instid1(VALU_DEP_3)
	v_pk_fma_f32 v[136:137], v[116:117], v[252:253], v[134:135] neg_lo:[0,0,1] neg_hi:[0,0,1]
	v_pk_fma_f32 v[116:117], v[116:117], v[252:253], v[134:135] op_sel_hi:[1,0,1]
	v_dual_mov_b32 v134, v255 :: v_dual_fma_f32 v11, v140, v144, -v11
	s_delay_alu instid0(VALU_DEP_2) | instskip(NEXT) | instid1(VALU_DEP_2)
	v_mov_b32_e32 v137, v117
	v_add_f32_e32 v9, v9, v11
	v_mul_f32_e32 v11, v143, v147
	s_delay_alu instid0(VALU_DEP_1) | instskip(NEXT) | instid1(VALU_DEP_1)
	v_fma_f32 v11, v142, v146, -v11
	v_add_f32_e32 v9, v9, v11
	v_mul_f32_e32 v11, v149, v153
	s_delay_alu instid0(VALU_DEP_1) | instskip(NEXT) | instid1(VALU_DEP_1)
	v_fma_f32 v11, v148, v152, -v11
	;; [unrolled: 4-line block ×24, first 2 shown]
	v_add_f32_e32 v9, v9, v11
	v_mul_f32_e32 v11, v239, v243
	s_delay_alu instid0(VALU_DEP_1) | instskip(SKIP_1) | instid1(VALU_DEP_1)
	v_fma_f32 v11, v238, v242, -v11
	s_set_vgpr_msb 64                       ;  msbs: dst=1 src0=0 src1=0 src2=0
	v_dual_fmac_f32 v17 /*v273*/, v247, v250 :: v_dual_add_f32 v12 /*v268*/, v9, v11
	s_set_vgpr_msb 0                        ;  msbs: dst=0 src0=0 src1=0 src2=0
	v_mul_f32_e32 v9, v245, v249
	s_set_vgpr_msb 64                       ;  msbs: dst=1 src0=0 src1=0 src2=0
	s_delay_alu instid0(VALU_DEP_1) | instskip(SKIP_3) | instid1(VALU_DEP_1)
	v_fma_f32 v14 /*v270*/, v244, v248, -v9
	s_set_vgpr_msb 0                        ;  msbs: dst=0 src0=0 src1=0 src2=0
	v_mul_f32_e32 v9, v247, v251
	s_set_vgpr_msb 64                       ;  msbs: dst=1 src0=0 src1=0 src2=0
	v_fma_f32 v16 /*v272*/, v246, v250, -v9
	s_set_vgpr_msb 5                        ;  msbs: dst=0 src0=1 src1=1 src2=0
	v_pk_add_f32 v[132:133], v[12:13] /*v[268:269]*/, v[14:15] /*v[270:271]*/
	s_set_vgpr_msb 4                        ;  msbs: dst=0 src0=0 src1=1 src2=0
	s_delay_alu instid0(VALU_DEP_1) | instskip(SKIP_1) | instid1(VALU_DEP_1)
	v_pk_add_f32 v[132:133], v[132:133], v[16:17] /*v[272:273]*/
	s_set_vgpr_msb 0                        ;  msbs: dst=0 src0=0 src1=0 src2=0
	v_pk_add_f32 v[116:117], v[132:133], v[136:137]
	v_dual_mov_b32 v132, v119 :: v_dual_mov_b32 v133, v118
	s_delay_alu instid0(VALU_DEP_1) | instskip(NEXT) | instid1(VALU_DEP_1)
	v_pk_mul_f32 v[132:133], v[132:133], v[134:135] op_sel_hi:[1,0]
	v_pk_fma_f32 v[134:135], v[118:119], v[254:255], v[132:133] neg_lo:[0,0,1] neg_hi:[0,0,1]
	v_pk_fma_f32 v[118:119], v[118:119], v[254:255], v[132:133] op_sel_hi:[1,0,1]
	s_delay_alu instid0(VALU_DEP_1)
	v_mov_b32_e32 v135, v119
	s_wait_loadcnt_dscnt 0x202
	s_set_vgpr_msb 4                        ;  msbs: dst=0 src0=0 src1=1 src2=0
	v_pk_mul_f32 v[118:119], v[120:121], v[0:1] /*v[256:257]*/ op_sel:[1,1] op_sel_hi:[0,1]
	s_set_vgpr_msb 0                        ;  msbs: dst=0 src0=0 src1=0 src2=0
	v_pk_add_f32 v[116:117], v[116:117], v[134:135]
	s_set_vgpr_msb 4                        ;  msbs: dst=0 src0=0 src1=1 src2=0
	s_delay_alu instid0(VALU_DEP_2)
	v_pk_fma_f32 v[132:133], v[120:121], v[0:1] /*v[256:257]*/, v[118:119] neg_lo:[0,0,1] neg_hi:[0,0,1]
	v_pk_fma_f32 v[118:119], v[120:121], v[0:1] /*v[256:257]*/, v[118:119] op_sel_hi:[1,0,1]
	v_mov_b32_e32 v118, v123
	s_set_vgpr_msb 1                        ;  msbs: dst=0 src0=1 src1=0 src2=0
	v_mov_b32_e32 v120, v3 /*v259*/
	s_set_vgpr_msb 0                        ;  msbs: dst=0 src0=0 src1=0 src2=0
	v_dual_mov_b32 v133, v119 :: v_dual_mov_b32 v119, v122
	s_delay_alu instid0(VALU_DEP_1) | instskip(NEXT) | instid1(VALU_DEP_2)
	v_pk_add_f32 v[116:117], v[116:117], v[132:133]
	v_pk_mul_f32 v[118:119], v[118:119], v[120:121] op_sel_hi:[1,0]
	s_set_vgpr_msb 4                        ;  msbs: dst=0 src0=0 src1=1 src2=0
	s_delay_alu instid0(VALU_DEP_1) | instskip(SKIP_1) | instid1(VALU_DEP_1)
	v_pk_fma_f32 v[120:121], v[122:123], v[2:3] /*v[258:259]*/, v[118:119] neg_lo:[0,0,1] neg_hi:[0,0,1]
	v_pk_fma_f32 v[118:119], v[122:123], v[2:3] /*v[258:259]*/, v[118:119] op_sel_hi:[1,0,1]
	v_mov_b32_e32 v121, v119
	s_wait_loadcnt_dscnt 0x101
	v_pk_mul_f32 v[118:119], v[124:125], v[4:5] /*v[260:261]*/ op_sel:[1,1] op_sel_hi:[0,1]
	s_set_vgpr_msb 0                        ;  msbs: dst=0 src0=0 src1=0 src2=0
	s_delay_alu instid0(VALU_DEP_2) | instskip(SKIP_1) | instid1(VALU_DEP_2)
	v_pk_add_f32 v[116:117], v[116:117], v[120:121]
	s_set_vgpr_msb 4                        ;  msbs: dst=0 src0=0 src1=1 src2=0
	v_pk_fma_f32 v[120:121], v[124:125], v[4:5] /*v[260:261]*/, v[118:119] neg_lo:[0,0,1] neg_hi:[0,0,1]
	v_pk_fma_f32 v[118:119], v[124:125], v[4:5] /*v[260:261]*/, v[118:119] op_sel_hi:[1,0,1]
	s_delay_alu instid0(VALU_DEP_1) | instskip(SKIP_2) | instid1(VALU_DEP_2)
	v_dual_mov_b32 v118, v127 :: v_dual_mov_b32 v121, v119
	v_mov_b32_e32 v119, v126
	s_set_vgpr_msb 0                        ;  msbs: dst=0 src0=0 src1=0 src2=0
	v_pk_add_f32 v[116:117], v[116:117], v[120:121]
	s_set_vgpr_msb 1                        ;  msbs: dst=0 src0=1 src1=0 src2=0
	v_mov_b32_e32 v120, v7 /*v263*/
	s_set_vgpr_msb 0                        ;  msbs: dst=0 src0=0 src1=0 src2=0
	s_delay_alu instid0(VALU_DEP_1) | instskip(SKIP_1) | instid1(VALU_DEP_1)
	v_pk_mul_f32 v[118:119], v[118:119], v[120:121] op_sel_hi:[1,0]
	s_set_vgpr_msb 4                        ;  msbs: dst=0 src0=0 src1=1 src2=0
	v_pk_fma_f32 v[120:121], v[126:127], v[6:7] /*v[262:263]*/, v[118:119] neg_lo:[0,0,1] neg_hi:[0,0,1]
	v_pk_fma_f32 v[118:119], v[126:127], v[6:7] /*v[262:263]*/, v[118:119] op_sel_hi:[1,0,1]
	s_delay_alu instid0(VALU_DEP_1) | instskip(SKIP_3) | instid1(VALU_DEP_2)
	v_mov_b32_e32 v121, v119
	s_wait_loadcnt_dscnt 0x0
	v_pk_mul_f32 v[118:119], v[128:129], v[8:9] /*v[264:265]*/ op_sel:[1,1] op_sel_hi:[0,1]
	s_set_vgpr_msb 0                        ;  msbs: dst=0 src0=0 src1=0 src2=0
	v_pk_add_f32 v[116:117], v[116:117], v[120:121]
	s_set_vgpr_msb 4                        ;  msbs: dst=0 src0=0 src1=1 src2=0
	s_delay_alu instid0(VALU_DEP_2) | instskip(SKIP_1) | instid1(VALU_DEP_1)
	v_pk_fma_f32 v[120:121], v[128:129], v[8:9] /*v[264:265]*/, v[118:119] neg_lo:[0,0,1] neg_hi:[0,0,1]
	v_pk_fma_f32 v[118:119], v[128:129], v[8:9] /*v[264:265]*/, v[118:119] op_sel_hi:[1,0,1]
	v_dual_mov_b32 v118, v131 :: v_dual_mov_b32 v121, v119
	v_mov_b32_e32 v119, v130
	s_set_vgpr_msb 0                        ;  msbs: dst=0 src0=0 src1=0 src2=0
	s_delay_alu instid0(VALU_DEP_2) | instskip(SKIP_3) | instid1(VALU_DEP_1)
	v_pk_add_f32 v[116:117], v[116:117], v[120:121]
	s_set_vgpr_msb 1                        ;  msbs: dst=0 src0=1 src1=0 src2=0
	v_mov_b32_e32 v120, v11 /*v267*/
	s_set_vgpr_msb 0                        ;  msbs: dst=0 src0=0 src1=0 src2=0
	v_pk_mul_f32 v[118:119], v[118:119], v[120:121] op_sel_hi:[1,0]
	s_set_vgpr_msb 4                        ;  msbs: dst=0 src0=0 src1=1 src2=0
	s_delay_alu instid0(VALU_DEP_1) | instskip(SKIP_1) | instid1(VALU_DEP_1)
	v_pk_fma_f32 v[120:121], v[130:131], v[10:11] /*v[266:267]*/, v[118:119] neg_lo:[0,0,1] neg_hi:[0,0,1]
	v_pk_fma_f32 v[118:119], v[130:131], v[10:11] /*v[266:267]*/, v[118:119] op_sel_hi:[1,0,1]
	v_mov_b32_e32 v121, v119
	scratch_load_b64 v[118:119], off, off offset:112
	s_set_vgpr_msb 0                        ;  msbs: dst=0 src0=0 src1=0 src2=0
	v_pk_add_f32 v[116:117], v[116:117], v[120:121]
	s_wait_loadcnt 0x0
	s_delay_alu instid0(VALU_DEP_1)
	v_pk_add_f32 v[116:117], v[118:119], v[116:117] neg_lo:[0,1] neg_hi:[0,1]
	scratch_store_b64 off, v[116:117], off offset:112
	s_wait_xcnt 0x0
	v_cmpx_lt_u32_e32 13, v0
	s_cbranch_execz .LBB56_329
; %bb.328:
	scratch_load_b64 v[116:117], off, off offset:104
	v_mov_b64_e32 v[118:119], 0
	scratch_store_b64 off, v[118:119], off offset:104
	s_wait_loadcnt 0x0
	ds_store_b64 v1, v[116:117]
.LBB56_329:
	s_wait_xcnt 0x0
	s_or_b32 exec_lo, exec_lo, s0
	v_mov_b32_e32 v7, 0
	s_wait_storecnt_dscnt 0x0
	s_barrier_signal -1
	s_barrier_wait -1
	ds_load_b128 v[116:119], v7 offset:576
	ds_load_b128 v[120:123], v7 offset:592
	;; [unrolled: 1-line block ×4, first 2 shown]
	s_clause 0x12
	scratch_load_b128 v[132:135], off, off offset:112
	scratch_load_b128 v[136:139], off, off offset:128
	;; [unrolled: 1-line block ×17, first 2 shown]
	s_set_vgpr_msb 64                       ;  msbs: dst=1 src0=0 src1=0 src2=0
	scratch_load_b128 v[0:3] /*v[256:259]*/, off, off offset:384
	s_mov_b32 s0, exec_lo
	s_wait_loadcnt_dscnt 0x1103
	s_set_vgpr_msb 0                        ;  msbs: dst=0 src0=0 src1=0 src2=0
	v_mul_f32_e32 v9, v116, v133
	ds_load_b128 v[244:247], v7 offset:832
	ds_load_b128 v[252:255], v7 offset:848
	;; [unrolled: 1-line block ×4, first 2 shown]
	v_dual_fmac_f32 v9, v117, v132 :: v_dual_mul_f32 v11, v118, v135
	ds_load_b128 v[164:167], v7 offset:672
	ds_load_b128 v[172:175], v7 offset:688
	;; [unrolled: 1-line block ×4, first 2 shown]
	v_dual_add_f32 v9, 0, v9 :: v_dual_fmac_f32 v11, v119, v134
	ds_load_b128 v[196:199], v7 offset:736
	ds_load_b128 v[204:207], v7 offset:752
	;; [unrolled: 1-line block ×4, first 2 shown]
	s_wait_loadcnt_dscnt 0x100e
	v_dual_add_f32 v9, v9, v11 :: v_dual_mul_f32 v11, v120, v137
	ds_load_b128 v[228:231], v7 offset:800
	ds_load_b128 v[236:239], v7 offset:816
	s_wait_loadcnt_dscnt 0x10d
	s_set_vgpr_msb 64                       ;  msbs: dst=1 src0=0 src1=0 src2=0
	v_mul_f32_e32 v19 /*v275*/, v246, v251
	s_clause 0x3
	scratch_load_b128 v[4:7] /*v[260:263]*/, off, off offset:400
	scratch_load_b128 v[8:11] /*v[264:267]*/, off, off offset:416
	;; [unrolled: 1-line block ×3, first 2 shown]
	scratch_load_b64 v[22:23] /*v[278:279]*/, off, off offset:448
	s_set_vgpr_msb 0                        ;  msbs: dst=0 src0=0 src1=0 src2=0
	v_fmac_f32_e32 v11, v121, v136
	s_delay_alu instid0(VALU_DEP_1) | instskip(SKIP_1) | instid1(VALU_DEP_1)
	v_add_f32_e32 v9, v9, v11
	v_mul_f32_e32 v11, v122, v139
	v_fmac_f32_e32 v11, v123, v138
	s_delay_alu instid0(VALU_DEP_1) | instskip(NEXT) | instid1(VALU_DEP_1)
	v_dual_add_f32 v9, v9, v11 :: v_dual_mul_f32 v11, v124, v141
	v_fmac_f32_e32 v11, v125, v140
	s_delay_alu instid0(VALU_DEP_1) | instskip(SKIP_1) | instid1(VALU_DEP_1)
	v_add_f32_e32 v9, v9, v11
	v_mul_f32_e32 v11, v126, v143
	v_fmac_f32_e32 v11, v127, v142
	s_delay_alu instid0(VALU_DEP_1) | instskip(NEXT) | instid1(VALU_DEP_1)
	v_dual_add_f32 v9, v9, v11 :: v_dual_mul_f32 v11, v128, v145
	v_fmac_f32_e32 v11, v129, v144
	s_delay_alu instid0(VALU_DEP_1) | instskip(SKIP_1) | instid1(VALU_DEP_1)
	v_add_f32_e32 v9, v9, v11
	v_mul_f32_e32 v11, v130, v147
	v_fmac_f32_e32 v11, v131, v146
	s_wait_dscnt 0xb
	s_delay_alu instid0(VALU_DEP_1) | instskip(NEXT) | instid1(VALU_DEP_1)
	v_dual_add_f32 v9, v9, v11 :: v_dual_mul_f32 v11, v148, v153
	v_fmac_f32_e32 v11, v149, v152
	s_delay_alu instid0(VALU_DEP_1) | instskip(SKIP_1) | instid1(VALU_DEP_1)
	v_add_f32_e32 v9, v9, v11
	v_mul_f32_e32 v11, v150, v155
	v_fmac_f32_e32 v11, v151, v154
	s_wait_dscnt 0xa
	;; [unrolled: 8-line block ×12, first 2 shown]
	s_delay_alu instid0(VALU_DEP_1) | instskip(NEXT) | instid1(VALU_DEP_1)
	v_dual_add_f32 v9, v9, v11 :: v_dual_mul_f32 v11, v236, v241
	v_fmac_f32_e32 v11, v237, v240
	s_delay_alu instid0(VALU_DEP_1) | instskip(SKIP_1) | instid1(VALU_DEP_1)
	v_add_f32_e32 v9, v9, v11
	v_mul_f32_e32 v11, v238, v243
	v_fmac_f32_e32 v11, v239, v242
	s_delay_alu instid0(VALU_DEP_1) | instskip(NEXT) | instid1(VALU_DEP_1)
	v_dual_add_f32 v9, v9, v11 :: v_dual_mul_f32 v11, v244, v249
	v_fmac_f32_e32 v11, v245, v248
	s_set_vgpr_msb 64                       ;  msbs: dst=1 src0=0 src1=0 src2=0
	s_delay_alu instid0(VALU_DEP_1) | instskip(SKIP_2) | instid1(VALU_DEP_1)
	v_add_f32_e32 v17 /*v273*/, v9, v11
	s_set_vgpr_msb 0                        ;  msbs: dst=0 src0=0 src1=0 src2=0
	v_dual_mul_f32 v9, v117, v133 :: v_dual_mul_f32 v11, v119, v135
	v_dual_mov_b32 v133, v254 :: v_dual_fma_f32 v9, v116, v132, -v9
	s_delay_alu instid0(VALU_DEP_2) | instskip(SKIP_2) | instid1(VALU_DEP_2)
	v_dual_fma_f32 v11, v118, v134, -v11 :: v_dual_mov_b32 v132, v255
	s_wait_loadcnt 0x4
	s_set_vgpr_msb 1                        ;  msbs: dst=0 src0=1 src1=0 src2=0
	v_dual_mov_b32 v134, v3 /*v259*/ :: v_dual_add_f32 v9, 0, v9
	s_set_vgpr_msb 0                        ;  msbs: dst=0 src0=0 src1=0 src2=0
	s_delay_alu instid0(VALU_DEP_1) | instskip(NEXT) | instid1(VALU_DEP_2)
	v_pk_mul_f32 v[132:133], v[132:133], v[134:135] op_sel_hi:[1,0]
	v_add_f32_e32 v9, v9, v11
	v_mul_f32_e32 v11, v121, v137
	s_set_vgpr_msb 4                        ;  msbs: dst=0 src0=0 src1=1 src2=0
	s_delay_alu instid0(VALU_DEP_3) | instskip(SKIP_2) | instid1(VALU_DEP_1)
	v_pk_fma_f32 v[134:135], v[254:255], v[2:3] /*v[258:259]*/, v[132:133] neg_lo:[0,0,1] neg_hi:[0,0,1]
	v_pk_fma_f32 v[132:133], v[254:255], v[2:3] /*v[258:259]*/, v[132:133] op_sel_hi:[1,0,1]
	s_set_vgpr_msb 0                        ;  msbs: dst=0 src0=0 src1=0 src2=0
	v_dual_fma_f32 v11, v120, v136, -v11 :: v_dual_mov_b32 v135, v133
	s_delay_alu instid0(VALU_DEP_1) | instskip(SKIP_1) | instid1(VALU_DEP_1)
	v_add_f32_e32 v9, v9, v11
	v_mul_f32_e32 v11, v123, v139
	v_fma_f32 v11, v122, v138, -v11
	s_delay_alu instid0(VALU_DEP_1) | instskip(SKIP_1) | instid1(VALU_DEP_1)
	v_add_f32_e32 v9, v9, v11
	v_mul_f32_e32 v11, v125, v141
	v_fma_f32 v11, v124, v140, -v11
	s_delay_alu instid0(VALU_DEP_1) | instskip(SKIP_1) | instid1(VALU_DEP_1)
	v_add_f32_e32 v9, v9, v11
	v_mul_f32_e32 v11, v127, v143
	v_fma_f32 v11, v126, v142, -v11
	s_delay_alu instid0(VALU_DEP_1) | instskip(SKIP_1) | instid1(VALU_DEP_1)
	v_add_f32_e32 v9, v9, v11
	v_mul_f32_e32 v11, v129, v145
	v_fma_f32 v11, v128, v144, -v11
	ds_load_b128 v[116:119], v7 offset:864
	ds_load_b128 v[120:123], v7 offset:880
	;; [unrolled: 1-line block ×3, first 2 shown]
	ds_load_b64 v[128:129], v7 offset:912
	v_add_f32_e32 v9, v9, v11
	v_mul_f32_e32 v11, v131, v147
	s_delay_alu instid0(VALU_DEP_1) | instskip(NEXT) | instid1(VALU_DEP_1)
	v_fma_f32 v11, v130, v146, -v11
	v_add_f32_e32 v9, v9, v11
	v_mul_f32_e32 v11, v149, v153
	s_wait_loadcnt_dscnt 0x303
	s_set_vgpr_msb 4                        ;  msbs: dst=0 src0=0 src1=1 src2=0
	v_pk_mul_f32 v[132:133], v[116:117], v[4:5] /*v[260:261]*/ op_sel:[1,1] op_sel_hi:[0,1]
	s_set_vgpr_msb 0                        ;  msbs: dst=0 src0=0 src1=0 src2=0
	v_fma_f32 v11, v148, v152, -v11
	s_delay_alu instid0(VALU_DEP_1) | instskip(SKIP_1) | instid1(VALU_DEP_1)
	v_add_f32_e32 v9, v9, v11
	v_mul_f32_e32 v11, v151, v155
	v_fma_f32 v11, v150, v154, -v11
	s_delay_alu instid0(VALU_DEP_1) | instskip(SKIP_1) | instid1(VALU_DEP_1)
	v_add_f32_e32 v9, v9, v11
	v_mul_f32_e32 v11, v157, v161
	;; [unrolled: 4-line block ×24, first 2 shown]
	v_fma_f32 v11, v244, v248, -v11
	s_set_vgpr_msb 64                       ;  msbs: dst=1 src0=0 src1=0 src2=0
	s_delay_alu instid0(VALU_DEP_1) | instskip(SKIP_3) | instid1(VALU_DEP_1)
	v_add_f32_e32 v16 /*v272*/, v9, v11
	s_set_vgpr_msb 0                        ;  msbs: dst=0 src0=0 src1=0 src2=0
	v_mul_f32_e32 v9, v247, v251
	s_set_vgpr_msb 64                       ;  msbs: dst=1 src0=0 src1=0 src2=0
	v_fma_f32 v18 /*v274*/, v246, v250, -v9
	v_fmac_f32_e32 v19 /*v275*/, v247, v250
	s_set_vgpr_msb 4                        ;  msbs: dst=0 src0=0 src1=1 src2=0
	v_mul_f32_e32 v9, v253, v1 /*v257*/
	s_set_vgpr_msb 0x44                     ;  msbs: dst=1 src0=0 src1=1 src2=0
	v_mul_f32_e32 v21 /*v277*/, v252, v1 /*v257*/
	s_set_vgpr_msb 5                        ;  msbs: dst=0 src0=1 src1=1 src2=0
	v_pk_add_f32 v[130:131], v[16:17] /*v[272:273]*/, v[18:19] /*v[274:275]*/
	s_set_vgpr_msb 0x44                     ;  msbs: dst=1 src0=0 src1=1 src2=0
	v_fma_f32 v20 /*v276*/, v252, v0 /*v256*/, -v9
	v_fmac_f32_e32 v21 /*v277*/, v253, v0 /*v256*/
	s_set_vgpr_msb 4                        ;  msbs: dst=0 src0=0 src1=1 src2=0
	s_delay_alu instid0(VALU_DEP_1) | instskip(SKIP_1) | instid1(VALU_DEP_1)
	v_pk_add_f32 v[130:131], v[130:131], v[20:21] /*v[276:277]*/
	s_set_vgpr_msb 0                        ;  msbs: dst=0 src0=0 src1=0 src2=0
	v_pk_add_f32 v[130:131], v[130:131], v[134:135]
	s_set_vgpr_msb 4                        ;  msbs: dst=0 src0=0 src1=1 src2=0
	v_pk_fma_f32 v[134:135], v[116:117], v[4:5] /*v[260:261]*/, v[132:133] neg_lo:[0,0,1] neg_hi:[0,0,1]
	v_pk_fma_f32 v[116:117], v[116:117], v[4:5] /*v[260:261]*/, v[132:133] op_sel_hi:[1,0,1]
	s_set_vgpr_msb 1                        ;  msbs: dst=0 src0=1 src1=0 src2=0
	v_mov_b32_e32 v132, v7 /*v263*/
	s_set_vgpr_msb 0                        ;  msbs: dst=0 src0=0 src1=0 src2=0
	s_delay_alu instid0(VALU_DEP_2) | instskip(NEXT) | instid1(VALU_DEP_1)
	v_mov_b32_e32 v135, v117
	v_pk_add_f32 v[116:117], v[130:131], v[134:135]
	v_dual_mov_b32 v130, v119 :: v_dual_mov_b32 v131, v118
	s_delay_alu instid0(VALU_DEP_1) | instskip(SKIP_1) | instid1(VALU_DEP_1)
	v_pk_mul_f32 v[130:131], v[130:131], v[132:133] op_sel_hi:[1,0]
	s_set_vgpr_msb 4                        ;  msbs: dst=0 src0=0 src1=1 src2=0
	v_pk_fma_f32 v[132:133], v[118:119], v[6:7] /*v[262:263]*/, v[130:131] neg_lo:[0,0,1] neg_hi:[0,0,1]
	v_pk_fma_f32 v[118:119], v[118:119], v[6:7] /*v[262:263]*/, v[130:131] op_sel_hi:[1,0,1]
	s_delay_alu instid0(VALU_DEP_1) | instskip(SKIP_3) | instid1(VALU_DEP_2)
	v_mov_b32_e32 v133, v119
	s_wait_loadcnt_dscnt 0x202
	v_pk_mul_f32 v[118:119], v[120:121], v[8:9] /*v[264:265]*/ op_sel:[1,1] op_sel_hi:[0,1]
	s_set_vgpr_msb 0                        ;  msbs: dst=0 src0=0 src1=0 src2=0
	v_pk_add_f32 v[116:117], v[116:117], v[132:133]
	s_set_vgpr_msb 4                        ;  msbs: dst=0 src0=0 src1=1 src2=0
	s_delay_alu instid0(VALU_DEP_2)
	v_pk_fma_f32 v[130:131], v[120:121], v[8:9] /*v[264:265]*/, v[118:119] neg_lo:[0,0,1] neg_hi:[0,0,1]
	v_pk_fma_f32 v[118:119], v[120:121], v[8:9] /*v[264:265]*/, v[118:119] op_sel_hi:[1,0,1]
	v_mov_b32_e32 v118, v123
	s_set_vgpr_msb 1                        ;  msbs: dst=0 src0=1 src1=0 src2=0
	v_mov_b32_e32 v120, v11 /*v267*/
	s_set_vgpr_msb 0                        ;  msbs: dst=0 src0=0 src1=0 src2=0
	v_dual_mov_b32 v131, v119 :: v_dual_mov_b32 v119, v122
	s_delay_alu instid0(VALU_DEP_1) | instskip(NEXT) | instid1(VALU_DEP_2)
	v_pk_add_f32 v[116:117], v[116:117], v[130:131]
	v_pk_mul_f32 v[118:119], v[118:119], v[120:121] op_sel_hi:[1,0]
	s_set_vgpr_msb 4                        ;  msbs: dst=0 src0=0 src1=1 src2=0
	s_delay_alu instid0(VALU_DEP_1) | instskip(SKIP_1) | instid1(VALU_DEP_1)
	v_pk_fma_f32 v[120:121], v[122:123], v[10:11] /*v[266:267]*/, v[118:119] neg_lo:[0,0,1] neg_hi:[0,0,1]
	v_pk_fma_f32 v[118:119], v[122:123], v[10:11] /*v[266:267]*/, v[118:119] op_sel_hi:[1,0,1]
	v_mov_b32_e32 v121, v119
	s_wait_loadcnt_dscnt 0x101
	v_pk_mul_f32 v[118:119], v[124:125], v[12:13] /*v[268:269]*/ op_sel:[1,1] op_sel_hi:[0,1]
	s_set_vgpr_msb 0                        ;  msbs: dst=0 src0=0 src1=0 src2=0
	s_delay_alu instid0(VALU_DEP_2) | instskip(SKIP_1) | instid1(VALU_DEP_2)
	v_pk_add_f32 v[116:117], v[116:117], v[120:121]
	s_set_vgpr_msb 4                        ;  msbs: dst=0 src0=0 src1=1 src2=0
	v_pk_fma_f32 v[120:121], v[124:125], v[12:13] /*v[268:269]*/, v[118:119] neg_lo:[0,0,1] neg_hi:[0,0,1]
	v_pk_fma_f32 v[118:119], v[124:125], v[12:13] /*v[268:269]*/, v[118:119] op_sel_hi:[1,0,1]
	s_delay_alu instid0(VALU_DEP_1) | instskip(SKIP_2) | instid1(VALU_DEP_2)
	v_dual_mov_b32 v118, v127 :: v_dual_mov_b32 v121, v119
	v_mov_b32_e32 v119, v126
	s_set_vgpr_msb 0                        ;  msbs: dst=0 src0=0 src1=0 src2=0
	v_pk_add_f32 v[116:117], v[116:117], v[120:121]
	s_set_vgpr_msb 1                        ;  msbs: dst=0 src0=1 src1=0 src2=0
	v_mov_b32_e32 v120, v15 /*v271*/
	s_set_vgpr_msb 0                        ;  msbs: dst=0 src0=0 src1=0 src2=0
	s_delay_alu instid0(VALU_DEP_1) | instskip(SKIP_1) | instid1(VALU_DEP_1)
	v_pk_mul_f32 v[118:119], v[118:119], v[120:121] op_sel_hi:[1,0]
	s_set_vgpr_msb 4                        ;  msbs: dst=0 src0=0 src1=1 src2=0
	v_pk_fma_f32 v[120:121], v[126:127], v[14:15] /*v[270:271]*/, v[118:119] neg_lo:[0,0,1] neg_hi:[0,0,1]
	v_pk_fma_f32 v[118:119], v[126:127], v[14:15] /*v[270:271]*/, v[118:119] op_sel_hi:[1,0,1]
	s_delay_alu instid0(VALU_DEP_1) | instskip(SKIP_3) | instid1(VALU_DEP_2)
	v_mov_b32_e32 v121, v119
	s_wait_loadcnt_dscnt 0x0
	v_pk_mul_f32 v[118:119], v[128:129], v[22:23] /*v[278:279]*/ op_sel:[1,1] op_sel_hi:[0,1]
	s_set_vgpr_msb 0                        ;  msbs: dst=0 src0=0 src1=0 src2=0
	v_pk_add_f32 v[116:117], v[116:117], v[120:121]
	s_set_vgpr_msb 4                        ;  msbs: dst=0 src0=0 src1=1 src2=0
	s_delay_alu instid0(VALU_DEP_2) | instskip(SKIP_1) | instid1(VALU_DEP_1)
	v_pk_fma_f32 v[120:121], v[128:129], v[22:23] /*v[278:279]*/, v[118:119] neg_lo:[0,0,1] neg_hi:[0,0,1]
	v_pk_fma_f32 v[118:119], v[128:129], v[22:23] /*v[278:279]*/, v[118:119] op_sel_hi:[1,0,1]
	v_mov_b32_e32 v121, v119
	scratch_load_b64 v[118:119], off, off offset:104
	s_set_vgpr_msb 0                        ;  msbs: dst=0 src0=0 src1=0 src2=0
	v_pk_add_f32 v[116:117], v[116:117], v[120:121]
	s_wait_loadcnt 0x0
	s_delay_alu instid0(VALU_DEP_1)
	v_pk_add_f32 v[116:117], v[118:119], v[116:117] neg_lo:[0,1] neg_hi:[0,1]
	scratch_store_b64 off, v[116:117], off offset:104
	s_wait_xcnt 0x0
	v_cmpx_lt_u32_e32 12, v0
	s_cbranch_execz .LBB56_331
; %bb.330:
	scratch_load_b64 v[116:117], off, off offset:96
	v_mov_b64_e32 v[118:119], 0
	scratch_store_b64 off, v[118:119], off offset:96
	s_wait_loadcnt 0x0
	ds_store_b64 v1, v[116:117]
.LBB56_331:
	s_wait_xcnt 0x0
	s_or_b32 exec_lo, exec_lo, s0
	s_wait_storecnt_dscnt 0x0
	s_barrier_signal -1
	s_barrier_wait -1
	s_clause 0xf
	scratch_load_b128 v[120:123], off, off offset:104
	scratch_load_b128 v[128:131], off, off offset:120
	;; [unrolled: 1-line block ×16, first 2 shown]
	ds_load_2addr_b64 v[116:119], v7 offset0:71 offset1:72
	ds_load_2addr_b64 v[124:127], v7 offset0:73 offset1:74
	s_clause 0x2
	scratch_load_b128 v[248:251], off, off offset:360
	s_set_vgpr_msb 64                       ;  msbs: dst=1 src0=0 src1=0 src2=0
	scratch_load_b128 v[0:3] /*v[256:259]*/, off, off offset:376
	s_set_vgpr_msb 0                        ;  msbs: dst=0 src0=0 src1=0 src2=0
	ds_load_2addr_b64 v[132:135], v7 offset0:75 offset1:76
	ds_load_2addr_b64 v[140:143], v7 offset0:77 offset1:78
	;; [unrolled: 1-line block ×16, first 2 shown]
	s_set_vgpr_msb 64                       ;  msbs: dst=1 src0=0 src1=0 src2=0
	s_clause 0x3
	scratch_load_b128 v[4:7] /*v[260:263]*/, off, off offset:392
	scratch_load_b128 v[8:11] /*v[264:267]*/, off, off offset:408
	;; [unrolled: 1-line block ×4, first 2 shown]
	s_mov_b32 s0, exec_lo
	s_wait_loadcnt_dscnt 0x1511
	s_set_vgpr_msb 0                        ;  msbs: dst=0 src0=0 src1=0 src2=0
	v_dual_mul_f32 v9, v116, v121 :: v_dual_mul_f32 v11, v118, v123
	s_delay_alu instid0(VALU_DEP_1) | instskip(NEXT) | instid1(VALU_DEP_1)
	v_dual_fmac_f32 v9, v117, v120 :: v_dual_fmac_f32 v11, v119, v122
	v_add_f32_e32 v9, 0, v9
	s_wait_loadcnt_dscnt 0x1410
	s_delay_alu instid0(VALU_DEP_1)
	v_dual_add_f32 v9, v9, v11 :: v_dual_mul_f32 v11, v124, v129
	s_wait_loadcnt_dscnt 0x400
	s_set_vgpr_msb 0x44                     ;  msbs: dst=1 src0=0 src1=1 src2=0
	v_dual_mul_f32 v23 /*v279*/, v252, v1 /*v257*/ :: v_dual_mul_f32 v25 /*v281*/, v254, v3 /*v259*/
	s_set_vgpr_msb 0                        ;  msbs: dst=0 src0=0 src1=0 src2=0
	v_fmac_f32_e32 v11, v125, v128
	s_set_vgpr_msb 0x44                     ;  msbs: dst=1 src0=0 src1=1 src2=0
	s_delay_alu instid0(VALU_DEP_2) | instskip(SKIP_1) | instid1(VALU_DEP_2)
	v_dual_fmac_f32 v23 /*v279*/, v253, v0 /*v256*/ :: v_dual_fmac_f32 v25 /*v281*/, v255, v2 /*v258*/
	s_set_vgpr_msb 0                        ;  msbs: dst=0 src0=0 src1=0 src2=0
	v_add_f32_e32 v9, v9, v11
	v_mul_f32_e32 v11, v126, v131
	s_delay_alu instid0(VALU_DEP_1) | instskip(NEXT) | instid1(VALU_DEP_1)
	v_fmac_f32_e32 v11, v127, v130
	v_dual_add_f32 v9, v9, v11 :: v_dual_mul_f32 v11, v132, v137
	s_delay_alu instid0(VALU_DEP_1) | instskip(NEXT) | instid1(VALU_DEP_1)
	v_fmac_f32_e32 v11, v133, v136
	v_add_f32_e32 v9, v9, v11
	v_mul_f32_e32 v11, v134, v139
	s_delay_alu instid0(VALU_DEP_1) | instskip(NEXT) | instid1(VALU_DEP_1)
	v_fmac_f32_e32 v11, v135, v138
	v_dual_add_f32 v9, v9, v11 :: v_dual_mul_f32 v11, v140, v145
	s_delay_alu instid0(VALU_DEP_1) | instskip(NEXT) | instid1(VALU_DEP_1)
	v_fmac_f32_e32 v11, v141, v144
	;; [unrolled: 7-line block ×15, first 2 shown]
	v_add_f32_e32 v9, v9, v11
	v_mul_f32_e32 v11, v246, v251
	s_delay_alu instid0(VALU_DEP_1) | instskip(SKIP_1) | instid1(VALU_DEP_1)
	v_fmac_f32_e32 v11, v247, v250
	s_set_vgpr_msb 64                       ;  msbs: dst=1 src0=0 src1=0 src2=0
	v_add_f32_e32 v21 /*v277*/, v9, v11
	s_set_vgpr_msb 0                        ;  msbs: dst=0 src0=0 src1=0 src2=0
	v_dual_mul_f32 v9, v117, v121 :: v_dual_mul_f32 v11, v119, v123
	s_delay_alu instid0(VALU_DEP_1) | instskip(NEXT) | instid1(VALU_DEP_1)
	v_dual_fma_f32 v9, v116, v120, -v9 :: v_dual_fma_f32 v11, v118, v122, -v11
	v_add_f32_e32 v9, 0, v9
	s_delay_alu instid0(VALU_DEP_1) | instskip(SKIP_1) | instid1(VALU_DEP_1)
	v_add_f32_e32 v9, v9, v11
	v_mul_f32_e32 v11, v125, v129
	v_fma_f32 v11, v124, v128, -v11
	s_delay_alu instid0(VALU_DEP_1) | instskip(SKIP_1) | instid1(VALU_DEP_1)
	v_add_f32_e32 v9, v9, v11
	v_mul_f32_e32 v11, v127, v131
	v_fma_f32 v11, v126, v130, -v11
	ds_load_2addr_b64 v[116:119], v7 offset0:107 offset1:108
	ds_load_2addr_b64 v[120:123], v7 offset0:109 offset1:110
	;; [unrolled: 1-line block ×4, first 2 shown]
	v_add_f32_e32 v9, v9, v11
	v_mul_f32_e32 v11, v133, v137
	s_delay_alu instid0(VALU_DEP_1) | instskip(NEXT) | instid1(VALU_DEP_1)
	v_fma_f32 v11, v132, v136, -v11
	v_add_f32_e32 v9, v9, v11
	v_mul_f32_e32 v11, v135, v139
	s_delay_alu instid0(VALU_DEP_1)
	v_fma_f32 v11, v134, v138, -v11
	s_wait_loadcnt_dscnt 0x303
	s_set_vgpr_msb 4                        ;  msbs: dst=0 src0=0 src1=1 src2=0
	v_pk_mul_f32 v[134:135], v[116:117], v[4:5] /*v[260:261]*/ op_sel:[1,1] op_sel_hi:[0,1]
	s_set_vgpr_msb 0                        ;  msbs: dst=0 src0=0 src1=0 src2=0
	v_add_f32_e32 v9, v9, v11
	v_mul_f32_e32 v11, v141, v145
	s_set_vgpr_msb 4                        ;  msbs: dst=0 src0=0 src1=1 src2=0
	v_pk_fma_f32 v[136:137], v[116:117], v[4:5] /*v[260:261]*/, v[134:135] neg_lo:[0,0,1] neg_hi:[0,0,1]
	v_pk_fma_f32 v[116:117], v[116:117], v[4:5] /*v[260:261]*/, v[134:135] op_sel_hi:[1,0,1]
	s_set_vgpr_msb 1                        ;  msbs: dst=0 src0=1 src1=0 src2=0
	v_mov_b32_e32 v134, v7 /*v263*/
	s_set_vgpr_msb 0                        ;  msbs: dst=0 src0=0 src1=0 src2=0
	s_delay_alu instid0(VALU_DEP_2) | instskip(NEXT) | instid1(VALU_DEP_1)
	v_dual_fma_f32 v11, v140, v144, -v11 :: v_dual_mov_b32 v137, v117
	v_add_f32_e32 v9, v9, v11
	v_mul_f32_e32 v11, v143, v147
	s_delay_alu instid0(VALU_DEP_1) | instskip(NEXT) | instid1(VALU_DEP_1)
	v_fma_f32 v11, v142, v146, -v11
	v_add_f32_e32 v9, v9, v11
	v_mul_f32_e32 v11, v149, v153
	s_delay_alu instid0(VALU_DEP_1) | instskip(NEXT) | instid1(VALU_DEP_1)
	v_fma_f32 v11, v148, v152, -v11
	;; [unrolled: 4-line block ×26, first 2 shown]
	v_add_f32_e32 v9, v9, v11
	v_mul_f32_e32 v11, v247, v251
	s_delay_alu instid0(VALU_DEP_1) | instskip(SKIP_1) | instid1(VALU_DEP_1)
	v_fma_f32 v11, v246, v250, -v11
	s_set_vgpr_msb 64                       ;  msbs: dst=1 src0=0 src1=0 src2=0
	v_add_f32_e32 v20 /*v276*/, v9, v11
	s_set_vgpr_msb 4                        ;  msbs: dst=0 src0=0 src1=1 src2=0
	v_mul_f32_e32 v9, v253, v1 /*v257*/
	s_set_vgpr_msb 0x44                     ;  msbs: dst=1 src0=0 src1=1 src2=0
	s_delay_alu instid0(VALU_DEP_1) | instskip(SKIP_3) | instid1(VALU_DEP_1)
	v_fma_f32 v22 /*v278*/, v252, v0 /*v256*/, -v9
	s_set_vgpr_msb 4                        ;  msbs: dst=0 src0=0 src1=1 src2=0
	v_mul_f32_e32 v9, v255, v3 /*v259*/
	s_set_vgpr_msb 0x44                     ;  msbs: dst=1 src0=0 src1=1 src2=0
	v_fma_f32 v24 /*v280*/, v254, v2 /*v258*/, -v9
	s_set_vgpr_msb 5                        ;  msbs: dst=0 src0=1 src1=1 src2=0
	v_pk_add_f32 v[132:133], v[20:21] /*v[276:277]*/, v[22:23] /*v[278:279]*/
	s_set_vgpr_msb 4                        ;  msbs: dst=0 src0=0 src1=1 src2=0
	s_delay_alu instid0(VALU_DEP_1) | instskip(SKIP_1) | instid1(VALU_DEP_1)
	v_pk_add_f32 v[132:133], v[132:133], v[24:25] /*v[280:281]*/
	s_set_vgpr_msb 0                        ;  msbs: dst=0 src0=0 src1=0 src2=0
	v_pk_add_f32 v[116:117], v[132:133], v[136:137]
	v_dual_mov_b32 v132, v119 :: v_dual_mov_b32 v133, v118
	s_delay_alu instid0(VALU_DEP_1) | instskip(SKIP_1) | instid1(VALU_DEP_1)
	v_pk_mul_f32 v[132:133], v[132:133], v[134:135] op_sel_hi:[1,0]
	s_set_vgpr_msb 4                        ;  msbs: dst=0 src0=0 src1=1 src2=0
	v_pk_fma_f32 v[134:135], v[118:119], v[6:7] /*v[262:263]*/, v[132:133] neg_lo:[0,0,1] neg_hi:[0,0,1]
	v_pk_fma_f32 v[118:119], v[118:119], v[6:7] /*v[262:263]*/, v[132:133] op_sel_hi:[1,0,1]
	s_delay_alu instid0(VALU_DEP_1) | instskip(SKIP_3) | instid1(VALU_DEP_2)
	v_mov_b32_e32 v135, v119
	s_wait_loadcnt_dscnt 0x202
	v_pk_mul_f32 v[118:119], v[120:121], v[8:9] /*v[264:265]*/ op_sel:[1,1] op_sel_hi:[0,1]
	s_set_vgpr_msb 0                        ;  msbs: dst=0 src0=0 src1=0 src2=0
	v_pk_add_f32 v[116:117], v[116:117], v[134:135]
	s_set_vgpr_msb 4                        ;  msbs: dst=0 src0=0 src1=1 src2=0
	s_delay_alu instid0(VALU_DEP_2)
	v_pk_fma_f32 v[132:133], v[120:121], v[8:9] /*v[264:265]*/, v[118:119] neg_lo:[0,0,1] neg_hi:[0,0,1]
	v_pk_fma_f32 v[118:119], v[120:121], v[8:9] /*v[264:265]*/, v[118:119] op_sel_hi:[1,0,1]
	v_mov_b32_e32 v118, v123
	s_set_vgpr_msb 1                        ;  msbs: dst=0 src0=1 src1=0 src2=0
	v_mov_b32_e32 v120, v11 /*v267*/
	s_set_vgpr_msb 0                        ;  msbs: dst=0 src0=0 src1=0 src2=0
	v_dual_mov_b32 v133, v119 :: v_dual_mov_b32 v119, v122
	s_delay_alu instid0(VALU_DEP_1) | instskip(NEXT) | instid1(VALU_DEP_2)
	v_pk_add_f32 v[116:117], v[116:117], v[132:133]
	v_pk_mul_f32 v[118:119], v[118:119], v[120:121] op_sel_hi:[1,0]
	s_set_vgpr_msb 4                        ;  msbs: dst=0 src0=0 src1=1 src2=0
	s_delay_alu instid0(VALU_DEP_1) | instskip(SKIP_1) | instid1(VALU_DEP_1)
	v_pk_fma_f32 v[120:121], v[122:123], v[10:11] /*v[266:267]*/, v[118:119] neg_lo:[0,0,1] neg_hi:[0,0,1]
	v_pk_fma_f32 v[118:119], v[122:123], v[10:11] /*v[266:267]*/, v[118:119] op_sel_hi:[1,0,1]
	v_mov_b32_e32 v121, v119
	s_wait_loadcnt_dscnt 0x101
	v_pk_mul_f32 v[118:119], v[124:125], v[12:13] /*v[268:269]*/ op_sel:[1,1] op_sel_hi:[0,1]
	s_set_vgpr_msb 0                        ;  msbs: dst=0 src0=0 src1=0 src2=0
	s_delay_alu instid0(VALU_DEP_2) | instskip(SKIP_1) | instid1(VALU_DEP_2)
	v_pk_add_f32 v[116:117], v[116:117], v[120:121]
	s_set_vgpr_msb 4                        ;  msbs: dst=0 src0=0 src1=1 src2=0
	v_pk_fma_f32 v[120:121], v[124:125], v[12:13] /*v[268:269]*/, v[118:119] neg_lo:[0,0,1] neg_hi:[0,0,1]
	v_pk_fma_f32 v[118:119], v[124:125], v[12:13] /*v[268:269]*/, v[118:119] op_sel_hi:[1,0,1]
	s_delay_alu instid0(VALU_DEP_1) | instskip(SKIP_2) | instid1(VALU_DEP_2)
	v_dual_mov_b32 v118, v127 :: v_dual_mov_b32 v121, v119
	v_mov_b32_e32 v119, v126
	s_set_vgpr_msb 0                        ;  msbs: dst=0 src0=0 src1=0 src2=0
	v_pk_add_f32 v[116:117], v[116:117], v[120:121]
	s_set_vgpr_msb 1                        ;  msbs: dst=0 src0=1 src1=0 src2=0
	v_mov_b32_e32 v120, v15 /*v271*/
	s_set_vgpr_msb 0                        ;  msbs: dst=0 src0=0 src1=0 src2=0
	s_delay_alu instid0(VALU_DEP_1) | instskip(SKIP_1) | instid1(VALU_DEP_1)
	v_pk_mul_f32 v[118:119], v[118:119], v[120:121] op_sel_hi:[1,0]
	s_set_vgpr_msb 4                        ;  msbs: dst=0 src0=0 src1=1 src2=0
	v_pk_fma_f32 v[120:121], v[126:127], v[14:15] /*v[270:271]*/, v[118:119] neg_lo:[0,0,1] neg_hi:[0,0,1]
	v_pk_fma_f32 v[118:119], v[126:127], v[14:15] /*v[270:271]*/, v[118:119] op_sel_hi:[1,0,1]
	s_delay_alu instid0(VALU_DEP_1) | instskip(SKIP_3) | instid1(VALU_DEP_2)
	v_mov_b32_e32 v121, v119
	s_wait_loadcnt_dscnt 0x0
	v_pk_mul_f32 v[118:119], v[128:129], v[16:17] /*v[272:273]*/ op_sel:[1,1] op_sel_hi:[0,1]
	s_set_vgpr_msb 0                        ;  msbs: dst=0 src0=0 src1=0 src2=0
	v_pk_add_f32 v[116:117], v[116:117], v[120:121]
	s_set_vgpr_msb 4                        ;  msbs: dst=0 src0=0 src1=1 src2=0
	s_delay_alu instid0(VALU_DEP_2) | instskip(SKIP_1) | instid1(VALU_DEP_1)
	v_pk_fma_f32 v[120:121], v[128:129], v[16:17] /*v[272:273]*/, v[118:119] neg_lo:[0,0,1] neg_hi:[0,0,1]
	v_pk_fma_f32 v[118:119], v[128:129], v[16:17] /*v[272:273]*/, v[118:119] op_sel_hi:[1,0,1]
	v_dual_mov_b32 v118, v131 :: v_dual_mov_b32 v121, v119
	v_mov_b32_e32 v119, v130
	s_set_vgpr_msb 0                        ;  msbs: dst=0 src0=0 src1=0 src2=0
	s_delay_alu instid0(VALU_DEP_2) | instskip(SKIP_3) | instid1(VALU_DEP_1)
	v_pk_add_f32 v[116:117], v[116:117], v[120:121]
	s_set_vgpr_msb 1                        ;  msbs: dst=0 src0=1 src1=0 src2=0
	v_mov_b32_e32 v120, v19 /*v275*/
	s_set_vgpr_msb 0                        ;  msbs: dst=0 src0=0 src1=0 src2=0
	v_pk_mul_f32 v[118:119], v[118:119], v[120:121] op_sel_hi:[1,0]
	s_set_vgpr_msb 4                        ;  msbs: dst=0 src0=0 src1=1 src2=0
	s_delay_alu instid0(VALU_DEP_1) | instskip(SKIP_1) | instid1(VALU_DEP_1)
	v_pk_fma_f32 v[120:121], v[130:131], v[18:19] /*v[274:275]*/, v[118:119] neg_lo:[0,0,1] neg_hi:[0,0,1]
	v_pk_fma_f32 v[118:119], v[130:131], v[18:19] /*v[274:275]*/, v[118:119] op_sel_hi:[1,0,1]
	v_mov_b32_e32 v121, v119
	scratch_load_b64 v[118:119], off, off offset:96
	s_set_vgpr_msb 0                        ;  msbs: dst=0 src0=0 src1=0 src2=0
	v_pk_add_f32 v[116:117], v[116:117], v[120:121]
	s_wait_loadcnt 0x0
	s_delay_alu instid0(VALU_DEP_1)
	v_pk_add_f32 v[116:117], v[118:119], v[116:117] neg_lo:[0,1] neg_hi:[0,1]
	scratch_store_b64 off, v[116:117], off offset:96
	s_wait_xcnt 0x0
	v_cmpx_lt_u32_e32 11, v0
	s_cbranch_execz .LBB56_333
; %bb.332:
	scratch_load_b64 v[116:117], off, off offset:88
	v_mov_b64_e32 v[118:119], 0
	scratch_store_b64 off, v[118:119], off offset:88
	s_wait_loadcnt 0x0
	ds_store_b64 v1, v[116:117]
.LBB56_333:
	s_wait_xcnt 0x0
	s_or_b32 exec_lo, exec_lo, s0
	v_mov_b32_e32 v7, 0
	s_wait_storecnt_dscnt 0x0
	s_barrier_signal -1
	s_barrier_wait -1
	ds_load_b128 v[116:119], v7 offset:560
	ds_load_b128 v[120:123], v7 offset:576
	;; [unrolled: 1-line block ×4, first 2 shown]
	s_clause 0x13
	scratch_load_b128 v[132:135], off, off offset:96
	scratch_load_b128 v[136:139], off, off offset:112
	;; [unrolled: 1-line block ×17, first 2 shown]
	s_set_vgpr_msb 64                       ;  msbs: dst=1 src0=0 src1=0 src2=0
	scratch_load_b128 v[0:3] /*v[256:259]*/, off, off offset:368
	scratch_load_b128 v[8:11] /*v[264:267]*/, off, off offset:384
	s_mov_b32 s0, exec_lo
	s_wait_loadcnt_dscnt 0x1203
	s_set_vgpr_msb 0                        ;  msbs: dst=0 src0=0 src1=0 src2=0
	v_mul_f32_e32 v9, v116, v133
	ds_load_b128 v[148:151], v7 offset:624
	ds_load_b128 v[156:159], v7 offset:640
	;; [unrolled: 1-line block ×4, first 2 shown]
	v_dual_fmac_f32 v9, v117, v132 :: v_dual_mul_f32 v11, v118, v135
	ds_load_b128 v[180:183], v7 offset:688
	ds_load_b128 v[188:191], v7 offset:704
	;; [unrolled: 1-line block ×4, first 2 shown]
	v_dual_add_f32 v9, 0, v9 :: v_dual_fmac_f32 v11, v119, v134
	ds_load_b128 v[212:215], v7 offset:752
	ds_load_b128 v[220:223], v7 offset:768
	;; [unrolled: 1-line block ×4, first 2 shown]
	s_wait_loadcnt_dscnt 0x110e
	v_dual_add_f32 v9, v9, v11 :: v_dual_mul_f32 v11, v120, v137
	ds_load_b128 v[244:247], v7 offset:816
	ds_load_b128 v[252:255], v7 offset:832
	s_set_vgpr_msb 64                       ;  msbs: dst=1 src0=0 src1=0 src2=0
	ds_load_b128 v[4:7] /*v[260:263]*/, v7 offset:848
	s_clause 0x3
	scratch_load_b128 v[12:15] /*v[268:271]*/, off, off offset:400
	scratch_load_b128 v[16:19] /*v[272:275]*/, off, off offset:416
	;; [unrolled: 1-line block ×3, first 2 shown]
	scratch_load_b64 v[30:31] /*v[286:287]*/, off, off offset:448
	s_set_vgpr_msb 0                        ;  msbs: dst=0 src0=0 src1=0 src2=0
	v_fmac_f32_e32 v11, v121, v136
	s_delay_alu instid0(VALU_DEP_1) | instskip(SKIP_1) | instid1(VALU_DEP_1)
	v_add_f32_e32 v9, v9, v11
	v_mul_f32_e32 v11, v122, v139
	v_fmac_f32_e32 v11, v123, v138
	s_wait_loadcnt_dscnt 0x1410
	s_delay_alu instid0(VALU_DEP_1) | instskip(NEXT) | instid1(VALU_DEP_1)
	v_dual_add_f32 v9, v9, v11 :: v_dual_mul_f32 v11, v124, v141
	v_fmac_f32_e32 v11, v125, v140
	s_delay_alu instid0(VALU_DEP_1) | instskip(SKIP_1) | instid1(VALU_DEP_1)
	v_add_f32_e32 v9, v9, v11
	v_mul_f32_e32 v11, v126, v143
	v_fmac_f32_e32 v11, v127, v142
	s_wait_loadcnt_dscnt 0x130f
	s_delay_alu instid0(VALU_DEP_1) | instskip(NEXT) | instid1(VALU_DEP_1)
	v_dual_add_f32 v9, v9, v11 :: v_dual_mul_f32 v11, v128, v145
	;; [unrolled: 8-line block ×15, first 2 shown]
	v_fmac_f32_e32 v11, v245, v248
	s_delay_alu instid0(VALU_DEP_1) | instskip(SKIP_1) | instid1(VALU_DEP_1)
	v_add_f32_e32 v9, v9, v11
	v_mul_f32_e32 v11, v246, v251
	v_fmac_f32_e32 v11, v247, v250
	s_delay_alu instid0(VALU_DEP_1) | instskip(SKIP_3) | instid1(VALU_DEP_1)
	v_add_f32_e32 v9, v9, v11
	s_wait_loadcnt_dscnt 0x501
	s_set_vgpr_msb 4                        ;  msbs: dst=0 src0=0 src1=1 src2=0
	v_mul_f32_e32 v11, v252, v1 /*v257*/
	v_fmac_f32_e32 v11, v253, v0 /*v256*/
	s_set_vgpr_msb 64                       ;  msbs: dst=1 src0=0 src1=0 src2=0
	s_delay_alu instid0(VALU_DEP_1)
	v_add_f32_e32 v25 /*v281*/, v9, v11
	s_set_vgpr_msb 0                        ;  msbs: dst=0 src0=0 src1=0 src2=0
	v_dual_mul_f32 v9, v117, v133 :: v_dual_mul_f32 v11, v119, v135
	s_wait_dscnt 0x0
	s_set_vgpr_msb 1                        ;  msbs: dst=0 src0=1 src1=0 src2=0
	v_mov_b32_e32 v133, v6 /*v262*/
	s_set_vgpr_msb 0                        ;  msbs: dst=0 src0=0 src1=0 src2=0
	v_dual_fma_f32 v9, v116, v132, -v9 :: v_dual_fma_f32 v11, v118, v134, -v11
	s_wait_loadcnt 0x4
	s_set_vgpr_msb 1                        ;  msbs: dst=0 src0=1 src1=0 src2=0
	v_dual_mov_b32 v134, v11 /*v267*/ :: v_dual_mov_b32 v132, v7 /*v263*/
	s_delay_alu instid0(VALU_DEP_2) | instskip(SKIP_1) | instid1(VALU_DEP_2)
	v_add_f32_e32 v9, 0, v9
	s_set_vgpr_msb 0                        ;  msbs: dst=0 src0=0 src1=0 src2=0
	v_pk_mul_f32 v[132:133], v[132:133], v[134:135] op_sel_hi:[1,0]
	s_delay_alu instid0(VALU_DEP_2) | instskip(SKIP_2) | instid1(VALU_DEP_3)
	v_add_f32_e32 v9, v9, v11
	v_mul_f32_e32 v11, v121, v137
	s_set_vgpr_msb 5                        ;  msbs: dst=0 src0=1 src1=1 src2=0
	v_pk_fma_f32 v[134:135], v[6:7] /*v[262:263]*/, v[10:11] /*v[266:267]*/, v[132:133] neg_lo:[0,0,1] neg_hi:[0,0,1]
	v_pk_fma_f32 v[132:133], v[6:7] /*v[262:263]*/, v[10:11] /*v[266:267]*/, v[132:133] op_sel_hi:[1,0,1]
	s_set_vgpr_msb 0                        ;  msbs: dst=0 src0=0 src1=0 src2=0
	s_delay_alu instid0(VALU_DEP_1) | instskip(NEXT) | instid1(VALU_DEP_1)
	v_dual_fma_f32 v11, v120, v136, -v11 :: v_dual_mov_b32 v135, v133
	v_add_f32_e32 v9, v9, v11
	v_mul_f32_e32 v11, v123, v139
	s_delay_alu instid0(VALU_DEP_1) | instskip(NEXT) | instid1(VALU_DEP_1)
	v_fma_f32 v11, v122, v138, -v11
	v_add_f32_e32 v9, v9, v11
	v_mul_f32_e32 v11, v125, v141
	s_delay_alu instid0(VALU_DEP_1) | instskip(NEXT) | instid1(VALU_DEP_1)
	v_fma_f32 v11, v124, v140, -v11
	;; [unrolled: 4-line block ×3, first 2 shown]
	v_add_f32_e32 v9, v9, v11
	v_mul_f32_e32 v11, v129, v145
	s_delay_alu instid0(VALU_DEP_1)
	v_fma_f32 v11, v128, v144, -v11
	ds_load_b128 v[116:119], v7 offset:864
	ds_load_b128 v[120:123], v7 offset:880
	;; [unrolled: 1-line block ×3, first 2 shown]
	ds_load_b64 v[128:129], v7 offset:912
	v_add_f32_e32 v9, v9, v11
	v_mul_f32_e32 v11, v131, v147
	s_delay_alu instid0(VALU_DEP_1) | instskip(NEXT) | instid1(VALU_DEP_1)
	v_fma_f32 v11, v130, v146, -v11
	v_add_f32_e32 v9, v9, v11
	v_mul_f32_e32 v11, v149, v153
	s_wait_loadcnt_dscnt 0x303
	s_set_vgpr_msb 4                        ;  msbs: dst=0 src0=0 src1=1 src2=0
	v_pk_mul_f32 v[132:133], v[116:117], v[12:13] /*v[268:269]*/ op_sel:[1,1] op_sel_hi:[0,1]
	s_set_vgpr_msb 0                        ;  msbs: dst=0 src0=0 src1=0 src2=0
	v_fma_f32 v11, v148, v152, -v11
	s_delay_alu instid0(VALU_DEP_1) | instskip(SKIP_1) | instid1(VALU_DEP_1)
	v_add_f32_e32 v9, v9, v11
	v_mul_f32_e32 v11, v151, v155
	v_fma_f32 v11, v150, v154, -v11
	s_delay_alu instid0(VALU_DEP_1) | instskip(SKIP_1) | instid1(VALU_DEP_1)
	v_add_f32_e32 v9, v9, v11
	v_mul_f32_e32 v11, v157, v161
	v_fma_f32 v11, v156, v160, -v11
	s_delay_alu instid0(VALU_DEP_1) | instskip(SKIP_1) | instid1(VALU_DEP_1)
	v_add_f32_e32 v9, v9, v11
	v_mul_f32_e32 v11, v159, v163
	v_fma_f32 v11, v158, v162, -v11
	s_delay_alu instid0(VALU_DEP_1) | instskip(SKIP_1) | instid1(VALU_DEP_1)
	v_add_f32_e32 v9, v9, v11
	v_mul_f32_e32 v11, v165, v169
	v_fma_f32 v11, v164, v168, -v11
	s_delay_alu instid0(VALU_DEP_1) | instskip(SKIP_1) | instid1(VALU_DEP_1)
	v_add_f32_e32 v9, v9, v11
	v_mul_f32_e32 v11, v167, v171
	v_fma_f32 v11, v166, v170, -v11
	s_delay_alu instid0(VALU_DEP_1) | instskip(SKIP_1) | instid1(VALU_DEP_1)
	v_add_f32_e32 v9, v9, v11
	v_mul_f32_e32 v11, v173, v177
	v_fma_f32 v11, v172, v176, -v11
	s_delay_alu instid0(VALU_DEP_1) | instskip(SKIP_1) | instid1(VALU_DEP_1)
	v_add_f32_e32 v9, v9, v11
	v_mul_f32_e32 v11, v175, v179
	v_fma_f32 v11, v174, v178, -v11
	s_delay_alu instid0(VALU_DEP_1) | instskip(SKIP_1) | instid1(VALU_DEP_1)
	v_add_f32_e32 v9, v9, v11
	v_mul_f32_e32 v11, v181, v185
	v_fma_f32 v11, v180, v184, -v11
	s_delay_alu instid0(VALU_DEP_1) | instskip(SKIP_1) | instid1(VALU_DEP_1)
	v_add_f32_e32 v9, v9, v11
	v_mul_f32_e32 v11, v183, v187
	v_fma_f32 v11, v182, v186, -v11
	s_delay_alu instid0(VALU_DEP_1) | instskip(SKIP_1) | instid1(VALU_DEP_1)
	v_add_f32_e32 v9, v9, v11
	v_mul_f32_e32 v11, v189, v193
	v_fma_f32 v11, v188, v192, -v11
	s_delay_alu instid0(VALU_DEP_1) | instskip(SKIP_1) | instid1(VALU_DEP_1)
	v_add_f32_e32 v9, v9, v11
	v_mul_f32_e32 v11, v191, v195
	v_fma_f32 v11, v190, v194, -v11
	s_delay_alu instid0(VALU_DEP_1) | instskip(SKIP_1) | instid1(VALU_DEP_1)
	v_add_f32_e32 v9, v9, v11
	v_mul_f32_e32 v11, v197, v201
	v_fma_f32 v11, v196, v200, -v11
	s_delay_alu instid0(VALU_DEP_1) | instskip(SKIP_1) | instid1(VALU_DEP_1)
	v_add_f32_e32 v9, v9, v11
	v_mul_f32_e32 v11, v199, v203
	v_fma_f32 v11, v198, v202, -v11
	s_delay_alu instid0(VALU_DEP_1) | instskip(SKIP_1) | instid1(VALU_DEP_1)
	v_add_f32_e32 v9, v9, v11
	v_mul_f32_e32 v11, v205, v209
	v_fma_f32 v11, v204, v208, -v11
	s_delay_alu instid0(VALU_DEP_1) | instskip(SKIP_1) | instid1(VALU_DEP_1)
	v_add_f32_e32 v9, v9, v11
	v_mul_f32_e32 v11, v207, v211
	v_fma_f32 v11, v206, v210, -v11
	s_delay_alu instid0(VALU_DEP_1) | instskip(SKIP_1) | instid1(VALU_DEP_1)
	v_add_f32_e32 v9, v9, v11
	v_mul_f32_e32 v11, v213, v217
	v_fma_f32 v11, v212, v216, -v11
	s_delay_alu instid0(VALU_DEP_1) | instskip(SKIP_1) | instid1(VALU_DEP_1)
	v_add_f32_e32 v9, v9, v11
	v_mul_f32_e32 v11, v215, v219
	v_fma_f32 v11, v214, v218, -v11
	s_delay_alu instid0(VALU_DEP_1) | instskip(SKIP_1) | instid1(VALU_DEP_1)
	v_add_f32_e32 v9, v9, v11
	v_mul_f32_e32 v11, v221, v225
	v_fma_f32 v11, v220, v224, -v11
	s_delay_alu instid0(VALU_DEP_1) | instskip(SKIP_1) | instid1(VALU_DEP_1)
	v_add_f32_e32 v9, v9, v11
	v_mul_f32_e32 v11, v223, v227
	v_fma_f32 v11, v222, v226, -v11
	s_delay_alu instid0(VALU_DEP_1) | instskip(SKIP_1) | instid1(VALU_DEP_1)
	v_add_f32_e32 v9, v9, v11
	v_mul_f32_e32 v11, v229, v233
	v_fma_f32 v11, v228, v232, -v11
	s_delay_alu instid0(VALU_DEP_1) | instskip(SKIP_1) | instid1(VALU_DEP_1)
	v_add_f32_e32 v9, v9, v11
	v_mul_f32_e32 v11, v231, v235
	v_fma_f32 v11, v230, v234, -v11
	s_delay_alu instid0(VALU_DEP_1) | instskip(SKIP_1) | instid1(VALU_DEP_1)
	v_add_f32_e32 v9, v9, v11
	v_mul_f32_e32 v11, v237, v241
	v_fma_f32 v11, v236, v240, -v11
	s_delay_alu instid0(VALU_DEP_1) | instskip(SKIP_1) | instid1(VALU_DEP_1)
	v_add_f32_e32 v9, v9, v11
	v_mul_f32_e32 v11, v239, v243
	v_fma_f32 v11, v238, v242, -v11
	s_delay_alu instid0(VALU_DEP_1) | instskip(SKIP_1) | instid1(VALU_DEP_1)
	v_add_f32_e32 v9, v9, v11
	v_mul_f32_e32 v11, v245, v249
	v_fma_f32 v11, v244, v248, -v11
	s_delay_alu instid0(VALU_DEP_1) | instskip(SKIP_1) | instid1(VALU_DEP_1)
	v_add_f32_e32 v9, v9, v11
	v_mul_f32_e32 v11, v247, v251
	v_fma_f32 v11, v246, v250, -v11
	s_delay_alu instid0(VALU_DEP_1) | instskip(SKIP_2) | instid1(VALU_DEP_1)
	v_add_f32_e32 v9, v9, v11
	s_set_vgpr_msb 4                        ;  msbs: dst=0 src0=0 src1=1 src2=0
	v_mul_f32_e32 v11, v253, v1 /*v257*/
	v_fma_f32 v11, v252, v0 /*v256*/, -v11
	s_set_vgpr_msb 64                       ;  msbs: dst=1 src0=0 src1=0 src2=0
	s_delay_alu instid0(VALU_DEP_1) | instskip(SKIP_3) | instid1(VALU_DEP_1)
	v_add_f32_e32 v24 /*v280*/, v9, v11
	s_set_vgpr_msb 4                        ;  msbs: dst=0 src0=0 src1=1 src2=0
	v_mul_f32_e32 v9, v255, v3 /*v259*/
	s_set_vgpr_msb 0x44                     ;  msbs: dst=1 src0=0 src1=1 src2=0
	v_dual_mul_f32 v27 /*v283*/, v254, v3 /*v259*/ :: v_dual_fma_f32 v26 /*v282*/, v254, v2 /*v258*/, -v9
	s_set_vgpr_msb 5                        ;  msbs: dst=0 src0=1 src1=1 src2=0
	v_mul_f32_e32 v9, v5 /*v261*/, v9 /*v265*/
	s_set_vgpr_msb 0x44                     ;  msbs: dst=1 src0=0 src1=1 src2=0
	s_delay_alu instid0(VALU_DEP_2) | instskip(SKIP_1) | instid1(VALU_DEP_2)
	v_fmac_f32_e32 v27 /*v283*/, v255, v2 /*v258*/
	s_set_vgpr_msb 0x45                     ;  msbs: dst=1 src0=1 src1=1 src2=0
	v_dual_mul_f32 v29 /*v285*/, v4 /*v260*/, v9 /*v265*/ :: v_dual_fma_f32 v28 /*v284*/, v4 /*v260*/, v8 /*v264*/, -v9
	s_set_vgpr_msb 5                        ;  msbs: dst=0 src0=1 src1=1 src2=0
	s_delay_alu instid0(VALU_DEP_2) | instskip(SKIP_1) | instid1(VALU_DEP_2)
	v_pk_add_f32 v[130:131], v[24:25] /*v[280:281]*/, v[26:27] /*v[282:283]*/
	s_set_vgpr_msb 0x45                     ;  msbs: dst=1 src0=1 src1=1 src2=0
	v_fmac_f32_e32 v29 /*v285*/, v5 /*v261*/, v8 /*v264*/
	s_set_vgpr_msb 4                        ;  msbs: dst=0 src0=0 src1=1 src2=0
	s_delay_alu instid0(VALU_DEP_1) | instskip(SKIP_1) | instid1(VALU_DEP_1)
	v_pk_add_f32 v[130:131], v[130:131], v[28:29] /*v[284:285]*/
	s_set_vgpr_msb 0                        ;  msbs: dst=0 src0=0 src1=0 src2=0
	v_pk_add_f32 v[130:131], v[130:131], v[134:135]
	s_set_vgpr_msb 4                        ;  msbs: dst=0 src0=0 src1=1 src2=0
	v_pk_fma_f32 v[134:135], v[116:117], v[12:13] /*v[268:269]*/, v[132:133] neg_lo:[0,0,1] neg_hi:[0,0,1]
	v_pk_fma_f32 v[116:117], v[116:117], v[12:13] /*v[268:269]*/, v[132:133] op_sel_hi:[1,0,1]
	s_set_vgpr_msb 1                        ;  msbs: dst=0 src0=1 src1=0 src2=0
	v_mov_b32_e32 v132, v15 /*v271*/
	s_set_vgpr_msb 0                        ;  msbs: dst=0 src0=0 src1=0 src2=0
	s_delay_alu instid0(VALU_DEP_2) | instskip(NEXT) | instid1(VALU_DEP_1)
	v_mov_b32_e32 v135, v117
	v_pk_add_f32 v[116:117], v[130:131], v[134:135]
	v_dual_mov_b32 v130, v119 :: v_dual_mov_b32 v131, v118
	s_delay_alu instid0(VALU_DEP_1) | instskip(SKIP_1) | instid1(VALU_DEP_1)
	v_pk_mul_f32 v[130:131], v[130:131], v[132:133] op_sel_hi:[1,0]
	s_set_vgpr_msb 4                        ;  msbs: dst=0 src0=0 src1=1 src2=0
	v_pk_fma_f32 v[132:133], v[118:119], v[14:15] /*v[270:271]*/, v[130:131] neg_lo:[0,0,1] neg_hi:[0,0,1]
	v_pk_fma_f32 v[118:119], v[118:119], v[14:15] /*v[270:271]*/, v[130:131] op_sel_hi:[1,0,1]
	s_delay_alu instid0(VALU_DEP_1) | instskip(SKIP_3) | instid1(VALU_DEP_2)
	v_mov_b32_e32 v133, v119
	s_wait_loadcnt_dscnt 0x202
	v_pk_mul_f32 v[118:119], v[120:121], v[16:17] /*v[272:273]*/ op_sel:[1,1] op_sel_hi:[0,1]
	s_set_vgpr_msb 0                        ;  msbs: dst=0 src0=0 src1=0 src2=0
	v_pk_add_f32 v[116:117], v[116:117], v[132:133]
	s_set_vgpr_msb 4                        ;  msbs: dst=0 src0=0 src1=1 src2=0
	s_delay_alu instid0(VALU_DEP_2)
	v_pk_fma_f32 v[130:131], v[120:121], v[16:17] /*v[272:273]*/, v[118:119] neg_lo:[0,0,1] neg_hi:[0,0,1]
	v_pk_fma_f32 v[118:119], v[120:121], v[16:17] /*v[272:273]*/, v[118:119] op_sel_hi:[1,0,1]
	v_mov_b32_e32 v118, v123
	s_set_vgpr_msb 1                        ;  msbs: dst=0 src0=1 src1=0 src2=0
	v_mov_b32_e32 v120, v19 /*v275*/
	s_set_vgpr_msb 0                        ;  msbs: dst=0 src0=0 src1=0 src2=0
	v_dual_mov_b32 v131, v119 :: v_dual_mov_b32 v119, v122
	s_delay_alu instid0(VALU_DEP_1) | instskip(NEXT) | instid1(VALU_DEP_2)
	v_pk_add_f32 v[116:117], v[116:117], v[130:131]
	v_pk_mul_f32 v[118:119], v[118:119], v[120:121] op_sel_hi:[1,0]
	s_set_vgpr_msb 4                        ;  msbs: dst=0 src0=0 src1=1 src2=0
	s_delay_alu instid0(VALU_DEP_1) | instskip(SKIP_1) | instid1(VALU_DEP_1)
	v_pk_fma_f32 v[120:121], v[122:123], v[18:19] /*v[274:275]*/, v[118:119] neg_lo:[0,0,1] neg_hi:[0,0,1]
	v_pk_fma_f32 v[118:119], v[122:123], v[18:19] /*v[274:275]*/, v[118:119] op_sel_hi:[1,0,1]
	v_mov_b32_e32 v121, v119
	s_wait_loadcnt_dscnt 0x101
	v_pk_mul_f32 v[118:119], v[124:125], v[20:21] /*v[276:277]*/ op_sel:[1,1] op_sel_hi:[0,1]
	s_set_vgpr_msb 0                        ;  msbs: dst=0 src0=0 src1=0 src2=0
	s_delay_alu instid0(VALU_DEP_2) | instskip(SKIP_1) | instid1(VALU_DEP_2)
	v_pk_add_f32 v[116:117], v[116:117], v[120:121]
	s_set_vgpr_msb 4                        ;  msbs: dst=0 src0=0 src1=1 src2=0
	v_pk_fma_f32 v[120:121], v[124:125], v[20:21] /*v[276:277]*/, v[118:119] neg_lo:[0,0,1] neg_hi:[0,0,1]
	v_pk_fma_f32 v[118:119], v[124:125], v[20:21] /*v[276:277]*/, v[118:119] op_sel_hi:[1,0,1]
	s_delay_alu instid0(VALU_DEP_1) | instskip(SKIP_2) | instid1(VALU_DEP_2)
	v_dual_mov_b32 v118, v127 :: v_dual_mov_b32 v121, v119
	v_mov_b32_e32 v119, v126
	s_set_vgpr_msb 0                        ;  msbs: dst=0 src0=0 src1=0 src2=0
	v_pk_add_f32 v[116:117], v[116:117], v[120:121]
	s_set_vgpr_msb 1                        ;  msbs: dst=0 src0=1 src1=0 src2=0
	v_mov_b32_e32 v120, v23 /*v279*/
	s_set_vgpr_msb 0                        ;  msbs: dst=0 src0=0 src1=0 src2=0
	s_delay_alu instid0(VALU_DEP_1) | instskip(SKIP_1) | instid1(VALU_DEP_1)
	v_pk_mul_f32 v[118:119], v[118:119], v[120:121] op_sel_hi:[1,0]
	s_set_vgpr_msb 4                        ;  msbs: dst=0 src0=0 src1=1 src2=0
	v_pk_fma_f32 v[120:121], v[126:127], v[22:23] /*v[278:279]*/, v[118:119] neg_lo:[0,0,1] neg_hi:[0,0,1]
	v_pk_fma_f32 v[118:119], v[126:127], v[22:23] /*v[278:279]*/, v[118:119] op_sel_hi:[1,0,1]
	s_delay_alu instid0(VALU_DEP_1) | instskip(SKIP_3) | instid1(VALU_DEP_2)
	v_mov_b32_e32 v121, v119
	s_wait_loadcnt_dscnt 0x0
	v_pk_mul_f32 v[118:119], v[128:129], v[30:31] /*v[286:287]*/ op_sel:[1,1] op_sel_hi:[0,1]
	s_set_vgpr_msb 0                        ;  msbs: dst=0 src0=0 src1=0 src2=0
	v_pk_add_f32 v[116:117], v[116:117], v[120:121]
	s_set_vgpr_msb 4                        ;  msbs: dst=0 src0=0 src1=1 src2=0
	s_delay_alu instid0(VALU_DEP_2) | instskip(SKIP_1) | instid1(VALU_DEP_1)
	v_pk_fma_f32 v[120:121], v[128:129], v[30:31] /*v[286:287]*/, v[118:119] neg_lo:[0,0,1] neg_hi:[0,0,1]
	v_pk_fma_f32 v[118:119], v[128:129], v[30:31] /*v[286:287]*/, v[118:119] op_sel_hi:[1,0,1]
	v_mov_b32_e32 v121, v119
	scratch_load_b64 v[118:119], off, off offset:88
	s_set_vgpr_msb 0                        ;  msbs: dst=0 src0=0 src1=0 src2=0
	v_pk_add_f32 v[116:117], v[116:117], v[120:121]
	s_wait_loadcnt 0x0
	s_delay_alu instid0(VALU_DEP_1)
	v_pk_add_f32 v[116:117], v[118:119], v[116:117] neg_lo:[0,1] neg_hi:[0,1]
	scratch_store_b64 off, v[116:117], off offset:88
	s_wait_xcnt 0x0
	v_cmpx_lt_u32_e32 10, v0
	s_cbranch_execz .LBB56_335
; %bb.334:
	scratch_load_b64 v[116:117], off, off offset:80
	v_mov_b64_e32 v[118:119], 0
	scratch_store_b64 off, v[118:119], off offset:80
	s_wait_loadcnt 0x0
	ds_store_b64 v1, v[116:117]
.LBB56_335:
	s_wait_xcnt 0x0
	s_or_b32 exec_lo, exec_lo, s0
	s_wait_storecnt_dscnt 0x0
	s_barrier_signal -1
	s_barrier_wait -1
	s_clause 0xf
	scratch_load_b128 v[120:123], off, off offset:88
	scratch_load_b128 v[128:131], off, off offset:104
	scratch_load_b128 v[136:139], off, off offset:120
	scratch_load_b128 v[144:147], off, off offset:136
	scratch_load_b128 v[152:155], off, off offset:152
	scratch_load_b128 v[160:163], off, off offset:168
	scratch_load_b128 v[168:171], off, off offset:184
	scratch_load_b128 v[176:179], off, off offset:200
	scratch_load_b128 v[184:187], off, off offset:216
	scratch_load_b128 v[192:195], off, off offset:232
	scratch_load_b128 v[200:203], off, off offset:248
	scratch_load_b128 v[208:211], off, off offset:264
	scratch_load_b128 v[216:219], off, off offset:280
	scratch_load_b128 v[224:227], off, off offset:296
	scratch_load_b128 v[232:235], off, off offset:312
	scratch_load_b128 v[240:243], off, off offset:328
	ds_load_2addr_b64 v[116:119], v7 offset0:69 offset1:70
	ds_load_2addr_b64 v[124:127], v7 offset0:71 offset1:72
	s_clause 0x2
	scratch_load_b128 v[248:251], off, off offset:344
	s_set_vgpr_msb 64                       ;  msbs: dst=1 src0=0 src1=0 src2=0
	scratch_load_b128 v[0:3] /*v[256:259]*/, off, off offset:360
	s_set_vgpr_msb 0                        ;  msbs: dst=0 src0=0 src1=0 src2=0
	ds_load_2addr_b64 v[132:135], v7 offset0:73 offset1:74
	ds_load_2addr_b64 v[140:143], v7 offset0:75 offset1:76
	;; [unrolled: 1-line block ×16, first 2 shown]
	s_set_vgpr_msb 64                       ;  msbs: dst=1 src0=0 src1=0 src2=0
	scratch_load_b128 v[8:11] /*v[264:267]*/, off, off offset:376
	ds_load_2addr_b64 v[4:7] /*v[260:263]*/, v7 offset0:105 offset1:106
	s_clause 0x3
	scratch_load_b128 v[12:15] /*v[268:271]*/, off, off offset:392
	scratch_load_b128 v[16:19] /*v[272:275]*/, off, off offset:408
	;; [unrolled: 1-line block ×4, first 2 shown]
	s_mov_b32 s0, exec_lo
	s_wait_loadcnt_dscnt 0x1612
	s_set_vgpr_msb 0                        ;  msbs: dst=0 src0=0 src1=0 src2=0
	v_dual_mul_f32 v9, v116, v121 :: v_dual_mul_f32 v11, v118, v123
	s_delay_alu instid0(VALU_DEP_1) | instskip(NEXT) | instid1(VALU_DEP_1)
	v_dual_fmac_f32 v9, v117, v120 :: v_dual_fmac_f32 v11, v119, v122
	v_add_f32_e32 v9, 0, v9
	s_wait_loadcnt_dscnt 0x1511
	s_delay_alu instid0(VALU_DEP_1) | instskip(NEXT) | instid1(VALU_DEP_1)
	v_dual_add_f32 v9, v9, v11 :: v_dual_mul_f32 v11, v124, v129
	v_fmac_f32_e32 v11, v125, v128
	s_delay_alu instid0(VALU_DEP_1) | instskip(SKIP_1) | instid1(VALU_DEP_1)
	v_add_f32_e32 v9, v9, v11
	v_mul_f32_e32 v11, v126, v131
	v_fmac_f32_e32 v11, v127, v130
	s_wait_loadcnt_dscnt 0x400
	s_set_vgpr_msb 0x45                     ;  msbs: dst=1 src0=1 src1=1 src2=0
	v_dual_mul_f32 v31 /*v287*/, v4 /*v260*/, v9 /*v265*/ :: v_dual_mul_f32 v33 /*v289*/, v6 /*v262*/, v11 /*v267*/
	s_set_vgpr_msb 0                        ;  msbs: dst=0 src0=0 src1=0 src2=0
	v_dual_add_f32 v9, v9, v11 :: v_dual_mul_f32 v11, v132, v137
	s_set_vgpr_msb 0x45                     ;  msbs: dst=1 src0=1 src1=1 src2=0
	s_delay_alu instid0(VALU_DEP_2) | instskip(SKIP_1) | instid1(VALU_DEP_2)
	v_dual_fmac_f32 v31 /*v287*/, v5 /*v261*/, v8 /*v264*/ :: v_dual_fmac_f32 v33 /*v289*/, v7 /*v263*/, v10 /*v266*/
	s_set_vgpr_msb 0                        ;  msbs: dst=0 src0=0 src1=0 src2=0
	v_fmac_f32_e32 v11, v133, v136
	s_delay_alu instid0(VALU_DEP_1) | instskip(SKIP_1) | instid1(VALU_DEP_1)
	v_add_f32_e32 v9, v9, v11
	v_mul_f32_e32 v11, v134, v139
	v_fmac_f32_e32 v11, v135, v138
	s_delay_alu instid0(VALU_DEP_1) | instskip(NEXT) | instid1(VALU_DEP_1)
	v_dual_add_f32 v9, v9, v11 :: v_dual_mul_f32 v11, v140, v145
	v_fmac_f32_e32 v11, v141, v144
	s_delay_alu instid0(VALU_DEP_1) | instskip(SKIP_1) | instid1(VALU_DEP_1)
	v_add_f32_e32 v9, v9, v11
	v_mul_f32_e32 v11, v142, v147
	v_fmac_f32_e32 v11, v143, v146
	s_delay_alu instid0(VALU_DEP_1) | instskip(NEXT) | instid1(VALU_DEP_1)
	v_dual_add_f32 v9, v9, v11 :: v_dual_mul_f32 v11, v148, v153
	;; [unrolled: 7-line block ×14, first 2 shown]
	v_fmac_f32_e32 v11, v245, v248
	s_delay_alu instid0(VALU_DEP_1) | instskip(SKIP_1) | instid1(VALU_DEP_1)
	v_add_f32_e32 v9, v9, v11
	v_mul_f32_e32 v11, v246, v251
	v_fmac_f32_e32 v11, v247, v250
	s_delay_alu instid0(VALU_DEP_1) | instskip(SKIP_2) | instid1(VALU_DEP_1)
	v_add_f32_e32 v9, v9, v11
	s_set_vgpr_msb 4                        ;  msbs: dst=0 src0=0 src1=1 src2=0
	v_mul_f32_e32 v11, v252, v1 /*v257*/
	v_fmac_f32_e32 v11, v253, v0 /*v256*/
	s_set_vgpr_msb 0                        ;  msbs: dst=0 src0=0 src1=0 src2=0
	s_delay_alu instid0(VALU_DEP_1) | instskip(SKIP_2) | instid1(VALU_DEP_1)
	v_add_f32_e32 v9, v9, v11
	s_set_vgpr_msb 4                        ;  msbs: dst=0 src0=0 src1=1 src2=0
	v_mul_f32_e32 v11, v254, v3 /*v259*/
	v_fmac_f32_e32 v11, v255, v2 /*v258*/
	s_set_vgpr_msb 64                       ;  msbs: dst=1 src0=0 src1=0 src2=0
	s_delay_alu instid0(VALU_DEP_1) | instskip(SKIP_2) | instid1(VALU_DEP_1)
	v_add_f32_e32 v29 /*v285*/, v9, v11
	s_set_vgpr_msb 0                        ;  msbs: dst=0 src0=0 src1=0 src2=0
	v_dual_mul_f32 v9, v117, v121 :: v_dual_mul_f32 v11, v119, v123
	v_dual_fma_f32 v9, v116, v120, -v9 :: v_dual_fma_f32 v11, v118, v122, -v11
	s_delay_alu instid0(VALU_DEP_1) | instskip(NEXT) | instid1(VALU_DEP_1)
	v_add_f32_e32 v9, 0, v9
	v_add_f32_e32 v9, v9, v11
	v_mul_f32_e32 v11, v125, v129
	s_delay_alu instid0(VALU_DEP_1) | instskip(NEXT) | instid1(VALU_DEP_1)
	v_fma_f32 v11, v124, v128, -v11
	v_add_f32_e32 v9, v9, v11
	v_mul_f32_e32 v11, v127, v131
	s_delay_alu instid0(VALU_DEP_1)
	v_fma_f32 v11, v126, v130, -v11
	ds_load_2addr_b64 v[116:119], v7 offset0:107 offset1:108
	ds_load_2addr_b64 v[120:123], v7 offset0:109 offset1:110
	;; [unrolled: 1-line block ×4, first 2 shown]
	v_add_f32_e32 v9, v9, v11
	v_mul_f32_e32 v11, v133, v137
	s_delay_alu instid0(VALU_DEP_1) | instskip(NEXT) | instid1(VALU_DEP_1)
	v_fma_f32 v11, v132, v136, -v11
	v_add_f32_e32 v9, v9, v11
	v_mul_f32_e32 v11, v135, v139
	s_delay_alu instid0(VALU_DEP_1)
	v_fma_f32 v11, v134, v138, -v11
	s_wait_loadcnt_dscnt 0x303
	s_set_vgpr_msb 4                        ;  msbs: dst=0 src0=0 src1=1 src2=0
	v_pk_mul_f32 v[134:135], v[116:117], v[12:13] /*v[268:269]*/ op_sel:[1,1] op_sel_hi:[0,1]
	s_set_vgpr_msb 0                        ;  msbs: dst=0 src0=0 src1=0 src2=0
	v_add_f32_e32 v9, v9, v11
	v_mul_f32_e32 v11, v141, v145
	s_set_vgpr_msb 4                        ;  msbs: dst=0 src0=0 src1=1 src2=0
	v_pk_fma_f32 v[136:137], v[116:117], v[12:13] /*v[268:269]*/, v[134:135] neg_lo:[0,0,1] neg_hi:[0,0,1]
	v_pk_fma_f32 v[116:117], v[116:117], v[12:13] /*v[268:269]*/, v[134:135] op_sel_hi:[1,0,1]
	s_set_vgpr_msb 1                        ;  msbs: dst=0 src0=1 src1=0 src2=0
	v_mov_b32_e32 v134, v15 /*v271*/
	s_set_vgpr_msb 0                        ;  msbs: dst=0 src0=0 src1=0 src2=0
	s_delay_alu instid0(VALU_DEP_2) | instskip(NEXT) | instid1(VALU_DEP_1)
	v_dual_fma_f32 v11, v140, v144, -v11 :: v_dual_mov_b32 v137, v117
	v_add_f32_e32 v9, v9, v11
	v_mul_f32_e32 v11, v143, v147
	s_delay_alu instid0(VALU_DEP_1) | instskip(NEXT) | instid1(VALU_DEP_1)
	v_fma_f32 v11, v142, v146, -v11
	v_add_f32_e32 v9, v9, v11
	v_mul_f32_e32 v11, v149, v153
	s_delay_alu instid0(VALU_DEP_1) | instskip(NEXT) | instid1(VALU_DEP_1)
	v_fma_f32 v11, v148, v152, -v11
	;; [unrolled: 4-line block ×27, first 2 shown]
	v_add_f32_e32 v9, v9, v11
	s_set_vgpr_msb 4                        ;  msbs: dst=0 src0=0 src1=1 src2=0
	v_mul_f32_e32 v11, v253, v1 /*v257*/
	s_delay_alu instid0(VALU_DEP_1) | instskip(SKIP_1) | instid1(VALU_DEP_1)
	v_fma_f32 v11, v252, v0 /*v256*/, -v11
	s_set_vgpr_msb 0                        ;  msbs: dst=0 src0=0 src1=0 src2=0
	v_add_f32_e32 v9, v9, v11
	s_set_vgpr_msb 4                        ;  msbs: dst=0 src0=0 src1=1 src2=0
	v_mul_f32_e32 v11, v255, v3 /*v259*/
	s_delay_alu instid0(VALU_DEP_1) | instskip(SKIP_1) | instid1(VALU_DEP_1)
	v_fma_f32 v11, v254, v2 /*v258*/, -v11
	s_set_vgpr_msb 64                       ;  msbs: dst=1 src0=0 src1=0 src2=0
	v_add_f32_e32 v28 /*v284*/, v9, v11
	s_set_vgpr_msb 5                        ;  msbs: dst=0 src0=1 src1=1 src2=0
	v_mul_f32_e32 v9, v5 /*v261*/, v9 /*v265*/
	s_set_vgpr_msb 0x45                     ;  msbs: dst=1 src0=1 src1=1 src2=0
	s_delay_alu instid0(VALU_DEP_1) | instskip(SKIP_3) | instid1(VALU_DEP_1)
	v_fma_f32 v30 /*v286*/, v4 /*v260*/, v8 /*v264*/, -v9
	s_set_vgpr_msb 5                        ;  msbs: dst=0 src0=1 src1=1 src2=0
	v_mul_f32_e32 v9, v7 /*v263*/, v11 /*v267*/
	s_set_vgpr_msb 0x45                     ;  msbs: dst=1 src0=1 src1=1 src2=0
	v_fma_f32 v32 /*v288*/, v6 /*v262*/, v10 /*v266*/, -v9
	s_set_vgpr_msb 5                        ;  msbs: dst=0 src0=1 src1=1 src2=0
	v_pk_add_f32 v[132:133], v[28:29] /*v[284:285]*/, v[30:31] /*v[286:287]*/
	s_set_vgpr_msb 4                        ;  msbs: dst=0 src0=0 src1=1 src2=0
	s_delay_alu instid0(VALU_DEP_1) | instskip(SKIP_1) | instid1(VALU_DEP_1)
	v_pk_add_f32 v[132:133], v[132:133], v[32:33] /*v[288:289]*/
	s_set_vgpr_msb 0                        ;  msbs: dst=0 src0=0 src1=0 src2=0
	v_pk_add_f32 v[116:117], v[132:133], v[136:137]
	v_dual_mov_b32 v132, v119 :: v_dual_mov_b32 v133, v118
	s_delay_alu instid0(VALU_DEP_1) | instskip(SKIP_1) | instid1(VALU_DEP_1)
	v_pk_mul_f32 v[132:133], v[132:133], v[134:135] op_sel_hi:[1,0]
	s_set_vgpr_msb 4                        ;  msbs: dst=0 src0=0 src1=1 src2=0
	v_pk_fma_f32 v[134:135], v[118:119], v[14:15] /*v[270:271]*/, v[132:133] neg_lo:[0,0,1] neg_hi:[0,0,1]
	v_pk_fma_f32 v[118:119], v[118:119], v[14:15] /*v[270:271]*/, v[132:133] op_sel_hi:[1,0,1]
	s_delay_alu instid0(VALU_DEP_1) | instskip(SKIP_3) | instid1(VALU_DEP_2)
	v_mov_b32_e32 v135, v119
	s_wait_loadcnt_dscnt 0x202
	v_pk_mul_f32 v[118:119], v[120:121], v[16:17] /*v[272:273]*/ op_sel:[1,1] op_sel_hi:[0,1]
	s_set_vgpr_msb 0                        ;  msbs: dst=0 src0=0 src1=0 src2=0
	v_pk_add_f32 v[116:117], v[116:117], v[134:135]
	s_set_vgpr_msb 4                        ;  msbs: dst=0 src0=0 src1=1 src2=0
	s_delay_alu instid0(VALU_DEP_2)
	v_pk_fma_f32 v[132:133], v[120:121], v[16:17] /*v[272:273]*/, v[118:119] neg_lo:[0,0,1] neg_hi:[0,0,1]
	v_pk_fma_f32 v[118:119], v[120:121], v[16:17] /*v[272:273]*/, v[118:119] op_sel_hi:[1,0,1]
	v_mov_b32_e32 v118, v123
	s_set_vgpr_msb 1                        ;  msbs: dst=0 src0=1 src1=0 src2=0
	v_mov_b32_e32 v120, v19 /*v275*/
	s_set_vgpr_msb 0                        ;  msbs: dst=0 src0=0 src1=0 src2=0
	v_dual_mov_b32 v133, v119 :: v_dual_mov_b32 v119, v122
	s_delay_alu instid0(VALU_DEP_1) | instskip(NEXT) | instid1(VALU_DEP_2)
	v_pk_add_f32 v[116:117], v[116:117], v[132:133]
	v_pk_mul_f32 v[118:119], v[118:119], v[120:121] op_sel_hi:[1,0]
	s_set_vgpr_msb 4                        ;  msbs: dst=0 src0=0 src1=1 src2=0
	s_delay_alu instid0(VALU_DEP_1) | instskip(SKIP_1) | instid1(VALU_DEP_1)
	v_pk_fma_f32 v[120:121], v[122:123], v[18:19] /*v[274:275]*/, v[118:119] neg_lo:[0,0,1] neg_hi:[0,0,1]
	v_pk_fma_f32 v[118:119], v[122:123], v[18:19] /*v[274:275]*/, v[118:119] op_sel_hi:[1,0,1]
	v_mov_b32_e32 v121, v119
	s_wait_loadcnt_dscnt 0x101
	v_pk_mul_f32 v[118:119], v[124:125], v[20:21] /*v[276:277]*/ op_sel:[1,1] op_sel_hi:[0,1]
	s_set_vgpr_msb 0                        ;  msbs: dst=0 src0=0 src1=0 src2=0
	s_delay_alu instid0(VALU_DEP_2) | instskip(SKIP_1) | instid1(VALU_DEP_2)
	v_pk_add_f32 v[116:117], v[116:117], v[120:121]
	s_set_vgpr_msb 4                        ;  msbs: dst=0 src0=0 src1=1 src2=0
	v_pk_fma_f32 v[120:121], v[124:125], v[20:21] /*v[276:277]*/, v[118:119] neg_lo:[0,0,1] neg_hi:[0,0,1]
	v_pk_fma_f32 v[118:119], v[124:125], v[20:21] /*v[276:277]*/, v[118:119] op_sel_hi:[1,0,1]
	s_delay_alu instid0(VALU_DEP_1) | instskip(SKIP_2) | instid1(VALU_DEP_2)
	v_dual_mov_b32 v118, v127 :: v_dual_mov_b32 v121, v119
	v_mov_b32_e32 v119, v126
	s_set_vgpr_msb 0                        ;  msbs: dst=0 src0=0 src1=0 src2=0
	v_pk_add_f32 v[116:117], v[116:117], v[120:121]
	s_set_vgpr_msb 1                        ;  msbs: dst=0 src0=1 src1=0 src2=0
	v_mov_b32_e32 v120, v23 /*v279*/
	s_set_vgpr_msb 0                        ;  msbs: dst=0 src0=0 src1=0 src2=0
	s_delay_alu instid0(VALU_DEP_1) | instskip(SKIP_1) | instid1(VALU_DEP_1)
	v_pk_mul_f32 v[118:119], v[118:119], v[120:121] op_sel_hi:[1,0]
	s_set_vgpr_msb 4                        ;  msbs: dst=0 src0=0 src1=1 src2=0
	v_pk_fma_f32 v[120:121], v[126:127], v[22:23] /*v[278:279]*/, v[118:119] neg_lo:[0,0,1] neg_hi:[0,0,1]
	v_pk_fma_f32 v[118:119], v[126:127], v[22:23] /*v[278:279]*/, v[118:119] op_sel_hi:[1,0,1]
	s_delay_alu instid0(VALU_DEP_1) | instskip(SKIP_3) | instid1(VALU_DEP_2)
	v_mov_b32_e32 v121, v119
	s_wait_loadcnt_dscnt 0x0
	v_pk_mul_f32 v[118:119], v[128:129], v[24:25] /*v[280:281]*/ op_sel:[1,1] op_sel_hi:[0,1]
	s_set_vgpr_msb 0                        ;  msbs: dst=0 src0=0 src1=0 src2=0
	v_pk_add_f32 v[116:117], v[116:117], v[120:121]
	s_set_vgpr_msb 4                        ;  msbs: dst=0 src0=0 src1=1 src2=0
	s_delay_alu instid0(VALU_DEP_2) | instskip(SKIP_1) | instid1(VALU_DEP_1)
	v_pk_fma_f32 v[120:121], v[128:129], v[24:25] /*v[280:281]*/, v[118:119] neg_lo:[0,0,1] neg_hi:[0,0,1]
	v_pk_fma_f32 v[118:119], v[128:129], v[24:25] /*v[280:281]*/, v[118:119] op_sel_hi:[1,0,1]
	v_dual_mov_b32 v118, v131 :: v_dual_mov_b32 v121, v119
	v_mov_b32_e32 v119, v130
	s_set_vgpr_msb 0                        ;  msbs: dst=0 src0=0 src1=0 src2=0
	s_delay_alu instid0(VALU_DEP_2) | instskip(SKIP_3) | instid1(VALU_DEP_1)
	v_pk_add_f32 v[116:117], v[116:117], v[120:121]
	s_set_vgpr_msb 1                        ;  msbs: dst=0 src0=1 src1=0 src2=0
	v_mov_b32_e32 v120, v27 /*v283*/
	s_set_vgpr_msb 0                        ;  msbs: dst=0 src0=0 src1=0 src2=0
	v_pk_mul_f32 v[118:119], v[118:119], v[120:121] op_sel_hi:[1,0]
	s_set_vgpr_msb 4                        ;  msbs: dst=0 src0=0 src1=1 src2=0
	s_delay_alu instid0(VALU_DEP_1) | instskip(SKIP_1) | instid1(VALU_DEP_1)
	v_pk_fma_f32 v[120:121], v[130:131], v[26:27] /*v[282:283]*/, v[118:119] neg_lo:[0,0,1] neg_hi:[0,0,1]
	v_pk_fma_f32 v[118:119], v[130:131], v[26:27] /*v[282:283]*/, v[118:119] op_sel_hi:[1,0,1]
	v_mov_b32_e32 v121, v119
	scratch_load_b64 v[118:119], off, off offset:80
	s_set_vgpr_msb 0                        ;  msbs: dst=0 src0=0 src1=0 src2=0
	v_pk_add_f32 v[116:117], v[116:117], v[120:121]
	s_wait_loadcnt 0x0
	s_delay_alu instid0(VALU_DEP_1)
	v_pk_add_f32 v[116:117], v[118:119], v[116:117] neg_lo:[0,1] neg_hi:[0,1]
	scratch_store_b64 off, v[116:117], off offset:80
	s_wait_xcnt 0x0
	v_cmpx_lt_u32_e32 9, v0
	s_cbranch_execz .LBB56_337
; %bb.336:
	scratch_load_b64 v[116:117], off, off offset:72
	v_mov_b64_e32 v[118:119], 0
	scratch_store_b64 off, v[118:119], off offset:72
	s_wait_loadcnt 0x0
	ds_store_b64 v1, v[116:117]
.LBB56_337:
	s_wait_xcnt 0x0
	s_or_b32 exec_lo, exec_lo, s0
	v_mov_b32_e32 v7, 0
	s_wait_storecnt_dscnt 0x0
	s_barrier_signal -1
	s_barrier_wait -1
	ds_load_b128 v[116:119], v7 offset:544
	ds_load_b128 v[120:123], v7 offset:560
	;; [unrolled: 1-line block ×4, first 2 shown]
	s_clause 0x14
	scratch_load_b128 v[132:135], off, off offset:80
	scratch_load_b128 v[136:139], off, off offset:96
	;; [unrolled: 1-line block ×17, first 2 shown]
	s_set_vgpr_msb 64                       ;  msbs: dst=1 src0=0 src1=0 src2=0
	scratch_load_b128 v[0:3] /*v[256:259]*/, off, off offset:352
	scratch_load_b128 v[8:11] /*v[264:267]*/, off, off offset:368
	scratch_load_b128 v[16:19] /*v[272:275]*/, off, off offset:384
	s_mov_b32 s0, exec_lo
	s_wait_loadcnt_dscnt 0x1303
	s_set_vgpr_msb 0                        ;  msbs: dst=0 src0=0 src1=0 src2=0
	v_mul_f32_e32 v9, v116, v133
	ds_load_b128 v[148:151], v7 offset:608
	ds_load_b128 v[156:159], v7 offset:624
	;; [unrolled: 1-line block ×4, first 2 shown]
	v_dual_fmac_f32 v9, v117, v132 :: v_dual_mul_f32 v11, v118, v135
	ds_load_b128 v[180:183], v7 offset:672
	ds_load_b128 v[188:191], v7 offset:688
	;; [unrolled: 1-line block ×4, first 2 shown]
	v_dual_add_f32 v9, 0, v9 :: v_dual_fmac_f32 v11, v119, v134
	ds_load_b128 v[212:215], v7 offset:736
	ds_load_b128 v[220:223], v7 offset:752
	;; [unrolled: 1-line block ×4, first 2 shown]
	s_wait_loadcnt_dscnt 0x120e
	v_dual_add_f32 v9, v9, v11 :: v_dual_mul_f32 v11, v120, v137
	ds_load_b128 v[244:247], v7 offset:800
	ds_load_b128 v[252:255], v7 offset:816
	s_set_vgpr_msb 64                       ;  msbs: dst=1 src0=0 src1=0 src2=0
	ds_load_b128 v[4:7] /*v[260:263]*/, v7 offset:832
	ds_load_b128 v[12:15] /*v[268:271]*/, v7 offset:848
	s_set_vgpr_msb 0                        ;  msbs: dst=0 src0=0 src1=0 src2=0
	v_fmac_f32_e32 v11, v121, v136
	s_set_vgpr_msb 64                       ;  msbs: dst=1 src0=0 src1=0 src2=0
	s_clause 0x3
	scratch_load_b128 v[20:23] /*v[276:279]*/, off, off offset:400
	scratch_load_b128 v[24:27] /*v[280:283]*/, off, off offset:416
	;; [unrolled: 1-line block ×3, first 2 shown]
	scratch_load_b64 v[38:39] /*v[294:295]*/, off, off offset:448
	s_set_vgpr_msb 0                        ;  msbs: dst=0 src0=0 src1=0 src2=0
	v_add_f32_e32 v9, v9, v11
	v_mul_f32_e32 v11, v122, v139
	s_delay_alu instid0(VALU_DEP_1) | instskip(SKIP_1) | instid1(VALU_DEP_1)
	v_fmac_f32_e32 v11, v123, v138
	s_wait_loadcnt_dscnt 0x1511
	v_dual_add_f32 v9, v9, v11 :: v_dual_mul_f32 v11, v124, v141
	s_wait_loadcnt_dscnt 0x400
	s_set_vgpr_msb 0x45                     ;  msbs: dst=1 src0=1 src1=1 src2=0
	v_dual_mul_f32 v35 /*v291*/, v6 /*v262*/, v11 /*v267*/ :: v_dual_mul_f32 v37 /*v293*/, v12 /*v268*/, v17 /*v273*/
	s_set_vgpr_msb 0                        ;  msbs: dst=0 src0=0 src1=0 src2=0
	v_fmac_f32_e32 v11, v125, v140
	s_set_vgpr_msb 0x45                     ;  msbs: dst=1 src0=1 src1=1 src2=0
	s_delay_alu instid0(VALU_DEP_2) | instskip(SKIP_1) | instid1(VALU_DEP_2)
	v_dual_fmac_f32 v35 /*v291*/, v7 /*v263*/, v10 /*v266*/ :: v_dual_fmac_f32 v37 /*v293*/, v13 /*v269*/, v16 /*v272*/
	s_set_vgpr_msb 0                        ;  msbs: dst=0 src0=0 src1=0 src2=0
	v_add_f32_e32 v9, v9, v11
	v_mul_f32_e32 v11, v126, v143
	s_delay_alu instid0(VALU_DEP_1) | instskip(NEXT) | instid1(VALU_DEP_1)
	v_fmac_f32_e32 v11, v127, v142
	v_dual_add_f32 v9, v9, v11 :: v_dual_mul_f32 v11, v128, v145
	s_delay_alu instid0(VALU_DEP_1) | instskip(NEXT) | instid1(VALU_DEP_1)
	v_fmac_f32_e32 v11, v129, v144
	v_add_f32_e32 v9, v9, v11
	v_mul_f32_e32 v11, v130, v147
	s_delay_alu instid0(VALU_DEP_1) | instskip(NEXT) | instid1(VALU_DEP_1)
	v_fmac_f32_e32 v11, v131, v146
	v_dual_add_f32 v9, v9, v11 :: v_dual_mul_f32 v11, v148, v153
	s_delay_alu instid0(VALU_DEP_1) | instskip(NEXT) | instid1(VALU_DEP_1)
	v_fmac_f32_e32 v11, v149, v152
	;; [unrolled: 7-line block ×14, first 2 shown]
	v_add_f32_e32 v9, v9, v11
	v_mul_f32_e32 v11, v246, v251
	s_delay_alu instid0(VALU_DEP_1) | instskip(NEXT) | instid1(VALU_DEP_1)
	v_fmac_f32_e32 v11, v247, v250
	v_add_f32_e32 v9, v9, v11
	s_set_vgpr_msb 4                        ;  msbs: dst=0 src0=0 src1=1 src2=0
	v_mul_f32_e32 v11, v252, v1 /*v257*/
	s_delay_alu instid0(VALU_DEP_1) | instskip(SKIP_1) | instid1(VALU_DEP_1)
	v_fmac_f32_e32 v11, v253, v0 /*v256*/
	s_set_vgpr_msb 0                        ;  msbs: dst=0 src0=0 src1=0 src2=0
	v_add_f32_e32 v9, v9, v11
	s_set_vgpr_msb 4                        ;  msbs: dst=0 src0=0 src1=1 src2=0
	v_mul_f32_e32 v11, v254, v3 /*v259*/
	s_delay_alu instid0(VALU_DEP_1) | instskip(SKIP_1) | instid1(VALU_DEP_1)
	v_fmac_f32_e32 v11, v255, v2 /*v258*/
	s_set_vgpr_msb 0                        ;  msbs: dst=0 src0=0 src1=0 src2=0
	v_add_f32_e32 v9, v9, v11
	s_set_vgpr_msb 5                        ;  msbs: dst=0 src0=1 src1=1 src2=0
	v_mul_f32_e32 v11, v4 /*v260*/, v9 /*v265*/
	s_delay_alu instid0(VALU_DEP_1) | instskip(SKIP_1) | instid1(VALU_DEP_1)
	v_fmac_f32_e32 v11, v5 /*v261*/, v8 /*v264*/
	s_set_vgpr_msb 64                       ;  msbs: dst=1 src0=0 src1=0 src2=0
	v_add_f32_e32 v33 /*v289*/, v9, v11
	s_set_vgpr_msb 0                        ;  msbs: dst=0 src0=0 src1=0 src2=0
	v_dual_mul_f32 v9, v117, v133 :: v_dual_mul_f32 v11, v119, v135
	s_set_vgpr_msb 1                        ;  msbs: dst=0 src0=1 src1=0 src2=0
	v_mov_b32_e32 v133, v14 /*v270*/
	s_set_vgpr_msb 0                        ;  msbs: dst=0 src0=0 src1=0 src2=0
	s_delay_alu instid0(VALU_DEP_2) | instskip(SKIP_2) | instid1(VALU_DEP_2)
	v_dual_fma_f32 v9, v116, v132, -v9 :: v_dual_fma_f32 v11, v118, v134, -v11
	s_set_vgpr_msb 1                        ;  msbs: dst=0 src0=1 src1=0 src2=0
	v_dual_mov_b32 v132, v15 /*v271*/ :: v_dual_mov_b32 v134, v19 /*v275*/
	v_add_f32_e32 v9, 0, v9
	s_set_vgpr_msb 0                        ;  msbs: dst=0 src0=0 src1=0 src2=0
	s_delay_alu instid0(VALU_DEP_2) | instskip(NEXT) | instid1(VALU_DEP_2)
	v_pk_mul_f32 v[132:133], v[132:133], v[134:135] op_sel_hi:[1,0]
	v_add_f32_e32 v9, v9, v11
	v_mul_f32_e32 v11, v121, v137
	s_set_vgpr_msb 5                        ;  msbs: dst=0 src0=1 src1=1 src2=0
	s_delay_alu instid0(VALU_DEP_3) | instskip(SKIP_2) | instid1(VALU_DEP_1)
	v_pk_fma_f32 v[134:135], v[14:15] /*v[270:271]*/, v[18:19] /*v[274:275]*/, v[132:133] neg_lo:[0,0,1] neg_hi:[0,0,1]
	v_pk_fma_f32 v[132:133], v[14:15] /*v[270:271]*/, v[18:19] /*v[274:275]*/, v[132:133] op_sel_hi:[1,0,1]
	s_set_vgpr_msb 0                        ;  msbs: dst=0 src0=0 src1=0 src2=0
	v_dual_fma_f32 v11, v120, v136, -v11 :: v_dual_mov_b32 v135, v133
	s_delay_alu instid0(VALU_DEP_1) | instskip(SKIP_1) | instid1(VALU_DEP_1)
	v_add_f32_e32 v9, v9, v11
	v_mul_f32_e32 v11, v123, v139
	v_fma_f32 v11, v122, v138, -v11
	s_delay_alu instid0(VALU_DEP_1) | instskip(SKIP_1) | instid1(VALU_DEP_1)
	v_add_f32_e32 v9, v9, v11
	v_mul_f32_e32 v11, v125, v141
	v_fma_f32 v11, v124, v140, -v11
	;; [unrolled: 4-line block ×4, first 2 shown]
	ds_load_b128 v[116:119], v7 offset:864
	ds_load_b128 v[120:123], v7 offset:880
	;; [unrolled: 1-line block ×3, first 2 shown]
	ds_load_b64 v[128:129], v7 offset:912
	v_add_f32_e32 v9, v9, v11
	v_mul_f32_e32 v11, v131, v147
	s_delay_alu instid0(VALU_DEP_1) | instskip(NEXT) | instid1(VALU_DEP_1)
	v_fma_f32 v11, v130, v146, -v11
	v_add_f32_e32 v9, v9, v11
	v_mul_f32_e32 v11, v149, v153
	s_wait_loadcnt_dscnt 0x303
	s_set_vgpr_msb 4                        ;  msbs: dst=0 src0=0 src1=1 src2=0
	v_pk_mul_f32 v[132:133], v[116:117], v[20:21] /*v[276:277]*/ op_sel:[1,1] op_sel_hi:[0,1]
	s_set_vgpr_msb 0                        ;  msbs: dst=0 src0=0 src1=0 src2=0
	v_fma_f32 v11, v148, v152, -v11
	s_delay_alu instid0(VALU_DEP_1) | instskip(SKIP_1) | instid1(VALU_DEP_1)
	v_add_f32_e32 v9, v9, v11
	v_mul_f32_e32 v11, v151, v155
	v_fma_f32 v11, v150, v154, -v11
	s_delay_alu instid0(VALU_DEP_1) | instskip(SKIP_1) | instid1(VALU_DEP_1)
	v_add_f32_e32 v9, v9, v11
	v_mul_f32_e32 v11, v157, v161
	;; [unrolled: 4-line block ×25, first 2 shown]
	v_fma_f32 v11, v246, v250, -v11
	s_delay_alu instid0(VALU_DEP_1) | instskip(SKIP_2) | instid1(VALU_DEP_1)
	v_add_f32_e32 v9, v9, v11
	s_set_vgpr_msb 4                        ;  msbs: dst=0 src0=0 src1=1 src2=0
	v_mul_f32_e32 v11, v253, v1 /*v257*/
	v_fma_f32 v11, v252, v0 /*v256*/, -v11
	s_set_vgpr_msb 0                        ;  msbs: dst=0 src0=0 src1=0 src2=0
	s_delay_alu instid0(VALU_DEP_1) | instskip(SKIP_2) | instid1(VALU_DEP_1)
	v_add_f32_e32 v9, v9, v11
	s_set_vgpr_msb 4                        ;  msbs: dst=0 src0=0 src1=1 src2=0
	v_mul_f32_e32 v11, v255, v3 /*v259*/
	v_fma_f32 v11, v254, v2 /*v258*/, -v11
	s_set_vgpr_msb 0                        ;  msbs: dst=0 src0=0 src1=0 src2=0
	s_delay_alu instid0(VALU_DEP_1) | instskip(SKIP_2) | instid1(VALU_DEP_1)
	v_add_f32_e32 v9, v9, v11
	s_set_vgpr_msb 5                        ;  msbs: dst=0 src0=1 src1=1 src2=0
	v_mul_f32_e32 v11, v5 /*v261*/, v9 /*v265*/
	v_fma_f32 v11, v4 /*v260*/, v8 /*v264*/, -v11
	s_set_vgpr_msb 64                       ;  msbs: dst=1 src0=0 src1=0 src2=0
	s_delay_alu instid0(VALU_DEP_1) | instskip(SKIP_3) | instid1(VALU_DEP_1)
	v_add_f32_e32 v32 /*v288*/, v9, v11
	s_set_vgpr_msb 5                        ;  msbs: dst=0 src0=1 src1=1 src2=0
	v_mul_f32_e32 v9, v7 /*v263*/, v11 /*v267*/
	s_set_vgpr_msb 0x45                     ;  msbs: dst=1 src0=1 src1=1 src2=0
	v_fma_f32 v34 /*v290*/, v6 /*v262*/, v10 /*v266*/, -v9
	s_set_vgpr_msb 5                        ;  msbs: dst=0 src0=1 src1=1 src2=0
	v_mul_f32_e32 v9, v13 /*v269*/, v17 /*v273*/
	s_set_vgpr_msb 0x45                     ;  msbs: dst=1 src0=1 src1=1 src2=0
	s_delay_alu instid0(VALU_DEP_1) | instskip(SKIP_3) | instid1(VALU_DEP_1)
	v_fma_f32 v36 /*v292*/, v12 /*v268*/, v16 /*v272*/, -v9
	s_set_vgpr_msb 5                        ;  msbs: dst=0 src0=1 src1=1 src2=0
	v_pk_add_f32 v[130:131], v[32:33] /*v[288:289]*/, v[34:35] /*v[290:291]*/
	s_set_vgpr_msb 4                        ;  msbs: dst=0 src0=0 src1=1 src2=0
	v_pk_add_f32 v[130:131], v[130:131], v[36:37] /*v[292:293]*/
	s_set_vgpr_msb 0                        ;  msbs: dst=0 src0=0 src1=0 src2=0
	s_delay_alu instid0(VALU_DEP_1)
	v_pk_add_f32 v[130:131], v[130:131], v[134:135]
	s_set_vgpr_msb 4                        ;  msbs: dst=0 src0=0 src1=1 src2=0
	v_pk_fma_f32 v[134:135], v[116:117], v[20:21] /*v[276:277]*/, v[132:133] neg_lo:[0,0,1] neg_hi:[0,0,1]
	v_pk_fma_f32 v[116:117], v[116:117], v[20:21] /*v[276:277]*/, v[132:133] op_sel_hi:[1,0,1]
	s_set_vgpr_msb 1                        ;  msbs: dst=0 src0=1 src1=0 src2=0
	v_mov_b32_e32 v132, v23 /*v279*/
	s_set_vgpr_msb 0                        ;  msbs: dst=0 src0=0 src1=0 src2=0
	s_delay_alu instid0(VALU_DEP_2) | instskip(NEXT) | instid1(VALU_DEP_1)
	v_mov_b32_e32 v135, v117
	v_pk_add_f32 v[116:117], v[130:131], v[134:135]
	v_dual_mov_b32 v130, v119 :: v_dual_mov_b32 v131, v118
	s_delay_alu instid0(VALU_DEP_1) | instskip(SKIP_1) | instid1(VALU_DEP_1)
	v_pk_mul_f32 v[130:131], v[130:131], v[132:133] op_sel_hi:[1,0]
	s_set_vgpr_msb 4                        ;  msbs: dst=0 src0=0 src1=1 src2=0
	v_pk_fma_f32 v[132:133], v[118:119], v[22:23] /*v[278:279]*/, v[130:131] neg_lo:[0,0,1] neg_hi:[0,0,1]
	v_pk_fma_f32 v[118:119], v[118:119], v[22:23] /*v[278:279]*/, v[130:131] op_sel_hi:[1,0,1]
	s_delay_alu instid0(VALU_DEP_1) | instskip(SKIP_3) | instid1(VALU_DEP_2)
	v_mov_b32_e32 v133, v119
	s_wait_loadcnt_dscnt 0x202
	v_pk_mul_f32 v[118:119], v[120:121], v[24:25] /*v[280:281]*/ op_sel:[1,1] op_sel_hi:[0,1]
	s_set_vgpr_msb 0                        ;  msbs: dst=0 src0=0 src1=0 src2=0
	v_pk_add_f32 v[116:117], v[116:117], v[132:133]
	s_set_vgpr_msb 4                        ;  msbs: dst=0 src0=0 src1=1 src2=0
	s_delay_alu instid0(VALU_DEP_2)
	v_pk_fma_f32 v[130:131], v[120:121], v[24:25] /*v[280:281]*/, v[118:119] neg_lo:[0,0,1] neg_hi:[0,0,1]
	v_pk_fma_f32 v[118:119], v[120:121], v[24:25] /*v[280:281]*/, v[118:119] op_sel_hi:[1,0,1]
	v_mov_b32_e32 v118, v123
	s_set_vgpr_msb 1                        ;  msbs: dst=0 src0=1 src1=0 src2=0
	v_mov_b32_e32 v120, v27 /*v283*/
	s_set_vgpr_msb 0                        ;  msbs: dst=0 src0=0 src1=0 src2=0
	v_dual_mov_b32 v131, v119 :: v_dual_mov_b32 v119, v122
	s_delay_alu instid0(VALU_DEP_1) | instskip(NEXT) | instid1(VALU_DEP_2)
	v_pk_add_f32 v[116:117], v[116:117], v[130:131]
	v_pk_mul_f32 v[118:119], v[118:119], v[120:121] op_sel_hi:[1,0]
	s_set_vgpr_msb 4                        ;  msbs: dst=0 src0=0 src1=1 src2=0
	s_delay_alu instid0(VALU_DEP_1) | instskip(SKIP_1) | instid1(VALU_DEP_1)
	v_pk_fma_f32 v[120:121], v[122:123], v[26:27] /*v[282:283]*/, v[118:119] neg_lo:[0,0,1] neg_hi:[0,0,1]
	v_pk_fma_f32 v[118:119], v[122:123], v[26:27] /*v[282:283]*/, v[118:119] op_sel_hi:[1,0,1]
	v_mov_b32_e32 v121, v119
	s_wait_loadcnt_dscnt 0x101
	v_pk_mul_f32 v[118:119], v[124:125], v[28:29] /*v[284:285]*/ op_sel:[1,1] op_sel_hi:[0,1]
	s_set_vgpr_msb 0                        ;  msbs: dst=0 src0=0 src1=0 src2=0
	s_delay_alu instid0(VALU_DEP_2) | instskip(SKIP_1) | instid1(VALU_DEP_2)
	v_pk_add_f32 v[116:117], v[116:117], v[120:121]
	s_set_vgpr_msb 4                        ;  msbs: dst=0 src0=0 src1=1 src2=0
	v_pk_fma_f32 v[120:121], v[124:125], v[28:29] /*v[284:285]*/, v[118:119] neg_lo:[0,0,1] neg_hi:[0,0,1]
	v_pk_fma_f32 v[118:119], v[124:125], v[28:29] /*v[284:285]*/, v[118:119] op_sel_hi:[1,0,1]
	s_delay_alu instid0(VALU_DEP_1) | instskip(SKIP_2) | instid1(VALU_DEP_2)
	v_dual_mov_b32 v118, v127 :: v_dual_mov_b32 v121, v119
	v_mov_b32_e32 v119, v126
	s_set_vgpr_msb 0                        ;  msbs: dst=0 src0=0 src1=0 src2=0
	v_pk_add_f32 v[116:117], v[116:117], v[120:121]
	s_set_vgpr_msb 1                        ;  msbs: dst=0 src0=1 src1=0 src2=0
	v_mov_b32_e32 v120, v31 /*v287*/
	s_set_vgpr_msb 0                        ;  msbs: dst=0 src0=0 src1=0 src2=0
	s_delay_alu instid0(VALU_DEP_1) | instskip(SKIP_1) | instid1(VALU_DEP_1)
	v_pk_mul_f32 v[118:119], v[118:119], v[120:121] op_sel_hi:[1,0]
	s_set_vgpr_msb 4                        ;  msbs: dst=0 src0=0 src1=1 src2=0
	v_pk_fma_f32 v[120:121], v[126:127], v[30:31] /*v[286:287]*/, v[118:119] neg_lo:[0,0,1] neg_hi:[0,0,1]
	v_pk_fma_f32 v[118:119], v[126:127], v[30:31] /*v[286:287]*/, v[118:119] op_sel_hi:[1,0,1]
	s_delay_alu instid0(VALU_DEP_1) | instskip(SKIP_3) | instid1(VALU_DEP_2)
	v_mov_b32_e32 v121, v119
	s_wait_loadcnt_dscnt 0x0
	v_pk_mul_f32 v[118:119], v[128:129], v[38:39] /*v[294:295]*/ op_sel:[1,1] op_sel_hi:[0,1]
	s_set_vgpr_msb 0                        ;  msbs: dst=0 src0=0 src1=0 src2=0
	v_pk_add_f32 v[116:117], v[116:117], v[120:121]
	s_set_vgpr_msb 4                        ;  msbs: dst=0 src0=0 src1=1 src2=0
	s_delay_alu instid0(VALU_DEP_2) | instskip(SKIP_1) | instid1(VALU_DEP_1)
	v_pk_fma_f32 v[120:121], v[128:129], v[38:39] /*v[294:295]*/, v[118:119] neg_lo:[0,0,1] neg_hi:[0,0,1]
	v_pk_fma_f32 v[118:119], v[128:129], v[38:39] /*v[294:295]*/, v[118:119] op_sel_hi:[1,0,1]
	v_mov_b32_e32 v121, v119
	scratch_load_b64 v[118:119], off, off offset:72
	s_set_vgpr_msb 0                        ;  msbs: dst=0 src0=0 src1=0 src2=0
	v_pk_add_f32 v[116:117], v[116:117], v[120:121]
	s_wait_loadcnt 0x0
	s_delay_alu instid0(VALU_DEP_1)
	v_pk_add_f32 v[116:117], v[118:119], v[116:117] neg_lo:[0,1] neg_hi:[0,1]
	scratch_store_b64 off, v[116:117], off offset:72
	s_wait_xcnt 0x0
	v_cmpx_lt_u32_e32 8, v0
	s_cbranch_execz .LBB56_339
; %bb.338:
	scratch_load_b64 v[116:117], off, off offset:64
	v_mov_b64_e32 v[118:119], 0
	scratch_store_b64 off, v[118:119], off offset:64
	s_wait_loadcnt 0x0
	ds_store_b64 v1, v[116:117]
.LBB56_339:
	s_wait_xcnt 0x0
	s_or_b32 exec_lo, exec_lo, s0
	s_wait_storecnt_dscnt 0x0
	s_barrier_signal -1
	s_barrier_wait -1
	s_clause 0x17
	scratch_load_b128 v[116:119], off, off offset:72
	scratch_load_b128 v[120:123], off, off offset:88
	;; [unrolled: 1-line block ×24, first 2 shown]
	ds_load_2addr_b64 v[212:215], v7 offset0:67 offset1:68
	ds_load_2addr_b64 v[216:219], v7 offset0:69 offset1:70
	;; [unrolled: 1-line block ×6, first 2 shown]
	s_set_vgpr_msb 64                       ;  msbs: dst=1 src0=0 src1=0 src2=0
	scratch_load_b64 v[52:53] /*v[308:309]*/, off, off offset:64
	s_set_vgpr_msb 0                        ;  msbs: dst=0 src0=0 src1=0 src2=0
	ds_load_2addr_b64 v[236:239], v7 offset0:75 offset1:76
	ds_load_2addr_b64 v[240:243], v7 offset0:77 offset1:78
	;; [unrolled: 1-line block ×5, first 2 shown]
	s_set_vgpr_msb 64                       ;  msbs: dst=1 src0=0 src1=0 src2=0
	ds_load_2addr_b64 v[0:3] /*v[256:259]*/, v7 offset0:81 offset1:82
	ds_load_2addr_b64 v[4:7] /*v[260:263]*/, v7 offset0:83 offset1:84
	;; [unrolled: 1-line block ×13, first 2 shown]
	s_mov_b32 s0, exec_lo
	s_wait_dscnt 0xf
	v_dual_mov_b32 v58 /*v314*/, v247 :: v_dual_mov_b32 v59 /*v315*/, v246
	s_wait_dscnt 0xe
	v_dual_mov_b32 v60 /*v316*/, v251 :: v_dual_mov_b32 v61 /*v317*/, v250
	v_dual_mov_b32 v54 /*v310*/, v231 :: v_dual_mov_b32 v55 /*v311*/, v230
	;; [unrolled: 1-line block ×3, first 2 shown]
	s_wait_loadcnt 0x18
	s_set_vgpr_msb 0                        ;  msbs: dst=0 src0=0 src1=0 src2=0
	v_dual_mul_f32 v7, v212, v117 :: v_dual_mul_f32 v9, v214, v119
	v_dual_mul_f32 v83, v213, v117 :: v_dual_mul_f32 v85, v215, v119
	s_wait_loadcnt 0x17
	v_dual_mul_f32 v11, v216, v121 :: v_dual_mul_f32 v13, v218, v123
	s_delay_alu instid0(VALU_DEP_3) | instskip(SKIP_3) | instid1(VALU_DEP_3)
	v_dual_fmac_f32 v7, v213, v116 :: v_dual_fmac_f32 v9, v215, v118
	s_wait_loadcnt 0x15
	v_dual_fma_f32 v83, v212, v116, -v83 :: v_dual_mul_f32 v95, v225, v129
	v_dual_mul_f32 v87, v217, v121 :: v_dual_mul_f32 v89, v219, v123
	v_dual_fma_f32 v85, v214, v118, -v85 :: v_dual_add_f32 v7, 0, v7
	s_delay_alu instid0(VALU_DEP_3) | instskip(SKIP_1) | instid1(VALU_DEP_4)
	v_dual_add_f32 v83, 0, v83 :: v_dual_fmac_f32 v11, v217, v120
	v_dual_mul_f32 v15, v220, v125 :: v_dual_mul_f32 v17, v222, v127
	v_dual_mul_f32 v97, v227, v131 :: v_dual_fma_f32 v87, v216, v120, -v87
	s_delay_alu instid0(VALU_DEP_4) | instskip(NEXT) | instid1(VALU_DEP_3)
	v_add_f32_e32 v7, v7, v9
	v_dual_add_f32 v9, v83, v85 :: v_dual_fmac_f32 v15, v221, v124
	v_dual_mul_f32 v91, v221, v125 :: v_dual_mul_f32 v93, v223, v127
	s_wait_loadcnt 0x14
	v_dual_mul_f32 v83, v237, v133 :: v_dual_fmac_f32 v13, v219, v122
	v_dual_fma_f32 v85, v218, v122, -v89 :: v_dual_add_f32 v7, v7, v11
	s_delay_alu instid0(VALU_DEP_3) | instskip(SKIP_1) | instid1(VALU_DEP_3)
	v_dual_add_f32 v9, v9, v87 :: v_dual_fma_f32 v87, v220, v124, -v91
	v_dual_mul_f32 v19, v224, v129 :: v_dual_mul_f32 v21, v226, v131
	v_add_f32_e32 v7, v7, v13
	s_delay_alu instid0(VALU_DEP_3) | instskip(SKIP_2) | instid1(VALU_DEP_3)
	v_dual_mul_f32 v11, v239, v135 :: v_dual_add_f32 v9, v9, v85
	s_wait_loadcnt 0x13
	v_dual_mul_f32 v13, v241, v137 :: v_dual_fmac_f32 v17, v223, v126
	v_dual_fma_f32 v85, v222, v126, -v93 :: v_dual_add_f32 v7, v7, v15
	s_delay_alu instid0(VALU_DEP_3) | instskip(SKIP_1) | instid1(VALU_DEP_3)
	v_dual_add_f32 v9, v9, v87 :: v_dual_fma_f32 v87, v224, v128, -v95
	v_dual_mul_f32 v15, v243, v139 :: v_dual_fmac_f32 v19, v225, v128
	v_add_f32_e32 v7, v7, v17
	s_delay_alu instid0(VALU_DEP_3)
	v_dual_add_f32 v9, v9, v85 :: v_dual_fmac_f32 v21, v227, v130
	v_dual_mul_f32 v23, v236, v133 :: v_dual_mul_f32 v25, v238, v135
	s_wait_loadcnt_dscnt 0x120d
	v_dual_fma_f32 v85, v226, v130, -v97 :: v_dual_mul_f32 v17, v253, v141
	v_add_f32_e32 v7, v7, v19
	v_dual_add_f32 v9, v9, v87 :: v_dual_fma_f32 v83, v236, v132, -v83
	v_dual_mul_f32 v19, v255, v143 :: v_dual_fmac_f32 v23, v237, v132
	s_delay_alu instid0(VALU_DEP_3) | instskip(NEXT) | instid1(VALU_DEP_3)
	v_dual_add_f32 v7, v7, v21 :: v_dual_fma_f32 v11, v238, v134, -v11
	v_dual_add_f32 v9, v9, v85 :: v_dual_fmac_f32 v25, v239, v134
	v_dual_mul_f32 v27, v240, v137 :: v_dual_mul_f32 v29, v242, v139
	s_delay_alu instid0(VALU_DEP_3) | instskip(NEXT) | instid1(VALU_DEP_3)
	v_add_f32_e32 v7, v7, v23
	v_dual_add_f32 v9, v9, v83 :: v_dual_fma_f32 v13, v240, v136, -v13
	s_delay_alu instid0(VALU_DEP_3) | instskip(NEXT) | instid1(VALU_DEP_3)
	v_dual_fmac_f32 v27, v241, v136 :: v_dual_mul_f32 v31, v252, v141
	v_dual_mul_f32 v33, v254, v143 :: v_dual_add_f32 v7, v7, v25
	s_delay_alu instid0(VALU_DEP_3) | instskip(SKIP_1) | instid1(VALU_DEP_4)
	v_dual_add_f32 v9, v9, v11 :: v_dual_fmac_f32 v29, v243, v138
	v_fma_f32 v15, v242, v138, -v15
	v_dual_fmac_f32 v31, v253, v140 :: v_dual_fma_f32 v17, v252, v140, -v17
	s_delay_alu instid0(VALU_DEP_3)
	v_dual_add_f32 v7, v7, v27 :: v_dual_add_f32 v9, v9, v13
	s_wait_loadcnt_dscnt 0x110c
	s_set_vgpr_msb 1                        ;  msbs: dst=0 src0=1 src1=0 src2=0
	v_dual_mul_f32 v35, v0 /*v256*/, v145 :: v_dual_mul_f32 v37, v2 /*v258*/, v147
	v_dual_mul_f32 v21, v1 /*v257*/, v145 :: v_dual_mul_f32 v23, v3 /*v259*/, v147
	s_set_vgpr_msb 0                        ;  msbs: dst=0 src0=0 src1=0 src2=0
	v_dual_add_f32 v7, v7, v29 :: v_dual_add_f32 v9, v9, v15
	v_dual_fmac_f32 v33, v255, v142 :: v_dual_fma_f32 v19, v254, v142, -v19
	s_set_vgpr_msb 1                        ;  msbs: dst=0 src0=1 src1=0 src2=0
	v_dual_fmac_f32 v35, v1 /*v257*/, v144 :: v_dual_fma_f32 v21, v0 /*v256*/, v144, -v21
	s_set_vgpr_msb 0                        ;  msbs: dst=0 src0=0 src1=0 src2=0
	v_dual_add_f32 v7, v7, v31 :: v_dual_add_f32 v9, v9, v17
	s_wait_loadcnt_dscnt 0x100b
	s_set_vgpr_msb 1                        ;  msbs: dst=0 src0=1 src1=0 src2=0
	v_dual_mul_f32 v11, v5 /*v261*/, v149 :: v_dual_mul_f32 v13, v7 /*v263*/, v151
	v_fmac_f32_e32 v37, v3 /*v259*/, v146
	s_set_vgpr_msb 0                        ;  msbs: dst=0 src0=0 src1=0 src2=0
	v_dual_add_f32 v7, v7, v33 :: v_dual_add_f32 v9, v9, v19
	s_wait_loadcnt_dscnt 0xe09
	s_set_vgpr_msb 1                        ;  msbs: dst=0 src0=1 src1=0 src2=0
	v_dual_mul_f32 v19, v13 /*v269*/, v157 :: v_dual_fma_f32 v23, v2 /*v258*/, v146, -v23
	v_dual_mul_f32 v39, v4 /*v260*/, v149 :: v_dual_mul_f32 v41, v6 /*v262*/, v151
	s_set_vgpr_msb 0                        ;  msbs: dst=0 src0=0 src1=0 src2=0
	v_dual_add_f32 v7, v7, v35 :: v_dual_add_f32 v9, v9, v21
	s_set_vgpr_msb 1                        ;  msbs: dst=0 src0=1 src1=0 src2=0
	v_dual_mul_f32 v21, v15 /*v271*/, v159 :: v_dual_fma_f32 v11, v4 /*v260*/, v148, -v11
	v_dual_mul_f32 v15, v9 /*v265*/, v153 :: v_dual_mul_f32 v17, v11 /*v267*/, v155
	s_set_vgpr_msb 0                        ;  msbs: dst=0 src0=0 src1=0 src2=0
	v_dual_add_f32 v7, v7, v37 :: v_dual_add_f32 v9, v9, v23
	s_set_vgpr_msb 1                        ;  msbs: dst=0 src0=1 src1=0 src2=0
	v_dual_fmac_f32 v39, v5 /*v261*/, v148 :: v_dual_fmac_f32 v41, v7 /*v263*/, v150
	s_wait_loadcnt_dscnt 0xd08
	v_dual_mul_f32 v23, v17 /*v273*/, v161 :: v_dual_fma_f32 v13, v6 /*v262*/, v150, -v13
	s_set_vgpr_msb 0                        ;  msbs: dst=0 src0=0 src1=0 src2=0
	v_add_f32_e32 v9, v9, v11
	s_set_vgpr_msb 1                        ;  msbs: dst=0 src0=1 src1=0 src2=0
	v_dual_mul_f32 v43, v8 /*v264*/, v153 :: v_dual_mul_f32 v45, v10 /*v266*/, v155
	v_mul_f32_e32 v11, v19 /*v275*/, v163
	s_set_vgpr_msb 0                        ;  msbs: dst=0 src0=0 src1=0 src2=0
	v_dual_add_f32 v7, v7, v39 :: v_dual_add_f32 v9, v9, v13
	s_wait_loadcnt_dscnt 0xc07
	s_set_vgpr_msb 1                        ;  msbs: dst=0 src0=1 src1=0 src2=0
	v_dual_fma_f32 v15, v8 /*v264*/, v152, -v15 :: v_dual_mul_f32 v13, v21 /*v277*/, v165
	v_dual_fmac_f32 v43, v9 /*v265*/, v152 :: v_dual_fmac_f32 v45, v11 /*v267*/, v154
	s_set_vgpr_msb 0                        ;  msbs: dst=0 src0=0 src1=0 src2=0
	v_add_f32_e32 v7, v7, v41
	s_set_vgpr_msb 1                        ;  msbs: dst=0 src0=1 src1=0 src2=0
	v_fma_f32 v17, v10 /*v266*/, v154, -v17
	s_set_vgpr_msb 0                        ;  msbs: dst=0 src0=0 src1=0 src2=0
	v_add_f32_e32 v9, v9, v15
	s_set_vgpr_msb 1                        ;  msbs: dst=0 src0=1 src1=0 src2=0
	v_dual_mul_f32 v47, v12 /*v268*/, v157 :: v_dual_mul_f32 v49, v14 /*v270*/, v159
	v_mul_f32_e32 v15, v23 /*v279*/, v167
	s_set_vgpr_msb 0                        ;  msbs: dst=0 src0=0 src1=0 src2=0
	v_dual_add_f32 v7, v7, v43 :: v_dual_add_f32 v9, v9, v17
	s_wait_loadcnt_dscnt 0xb06
	s_set_vgpr_msb 1                        ;  msbs: dst=0 src0=1 src1=0 src2=0
	v_dual_fma_f32 v19, v12 /*v268*/, v156, -v19 :: v_dual_mul_f32 v17, v25 /*v281*/, v169
	v_dual_fmac_f32 v47, v13 /*v269*/, v156 :: v_dual_fmac_f32 v49, v15 /*v271*/, v158
	s_set_vgpr_msb 0                        ;  msbs: dst=0 src0=0 src1=0 src2=0
	v_add_f32_e32 v7, v7, v45
	s_set_vgpr_msb 1                        ;  msbs: dst=0 src0=1 src1=0 src2=0
	v_fma_f32 v21, v14 /*v270*/, v158, -v21
	s_set_vgpr_msb 0                        ;  msbs: dst=0 src0=0 src1=0 src2=0
	v_add_f32_e32 v9, v9, v19
	s_set_vgpr_msb 1                        ;  msbs: dst=0 src0=1 src1=0 src2=0
	v_dual_mul_f32 v51, v16 /*v272*/, v161 :: v_dual_mul_f32 v53, v18 /*v274*/, v163
	v_mul_f32_e32 v19, v27 /*v283*/, v171
	s_set_vgpr_msb 0                        ;  msbs: dst=0 src0=0 src1=0 src2=0
	v_dual_add_f32 v7, v7, v47 :: v_dual_add_f32 v9, v9, v21
	s_wait_loadcnt_dscnt 0xa05
	s_set_vgpr_msb 1                        ;  msbs: dst=0 src0=1 src1=0 src2=0
	v_dual_fma_f32 v23, v16 /*v272*/, v160, -v23 :: v_dual_mul_f32 v21, v29 /*v285*/, v173
	v_dual_mul_f32 v55, v20 /*v276*/, v165 :: v_dual_mul_f32 v57, v22 /*v278*/, v167
	v_dual_mul_f32 v59, v24 /*v280*/, v169 :: v_dual_mul_f32 v61, v26 /*v282*/, v171
	v_dual_fmac_f32 v51, v17 /*v273*/, v160 :: v_dual_fmac_f32 v53, v19 /*v275*/, v162
	v_fma_f32 v11, v18 /*v274*/, v162, -v11
	s_set_vgpr_msb 0                        ;  msbs: dst=0 src0=0 src1=0 src2=0
	v_dual_add_f32 v9, v9, v23 :: v_dual_add_f32 v7, v7, v49
	s_set_vgpr_msb 1                        ;  msbs: dst=0 src0=1 src1=0 src2=0
	v_dual_mul_f32 v23, v31 /*v287*/, v175 :: v_dual_fmac_f32 v55, v21 /*v277*/, v164
	v_fma_f32 v13, v20 /*v276*/, v164, -v13
	v_dual_fmac_f32 v57, v23 /*v279*/, v166 :: v_dual_fmac_f32 v59, v25 /*v281*/, v168
	s_set_vgpr_msb 0                        ;  msbs: dst=0 src0=0 src1=0 src2=0
	v_add_f32_e32 v9, v9, v11
	s_set_vgpr_msb 1                        ;  msbs: dst=0 src0=1 src1=0 src2=0
	v_dual_mul_f32 v63, v28 /*v284*/, v173 :: v_dual_mul_f32 v65, v30 /*v286*/, v175
	s_set_vgpr_msb 0                        ;  msbs: dst=0 src0=0 src1=0 src2=0
	v_add_f32_e32 v7, v7, v51
	s_wait_loadcnt_dscnt 0x904
	s_set_vgpr_msb 1                        ;  msbs: dst=0 src0=1 src1=0 src2=0
	v_dual_mul_f32 v11, v33 /*v289*/, v177 :: v_dual_fma_f32 v15, v22 /*v278*/, v166, -v15
	s_set_vgpr_msb 0                        ;  msbs: dst=0 src0=0 src1=0 src2=0
	v_add_f32_e32 v9, v9, v13
	s_set_vgpr_msb 1                        ;  msbs: dst=0 src0=1 src1=0 src2=0
	v_dual_mul_f32 v13, v35 /*v291*/, v179 :: v_dual_fma_f32 v17, v24 /*v280*/, v168, -v17
	s_set_vgpr_msb 0                        ;  msbs: dst=0 src0=0 src1=0 src2=0
	v_add_f32_e32 v7, v7, v53
	s_set_vgpr_msb 1                        ;  msbs: dst=0 src0=1 src1=0 src2=0
	v_dual_fmac_f32 v61, v27 /*v283*/, v170 :: v_dual_fmac_f32 v63, v29 /*v285*/, v172
	s_set_vgpr_msb 0                        ;  msbs: dst=0 src0=0 src1=0 src2=0
	v_add_f32_e32 v9, v9, v15
	s_set_vgpr_msb 1                        ;  msbs: dst=0 src0=1 src1=0 src2=0
	v_dual_mul_f32 v67, v32 /*v288*/, v177 :: v_dual_mul_f32 v69, v34 /*v290*/, v179
	s_set_vgpr_msb 0                        ;  msbs: dst=0 src0=0 src1=0 src2=0
	v_add_f32_e32 v7, v7, v55
	s_wait_loadcnt_dscnt 0x803
	s_set_vgpr_msb 1                        ;  msbs: dst=0 src0=1 src1=0 src2=0
	v_dual_mul_f32 v15, v37 /*v293*/, v181 :: v_dual_fma_f32 v19, v26 /*v282*/, v170, -v19
	s_set_vgpr_msb 0                        ;  msbs: dst=0 src0=0 src1=0 src2=0
	v_add_f32_e32 v9, v9, v17
	s_set_vgpr_msb 1                        ;  msbs: dst=0 src0=1 src1=0 src2=0
	v_dual_mul_f32 v17, v39 /*v295*/, v183 :: v_dual_fma_f32 v21, v28 /*v284*/, v172, -v21
	s_set_vgpr_msb 0                        ;  msbs: dst=0 src0=0 src1=0 src2=0
	v_add_f32_e32 v7, v7, v57
	s_set_vgpr_msb 1                        ;  msbs: dst=0 src0=1 src1=0 src2=0
	v_dual_fmac_f32 v65, v31 /*v287*/, v174 :: v_dual_fmac_f32 v67, v33 /*v289*/, v176
	s_set_vgpr_msb 0                        ;  msbs: dst=0 src0=0 src1=0 src2=0
	v_add_f32_e32 v9, v9, v19
	s_set_vgpr_msb 1                        ;  msbs: dst=0 src0=1 src1=0 src2=0
	v_dual_mul_f32 v71, v36 /*v292*/, v181 :: v_dual_mul_f32 v73, v38 /*v294*/, v183
	s_set_vgpr_msb 0                        ;  msbs: dst=0 src0=0 src1=0 src2=0
	v_add_f32_e32 v7, v7, v59
	s_wait_loadcnt_dscnt 0x702
	s_set_vgpr_msb 1                        ;  msbs: dst=0 src0=1 src1=0 src2=0
	v_dual_mul_f32 v19, v41 /*v297*/, v185 :: v_dual_fma_f32 v23, v30 /*v286*/, v174, -v23
	s_set_vgpr_msb 0                        ;  msbs: dst=0 src0=0 src1=0 src2=0
	v_add_f32_e32 v9, v9, v21
	s_set_vgpr_msb 1                        ;  msbs: dst=0 src0=1 src1=0 src2=0
	v_dual_mul_f32 v75, v40 /*v296*/, v185 :: v_dual_mul_f32 v77, v42 /*v298*/, v187
	s_set_vgpr_msb 0                        ;  msbs: dst=0 src0=0 src1=0 src2=0
	v_add_f32_e32 v7, v7, v61
	s_set_vgpr_msb 1                        ;  msbs: dst=0 src0=1 src1=0 src2=0
	v_dual_mul_f32 v21, v43 /*v299*/, v187 :: v_dual_fma_f32 v11, v32 /*v288*/, v176, -v11
	v_dual_fmac_f32 v69, v35 /*v291*/, v178 :: v_dual_fmac_f32 v71, v37 /*v293*/, v180
	s_set_vgpr_msb 0                        ;  msbs: dst=0 src0=0 src1=0 src2=0
	v_add_f32_e32 v9, v9, v23
	s_wait_loadcnt_dscnt 0x601
	s_set_vgpr_msb 1                        ;  msbs: dst=0 src0=1 src1=0 src2=0
	v_dual_mul_f32 v23, v45 /*v301*/, v189 :: v_dual_fma_f32 v13, v34 /*v290*/, v178, -v13
	v_dual_fmac_f32 v73, v39 /*v295*/, v182 :: v_dual_fmac_f32 v75, v41 /*v297*/, v184
	s_set_vgpr_msb 0                        ;  msbs: dst=0 src0=0 src1=0 src2=0
	v_add_f32_e32 v9, v9, v11
	v_add_f32_e32 v7, v7, v63
	s_set_vgpr_msb 1                        ;  msbs: dst=0 src0=1 src1=0 src2=0
	v_dual_mul_f32 v11, v47 /*v303*/, v191 :: v_dual_fma_f32 v15, v36 /*v292*/, v180, -v15
	v_fma_f32 v17, v38 /*v294*/, v182, -v17
	s_set_vgpr_msb 0                        ;  msbs: dst=0 src0=0 src1=0 src2=0
	v_add_f32_e32 v9, v9, v13
	v_add_f32_e32 v7, v7, v65
	s_wait_loadcnt_dscnt 0x500
	s_set_vgpr_msb 1                        ;  msbs: dst=0 src0=1 src1=0 src2=0
	v_mul_f32_e32 v13, v49 /*v305*/, v193
	s_wait_loadcnt 0x4
	s_set_vgpr_msb 0                        ;  msbs: dst=0 src0=0 src1=0 src2=0
	v_mov_b32_e32 v118, v199
	s_set_vgpr_msb 1                        ;  msbs: dst=0 src0=1 src1=0 src2=0
	v_dual_mul_f32 v79, v44 /*v300*/, v189 :: v_dual_mul_f32 v81, v46 /*v302*/, v191
	s_set_vgpr_msb 0                        ;  msbs: dst=0 src0=0 src1=0 src2=0
	v_add_f32_e32 v9, v9, v15
	v_add_f32_e32 v7, v7, v67
	s_set_vgpr_msb 1                        ;  msbs: dst=0 src0=1 src1=0 src2=0
	v_dual_mul_f32 v15, v51 /*v307*/, v195 :: v_dual_fma_f32 v19, v40 /*v296*/, v184, -v19
	v_dual_fmac_f32 v77, v43 /*v299*/, v186 :: v_dual_fmac_f32 v79, v45 /*v301*/, v188
	s_set_vgpr_msb 0                        ;  msbs: dst=0 src0=0 src1=0 src2=0
	v_add_f32_e32 v9, v9, v17
	v_add_f32_e32 v7, v7, v69
	s_set_vgpr_msb 1                        ;  msbs: dst=0 src0=1 src1=0 src2=0
	v_fma_f32 v17, v42 /*v298*/, v186, -v21
	s_set_vgpr_msb 0x41                     ;  msbs: dst=1 src0=1 src1=0 src2=0
	v_dual_mul_f32 v63 /*v319*/, v48 /*v304*/, v193 :: v_dual_mul_f32 v65 /*v321*/, v50 /*v306*/, v195
	s_set_vgpr_msb 0                        ;  msbs: dst=0 src0=0 src1=0 src2=0
	v_add_f32_e32 v9, v9, v19
	s_set_vgpr_msb 1                        ;  msbs: dst=0 src0=1 src1=0 src2=0
	v_fma_f32 v19, v44 /*v300*/, v188, -v23
	s_set_vgpr_msb 0                        ;  msbs: dst=0 src0=0 src1=0 src2=0
	v_add_f32_e32 v7, v7, v71
	s_set_vgpr_msb 1                        ;  msbs: dst=0 src0=1 src1=0 src2=0
	v_dual_fmac_f32 v81, v47 /*v303*/, v190 :: v_dual_fma_f32 v11, v46 /*v302*/, v190, -v11
	s_set_vgpr_msb 0                        ;  msbs: dst=0 src0=0 src1=0 src2=0
	v_add_f32_e32 v9, v9, v17
	v_pk_mul_f32 v[116:117], v[228:229], v[196:197] op_sel:[1,1] op_sel_hi:[0,1]
	v_add_f32_e32 v7, v7, v73
	s_wait_loadcnt 0x3
	v_mov_b32_e32 v122, v203
	s_set_vgpr_msb 0x41                     ;  msbs: dst=1 src0=1 src1=0 src2=0
	v_dual_fmac_f32 v63 /*v319*/, v49 /*v305*/, v192 :: v_dual_fmac_f32 v65 /*v321*/, v51 /*v307*/, v194
	s_set_vgpr_msb 0                        ;  msbs: dst=0 src0=0 src1=0 src2=0
	v_add_f32_e32 v9, v9, v19
	v_add_f32_e32 v7, v7, v75
	s_set_vgpr_msb 0x41                     ;  msbs: dst=1 src0=1 src1=0 src2=0
	v_dual_fma_f32 v62 /*v318*/, v48 /*v304*/, v192, -v13 :: v_dual_fma_f32 v64 /*v320*/, v50 /*v306*/, v194, -v15
	s_set_vgpr_msb 0                        ;  msbs: dst=0 src0=0 src1=0 src2=0
	v_pk_fma_f32 v[126:127], v[228:229], v[196:197], v[116:117] op_sel_hi:[1,0,1]
	v_dual_add_f32 v124, v9, v11 :: v_dual_add_f32 v7, v7, v77
	s_set_vgpr_msb 1                        ;  msbs: dst=0 src0=1 src1=0 src2=0
	v_pk_mul_f32 v[118:119], v[54:55] /*v[310:311]*/, v[118:119] op_sel_hi:[1,0]
	s_set_vgpr_msb 0                        ;  msbs: dst=0 src0=0 src1=0 src2=0
	v_pk_fma_f32 v[116:117], v[228:229], v[196:197], v[116:117] neg_lo:[0,0,1] neg_hi:[0,0,1]
	v_pk_mul_f32 v[120:121], v[232:233], v[200:201] op_sel:[1,1] op_sel_hi:[0,1]
	v_mov_b32_e32 v117, v127
	v_add_f32_e32 v7, v7, v79
	v_pk_fma_f32 v[126:127], v[230:231], v[198:199], v[118:119] op_sel_hi:[1,0,1]
	v_pk_fma_f32 v[118:119], v[230:231], v[198:199], v[118:119] neg_lo:[0,0,1] neg_hi:[0,0,1]
	v_pk_fma_f32 v[130:131], v[232:233], v[200:201], v[120:121] op_sel_hi:[1,0,1]
	s_set_vgpr_msb 1                        ;  msbs: dst=0 src0=1 src1=0 src2=0
	v_pk_mul_f32 v[122:123], v[56:57] /*v[312:313]*/, v[122:123] op_sel_hi:[1,0]
	s_set_vgpr_msb 0                        ;  msbs: dst=0 src0=0 src1=0 src2=0
	v_add_f32_e32 v125, v7, v81
	v_mov_b32_e32 v119, v127
	s_wait_loadcnt 0x2
	v_pk_mul_f32 v[128:129], v[244:245], v[204:205] op_sel:[1,1] op_sel_hi:[0,1]
	v_pk_fma_f32 v[120:121], v[232:233], v[200:201], v[120:121] neg_lo:[0,0,1] neg_hi:[0,0,1]
	v_mov_b32_e32 v121, v131
	s_set_vgpr_msb 4                        ;  msbs: dst=0 src0=0 src1=1 src2=0
	v_pk_add_f32 v[124:125], v[124:125], v[62:63] /*v[318:319]*/
	s_set_vgpr_msb 0                        ;  msbs: dst=0 src0=0 src1=0 src2=0
	v_pk_fma_f32 v[126:127], v[234:235], v[202:203], v[122:123] op_sel_hi:[1,0,1]
	v_pk_fma_f32 v[122:123], v[234:235], v[202:203], v[122:123] neg_lo:[0,0,1] neg_hi:[0,0,1]
	s_set_vgpr_msb 4                        ;  msbs: dst=0 src0=0 src1=1 src2=0
	v_pk_add_f32 v[124:125], v[124:125], v[64:65] /*v[320:321]*/
	s_set_vgpr_msb 0                        ;  msbs: dst=0 src0=0 src1=0 src2=0
	s_delay_alu instid0(VALU_DEP_1) | instskip(SKIP_1) | instid1(VALU_DEP_2)
	v_pk_add_f32 v[116:117], v[124:125], v[116:117]
	v_mov_b32_e32 v124, v207
	v_pk_add_f32 v[116:117], v[116:117], v[118:119]
	v_pk_fma_f32 v[118:119], v[244:245], v[204:205], v[128:129] op_sel_hi:[1,0,1]
	s_set_vgpr_msb 1                        ;  msbs: dst=0 src0=1 src1=0 src2=0
	s_delay_alu instid0(VALU_DEP_3)
	v_pk_mul_f32 v[124:125], v[58:59] /*v[314:315]*/, v[124:125] op_sel_hi:[1,0]
	s_set_vgpr_msb 0                        ;  msbs: dst=0 src0=0 src1=0 src2=0
	v_mov_b32_e32 v123, v127
	v_pk_fma_f32 v[126:127], v[244:245], v[204:205], v[128:129] neg_lo:[0,0,1] neg_hi:[0,0,1]
	v_pk_add_f32 v[116:117], v[116:117], v[120:121]
	v_mov_b32_e32 v127, v119
	v_pk_fma_f32 v[118:119], v[246:247], v[206:207], v[124:125] op_sel_hi:[1,0,1]
	s_wait_loadcnt 0x1
	v_pk_mul_f32 v[120:121], v[248:249], v[208:209] op_sel:[1,1] op_sel_hi:[0,1]
	v_mov_b32_e32 v118, v211
	v_pk_add_f32 v[116:117], v[116:117], v[122:123]
	v_pk_fma_f32 v[124:125], v[246:247], v[206:207], v[124:125] neg_lo:[0,0,1] neg_hi:[0,0,1]
	v_mov_b32_e32 v125, v119
	v_pk_fma_f32 v[122:123], v[248:249], v[208:209], v[120:121] op_sel_hi:[1,0,1]
	s_set_vgpr_msb 1                        ;  msbs: dst=0 src0=1 src1=0 src2=0
	v_pk_mul_f32 v[118:119], v[60:61] /*v[316:317]*/, v[118:119] op_sel_hi:[1,0]
	s_set_vgpr_msb 0                        ;  msbs: dst=0 src0=0 src1=0 src2=0
	v_pk_add_f32 v[116:117], v[116:117], v[126:127]
	v_pk_fma_f32 v[120:121], v[248:249], v[208:209], v[120:121] neg_lo:[0,0,1] neg_hi:[0,0,1]
	v_mov_b32_e32 v121, v123
	v_pk_fma_f32 v[122:123], v[250:251], v[210:211], v[118:119] op_sel_hi:[1,0,1]
	s_delay_alu instid0(VALU_DEP_4) | instskip(SKIP_1) | instid1(VALU_DEP_3)
	v_pk_add_f32 v[116:117], v[116:117], v[124:125]
	v_pk_fma_f32 v[118:119], v[250:251], v[210:211], v[118:119] neg_lo:[0,0,1] neg_hi:[0,0,1]
	v_mov_b32_e32 v119, v123
	s_delay_alu instid0(VALU_DEP_3) | instskip(NEXT) | instid1(VALU_DEP_1)
	v_pk_add_f32 v[116:117], v[116:117], v[120:121]
	v_pk_add_f32 v[116:117], v[116:117], v[118:119]
	s_wait_loadcnt 0x0
	s_set_vgpr_msb 1                        ;  msbs: dst=0 src0=1 src1=0 src2=0
	s_delay_alu instid0(VALU_DEP_1)
	v_pk_add_f32 v[116:117], v[52:53] /*v[308:309]*/, v[116:117] neg_lo:[0,1] neg_hi:[0,1]
	scratch_store_b64 off, v[116:117], off offset:64
	s_wait_xcnt 0x0
	v_cmpx_lt_u32_e32 7, v0
	s_set_vgpr_msb 0                        ;  msbs: dst=0 src0=0 src1=0 src2=0
	s_cbranch_execz .LBB56_341
; %bb.340:
	scratch_load_b64 v[116:117], off, off offset:56
	v_mov_b64_e32 v[118:119], 0
	scratch_store_b64 off, v[118:119], off offset:56
	s_wait_loadcnt 0x0
	ds_store_b64 v1, v[116:117]
.LBB56_341:
	s_wait_xcnt 0x0
	s_or_b32 exec_lo, exec_lo, s0
	s_wait_storecnt_dscnt 0x0
	s_barrier_signal -1
	s_barrier_wait -1
	s_clause 0x1a
	scratch_load_b128 v[116:119], off, off offset:64
	scratch_load_b128 v[120:123], off, off offset:80
	scratch_load_b128 v[124:127], off, off offset:96
	scratch_load_b128 v[128:131], off, off offset:112
	scratch_load_b128 v[132:135], off, off offset:128
	scratch_load_b128 v[136:139], off, off offset:144
	scratch_load_b128 v[140:143], off, off offset:160
	scratch_load_b128 v[144:147], off, off offset:176
	scratch_load_b128 v[148:151], off, off offset:192
	scratch_load_b128 v[152:155], off, off offset:208
	scratch_load_b128 v[156:159], off, off offset:224
	scratch_load_b128 v[160:163], off, off offset:240
	scratch_load_b128 v[164:167], off, off offset:256
	scratch_load_b128 v[168:171], off, off offset:272
	scratch_load_b128 v[172:175], off, off offset:288
	scratch_load_b128 v[176:179], off, off offset:304
	scratch_load_b128 v[180:183], off, off offset:320
	scratch_load_b128 v[184:187], off, off offset:336
	scratch_load_b128 v[188:191], off, off offset:352
	scratch_load_b128 v[192:195], off, off offset:368
	scratch_load_b128 v[196:199], off, off offset:384
	scratch_load_b128 v[200:203], off, off offset:400
	scratch_load_b128 v[204:207], off, off offset:416
	scratch_load_b128 v[208:211], off, off offset:432
	s_set_vgpr_msb 64                       ;  msbs: dst=1 src0=0 src1=0 src2=0
	scratch_load_b64 v[52:53] /*v[308:309]*/, off, off offset:448
	scratch_load_b64 v[54:55] /*v[310:311]*/, off, off offset:56
	s_set_vgpr_msb 0                        ;  msbs: dst=0 src0=0 src1=0 src2=0
	v_mov_b32_e32 v7, 0
	ds_load_b128 v[212:215], v7 offset:528
	ds_load_b128 v[216:219], v7 offset:544
	;; [unrolled: 1-line block ×11, first 2 shown]
	s_set_vgpr_msb 64                       ;  msbs: dst=1 src0=0 src1=0 src2=0
	ds_load_b128 v[0:3] /*v[256:259]*/, v7 offset:896
	ds_load_b128 v[4:7] /*v[260:263]*/, v7 offset:656
	;; [unrolled: 1-line block ×13, first 2 shown]
	ds_load_b64 v[56:57] /*v[312:313]*/, v7 offset:912
	s_wait_dscnt 0x14
	v_dual_mov_b32 v58 /*v314*/, v231 :: v_dual_mov_b32 v59 /*v315*/, v230
	s_wait_dscnt 0x11
	v_dual_mov_b32 v60 /*v316*/, v243 :: v_dual_mov_b32 v61 /*v317*/, v242
	;; [unrolled: 2-line block ×3, first 2 shown]
	s_wait_dscnt 0xd
	s_set_vgpr_msb 0x41                     ;  msbs: dst=1 src0=1 src1=0 src2=0
	v_dual_mov_b32 v64 /*v320*/, v3 /*v259*/ :: v_dual_mov_b32 v65 /*v321*/, v2 /*v258*/
	s_mov_b32 s0, exec_lo
	s_wait_loadcnt 0x19
	s_set_vgpr_msb 0                        ;  msbs: dst=0 src0=0 src1=0 src2=0
	v_dual_mul_f32 v9, v212, v117 :: v_dual_mul_f32 v11, v214, v119
	s_wait_loadcnt 0x18
	v_mul_f32_e32 v13, v216, v121
	v_dual_mul_f32 v87, v213, v117 :: v_dual_mul_f32 v89, v215, v119
	v_mul_f32_e32 v91, v217, v121
	s_wait_loadcnt 0x12
	v_dual_fmac_f32 v9, v213, v116 :: v_dual_mul_f32 v39, v254, v147
	s_delay_alu instid0(VALU_DEP_3) | instskip(SKIP_1) | instid1(VALU_DEP_3)
	v_dual_fma_f32 v87, v212, v116, -v87 :: v_dual_mul_f32 v101, v227, v131
	v_dual_fma_f32 v89, v214, v118, -v89 :: v_dual_fmac_f32 v11, v215, v118
	v_dual_add_f32 v9, 0, v9 :: v_dual_mul_f32 v15, v218, v123
	s_delay_alu instid0(VALU_DEP_3)
	v_dual_mul_f32 v17, v220, v125 :: v_dual_add_f32 v87, 0, v87
	v_dual_mul_f32 v93, v219, v123 :: v_dual_mul_f32 v95, v221, v125
	v_dual_mul_f32 v103, v233, v133 :: v_dual_fma_f32 v91, v216, v120, -v91
	s_wait_loadcnt_dscnt 0x601
	s_set_vgpr_msb 1                        ;  msbs: dst=0 src0=1 src1=0 src2=0
	v_mul_f32_e32 v85, v48 /*v304*/, v193
	s_set_vgpr_msb 0                        ;  msbs: dst=0 src0=0 src1=0 src2=0
	v_fmac_f32_e32 v13, v217, v120
	v_dual_add_f32 v9, v9, v11 :: v_dual_fmac_f32 v15, v219, v122
	v_add_f32_e32 v11, v87, v89
	v_dual_mul_f32 v87, v235, v135 :: v_dual_fma_f32 v89, v218, v122, -v93
	s_delay_alu instid0(VALU_DEP_3) | instskip(NEXT) | instid1(VALU_DEP_3)
	v_dual_add_f32 v9, v9, v13 :: v_dual_mul_f32 v19, v222, v127
	v_dual_mul_f32 v21, v224, v129 :: v_dual_add_f32 v11, v11, v91
	v_dual_mul_f32 v97, v223, v127 :: v_dual_mul_f32 v99, v225, v129
	v_dual_mul_f32 v13, v237, v137 :: v_dual_fma_f32 v91, v220, v124, -v95
	s_delay_alu instid0(VALU_DEP_3) | instskip(SKIP_1) | instid1(VALU_DEP_4)
	v_dual_fmac_f32 v17, v221, v124 :: v_dual_add_f32 v11, v11, v89
	v_dual_add_f32 v9, v9, v15 :: v_dual_fmac_f32 v19, v223, v126
	v_dual_mul_f32 v15, v239, v139 :: v_dual_fma_f32 v89, v222, v126, -v97
	s_delay_alu instid0(VALU_DEP_2) | instskip(SKIP_2) | instid1(VALU_DEP_3)
	v_dual_add_f32 v11, v11, v91 :: v_dual_add_f32 v9, v9, v17
	v_dual_mul_f32 v23, v226, v131 :: v_dual_mul_f32 v25, v232, v133
	v_dual_mul_f32 v17, v249, v141 :: v_dual_fma_f32 v91, v224, v128, -v99
	v_dual_fmac_f32 v21, v225, v128 :: v_dual_add_f32 v11, v11, v89
	s_delay_alu instid0(VALU_DEP_3) | instskip(SKIP_1) | instid1(VALU_DEP_2)
	v_dual_add_f32 v9, v9, v19 :: v_dual_fmac_f32 v23, v227, v130
	v_dual_mul_f32 v19, v251, v143 :: v_dual_fma_f32 v89, v226, v130, -v101
	v_dual_add_f32 v11, v11, v91 :: v_dual_add_f32 v9, v9, v21
	v_dual_mul_f32 v27, v234, v135 :: v_dual_mul_f32 v29, v236, v137
	v_dual_mul_f32 v21, v253, v145 :: v_dual_fma_f32 v91, v232, v132, -v103
	s_delay_alu instid0(VALU_DEP_3) | instskip(NEXT) | instid1(VALU_DEP_3)
	v_dual_fmac_f32 v25, v233, v132 :: v_dual_add_f32 v11, v11, v89
	v_dual_add_f32 v9, v9, v23 :: v_dual_fmac_f32 v27, v235, v134
	v_dual_mul_f32 v23, v255, v147 :: v_dual_fma_f32 v87, v234, v134, -v87
	s_delay_alu instid0(VALU_DEP_2) | instskip(SKIP_1) | instid1(VALU_DEP_2)
	v_dual_add_f32 v11, v11, v91 :: v_dual_add_f32 v9, v9, v25
	v_dual_mul_f32 v31, v238, v139 :: v_dual_mul_f32 v33, v248, v141
	v_dual_fmac_f32 v29, v237, v136 :: v_dual_add_f32 v11, v11, v87
	s_delay_alu instid0(VALU_DEP_3) | instskip(NEXT) | instid1(VALU_DEP_3)
	v_dual_fma_f32 v13, v236, v136, -v13 :: v_dual_add_f32 v9, v9, v27
	v_fmac_f32_e32 v31, v239, v138
	v_fma_f32 v15, v238, v138, -v15
	v_dual_mul_f32 v35, v250, v143 :: v_dual_mul_f32 v37, v252, v145
	s_delay_alu instid0(VALU_DEP_4)
	v_add_f32_e32 v9, v9, v29
	v_dual_add_f32 v11, v11, v13 :: v_dual_fmac_f32 v33, v249, v140
	v_fma_f32 v17, v248, v140, -v17
	s_set_vgpr_msb 1                        ;  msbs: dst=0 src0=1 src1=0 src2=0
	v_dual_mul_f32 v41, v4 /*v260*/, v149 :: v_dual_mul_f32 v43, v6 /*v262*/, v151
	s_set_vgpr_msb 0                        ;  msbs: dst=0 src0=0 src1=0 src2=0
	v_add_f32_e32 v9, v9, v31
	v_add_f32_e32 v11, v11, v15
	v_fmac_f32_e32 v35, v251, v142
	v_fma_f32 v19, v250, v142, -v19
	s_set_vgpr_msb 1                        ;  msbs: dst=0 src0=1 src1=0 src2=0
	v_dual_mul_f32 v25, v5 /*v261*/, v149 :: v_dual_mul_f32 v27, v7 /*v263*/, v151
	s_set_vgpr_msb 0                        ;  msbs: dst=0 src0=0 src1=0 src2=0
	v_add_f32_e32 v9, v9, v33
	v_dual_add_f32 v11, v11, v17 :: v_dual_fmac_f32 v37, v253, v144
	v_fma_f32 v21, v252, v144, -v21
	s_set_vgpr_msb 1                        ;  msbs: dst=0 src0=1 src1=0 src2=0
	v_fmac_f32_e32 v41, v5 /*v261*/, v148
	s_set_vgpr_msb 0                        ;  msbs: dst=0 src0=0 src1=0 src2=0
	v_add_f32_e32 v9, v9, v35
	v_add_f32_e32 v11, v11, v19
	v_fmac_f32_e32 v39, v255, v146
	v_fma_f32 v23, v254, v146, -v23
	s_set_vgpr_msb 1                        ;  msbs: dst=0 src0=1 src1=0 src2=0
	v_fma_f32 v25, v4 /*v260*/, v148, -v25
	s_set_vgpr_msb 0                        ;  msbs: dst=0 src0=0 src1=0 src2=0
	v_add_f32_e32 v9, v9, v37
	v_add_f32_e32 v11, v11, v21
	s_set_vgpr_msb 1                        ;  msbs: dst=0 src0=1 src1=0 src2=0
	v_mul_f32_e32 v21, v17 /*v273*/, v161
	v_dual_mul_f32 v45, v8 /*v264*/, v153 :: v_dual_mul_f32 v47, v10 /*v266*/, v155
	v_dual_mul_f32 v13, v9 /*v265*/, v153 :: v_dual_mul_f32 v15, v11 /*v267*/, v155
	s_set_vgpr_msb 0                        ;  msbs: dst=0 src0=0 src1=0 src2=0
	v_add_f32_e32 v11, v11, v23
	v_add_f32_e32 v9, v9, v39
	s_set_vgpr_msb 1                        ;  msbs: dst=0 src0=1 src1=0 src2=0
	v_mul_f32_e32 v23, v19 /*v275*/, v163
	v_fmac_f32_e32 v43, v7 /*v263*/, v150
	v_dual_fma_f32 v27, v6 /*v262*/, v150, -v27 :: v_dual_fmac_f32 v45, v9 /*v265*/, v152
	s_set_vgpr_msb 0                        ;  msbs: dst=0 src0=0 src1=0 src2=0
	v_add_f32_e32 v11, v11, v25
	v_add_f32_e32 v9, v9, v41
	s_set_vgpr_msb 1                        ;  msbs: dst=0 src0=1 src1=0 src2=0
	v_dual_mul_f32 v25, v21 /*v277*/, v165 :: v_dual_fma_f32 v13, v8 /*v264*/, v152, -v13
	v_dual_mul_f32 v49, v12 /*v268*/, v157 :: v_dual_mul_f32 v51, v14 /*v270*/, v159
	s_set_vgpr_msb 0                        ;  msbs: dst=0 src0=0 src1=0 src2=0
	v_add_f32_e32 v11, v11, v27
	s_set_vgpr_msb 1                        ;  msbs: dst=0 src0=1 src1=0 src2=0
	v_mul_f32_e32 v27, v23 /*v279*/, v167
	s_set_vgpr_msb 0                        ;  msbs: dst=0 src0=0 src1=0 src2=0
	v_add_f32_e32 v9, v9, v43
	s_set_vgpr_msb 1                        ;  msbs: dst=0 src0=1 src1=0 src2=0
	v_dual_mul_f32 v17, v13 /*v269*/, v157 :: v_dual_mul_f32 v19, v15 /*v271*/, v159
	v_fmac_f32_e32 v47, v11 /*v267*/, v154
	v_dual_fma_f32 v15, v10 /*v266*/, v154, -v15 :: v_dual_fmac_f32 v49, v13 /*v269*/, v156
	s_set_vgpr_msb 0                        ;  msbs: dst=0 src0=0 src1=0 src2=0
	v_add_f32_e32 v11, v11, v13
	v_add_f32_e32 v9, v9, v45
	s_set_vgpr_msb 1                        ;  msbs: dst=0 src0=1 src1=0 src2=0
	v_dual_mul_f32 v13, v25 /*v281*/, v169 :: v_dual_fma_f32 v17, v12 /*v268*/, v156, -v17
	v_dual_mul_f32 v53, v16 /*v272*/, v161 :: v_dual_mul_f32 v55, v18 /*v274*/, v163
	s_set_vgpr_msb 0                        ;  msbs: dst=0 src0=0 src1=0 src2=0
	v_add_f32_e32 v11, v11, v15
	s_set_vgpr_msb 1                        ;  msbs: dst=0 src0=1 src1=0 src2=0
	v_mul_f32_e32 v15, v27 /*v283*/, v171
	s_set_vgpr_msb 0                        ;  msbs: dst=0 src0=0 src1=0 src2=0
	v_add_f32_e32 v9, v9, v47
	s_set_vgpr_msb 1                        ;  msbs: dst=0 src0=1 src1=0 src2=0
	v_fmac_f32_e32 v51, v15 /*v271*/, v158
	v_dual_fma_f32 v19, v14 /*v270*/, v158, -v19 :: v_dual_fmac_f32 v53, v17 /*v273*/, v160
	s_set_vgpr_msb 0                        ;  msbs: dst=0 src0=0 src1=0 src2=0
	v_add_f32_e32 v11, v11, v17
	v_add_f32_e32 v9, v9, v49
	s_set_vgpr_msb 1                        ;  msbs: dst=0 src0=1 src1=0 src2=0
	v_dual_mul_f32 v17, v29 /*v285*/, v173 :: v_dual_fma_f32 v21, v16 /*v272*/, v160, -v21
	v_dual_mul_f32 v57, v20 /*v276*/, v165 :: v_dual_mul_f32 v59, v22 /*v278*/, v167
	s_set_vgpr_msb 0                        ;  msbs: dst=0 src0=0 src1=0 src2=0
	v_add_f32_e32 v11, v11, v19
	s_set_vgpr_msb 1                        ;  msbs: dst=0 src0=1 src1=0 src2=0
	v_mul_f32_e32 v19, v31 /*v287*/, v175
	s_set_vgpr_msb 0                        ;  msbs: dst=0 src0=0 src1=0 src2=0
	v_add_f32_e32 v9, v9, v51
	s_set_vgpr_msb 1                        ;  msbs: dst=0 src0=1 src1=0 src2=0
	;; [unrolled: 15-line block ×7, first 2 shown]
	v_dual_fmac_f32 v75, v39 /*v295*/, v182 :: v_dual_fmac_f32 v77, v41 /*v297*/, v184
	v_dual_fma_f32 v27, v38 /*v294*/, v182, -v27 :: v_dual_fma_f32 v13, v40 /*v296*/, v184, -v13
	s_set_vgpr_msb 0                        ;  msbs: dst=0 src0=0 src1=0 src2=0
	v_add_f32_e32 v11, v11, v25
	v_add_f32_e32 v9, v9, v73
	s_set_vgpr_msb 1                        ;  msbs: dst=0 src0=1 src1=0 src2=0
	v_dual_mul_f32 v81, v44 /*v300*/, v189 :: v_dual_mul_f32 v83, v46 /*v302*/, v191
	s_wait_loadcnt 0x5
	s_set_vgpr_msb 0                        ;  msbs: dst=0 src0=0 src1=0 src2=0
	v_dual_mul_f32 v25, v229, v197 :: v_dual_add_f32 v11, v11, v27
	v_dual_add_f32 v9, v9, v75 :: v_dual_mov_b32 v116, v199
	s_set_vgpr_msb 1                        ;  msbs: dst=0 src0=1 src1=0 src2=0
	v_dual_fmac_f32 v79, v43 /*v299*/, v186 :: v_dual_fmac_f32 v81, v45 /*v301*/, v188
	v_fma_f32 v15, v42 /*v298*/, v186, -v15
	s_set_vgpr_msb 0                        ;  msbs: dst=0 src0=0 src1=0 src2=0
	v_add_f32_e32 v11, v11, v13
	s_set_vgpr_msb 1                        ;  msbs: dst=0 src0=1 src1=0 src2=0
	v_fma_f32 v13, v44 /*v300*/, v188, -v17
	s_set_vgpr_msb 0                        ;  msbs: dst=0 src0=0 src1=0 src2=0
	v_add_f32_e32 v9, v9, v77
	s_set_vgpr_msb 1                        ;  msbs: dst=0 src0=1 src1=0 src2=0
	v_dual_fmac_f32 v83, v47 /*v303*/, v190 :: v_dual_fmac_f32 v85, v49 /*v305*/, v192
	s_set_vgpr_msb 0                        ;  msbs: dst=0 src0=0 src1=0 src2=0
	v_add_f32_e32 v11, v11, v15
	s_set_vgpr_msb 1                        ;  msbs: dst=0 src0=1 src1=0 src2=0
	v_fma_f32 v15, v46 /*v302*/, v190, -v19
	s_wait_loadcnt 0x4
	s_set_vgpr_msb 0                        ;  msbs: dst=0 src0=0 src1=0 src2=0
	v_dual_add_f32 v9, v9, v79 :: v_dual_mov_b32 v120, v203
	s_set_vgpr_msb 0x41                     ;  msbs: dst=1 src0=1 src1=0 src2=0
	v_dual_mul_f32 v67 /*v323*/, v50 /*v306*/, v195 :: v_dual_fma_f32 v66 /*v322*/, v50 /*v306*/, v194, -v23
	s_set_vgpr_msb 1                        ;  msbs: dst=0 src0=1 src1=0 src2=0
	v_pk_mul_f32 v[116:117], v[58:59] /*v[314:315]*/, v[116:117] op_sel_hi:[1,0]
	s_set_vgpr_msb 0                        ;  msbs: dst=0 src0=0 src1=0 src2=0
	v_add_f32_e32 v9, v9, v81
	v_add_f32_e32 v11, v11, v13
	s_set_vgpr_msb 1                        ;  msbs: dst=0 src0=1 src1=0 src2=0
	v_fma_f32 v13, v48 /*v304*/, v192, -v21
	s_set_vgpr_msb 64                       ;  msbs: dst=1 src0=0 src1=0 src2=0
	v_dual_mul_f32 v69 /*v325*/, v228, v197 :: v_dual_fma_f32 v68 /*v324*/, v228, v196, -v25
	s_set_vgpr_msb 0                        ;  msbs: dst=0 src0=0 src1=0 src2=0
	v_add_f32_e32 v9, v9, v83
	v_add_f32_e32 v11, v11, v15
	s_set_vgpr_msb 0x41                     ;  msbs: dst=1 src0=1 src1=0 src2=0
	v_fmac_f32_e32 v67 /*v323*/, v51 /*v307*/, v194
	s_set_vgpr_msb 0                        ;  msbs: dst=0 src0=0 src1=0 src2=0
	v_pk_fma_f32 v[128:129], v[230:231], v[198:199], v[116:117] op_sel_hi:[1,0,1]
	v_pk_fma_f32 v[116:117], v[230:231], v[198:199], v[116:117] neg_lo:[0,0,1] neg_hi:[0,0,1]
	v_add_f32_e32 v125, v9, v85
	v_add_f32_e32 v124, v11, v13
	v_pk_mul_f32 v[118:119], v[240:241], v[200:201] op_sel:[1,1] op_sel_hi:[0,1]
	s_set_vgpr_msb 64                       ;  msbs: dst=1 src0=0 src1=0 src2=0
	v_fmac_f32_e32 v69 /*v325*/, v229, v196
	s_set_vgpr_msb 0                        ;  msbs: dst=0 src0=0 src1=0 src2=0
	v_mov_b32_e32 v117, v129
	s_set_vgpr_msb 1                        ;  msbs: dst=0 src0=1 src1=0 src2=0
	v_pk_mul_f32 v[120:121], v[60:61] /*v[316:317]*/, v[120:121] op_sel_hi:[1,0]
	s_set_vgpr_msb 4                        ;  msbs: dst=0 src0=0 src1=1 src2=0
	v_pk_add_f32 v[124:125], v[124:125], v[66:67] /*v[322:323]*/
	s_set_vgpr_msb 0                        ;  msbs: dst=0 src0=0 src1=0 src2=0
	v_pk_fma_f32 v[130:131], v[240:241], v[200:201], v[118:119] op_sel_hi:[1,0,1]
	v_pk_fma_f32 v[118:119], v[240:241], v[200:201], v[118:119] neg_lo:[0,0,1] neg_hi:[0,0,1]
	s_wait_loadcnt 0x3
	v_pk_mul_f32 v[122:123], v[244:245], v[204:205] op_sel:[1,1] op_sel_hi:[0,1]
	v_mov_b32_e32 v126, v207
	s_set_vgpr_msb 4                        ;  msbs: dst=0 src0=0 src1=1 src2=0
	v_pk_add_f32 v[124:125], v[124:125], v[68:69] /*v[324:325]*/
	v_mov_b32_e32 v119, v131
	s_set_vgpr_msb 0                        ;  msbs: dst=0 src0=0 src1=0 src2=0
	v_pk_fma_f32 v[130:131], v[242:243], v[202:203], v[120:121] op_sel_hi:[1,0,1]
	v_pk_fma_f32 v[120:121], v[242:243], v[202:203], v[120:121] neg_lo:[0,0,1] neg_hi:[0,0,1]
	s_set_vgpr_msb 1                        ;  msbs: dst=0 src0=1 src1=0 src2=0
	v_pk_mul_f32 v[126:127], v[62:63] /*v[318:319]*/, v[126:127] op_sel_hi:[1,0]
	s_set_vgpr_msb 0                        ;  msbs: dst=0 src0=0 src1=0 src2=0
	v_pk_add_f32 v[116:117], v[124:125], v[116:117]
	v_pk_fma_f32 v[124:125], v[244:245], v[204:205], v[122:123] op_sel_hi:[1,0,1]
	v_mov_b32_e32 v121, v131
	v_pk_fma_f32 v[122:123], v[244:245], v[204:205], v[122:123] neg_lo:[0,0,1] neg_hi:[0,0,1]
	s_wait_loadcnt 0x2
	s_set_vgpr_msb 1                        ;  msbs: dst=0 src0=1 src1=0 src2=0
	v_pk_mul_f32 v[128:129], v[0:1] /*v[256:257]*/, v[208:209] op_sel:[1,1] op_sel_hi:[0,1]
	s_set_vgpr_msb 0                        ;  msbs: dst=0 src0=0 src1=0 src2=0
	v_pk_add_f32 v[116:117], v[116:117], v[118:119]
	v_dual_mov_b32 v118, v211 :: v_dual_mov_b32 v123, v125
	v_pk_fma_f32 v[124:125], v[246:247], v[206:207], v[126:127] op_sel_hi:[1,0,1]
	v_pk_fma_f32 v[126:127], v[246:247], v[206:207], v[126:127] neg_lo:[0,0,1] neg_hi:[0,0,1]
	s_delay_alu instid0(VALU_DEP_4)
	v_pk_add_f32 v[116:117], v[116:117], v[120:121]
	s_set_vgpr_msb 1                        ;  msbs: dst=0 src0=1 src1=0 src2=0
	v_pk_fma_f32 v[120:121], v[0:1] /*v[256:257]*/, v[208:209], v[128:129] op_sel_hi:[1,0,1]
	v_pk_mul_f32 v[118:119], v[64:65] /*v[320:321]*/, v[118:119] op_sel_hi:[1,0]
	s_set_vgpr_msb 0                        ;  msbs: dst=0 src0=0 src1=0 src2=0
	v_mov_b32_e32 v127, v125
	s_wait_loadcnt_dscnt 0x100
	s_set_vgpr_msb 5                        ;  msbs: dst=0 src0=1 src1=1 src2=0
	v_pk_mul_f32 v[124:125], v[56:57] /*v[312:313]*/, v[52:53] /*v[308:309]*/ op_sel:[1,1] op_sel_hi:[0,1]
	s_set_vgpr_msb 0                        ;  msbs: dst=0 src0=0 src1=0 src2=0
	v_pk_add_f32 v[116:117], v[116:117], v[122:123]
	s_set_vgpr_msb 1                        ;  msbs: dst=0 src0=1 src1=0 src2=0
	v_pk_fma_f32 v[122:123], v[0:1] /*v[256:257]*/, v[208:209], v[128:129] neg_lo:[0,0,1] neg_hi:[0,0,1]
	s_set_vgpr_msb 0                        ;  msbs: dst=0 src0=0 src1=0 src2=0
	v_mov_b32_e32 v123, v121
	s_set_vgpr_msb 1                        ;  msbs: dst=0 src0=1 src1=0 src2=0
	v_pk_fma_f32 v[120:121], v[2:3] /*v[258:259]*/, v[210:211], v[118:119] op_sel_hi:[1,0,1]
	v_pk_fma_f32 v[118:119], v[2:3] /*v[258:259]*/, v[210:211], v[118:119] neg_lo:[0,0,1] neg_hi:[0,0,1]
	s_set_vgpr_msb 0                        ;  msbs: dst=0 src0=0 src1=0 src2=0
	v_pk_add_f32 v[116:117], v[116:117], v[126:127]
	s_delay_alu instid0(VALU_DEP_3)
	v_mov_b32_e32 v119, v121
	s_set_vgpr_msb 5                        ;  msbs: dst=0 src0=1 src1=1 src2=0
	v_pk_fma_f32 v[120:121], v[56:57] /*v[312:313]*/, v[52:53] /*v[308:309]*/, v[124:125] op_sel_hi:[1,0,1]
	s_set_vgpr_msb 0                        ;  msbs: dst=0 src0=0 src1=0 src2=0
	v_pk_add_f32 v[116:117], v[116:117], v[122:123]
	s_set_vgpr_msb 5                        ;  msbs: dst=0 src0=1 src1=1 src2=0
	v_pk_fma_f32 v[122:123], v[56:57] /*v[312:313]*/, v[52:53] /*v[308:309]*/, v[124:125] neg_lo:[0,0,1] neg_hi:[0,0,1]
	s_set_vgpr_msb 0                        ;  msbs: dst=0 src0=0 src1=0 src2=0
	v_mov_b32_e32 v123, v121
	v_pk_add_f32 v[116:117], v[116:117], v[118:119]
	s_delay_alu instid0(VALU_DEP_1) | instskip(SKIP_2) | instid1(VALU_DEP_1)
	v_pk_add_f32 v[116:117], v[116:117], v[122:123]
	s_wait_loadcnt 0x0
	s_set_vgpr_msb 1                        ;  msbs: dst=0 src0=1 src1=0 src2=0
	v_pk_add_f32 v[116:117], v[54:55] /*v[310:311]*/, v[116:117] neg_lo:[0,1] neg_hi:[0,1]
	scratch_store_b64 off, v[116:117], off offset:56
	s_wait_xcnt 0x0
	v_cmpx_lt_u32_e32 6, v0
	s_set_vgpr_msb 0                        ;  msbs: dst=0 src0=0 src1=0 src2=0
	s_cbranch_execz .LBB56_343
; %bb.342:
	scratch_load_b64 v[116:117], off, off offset:48
	v_mov_b64_e32 v[118:119], 0
	scratch_store_b64 off, v[118:119], off offset:48
	s_wait_loadcnt 0x0
	ds_store_b64 v1, v[116:117]
.LBB56_343:
	s_wait_xcnt 0x0
	s_or_b32 exec_lo, exec_lo, s0
	s_wait_storecnt_dscnt 0x0
	s_barrier_signal -1
	s_barrier_wait -1
	s_clause 0x18
	scratch_load_b128 v[116:119], off, off offset:56
	scratch_load_b128 v[120:123], off, off offset:72
	;; [unrolled: 1-line block ×25, first 2 shown]
	ds_load_2addr_b64 v[216:219], v7 offset0:65 offset1:66
	ds_load_2addr_b64 v[220:223], v7 offset0:67 offset1:68
	;; [unrolled: 1-line block ×10, first 2 shown]
	s_set_vgpr_msb 64                       ;  msbs: dst=1 src0=0 src1=0 src2=0
	ds_load_2addr_b64 v[0:3] /*v[256:259]*/, v7 offset0:77 offset1:78
	ds_load_2addr_b64 v[4:7] /*v[260:263]*/, v7 offset0:79 offset1:80
	;; [unrolled: 1-line block ×9, first 2 shown]
	scratch_load_b64 v[60:61] /*v[316:317]*/, off, off offset:48
	ds_load_2addr_b64 v[36:39] /*v[292:295]*/, v7 offset0:93 offset1:94
	ds_load_2addr_b64 v[40:43] /*v[296:299]*/, v7 offset0:95 offset1:96
	;; [unrolled: 1-line block ×6, first 2 shown]
	s_mov_b32 s0, exec_lo
	s_wait_dscnt 0x13
	v_dual_mov_b32 v62 /*v318*/, v239 :: v_dual_mov_b32 v63 /*v319*/, v238
	s_wait_dscnt 0x10
	v_dual_mov_b32 v64 /*v320*/, v251 :: v_dual_mov_b32 v65 /*v321*/, v250
	;; [unrolled: 2-line block ×3, first 2 shown]
	s_wait_dscnt 0xc
	s_set_vgpr_msb 0x41                     ;  msbs: dst=1 src0=1 src1=0 src2=0
	v_dual_mov_b32 v68 /*v324*/, v11 /*v267*/ :: v_dual_mov_b32 v69 /*v325*/, v10 /*v266*/
	s_wait_loadcnt 0x19
	s_set_vgpr_msb 0                        ;  msbs: dst=0 src0=0 src1=0 src2=0
	v_dual_mul_f32 v7, v216, v117 :: v_dual_mul_f32 v9, v218, v119
	v_dual_mul_f32 v87, v217, v117 :: v_dual_mul_f32 v89, v219, v119
	s_wait_loadcnt 0x18
	v_dual_mul_f32 v11, v220, v121 :: v_dual_mul_f32 v13, v222, v123
	s_delay_alu instid0(VALU_DEP_3) | instskip(SKIP_3) | instid1(VALU_DEP_3)
	v_dual_fmac_f32 v7, v217, v116 :: v_dual_fmac_f32 v9, v219, v118
	s_wait_loadcnt 0x16
	v_dual_fma_f32 v87, v216, v116, -v87 :: v_dual_mul_f32 v99, v229, v129
	v_dual_mul_f32 v91, v221, v121 :: v_dual_mul_f32 v93, v223, v123
	v_dual_fma_f32 v89, v218, v118, -v89 :: v_dual_add_f32 v7, 0, v7
	s_delay_alu instid0(VALU_DEP_3) | instskip(SKIP_1) | instid1(VALU_DEP_4)
	v_dual_add_f32 v87, 0, v87 :: v_dual_fmac_f32 v11, v221, v120
	v_dual_mul_f32 v15, v224, v125 :: v_dual_mul_f32 v17, v226, v127
	v_dual_mul_f32 v101, v231, v131 :: v_dual_fma_f32 v91, v220, v120, -v91
	s_delay_alu instid0(VALU_DEP_4) | instskip(NEXT) | instid1(VALU_DEP_3)
	v_add_f32_e32 v7, v7, v9
	v_dual_add_f32 v9, v87, v89 :: v_dual_fmac_f32 v15, v225, v124
	v_dual_mul_f32 v95, v225, v125 :: v_dual_mul_f32 v97, v227, v127
	s_wait_loadcnt 0x15
	v_dual_mul_f32 v87, v241, v133 :: v_dual_fmac_f32 v13, v223, v122
	v_dual_fma_f32 v89, v222, v122, -v93 :: v_dual_add_f32 v7, v7, v11
	s_delay_alu instid0(VALU_DEP_3) | instskip(SKIP_1) | instid1(VALU_DEP_3)
	v_dual_add_f32 v9, v9, v91 :: v_dual_fma_f32 v91, v224, v124, -v95
	v_dual_mul_f32 v19, v228, v129 :: v_dual_mul_f32 v21, v230, v131
	v_add_f32_e32 v7, v7, v13
	s_delay_alu instid0(VALU_DEP_3) | instskip(SKIP_2) | instid1(VALU_DEP_3)
	v_dual_mul_f32 v11, v243, v135 :: v_dual_add_f32 v9, v9, v89
	s_wait_loadcnt 0x14
	v_dual_mul_f32 v13, v245, v137 :: v_dual_fmac_f32 v17, v227, v126
	v_dual_fma_f32 v89, v226, v126, -v97 :: v_dual_add_f32 v7, v7, v15
	s_delay_alu instid0(VALU_DEP_3) | instskip(SKIP_1) | instid1(VALU_DEP_3)
	v_dual_add_f32 v9, v9, v91 :: v_dual_fma_f32 v91, v228, v128, -v99
	v_dual_mul_f32 v15, v247, v139 :: v_dual_fmac_f32 v19, v229, v128
	v_add_f32_e32 v7, v7, v17
	s_delay_alu instid0(VALU_DEP_3) | instskip(SKIP_1) | instid1(VALU_DEP_3)
	v_dual_add_f32 v9, v9, v89 :: v_dual_fmac_f32 v21, v231, v130
	v_dual_mul_f32 v23, v240, v133 :: v_dual_mul_f32 v25, v242, v135
	v_dual_fma_f32 v89, v230, v130, -v101 :: v_dual_add_f32 v7, v7, v19
	s_delay_alu instid0(VALU_DEP_3) | instskip(NEXT) | instid1(VALU_DEP_3)
	v_dual_add_f32 v9, v9, v91 :: v_dual_fma_f32 v87, v240, v132, -v87
	v_dual_fmac_f32 v23, v241, v132 :: v_dual_mul_f32 v27, v244, v137
	s_delay_alu instid0(VALU_DEP_3) | instskip(NEXT) | instid1(VALU_DEP_3)
	v_dual_mul_f32 v29, v246, v139 :: v_dual_add_f32 v7, v7, v21
	v_dual_fma_f32 v11, v242, v134, -v11 :: v_dual_add_f32 v9, v9, v89
	s_delay_alu instid0(VALU_DEP_3) | instskip(NEXT) | instid1(VALU_DEP_3)
	v_dual_fmac_f32 v25, v243, v134 :: v_dual_fmac_f32 v27, v245, v136
	v_dual_add_f32 v7, v7, v23 :: v_dual_fma_f32 v13, v244, v136, -v13
	s_delay_alu instid0(VALU_DEP_3)
	v_add_f32_e32 v9, v9, v87
	s_wait_loadcnt 0x13
	s_set_vgpr_msb 1                        ;  msbs: dst=0 src0=1 src1=0 src2=0
	v_dual_mul_f32 v31, v0 /*v256*/, v141 :: v_dual_mul_f32 v33, v2 /*v258*/, v143
	s_set_vgpr_msb 0                        ;  msbs: dst=0 src0=0 src1=0 src2=0
	v_add_f32_e32 v7, v7, v25
	s_set_vgpr_msb 1                        ;  msbs: dst=0 src0=1 src1=0 src2=0
	v_dual_mul_f32 v17, v1 /*v257*/, v141 :: v_dual_mul_f32 v19, v3 /*v259*/, v143
	s_set_vgpr_msb 0                        ;  msbs: dst=0 src0=0 src1=0 src2=0
	v_dual_add_f32 v9, v9, v11 :: v_dual_fmac_f32 v29, v247, v138
	v_dual_fma_f32 v15, v246, v138, -v15 :: v_dual_add_f32 v7, v7, v27
	s_set_vgpr_msb 1                        ;  msbs: dst=0 src0=1 src1=0 src2=0
	v_dual_fmac_f32 v31, v1 /*v257*/, v140 :: v_dual_fma_f32 v17, v0 /*v256*/, v140, -v17
	s_set_vgpr_msb 0                        ;  msbs: dst=0 src0=0 src1=0 src2=0
	v_add_f32_e32 v9, v9, v13
	s_wait_loadcnt 0x12
	s_set_vgpr_msb 1                        ;  msbs: dst=0 src0=1 src1=0 src2=0
	v_dual_mul_f32 v35, v4 /*v260*/, v145 :: v_dual_mul_f32 v37, v6 /*v262*/, v147
	s_set_vgpr_msb 0                        ;  msbs: dst=0 src0=0 src1=0 src2=0
	v_add_f32_e32 v7, v7, v29
	s_set_vgpr_msb 1                        ;  msbs: dst=0 src0=1 src1=0 src2=0
	v_dual_mul_f32 v21, v5 /*v261*/, v145 :: v_dual_mul_f32 v23, v7 /*v263*/, v147
	s_set_vgpr_msb 0                        ;  msbs: dst=0 src0=0 src1=0 src2=0
	v_add_f32_e32 v9, v9, v15
	s_wait_loadcnt_dscnt 0x100a
	s_set_vgpr_msb 1                        ;  msbs: dst=0 src0=1 src1=0 src2=0
	v_dual_mul_f32 v15, v17 /*v273*/, v153 :: v_dual_fmac_f32 v33, v3 /*v259*/, v142
	v_fma_f32 v19, v2 /*v258*/, v142, -v19
	s_set_vgpr_msb 0                        ;  msbs: dst=0 src0=0 src1=0 src2=0
	v_dual_add_f32 v7, v7, v31 :: v_dual_add_f32 v9, v9, v17
	s_set_vgpr_msb 1                        ;  msbs: dst=0 src0=1 src1=0 src2=0
	v_dual_mul_f32 v17, v19 /*v275*/, v155 :: v_dual_fmac_f32 v35, v5 /*v261*/, v144
	v_fma_f32 v21, v4 /*v260*/, v144, -v21
	s_set_vgpr_msb 0                        ;  msbs: dst=0 src0=0 src1=0 src2=0
	v_dual_add_f32 v7, v7, v33 :: v_dual_add_f32 v9, v9, v19
	s_set_vgpr_msb 1                        ;  msbs: dst=0 src0=1 src1=0 src2=0
	v_dual_mul_f32 v11, v13 /*v269*/, v149 :: v_dual_mul_f32 v13, v15 /*v271*/, v151
	s_wait_loadcnt_dscnt 0xf09
	v_dual_mul_f32 v19, v21 /*v277*/, v157 :: v_dual_fmac_f32 v37, v7 /*v263*/, v146
	v_fma_f32 v23, v6 /*v262*/, v146, -v23
	s_set_vgpr_msb 0                        ;  msbs: dst=0 src0=0 src1=0 src2=0
	v_dual_add_f32 v7, v7, v35 :: v_dual_add_f32 v9, v9, v21
	s_set_vgpr_msb 1                        ;  msbs: dst=0 src0=1 src1=0 src2=0
	v_dual_mul_f32 v39, v12 /*v268*/, v149 :: v_dual_mul_f32 v41, v14 /*v270*/, v151
	v_dual_mul_f32 v21, v23 /*v279*/, v159 :: v_dual_fma_f32 v11, v12 /*v268*/, v148, -v11
	s_set_vgpr_msb 0                        ;  msbs: dst=0 src0=0 src1=0 src2=0
	v_dual_add_f32 v7, v7, v37 :: v_dual_add_f32 v9, v9, v23
	s_set_vgpr_msb 1                        ;  msbs: dst=0 src0=1 src1=0 src2=0
	v_dual_fmac_f32 v39, v13 /*v269*/, v148 :: v_dual_fmac_f32 v41, v15 /*v271*/, v150
	s_wait_loadcnt_dscnt 0xe08
	v_dual_mul_f32 v23, v25 /*v281*/, v161 :: v_dual_fma_f32 v13, v14 /*v270*/, v150, -v13
	s_set_vgpr_msb 0                        ;  msbs: dst=0 src0=0 src1=0 src2=0
	v_add_f32_e32 v9, v9, v11
	s_set_vgpr_msb 1                        ;  msbs: dst=0 src0=1 src1=0 src2=0
	v_dual_mul_f32 v43, v16 /*v272*/, v153 :: v_dual_mul_f32 v45, v18 /*v274*/, v155
	v_mul_f32_e32 v11, v27 /*v283*/, v163
	s_set_vgpr_msb 0                        ;  msbs: dst=0 src0=0 src1=0 src2=0
	v_dual_add_f32 v7, v7, v39 :: v_dual_add_f32 v9, v9, v13
	s_wait_loadcnt_dscnt 0xd07
	s_set_vgpr_msb 1                        ;  msbs: dst=0 src0=1 src1=0 src2=0
	v_dual_fma_f32 v15, v16 /*v272*/, v152, -v15 :: v_dual_mul_f32 v13, v29 /*v285*/, v165
	v_dual_fmac_f32 v43, v17 /*v273*/, v152 :: v_dual_fmac_f32 v45, v19 /*v275*/, v154
	s_set_vgpr_msb 0                        ;  msbs: dst=0 src0=0 src1=0 src2=0
	v_add_f32_e32 v7, v7, v41
	s_set_vgpr_msb 1                        ;  msbs: dst=0 src0=1 src1=0 src2=0
	v_fma_f32 v17, v18 /*v274*/, v154, -v17
	s_set_vgpr_msb 0                        ;  msbs: dst=0 src0=0 src1=0 src2=0
	v_add_f32_e32 v9, v9, v15
	s_set_vgpr_msb 1                        ;  msbs: dst=0 src0=1 src1=0 src2=0
	v_dual_mul_f32 v47, v20 /*v276*/, v157 :: v_dual_mul_f32 v49, v22 /*v278*/, v159
	v_mul_f32_e32 v15, v31 /*v287*/, v167
	s_set_vgpr_msb 0                        ;  msbs: dst=0 src0=0 src1=0 src2=0
	v_dual_add_f32 v7, v7, v43 :: v_dual_add_f32 v9, v9, v17
	s_wait_loadcnt_dscnt 0xc06
	s_set_vgpr_msb 1                        ;  msbs: dst=0 src0=1 src1=0 src2=0
	v_dual_fma_f32 v19, v20 /*v276*/, v156, -v19 :: v_dual_mul_f32 v17, v33 /*v289*/, v169
	v_dual_fmac_f32 v47, v21 /*v277*/, v156 :: v_dual_fmac_f32 v49, v23 /*v279*/, v158
	s_set_vgpr_msb 0                        ;  msbs: dst=0 src0=0 src1=0 src2=0
	v_add_f32_e32 v7, v7, v45
	s_set_vgpr_msb 1                        ;  msbs: dst=0 src0=1 src1=0 src2=0
	v_fma_f32 v21, v22 /*v278*/, v158, -v21
	s_set_vgpr_msb 0                        ;  msbs: dst=0 src0=0 src1=0 src2=0
	v_add_f32_e32 v9, v9, v19
	s_set_vgpr_msb 1                        ;  msbs: dst=0 src0=1 src1=0 src2=0
	v_dual_mul_f32 v51, v24 /*v280*/, v161 :: v_dual_mul_f32 v53, v26 /*v282*/, v163
	v_mul_f32_e32 v19, v35 /*v291*/, v171
	s_set_vgpr_msb 0                        ;  msbs: dst=0 src0=0 src1=0 src2=0
	v_dual_add_f32 v7, v7, v47 :: v_dual_add_f32 v9, v9, v21
	s_wait_loadcnt_dscnt 0xb05
	s_set_vgpr_msb 1                        ;  msbs: dst=0 src0=1 src1=0 src2=0
	v_dual_fma_f32 v23, v24 /*v280*/, v160, -v23 :: v_dual_mul_f32 v21, v37 /*v293*/, v173
	v_dual_mul_f32 v55, v28 /*v284*/, v165 :: v_dual_mul_f32 v57, v30 /*v286*/, v167
	v_dual_mul_f32 v59, v32 /*v288*/, v169 :: v_dual_mul_f32 v61, v34 /*v290*/, v171
	v_dual_fmac_f32 v51, v25 /*v281*/, v160 :: v_dual_fmac_f32 v53, v27 /*v283*/, v162
	v_fma_f32 v11, v26 /*v282*/, v162, -v11
	s_set_vgpr_msb 0                        ;  msbs: dst=0 src0=0 src1=0 src2=0
	v_dual_add_f32 v9, v9, v23 :: v_dual_add_f32 v7, v7, v49
	s_set_vgpr_msb 1                        ;  msbs: dst=0 src0=1 src1=0 src2=0
	v_dual_mul_f32 v23, v39 /*v295*/, v175 :: v_dual_fmac_f32 v55, v29 /*v285*/, v164
	v_fma_f32 v13, v28 /*v284*/, v164, -v13
	v_dual_fmac_f32 v57, v31 /*v287*/, v166 :: v_dual_fmac_f32 v59, v33 /*v289*/, v168
	s_set_vgpr_msb 0                        ;  msbs: dst=0 src0=0 src1=0 src2=0
	v_add_f32_e32 v9, v9, v11
	s_set_vgpr_msb 1                        ;  msbs: dst=0 src0=1 src1=0 src2=0
	v_dual_mul_f32 v63, v36 /*v292*/, v173 :: v_dual_mul_f32 v65, v38 /*v294*/, v175
	s_set_vgpr_msb 0                        ;  msbs: dst=0 src0=0 src1=0 src2=0
	v_add_f32_e32 v7, v7, v51
	s_wait_loadcnt_dscnt 0xa04
	s_set_vgpr_msb 1                        ;  msbs: dst=0 src0=1 src1=0 src2=0
	v_dual_mul_f32 v11, v41 /*v297*/, v177 :: v_dual_fma_f32 v15, v30 /*v286*/, v166, -v15
	s_set_vgpr_msb 0                        ;  msbs: dst=0 src0=0 src1=0 src2=0
	v_add_f32_e32 v9, v9, v13
	s_set_vgpr_msb 1                        ;  msbs: dst=0 src0=1 src1=0 src2=0
	v_dual_mul_f32 v13, v43 /*v299*/, v179 :: v_dual_fma_f32 v17, v32 /*v288*/, v168, -v17
	s_set_vgpr_msb 0                        ;  msbs: dst=0 src0=0 src1=0 src2=0
	v_add_f32_e32 v7, v7, v53
	s_set_vgpr_msb 1                        ;  msbs: dst=0 src0=1 src1=0 src2=0
	v_dual_fmac_f32 v61, v35 /*v291*/, v170 :: v_dual_fmac_f32 v63, v37 /*v293*/, v172
	s_set_vgpr_msb 0                        ;  msbs: dst=0 src0=0 src1=0 src2=0
	v_add_f32_e32 v9, v9, v15
	s_set_vgpr_msb 1                        ;  msbs: dst=0 src0=1 src1=0 src2=0
	v_dual_mul_f32 v67, v40 /*v296*/, v177 :: v_dual_mul_f32 v69, v42 /*v298*/, v179
	s_set_vgpr_msb 0                        ;  msbs: dst=0 src0=0 src1=0 src2=0
	v_add_f32_e32 v7, v7, v55
	s_wait_loadcnt_dscnt 0x903
	s_set_vgpr_msb 1                        ;  msbs: dst=0 src0=1 src1=0 src2=0
	v_dual_mul_f32 v15, v45 /*v301*/, v181 :: v_dual_fma_f32 v19, v34 /*v290*/, v170, -v19
	s_set_vgpr_msb 0                        ;  msbs: dst=0 src0=0 src1=0 src2=0
	v_add_f32_e32 v9, v9, v17
	s_set_vgpr_msb 1                        ;  msbs: dst=0 src0=1 src1=0 src2=0
	v_dual_mul_f32 v17, v47 /*v303*/, v183 :: v_dual_fma_f32 v21, v36 /*v292*/, v172, -v21
	s_set_vgpr_msb 0                        ;  msbs: dst=0 src0=0 src1=0 src2=0
	v_add_f32_e32 v7, v7, v57
	s_set_vgpr_msb 1                        ;  msbs: dst=0 src0=1 src1=0 src2=0
	v_dual_fmac_f32 v65, v39 /*v295*/, v174 :: v_dual_fmac_f32 v67, v41 /*v297*/, v176
	s_set_vgpr_msb 0                        ;  msbs: dst=0 src0=0 src1=0 src2=0
	v_add_f32_e32 v9, v9, v19
	s_set_vgpr_msb 1                        ;  msbs: dst=0 src0=1 src1=0 src2=0
	v_dual_mul_f32 v71, v44 /*v300*/, v181 :: v_dual_mul_f32 v73, v46 /*v302*/, v183
	s_set_vgpr_msb 0                        ;  msbs: dst=0 src0=0 src1=0 src2=0
	v_add_f32_e32 v7, v7, v59
	s_wait_loadcnt_dscnt 0x802
	s_set_vgpr_msb 1                        ;  msbs: dst=0 src0=1 src1=0 src2=0
	v_dual_mul_f32 v19, v49 /*v305*/, v185 :: v_dual_fma_f32 v23, v38 /*v294*/, v174, -v23
	s_set_vgpr_msb 0                        ;  msbs: dst=0 src0=0 src1=0 src2=0
	v_add_f32_e32 v9, v9, v21
	s_set_vgpr_msb 1                        ;  msbs: dst=0 src0=1 src1=0 src2=0
	v_dual_mul_f32 v75, v48 /*v304*/, v185 :: v_dual_mul_f32 v77, v50 /*v306*/, v187
	s_set_vgpr_msb 0                        ;  msbs: dst=0 src0=0 src1=0 src2=0
	v_add_f32_e32 v7, v7, v61
	s_set_vgpr_msb 1                        ;  msbs: dst=0 src0=1 src1=0 src2=0
	v_dual_mul_f32 v21, v51 /*v307*/, v187 :: v_dual_fma_f32 v11, v40 /*v296*/, v176, -v11
	v_dual_fmac_f32 v69, v43 /*v299*/, v178 :: v_dual_fmac_f32 v71, v45 /*v301*/, v180
	s_set_vgpr_msb 0                        ;  msbs: dst=0 src0=0 src1=0 src2=0
	v_add_f32_e32 v9, v9, v23
	s_wait_loadcnt_dscnt 0x701
	s_set_vgpr_msb 1                        ;  msbs: dst=0 src0=1 src1=0 src2=0
	v_dual_mul_f32 v23, v53 /*v309*/, v189 :: v_dual_fma_f32 v13, v42 /*v298*/, v178, -v13
	v_dual_fmac_f32 v73, v47 /*v303*/, v182 :: v_dual_fmac_f32 v75, v49 /*v305*/, v184
	s_set_vgpr_msb 0                        ;  msbs: dst=0 src0=0 src1=0 src2=0
	v_add_f32_e32 v9, v9, v11
	v_add_f32_e32 v7, v7, v63
	s_set_vgpr_msb 1                        ;  msbs: dst=0 src0=1 src1=0 src2=0
	v_dual_mul_f32 v79, v52 /*v308*/, v189 :: v_dual_mul_f32 v81, v54 /*v310*/, v191
	v_dual_mul_f32 v11, v55 /*v311*/, v191 :: v_dual_fma_f32 v15, v44 /*v300*/, v180, -v15
	s_set_vgpr_msb 0                        ;  msbs: dst=0 src0=0 src1=0 src2=0
	v_add_f32_e32 v9, v9, v13
	v_add_f32_e32 v7, v7, v65
	s_wait_loadcnt_dscnt 0x600
	s_set_vgpr_msb 1                        ;  msbs: dst=0 src0=1 src1=0 src2=0
	v_dual_mul_f32 v13, v57 /*v313*/, v193 :: v_dual_fma_f32 v17, v46 /*v302*/, v182, -v17
	v_dual_fmac_f32 v77, v51 /*v307*/, v186 :: v_dual_fmac_f32 v79, v53 /*v309*/, v188
	s_set_vgpr_msb 0                        ;  msbs: dst=0 src0=0 src1=0 src2=0
	v_add_f32_e32 v9, v9, v15
	v_add_f32_e32 v7, v7, v67
	s_set_vgpr_msb 1                        ;  msbs: dst=0 src0=1 src1=0 src2=0
	v_dual_mul_f32 v15, v59 /*v315*/, v195 :: v_dual_fma_f32 v19, v48 /*v304*/, v184, -v19
	v_dual_fma_f32 v21, v50 /*v306*/, v186, -v21 :: v_dual_fma_f32 v23, v52 /*v308*/, v188, -v23
	s_set_vgpr_msb 0                        ;  msbs: dst=0 src0=0 src1=0 src2=0
	v_add_f32_e32 v9, v9, v17
	v_add_f32_e32 v7, v7, v69
	s_wait_loadcnt 0x4
	v_dual_mul_f32 v17, v233, v197 :: v_dual_mov_b32 v118, v203
	s_set_vgpr_msb 1                        ;  msbs: dst=0 src0=1 src1=0 src2=0
	v_dual_mul_f32 v83, v56 /*v312*/, v193 :: v_dual_mul_f32 v85, v58 /*v314*/, v195
	s_set_vgpr_msb 0                        ;  msbs: dst=0 src0=0 src1=0 src2=0
	v_add_f32_e32 v7, v7, v71
	v_add_f32_e32 v9, v9, v19
	s_set_vgpr_msb 1                        ;  msbs: dst=0 src0=1 src1=0 src2=0
	v_dual_fmac_f32 v81, v55 /*v311*/, v190 :: v_dual_fma_f32 v11, v54 /*v310*/, v190, -v11
	v_dual_fmac_f32 v83, v57 /*v313*/, v192 :: v_dual_fma_f32 v13, v56 /*v312*/, v192, -v13
	s_set_vgpr_msb 0                        ;  msbs: dst=0 src0=0 src1=0 src2=0
	v_add_f32_e32 v7, v7, v73
	v_add_f32_e32 v9, v9, v21
	s_set_vgpr_msb 64                       ;  msbs: dst=1 src0=0 src1=0 src2=0
	v_dual_mul_f32 v71 /*v327*/, v232, v197 :: v_dual_mul_f32 v73 /*v329*/, v234, v199
	s_set_vgpr_msb 1                        ;  msbs: dst=0 src0=1 src1=0 src2=0
	v_fmac_f32_e32 v85, v59 /*v315*/, v194
	s_set_vgpr_msb 0                        ;  msbs: dst=0 src0=0 src1=0 src2=0
	v_add_f32_e32 v7, v7, v75
	s_wait_loadcnt 0x3
	v_mov_b32_e32 v122, v207
	v_pk_mul_f32 v[116:117], v[236:237], v[200:201] op_sel:[1,1] op_sel_hi:[0,1]
	s_set_vgpr_msb 64                       ;  msbs: dst=1 src0=0 src1=0 src2=0
	v_dual_fmac_f32 v71 /*v327*/, v233, v196 :: v_dual_fmac_f32 v73 /*v329*/, v235, v198
	s_set_vgpr_msb 0                        ;  msbs: dst=0 src0=0 src1=0 src2=0
	v_add_f32_e32 v7, v7, v77
	s_set_vgpr_msb 1                        ;  msbs: dst=0 src0=1 src1=0 src2=0
	v_pk_mul_f32 v[118:119], v[62:63] /*v[318:319]*/, v[118:119] op_sel_hi:[1,0]
	s_set_vgpr_msb 0                        ;  msbs: dst=0 src0=0 src1=0 src2=0
	v_pk_fma_f32 v[126:127], v[236:237], v[200:201], v[116:117] op_sel_hi:[1,0,1]
	v_pk_fma_f32 v[116:117], v[236:237], v[200:201], v[116:117] neg_lo:[0,0,1] neg_hi:[0,0,1]
	v_pk_mul_f32 v[120:121], v[248:249], v[204:205] op_sel:[1,1] op_sel_hi:[0,1]
	v_add_f32_e32 v7, v7, v79
	s_delay_alu instid0(VALU_DEP_4) | instskip(SKIP_2) | instid1(VALU_DEP_3)
	v_dual_add_f32 v9, v9, v23 :: v_dual_mov_b32 v117, v127
	v_pk_fma_f32 v[126:127], v[238:239], v[202:203], v[118:119] op_sel_hi:[1,0,1]
	v_pk_fma_f32 v[118:119], v[238:239], v[202:203], v[118:119] neg_lo:[0,0,1] neg_hi:[0,0,1]
	v_dual_add_f32 v7, v7, v81 :: v_dual_add_f32 v9, v9, v11
	v_mul_f32_e32 v19, v235, v199
	s_set_vgpr_msb 1                        ;  msbs: dst=0 src0=1 src1=0 src2=0
	v_fma_f32 v11, v58 /*v314*/, v194, -v15
	s_set_vgpr_msb 0                        ;  msbs: dst=0 src0=0 src1=0 src2=0
	v_pk_fma_f32 v[130:131], v[248:249], v[204:205], v[120:121] op_sel_hi:[1,0,1]
	v_dual_add_f32 v7, v7, v83 :: v_dual_add_f32 v9, v9, v13
	s_set_vgpr_msb 64                       ;  msbs: dst=1 src0=0 src1=0 src2=0
	v_dual_fma_f32 v70 /*v326*/, v232, v196, -v17 :: v_dual_fma_f32 v72 /*v328*/, v234, v198, -v19
	s_set_vgpr_msb 1                        ;  msbs: dst=0 src0=1 src1=0 src2=0
	v_pk_mul_f32 v[122:123], v[64:65] /*v[320:321]*/, v[122:123] op_sel_hi:[1,0]
	s_set_vgpr_msb 0                        ;  msbs: dst=0 src0=0 src1=0 src2=0
	v_dual_add_f32 v125, v7, v85 :: v_dual_add_f32 v124, v9, v11
	v_mov_b32_e32 v119, v127
	s_wait_loadcnt 0x2
	v_pk_mul_f32 v[128:129], v[252:253], v[208:209] op_sel:[1,1] op_sel_hi:[0,1]
	v_pk_fma_f32 v[120:121], v[248:249], v[204:205], v[120:121] neg_lo:[0,0,1] neg_hi:[0,0,1]
	v_mov_b32_e32 v121, v131
	s_set_vgpr_msb 4                        ;  msbs: dst=0 src0=0 src1=1 src2=0
	v_pk_add_f32 v[124:125], v[124:125], v[70:71] /*v[326:327]*/
	s_set_vgpr_msb 0                        ;  msbs: dst=0 src0=0 src1=0 src2=0
	v_pk_fma_f32 v[126:127], v[250:251], v[206:207], v[122:123] op_sel_hi:[1,0,1]
	v_pk_fma_f32 v[122:123], v[250:251], v[206:207], v[122:123] neg_lo:[0,0,1] neg_hi:[0,0,1]
	s_set_vgpr_msb 4                        ;  msbs: dst=0 src0=0 src1=1 src2=0
	v_pk_add_f32 v[124:125], v[124:125], v[72:73] /*v[328:329]*/
	s_set_vgpr_msb 0                        ;  msbs: dst=0 src0=0 src1=0 src2=0
	s_delay_alu instid0(VALU_DEP_1) | instskip(SKIP_1) | instid1(VALU_DEP_2)
	v_pk_add_f32 v[116:117], v[124:125], v[116:117]
	v_mov_b32_e32 v124, v211
	v_pk_add_f32 v[116:117], v[116:117], v[118:119]
	v_pk_fma_f32 v[118:119], v[252:253], v[208:209], v[128:129] op_sel_hi:[1,0,1]
	s_set_vgpr_msb 1                        ;  msbs: dst=0 src0=1 src1=0 src2=0
	s_delay_alu instid0(VALU_DEP_3)
	v_pk_mul_f32 v[124:125], v[66:67] /*v[322:323]*/, v[124:125] op_sel_hi:[1,0]
	s_set_vgpr_msb 0                        ;  msbs: dst=0 src0=0 src1=0 src2=0
	v_mov_b32_e32 v123, v127
	v_pk_fma_f32 v[126:127], v[252:253], v[208:209], v[128:129] neg_lo:[0,0,1] neg_hi:[0,0,1]
	v_pk_add_f32 v[116:117], v[116:117], v[120:121]
	v_mov_b32_e32 v127, v119
	v_pk_fma_f32 v[118:119], v[254:255], v[210:211], v[124:125] op_sel_hi:[1,0,1]
	s_wait_loadcnt 0x1
	s_set_vgpr_msb 1                        ;  msbs: dst=0 src0=1 src1=0 src2=0
	v_pk_mul_f32 v[120:121], v[8:9] /*v[264:265]*/, v[212:213] op_sel:[1,1] op_sel_hi:[0,1]
	s_set_vgpr_msb 0                        ;  msbs: dst=0 src0=0 src1=0 src2=0
	v_mov_b32_e32 v118, v215
	v_pk_add_f32 v[116:117], v[116:117], v[122:123]
	v_pk_fma_f32 v[124:125], v[254:255], v[210:211], v[124:125] neg_lo:[0,0,1] neg_hi:[0,0,1]
	v_mov_b32_e32 v125, v119
	s_set_vgpr_msb 1                        ;  msbs: dst=0 src0=1 src1=0 src2=0
	v_pk_fma_f32 v[122:123], v[8:9] /*v[264:265]*/, v[212:213], v[120:121] op_sel_hi:[1,0,1]
	v_pk_mul_f32 v[118:119], v[68:69] /*v[324:325]*/, v[118:119] op_sel_hi:[1,0]
	s_set_vgpr_msb 0                        ;  msbs: dst=0 src0=0 src1=0 src2=0
	v_pk_add_f32 v[116:117], v[116:117], v[126:127]
	s_set_vgpr_msb 1                        ;  msbs: dst=0 src0=1 src1=0 src2=0
	v_pk_fma_f32 v[120:121], v[8:9] /*v[264:265]*/, v[212:213], v[120:121] neg_lo:[0,0,1] neg_hi:[0,0,1]
	s_set_vgpr_msb 0                        ;  msbs: dst=0 src0=0 src1=0 src2=0
	v_mov_b32_e32 v121, v123
	s_set_vgpr_msb 1                        ;  msbs: dst=0 src0=1 src1=0 src2=0
	v_pk_fma_f32 v[122:123], v[10:11] /*v[266:267]*/, v[214:215], v[118:119] op_sel_hi:[1,0,1]
	s_set_vgpr_msb 0                        ;  msbs: dst=0 src0=0 src1=0 src2=0
	v_pk_add_f32 v[116:117], v[116:117], v[124:125]
	s_set_vgpr_msb 1                        ;  msbs: dst=0 src0=1 src1=0 src2=0
	v_pk_fma_f32 v[118:119], v[10:11] /*v[266:267]*/, v[214:215], v[118:119] neg_lo:[0,0,1] neg_hi:[0,0,1]
	s_set_vgpr_msb 0                        ;  msbs: dst=0 src0=0 src1=0 src2=0
	v_mov_b32_e32 v119, v123
	v_pk_add_f32 v[116:117], v[116:117], v[120:121]
	s_delay_alu instid0(VALU_DEP_1) | instskip(SKIP_2) | instid1(VALU_DEP_1)
	v_pk_add_f32 v[116:117], v[116:117], v[118:119]
	s_wait_loadcnt 0x0
	s_set_vgpr_msb 1                        ;  msbs: dst=0 src0=1 src1=0 src2=0
	v_pk_add_f32 v[116:117], v[60:61] /*v[316:317]*/, v[116:117] neg_lo:[0,1] neg_hi:[0,1]
	scratch_store_b64 off, v[116:117], off offset:48
	s_wait_xcnt 0x0
	v_cmpx_lt_u32_e32 5, v0
	s_set_vgpr_msb 0                        ;  msbs: dst=0 src0=0 src1=0 src2=0
	s_cbranch_execz .LBB56_345
; %bb.344:
	scratch_load_b64 v[116:117], off, off offset:40
	v_mov_b64_e32 v[118:119], 0
	scratch_store_b64 off, v[118:119], off offset:40
	s_wait_loadcnt 0x0
	ds_store_b64 v1, v[116:117]
.LBB56_345:
	s_wait_xcnt 0x0
	s_or_b32 exec_lo, exec_lo, s0
	s_wait_storecnt_dscnt 0x0
	s_barrier_signal -1
	s_barrier_wait -1
	s_clause 0x1b
	scratch_load_b128 v[116:119], off, off offset:48
	scratch_load_b128 v[120:123], off, off offset:64
	;; [unrolled: 1-line block ×25, first 2 shown]
	s_set_vgpr_msb 64                       ;  msbs: dst=1 src0=0 src1=0 src2=0
	scratch_load_b64 v[60:61] /*v[316:317]*/, off, off offset:448
	scratch_load_b64 v[62:63] /*v[318:319]*/, off, off offset:40
	s_set_vgpr_msb 0                        ;  msbs: dst=0 src0=0 src1=0 src2=0
	v_mov_b32_e32 v7, 0
	ds_load_b128 v[216:219], v7 offset:512
	ds_load_b128 v[220:223], v7 offset:528
	;; [unrolled: 1-line block ×10, first 2 shown]
	s_set_vgpr_msb 64                       ;  msbs: dst=1 src0=0 src1=0 src2=0
	ds_load_b128 v[0:3] /*v[256:259]*/, v7 offset:608
	ds_load_b128 v[4:7] /*v[260:263]*/, v7 offset:624
	;; [unrolled: 1-line block ×15, first 2 shown]
	ds_load_b64 v[64:65] /*v[320:321]*/, v7 offset:912
	s_wait_dscnt 0x14
	v_dual_mov_b32 v66 /*v322*/, v239 :: v_dual_mov_b32 v67 /*v323*/, v238
	s_wait_dscnt 0x11
	v_dual_mov_b32 v68 /*v324*/, v251 :: v_dual_mov_b32 v69 /*v325*/, v250
	s_wait_dscnt 0x10
	v_dual_mov_b32 v70 /*v326*/, v255 :: v_dual_mov_b32 v71 /*v327*/, v254
	s_wait_dscnt 0xd
	s_set_vgpr_msb 0x41                     ;  msbs: dst=1 src0=1 src1=0 src2=0
	v_dual_mov_b32 v72 /*v328*/, v11 /*v267*/ :: v_dual_mov_b32 v73 /*v329*/, v10 /*v266*/
	s_mov_b32 s0, exec_lo
	s_wait_loadcnt 0x1a
	s_set_vgpr_msb 0                        ;  msbs: dst=0 src0=0 src1=0 src2=0
	v_dual_mul_f32 v9, v216, v117 :: v_dual_mul_f32 v91, v217, v117
	v_dual_mul_f32 v93, v219, v119 :: v_dual_mul_f32 v11, v218, v119
	s_wait_loadcnt 0x19
	v_mul_f32_e32 v13, v220, v121
	s_wait_loadcnt 0x17
	v_dual_mul_f32 v103, v229, v129 :: v_dual_fma_f32 v91, v216, v116, -v91
	v_dual_fmac_f32 v9, v217, v116 :: v_dual_mul_f32 v105, v231, v131
	v_dual_mul_f32 v95, v221, v121 :: v_dual_mul_f32 v97, v223, v123
	v_dual_fmac_f32 v11, v219, v118 :: v_dual_fma_f32 v93, v218, v118, -v93
	s_delay_alu instid0(VALU_DEP_3) | instskip(SKIP_4) | instid1(VALU_DEP_3)
	v_dual_add_f32 v9, 0, v9 :: v_dual_add_f32 v91, 0, v91
	v_dual_mul_f32 v15, v222, v123 :: v_dual_mul_f32 v17, v224, v125
	s_wait_loadcnt 0x16
	v_dual_mul_f32 v107, v241, v133 :: v_dual_fma_f32 v95, v220, v120, -v95
	v_fmac_f32_e32 v13, v221, v120
	v_dual_add_f32 v9, v9, v11 :: v_dual_fmac_f32 v15, v223, v122
	v_add_f32_e32 v11, v91, v93
	v_dual_mul_f32 v99, v225, v125 :: v_dual_mul_f32 v101, v227, v127
	v_dual_mul_f32 v91, v243, v135 :: v_dual_fma_f32 v93, v222, v122, -v97
	s_delay_alu instid0(VALU_DEP_3) | instskip(SKIP_3) | instid1(VALU_DEP_3)
	v_dual_add_f32 v9, v9, v13 :: v_dual_add_f32 v11, v11, v95
	v_dual_mul_f32 v19, v226, v127 :: v_dual_mul_f32 v21, v228, v129
	s_wait_loadcnt 0x15
	v_dual_mul_f32 v13, v245, v137 :: v_dual_fma_f32 v95, v224, v124, -v99
	v_dual_fmac_f32 v17, v225, v124 :: v_dual_add_f32 v11, v11, v93
	s_delay_alu instid0(VALU_DEP_3) | instskip(SKIP_1) | instid1(VALU_DEP_2)
	v_dual_add_f32 v9, v9, v15 :: v_dual_fmac_f32 v19, v227, v126
	v_dual_mul_f32 v15, v247, v139 :: v_dual_fma_f32 v93, v226, v126, -v101
	v_dual_add_f32 v11, v11, v95 :: v_dual_add_f32 v9, v9, v17
	v_dual_mul_f32 v23, v230, v131 :: v_dual_mul_f32 v25, v240, v133
	v_dual_fmac_f32 v21, v229, v128 :: v_dual_fma_f32 v95, v228, v128, -v103
	s_delay_alu instid0(VALU_DEP_3) | instskip(NEXT) | instid1(VALU_DEP_3)
	v_dual_add_f32 v9, v9, v19 :: v_dual_add_f32 v11, v11, v93
	v_dual_fmac_f32 v23, v231, v130 :: v_dual_fma_f32 v93, v230, v130, -v105
	v_dual_mul_f32 v27, v242, v135 :: v_dual_mul_f32 v29, v244, v137
	s_delay_alu instid0(VALU_DEP_3) | instskip(SKIP_3) | instid1(VALU_DEP_3)
	v_dual_add_f32 v9, v9, v21 :: v_dual_add_f32 v11, v11, v95
	v_dual_fmac_f32 v25, v241, v132 :: v_dual_fma_f32 v95, v240, v132, -v107
	s_wait_loadcnt 0x6
	v_dual_mul_f32 v31, v246, v139 :: v_dual_mul_f32 v89, v232, v197
	v_dual_add_f32 v9, v9, v23 :: v_dual_add_f32 v11, v11, v93
	v_fmac_f32_e32 v27, v243, v134
	v_fma_f32 v91, v242, v134, -v91
	s_set_vgpr_msb 1                        ;  msbs: dst=0 src0=1 src1=0 src2=0
	v_dual_mul_f32 v33, v0 /*v256*/, v141 :: v_dual_mul_f32 v35, v2 /*v258*/, v143
	s_set_vgpr_msb 0                        ;  msbs: dst=0 src0=0 src1=0 src2=0
	v_dual_add_f32 v9, v9, v25 :: v_dual_add_f32 v11, v11, v95
	v_fmac_f32_e32 v29, v245, v136
	v_fma_f32 v13, v244, v136, -v13
	s_set_vgpr_msb 1                        ;  msbs: dst=0 src0=1 src1=0 src2=0
	v_dual_mul_f32 v17, v1 /*v257*/, v141 :: v_dual_mul_f32 v19, v3 /*v259*/, v143
	s_set_vgpr_msb 0                        ;  msbs: dst=0 src0=0 src1=0 src2=0
	v_add_f32_e32 v9, v9, v27
	v_add_f32_e32 v11, v11, v91
	v_fmac_f32_e32 v31, v247, v138
	v_fma_f32 v15, v246, v138, -v15
	s_set_vgpr_msb 1                        ;  msbs: dst=0 src0=1 src1=0 src2=0
	v_fmac_f32_e32 v33, v1 /*v257*/, v140
	s_set_vgpr_msb 0                        ;  msbs: dst=0 src0=0 src1=0 src2=0
	v_add_f32_e32 v9, v9, v29
	v_add_f32_e32 v11, v11, v13
	s_wait_dscnt 0xb
	s_set_vgpr_msb 1                        ;  msbs: dst=0 src0=1 src1=0 src2=0
	v_dual_mul_f32 v13, v17 /*v273*/, v153 :: v_dual_fma_f32 v17, v0 /*v256*/, v140, -v17
	v_dual_mul_f32 v37, v4 /*v260*/, v145 :: v_dual_mul_f32 v39, v6 /*v262*/, v147
	s_set_vgpr_msb 0                        ;  msbs: dst=0 src0=0 src1=0 src2=0
	v_add_f32_e32 v11, v11, v15
	v_add_f32_e32 v9, v9, v31
	s_set_vgpr_msb 1                        ;  msbs: dst=0 src0=1 src1=0 src2=0
	v_dual_mul_f32 v21, v5 /*v261*/, v145 :: v_dual_mul_f32 v23, v7 /*v263*/, v147
	v_mul_f32_e32 v15, v19 /*v275*/, v155
	v_fmac_f32_e32 v35, v3 /*v259*/, v142
	v_dual_fma_f32 v19, v2 /*v258*/, v142, -v19 :: v_dual_fmac_f32 v37, v5 /*v261*/, v144
	s_set_vgpr_msb 0                        ;  msbs: dst=0 src0=0 src1=0 src2=0
	v_add_f32_e32 v11, v11, v17
	v_add_f32_e32 v9, v9, v33
	s_wait_dscnt 0xa
	s_set_vgpr_msb 1                        ;  msbs: dst=0 src0=1 src1=0 src2=0
	v_dual_mul_f32 v17, v21 /*v277*/, v157 :: v_dual_fma_f32 v21, v4 /*v260*/, v144, -v21
	v_dual_mul_f32 v41, v12 /*v268*/, v149 :: v_dual_mul_f32 v43, v14 /*v270*/, v151
	s_set_vgpr_msb 0                        ;  msbs: dst=0 src0=0 src1=0 src2=0
	v_add_f32_e32 v11, v11, v19
	s_set_vgpr_msb 1                        ;  msbs: dst=0 src0=1 src1=0 src2=0
	v_mul_f32_e32 v19, v23 /*v279*/, v159
	s_set_vgpr_msb 0                        ;  msbs: dst=0 src0=0 src1=0 src2=0
	v_add_f32_e32 v9, v9, v35
	s_set_vgpr_msb 1                        ;  msbs: dst=0 src0=1 src1=0 src2=0
	v_dual_mul_f32 v25, v13 /*v269*/, v149 :: v_dual_mul_f32 v27, v15 /*v271*/, v151
	v_fmac_f32_e32 v39, v7 /*v263*/, v146
	v_dual_fma_f32 v23, v6 /*v262*/, v146, -v23 :: v_dual_fmac_f32 v41, v13 /*v269*/, v148
	s_set_vgpr_msb 0                        ;  msbs: dst=0 src0=0 src1=0 src2=0
	v_add_f32_e32 v11, v11, v21
	v_add_f32_e32 v9, v9, v37
	s_wait_dscnt 0x9
	s_set_vgpr_msb 1                        ;  msbs: dst=0 src0=1 src1=0 src2=0
	v_dual_mul_f32 v21, v25 /*v281*/, v161 :: v_dual_fma_f32 v25, v12 /*v268*/, v148, -v25
	v_dual_mul_f32 v45, v16 /*v272*/, v153 :: v_dual_mul_f32 v47, v18 /*v274*/, v155
	s_set_vgpr_msb 0                        ;  msbs: dst=0 src0=0 src1=0 src2=0
	v_add_f32_e32 v11, v11, v23
	s_set_vgpr_msb 1                        ;  msbs: dst=0 src0=1 src1=0 src2=0
	v_mul_f32_e32 v23, v27 /*v283*/, v163
	s_set_vgpr_msb 0                        ;  msbs: dst=0 src0=0 src1=0 src2=0
	v_add_f32_e32 v9, v9, v39
	s_set_vgpr_msb 1                        ;  msbs: dst=0 src0=1 src1=0 src2=0
	v_fmac_f32_e32 v43, v15 /*v271*/, v150
	v_dual_fma_f32 v27, v14 /*v270*/, v150, -v27 :: v_dual_fmac_f32 v45, v17 /*v273*/, v152
	s_set_vgpr_msb 0                        ;  msbs: dst=0 src0=0 src1=0 src2=0
	v_add_f32_e32 v11, v11, v25
	v_add_f32_e32 v9, v9, v41
	s_wait_dscnt 0x8
	s_set_vgpr_msb 1                        ;  msbs: dst=0 src0=1 src1=0 src2=0
	v_dual_mul_f32 v25, v29 /*v285*/, v165 :: v_dual_fma_f32 v13, v16 /*v272*/, v152, -v13
	v_dual_mul_f32 v49, v20 /*v276*/, v157 :: v_dual_mul_f32 v51, v22 /*v278*/, v159
	s_set_vgpr_msb 0                        ;  msbs: dst=0 src0=0 src1=0 src2=0
	v_add_f32_e32 v11, v11, v27
	s_set_vgpr_msb 1                        ;  msbs: dst=0 src0=1 src1=0 src2=0
	v_mul_f32_e32 v27, v31 /*v287*/, v167
	s_set_vgpr_msb 0                        ;  msbs: dst=0 src0=0 src1=0 src2=0
	v_add_f32_e32 v9, v9, v43
	s_set_vgpr_msb 1                        ;  msbs: dst=0 src0=1 src1=0 src2=0
	;; [unrolled: 16-line block ×9, first 2 shown]
	v_dual_fmac_f32 v75, v47 /*v303*/, v182 :: v_dual_fmac_f32 v77, v49 /*v305*/, v184
	v_dual_fma_f32 v27, v46 /*v302*/, v182, -v27 :: v_dual_fma_f32 v13, v48 /*v304*/, v184, -v13
	s_set_vgpr_msb 0                        ;  msbs: dst=0 src0=0 src1=0 src2=0
	v_add_f32_e32 v11, v11, v25
	v_add_f32_e32 v9, v9, v73
	v_mul_f32_e32 v25, v233, v197
	s_set_vgpr_msb 1                        ;  msbs: dst=0 src0=1 src1=0 src2=0
	v_dual_mul_f32 v81, v52 /*v308*/, v189 :: v_dual_mul_f32 v83, v54 /*v310*/, v191
	s_set_vgpr_msb 0                        ;  msbs: dst=0 src0=0 src1=0 src2=0
	v_add_f32_e32 v11, v11, v27
	v_add_f32_e32 v9, v9, v75
	s_set_vgpr_msb 1                        ;  msbs: dst=0 src0=1 src1=0 src2=0
	v_dual_fmac_f32 v79, v51 /*v307*/, v186 :: v_dual_fmac_f32 v81, v53 /*v309*/, v188
	v_dual_fma_f32 v15, v50 /*v306*/, v186, -v15 :: v_dual_fma_f32 v17, v52 /*v308*/, v188, -v17
	s_set_vgpr_msb 0                        ;  msbs: dst=0 src0=0 src1=0 src2=0
	v_add_f32_e32 v11, v11, v13
	v_dual_mul_f32 v27, v235, v199 :: v_dual_add_f32 v9, v9, v77
	s_set_vgpr_msb 1                        ;  msbs: dst=0 src0=1 src1=0 src2=0
	v_dual_mul_f32 v85, v56 /*v312*/, v193 :: v_dual_mul_f32 v87, v58 /*v314*/, v195
	s_wait_loadcnt 0x5
	s_set_vgpr_msb 0                        ;  msbs: dst=0 src0=0 src1=0 src2=0
	v_dual_mul_f32 v13, v237, v201 :: v_dual_add_f32 v11, v11, v15
	v_dual_add_f32 v9, v9, v79 :: v_dual_mov_b32 v116, v203
	s_set_vgpr_msb 1                        ;  msbs: dst=0 src0=1 src1=0 src2=0
	v_dual_fmac_f32 v83, v55 /*v311*/, v190 :: v_dual_fmac_f32 v85, v57 /*v313*/, v192
	v_fma_f32 v15, v54 /*v310*/, v190, -v19
	s_set_vgpr_msb 0                        ;  msbs: dst=0 src0=0 src1=0 src2=0
	v_add_f32_e32 v11, v11, v17
	s_set_vgpr_msb 1                        ;  msbs: dst=0 src0=1 src1=0 src2=0
	v_fma_f32 v17, v56 /*v312*/, v192, -v21
	s_set_vgpr_msb 0                        ;  msbs: dst=0 src0=0 src1=0 src2=0
	v_add_f32_e32 v9, v9, v81
	s_set_vgpr_msb 1                        ;  msbs: dst=0 src0=1 src1=0 src2=0
	v_fmac_f32_e32 v87, v59 /*v315*/, v194
	s_set_vgpr_msb 64                       ;  msbs: dst=1 src0=0 src1=0 src2=0
	v_dual_mul_f32 v75 /*v331*/, v234, v199 :: v_dual_mul_f32 v77 /*v333*/, v236, v201
	s_set_vgpr_msb 0                        ;  msbs: dst=0 src0=0 src1=0 src2=0
	v_add_f32_e32 v11, v11, v15
	s_wait_loadcnt 0x4
	v_dual_add_f32 v9, v9, v83 :: v_dual_mov_b32 v120, v207
	s_set_vgpr_msb 1                        ;  msbs: dst=0 src0=1 src1=0 src2=0
	v_fma_f32 v15, v58 /*v314*/, v194, -v23
	s_set_vgpr_msb 0                        ;  msbs: dst=0 src0=0 src1=0 src2=0
	v_dual_fmac_f32 v89, v233, v196 :: v_dual_add_f32 v11, v11, v17
	v_dual_add_f32 v9, v9, v85 :: v_dual_fma_f32 v17, v232, v196, -v25
	s_set_vgpr_msb 1                        ;  msbs: dst=0 src0=1 src1=0 src2=0
	v_pk_mul_f32 v[116:117], v[66:67] /*v[322:323]*/, v[116:117] op_sel_hi:[1,0]
	s_set_vgpr_msb 64                       ;  msbs: dst=1 src0=0 src1=0 src2=0
	v_dual_fmac_f32 v75 /*v331*/, v235, v198 :: v_dual_fmac_f32 v77 /*v333*/, v237, v200
	s_set_vgpr_msb 0                        ;  msbs: dst=0 src0=0 src1=0 src2=0
	v_add_f32_e32 v9, v9, v87
	v_add_f32_e32 v11, v11, v15
	s_set_vgpr_msb 64                       ;  msbs: dst=1 src0=0 src1=0 src2=0
	v_dual_fma_f32 v74 /*v330*/, v234, v198, -v27 :: v_dual_fma_f32 v76 /*v332*/, v236, v200, -v13
	s_set_vgpr_msb 0                        ;  msbs: dst=0 src0=0 src1=0 src2=0
	v_pk_fma_f32 v[128:129], v[238:239], v[202:203], v[116:117] op_sel_hi:[1,0,1]
	v_add_f32_e32 v125, v9, v89
	v_add_f32_e32 v124, v11, v17
	v_pk_fma_f32 v[116:117], v[238:239], v[202:203], v[116:117] neg_lo:[0,0,1] neg_hi:[0,0,1]
	v_pk_mul_f32 v[118:119], v[248:249], v[204:205] op_sel:[1,1] op_sel_hi:[0,1]
	v_mov_b32_e32 v117, v129
	s_set_vgpr_msb 1                        ;  msbs: dst=0 src0=1 src1=0 src2=0
	v_pk_mul_f32 v[120:121], v[68:69] /*v[324:325]*/, v[120:121] op_sel_hi:[1,0]
	s_set_vgpr_msb 4                        ;  msbs: dst=0 src0=0 src1=1 src2=0
	v_pk_add_f32 v[124:125], v[124:125], v[74:75] /*v[330:331]*/
	s_wait_loadcnt 0x3
	s_set_vgpr_msb 0                        ;  msbs: dst=0 src0=0 src1=0 src2=0
	v_pk_mul_f32 v[122:123], v[252:253], v[208:209] op_sel:[1,1] op_sel_hi:[0,1]
	v_pk_fma_f32 v[130:131], v[248:249], v[204:205], v[118:119] op_sel_hi:[1,0,1]
	v_pk_fma_f32 v[118:119], v[248:249], v[204:205], v[118:119] neg_lo:[0,0,1] neg_hi:[0,0,1]
	v_mov_b32_e32 v126, v211
	s_set_vgpr_msb 4                        ;  msbs: dst=0 src0=0 src1=1 src2=0
	v_pk_add_f32 v[124:125], v[124:125], v[76:77] /*v[332:333]*/
	s_wait_loadcnt 0x2
	s_set_vgpr_msb 1                        ;  msbs: dst=0 src0=1 src1=0 src2=0
	v_pk_mul_f32 v[128:129], v[8:9] /*v[264:265]*/, v[212:213] op_sel:[1,1] op_sel_hi:[0,1]
	s_set_vgpr_msb 0                        ;  msbs: dst=0 src0=0 src1=0 src2=0
	v_mov_b32_e32 v119, v131
	v_pk_fma_f32 v[130:131], v[250:251], v[206:207], v[120:121] op_sel_hi:[1,0,1]
	v_pk_fma_f32 v[120:121], v[250:251], v[206:207], v[120:121] neg_lo:[0,0,1] neg_hi:[0,0,1]
	v_pk_add_f32 v[116:117], v[124:125], v[116:117]
	v_pk_fma_f32 v[124:125], v[252:253], v[208:209], v[122:123] op_sel_hi:[1,0,1]
	s_set_vgpr_msb 1                        ;  msbs: dst=0 src0=1 src1=0 src2=0
	v_pk_mul_f32 v[126:127], v[70:71] /*v[326:327]*/, v[126:127] op_sel_hi:[1,0]
	s_set_vgpr_msb 0                        ;  msbs: dst=0 src0=0 src1=0 src2=0
	v_mov_b32_e32 v121, v131
	v_pk_fma_f32 v[122:123], v[252:253], v[208:209], v[122:123] neg_lo:[0,0,1] neg_hi:[0,0,1]
	v_pk_add_f32 v[116:117], v[116:117], v[118:119]
	v_dual_mov_b32 v118, v215 :: v_dual_mov_b32 v123, v125
	v_pk_fma_f32 v[124:125], v[254:255], v[210:211], v[126:127] op_sel_hi:[1,0,1]
	v_pk_fma_f32 v[126:127], v[254:255], v[210:211], v[126:127] neg_lo:[0,0,1] neg_hi:[0,0,1]
	s_delay_alu instid0(VALU_DEP_4)
	v_pk_add_f32 v[116:117], v[116:117], v[120:121]
	s_set_vgpr_msb 1                        ;  msbs: dst=0 src0=1 src1=0 src2=0
	v_pk_fma_f32 v[120:121], v[8:9] /*v[264:265]*/, v[212:213], v[128:129] op_sel_hi:[1,0,1]
	v_pk_mul_f32 v[118:119], v[72:73] /*v[328:329]*/, v[118:119] op_sel_hi:[1,0]
	s_set_vgpr_msb 0                        ;  msbs: dst=0 src0=0 src1=0 src2=0
	v_mov_b32_e32 v127, v125
	s_wait_loadcnt_dscnt 0x100
	s_set_vgpr_msb 5                        ;  msbs: dst=0 src0=1 src1=1 src2=0
	v_pk_mul_f32 v[124:125], v[64:65] /*v[320:321]*/, v[60:61] /*v[316:317]*/ op_sel:[1,1] op_sel_hi:[0,1]
	s_set_vgpr_msb 0                        ;  msbs: dst=0 src0=0 src1=0 src2=0
	v_pk_add_f32 v[116:117], v[116:117], v[122:123]
	s_set_vgpr_msb 1                        ;  msbs: dst=0 src0=1 src1=0 src2=0
	v_pk_fma_f32 v[122:123], v[8:9] /*v[264:265]*/, v[212:213], v[128:129] neg_lo:[0,0,1] neg_hi:[0,0,1]
	s_set_vgpr_msb 0                        ;  msbs: dst=0 src0=0 src1=0 src2=0
	v_mov_b32_e32 v123, v121
	s_set_vgpr_msb 1                        ;  msbs: dst=0 src0=1 src1=0 src2=0
	v_pk_fma_f32 v[120:121], v[10:11] /*v[266:267]*/, v[214:215], v[118:119] op_sel_hi:[1,0,1]
	v_pk_fma_f32 v[118:119], v[10:11] /*v[266:267]*/, v[214:215], v[118:119] neg_lo:[0,0,1] neg_hi:[0,0,1]
	s_set_vgpr_msb 0                        ;  msbs: dst=0 src0=0 src1=0 src2=0
	v_pk_add_f32 v[116:117], v[116:117], v[126:127]
	s_delay_alu instid0(VALU_DEP_3)
	v_mov_b32_e32 v119, v121
	s_set_vgpr_msb 5                        ;  msbs: dst=0 src0=1 src1=1 src2=0
	v_pk_fma_f32 v[120:121], v[64:65] /*v[320:321]*/, v[60:61] /*v[316:317]*/, v[124:125] op_sel_hi:[1,0,1]
	s_set_vgpr_msb 0                        ;  msbs: dst=0 src0=0 src1=0 src2=0
	v_pk_add_f32 v[116:117], v[116:117], v[122:123]
	s_set_vgpr_msb 5                        ;  msbs: dst=0 src0=1 src1=1 src2=0
	v_pk_fma_f32 v[122:123], v[64:65] /*v[320:321]*/, v[60:61] /*v[316:317]*/, v[124:125] neg_lo:[0,0,1] neg_hi:[0,0,1]
	s_set_vgpr_msb 0                        ;  msbs: dst=0 src0=0 src1=0 src2=0
	v_mov_b32_e32 v123, v121
	v_pk_add_f32 v[116:117], v[116:117], v[118:119]
	s_delay_alu instid0(VALU_DEP_1) | instskip(SKIP_2) | instid1(VALU_DEP_1)
	v_pk_add_f32 v[116:117], v[116:117], v[122:123]
	s_wait_loadcnt 0x0
	s_set_vgpr_msb 1                        ;  msbs: dst=0 src0=1 src1=0 src2=0
	v_pk_add_f32 v[116:117], v[62:63] /*v[318:319]*/, v[116:117] neg_lo:[0,1] neg_hi:[0,1]
	scratch_store_b64 off, v[116:117], off offset:40
	s_wait_xcnt 0x0
	v_cmpx_lt_u32_e32 4, v0
	s_set_vgpr_msb 0                        ;  msbs: dst=0 src0=0 src1=0 src2=0
	s_cbranch_execz .LBB56_347
; %bb.346:
	scratch_load_b64 v[116:117], off, off offset:32
	v_mov_b64_e32 v[118:119], 0
	scratch_store_b64 off, v[118:119], off offset:32
	s_wait_loadcnt 0x0
	ds_store_b64 v1, v[116:117]
.LBB56_347:
	s_wait_xcnt 0x0
	s_or_b32 exec_lo, exec_lo, s0
	s_wait_storecnt_dscnt 0x0
	s_barrier_signal -1
	s_barrier_wait -1
	s_clause 0x18
	scratch_load_b128 v[116:119], off, off offset:40
	scratch_load_b128 v[120:123], off, off offset:56
	;; [unrolled: 1-line block ×25, first 2 shown]
	ds_load_2addr_b64 v[216:219], v7 offset0:63 offset1:64
	ds_load_2addr_b64 v[220:223], v7 offset0:65 offset1:66
	scratch_load_b128 v[224:227], off, off offset:440
	ds_load_2addr_b64 v[228:231], v7 offset0:67 offset1:68
	ds_load_2addr_b64 v[232:235], v7 offset0:69 offset1:70
	;; [unrolled: 1-line block ×7, first 2 shown]
	s_set_vgpr_msb 64                       ;  msbs: dst=1 src0=0 src1=0 src2=0
	ds_load_2addr_b64 v[0:3] /*v[256:259]*/, v7 offset0:109 offset1:110
	ds_load_2addr_b64 v[4:7] /*v[260:263]*/, v7 offset0:111 offset1:112
	;; [unrolled: 1-line block ×17, first 2 shown]
	scratch_load_b64 v[68:69] /*v[324:325]*/, off, off offset:32
	s_wait_dscnt 0x13
	v_dual_mov_b32 v70 /*v326*/, v247 :: v_dual_mov_b32 v71 /*v327*/, v246
	s_wait_dscnt 0x10
	s_set_vgpr_msb 0x41                     ;  msbs: dst=1 src0=1 src1=0 src2=0
	v_dual_mov_b32 v72 /*v328*/, v3 /*v259*/ :: v_dual_mov_b32 v73 /*v329*/, v2 /*v258*/
	s_wait_dscnt 0xf
	v_dual_mov_b32 v74 /*v330*/, v7 /*v263*/ :: v_dual_mov_b32 v75 /*v331*/, v6 /*v262*/
	s_wait_dscnt 0xc
	v_dual_mov_b32 v76 /*v332*/, v19 /*v275*/ :: v_dual_mov_b32 v77 /*v333*/, v18 /*v274*/
	s_mov_b32 s0, exec_lo
	s_wait_loadcnt 0x1a
	s_set_vgpr_msb 0                        ;  msbs: dst=0 src0=0 src1=0 src2=0
	v_dual_mul_f32 v7, v216, v117 :: v_dual_mul_f32 v9, v218, v119
	v_dual_mul_f32 v53, v217, v117 :: v_dual_mul_f32 v55, v219, v119
	s_wait_loadcnt 0x19
	v_dual_mul_f32 v11, v220, v121 :: v_dual_mul_f32 v13, v222, v123
	s_delay_alu instid0(VALU_DEP_2) | instskip(SKIP_3) | instid1(VALU_DEP_3)
	v_dual_fmac_f32 v7, v217, v116 :: v_dual_fma_f32 v53, v216, v116, -v53
	v_dual_mul_f32 v69, v221, v121 :: v_dual_mul_f32 v71, v223, v123
	s_wait_loadcnt 0x17
	v_dual_mul_f32 v103, v233, v129 :: v_dual_fmac_f32 v9, v219, v118
	v_dual_fma_f32 v55, v218, v118, -v55 :: v_dual_add_f32 v7, 0, v7
	v_dual_add_f32 v53, 0, v53 :: v_dual_mul_f32 v105, v235, v131
	v_dual_fmac_f32 v11, v221, v120 :: v_dual_fma_f32 v69, v220, v120, -v69
	s_delay_alu instid0(VALU_DEP_2)
	v_dual_add_f32 v7, v7, v9 :: v_dual_add_f32 v9, v53, v55
	v_dual_mul_f32 v15, v228, v125 :: v_dual_mul_f32 v17, v230, v127
	v_dual_mul_f32 v85, v229, v125 :: v_dual_mul_f32 v87, v231, v127
	s_wait_loadcnt 0x16
	v_dual_mul_f32 v53, v237, v133 :: v_dual_fmac_f32 v13, v223, v122
	v_dual_fma_f32 v55, v222, v122, -v71 :: v_dual_add_f32 v7, v7, v11
	v_dual_add_f32 v9, v9, v69 :: v_dual_mul_f32 v11, v239, v135
	v_dual_fmac_f32 v15, v229, v124 :: v_dual_fma_f32 v69, v228, v124, -v85
	s_delay_alu instid0(VALU_DEP_2) | instskip(SKIP_3) | instid1(VALU_DEP_3)
	v_dual_add_f32 v7, v7, v13 :: v_dual_add_f32 v9, v9, v55
	v_dual_mul_f32 v19, v232, v129 :: v_dual_mul_f32 v21, v234, v131
	s_wait_loadcnt 0x15
	v_dual_mul_f32 v13, v241, v137 :: v_dual_fmac_f32 v17, v231, v126
	v_dual_fma_f32 v55, v230, v126, -v87 :: v_dual_add_f32 v7, v7, v15
	v_dual_add_f32 v9, v9, v69 :: v_dual_mul_f32 v15, v243, v139
	v_fmac_f32_e32 v19, v233, v128
	s_delay_alu instid0(VALU_DEP_3) | instskip(NEXT) | instid1(VALU_DEP_3)
	v_dual_fma_f32 v69, v232, v128, -v103 :: v_dual_add_f32 v7, v7, v17
	v_dual_add_f32 v9, v9, v55 :: v_dual_mul_f32 v23, v236, v133
	s_wait_loadcnt 0x14
	v_dual_mul_f32 v25, v238, v135 :: v_dual_mul_f32 v17, v249, v141
	v_fmac_f32_e32 v21, v235, v130
	v_dual_fma_f32 v55, v234, v130, -v105 :: v_dual_add_f32 v7, v7, v19
	v_dual_add_f32 v9, v9, v69 :: v_dual_mul_f32 v19, v251, v143
	v_dual_fmac_f32 v23, v237, v132 :: v_dual_fma_f32 v53, v236, v132, -v53
	s_delay_alu instid0(VALU_DEP_2) | instskip(SKIP_3) | instid1(VALU_DEP_3)
	v_dual_add_f32 v7, v7, v21 :: v_dual_add_f32 v9, v9, v55
	v_dual_mul_f32 v27, v240, v137 :: v_dual_mul_f32 v29, v242, v139
	s_wait_loadcnt 0x13
	v_dual_mul_f32 v21, v253, v145 :: v_dual_fmac_f32 v25, v239, v134
	v_dual_fma_f32 v11, v238, v134, -v11 :: v_dual_add_f32 v7, v7, v23
	v_dual_add_f32 v9, v9, v53 :: v_dual_mul_f32 v23, v255, v147
	v_dual_fmac_f32 v27, v241, v136 :: v_dual_fma_f32 v13, v240, v136, -v13
	s_delay_alu instid0(VALU_DEP_2) | instskip(SKIP_2) | instid1(VALU_DEP_3)
	v_dual_add_f32 v7, v7, v25 :: v_dual_add_f32 v9, v9, v11
	v_dual_mul_f32 v31, v248, v141 :: v_dual_mul_f32 v33, v250, v143
	v_dual_fmac_f32 v29, v243, v138 :: v_dual_fma_f32 v15, v242, v138, -v15
	v_dual_add_f32 v7, v7, v27 :: v_dual_add_f32 v9, v9, v13
	s_delay_alu instid0(VALU_DEP_3) | instskip(SKIP_1) | instid1(VALU_DEP_3)
	v_dual_fmac_f32 v31, v249, v140 :: v_dual_fma_f32 v17, v248, v140, -v17
	v_dual_mul_f32 v35, v252, v145 :: v_dual_mul_f32 v37, v254, v147
	v_dual_add_f32 v7, v7, v29 :: v_dual_add_f32 v9, v9, v15
	v_dual_fmac_f32 v33, v251, v142 :: v_dual_fma_f32 v19, v250, v142, -v19
	s_delay_alu instid0(VALU_DEP_3) | instskip(NEXT) | instid1(VALU_DEP_3)
	v_dual_fmac_f32 v35, v253, v144 :: v_dual_fma_f32 v21, v252, v144, -v21
	v_dual_add_f32 v7, v7, v31 :: v_dual_add_f32 v9, v9, v17
	s_wait_loadcnt 0x12
	s_set_vgpr_msb 1                        ;  msbs: dst=0 src0=1 src1=0 src2=0
	v_dual_mul_f32 v11, v9 /*v265*/, v149 :: v_dual_mul_f32 v13, v11 /*v267*/, v151
	s_set_vgpr_msb 0                        ;  msbs: dst=0 src0=0 src1=0 src2=0
	v_dual_fmac_f32 v37, v255, v146 :: v_dual_fma_f32 v23, v254, v146, -v23
	v_dual_add_f32 v7, v7, v33 :: v_dual_add_f32 v9, v9, v19
	s_set_vgpr_msb 1                        ;  msbs: dst=0 src0=1 src1=0 src2=0
	v_dual_mul_f32 v39, v8 /*v264*/, v149 :: v_dual_mul_f32 v41, v10 /*v266*/, v151
	v_fma_f32 v11, v8 /*v264*/, v148, -v11
	s_set_vgpr_msb 0                        ;  msbs: dst=0 src0=0 src1=0 src2=0
	v_dual_add_f32 v7, v7, v35 :: v_dual_add_f32 v9, v9, v21
	s_wait_loadcnt 0x11
	s_set_vgpr_msb 1                        ;  msbs: dst=0 src0=1 src1=0 src2=0
	v_dual_mul_f32 v15, v13 /*v269*/, v153 :: v_dual_mul_f32 v17, v15 /*v271*/, v155
	v_dual_fmac_f32 v39, v9 /*v265*/, v148 :: v_dual_fmac_f32 v41, v11 /*v267*/, v150
	s_set_vgpr_msb 0                        ;  msbs: dst=0 src0=0 src1=0 src2=0
	v_dual_add_f32 v7, v7, v37 :: v_dual_add_f32 v9, v9, v23
	s_wait_loadcnt_dscnt 0xf0a
	s_set_vgpr_msb 1                        ;  msbs: dst=0 src0=1 src1=0 src2=0
	v_dual_mul_f32 v23, v25 /*v281*/, v161 :: v_dual_fma_f32 v13, v10 /*v266*/, v150, -v13
	v_dual_mul_f32 v43, v12 /*v268*/, v153 :: v_dual_mul_f32 v45, v14 /*v270*/, v155
	s_set_vgpr_msb 0                        ;  msbs: dst=0 src0=0 src1=0 src2=0
	v_add_f32_e32 v9, v9, v11
	s_set_vgpr_msb 1                        ;  msbs: dst=0 src0=1 src1=0 src2=0
	v_mul_f32_e32 v11, v27 /*v283*/, v163
	s_set_vgpr_msb 0                        ;  msbs: dst=0 src0=0 src1=0 src2=0
	v_add_f32_e32 v7, v7, v39
	s_set_vgpr_msb 1                        ;  msbs: dst=0 src0=1 src1=0 src2=0
	v_dual_fma_f32 v15, v12 /*v268*/, v152, -v15 :: v_dual_mul_f32 v19, v21 /*v277*/, v157
	v_mul_f32_e32 v21, v23 /*v279*/, v159
	s_set_vgpr_msb 0                        ;  msbs: dst=0 src0=0 src1=0 src2=0
	v_add_f32_e32 v9, v9, v13
	s_set_vgpr_msb 1                        ;  msbs: dst=0 src0=1 src1=0 src2=0
	v_dual_fmac_f32 v43, v13 /*v269*/, v152 :: v_dual_fmac_f32 v45, v15 /*v271*/, v154
	s_set_vgpr_msb 0                        ;  msbs: dst=0 src0=0 src1=0 src2=0
	v_add_f32_e32 v7, v7, v41
	s_wait_loadcnt_dscnt 0xe09
	s_set_vgpr_msb 1                        ;  msbs: dst=0 src0=1 src1=0 src2=0
	v_dual_mul_f32 v13, v29 /*v285*/, v165 :: v_dual_fma_f32 v17, v14 /*v270*/, v154, -v17
	s_set_vgpr_msb 0                        ;  msbs: dst=0 src0=0 src1=0 src2=0
	v_add_f32_e32 v9, v9, v15
	s_set_vgpr_msb 1                        ;  msbs: dst=0 src0=1 src1=0 src2=0
	v_dual_mul_f32 v47, v20 /*v276*/, v157 :: v_dual_mul_f32 v49, v22 /*v278*/, v159
	v_mul_f32_e32 v15, v31 /*v287*/, v167
	s_set_vgpr_msb 0                        ;  msbs: dst=0 src0=0 src1=0 src2=0
	v_dual_add_f32 v7, v7, v43 :: v_dual_add_f32 v9, v9, v17
	s_wait_loadcnt_dscnt 0xd08
	s_set_vgpr_msb 1                        ;  msbs: dst=0 src0=1 src1=0 src2=0
	v_dual_fma_f32 v19, v20 /*v276*/, v156, -v19 :: v_dual_mul_f32 v17, v33 /*v289*/, v169
	v_dual_fmac_f32 v47, v21 /*v277*/, v156 :: v_dual_fmac_f32 v49, v23 /*v279*/, v158
	s_set_vgpr_msb 0                        ;  msbs: dst=0 src0=0 src1=0 src2=0
	v_add_f32_e32 v7, v7, v45
	s_set_vgpr_msb 1                        ;  msbs: dst=0 src0=1 src1=0 src2=0
	v_fma_f32 v21, v22 /*v278*/, v158, -v21
	s_set_vgpr_msb 0                        ;  msbs: dst=0 src0=0 src1=0 src2=0
	v_add_f32_e32 v9, v9, v19
	s_set_vgpr_msb 1                        ;  msbs: dst=0 src0=1 src1=0 src2=0
	v_dual_mul_f32 v51, v24 /*v280*/, v161 :: v_dual_mul_f32 v57, v26 /*v282*/, v163
	v_mul_f32_e32 v19, v35 /*v291*/, v171
	s_set_vgpr_msb 0                        ;  msbs: dst=0 src0=0 src1=0 src2=0
	v_dual_add_f32 v7, v7, v47 :: v_dual_add_f32 v9, v9, v21
	s_wait_loadcnt_dscnt 0xc07
	s_set_vgpr_msb 1                        ;  msbs: dst=0 src0=1 src1=0 src2=0
	v_dual_fma_f32 v23, v24 /*v280*/, v160, -v23 :: v_dual_mul_f32 v21, v37 /*v293*/, v173
	v_dual_mul_f32 v59, v28 /*v284*/, v165 :: v_dual_mul_f32 v61, v30 /*v286*/, v167
	v_dual_mul_f32 v63, v32 /*v288*/, v169 :: v_dual_mul_f32 v65, v34 /*v290*/, v171
	v_dual_fmac_f32 v51, v25 /*v281*/, v160 :: v_dual_fmac_f32 v57, v27 /*v283*/, v162
	v_fma_f32 v11, v26 /*v282*/, v162, -v11
	s_set_vgpr_msb 0                        ;  msbs: dst=0 src0=0 src1=0 src2=0
	v_dual_add_f32 v9, v9, v23 :: v_dual_add_f32 v7, v7, v49
	s_set_vgpr_msb 1                        ;  msbs: dst=0 src0=1 src1=0 src2=0
	v_dual_mul_f32 v23, v39 /*v295*/, v175 :: v_dual_fmac_f32 v59, v29 /*v285*/, v164
	v_fma_f32 v13, v28 /*v284*/, v164, -v13
	v_dual_fmac_f32 v61, v31 /*v287*/, v166 :: v_dual_fmac_f32 v63, v33 /*v289*/, v168
	s_set_vgpr_msb 0                        ;  msbs: dst=0 src0=0 src1=0 src2=0
	v_add_f32_e32 v9, v9, v11
	s_set_vgpr_msb 1                        ;  msbs: dst=0 src0=1 src1=0 src2=0
	v_dual_mul_f32 v67, v36 /*v292*/, v173 :: v_dual_mul_f32 v73, v38 /*v294*/, v175
	s_set_vgpr_msb 0                        ;  msbs: dst=0 src0=0 src1=0 src2=0
	v_add_f32_e32 v7, v7, v51
	s_wait_loadcnt_dscnt 0xb06
	s_set_vgpr_msb 1                        ;  msbs: dst=0 src0=1 src1=0 src2=0
	v_dual_mul_f32 v11, v41 /*v297*/, v177 :: v_dual_fma_f32 v15, v30 /*v286*/, v166, -v15
	s_set_vgpr_msb 0                        ;  msbs: dst=0 src0=0 src1=0 src2=0
	v_add_f32_e32 v9, v9, v13
	s_set_vgpr_msb 1                        ;  msbs: dst=0 src0=1 src1=0 src2=0
	v_dual_mul_f32 v13, v43 /*v299*/, v179 :: v_dual_fma_f32 v17, v32 /*v288*/, v168, -v17
	s_set_vgpr_msb 0                        ;  msbs: dst=0 src0=0 src1=0 src2=0
	v_add_f32_e32 v7, v7, v57
	s_set_vgpr_msb 1                        ;  msbs: dst=0 src0=1 src1=0 src2=0
	v_dual_fmac_f32 v65, v35 /*v291*/, v170 :: v_dual_fmac_f32 v67, v37 /*v293*/, v172
	s_set_vgpr_msb 0                        ;  msbs: dst=0 src0=0 src1=0 src2=0
	v_add_f32_e32 v9, v9, v15
	s_set_vgpr_msb 1                        ;  msbs: dst=0 src0=1 src1=0 src2=0
	v_dual_mul_f32 v75, v40 /*v296*/, v177 :: v_dual_mul_f32 v77, v42 /*v298*/, v179
	s_set_vgpr_msb 0                        ;  msbs: dst=0 src0=0 src1=0 src2=0
	v_add_f32_e32 v7, v7, v59
	s_wait_loadcnt_dscnt 0xa05
	s_set_vgpr_msb 1                        ;  msbs: dst=0 src0=1 src1=0 src2=0
	v_dual_mul_f32 v15, v45 /*v301*/, v181 :: v_dual_fma_f32 v19, v34 /*v290*/, v170, -v19
	s_set_vgpr_msb 0                        ;  msbs: dst=0 src0=0 src1=0 src2=0
	v_add_f32_e32 v9, v9, v17
	s_set_vgpr_msb 1                        ;  msbs: dst=0 src0=1 src1=0 src2=0
	v_dual_mul_f32 v17, v47 /*v303*/, v183 :: v_dual_fma_f32 v21, v36 /*v292*/, v172, -v21
	s_set_vgpr_msb 0                        ;  msbs: dst=0 src0=0 src1=0 src2=0
	v_add_f32_e32 v7, v7, v61
	s_set_vgpr_msb 1                        ;  msbs: dst=0 src0=1 src1=0 src2=0
	v_dual_fmac_f32 v73, v39 /*v295*/, v174 :: v_dual_fmac_f32 v75, v41 /*v297*/, v176
	s_set_vgpr_msb 0                        ;  msbs: dst=0 src0=0 src1=0 src2=0
	v_add_f32_e32 v9, v9, v19
	s_set_vgpr_msb 1                        ;  msbs: dst=0 src0=1 src1=0 src2=0
	v_dual_mul_f32 v79, v44 /*v300*/, v181 :: v_dual_mul_f32 v81, v46 /*v302*/, v183
	s_set_vgpr_msb 0                        ;  msbs: dst=0 src0=0 src1=0 src2=0
	v_add_f32_e32 v7, v7, v63
	s_wait_loadcnt_dscnt 0x904
	s_set_vgpr_msb 1                        ;  msbs: dst=0 src0=1 src1=0 src2=0
	v_dual_mul_f32 v19, v49 /*v305*/, v185 :: v_dual_fma_f32 v23, v38 /*v294*/, v174, -v23
	s_set_vgpr_msb 0                        ;  msbs: dst=0 src0=0 src1=0 src2=0
	v_add_f32_e32 v9, v9, v21
	s_set_vgpr_msb 1                        ;  msbs: dst=0 src0=1 src1=0 src2=0
	v_dual_mul_f32 v83, v48 /*v304*/, v185 :: v_dual_mul_f32 v89, v50 /*v306*/, v187
	v_dual_mul_f32 v21, v51 /*v307*/, v187 :: v_dual_fma_f32 v11, v40 /*v296*/, v176, -v11
	v_dual_fmac_f32 v77, v43 /*v299*/, v178 :: v_dual_fmac_f32 v79, v45 /*v301*/, v180
	s_set_vgpr_msb 0                        ;  msbs: dst=0 src0=0 src1=0 src2=0
	v_dual_add_f32 v9, v9, v23 :: v_dual_add_f32 v7, v7, v65
	s_wait_loadcnt_dscnt 0x803
	s_set_vgpr_msb 1                        ;  msbs: dst=0 src0=1 src1=0 src2=0
	v_dual_mul_f32 v23, v53 /*v309*/, v189 :: v_dual_fma_f32 v13, v42 /*v298*/, v178, -v13
	v_dual_fmac_f32 v81, v47 /*v303*/, v182 :: v_dual_fmac_f32 v83, v49 /*v305*/, v184
	s_set_vgpr_msb 0                        ;  msbs: dst=0 src0=0 src1=0 src2=0
	v_add_f32_e32 v9, v9, v11
	s_set_vgpr_msb 1                        ;  msbs: dst=0 src0=1 src1=0 src2=0
	v_dual_mul_f32 v91, v52 /*v308*/, v189 :: v_dual_mul_f32 v93, v54 /*v310*/, v191
	s_set_vgpr_msb 0                        ;  msbs: dst=0 src0=0 src1=0 src2=0
	v_add_f32_e32 v7, v7, v67
	s_set_vgpr_msb 1                        ;  msbs: dst=0 src0=1 src1=0 src2=0
	v_dual_mul_f32 v11, v55 /*v311*/, v191 :: v_dual_fma_f32 v15, v44 /*v300*/, v180, -v15
	s_set_vgpr_msb 0                        ;  msbs: dst=0 src0=0 src1=0 src2=0
	v_add_f32_e32 v9, v9, v13
	s_wait_loadcnt_dscnt 0x702
	s_set_vgpr_msb 1                        ;  msbs: dst=0 src0=1 src1=0 src2=0
	v_dual_mul_f32 v13, v57 /*v313*/, v193 :: v_dual_fma_f32 v17, v46 /*v302*/, v182, -v17
	s_set_vgpr_msb 0                        ;  msbs: dst=0 src0=0 src1=0 src2=0
	v_add_f32_e32 v7, v7, v73
	s_set_vgpr_msb 1                        ;  msbs: dst=0 src0=1 src1=0 src2=0
	v_dual_fmac_f32 v89, v51 /*v307*/, v186 :: v_dual_fmac_f32 v91, v53 /*v309*/, v188
	s_set_vgpr_msb 0                        ;  msbs: dst=0 src0=0 src1=0 src2=0
	v_add_f32_e32 v9, v9, v15
	s_set_vgpr_msb 1                        ;  msbs: dst=0 src0=1 src1=0 src2=0
	v_dual_mul_f32 v95, v56 /*v312*/, v193 :: v_dual_mul_f32 v97, v58 /*v314*/, v195
	s_set_vgpr_msb 0                        ;  msbs: dst=0 src0=0 src1=0 src2=0
	v_add_f32_e32 v7, v7, v75
	s_set_vgpr_msb 1                        ;  msbs: dst=0 src0=1 src1=0 src2=0
	v_dual_mul_f32 v15, v59 /*v315*/, v195 :: v_dual_fma_f32 v19, v48 /*v304*/, v184, -v19
	s_set_vgpr_msb 0                        ;  msbs: dst=0 src0=0 src1=0 src2=0
	v_add_f32_e32 v9, v9, v17
	s_wait_loadcnt_dscnt 0x601
	s_set_vgpr_msb 1                        ;  msbs: dst=0 src0=1 src1=0 src2=0
	v_dual_mul_f32 v17, v61 /*v317*/, v197 :: v_dual_fma_f32 v21, v50 /*v306*/, v186, -v21
	s_set_vgpr_msb 0                        ;  msbs: dst=0 src0=0 src1=0 src2=0
	v_add_f32_e32 v7, v7, v77
	s_set_vgpr_msb 1                        ;  msbs: dst=0 src0=1 src1=0 src2=0
	v_dual_fmac_f32 v93, v55 /*v311*/, v190 :: v_dual_fmac_f32 v95, v57 /*v313*/, v192
	s_set_vgpr_msb 0                        ;  msbs: dst=0 src0=0 src1=0 src2=0
	v_add_f32_e32 v9, v9, v19
	s_set_vgpr_msb 1                        ;  msbs: dst=0 src0=1 src1=0 src2=0
	v_dual_mul_f32 v19, v63 /*v319*/, v199 :: v_dual_fma_f32 v23, v52 /*v308*/, v188, -v23
	s_set_vgpr_msb 0                        ;  msbs: dst=0 src0=0 src1=0 src2=0
	v_add_f32_e32 v7, v7, v79
	s_set_vgpr_msb 1                        ;  msbs: dst=0 src0=1 src1=0 src2=0
	v_fma_f32 v11, v54 /*v310*/, v190, -v11
	s_set_vgpr_msb 0                        ;  msbs: dst=0 src0=0 src1=0 src2=0
	v_add_f32_e32 v9, v9, v21
	s_wait_loadcnt_dscnt 0x500
	s_set_vgpr_msb 1                        ;  msbs: dst=0 src0=1 src1=0 src2=0
	v_dual_mul_f32 v21, v65 /*v321*/, v201 :: v_dual_fma_f32 v13, v56 /*v312*/, v192, -v13
	s_set_vgpr_msb 0                        ;  msbs: dst=0 src0=0 src1=0 src2=0
	v_add_f32_e32 v7, v7, v81
	s_set_vgpr_msb 1                        ;  msbs: dst=0 src0=1 src1=0 src2=0
	v_fmac_f32_e32 v97, v59 /*v315*/, v194
	s_wait_loadcnt 0x4
	s_set_vgpr_msb 0                        ;  msbs: dst=0 src0=0 src1=0 src2=0
	v_dual_add_f32 v9, v9, v23 :: v_dual_mov_b32 v122, v207
	s_set_vgpr_msb 1                        ;  msbs: dst=0 src0=1 src1=0 src2=0
	v_dual_mul_f32 v23, v67 /*v323*/, v203 :: v_dual_mul_f32 v99, v60 /*v316*/, v197
	v_mul_f32_e32 v101, v62 /*v318*/, v199
	s_set_vgpr_msb 0                        ;  msbs: dst=0 src0=0 src1=0 src2=0
	v_add_f32_e32 v9, v9, v11
	v_add_f32_e32 v7, v7, v83
	s_set_vgpr_msb 1                        ;  msbs: dst=0 src0=1 src1=0 src2=0
	v_fma_f32 v11, v58 /*v314*/, v194, -v15
	v_fmac_f32_e32 v99, v61 /*v317*/, v196
	s_wait_loadcnt 0x3
	s_set_vgpr_msb 0                        ;  msbs: dst=0 src0=0 src1=0 src2=0
	v_dual_mov_b32 v126, v211 :: v_dual_add_f32 v9, v9, v13
	v_add_f32_e32 v7, v7, v89
	s_set_vgpr_msb 1                        ;  msbs: dst=0 src0=1 src1=0 src2=0
	v_fma_f32 v13, v60 /*v316*/, v196, -v17
	v_dual_mul_f32 v117, v64 /*v320*/, v201 :: v_dual_mul_f32 v119, v66 /*v322*/, v203
	s_set_vgpr_msb 0                        ;  msbs: dst=0 src0=0 src1=0 src2=0
	v_add_f32_e32 v9, v9, v11
	v_add_f32_e32 v7, v7, v91
	s_set_vgpr_msb 1                        ;  msbs: dst=0 src0=1 src1=0 src2=0
	v_dual_fmac_f32 v101, v63 /*v319*/, v198 :: v_dual_fma_f32 v11, v62 /*v318*/, v198, -v19
	s_set_vgpr_msb 0                        ;  msbs: dst=0 src0=0 src1=0 src2=0
	v_pk_mul_f32 v[120:121], v[244:245], v[204:205] op_sel:[1,1] op_sel_hi:[0,1]
	v_add_f32_e32 v9, v9, v13
	v_add_f32_e32 v7, v7, v93
	s_set_vgpr_msb 1                        ;  msbs: dst=0 src0=1 src1=0 src2=0
	v_dual_fmac_f32 v117, v65 /*v321*/, v200 :: v_dual_fmac_f32 v119, v67 /*v323*/, v202
	v_dual_fma_f32 v116, v64 /*v320*/, v200, -v21 :: v_dual_fma_f32 v118, v66 /*v322*/, v202, -v23
	s_set_vgpr_msb 0                        ;  msbs: dst=0 src0=0 src1=0 src2=0
	v_add_f32_e32 v7, v7, v95
	v_add_f32_e32 v128, v9, v11
	v_pk_fma_f32 v[130:131], v[244:245], v[204:205], v[120:121] op_sel_hi:[1,0,1]
	s_set_vgpr_msb 1                        ;  msbs: dst=0 src0=1 src1=0 src2=0
	v_pk_mul_f32 v[122:123], v[70:71] /*v[326:327]*/, v[122:123] op_sel_hi:[1,0]
	s_set_vgpr_msb 0                        ;  msbs: dst=0 src0=0 src1=0 src2=0
	v_pk_fma_f32 v[120:121], v[244:245], v[204:205], v[120:121] neg_lo:[0,0,1] neg_hi:[0,0,1]
	v_add_f32_e32 v7, v7, v97
	s_set_vgpr_msb 1                        ;  msbs: dst=0 src0=1 src1=0 src2=0
	v_pk_mul_f32 v[124:125], v[0:1] /*v[256:257]*/, v[208:209] op_sel:[1,1] op_sel_hi:[0,1]
	s_set_vgpr_msb 0                        ;  msbs: dst=0 src0=0 src1=0 src2=0
	v_mov_b32_e32 v121, v131
	v_pk_fma_f32 v[130:131], v[246:247], v[206:207], v[122:123] op_sel_hi:[1,0,1]
	v_pk_fma_f32 v[122:123], v[246:247], v[206:207], v[122:123] neg_lo:[0,0,1] neg_hi:[0,0,1]
	v_add_f32_e32 v7, v7, v99
	s_set_vgpr_msb 1                        ;  msbs: dst=0 src0=1 src1=0 src2=0
	v_pk_mul_f32 v[126:127], v[72:73] /*v[328:329]*/, v[126:127] op_sel_hi:[1,0]
	s_set_vgpr_msb 0                        ;  msbs: dst=0 src0=0 src1=0 src2=0
	v_mov_b32_e32 v123, v131
	v_add_f32_e32 v129, v7, v101
	s_delay_alu instid0(VALU_DEP_1)
	v_pk_add_f32 v[116:117], v[128:129], v[116:117]
	s_wait_loadcnt 0x2
	s_set_vgpr_msb 1                        ;  msbs: dst=0 src0=1 src1=0 src2=0
	v_pk_mul_f32 v[128:129], v[4:5] /*v[260:261]*/, v[212:213] op_sel:[1,1] op_sel_hi:[0,1]
	s_set_vgpr_msb 0                        ;  msbs: dst=0 src0=0 src1=0 src2=0
	v_pk_add_f32 v[116:117], v[116:117], v[118:119]
	s_set_vgpr_msb 1                        ;  msbs: dst=0 src0=1 src1=0 src2=0
	v_pk_fma_f32 v[118:119], v[0:1] /*v[256:257]*/, v[208:209], v[124:125] op_sel_hi:[1,0,1]
	s_set_vgpr_msb 0                        ;  msbs: dst=0 src0=0 src1=0 src2=0
	v_mov_b32_e32 v118, v215
	v_pk_add_f32 v[116:117], v[116:117], v[120:121]
	s_set_vgpr_msb 1                        ;  msbs: dst=0 src0=1 src1=0 src2=0
	v_pk_fma_f32 v[120:121], v[0:1] /*v[256:257]*/, v[208:209], v[124:125] neg_lo:[0,0,1] neg_hi:[0,0,1]
	s_set_vgpr_msb 0                        ;  msbs: dst=0 src0=0 src1=0 src2=0
	v_mov_b32_e32 v121, v119
	s_set_vgpr_msb 1                        ;  msbs: dst=0 src0=1 src1=0 src2=0
	v_pk_fma_f32 v[124:125], v[2:3] /*v[258:259]*/, v[210:211], v[126:127] op_sel_hi:[1,0,1]
	v_pk_mul_f32 v[118:119], v[74:75] /*v[330:331]*/, v[118:119] op_sel_hi:[1,0]
	s_set_vgpr_msb 0                        ;  msbs: dst=0 src0=0 src1=0 src2=0
	v_pk_add_f32 v[116:117], v[116:117], v[122:123]
	s_set_vgpr_msb 1                        ;  msbs: dst=0 src0=1 src1=0 src2=0
	v_pk_fma_f32 v[122:123], v[4:5] /*v[260:261]*/, v[212:213], v[128:129] op_sel_hi:[1,0,1]
	v_pk_fma_f32 v[126:127], v[2:3] /*v[258:259]*/, v[210:211], v[126:127] neg_lo:[0,0,1] neg_hi:[0,0,1]
	s_set_vgpr_msb 0                        ;  msbs: dst=0 src0=0 src1=0 src2=0
	v_mov_b32_e32 v127, v125
	s_set_vgpr_msb 1                        ;  msbs: dst=0 src0=1 src1=0 src2=0
	v_pk_fma_f32 v[124:125], v[4:5] /*v[260:261]*/, v[212:213], v[128:129] neg_lo:[0,0,1] neg_hi:[0,0,1]
	s_set_vgpr_msb 0                        ;  msbs: dst=0 src0=0 src1=0 src2=0
	v_pk_add_f32 v[116:117], v[116:117], v[120:121]
	v_mov_b32_e32 v125, v123
	s_set_vgpr_msb 1                        ;  msbs: dst=0 src0=1 src1=0 src2=0
	v_pk_fma_f32 v[122:123], v[6:7] /*v[262:263]*/, v[214:215], v[118:119] op_sel_hi:[1,0,1]
	s_wait_loadcnt 0x1
	v_pk_mul_f32 v[120:121], v[16:17] /*v[272:273]*/, v[224:225] op_sel:[1,1] op_sel_hi:[0,1]
	s_set_vgpr_msb 0                        ;  msbs: dst=0 src0=0 src1=0 src2=0
	v_mov_b32_e32 v122, v227
	v_pk_add_f32 v[116:117], v[116:117], v[126:127]
	s_set_vgpr_msb 1                        ;  msbs: dst=0 src0=1 src1=0 src2=0
	v_pk_fma_f32 v[118:119], v[6:7] /*v[262:263]*/, v[214:215], v[118:119] neg_lo:[0,0,1] neg_hi:[0,0,1]
	v_pk_fma_f32 v[126:127], v[16:17] /*v[272:273]*/, v[224:225], v[120:121] op_sel_hi:[1,0,1]
	s_set_vgpr_msb 0                        ;  msbs: dst=0 src0=0 src1=0 src2=0
	v_mov_b32_e32 v119, v123
	v_pk_add_f32 v[116:117], v[116:117], v[124:125]
	s_set_vgpr_msb 1                        ;  msbs: dst=0 src0=1 src1=0 src2=0
	v_pk_mul_f32 v[122:123], v[76:77] /*v[332:333]*/, v[122:123] op_sel_hi:[1,0]
	v_pk_fma_f32 v[120:121], v[16:17] /*v[272:273]*/, v[224:225], v[120:121] neg_lo:[0,0,1] neg_hi:[0,0,1]
	s_set_vgpr_msb 0                        ;  msbs: dst=0 src0=0 src1=0 src2=0
	v_mov_b32_e32 v121, v127
	v_pk_add_f32 v[116:117], v[116:117], v[118:119]
	s_set_vgpr_msb 1                        ;  msbs: dst=0 src0=1 src1=0 src2=0
	v_pk_fma_f32 v[118:119], v[18:19] /*v[274:275]*/, v[226:227], v[122:123] op_sel_hi:[1,0,1]
	v_pk_fma_f32 v[122:123], v[18:19] /*v[274:275]*/, v[226:227], v[122:123] neg_lo:[0,0,1] neg_hi:[0,0,1]
	s_set_vgpr_msb 0                        ;  msbs: dst=0 src0=0 src1=0 src2=0
	v_pk_add_f32 v[116:117], v[116:117], v[120:121]
	s_delay_alu instid0(VALU_DEP_3) | instskip(NEXT) | instid1(VALU_DEP_1)
	v_mov_b32_e32 v123, v119
	v_pk_add_f32 v[116:117], v[116:117], v[122:123]
	s_wait_loadcnt 0x0
	s_set_vgpr_msb 1                        ;  msbs: dst=0 src0=1 src1=0 src2=0
	s_delay_alu instid0(VALU_DEP_1)
	v_pk_add_f32 v[116:117], v[68:69] /*v[324:325]*/, v[116:117] neg_lo:[0,1] neg_hi:[0,1]
	scratch_store_b64 off, v[116:117], off offset:32
	s_wait_xcnt 0x0
	v_cmpx_lt_u32_e32 3, v0
	s_set_vgpr_msb 0                        ;  msbs: dst=0 src0=0 src1=0 src2=0
	s_cbranch_execz .LBB56_349
; %bb.348:
	scratch_load_b64 v[116:117], off, off offset:24
	v_mov_b64_e32 v[118:119], 0
	scratch_store_b64 off, v[118:119], off offset:24
	s_wait_loadcnt 0x0
	ds_store_b64 v1, v[116:117]
.LBB56_349:
	s_wait_xcnt 0x0
	s_or_b32 exec_lo, exec_lo, s0
	s_wait_storecnt_dscnt 0x0
	s_barrier_signal -1
	s_barrier_wait -1
	s_clause 0x1c
	scratch_load_b128 v[116:119], off, off offset:32
	scratch_load_b128 v[120:123], off, off offset:48
	;; [unrolled: 1-line block ×26, first 2 shown]
	s_set_vgpr_msb 64                       ;  msbs: dst=1 src0=0 src1=0 src2=0
	scratch_load_b64 v[68:69] /*v[324:325]*/, off, off offset:448
	scratch_load_b64 v[70:71] /*v[326:327]*/, off, off offset:24
	s_set_vgpr_msb 0                        ;  msbs: dst=0 src0=0 src1=0 src2=0
	v_mov_b32_e32 v7, 0
	ds_load_b128 v[220:223], v7 offset:496
	ds_load_b128 v[224:227], v7 offset:512
	;; [unrolled: 1-line block ×9, first 2 shown]
	s_set_vgpr_msb 64                       ;  msbs: dst=1 src0=0 src1=0 src2=0
	ds_load_b128 v[0:3] /*v[256:259]*/, v7 offset:864
	ds_load_b128 v[4:7] /*v[260:263]*/, v7 offset:880
	;; [unrolled: 1-line block ×17, first 2 shown]
	ds_load_b64 v[72:73] /*v[328:329]*/, v7 offset:912
	s_wait_dscnt 0x14
	v_dual_mov_b32 v74 /*v330*/, v247 :: v_dual_mov_b32 v75 /*v331*/, v246
	s_wait_dscnt 0x11
	s_set_vgpr_msb 0x41                     ;  msbs: dst=1 src0=1 src1=0 src2=0
	v_dual_mov_b32 v76 /*v332*/, v3 /*v259*/ :: v_dual_mov_b32 v77 /*v333*/, v2 /*v258*/
	s_wait_dscnt 0x10
	v_dual_mov_b32 v78 /*v334*/, v7 /*v263*/ :: v_dual_mov_b32 v79 /*v335*/, v6 /*v262*/
	s_wait_dscnt 0xd
	v_dual_mov_b32 v80 /*v336*/, v19 /*v275*/ :: v_dual_mov_b32 v81 /*v337*/, v18 /*v274*/
	s_mov_b32 s0, exec_lo
	s_wait_loadcnt 0x1b
	s_set_vgpr_msb 0                        ;  msbs: dst=0 src0=0 src1=0 src2=0
	v_dual_mul_f32 v9, v220, v117 :: v_dual_mul_f32 v11, v222, v119
	s_wait_loadcnt 0x1a
	v_mul_f32_e32 v13, v224, v121
	v_dual_mul_f32 v95, v221, v117 :: v_dual_mul_f32 v97, v223, v119
	v_mul_f32_e32 v99, v225, v121
	s_wait_loadcnt 0x14
	v_dual_fmac_f32 v9, v221, v116 :: v_dual_mul_f32 v39, v254, v147
	s_delay_alu instid0(VALU_DEP_3) | instskip(SKIP_1) | instid1(VALU_DEP_3)
	v_dual_fma_f32 v95, v220, v116, -v95 :: v_dual_mul_f32 v109, v235, v131
	v_dual_fma_f32 v97, v222, v118, -v97 :: v_dual_fmac_f32 v11, v223, v118
	v_dual_add_f32 v9, 0, v9 :: v_dual_mul_f32 v15, v226, v123
	v_dual_mul_f32 v17, v228, v125 :: v_dual_mul_f32 v101, v227, v123
	s_delay_alu instid0(VALU_DEP_4)
	v_dual_mul_f32 v103, v229, v125 :: v_dual_add_f32 v95, 0, v95
	v_dual_mul_f32 v111, v237, v133 :: v_dual_fma_f32 v99, v224, v120, -v99
	v_fmac_f32_e32 v13, v225, v120
	s_wait_loadcnt_dscnt 0x601
	s_set_vgpr_msb 1                        ;  msbs: dst=0 src0=1 src1=0 src2=0
	v_mul_f32_e32 v93, v64 /*v320*/, v201
	s_set_vgpr_msb 0                        ;  msbs: dst=0 src0=0 src1=0 src2=0
	v_dual_add_f32 v9, v9, v11 :: v_dual_fmac_f32 v15, v227, v122
	v_add_f32_e32 v11, v95, v97
	v_dual_mul_f32 v95, v239, v135 :: v_dual_fma_f32 v97, v226, v122, -v101
	s_delay_alu instid0(VALU_DEP_3) | instskip(NEXT) | instid1(VALU_DEP_3)
	v_dual_add_f32 v9, v9, v13 :: v_dual_mul_f32 v19, v230, v127
	v_dual_mul_f32 v21, v232, v129 :: v_dual_add_f32 v11, v11, v99
	v_dual_mul_f32 v105, v231, v127 :: v_dual_mul_f32 v107, v233, v129
	v_dual_mul_f32 v13, v241, v137 :: v_dual_fma_f32 v99, v228, v124, -v103
	s_delay_alu instid0(VALU_DEP_3) | instskip(SKIP_1) | instid1(VALU_DEP_4)
	v_dual_fmac_f32 v17, v229, v124 :: v_dual_add_f32 v11, v11, v97
	v_dual_add_f32 v9, v9, v15 :: v_dual_fmac_f32 v19, v231, v126
	v_dual_mul_f32 v15, v243, v139 :: v_dual_fma_f32 v97, v230, v126, -v105
	s_delay_alu instid0(VALU_DEP_2) | instskip(SKIP_2) | instid1(VALU_DEP_3)
	v_dual_add_f32 v11, v11, v99 :: v_dual_add_f32 v9, v9, v17
	v_dual_mul_f32 v23, v234, v131 :: v_dual_mul_f32 v25, v236, v133
	v_dual_mul_f32 v17, v249, v141 :: v_dual_fma_f32 v99, v232, v128, -v107
	v_dual_fmac_f32 v21, v233, v128 :: v_dual_add_f32 v11, v11, v97
	s_delay_alu instid0(VALU_DEP_3) | instskip(SKIP_1) | instid1(VALU_DEP_2)
	v_dual_add_f32 v9, v9, v19 :: v_dual_fmac_f32 v23, v235, v130
	v_dual_mul_f32 v19, v251, v143 :: v_dual_fma_f32 v97, v234, v130, -v109
	v_dual_add_f32 v11, v11, v99 :: v_dual_add_f32 v9, v9, v21
	v_dual_mul_f32 v27, v238, v135 :: v_dual_mul_f32 v29, v240, v137
	v_dual_mul_f32 v21, v253, v145 :: v_dual_fma_f32 v99, v236, v132, -v111
	s_delay_alu instid0(VALU_DEP_3) | instskip(NEXT) | instid1(VALU_DEP_3)
	v_dual_fmac_f32 v25, v237, v132 :: v_dual_add_f32 v11, v11, v97
	v_dual_add_f32 v9, v9, v23 :: v_dual_fmac_f32 v27, v239, v134
	v_dual_mul_f32 v23, v255, v147 :: v_dual_fma_f32 v95, v238, v134, -v95
	s_delay_alu instid0(VALU_DEP_2) | instskip(SKIP_1) | instid1(VALU_DEP_2)
	v_dual_add_f32 v11, v11, v99 :: v_dual_add_f32 v9, v9, v25
	v_dual_mul_f32 v31, v242, v139 :: v_dual_mul_f32 v33, v248, v141
	v_dual_fmac_f32 v29, v241, v136 :: v_dual_add_f32 v11, v11, v95
	s_delay_alu instid0(VALU_DEP_3) | instskip(NEXT) | instid1(VALU_DEP_3)
	v_dual_fma_f32 v13, v240, v136, -v13 :: v_dual_add_f32 v9, v9, v27
	v_fmac_f32_e32 v31, v243, v138
	v_fma_f32 v15, v242, v138, -v15
	v_dual_mul_f32 v35, v250, v143 :: v_dual_mul_f32 v37, v252, v145
	s_delay_alu instid0(VALU_DEP_4)
	v_add_f32_e32 v9, v9, v29
	v_dual_add_f32 v11, v11, v13 :: v_dual_fmac_f32 v33, v249, v140
	v_fma_f32 v17, v248, v140, -v17
	s_set_vgpr_msb 1                        ;  msbs: dst=0 src0=1 src1=0 src2=0
	v_dual_mul_f32 v41, v8 /*v264*/, v149 :: v_dual_mul_f32 v43, v10 /*v266*/, v151
	s_set_vgpr_msb 0                        ;  msbs: dst=0 src0=0 src1=0 src2=0
	v_add_f32_e32 v9, v9, v31
	v_add_f32_e32 v11, v11, v15
	v_fmac_f32_e32 v35, v251, v142
	v_fma_f32 v19, v250, v142, -v19
	s_set_vgpr_msb 1                        ;  msbs: dst=0 src0=1 src1=0 src2=0
	v_dual_mul_f32 v25, v9 /*v265*/, v149 :: v_dual_mul_f32 v27, v11 /*v267*/, v151
	s_set_vgpr_msb 0                        ;  msbs: dst=0 src0=0 src1=0 src2=0
	v_add_f32_e32 v9, v9, v33
	v_dual_add_f32 v11, v11, v17 :: v_dual_fmac_f32 v37, v253, v144
	v_fma_f32 v21, v252, v144, -v21
	s_set_vgpr_msb 1                        ;  msbs: dst=0 src0=1 src1=0 src2=0
	v_fmac_f32_e32 v41, v9 /*v265*/, v148
	s_set_vgpr_msb 0                        ;  msbs: dst=0 src0=0 src1=0 src2=0
	v_add_f32_e32 v9, v9, v35
	v_add_f32_e32 v11, v11, v19
	v_fmac_f32_e32 v39, v255, v146
	v_fma_f32 v23, v254, v146, -v23
	s_set_vgpr_msb 1                        ;  msbs: dst=0 src0=1 src1=0 src2=0
	v_fma_f32 v25, v8 /*v264*/, v148, -v25
	s_set_vgpr_msb 0                        ;  msbs: dst=0 src0=0 src1=0 src2=0
	v_add_f32_e32 v9, v9, v37
	v_add_f32_e32 v11, v11, v21
	s_set_vgpr_msb 1                        ;  msbs: dst=0 src0=1 src1=0 src2=0
	v_mul_f32_e32 v21, v25 /*v281*/, v161
	v_dual_mul_f32 v45, v12 /*v268*/, v153 :: v_dual_mul_f32 v47, v14 /*v270*/, v155
	v_dual_mul_f32 v13, v13 /*v269*/, v153 :: v_dual_mul_f32 v15, v15 /*v271*/, v155
	s_set_vgpr_msb 0                        ;  msbs: dst=0 src0=0 src1=0 src2=0
	v_add_f32_e32 v11, v11, v23
	v_add_f32_e32 v9, v9, v39
	s_set_vgpr_msb 1                        ;  msbs: dst=0 src0=1 src1=0 src2=0
	v_mul_f32_e32 v23, v27 /*v283*/, v163
	v_fmac_f32_e32 v43, v11 /*v267*/, v150
	v_dual_fma_f32 v27, v10 /*v266*/, v150, -v27 :: v_dual_fmac_f32 v45, v13 /*v269*/, v152
	s_set_vgpr_msb 0                        ;  msbs: dst=0 src0=0 src1=0 src2=0
	v_add_f32_e32 v11, v11, v25
	v_add_f32_e32 v9, v9, v41
	s_set_vgpr_msb 1                        ;  msbs: dst=0 src0=1 src1=0 src2=0
	v_dual_mul_f32 v25, v29 /*v285*/, v165 :: v_dual_fma_f32 v13, v12 /*v268*/, v152, -v13
	v_dual_mul_f32 v49, v20 /*v276*/, v157 :: v_dual_mul_f32 v51, v22 /*v278*/, v159
	s_set_vgpr_msb 0                        ;  msbs: dst=0 src0=0 src1=0 src2=0
	v_add_f32_e32 v11, v11, v27
	s_set_vgpr_msb 1                        ;  msbs: dst=0 src0=1 src1=0 src2=0
	v_mul_f32_e32 v27, v31 /*v287*/, v167
	s_set_vgpr_msb 0                        ;  msbs: dst=0 src0=0 src1=0 src2=0
	v_add_f32_e32 v9, v9, v43
	s_set_vgpr_msb 1                        ;  msbs: dst=0 src0=1 src1=0 src2=0
	v_dual_mul_f32 v17, v21 /*v277*/, v157 :: v_dual_mul_f32 v19, v23 /*v279*/, v159
	v_fmac_f32_e32 v47, v15 /*v271*/, v154
	v_dual_fma_f32 v15, v14 /*v270*/, v154, -v15 :: v_dual_fmac_f32 v49, v21 /*v277*/, v156
	s_set_vgpr_msb 0                        ;  msbs: dst=0 src0=0 src1=0 src2=0
	v_add_f32_e32 v11, v11, v13
	v_add_f32_e32 v9, v9, v45
	s_set_vgpr_msb 1                        ;  msbs: dst=0 src0=1 src1=0 src2=0
	v_dual_mul_f32 v13, v33 /*v289*/, v169 :: v_dual_fma_f32 v17, v20 /*v276*/, v156, -v17
	v_dual_mul_f32 v53, v24 /*v280*/, v161 :: v_dual_mul_f32 v55, v26 /*v282*/, v163
	s_set_vgpr_msb 0                        ;  msbs: dst=0 src0=0 src1=0 src2=0
	v_add_f32_e32 v11, v11, v15
	s_set_vgpr_msb 1                        ;  msbs: dst=0 src0=1 src1=0 src2=0
	v_mul_f32_e32 v15, v35 /*v291*/, v171
	s_set_vgpr_msb 0                        ;  msbs: dst=0 src0=0 src1=0 src2=0
	v_add_f32_e32 v9, v9, v47
	s_set_vgpr_msb 1                        ;  msbs: dst=0 src0=1 src1=0 src2=0
	v_fmac_f32_e32 v51, v23 /*v279*/, v158
	v_dual_fma_f32 v19, v22 /*v278*/, v158, -v19 :: v_dual_fmac_f32 v53, v25 /*v281*/, v160
	s_set_vgpr_msb 0                        ;  msbs: dst=0 src0=0 src1=0 src2=0
	v_add_f32_e32 v11, v11, v17
	v_add_f32_e32 v9, v9, v49
	s_set_vgpr_msb 1                        ;  msbs: dst=0 src0=1 src1=0 src2=0
	v_dual_mul_f32 v17, v37 /*v293*/, v173 :: v_dual_fma_f32 v21, v24 /*v280*/, v160, -v21
	v_dual_mul_f32 v57, v28 /*v284*/, v165 :: v_dual_mul_f32 v59, v30 /*v286*/, v167
	s_set_vgpr_msb 0                        ;  msbs: dst=0 src0=0 src1=0 src2=0
	v_add_f32_e32 v11, v11, v19
	s_set_vgpr_msb 1                        ;  msbs: dst=0 src0=1 src1=0 src2=0
	v_mul_f32_e32 v19, v39 /*v295*/, v175
	s_set_vgpr_msb 0                        ;  msbs: dst=0 src0=0 src1=0 src2=0
	v_add_f32_e32 v9, v9, v51
	s_set_vgpr_msb 1                        ;  msbs: dst=0 src0=1 src1=0 src2=0
	;; [unrolled: 15-line block ×9, first 2 shown]
	v_dual_fmac_f32 v83, v55 /*v311*/, v190 :: v_dual_fmac_f32 v85, v57 /*v313*/, v192
	v_dual_fma_f32 v19, v54 /*v310*/, v190, -v19 :: v_dual_fma_f32 v21, v56 /*v312*/, v192, -v21
	s_set_vgpr_msb 0                        ;  msbs: dst=0 src0=0 src1=0 src2=0
	v_add_f32_e32 v11, v11, v17
	v_add_f32_e32 v9, v9, v81
	s_set_vgpr_msb 1                        ;  msbs: dst=0 src0=1 src1=0 src2=0
	v_dual_mul_f32 v89, v60 /*v316*/, v197 :: v_dual_mul_f32 v91, v62 /*v318*/, v199
	s_wait_loadcnt 0x5
	s_set_vgpr_msb 0                        ;  msbs: dst=0 src0=0 src1=0 src2=0
	v_dual_mul_f32 v17, v245, v205 :: v_dual_add_f32 v11, v11, v19
	v_dual_add_f32 v9, v9, v83 :: v_dual_mov_b32 v116, v207
	s_set_vgpr_msb 1                        ;  msbs: dst=0 src0=1 src1=0 src2=0
	v_dual_fmac_f32 v87, v59 /*v315*/, v194 :: v_dual_fmac_f32 v89, v61 /*v317*/, v196
	v_fma_f32 v19, v58 /*v314*/, v194, -v23
	s_set_vgpr_msb 0                        ;  msbs: dst=0 src0=0 src1=0 src2=0
	v_add_f32_e32 v11, v11, v21
	s_set_vgpr_msb 1                        ;  msbs: dst=0 src0=1 src1=0 src2=0
	v_fma_f32 v21, v60 /*v316*/, v196, -v25
	s_set_vgpr_msb 0                        ;  msbs: dst=0 src0=0 src1=0 src2=0
	v_add_f32_e32 v9, v9, v85
	s_set_vgpr_msb 1                        ;  msbs: dst=0 src0=1 src1=0 src2=0
	v_dual_fmac_f32 v91, v63 /*v319*/, v198 :: v_dual_fmac_f32 v93, v65 /*v321*/, v200
	s_set_vgpr_msb 0                        ;  msbs: dst=0 src0=0 src1=0 src2=0
	v_add_f32_e32 v11, v11, v19
	s_set_vgpr_msb 1                        ;  msbs: dst=0 src0=1 src1=0 src2=0
	v_dual_fma_f32 v19, v62 /*v318*/, v198, -v27 :: v_dual_fma_f32 v13, v64 /*v320*/, v200, -v13
	s_wait_loadcnt 0x4
	s_set_vgpr_msb 0                        ;  msbs: dst=0 src0=0 src1=0 src2=0
	v_dual_add_f32 v9, v9, v87 :: v_dual_mov_b32 v120, v211
	s_set_vgpr_msb 0x41                     ;  msbs: dst=1 src0=1 src1=0 src2=0
	v_dual_mul_f32 v83 /*v339*/, v66 /*v322*/, v203 :: v_dual_fma_f32 v82 /*v338*/, v66 /*v322*/, v202, -v15
	s_set_vgpr_msb 1                        ;  msbs: dst=0 src0=1 src1=0 src2=0
	v_pk_mul_f32 v[116:117], v[74:75] /*v[330:331]*/, v[116:117] op_sel_hi:[1,0]
	s_set_vgpr_msb 0                        ;  msbs: dst=0 src0=0 src1=0 src2=0
	v_add_f32_e32 v9, v9, v89
	v_add_f32_e32 v11, v11, v21
	s_set_vgpr_msb 64                       ;  msbs: dst=1 src0=0 src1=0 src2=0
	v_dual_mul_f32 v85 /*v341*/, v244, v205 :: v_dual_fma_f32 v84 /*v340*/, v244, v204, -v17
	s_set_vgpr_msb 0x41                     ;  msbs: dst=1 src0=1 src1=0 src2=0
	v_fmac_f32_e32 v83 /*v339*/, v67 /*v323*/, v202
	s_set_vgpr_msb 0                        ;  msbs: dst=0 src0=0 src1=0 src2=0
	v_add_f32_e32 v9, v9, v91
	v_add_f32_e32 v11, v11, v19
	v_pk_fma_f32 v[128:129], v[246:247], v[206:207], v[116:117] op_sel_hi:[1,0,1]
	v_pk_fma_f32 v[116:117], v[246:247], v[206:207], v[116:117] neg_lo:[0,0,1] neg_hi:[0,0,1]
	s_set_vgpr_msb 1                        ;  msbs: dst=0 src0=1 src1=0 src2=0
	v_pk_mul_f32 v[118:119], v[0:1] /*v[256:257]*/, v[208:209] op_sel:[1,1] op_sel_hi:[0,1]
	s_set_vgpr_msb 0                        ;  msbs: dst=0 src0=0 src1=0 src2=0
	v_add_f32_e32 v125, v9, v93
	v_dual_add_f32 v124, v11, v13 :: v_dual_mov_b32 v117, v129
	s_set_vgpr_msb 64                       ;  msbs: dst=1 src0=0 src1=0 src2=0
	v_fmac_f32_e32 v85 /*v341*/, v245, v204
	s_set_vgpr_msb 1                        ;  msbs: dst=0 src0=1 src1=0 src2=0
	v_pk_fma_f32 v[130:131], v[0:1] /*v[256:257]*/, v[208:209], v[118:119] op_sel_hi:[1,0,1]
	v_pk_mul_f32 v[120:121], v[76:77] /*v[332:333]*/, v[120:121] op_sel_hi:[1,0]
	s_set_vgpr_msb 4                        ;  msbs: dst=0 src0=0 src1=1 src2=0
	v_pk_add_f32 v[124:125], v[124:125], v[82:83] /*v[338:339]*/
	s_set_vgpr_msb 1                        ;  msbs: dst=0 src0=1 src1=0 src2=0
	v_pk_fma_f32 v[118:119], v[0:1] /*v[256:257]*/, v[208:209], v[118:119] neg_lo:[0,0,1] neg_hi:[0,0,1]
	s_wait_loadcnt 0x3
	v_pk_mul_f32 v[122:123], v[4:5] /*v[260:261]*/, v[212:213] op_sel:[1,1] op_sel_hi:[0,1]
	s_set_vgpr_msb 4                        ;  msbs: dst=0 src0=0 src1=1 src2=0
	v_dual_mov_b32 v126, v215 :: v_dual_mov_b32 v119, v131
	v_pk_add_f32 v[124:125], v[124:125], v[84:85] /*v[340:341]*/
	s_set_vgpr_msb 1                        ;  msbs: dst=0 src0=1 src1=0 src2=0
	v_pk_fma_f32 v[130:131], v[2:3] /*v[258:259]*/, v[210:211], v[120:121] op_sel_hi:[1,0,1]
	v_pk_fma_f32 v[120:121], v[2:3] /*v[258:259]*/, v[210:211], v[120:121] neg_lo:[0,0,1] neg_hi:[0,0,1]
	v_pk_mul_f32 v[126:127], v[78:79] /*v[334:335]*/, v[126:127] op_sel_hi:[1,0]
	s_wait_loadcnt 0x2
	v_pk_mul_f32 v[128:129], v[16:17] /*v[272:273]*/, v[216:217] op_sel:[1,1] op_sel_hi:[0,1]
	s_set_vgpr_msb 0                        ;  msbs: dst=0 src0=0 src1=0 src2=0
	v_pk_add_f32 v[116:117], v[124:125], v[116:117]
	s_set_vgpr_msb 1                        ;  msbs: dst=0 src0=1 src1=0 src2=0
	v_pk_fma_f32 v[124:125], v[4:5] /*v[260:261]*/, v[212:213], v[122:123] op_sel_hi:[1,0,1]
	s_set_vgpr_msb 0                        ;  msbs: dst=0 src0=0 src1=0 src2=0
	v_mov_b32_e32 v121, v131
	s_set_vgpr_msb 1                        ;  msbs: dst=0 src0=1 src1=0 src2=0
	v_pk_fma_f32 v[122:123], v[4:5] /*v[260:261]*/, v[212:213], v[122:123] neg_lo:[0,0,1] neg_hi:[0,0,1]
	s_set_vgpr_msb 0                        ;  msbs: dst=0 src0=0 src1=0 src2=0
	v_pk_add_f32 v[116:117], v[116:117], v[118:119]
	v_dual_mov_b32 v118, v219 :: v_dual_mov_b32 v123, v125
	s_set_vgpr_msb 1                        ;  msbs: dst=0 src0=1 src1=0 src2=0
	v_pk_fma_f32 v[124:125], v[6:7] /*v[262:263]*/, v[214:215], v[126:127] op_sel_hi:[1,0,1]
	v_pk_fma_f32 v[126:127], v[6:7] /*v[262:263]*/, v[214:215], v[126:127] neg_lo:[0,0,1] neg_hi:[0,0,1]
	s_set_vgpr_msb 0                        ;  msbs: dst=0 src0=0 src1=0 src2=0
	v_pk_add_f32 v[116:117], v[116:117], v[120:121]
	s_set_vgpr_msb 1                        ;  msbs: dst=0 src0=1 src1=0 src2=0
	v_pk_fma_f32 v[120:121], v[16:17] /*v[272:273]*/, v[216:217], v[128:129] op_sel_hi:[1,0,1]
	v_pk_mul_f32 v[118:119], v[80:81] /*v[336:337]*/, v[118:119] op_sel_hi:[1,0]
	s_set_vgpr_msb 0                        ;  msbs: dst=0 src0=0 src1=0 src2=0
	v_mov_b32_e32 v127, v125
	s_wait_loadcnt_dscnt 0x100
	s_set_vgpr_msb 5                        ;  msbs: dst=0 src0=1 src1=1 src2=0
	v_pk_mul_f32 v[124:125], v[72:73] /*v[328:329]*/, v[68:69] /*v[324:325]*/ op_sel:[1,1] op_sel_hi:[0,1]
	s_set_vgpr_msb 0                        ;  msbs: dst=0 src0=0 src1=0 src2=0
	v_pk_add_f32 v[116:117], v[116:117], v[122:123]
	s_set_vgpr_msb 1                        ;  msbs: dst=0 src0=1 src1=0 src2=0
	v_pk_fma_f32 v[122:123], v[16:17] /*v[272:273]*/, v[216:217], v[128:129] neg_lo:[0,0,1] neg_hi:[0,0,1]
	s_set_vgpr_msb 0                        ;  msbs: dst=0 src0=0 src1=0 src2=0
	v_mov_b32_e32 v123, v121
	s_set_vgpr_msb 1                        ;  msbs: dst=0 src0=1 src1=0 src2=0
	v_pk_fma_f32 v[120:121], v[18:19] /*v[274:275]*/, v[218:219], v[118:119] op_sel_hi:[1,0,1]
	v_pk_fma_f32 v[118:119], v[18:19] /*v[274:275]*/, v[218:219], v[118:119] neg_lo:[0,0,1] neg_hi:[0,0,1]
	s_set_vgpr_msb 0                        ;  msbs: dst=0 src0=0 src1=0 src2=0
	v_pk_add_f32 v[116:117], v[116:117], v[126:127]
	s_delay_alu instid0(VALU_DEP_3)
	v_mov_b32_e32 v119, v121
	s_set_vgpr_msb 5                        ;  msbs: dst=0 src0=1 src1=1 src2=0
	v_pk_fma_f32 v[120:121], v[72:73] /*v[328:329]*/, v[68:69] /*v[324:325]*/, v[124:125] op_sel_hi:[1,0,1]
	s_set_vgpr_msb 0                        ;  msbs: dst=0 src0=0 src1=0 src2=0
	v_pk_add_f32 v[116:117], v[116:117], v[122:123]
	s_set_vgpr_msb 5                        ;  msbs: dst=0 src0=1 src1=1 src2=0
	v_pk_fma_f32 v[122:123], v[72:73] /*v[328:329]*/, v[68:69] /*v[324:325]*/, v[124:125] neg_lo:[0,0,1] neg_hi:[0,0,1]
	s_set_vgpr_msb 0                        ;  msbs: dst=0 src0=0 src1=0 src2=0
	v_mov_b32_e32 v123, v121
	v_pk_add_f32 v[116:117], v[116:117], v[118:119]
	s_delay_alu instid0(VALU_DEP_1) | instskip(SKIP_2) | instid1(VALU_DEP_1)
	v_pk_add_f32 v[116:117], v[116:117], v[122:123]
	s_wait_loadcnt 0x0
	s_set_vgpr_msb 1                        ;  msbs: dst=0 src0=1 src1=0 src2=0
	v_pk_add_f32 v[116:117], v[70:71] /*v[326:327]*/, v[116:117] neg_lo:[0,1] neg_hi:[0,1]
	scratch_store_b64 off, v[116:117], off offset:24
	s_wait_xcnt 0x0
	v_cmpx_lt_u32_e32 2, v0
	s_set_vgpr_msb 0                        ;  msbs: dst=0 src0=0 src1=0 src2=0
	s_cbranch_execz .LBB56_351
; %bb.350:
	scratch_load_b64 v[116:117], off, off offset:16
	v_mov_b64_e32 v[118:119], 0
	scratch_store_b64 off, v[118:119], off offset:16
	s_wait_loadcnt 0x0
	ds_store_b64 v1, v[116:117]
.LBB56_351:
	s_wait_xcnt 0x0
	s_or_b32 exec_lo, exec_lo, s0
	s_wait_storecnt_dscnt 0x0
	s_barrier_signal -1
	s_barrier_wait -1
	s_clause 0x19
	scratch_load_b128 v[116:119], off, off offset:24
	scratch_load_b128 v[120:123], off, off offset:40
	;; [unrolled: 1-line block ×26, first 2 shown]
	ds_load_2addr_b64 v[220:223], v7 offset0:61 offset1:62
	ds_load_2addr_b64 v[224:227], v7 offset0:63 offset1:64
	;; [unrolled: 1-line block ×9, first 2 shown]
	s_set_vgpr_msb 64                       ;  msbs: dst=1 src0=0 src1=0 src2=0
	ds_load_2addr_b64 v[0:3] /*v[256:259]*/, v7 offset0:107 offset1:108
	ds_load_2addr_b64 v[4:7] /*v[260:263]*/, v7 offset0:109 offset1:110
	;; [unrolled: 1-line block ×5, first 2 shown]
	scratch_load_b128 v[20:23] /*v[276:279]*/, off, off offset:440
	ds_load_2addr_b64 v[24:27] /*v[280:283]*/, v7 offset0:113 offset1:114
	ds_load_2addr_b64 v[28:31] /*v[284:287]*/, v7 offset0:81 offset1:82
	;; [unrolled: 1-line block ×13, first 2 shown]
	scratch_load_b64 v[76:77] /*v[332:333]*/, off, off offset:16
	s_mov_b32 s0, exec_lo
	s_wait_dscnt 0xc
	s_set_vgpr_msb 0x41                     ;  msbs: dst=1 src0=1 src1=0 src2=0
	v_dual_mov_b32 v84 /*v340*/, v27 /*v283*/ :: v_dual_mov_b32 v85 /*v341*/, v26 /*v282*/
	v_dual_mov_b32 v78 /*v334*/, v3 /*v259*/ :: v_dual_mov_b32 v79 /*v335*/, v2 /*v258*/
	;; [unrolled: 1-line block ×4, first 2 shown]
	s_wait_loadcnt 0x1b
	s_set_vgpr_msb 0                        ;  msbs: dst=0 src0=0 src1=0 src2=0
	v_dual_mul_f32 v7, v220, v117 :: v_dual_mul_f32 v9, v222, v119
	v_dual_mul_f32 v95, v221, v117 :: v_dual_mul_f32 v97, v223, v119
	s_wait_loadcnt 0x1a
	v_dual_mul_f32 v11, v224, v121 :: v_dual_mul_f32 v13, v226, v123
	s_delay_alu instid0(VALU_DEP_3) | instskip(SKIP_3) | instid1(VALU_DEP_3)
	v_dual_fmac_f32 v7, v221, v116 :: v_dual_fmac_f32 v9, v223, v118
	s_wait_loadcnt 0x18
	v_dual_fma_f32 v95, v220, v116, -v95 :: v_dual_mul_f32 v107, v233, v129
	v_dual_mul_f32 v99, v225, v121 :: v_dual_mul_f32 v101, v227, v123
	v_dual_fma_f32 v97, v222, v118, -v97 :: v_dual_add_f32 v7, 0, v7
	s_delay_alu instid0(VALU_DEP_3) | instskip(SKIP_1) | instid1(VALU_DEP_4)
	v_dual_add_f32 v95, 0, v95 :: v_dual_fmac_f32 v11, v225, v120
	v_dual_mul_f32 v15, v228, v125 :: v_dual_mul_f32 v17, v230, v127
	v_dual_mul_f32 v109, v235, v131 :: v_dual_fma_f32 v99, v224, v120, -v99
	s_delay_alu instid0(VALU_DEP_4) | instskip(NEXT) | instid1(VALU_DEP_3)
	v_add_f32_e32 v7, v7, v9
	v_dual_add_f32 v9, v95, v97 :: v_dual_fmac_f32 v15, v229, v124
	v_dual_mul_f32 v103, v229, v125 :: v_dual_mul_f32 v105, v231, v127
	s_wait_loadcnt 0x17
	v_dual_mul_f32 v95, v237, v133 :: v_dual_fmac_f32 v13, v227, v122
	v_dual_fma_f32 v97, v226, v122, -v101 :: v_dual_add_f32 v7, v7, v11
	s_delay_alu instid0(VALU_DEP_3) | instskip(SKIP_1) | instid1(VALU_DEP_3)
	v_dual_add_f32 v9, v9, v99 :: v_dual_fma_f32 v99, v228, v124, -v103
	v_dual_mul_f32 v19, v232, v129 :: v_dual_mul_f32 v21, v234, v131
	v_add_f32_e32 v7, v7, v13
	s_delay_alu instid0(VALU_DEP_3) | instskip(SKIP_2) | instid1(VALU_DEP_3)
	v_dual_mul_f32 v11, v239, v135 :: v_dual_add_f32 v9, v9, v97
	s_wait_loadcnt 0x16
	v_dual_mul_f32 v13, v241, v137 :: v_dual_fmac_f32 v17, v231, v126
	v_dual_fma_f32 v97, v230, v126, -v105 :: v_dual_add_f32 v7, v7, v15
	s_delay_alu instid0(VALU_DEP_3) | instskip(SKIP_1) | instid1(VALU_DEP_3)
	v_dual_add_f32 v9, v9, v99 :: v_dual_fma_f32 v99, v232, v128, -v107
	v_dual_mul_f32 v15, v243, v139 :: v_dual_fmac_f32 v19, v233, v128
	v_add_f32_e32 v7, v7, v17
	s_delay_alu instid0(VALU_DEP_3)
	v_dual_add_f32 v9, v9, v97 :: v_dual_fmac_f32 v21, v235, v130
	v_dual_mul_f32 v23, v236, v133 :: v_dual_mul_f32 v25, v238, v135
	s_wait_loadcnt 0x15
	v_dual_fma_f32 v97, v234, v130, -v109 :: v_dual_mul_f32 v17, v245, v141
	v_add_f32_e32 v7, v7, v19
	v_dual_add_f32 v9, v9, v99 :: v_dual_fma_f32 v95, v236, v132, -v95
	v_dual_mul_f32 v19, v247, v143 :: v_dual_fmac_f32 v23, v237, v132
	s_delay_alu instid0(VALU_DEP_3) | instskip(NEXT) | instid1(VALU_DEP_3)
	v_dual_add_f32 v7, v7, v21 :: v_dual_fma_f32 v11, v238, v134, -v11
	v_dual_add_f32 v9, v9, v97 :: v_dual_fmac_f32 v25, v239, v134
	v_dual_mul_f32 v27, v240, v137 :: v_dual_mul_f32 v29, v242, v139
	s_wait_loadcnt 0x14
	s_delay_alu instid0(VALU_DEP_3) | instskip(NEXT) | instid1(VALU_DEP_3)
	v_dual_mul_f32 v21, v249, v145 :: v_dual_add_f32 v7, v7, v23
	v_dual_add_f32 v9, v9, v95 :: v_dual_fma_f32 v13, v240, v136, -v13
	s_delay_alu instid0(VALU_DEP_3) | instskip(NEXT) | instid1(VALU_DEP_2)
	v_dual_mul_f32 v23, v251, v147 :: v_dual_fmac_f32 v27, v241, v136
	v_dual_add_f32 v7, v7, v25 :: v_dual_add_f32 v9, v9, v11
	v_dual_mul_f32 v31, v244, v141 :: v_dual_mul_f32 v33, v246, v143
	v_dual_fmac_f32 v29, v243, v138 :: v_dual_fma_f32 v15, v242, v138, -v15
	s_delay_alu instid0(VALU_DEP_3) | instskip(NEXT) | instid1(VALU_DEP_3)
	v_dual_add_f32 v7, v7, v27 :: v_dual_add_f32 v9, v9, v13
	v_dual_fmac_f32 v31, v245, v140 :: v_dual_fma_f32 v17, v244, v140, -v17
	v_dual_mul_f32 v35, v248, v145 :: v_dual_mul_f32 v37, v250, v147
	s_delay_alu instid0(VALU_DEP_3) | instskip(SKIP_1) | instid1(VALU_DEP_3)
	v_dual_add_f32 v7, v7, v29 :: v_dual_add_f32 v9, v9, v15
	v_dual_fmac_f32 v33, v247, v142 :: v_dual_fma_f32 v19, v246, v142, -v19
	v_dual_fmac_f32 v35, v249, v144 :: v_dual_fma_f32 v21, v248, v144, -v21
	s_delay_alu instid0(VALU_DEP_3)
	v_dual_add_f32 v7, v7, v31 :: v_dual_add_f32 v9, v9, v17
	s_wait_loadcnt 0x13
	s_set_vgpr_msb 1                        ;  msbs: dst=0 src0=1 src1=0 src2=0
	v_dual_mul_f32 v11, v9 /*v265*/, v149 :: v_dual_mul_f32 v13, v11 /*v267*/, v151
	s_set_vgpr_msb 0                        ;  msbs: dst=0 src0=0 src1=0 src2=0
	v_dual_fmac_f32 v37, v251, v146 :: v_dual_fma_f32 v23, v250, v146, -v23
	v_dual_add_f32 v7, v7, v33 :: v_dual_add_f32 v9, v9, v19
	s_set_vgpr_msb 1                        ;  msbs: dst=0 src0=1 src1=0 src2=0
	v_dual_mul_f32 v39, v8 /*v264*/, v149 :: v_dual_mul_f32 v41, v10 /*v266*/, v151
	v_fma_f32 v11, v8 /*v264*/, v148, -v11
	s_set_vgpr_msb 0                        ;  msbs: dst=0 src0=0 src1=0 src2=0
	v_dual_add_f32 v7, v7, v35 :: v_dual_add_f32 v9, v9, v21
	s_wait_loadcnt 0x12
	s_set_vgpr_msb 1                        ;  msbs: dst=0 src0=1 src1=0 src2=0
	v_dual_mul_f32 v15, v13 /*v269*/, v153 :: v_dual_mul_f32 v17, v15 /*v271*/, v155
	v_dual_fmac_f32 v39, v9 /*v265*/, v148 :: v_dual_fmac_f32 v41, v11 /*v267*/, v150
	s_set_vgpr_msb 0                        ;  msbs: dst=0 src0=0 src1=0 src2=0
	v_dual_add_f32 v7, v7, v37 :: v_dual_add_f32 v9, v9, v23
	s_wait_loadcnt_dscnt 0x100a
	s_set_vgpr_msb 1                        ;  msbs: dst=0 src0=1 src1=0 src2=0
	v_dual_mul_f32 v23, v33 /*v289*/, v161 :: v_dual_fma_f32 v13, v10 /*v266*/, v150, -v13
	v_dual_mul_f32 v43, v12 /*v268*/, v153 :: v_dual_mul_f32 v45, v14 /*v270*/, v155
	s_set_vgpr_msb 0                        ;  msbs: dst=0 src0=0 src1=0 src2=0
	v_add_f32_e32 v9, v9, v11
	s_set_vgpr_msb 1                        ;  msbs: dst=0 src0=1 src1=0 src2=0
	v_mul_f32_e32 v11, v35 /*v291*/, v163
	s_set_vgpr_msb 0                        ;  msbs: dst=0 src0=0 src1=0 src2=0
	v_add_f32_e32 v7, v7, v39
	s_set_vgpr_msb 1                        ;  msbs: dst=0 src0=1 src1=0 src2=0
	v_dual_fma_f32 v15, v12 /*v268*/, v152, -v15 :: v_dual_mul_f32 v19, v29 /*v285*/, v157
	v_mul_f32_e32 v21, v31 /*v287*/, v159
	s_set_vgpr_msb 0                        ;  msbs: dst=0 src0=0 src1=0 src2=0
	v_add_f32_e32 v9, v9, v13
	s_set_vgpr_msb 1                        ;  msbs: dst=0 src0=1 src1=0 src2=0
	v_dual_fmac_f32 v43, v13 /*v269*/, v152 :: v_dual_fmac_f32 v45, v15 /*v271*/, v154
	s_set_vgpr_msb 0                        ;  msbs: dst=0 src0=0 src1=0 src2=0
	v_add_f32_e32 v7, v7, v41
	s_wait_loadcnt_dscnt 0xf09
	s_set_vgpr_msb 1                        ;  msbs: dst=0 src0=1 src1=0 src2=0
	v_dual_mul_f32 v13, v37 /*v293*/, v165 :: v_dual_fma_f32 v17, v14 /*v270*/, v154, -v17
	s_set_vgpr_msb 0                        ;  msbs: dst=0 src0=0 src1=0 src2=0
	v_add_f32_e32 v9, v9, v15
	s_set_vgpr_msb 1                        ;  msbs: dst=0 src0=1 src1=0 src2=0
	v_dual_mul_f32 v47, v28 /*v284*/, v157 :: v_dual_mul_f32 v49, v30 /*v286*/, v159
	v_mul_f32_e32 v15, v39 /*v295*/, v167
	s_set_vgpr_msb 0                        ;  msbs: dst=0 src0=0 src1=0 src2=0
	v_dual_add_f32 v7, v7, v43 :: v_dual_add_f32 v9, v9, v17
	s_wait_loadcnt_dscnt 0xe08
	s_set_vgpr_msb 1                        ;  msbs: dst=0 src0=1 src1=0 src2=0
	v_dual_fma_f32 v19, v28 /*v284*/, v156, -v19 :: v_dual_mul_f32 v17, v41 /*v297*/, v169
	v_dual_fmac_f32 v47, v29 /*v285*/, v156 :: v_dual_fmac_f32 v49, v31 /*v287*/, v158
	s_set_vgpr_msb 0                        ;  msbs: dst=0 src0=0 src1=0 src2=0
	v_add_f32_e32 v7, v7, v45
	s_set_vgpr_msb 1                        ;  msbs: dst=0 src0=1 src1=0 src2=0
	v_fma_f32 v21, v30 /*v286*/, v158, -v21
	s_set_vgpr_msb 0                        ;  msbs: dst=0 src0=0 src1=0 src2=0
	v_add_f32_e32 v9, v9, v19
	s_set_vgpr_msb 1                        ;  msbs: dst=0 src0=1 src1=0 src2=0
	v_dual_mul_f32 v51, v32 /*v288*/, v161 :: v_dual_mul_f32 v53, v34 /*v290*/, v163
	v_mul_f32_e32 v19, v43 /*v299*/, v171
	s_set_vgpr_msb 0                        ;  msbs: dst=0 src0=0 src1=0 src2=0
	v_dual_add_f32 v7, v7, v47 :: v_dual_add_f32 v9, v9, v21
	s_wait_loadcnt_dscnt 0xd07
	s_set_vgpr_msb 1                        ;  msbs: dst=0 src0=1 src1=0 src2=0
	v_dual_fma_f32 v23, v32 /*v288*/, v160, -v23 :: v_dual_mul_f32 v21, v45 /*v301*/, v173
	v_dual_mul_f32 v55, v36 /*v292*/, v165 :: v_dual_mul_f32 v57, v38 /*v294*/, v167
	v_dual_mul_f32 v59, v40 /*v296*/, v169 :: v_dual_mul_f32 v61, v42 /*v298*/, v171
	v_dual_fmac_f32 v51, v33 /*v289*/, v160 :: v_dual_fmac_f32 v53, v35 /*v291*/, v162
	v_fma_f32 v11, v34 /*v290*/, v162, -v11
	s_set_vgpr_msb 0                        ;  msbs: dst=0 src0=0 src1=0 src2=0
	v_dual_add_f32 v9, v9, v23 :: v_dual_add_f32 v7, v7, v49
	s_set_vgpr_msb 1                        ;  msbs: dst=0 src0=1 src1=0 src2=0
	v_dual_mul_f32 v23, v47 /*v303*/, v175 :: v_dual_fmac_f32 v55, v37 /*v293*/, v164
	v_fma_f32 v13, v36 /*v292*/, v164, -v13
	v_dual_fmac_f32 v57, v39 /*v295*/, v166 :: v_dual_fmac_f32 v59, v41 /*v297*/, v168
	s_set_vgpr_msb 0                        ;  msbs: dst=0 src0=0 src1=0 src2=0
	v_add_f32_e32 v9, v9, v11
	s_set_vgpr_msb 1                        ;  msbs: dst=0 src0=1 src1=0 src2=0
	v_dual_mul_f32 v63, v44 /*v300*/, v173 :: v_dual_mul_f32 v65, v46 /*v302*/, v175
	s_set_vgpr_msb 0                        ;  msbs: dst=0 src0=0 src1=0 src2=0
	v_add_f32_e32 v7, v7, v51
	s_wait_loadcnt_dscnt 0xc06
	s_set_vgpr_msb 1                        ;  msbs: dst=0 src0=1 src1=0 src2=0
	v_dual_mul_f32 v11, v49 /*v305*/, v177 :: v_dual_fma_f32 v15, v38 /*v294*/, v166, -v15
	s_set_vgpr_msb 0                        ;  msbs: dst=0 src0=0 src1=0 src2=0
	v_add_f32_e32 v9, v9, v13
	s_set_vgpr_msb 1                        ;  msbs: dst=0 src0=1 src1=0 src2=0
	v_dual_mul_f32 v13, v51 /*v307*/, v179 :: v_dual_fma_f32 v17, v40 /*v296*/, v168, -v17
	s_set_vgpr_msb 0                        ;  msbs: dst=0 src0=0 src1=0 src2=0
	v_add_f32_e32 v7, v7, v53
	s_set_vgpr_msb 1                        ;  msbs: dst=0 src0=1 src1=0 src2=0
	v_dual_fmac_f32 v61, v43 /*v299*/, v170 :: v_dual_fmac_f32 v63, v45 /*v301*/, v172
	s_set_vgpr_msb 0                        ;  msbs: dst=0 src0=0 src1=0 src2=0
	v_add_f32_e32 v9, v9, v15
	s_set_vgpr_msb 1                        ;  msbs: dst=0 src0=1 src1=0 src2=0
	v_dual_mul_f32 v67, v48 /*v304*/, v177 :: v_dual_mul_f32 v69, v50 /*v306*/, v179
	s_set_vgpr_msb 0                        ;  msbs: dst=0 src0=0 src1=0 src2=0
	v_add_f32_e32 v7, v7, v55
	s_wait_loadcnt_dscnt 0xb05
	s_set_vgpr_msb 1                        ;  msbs: dst=0 src0=1 src1=0 src2=0
	v_dual_mul_f32 v15, v53 /*v309*/, v181 :: v_dual_fma_f32 v19, v42 /*v298*/, v170, -v19
	s_set_vgpr_msb 0                        ;  msbs: dst=0 src0=0 src1=0 src2=0
	v_add_f32_e32 v9, v9, v17
	s_set_vgpr_msb 1                        ;  msbs: dst=0 src0=1 src1=0 src2=0
	v_dual_mul_f32 v17, v55 /*v311*/, v183 :: v_dual_fma_f32 v21, v44 /*v300*/, v172, -v21
	s_set_vgpr_msb 0                        ;  msbs: dst=0 src0=0 src1=0 src2=0
	v_add_f32_e32 v7, v7, v57
	s_set_vgpr_msb 1                        ;  msbs: dst=0 src0=1 src1=0 src2=0
	v_dual_fmac_f32 v65, v47 /*v303*/, v174 :: v_dual_fmac_f32 v67, v49 /*v305*/, v176
	s_set_vgpr_msb 0                        ;  msbs: dst=0 src0=0 src1=0 src2=0
	v_add_f32_e32 v9, v9, v19
	s_set_vgpr_msb 1                        ;  msbs: dst=0 src0=1 src1=0 src2=0
	v_dual_mul_f32 v71, v52 /*v308*/, v181 :: v_dual_mul_f32 v73, v54 /*v310*/, v183
	s_set_vgpr_msb 0                        ;  msbs: dst=0 src0=0 src1=0 src2=0
	v_add_f32_e32 v7, v7, v59
	s_wait_loadcnt_dscnt 0xa04
	s_set_vgpr_msb 1                        ;  msbs: dst=0 src0=1 src1=0 src2=0
	v_dual_mul_f32 v19, v57 /*v313*/, v185 :: v_dual_fma_f32 v23, v46 /*v302*/, v174, -v23
	s_set_vgpr_msb 0                        ;  msbs: dst=0 src0=0 src1=0 src2=0
	v_add_f32_e32 v9, v9, v21
	s_set_vgpr_msb 1                        ;  msbs: dst=0 src0=1 src1=0 src2=0
	v_dual_mul_f32 v75, v56 /*v312*/, v185 :: v_dual_mul_f32 v77, v58 /*v314*/, v187
	s_set_vgpr_msb 0                        ;  msbs: dst=0 src0=0 src1=0 src2=0
	v_add_f32_e32 v7, v7, v61
	s_set_vgpr_msb 1                        ;  msbs: dst=0 src0=1 src1=0 src2=0
	v_dual_mul_f32 v21, v59 /*v315*/, v187 :: v_dual_fma_f32 v11, v48 /*v304*/, v176, -v11
	v_dual_fmac_f32 v69, v51 /*v307*/, v178 :: v_dual_fmac_f32 v71, v53 /*v309*/, v180
	s_set_vgpr_msb 0                        ;  msbs: dst=0 src0=0 src1=0 src2=0
	v_add_f32_e32 v9, v9, v23
	s_wait_loadcnt_dscnt 0x903
	s_set_vgpr_msb 1                        ;  msbs: dst=0 src0=1 src1=0 src2=0
	v_dual_mul_f32 v23, v61 /*v317*/, v189 :: v_dual_fma_f32 v13, v50 /*v306*/, v178, -v13
	v_dual_fmac_f32 v73, v55 /*v311*/, v182 :: v_dual_fmac_f32 v75, v57 /*v313*/, v184
	s_set_vgpr_msb 0                        ;  msbs: dst=0 src0=0 src1=0 src2=0
	v_add_f32_e32 v9, v9, v11
	v_add_f32_e32 v7, v7, v63
	s_set_vgpr_msb 1                        ;  msbs: dst=0 src0=1 src1=0 src2=0
	v_dual_mul_f32 v79, v60 /*v316*/, v189 :: v_dual_mul_f32 v81, v62 /*v318*/, v191
	v_dual_mul_f32 v11, v63 /*v319*/, v191 :: v_dual_fma_f32 v15, v52 /*v308*/, v180, -v15
	s_set_vgpr_msb 0                        ;  msbs: dst=0 src0=0 src1=0 src2=0
	v_add_f32_e32 v9, v9, v13
	v_add_f32_e32 v7, v7, v65
	s_wait_loadcnt_dscnt 0x802
	s_set_vgpr_msb 1                        ;  msbs: dst=0 src0=1 src1=0 src2=0
	v_dual_mul_f32 v13, v65 /*v321*/, v193 :: v_dual_fma_f32 v17, v54 /*v310*/, v182, -v17
	v_dual_fmac_f32 v77, v59 /*v315*/, v186 :: v_dual_fmac_f32 v79, v61 /*v317*/, v188
	s_set_vgpr_msb 0                        ;  msbs: dst=0 src0=0 src1=0 src2=0
	v_add_f32_e32 v9, v9, v15
	v_add_f32_e32 v7, v7, v67
	s_set_vgpr_msb 1                        ;  msbs: dst=0 src0=1 src1=0 src2=0
	v_dual_mul_f32 v83, v64 /*v320*/, v193 :: v_dual_mul_f32 v85, v66 /*v322*/, v195
	v_dual_mul_f32 v15, v67 /*v323*/, v195 :: v_dual_fma_f32 v19, v56 /*v312*/, v184, -v19
	s_set_vgpr_msb 0                        ;  msbs: dst=0 src0=0 src1=0 src2=0
	v_add_f32_e32 v9, v9, v17
	v_add_f32_e32 v7, v7, v69
	s_wait_loadcnt_dscnt 0x701
	s_set_vgpr_msb 1                        ;  msbs: dst=0 src0=1 src1=0 src2=0
	v_dual_mul_f32 v17, v69 /*v325*/, v197 :: v_dual_fma_f32 v21, v58 /*v314*/, v186, -v21
	v_dual_fmac_f32 v81, v63 /*v319*/, v190 :: v_dual_fmac_f32 v83, v65 /*v321*/, v192
	s_set_vgpr_msb 0                        ;  msbs: dst=0 src0=0 src1=0 src2=0
	v_add_f32_e32 v9, v9, v19
	v_add_f32_e32 v7, v7, v71
	s_set_vgpr_msb 1                        ;  msbs: dst=0 src0=1 src1=0 src2=0
	v_dual_mul_f32 v19, v71 /*v327*/, v199 :: v_dual_fma_f32 v23, v60 /*v316*/, v188, -v23
	v_fma_f32 v11, v62 /*v318*/, v190, -v11
	s_set_vgpr_msb 0                        ;  msbs: dst=0 src0=0 src1=0 src2=0
	v_add_f32_e32 v9, v9, v21
	v_add_f32_e32 v7, v7, v73
	s_wait_loadcnt_dscnt 0x600
	s_set_vgpr_msb 1                        ;  msbs: dst=0 src0=1 src1=0 src2=0
	v_dual_mul_f32 v21, v73 /*v329*/, v201 :: v_dual_fmac_f32 v85, v67 /*v323*/, v194
	v_fma_f32 v15, v66 /*v322*/, v194, -v15
	s_set_vgpr_msb 0                        ;  msbs: dst=0 src0=0 src1=0 src2=0
	v_add_f32_e32 v9, v9, v23
	v_add_f32_e32 v7, v7, v75
	s_set_vgpr_msb 1                        ;  msbs: dst=0 src0=1 src1=0 src2=0
	v_dual_mul_f32 v23, v75 /*v331*/, v203 :: v_dual_fma_f32 v13, v64 /*v320*/, v192, -v13
	s_wait_loadcnt 0x4
	s_set_vgpr_msb 0                        ;  msbs: dst=0 src0=0 src1=0 src2=0
	v_dual_mov_b32 v118, v211 :: v_dual_add_f32 v9, v9, v11
	v_mul_f32_e32 v11, v253, v205
	v_add_f32_e32 v7, v7, v77
	s_set_vgpr_msb 1                        ;  msbs: dst=0 src0=1 src1=0 src2=0
	v_dual_mul_f32 v87, v68 /*v324*/, v197 :: v_dual_mul_f32 v89, v70 /*v326*/, v199
	s_set_vgpr_msb 0                        ;  msbs: dst=0 src0=0 src1=0 src2=0
	v_add_f32_e32 v9, v9, v13
	s_set_vgpr_msb 1                        ;  msbs: dst=0 src0=1 src1=0 src2=0
	v_fma_f32 v17, v68 /*v324*/, v196, -v17
	s_set_vgpr_msb 0                        ;  msbs: dst=0 src0=0 src1=0 src2=0
	v_add_f32_e32 v7, v7, v79
	s_set_vgpr_msb 1                        ;  msbs: dst=0 src0=1 src1=0 src2=0
	v_dual_fmac_f32 v87, v69 /*v325*/, v196 :: v_dual_fmac_f32 v89, v71 /*v327*/, v198
	s_set_vgpr_msb 0                        ;  msbs: dst=0 src0=0 src1=0 src2=0
	v_add_f32_e32 v9, v9, v15
	s_set_vgpr_msb 1                        ;  msbs: dst=0 src0=1 src1=0 src2=0
	v_dual_mul_f32 v91, v72 /*v328*/, v201 :: v_dual_mul_f32 v93, v74 /*v330*/, v203
	s_set_vgpr_msb 0                        ;  msbs: dst=0 src0=0 src1=0 src2=0
	v_add_f32_e32 v7, v7, v81
	s_set_vgpr_msb 1                        ;  msbs: dst=0 src0=1 src1=0 src2=0
	v_fma_f32 v15, v70 /*v326*/, v198, -v19
	s_set_vgpr_msb 0                        ;  msbs: dst=0 src0=0 src1=0 src2=0
	v_add_f32_e32 v9, v9, v17
	s_set_vgpr_msb 1                        ;  msbs: dst=0 src0=1 src1=0 src2=0
	v_dual_fmac_f32 v91, v73 /*v329*/, v200 :: v_dual_fma_f32 v17, v72 /*v328*/, v200, -v21
	s_set_vgpr_msb 0                        ;  msbs: dst=0 src0=0 src1=0 src2=0
	v_add_f32_e32 v7, v7, v83
	s_set_vgpr_msb 64                       ;  msbs: dst=1 src0=0 src1=0 src2=0
	v_dual_mul_f32 v87 /*v343*/, v252, v205 :: v_dual_mul_f32 v89 /*v345*/, v254, v207
	s_wait_loadcnt 0x3
	s_set_vgpr_msb 0                        ;  msbs: dst=0 src0=0 src1=0 src2=0
	v_dual_add_f32 v9, v9, v15 :: v_dual_mov_b32 v122, v215
	v_add_f32_e32 v7, v7, v85
	v_mul_f32_e32 v13, v255, v207
	s_set_vgpr_msb 1                        ;  msbs: dst=0 src0=1 src1=0 src2=0
	v_dual_fmac_f32 v93, v75 /*v331*/, v202 :: v_dual_fma_f32 v15, v74 /*v330*/, v202, -v23
	s_set_vgpr_msb 0                        ;  msbs: dst=0 src0=0 src1=0 src2=0
	v_dual_add_f32 v9, v9, v17 :: v_dual_add_f32 v7, v7, v87
	s_set_vgpr_msb 1                        ;  msbs: dst=0 src0=1 src1=0 src2=0
	v_pk_mul_f32 v[116:117], v[0:1] /*v[256:257]*/, v[208:209] op_sel:[1,1] op_sel_hi:[0,1]
	s_set_vgpr_msb 64                       ;  msbs: dst=1 src0=0 src1=0 src2=0
	v_dual_fmac_f32 v87 /*v343*/, v253, v204 :: v_dual_fmac_f32 v89 /*v345*/, v255, v206
	v_dual_fma_f32 v86 /*v342*/, v252, v204, -v11 :: v_dual_fma_f32 v88 /*v344*/, v254, v206, -v13
	s_set_vgpr_msb 0                        ;  msbs: dst=0 src0=0 src1=0 src2=0
	v_dual_add_f32 v7, v7, v89 :: v_dual_add_f32 v124, v9, v15
	s_set_vgpr_msb 1                        ;  msbs: dst=0 src0=1 src1=0 src2=0
	v_pk_fma_f32 v[126:127], v[0:1] /*v[256:257]*/, v[208:209], v[116:117] op_sel_hi:[1,0,1]
	v_pk_mul_f32 v[118:119], v[78:79] /*v[334:335]*/, v[118:119] op_sel_hi:[1,0]
	v_pk_fma_f32 v[116:117], v[0:1] /*v[256:257]*/, v[208:209], v[116:117] neg_lo:[0,0,1] neg_hi:[0,0,1]
	s_set_vgpr_msb 0                        ;  msbs: dst=0 src0=0 src1=0 src2=0
	v_add_f32_e32 v7, v7, v91
	s_set_vgpr_msb 1                        ;  msbs: dst=0 src0=1 src1=0 src2=0
	v_pk_mul_f32 v[120:121], v[4:5] /*v[260:261]*/, v[212:213] op_sel:[1,1] op_sel_hi:[0,1]
	s_set_vgpr_msb 0                        ;  msbs: dst=0 src0=0 src1=0 src2=0
	v_mov_b32_e32 v117, v127
	s_set_vgpr_msb 1                        ;  msbs: dst=0 src0=1 src1=0 src2=0
	v_pk_fma_f32 v[126:127], v[2:3] /*v[258:259]*/, v[210:211], v[118:119] op_sel_hi:[1,0,1]
	v_pk_fma_f32 v[118:119], v[2:3] /*v[258:259]*/, v[210:211], v[118:119] neg_lo:[0,0,1] neg_hi:[0,0,1]
	s_set_vgpr_msb 0                        ;  msbs: dst=0 src0=0 src1=0 src2=0
	v_add_f32_e32 v125, v7, v93
	s_set_vgpr_msb 1                        ;  msbs: dst=0 src0=1 src1=0 src2=0
	v_pk_fma_f32 v[130:131], v[4:5] /*v[260:261]*/, v[212:213], v[120:121] op_sel_hi:[1,0,1]
	v_pk_mul_f32 v[122:123], v[80:81] /*v[336:337]*/, v[122:123] op_sel_hi:[1,0]
	s_set_vgpr_msb 0                        ;  msbs: dst=0 src0=0 src1=0 src2=0
	v_mov_b32_e32 v119, v127
	s_wait_loadcnt 0x2
	s_set_vgpr_msb 1                        ;  msbs: dst=0 src0=1 src1=0 src2=0
	v_pk_mul_f32 v[128:129], v[16:17] /*v[272:273]*/, v[216:217] op_sel:[1,1] op_sel_hi:[0,1]
	s_set_vgpr_msb 4                        ;  msbs: dst=0 src0=0 src1=1 src2=0
	v_pk_add_f32 v[124:125], v[124:125], v[86:87] /*v[342:343]*/
	s_set_vgpr_msb 1                        ;  msbs: dst=0 src0=1 src1=0 src2=0
	v_pk_fma_f32 v[120:121], v[4:5] /*v[260:261]*/, v[212:213], v[120:121] neg_lo:[0,0,1] neg_hi:[0,0,1]
	s_set_vgpr_msb 0                        ;  msbs: dst=0 src0=0 src1=0 src2=0
	v_mov_b32_e32 v121, v131
	s_set_vgpr_msb 1                        ;  msbs: dst=0 src0=1 src1=0 src2=0
	v_pk_fma_f32 v[126:127], v[6:7] /*v[262:263]*/, v[214:215], v[122:123] op_sel_hi:[1,0,1]
	v_pk_fma_f32 v[122:123], v[6:7] /*v[262:263]*/, v[214:215], v[122:123] neg_lo:[0,0,1] neg_hi:[0,0,1]
	s_set_vgpr_msb 4                        ;  msbs: dst=0 src0=0 src1=1 src2=0
	v_pk_add_f32 v[124:125], v[124:125], v[88:89] /*v[344:345]*/
	s_set_vgpr_msb 0                        ;  msbs: dst=0 src0=0 src1=0 src2=0
	s_delay_alu instid0(VALU_DEP_1) | instskip(SKIP_1) | instid1(VALU_DEP_2)
	v_pk_add_f32 v[116:117], v[124:125], v[116:117]
	v_mov_b32_e32 v124, v219
	v_pk_add_f32 v[116:117], v[116:117], v[118:119]
	s_set_vgpr_msb 1                        ;  msbs: dst=0 src0=1 src1=0 src2=0
	v_pk_fma_f32 v[118:119], v[16:17] /*v[272:273]*/, v[216:217], v[128:129] op_sel_hi:[1,0,1]
	s_delay_alu instid0(VALU_DEP_3)
	v_pk_mul_f32 v[124:125], v[82:83] /*v[338:339]*/, v[124:125] op_sel_hi:[1,0]
	s_set_vgpr_msb 0                        ;  msbs: dst=0 src0=0 src1=0 src2=0
	v_mov_b32_e32 v123, v127
	s_set_vgpr_msb 1                        ;  msbs: dst=0 src0=1 src1=0 src2=0
	v_pk_fma_f32 v[126:127], v[16:17] /*v[272:273]*/, v[216:217], v[128:129] neg_lo:[0,0,1] neg_hi:[0,0,1]
	s_set_vgpr_msb 0                        ;  msbs: dst=0 src0=0 src1=0 src2=0
	v_pk_add_f32 v[116:117], v[116:117], v[120:121]
	v_mov_b32_e32 v127, v119
	s_set_vgpr_msb 1                        ;  msbs: dst=0 src0=1 src1=0 src2=0
	v_pk_fma_f32 v[118:119], v[18:19] /*v[274:275]*/, v[218:219], v[124:125] op_sel_hi:[1,0,1]
	s_wait_loadcnt 0x1
	s_set_vgpr_msb 5                        ;  msbs: dst=0 src0=1 src1=1 src2=0
	v_pk_mul_f32 v[120:121], v[24:25] /*v[280:281]*/, v[20:21] /*v[276:277]*/ op_sel:[1,1] op_sel_hi:[0,1]
	v_mov_b32_e32 v118, v23 /*v279*/
	s_set_vgpr_msb 0                        ;  msbs: dst=0 src0=0 src1=0 src2=0
	v_pk_add_f32 v[116:117], v[116:117], v[122:123]
	s_set_vgpr_msb 1                        ;  msbs: dst=0 src0=1 src1=0 src2=0
	v_pk_fma_f32 v[124:125], v[18:19] /*v[274:275]*/, v[218:219], v[124:125] neg_lo:[0,0,1] neg_hi:[0,0,1]
	s_set_vgpr_msb 5                        ;  msbs: dst=0 src0=1 src1=1 src2=0
	v_pk_fma_f32 v[122:123], v[24:25] /*v[280:281]*/, v[20:21] /*v[276:277]*/, v[120:121] op_sel_hi:[1,0,1]
	s_set_vgpr_msb 0                        ;  msbs: dst=0 src0=0 src1=0 src2=0
	v_mov_b32_e32 v125, v119
	v_pk_add_f32 v[116:117], v[116:117], v[126:127]
	s_set_vgpr_msb 1                        ;  msbs: dst=0 src0=1 src1=0 src2=0
	v_pk_mul_f32 v[118:119], v[84:85] /*v[340:341]*/, v[118:119] op_sel_hi:[1,0]
	s_set_vgpr_msb 5                        ;  msbs: dst=0 src0=1 src1=1 src2=0
	v_pk_fma_f32 v[120:121], v[24:25] /*v[280:281]*/, v[20:21] /*v[276:277]*/, v[120:121] neg_lo:[0,0,1] neg_hi:[0,0,1]
	s_set_vgpr_msb 0                        ;  msbs: dst=0 src0=0 src1=0 src2=0
	v_mov_b32_e32 v121, v123
	v_pk_add_f32 v[116:117], v[116:117], v[124:125]
	s_set_vgpr_msb 5                        ;  msbs: dst=0 src0=1 src1=1 src2=0
	v_pk_fma_f32 v[122:123], v[26:27] /*v[282:283]*/, v[22:23] /*v[278:279]*/, v[118:119] op_sel_hi:[1,0,1]
	v_pk_fma_f32 v[118:119], v[26:27] /*v[282:283]*/, v[22:23] /*v[278:279]*/, v[118:119] neg_lo:[0,0,1] neg_hi:[0,0,1]
	s_set_vgpr_msb 0                        ;  msbs: dst=0 src0=0 src1=0 src2=0
	v_pk_add_f32 v[116:117], v[116:117], v[120:121]
	s_delay_alu instid0(VALU_DEP_3) | instskip(NEXT) | instid1(VALU_DEP_1)
	v_mov_b32_e32 v119, v123
	v_pk_add_f32 v[116:117], v[116:117], v[118:119]
	s_wait_loadcnt 0x0
	s_set_vgpr_msb 1                        ;  msbs: dst=0 src0=1 src1=0 src2=0
	s_delay_alu instid0(VALU_DEP_1)
	v_pk_add_f32 v[116:117], v[76:77] /*v[332:333]*/, v[116:117] neg_lo:[0,1] neg_hi:[0,1]
	scratch_store_b64 off, v[116:117], off offset:16
	s_wait_xcnt 0x0
	v_cmpx_lt_u32_e32 1, v0
	s_set_vgpr_msb 0                        ;  msbs: dst=0 src0=0 src1=0 src2=0
	s_cbranch_execz .LBB56_353
; %bb.352:
	scratch_load_b64 v[116:117], off, off offset:8
	v_mov_b64_e32 v[118:119], 0
	scratch_store_b64 off, v[118:119], off offset:8
	s_wait_loadcnt 0x0
	ds_store_b64 v1, v[116:117]
.LBB56_353:
	s_wait_xcnt 0x0
	s_or_b32 exec_lo, exec_lo, s0
	s_wait_storecnt_dscnt 0x0
	s_barrier_signal -1
	s_barrier_wait -1
	s_clause 0x17
	scratch_load_b128 v[118:121], off, off offset:16
	scratch_load_b128 v[122:125], off, off offset:32
	;; [unrolled: 1-line block ×24, first 2 shown]
	v_dual_mov_b32 v116, 0 :: v_dual_ashrrev_i32 v91, 31, v90
	s_clause 0x5
	scratch_load_b128 v[214:217], off, off offset:400
	scratch_load_b128 v[218:221], off, off offset:416
	;; [unrolled: 1-line block ×3, first 2 shown]
	s_set_vgpr_msb 64                       ;  msbs: dst=1 src0=0 src1=0 src2=0
	scratch_load_b64 v[66:67] /*v[322:323]*/, off, off offset:448
	scratch_load_b64 v[68:69] /*v[324:325]*/, off, off offset:8
	s_set_vgpr_msb 0                        ;  msbs: dst=0 src0=0 src1=0 src2=0
	ds_load_b128 v[226:229], v116 offset:480
	ds_load_b128 v[230:233], v116 offset:496
	;; [unrolled: 1-line block ×8, first 2 shown]
	s_set_vgpr_msb 64                       ;  msbs: dst=1 src0=0 src1=0 src2=0
	ds_load_b128 v[2:5] /*v[258:261]*/, v116 offset:608
	ds_load_b128 v[6:9] /*v[262:265]*/, v116 offset:624
	ds_load_b128 v[10:13] /*v[266:269]*/, v116 offset:640
	ds_load_b128 v[14:17] /*v[270:273]*/, v116 offset:656
	ds_load_b128 v[18:21] /*v[274:277]*/, v116 offset:672
	ds_load_b128 v[22:25] /*v[278:281]*/, v116 offset:688
	ds_load_b128 v[26:29] /*v[282:285]*/, v116 offset:704
	ds_load_b128 v[30:33] /*v[286:289]*/, v116 offset:720
	ds_load_b128 v[34:37] /*v[290:293]*/, v116 offset:736
	ds_load_b128 v[38:41] /*v[294:297]*/, v116 offset:752
	ds_load_b128 v[42:45] /*v[298:301]*/, v116 offset:768
	ds_load_b128 v[46:49] /*v[302:305]*/, v116 offset:784
	ds_load_b128 v[50:53] /*v[306:309]*/, v116 offset:832
	ds_load_b128 v[54:57] /*v[310:313]*/, v116 offset:848
	ds_load_b128 v[58:61] /*v[314:317]*/, v116 offset:864
	ds_load_b128 v[62:65] /*v[318:321]*/, v116 offset:880
	s_set_vgpr_msb 0                        ;  msbs: dst=0 src0=0 src1=0 src2=0
	v_dual_ashrrev_i32 v7, 31, v6 :: v_dual_ashrrev_i32 v9, 31, v8
	v_dual_ashrrev_i32 v11, 31, v10 :: v_dual_ashrrev_i32 v13, 31, v12
	;; [unrolled: 1-line block ×21, first 2 shown]
	s_mov_b32 s0, exec_lo
	s_wait_loadcnt_dscnt 0x1c17
	v_dual_mul_f32 v93, v226, v119 :: v_dual_mul_f32 v95, v228, v121
	s_wait_loadcnt_dscnt 0x1a15
	v_dual_mul_f32 v113, v235, v127 :: v_dual_mul_f32 v115, v237, v129
	v_dual_mul_f32 v109, v234, v127 :: v_dual_mul_f32 v111, v236, v129
	s_wait_loadcnt_dscnt 0x1914
	v_mul_f32_e32 v117, v238, v131
	s_delay_alu instid0(VALU_DEP_3) | instskip(SKIP_4) | instid1(VALU_DEP_4)
	v_dual_fma_f32 v113, v234, v126, -v113 :: v_dual_fma_f32 v115, v236, v128, -v115
	v_dual_mul_f32 v234, v240, v133 :: v_dual_mul_f32 v131, v239, v131
	v_dual_mul_f32 v133, v241, v133 :: v_dual_fmac_f32 v93, v227, v118
	v_dual_fmac_f32 v95, v229, v120 :: v_dual_fmac_f32 v109, v235, v126
	v_dual_fmac_f32 v111, v237, v128 :: v_dual_fmac_f32 v117, v239, v130
	v_dual_fmac_f32 v234, v241, v132 :: v_dual_fma_f32 v235, v238, v130, -v131
	s_wait_loadcnt_dscnt 0x1813
	v_dual_fma_f32 v132, v240, v132, -v133 :: v_dual_mul_f32 v133, v242, v135
	s_wait_loadcnt_dscnt 0x1712
	v_dual_mul_f32 v236, v244, v137 :: v_dual_mul_f32 v237, v246, v139
	v_dual_mul_f32 v137, v245, v137 :: v_dual_mul_f32 v135, v243, v135
	s_wait_loadcnt_dscnt 0x1510
	v_dual_mul_f32 v238, v248, v141 :: v_dual_mul_f32 v239, v254, v147
	v_dual_mul_f32 v141, v249, v141 :: v_dual_mul_f32 v139, v247, v139
	v_dual_fmac_f32 v237, v247, v138 :: v_dual_mul_f32 v97, v230, v123
	s_delay_alu instid0(VALU_DEP_3) | instskip(NEXT) | instid1(VALU_DEP_3)
	v_dual_mul_f32 v99, v232, v125 :: v_dual_fmac_f32 v238, v249, v140
	v_dual_fma_f32 v138, v246, v138, -v139 :: v_dual_fma_f32 v139, v248, v140, -v141
	s_delay_alu instid0(VALU_DEP_3) | instskip(NEXT) | instid1(VALU_DEP_3)
	v_dual_add_f32 v93, 0, v93 :: v_dual_fmac_f32 v97, v231, v122
	v_dual_fmac_f32 v99, v233, v124 :: v_dual_fmac_f32 v133, v243, v134
	v_dual_fmac_f32 v236, v245, v136 :: v_dual_fma_f32 v134, v242, v134, -v135
	v_dual_fma_f32 v135, v244, v136, -v137 :: v_dual_mul_f32 v136, v250, v143
	s_delay_alu instid0(VALU_DEP_4) | instskip(SKIP_1) | instid1(VALU_DEP_3)
	v_dual_mul_f32 v137, v252, v145 :: v_dual_add_f32 v93, v93, v95
	v_dual_mul_f32 v101, v227, v119 :: v_dual_mul_f32 v103, v229, v121
	v_dual_fmac_f32 v136, v251, v142 :: v_dual_mul_f32 v143, v251, v143
	s_delay_alu instid0(VALU_DEP_2) | instskip(NEXT) | instid1(VALU_DEP_3)
	v_dual_add_f32 v93, v93, v97 :: v_dual_fma_f32 v101, v226, v118, -v101
	v_fma_f32 v103, v228, v120, -v103
	ds_load_b128 v[118:121], v116 offset:800
	ds_load_b128 v[226:229], v116 offset:816
	v_dual_fmac_f32 v239, v255, v146 :: v_dual_add_f32 v93, v93, v99
	v_dual_mul_f32 v105, v231, v123 :: v_dual_mul_f32 v107, v233, v125
	s_wait_loadcnt_dscnt 0x120f
	s_set_vgpr_msb 1                        ;  msbs: dst=0 src0=1 src1=0 src2=0
	v_dual_add_f32 v101, 0, v101 :: v_dual_mul_f32 v243, v10 /*v266*/, v159
	s_set_vgpr_msb 0                        ;  msbs: dst=0 src0=0 src1=0 src2=0
	v_dual_add_f32 v93, v93, v109 :: v_dual_fma_f32 v105, v230, v122, -v105
	s_delay_alu instid0(VALU_DEP_2) | instskip(NEXT) | instid1(VALU_DEP_2)
	v_dual_fma_f32 v107, v232, v124, -v107 :: v_dual_add_f32 v101, v101, v103
	v_dual_fma_f32 v142, v250, v142, -v143 :: v_dual_add_f32 v93, v93, v111
	v_fmac_f32_e32 v137, v253, v144
	s_set_vgpr_msb 1                        ;  msbs: dst=0 src0=1 src1=0 src2=0
	v_dual_mul_f32 v240, v0 /*v256*/, v149 :: v_dual_mul_f32 v241, v2 /*v258*/, v151
	v_dual_mul_f32 v242, v4 /*v260*/, v153 :: v_dual_mul_f32 v140, v6 /*v262*/, v155
	s_set_vgpr_msb 0                        ;  msbs: dst=0 src0=0 src1=0 src2=0
	v_add_f32_e32 v93, v93, v117
	v_mul_f32_e32 v117, v253, v145
	s_wait_loadcnt_dscnt 0x700
	v_dual_add_f32 v101, v101, v105 :: v_dual_mul_f32 v248, v226, v203
	s_set_vgpr_msb 1                        ;  msbs: dst=0 src0=1 src1=0 src2=0
	v_dual_fmac_f32 v240, v1 /*v257*/, v148 :: v_dual_fmac_f32 v241, v3 /*v259*/, v150
	s_set_vgpr_msb 0                        ;  msbs: dst=0 src0=0 src1=0 src2=0
	v_dual_add_f32 v93, v93, v234 :: v_dual_fma_f32 v117, v252, v144, -v117
	v_add_f32_e32 v101, v101, v107
	s_set_vgpr_msb 1                        ;  msbs: dst=0 src0=1 src1=0 src2=0
	v_dual_fmac_f32 v242, v5 /*v261*/, v152 :: v_dual_mul_f32 v141, v8 /*v264*/, v157
	v_mul_f32_e32 v103, v14 /*v270*/, v163
	s_set_vgpr_msb 0                        ;  msbs: dst=0 src0=0 src1=0 src2=0
	v_add_f32_e32 v93, v93, v133
	s_wait_loadcnt 0x6
	s_set_vgpr_msb 1                        ;  msbs: dst=0 src0=1 src1=0 src2=0
	v_dual_fmac_f32 v140, v7 /*v263*/, v154 :: v_dual_mul_f32 v133, v52 /*v308*/, v209
	v_dual_mul_f32 v95, v12 /*v268*/, v161 :: v_dual_mul_f32 v97, v18 /*v274*/, v167
	s_set_vgpr_msb 0                        ;  msbs: dst=0 src0=0 src1=0 src2=0
	v_dual_add_f32 v93, v93, v236 :: v_dual_mul_f32 v236, v228, v205
	v_add_f32_e32 v101, v101, v113
	s_set_vgpr_msb 1                        ;  msbs: dst=0 src0=1 src1=0 src2=0
	v_fmac_f32_e32 v243, v11 /*v267*/, v158
	v_fmac_f32_e32 v95, v13 /*v269*/, v160
	s_set_vgpr_msb 0                        ;  msbs: dst=0 src0=0 src1=0 src2=0
	v_add_f32_e32 v93, v93, v237
	s_set_vgpr_msb 1                        ;  msbs: dst=0 src0=1 src1=0 src2=0
	v_dual_mul_f32 v244, v16 /*v272*/, v165 :: v_dual_mul_f32 v245, v22 /*v278*/, v171
	s_set_vgpr_msb 0                        ;  msbs: dst=0 src0=0 src1=0 src2=0
	v_add_f32_e32 v101, v101, v115
	s_set_vgpr_msb 1                        ;  msbs: dst=0 src0=1 src1=0 src2=0
	v_fmac_f32_e32 v103, v15 /*v271*/, v162
	s_set_vgpr_msb 0                        ;  msbs: dst=0 src0=0 src1=0 src2=0
	v_add_f32_e32 v93, v93, v238
	s_set_vgpr_msb 1                        ;  msbs: dst=0 src0=1 src1=0 src2=0
	v_dual_fmac_f32 v244, v17 /*v273*/, v164 :: v_dual_mul_f32 v105, v20 /*v276*/, v169
	v_mul_f32_e32 v107, v26 /*v282*/, v175
	s_set_vgpr_msb 0                        ;  msbs: dst=0 src0=0 src1=0 src2=0
	v_add_f32_e32 v101, v101, v235
	v_dual_add_f32 v93, v93, v136 :: v_dual_mul_f32 v235, v118, v199
	s_set_vgpr_msb 1                        ;  msbs: dst=0 src0=1 src1=0 src2=0
	v_fmac_f32_e32 v97, v19 /*v275*/, v166
	v_fmac_f32_e32 v105, v21 /*v277*/, v168
	s_set_vgpr_msb 0                        ;  msbs: dst=0 src0=0 src1=0 src2=0
	v_add_f32_e32 v101, v101, v132
	v_dual_add_f32 v93, v93, v137 :: v_dual_fmac_f32 v235, v119, v198
	s_set_vgpr_msb 1                        ;  msbs: dst=0 src0=1 src1=0 src2=0
	v_dual_mul_f32 v99, v24 /*v280*/, v173 :: v_dual_mul_f32 v109, v30 /*v286*/, v179
	s_set_vgpr_msb 0                        ;  msbs: dst=0 src0=0 src1=0 src2=0
	v_add_f32_e32 v101, v101, v134
	v_add_f32_e32 v93, v93, v239
	s_set_vgpr_msb 1                        ;  msbs: dst=0 src0=1 src1=0 src2=0
	v_dual_fmac_f32 v245, v23 /*v279*/, v170 :: v_dual_fmac_f32 v99, v25 /*v281*/, v172
	v_dual_mul_f32 v246, v28 /*v284*/, v177 :: v_dual_mul_f32 v247, v34 /*v290*/, v183
	s_set_vgpr_msb 0                        ;  msbs: dst=0 src0=0 src1=0 src2=0
	v_add_f32_e32 v93, v93, v240
	v_add_f32_e32 v101, v101, v135
	s_set_vgpr_msb 1                        ;  msbs: dst=0 src0=1 src1=0 src2=0
	v_dual_fmac_f32 v107, v27 /*v283*/, v174 :: v_dual_fmac_f32 v246, v29 /*v285*/, v176
	v_fmac_f32_e32 v109, v31 /*v287*/, v178
	s_set_vgpr_msb 0                        ;  msbs: dst=0 src0=0 src1=0 src2=0
	v_add_f32_e32 v93, v93, v241
	v_dual_add_f32 v101, v101, v138 :: v_dual_mul_f32 v138, v255, v147
	s_set_vgpr_msb 1                        ;  msbs: dst=0 src0=1 src1=0 src2=0
	v_dual_mul_f32 v147, v1 /*v257*/, v149 :: v_dual_mul_f32 v149, v3 /*v259*/, v151
	s_set_vgpr_msb 0                        ;  msbs: dst=0 src0=0 src1=0 src2=0
	v_add_f32_e32 v93, v93, v242
	s_set_vgpr_msb 1                        ;  msbs: dst=0 src0=1 src1=0 src2=0
	v_dual_mul_f32 v151, v7 /*v263*/, v155 :: v_dual_mul_f32 v136, v9 /*v265*/, v157
	v_fma_f32 v137, v0 /*v256*/, v148, -v147
	v_fmac_f32_e32 v141, v9 /*v265*/, v156
	s_set_vgpr_msb 0                        ;  msbs: dst=0 src0=0 src1=0 src2=0
	v_add_f32_e32 v93, v93, v140
	s_set_vgpr_msb 1                        ;  msbs: dst=0 src0=1 src1=0 src2=0
	v_dual_mul_f32 v111, v36 /*v292*/, v185 :: v_dual_mul_f32 v143, v42 /*v298*/, v191
	v_fma_f32 v136, v8 /*v264*/, v156, -v136
	v_dual_mul_f32 v145, v40 /*v296*/, v189 :: v_dual_mul_f32 v132, v46 /*v302*/, v195
	s_set_vgpr_msb 0                        ;  msbs: dst=0 src0=0 src1=0 src2=0
	v_dual_add_f32 v93, v93, v141 :: v_dual_fma_f32 v138, v254, v146, -v138
	s_wait_loadcnt 0x5
	s_set_vgpr_msb 1                        ;  msbs: dst=0 src0=1 src1=0 src2=0
	v_dual_mul_f32 v234, v48 /*v304*/, v197 :: v_dual_mul_f32 v135, v54 /*v310*/, v211
	v_fma_f32 v146, v2 /*v258*/, v150, -v149
	s_set_vgpr_msb 0                        ;  msbs: dst=0 src0=0 src1=0 src2=0
	v_add_f32_e32 v93, v93, v243
	s_set_vgpr_msb 1                        ;  msbs: dst=0 src0=1 src1=0 src2=0
	v_dual_mul_f32 v113, v32 /*v288*/, v181 :: v_dual_mul_f32 v115, v38 /*v294*/, v187
	s_set_vgpr_msb 0                        ;  msbs: dst=0 src0=0 src1=0 src2=0
	v_mul_f32_e32 v134, v120, v201
	s_set_vgpr_msb 1                        ;  msbs: dst=0 src0=1 src1=0 src2=0
	v_dual_mul_f32 v144, v44 /*v300*/, v193 :: v_dual_mul_f32 v249, v50 /*v306*/, v207
	s_set_vgpr_msb 0                        ;  msbs: dst=0 src0=0 src1=0 src2=0
	v_add_f32_e32 v93, v93, v95
	s_set_vgpr_msb 1                        ;  msbs: dst=0 src0=1 src1=0 src2=0
	v_dual_fmac_f32 v113, v33 /*v289*/, v180 :: v_dual_fmac_f32 v143, v43 /*v299*/, v190
	v_fmac_f32_e32 v144, v45 /*v301*/, v192
	v_fmac_f32_e32 v132, v47 /*v303*/, v194
	s_set_vgpr_msb 0                        ;  msbs: dst=0 src0=0 src1=0 src2=0
	v_add_f32_e32 v93, v93, v103
	s_set_vgpr_msb 1                        ;  msbs: dst=0 src0=1 src1=0 src2=0
	v_dual_mov_b32 v232, v57 /*v313*/ :: v_dual_mov_b32 v233, v56 /*v312*/
	v_fmac_f32_e32 v249, v51 /*v307*/, v206
	v_dual_fmac_f32 v133, v53 /*v309*/, v208 :: v_dual_fmac_f32 v135, v55 /*v311*/, v210
	s_set_vgpr_msb 0                        ;  msbs: dst=0 src0=0 src1=0 src2=0
	v_add_f32_e32 v93, v93, v244
	s_set_vgpr_msb 1                        ;  msbs: dst=0 src0=1 src1=0 src2=0
	v_dual_mov_b32 v126, v61 /*v317*/ :: v_dual_mov_b32 v127, v60 /*v316*/
	s_set_vgpr_msb 0                        ;  msbs: dst=0 src0=0 src1=0 src2=0
	ds_load_b128 v[122:125], v116 offset:896
	ds_load_b64 v[230:231], v116 offset:912
	s_set_vgpr_msb 1                        ;  msbs: dst=0 src0=1 src1=0 src2=0
	v_dual_mov_b32 v128, v65 /*v321*/ :: v_dual_mov_b32 v129, v64 /*v320*/
	s_set_vgpr_msb 0                        ;  msbs: dst=0 src0=0 src1=0 src2=0
	v_add_f32_e32 v93, v93, v97
	s_set_vgpr_msb 1                        ;  msbs: dst=0 src0=1 src1=0 src2=0
	v_dual_mul_f32 v97, v35 /*v291*/, v183 :: v_dual_fma_f32 v147, v6 /*v262*/, v154, -v151
	s_set_vgpr_msb 0                        ;  msbs: dst=0 src0=0 src1=0 src2=0
	v_fmac_f32_e32 v248, v227, v202
	s_set_vgpr_msb 1                        ;  msbs: dst=0 src0=1 src1=0 src2=0
	v_fmac_f32_e32 v247, v35 /*v291*/, v182
	s_set_vgpr_msb 0                        ;  msbs: dst=0 src0=0 src1=0 src2=0
	v_add_f32_e32 v93, v93, v105
	s_set_vgpr_msb 1                        ;  msbs: dst=0 src0=1 src1=0 src2=0
	v_dual_mul_f32 v105, v37 /*v293*/, v185 :: v_dual_fma_f32 v97, v34 /*v290*/, v182, -v97
	v_fmac_f32_e32 v111, v37 /*v293*/, v184
	s_set_vgpr_msb 0                        ;  msbs: dst=0 src0=0 src1=0 src2=0
	v_fmac_f32_e32 v134, v121, v200
	v_add_f32_e32 v93, v93, v245
	s_set_vgpr_msb 1                        ;  msbs: dst=0 src0=1 src1=0 src2=0
	v_fma_f32 v105, v36 /*v292*/, v184, -v105
	s_set_vgpr_msb 0                        ;  msbs: dst=0 src0=0 src1=0 src2=0
	v_fmac_f32_e32 v236, v229, v204
	v_add_f32_e32 v93, v93, v99
	s_set_vgpr_msb 1                        ;  msbs: dst=0 src0=1 src1=0 src2=0
	v_dual_mul_f32 v99, v41 /*v297*/, v189 :: v_dual_fmac_f32 v145, v41 /*v297*/, v188
	s_wait_dscnt 0x1
	s_set_vgpr_msb 0                        ;  msbs: dst=0 src0=0 src1=0 src2=0
	v_dual_mov_b32 v130, v125 :: v_dual_mov_b32 v131, v124
	v_add_f32_e32 v93, v93, v107
	s_set_vgpr_msb 1                        ;  msbs: dst=0 src0=1 src1=0 src2=0
	v_dual_mul_f32 v107, v43 /*v299*/, v191 :: v_dual_fma_f32 v99, v40 /*v296*/, v188, -v99
	s_set_vgpr_msb 0                        ;  msbs: dst=0 src0=0 src1=0 src2=0
	s_delay_alu instid0(VALU_DEP_2) | instskip(SKIP_1) | instid1(VALU_DEP_2)
	v_add_f32_e32 v93, v93, v246
	s_set_vgpr_msb 1                        ;  msbs: dst=0 src0=1 src1=0 src2=0
	v_fma_f32 v107, v42 /*v298*/, v190, -v107
	s_set_vgpr_msb 0                        ;  msbs: dst=0 src0=0 src1=0 src2=0
	s_delay_alu instid0(VALU_DEP_2)
	v_add_f32_e32 v93, v93, v109
	s_set_vgpr_msb 1                        ;  msbs: dst=0 src0=1 src1=0 src2=0
	v_mul_f32_e32 v109, v49 /*v305*/, v197
	s_set_vgpr_msb 0                        ;  msbs: dst=0 src0=0 src1=0 src2=0
	v_add_f32_e32 v101, v101, v139
	s_set_vgpr_msb 1                        ;  msbs: dst=0 src0=1 src1=0 src2=0
	v_mul_f32_e32 v139, v5 /*v261*/, v153
	v_dual_fmac_f32 v234, v49 /*v305*/, v196 :: v_dual_fma_f32 v109, v48 /*v304*/, v196, -v109
	s_set_vgpr_msb 0                        ;  msbs: dst=0 src0=0 src1=0 src2=0
	v_add_f32_e32 v101, v101, v142
	s_set_vgpr_msb 1                        ;  msbs: dst=0 src0=1 src1=0 src2=0
	v_dual_mul_f32 v142, v11 /*v267*/, v159 :: v_dual_fma_f32 v139, v4 /*v260*/, v152, -v139
	v_mul_f32_e32 v140, v23 /*v279*/, v171
	s_set_vgpr_msb 0                        ;  msbs: dst=0 src0=0 src1=0 src2=0
	v_add_f32_e32 v101, v101, v117
	s_set_vgpr_msb 1                        ;  msbs: dst=0 src0=1 src1=0 src2=0
	v_dual_mul_f32 v117, v13 /*v269*/, v161 :: v_dual_fma_f32 v142, v10 /*v266*/, v158, -v142
	s_set_vgpr_msb 0                        ;  msbs: dst=0 src0=0 src1=0 src2=0
	s_delay_alu instid0(VALU_DEP_2) | instskip(SKIP_1) | instid1(VALU_DEP_2)
	v_add_f32_e32 v101, v101, v138
	s_set_vgpr_msb 1                        ;  msbs: dst=0 src0=1 src1=0 src2=0
	v_dual_mul_f32 v138, v15 /*v271*/, v163 :: v_dual_fma_f32 v117, v12 /*v268*/, v160, -v117
	v_mul_f32_e32 v141, v27 /*v283*/, v175
	s_set_vgpr_msb 0                        ;  msbs: dst=0 src0=0 src1=0 src2=0
	v_add_f32_e32 v101, v101, v137
	s_set_vgpr_msb 1                        ;  msbs: dst=0 src0=1 src1=0 src2=0
	v_dual_mul_f32 v137, v17 /*v273*/, v165 :: v_dual_fma_f32 v138, v14 /*v270*/, v162, -v138
	s_set_vgpr_msb 0                        ;  msbs: dst=0 src0=0 src1=0 src2=0
	s_delay_alu instid0(VALU_DEP_2)
	v_add_f32_e32 v101, v101, v146
	s_set_vgpr_msb 1                        ;  msbs: dst=0 src0=1 src1=0 src2=0
	v_mul_f32_e32 v146, v19 /*v275*/, v167
	v_mul_f32_e32 v103, v31 /*v287*/, v179
	s_set_vgpr_msb 0                        ;  msbs: dst=0 src0=0 src1=0 src2=0
	v_add_f32_e32 v101, v101, v139
	s_set_vgpr_msb 1                        ;  msbs: dst=0 src0=1 src1=0 src2=0
	v_mul_f32_e32 v139, v21 /*v277*/, v169
	s_set_vgpr_msb 0                        ;  msbs: dst=0 src0=0 src1=0 src2=0
	s_delay_alu instid0(VALU_DEP_2) | instskip(NEXT) | instid1(VALU_DEP_1)
	v_add_f32_e32 v101, v101, v147
	v_add_f32_e32 v101, v101, v136
	s_set_vgpr_msb 1                        ;  msbs: dst=0 src0=1 src1=0 src2=0
	v_mul_f32_e32 v136, v25 /*v281*/, v173
	s_set_vgpr_msb 0                        ;  msbs: dst=0 src0=0 src1=0 src2=0
	s_delay_alu instid0(VALU_DEP_2) | instskip(SKIP_1) | instid1(VALU_DEP_2)
	v_add_f32_e32 v101, v101, v142
	s_set_vgpr_msb 1                        ;  msbs: dst=0 src0=1 src1=0 src2=0
	v_fma_f32 v136, v24 /*v280*/, v172, -v136
	s_set_vgpr_msb 0                        ;  msbs: dst=0 src0=0 src1=0 src2=0
	s_delay_alu instid0(VALU_DEP_2)
	v_add_f32_e32 v95, v101, v117
	s_set_vgpr_msb 1                        ;  msbs: dst=0 src0=1 src1=0 src2=0
	v_dual_fma_f32 v117, v16 /*v272*/, v164, -v137 :: v_dual_fma_f32 v137, v18 /*v274*/, v166, -v146
	v_dual_mul_f32 v101, v29 /*v285*/, v177 :: v_dual_fma_f32 v103, v30 /*v286*/, v178, -v103
	s_set_vgpr_msb 0                        ;  msbs: dst=0 src0=0 src1=0 src2=0
	v_add_f32_e32 v95, v95, v138
	s_set_vgpr_msb 1                        ;  msbs: dst=0 src0=1 src1=0 src2=0
	v_fma_f32 v138, v20 /*v276*/, v168, -v139
	v_fma_f32 v101, v28 /*v284*/, v176, -v101
	s_set_vgpr_msb 0                        ;  msbs: dst=0 src0=0 src1=0 src2=0
	v_add_f32_e32 v95, v95, v117
	s_set_vgpr_msb 1                        ;  msbs: dst=0 src0=1 src1=0 src2=0
	v_mul_f32_e32 v117, v33 /*v289*/, v181
	s_set_vgpr_msb 0                        ;  msbs: dst=0 src0=0 src1=0 src2=0
	s_delay_alu instid0(VALU_DEP_2) | instskip(SKIP_1) | instid1(VALU_DEP_2)
	v_add_f32_e32 v95, v95, v137
	s_set_vgpr_msb 1                        ;  msbs: dst=0 src0=1 src1=0 src2=0
	v_dual_fma_f32 v137, v22 /*v278*/, v170, -v140 :: v_dual_fma_f32 v117, v32 /*v288*/, v180, -v117
	s_set_vgpr_msb 0                        ;  msbs: dst=0 src0=0 src1=0 src2=0
	s_delay_alu instid0(VALU_DEP_2) | instskip(SKIP_3) | instid1(VALU_DEP_2)
	v_add_f32_e32 v95, v95, v138
	s_set_vgpr_msb 1                        ;  msbs: dst=0 src0=1 src1=0 src2=0
	v_fma_f32 v138, v26 /*v282*/, v174, -v141
	s_set_vgpr_msb 0                        ;  msbs: dst=0 src0=0 src1=0 src2=0
	v_add_f32_e32 v95, v95, v137
	s_set_vgpr_msb 1                        ;  msbs: dst=0 src0=1 src1=0 src2=0
	v_dual_mul_f32 v137, v39 /*v295*/, v187 :: v_dual_fmac_f32 v115, v39 /*v295*/, v186
	s_wait_loadcnt 0x4
	s_set_vgpr_msb 0                        ;  msbs: dst=0 src0=0 src1=0 src2=0
	v_dual_add_f32 v95, v95, v136 :: v_dual_mov_b32 v136, v217
	s_delay_alu instid0(VALU_DEP_1) | instskip(NEXT) | instid1(VALU_DEP_2)
	v_add_f32_e32 v95, v95, v138
	v_pk_mul_f32 v[126:127], v[126:127], v[136:137] op_sel_hi:[1,0]
	s_wait_loadcnt 0x3
	s_set_vgpr_msb 1                        ;  msbs: dst=0 src0=1 src1=0 src2=0
	v_pk_mul_f32 v[138:139], v[62:63] /*v[318:319]*/, v[218:219] op_sel:[1,1] op_sel_hi:[0,1]
	s_set_vgpr_msb 0                        ;  msbs: dst=0 src0=0 src1=0 src2=0
	v_add_f32_e32 v95, v95, v101
	s_set_vgpr_msb 1                        ;  msbs: dst=0 src0=1 src1=0 src2=0
	v_mul_f32_e32 v101, v45 /*v301*/, v193
	s_set_vgpr_msb 0                        ;  msbs: dst=0 src0=0 src1=0 src2=0
	s_delay_alu instid0(VALU_DEP_2)
	v_add_f32_e32 v95, v95, v103
	s_set_vgpr_msb 1                        ;  msbs: dst=0 src0=1 src1=0 src2=0
	v_mul_f32_e32 v103, v47 /*v303*/, v195
	s_set_vgpr_msb 0                        ;  msbs: dst=0 src0=0 src1=0 src2=0
	v_add_f32_e32 v93, v93, v113
	s_set_vgpr_msb 1                        ;  msbs: dst=0 src0=1 src1=0 src2=0
	v_fma_f32 v113, v38 /*v294*/, v186, -v137
	v_fma_f32 v101, v44 /*v300*/, v192, -v101
	s_set_vgpr_msb 0                        ;  msbs: dst=0 src0=0 src1=0 src2=0
	v_add_f32_e32 v95, v95, v117
	s_set_vgpr_msb 1                        ;  msbs: dst=0 src0=1 src1=0 src2=0
	v_fma_f32 v103, v46 /*v302*/, v194, -v103
	v_pk_fma_f32 v[136:137], v[60:61] /*v[316:317]*/, v[216:217], v[126:127] op_sel_hi:[1,0,1]
	v_pk_fma_f32 v[126:127], v[60:61] /*v[316:317]*/, v[216:217], v[126:127] neg_lo:[0,0,1] neg_hi:[0,0,1]
	s_set_vgpr_msb 0                        ;  msbs: dst=0 src0=0 src1=0 src2=0
	v_add_f32_e32 v95, v95, v97
	s_delay_alu instid0(VALU_DEP_3)
	v_dual_mul_f32 v97, v119, v199 :: v_dual_mov_b32 v127, v137
	s_set_vgpr_msb 1                        ;  msbs: dst=0 src0=1 src1=0 src2=0
	v_pk_fma_f32 v[136:137], v[62:63] /*v[318:319]*/, v[218:219], v[138:139] neg_lo:[0,0,1] neg_hi:[0,0,1]
	s_set_vgpr_msb 0                        ;  msbs: dst=0 src0=0 src1=0 src2=0
	v_add_f32_e32 v95, v95, v105
	v_dual_mul_f32 v105, v121, v201 :: v_dual_fma_f32 v97, v118, v198, -v97
	s_delay_alu instid0(VALU_DEP_2) | instskip(NEXT) | instid1(VALU_DEP_2)
	v_dual_mov_b32 v118, v213 :: v_dual_add_f32 v95, v95, v113
	v_fma_f32 v105, v120, v200, -v105
	v_ashrrev_i32_e32 v113, 31, v112
	s_delay_alu instid0(VALU_DEP_3) | instskip(SKIP_4) | instid1(VALU_DEP_1)
	v_pk_mul_f32 v[118:119], v[232:233], v[118:119] op_sel_hi:[1,0]
	s_set_vgpr_msb 1                        ;  msbs: dst=0 src0=1 src1=0 src2=0
	v_pk_mul_f32 v[120:121], v[58:59] /*v[314:315]*/, v[214:215] op_sel:[1,1] op_sel_hi:[0,1]
	s_set_vgpr_msb 0                        ;  msbs: dst=0 src0=0 src1=0 src2=0
	v_dual_add_f32 v95, v95, v99 :: v_dual_mul_f32 v99, v229, v205
	v_add_f32_e32 v95, v95, v107
	s_set_vgpr_msb 1                        ;  msbs: dst=0 src0=1 src1=0 src2=0
	v_mul_f32_e32 v107, v51 /*v307*/, v207
	s_set_vgpr_msb 0                        ;  msbs: dst=0 src0=0 src1=0 src2=0
	s_delay_alu instid0(VALU_DEP_2) | instskip(SKIP_3) | instid1(VALU_DEP_2)
	v_dual_fma_f32 v99, v228, v204, -v99 :: v_dual_add_f32 v95, v95, v101
	s_set_vgpr_msb 1                        ;  msbs: dst=0 src0=1 src1=0 src2=0
	v_mul_f32_e32 v101, v53 /*v309*/, v209
	s_set_vgpr_msb 0                        ;  msbs: dst=0 src0=0 src1=0 src2=0
	v_add_f32_e32 v95, v95, v103
	s_set_vgpr_msb 1                        ;  msbs: dst=0 src0=1 src1=0 src2=0
	v_mul_f32_e32 v103, v55 /*v311*/, v211
	s_set_vgpr_msb 0                        ;  msbs: dst=0 src0=0 src1=0 src2=0
	s_delay_alu instid0(VALU_DEP_2) | instskip(NEXT) | instid1(VALU_DEP_1)
	v_dual_add_f32 v95, v95, v109 :: v_dual_ashrrev_i32 v109, 31, v108
	v_add_f32_e32 v95, v95, v97
	s_delay_alu instid0(VALU_DEP_1) | instskip(SKIP_1) | instid1(VALU_DEP_1)
	v_dual_add_f32 v95, v95, v105 :: v_dual_ashrrev_i32 v105, 31, v104
	v_add_f32_e32 v93, v93, v247
	v_add_f32_e32 v93, v93, v111
	v_mul_f32_e32 v111, v227, v203
	s_delay_alu instid0(VALU_DEP_1) | instskip(SKIP_1) | instid1(VALU_DEP_2)
	v_dual_add_f32 v93, v93, v115 :: v_dual_fma_f32 v97, v226, v202, -v111
	v_ashrrev_i32_e32 v111, 31, v110
	v_dual_ashrrev_i32 v115, 31, v114 :: v_dual_add_f32 v93, v93, v145
	s_delay_alu instid0(VALU_DEP_3)
	v_add_f32_e32 v95, v95, v97
	s_set_vgpr_msb 1                        ;  msbs: dst=0 src0=1 src1=0 src2=0
	v_fma_f32 v97, v50 /*v306*/, v206, -v107
	s_set_vgpr_msb 0                        ;  msbs: dst=0 src0=0 src1=0 src2=0
	v_dual_ashrrev_i32 v107, 31, v106 :: v_dual_add_f32 v93, v93, v143
	v_dual_add_f32 v95, v95, v99 :: v_dual_ashrrev_i32 v99, 31, v98
	s_delay_alu instid0(VALU_DEP_1)
	v_dual_add_f32 v93, v93, v144 :: v_dual_add_f32 v140, v95, v97
	s_set_vgpr_msb 1                        ;  msbs: dst=0 src0=1 src1=0 src2=0
	v_pk_fma_f32 v[144:145], v[56:57] /*v[312:313]*/, v[212:213], v[118:119] op_sel_hi:[1,0,1]
	v_pk_fma_f32 v[118:119], v[56:57] /*v[312:313]*/, v[212:213], v[118:119] neg_lo:[0,0,1] neg_hi:[0,0,1]
	s_set_vgpr_msb 0                        ;  msbs: dst=0 src0=0 src1=0 src2=0
	v_mov_b32_e32 v142, v221
	v_add_f32_e32 v93, v93, v132
	s_set_vgpr_msb 1                        ;  msbs: dst=0 src0=1 src1=0 src2=0
	v_fma_f32 v132, v52 /*v308*/, v208, -v101
	s_set_vgpr_msb 0                        ;  msbs: dst=0 src0=0 src1=0 src2=0
	v_dual_mov_b32 v119, v145 :: v_dual_ashrrev_i32 v95, 31, v94
	v_pk_mul_f32 v[128:129], v[128:129], v[142:143] op_sel_hi:[1,0]
	v_dual_add_f32 v93, v93, v234 :: v_dual_ashrrev_i32 v97, 31, v96
	s_delay_alu instid0(VALU_DEP_1) | instskip(NEXT) | instid1(VALU_DEP_1)
	v_dual_ashrrev_i32 v101, 31, v100 :: v_dual_add_f32 v93, v93, v235
	v_add_f32_e32 v93, v93, v134
	s_set_vgpr_msb 1                        ;  msbs: dst=0 src0=1 src1=0 src2=0
	v_fma_f32 v134, v54 /*v310*/, v210, -v103
	s_set_vgpr_msb 0                        ;  msbs: dst=0 src0=0 src1=0 src2=0
	s_delay_alu instid0(VALU_DEP_2) | instskip(NEXT) | instid1(VALU_DEP_1)
	v_dual_ashrrev_i32 v103, 31, v102 :: v_dual_add_f32 v93, v93, v248
	v_add_f32_e32 v93, v93, v236
	s_delay_alu instid0(VALU_DEP_1) | instskip(NEXT) | instid1(VALU_DEP_1)
	v_dual_add_f32 v141, v93, v249 :: v_dual_ashrrev_i32 v93, 31, v92
	v_pk_add_f32 v[132:133], v[140:141], v[132:133]
	s_set_vgpr_msb 1                        ;  msbs: dst=0 src0=1 src1=0 src2=0
	v_pk_fma_f32 v[140:141], v[58:59] /*v[314:315]*/, v[214:215], v[120:121] op_sel_hi:[1,0,1]
	v_pk_fma_f32 v[120:121], v[58:59] /*v[314:315]*/, v[214:215], v[120:121] neg_lo:[0,0,1] neg_hi:[0,0,1]
	s_set_vgpr_msb 0                        ;  msbs: dst=0 src0=0 src1=0 src2=0
	v_pk_add_f32 v[132:133], v[132:133], v[134:135]
	s_delay_alu instid0(VALU_DEP_3) | instskip(SKIP_2) | instid1(VALU_DEP_3)
	v_mov_b32_e32 v121, v141
	s_wait_loadcnt 0x2
	v_pk_mul_f32 v[134:135], v[122:123], v[222:223] op_sel:[1,1] op_sel_hi:[0,1]
	v_pk_add_f32 v[118:119], v[132:133], v[118:119]
	s_set_vgpr_msb 1                        ;  msbs: dst=0 src0=1 src1=0 src2=0
	v_pk_fma_f32 v[132:133], v[62:63] /*v[318:319]*/, v[218:219], v[138:139] op_sel_hi:[1,0,1]
	s_set_vgpr_msb 0                        ;  msbs: dst=0 src0=0 src1=0 src2=0
	s_delay_alu instid0(VALU_DEP_2) | instskip(NEXT) | instid1(VALU_DEP_2)
	v_pk_add_f32 v[118:119], v[118:119], v[120:121]
	v_dual_mov_b32 v120, v225 :: v_dual_mov_b32 v137, v133
	s_set_vgpr_msb 1                        ;  msbs: dst=0 src0=1 src1=0 src2=0
	v_pk_fma_f32 v[132:133], v[64:65] /*v[320:321]*/, v[220:221], v[128:129] op_sel_hi:[1,0,1]
	v_pk_fma_f32 v[128:129], v[64:65] /*v[320:321]*/, v[220:221], v[128:129] neg_lo:[0,0,1] neg_hi:[0,0,1]
	s_set_vgpr_msb 0                        ;  msbs: dst=0 src0=0 src1=0 src2=0
	v_pk_add_f32 v[118:119], v[118:119], v[126:127]
	v_pk_fma_f32 v[126:127], v[122:123], v[222:223], v[134:135] op_sel_hi:[1,0,1]
	v_pk_mul_f32 v[120:121], v[130:131], v[120:121] op_sel_hi:[1,0]
	v_mov_b32_e32 v129, v133
	v_pk_fma_f32 v[122:123], v[122:123], v[222:223], v[134:135] neg_lo:[0,0,1] neg_hi:[0,0,1]
	v_pk_add_f32 v[118:119], v[118:119], v[136:137]
	v_mov_b32_e32 v123, v127
	v_pk_fma_f32 v[126:127], v[124:125], v[224:225], v[120:121] op_sel_hi:[1,0,1]
	v_pk_fma_f32 v[120:121], v[124:125], v[224:225], v[120:121] neg_lo:[0,0,1] neg_hi:[0,0,1]
	s_delay_alu instid0(VALU_DEP_4)
	v_pk_add_f32 v[118:119], v[118:119], v[128:129]
	s_wait_loadcnt_dscnt 0x100
	s_set_vgpr_msb 4                        ;  msbs: dst=0 src0=0 src1=1 src2=0
	v_pk_mul_f32 v[128:129], v[230:231], v[66:67] /*v[322:323]*/ op_sel:[1,1] op_sel_hi:[0,1]
	v_mov_b32_e32 v121, v127
	s_set_vgpr_msb 0                        ;  msbs: dst=0 src0=0 src1=0 src2=0
	v_pk_add_f32 v[118:119], v[118:119], v[122:123]
	s_set_vgpr_msb 4                        ;  msbs: dst=0 src0=0 src1=1 src2=0
	v_pk_fma_f32 v[122:123], v[230:231], v[66:67] /*v[322:323]*/, v[128:129] op_sel_hi:[1,0,1]
	v_pk_fma_f32 v[124:125], v[230:231], v[66:67] /*v[322:323]*/, v[128:129] neg_lo:[0,0,1] neg_hi:[0,0,1]
	s_set_vgpr_msb 0                        ;  msbs: dst=0 src0=0 src1=0 src2=0
	v_pk_add_f32 v[118:119], v[118:119], v[120:121]
	s_delay_alu instid0(VALU_DEP_3) | instskip(NEXT) | instid1(VALU_DEP_1)
	v_mov_b32_e32 v125, v123
	v_pk_add_f32 v[118:119], v[118:119], v[124:125]
	s_wait_loadcnt 0x0
	s_set_vgpr_msb 1                        ;  msbs: dst=0 src0=1 src1=0 src2=0
	s_delay_alu instid0(VALU_DEP_1)
	v_pk_add_f32 v[118:119], v[68:69] /*v[324:325]*/, v[118:119] neg_lo:[0,1] neg_hi:[0,1]
	scratch_store_b64 off, v[118:119], off offset:8
	s_wait_xcnt 0x0
	v_cmpx_ne_u32_e32 0, v0
	s_set_vgpr_msb 0                        ;  msbs: dst=0 src0=0 src1=0 src2=0
	s_cbranch_execz .LBB56_355
; %bb.354:
	scratch_load_b64 v[118:119], off, off
	v_mov_b64_e32 v[120:121], 0
	scratch_store_b64 off, v[120:121], off
	s_wait_loadcnt 0x0
	ds_store_b64 v1, v[118:119]
.LBB56_355:
	s_wait_xcnt 0x0
	s_or_b32 exec_lo, exec_lo, s0
	s_wait_storecnt_dscnt 0x0
	s_barrier_signal -1
	s_barrier_wait -1
	s_clause 0xf
	scratch_load_b128 v[122:125], off, off offset:8
	scratch_load_b128 v[130:133], off, off offset:24
	;; [unrolled: 1-line block ×16, first 2 shown]
	ds_load_2addr_b64 v[118:121], v116 offset0:59 offset1:60
	ds_load_2addr_b64 v[126:129], v116 offset0:61 offset1:62
	s_clause 0x2
	scratch_load_b128 v[250:253], off, off offset:264
	s_set_vgpr_msb 64                       ;  msbs: dst=1 src0=0 src1=0 src2=0
	scratch_load_b128 v[2:5] /*v[258:261]*/, off, off offset:280
	s_set_vgpr_msb 0                        ;  msbs: dst=0 src0=0 src1=0 src2=0
	ds_load_2addr_b64 v[134:137], v116 offset0:63 offset1:64
	ds_load_2addr_b64 v[142:145], v116 offset0:65 offset1:66
	s_set_vgpr_msb 64                       ;  msbs: dst=1 src0=0 src1=0 src2=0
	s_clause 0x1
	scratch_load_b128 v[10:13] /*v[266:269]*/, off, off offset:296
	scratch_load_b128 v[18:21] /*v[274:277]*/, off, off offset:312
	s_set_vgpr_msb 0                        ;  msbs: dst=0 src0=0 src1=0 src2=0
	ds_load_2addr_b64 v[150:153], v116 offset0:67 offset1:68
	ds_load_2addr_b64 v[158:161], v116 offset0:69 offset1:70
	s_set_vgpr_msb 64                       ;  msbs: dst=1 src0=0 src1=0 src2=0
	s_clause 0x1
	scratch_load_b128 v[26:29] /*v[282:285]*/, off, off offset:328
	;; [unrolled: 7-line block ×3, first 2 shown]
	scratch_load_b128 v[50:53] /*v[306:309]*/, off, off offset:376
	s_set_vgpr_msb 0                        ;  msbs: dst=0 src0=0 src1=0 src2=0
	ds_load_2addr_b64 v[182:185], v116 offset0:75 offset1:76
	ds_load_2addr_b64 v[190:193], v116 offset0:77 offset1:78
	;; [unrolled: 1-line block ×10, first 2 shown]
	s_set_vgpr_msb 64                       ;  msbs: dst=1 src0=0 src1=0 src2=0
	ds_load_2addr_b64 v[6:9] /*v[262:265]*/, v116 offset0:95 offset1:96
	ds_load_2addr_b64 v[14:17] /*v[270:273]*/, v116 offset0:97 offset1:98
	;; [unrolled: 1-line block ×6, first 2 shown]
	s_clause 0x3
	scratch_load_b128 v[54:57] /*v[310:313]*/, off, off offset:392
	scratch_load_b128 v[58:61] /*v[314:317]*/, off, off offset:408
	;; [unrolled: 1-line block ×4, first 2 shown]
	s_and_b32 vcc_lo, exec_lo, s18
	s_wait_loadcnt_dscnt 0x1b17
	s_set_vgpr_msb 0                        ;  msbs: dst=0 src0=0 src1=0 src2=0
	v_dual_mul_f32 v0, v118, v123 :: v_dual_mul_f32 v1, v120, v125
	s_delay_alu instid0(VALU_DEP_1) | instskip(NEXT) | instid1(VALU_DEP_2)
	v_dual_mul_f32 v117, v121, v125 :: v_dual_fmac_f32 v0, v119, v122
	v_fmac_f32_e32 v1, v121, v124
	s_delay_alu instid0(VALU_DEP_2) | instskip(NEXT) | instid1(VALU_DEP_3)
	v_fma_f32 v117, v120, v124, -v117
	v_add_f32_e32 v0, 0, v0
	s_wait_loadcnt_dscnt 0x1a16
	s_delay_alu instid0(VALU_DEP_1) | instskip(NEXT) | instid1(VALU_DEP_1)
	v_dual_add_f32 v0, v0, v1 :: v_dual_mul_f32 v1, v126, v131
	v_fmac_f32_e32 v1, v127, v130
	s_delay_alu instid0(VALU_DEP_1)
	v_add_f32_e32 v0, v0, v1
	v_mul_f32_e32 v1, v128, v133
	s_wait_loadcnt_dscnt 0x400
	s_set_vgpr_msb 0x45                     ;  msbs: dst=1 src0=1 src1=1 src2=0
	v_dual_mul_f32 v71 /*v327*/, v46 /*v302*/, v51 /*v307*/ :: v_dual_mul_f32 v73 /*v329*/, v48 /*v304*/, v53 /*v309*/
	s_set_vgpr_msb 0                        ;  msbs: dst=0 src0=0 src1=0 src2=0
	v_fmac_f32_e32 v1, v129, v132
	s_set_vgpr_msb 0x45                     ;  msbs: dst=1 src0=1 src1=1 src2=0
	s_delay_alu instid0(VALU_DEP_2) | instskip(SKIP_1) | instid1(VALU_DEP_2)
	v_dual_fmac_f32 v71 /*v327*/, v47 /*v303*/, v50 /*v306*/ :: v_dual_fmac_f32 v73 /*v329*/, v49 /*v305*/, v52 /*v308*/
	s_set_vgpr_msb 0                        ;  msbs: dst=0 src0=0 src1=0 src2=0
	v_dual_add_f32 v0, v0, v1 :: v_dual_mul_f32 v1, v134, v139
	s_delay_alu instid0(VALU_DEP_1) | instskip(NEXT) | instid1(VALU_DEP_1)
	v_fmac_f32_e32 v1, v135, v138
	v_add_f32_e32 v0, v0, v1
	v_mul_f32_e32 v1, v136, v141
	s_delay_alu instid0(VALU_DEP_1) | instskip(NEXT) | instid1(VALU_DEP_1)
	v_fmac_f32_e32 v1, v137, v140
	v_dual_add_f32 v0, v0, v1 :: v_dual_mul_f32 v1, v142, v147
	s_delay_alu instid0(VALU_DEP_1) | instskip(NEXT) | instid1(VALU_DEP_1)
	v_fmac_f32_e32 v1, v143, v146
	v_add_f32_e32 v0, v0, v1
	v_mul_f32_e32 v1, v144, v149
	s_delay_alu instid0(VALU_DEP_1) | instskip(NEXT) | instid1(VALU_DEP_1)
	v_fmac_f32_e32 v1, v145, v148
	;; [unrolled: 7-line block ×15, first 2 shown]
	v_add_f32_e32 v0, v0, v1
	s_set_vgpr_msb 4                        ;  msbs: dst=0 src0=0 src1=1 src2=0
	v_mul_f32_e32 v1, v254, v3 /*v259*/
	s_delay_alu instid0(VALU_DEP_1) | instskip(SKIP_1) | instid1(VALU_DEP_1)
	v_fmac_f32_e32 v1, v255, v2 /*v258*/
	s_set_vgpr_msb 0                        ;  msbs: dst=0 src0=0 src1=0 src2=0
	v_add_f32_e32 v0, v0, v1
	s_set_vgpr_msb 5                        ;  msbs: dst=0 src0=1 src1=1 src2=0
	v_mul_f32_e32 v1, v0 /*v256*/, v5 /*v261*/
	s_delay_alu instid0(VALU_DEP_1) | instskip(SKIP_1) | instid1(VALU_DEP_1)
	v_fmac_f32_e32 v1, v1 /*v257*/, v4 /*v260*/
	s_set_vgpr_msb 0                        ;  msbs: dst=0 src0=0 src1=0 src2=0
	v_add_f32_e32 v0, v0, v1
	s_set_vgpr_msb 5                        ;  msbs: dst=0 src0=1 src1=1 src2=0
	v_mul_f32_e32 v1, v6 /*v262*/, v11 /*v267*/
	s_delay_alu instid0(VALU_DEP_1) | instskip(SKIP_1) | instid1(VALU_DEP_1)
	v_fmac_f32_e32 v1, v7 /*v263*/, v10 /*v266*/
	;; [unrolled: 6-line block ×11, first 2 shown]
	s_set_vgpr_msb 0                        ;  msbs: dst=0 src0=0 src1=0 src2=0
	v_dual_add_f32 v1, v0, v1 :: v_dual_mul_f32 v0, v119, v123
	s_delay_alu instid0(VALU_DEP_1) | instskip(NEXT) | instid1(VALU_DEP_1)
	v_fma_f32 v0, v118, v122, -v0
	v_add_f32_e32 v0, 0, v0
	s_delay_alu instid0(VALU_DEP_1) | instskip(NEXT) | instid1(VALU_DEP_1)
	v_dual_add_f32 v0, v0, v117 :: v_dual_mul_f32 v117, v127, v131
	v_fma_f32 v117, v126, v130, -v117
	s_delay_alu instid0(VALU_DEP_1) | instskip(SKIP_1) | instid1(VALU_DEP_1)
	v_add_f32_e32 v0, v0, v117
	v_mul_f32_e32 v117, v129, v133
	v_fma_f32 v117, v128, v132, -v117
	ds_load_2addr_b64 v[118:121], v116 offset0:107 offset1:108
	ds_load_2addr_b64 v[122:125], v116 offset0:109 offset1:110
	;; [unrolled: 1-line block ×4, first 2 shown]
	v_dual_add_f32 v0, v0, v117 :: v_dual_mul_f32 v117, v135, v139
	s_delay_alu instid0(VALU_DEP_1) | instskip(NEXT) | instid1(VALU_DEP_1)
	v_fma_f32 v117, v134, v138, -v117
	v_add_f32_e32 v0, v0, v117
	v_mul_f32_e32 v117, v137, v141
	s_delay_alu instid0(VALU_DEP_1) | instskip(NEXT) | instid1(VALU_DEP_1)
	v_fma_f32 v117, v136, v140, -v117
	v_dual_add_f32 v0, v0, v117 :: v_dual_mul_f32 v117, v143, v147
	s_delay_alu instid0(VALU_DEP_1) | instskip(NEXT) | instid1(VALU_DEP_1)
	v_fma_f32 v117, v142, v146, -v117
	v_add_f32_e32 v0, v0, v117
	v_mul_f32_e32 v117, v145, v149
	s_delay_alu instid0(VALU_DEP_1) | instskip(NEXT) | instid1(VALU_DEP_1)
	v_fma_f32 v117, v144, v148, -v117
	;; [unrolled: 7-line block ×15, first 2 shown]
	v_add_f32_e32 v0, v0, v117
	s_set_vgpr_msb 4                        ;  msbs: dst=0 src0=0 src1=1 src2=0
	v_mul_f32_e32 v117, v255, v3 /*v259*/
	s_delay_alu instid0(VALU_DEP_1) | instskip(SKIP_1) | instid1(VALU_DEP_1)
	v_fma_f32 v117, v254, v2 /*v258*/, -v117
	s_set_vgpr_msb 0                        ;  msbs: dst=0 src0=0 src1=0 src2=0
	v_add_f32_e32 v0, v0, v117
	s_set_vgpr_msb 5                        ;  msbs: dst=0 src0=1 src1=1 src2=0
	v_mul_f32_e32 v117, v1 /*v257*/, v5 /*v261*/
	s_delay_alu instid0(VALU_DEP_1) | instskip(SKIP_1) | instid1(VALU_DEP_1)
	v_fma_f32 v117, v0 /*v256*/, v4 /*v260*/, -v117
	s_set_vgpr_msb 0                        ;  msbs: dst=0 src0=0 src1=0 src2=0
	v_add_f32_e32 v0, v0, v117
	s_set_vgpr_msb 5                        ;  msbs: dst=0 src0=1 src1=1 src2=0
	v_mul_f32_e32 v117, v7 /*v263*/, v11 /*v267*/
	s_delay_alu instid0(VALU_DEP_1) | instskip(SKIP_1) | instid1(VALU_DEP_1)
	v_fma_f32 v117, v6 /*v262*/, v10 /*v266*/, -v117
	;; [unrolled: 6-line block ×11, first 2 shown]
	s_set_vgpr_msb 0                        ;  msbs: dst=0 src0=0 src1=0 src2=0
	v_add_f32_e32 v0, v0, v117
	s_set_vgpr_msb 5                        ;  msbs: dst=0 src0=1 src1=1 src2=0
	v_mul_f32_e32 v117, v47 /*v303*/, v51 /*v307*/
	s_set_vgpr_msb 0x45                     ;  msbs: dst=1 src0=1 src1=1 src2=0
	s_delay_alu instid0(VALU_DEP_1) | instskip(SKIP_3) | instid1(VALU_DEP_1)
	v_fma_f32 v70 /*v326*/, v46 /*v302*/, v50 /*v306*/, -v117
	s_set_vgpr_msb 5                        ;  msbs: dst=0 src0=1 src1=1 src2=0
	v_mul_f32_e32 v117, v49 /*v305*/, v53 /*v309*/
	s_set_vgpr_msb 0x45                     ;  msbs: dst=1 src0=1 src1=1 src2=0
	v_fma_f32 v72 /*v328*/, v48 /*v304*/, v52 /*v308*/, -v117
	s_wait_loadcnt_dscnt 0x303
	s_set_vgpr_msb 4                        ;  msbs: dst=0 src0=0 src1=1 src2=0
	v_pk_mul_f32 v[116:117], v[118:119], v[54:55] /*v[310:311]*/ op_sel:[1,1] op_sel_hi:[0,1]
	v_pk_add_f32 v[0:1], v[0:1], v[70:71] /*v[326:327]*/
	s_delay_alu instid0(VALU_DEP_2)
	v_pk_fma_f32 v[134:135], v[118:119], v[54:55] /*v[310:311]*/, v[116:117] neg_lo:[0,0,1] neg_hi:[0,0,1]
	v_pk_fma_f32 v[116:117], v[118:119], v[54:55] /*v[310:311]*/, v[116:117] op_sel_hi:[1,0,1]
	v_mov_b32_e32 v116, v121
	s_set_vgpr_msb 1                        ;  msbs: dst=0 src0=1 src1=0 src2=0
	v_mov_b32_e32 v118, v57 /*v313*/
	s_set_vgpr_msb 4                        ;  msbs: dst=0 src0=0 src1=1 src2=0
	v_pk_add_f32 v[0:1], v[0:1], v[72:73] /*v[328:329]*/
	v_dual_mov_b32 v135, v117 :: v_dual_mov_b32 v117, v120
	s_set_vgpr_msb 0                        ;  msbs: dst=0 src0=0 src1=0 src2=0
	s_delay_alu instid0(VALU_DEP_1) | instskip(NEXT) | instid1(VALU_DEP_2)
	v_pk_add_f32 v[0:1], v[0:1], v[134:135]
	v_pk_mul_f32 v[116:117], v[116:117], v[118:119] op_sel_hi:[1,0]
	s_set_vgpr_msb 4                        ;  msbs: dst=0 src0=0 src1=1 src2=0
	s_delay_alu instid0(VALU_DEP_1) | instskip(SKIP_1) | instid1(VALU_DEP_1)
	v_pk_fma_f32 v[118:119], v[120:121], v[56:57] /*v[312:313]*/, v[116:117] neg_lo:[0,0,1] neg_hi:[0,0,1]
	v_pk_fma_f32 v[116:117], v[120:121], v[56:57] /*v[312:313]*/, v[116:117] op_sel_hi:[1,0,1]
	v_mov_b32_e32 v119, v117
	s_wait_loadcnt_dscnt 0x202
	v_pk_mul_f32 v[116:117], v[122:123], v[58:59] /*v[314:315]*/ op_sel:[1,1] op_sel_hi:[0,1]
	s_set_vgpr_msb 0                        ;  msbs: dst=0 src0=0 src1=0 src2=0
	s_delay_alu instid0(VALU_DEP_2) | instskip(SKIP_1) | instid1(VALU_DEP_2)
	v_pk_add_f32 v[0:1], v[0:1], v[118:119]
	s_set_vgpr_msb 4                        ;  msbs: dst=0 src0=0 src1=1 src2=0
	v_pk_fma_f32 v[118:119], v[122:123], v[58:59] /*v[314:315]*/, v[116:117] neg_lo:[0,0,1] neg_hi:[0,0,1]
	v_pk_fma_f32 v[116:117], v[122:123], v[58:59] /*v[314:315]*/, v[116:117] op_sel_hi:[1,0,1]
	s_delay_alu instid0(VALU_DEP_1) | instskip(SKIP_2) | instid1(VALU_DEP_2)
	v_dual_mov_b32 v116, v125 :: v_dual_mov_b32 v119, v117
	v_mov_b32_e32 v117, v124
	s_set_vgpr_msb 0                        ;  msbs: dst=0 src0=0 src1=0 src2=0
	v_pk_add_f32 v[0:1], v[0:1], v[118:119]
	s_set_vgpr_msb 1                        ;  msbs: dst=0 src0=1 src1=0 src2=0
	v_mov_b32_e32 v118, v61 /*v317*/
	s_set_vgpr_msb 0                        ;  msbs: dst=0 src0=0 src1=0 src2=0
	s_delay_alu instid0(VALU_DEP_1) | instskip(SKIP_1) | instid1(VALU_DEP_1)
	v_pk_mul_f32 v[116:117], v[116:117], v[118:119] op_sel_hi:[1,0]
	s_set_vgpr_msb 4                        ;  msbs: dst=0 src0=0 src1=1 src2=0
	v_pk_fma_f32 v[118:119], v[124:125], v[60:61] /*v[316:317]*/, v[116:117] neg_lo:[0,0,1] neg_hi:[0,0,1]
	v_pk_fma_f32 v[116:117], v[124:125], v[60:61] /*v[316:317]*/, v[116:117] op_sel_hi:[1,0,1]
	s_delay_alu instid0(VALU_DEP_1) | instskip(SKIP_3) | instid1(VALU_DEP_2)
	v_mov_b32_e32 v119, v117
	s_wait_loadcnt_dscnt 0x101
	v_pk_mul_f32 v[116:117], v[126:127], v[62:63] /*v[318:319]*/ op_sel:[1,1] op_sel_hi:[0,1]
	s_set_vgpr_msb 0                        ;  msbs: dst=0 src0=0 src1=0 src2=0
	v_pk_add_f32 v[0:1], v[0:1], v[118:119]
	s_set_vgpr_msb 4                        ;  msbs: dst=0 src0=0 src1=1 src2=0
	s_delay_alu instid0(VALU_DEP_2) | instskip(SKIP_1) | instid1(VALU_DEP_1)
	v_pk_fma_f32 v[118:119], v[126:127], v[62:63] /*v[318:319]*/, v[116:117] neg_lo:[0,0,1] neg_hi:[0,0,1]
	v_pk_fma_f32 v[116:117], v[126:127], v[62:63] /*v[318:319]*/, v[116:117] op_sel_hi:[1,0,1]
	v_dual_mov_b32 v116, v129 :: v_dual_mov_b32 v119, v117
	v_mov_b32_e32 v117, v128
	s_set_vgpr_msb 0                        ;  msbs: dst=0 src0=0 src1=0 src2=0
	s_delay_alu instid0(VALU_DEP_2) | instskip(SKIP_3) | instid1(VALU_DEP_1)
	v_pk_add_f32 v[0:1], v[0:1], v[118:119]
	s_set_vgpr_msb 1                        ;  msbs: dst=0 src0=1 src1=0 src2=0
	v_mov_b32_e32 v118, v65 /*v321*/
	s_set_vgpr_msb 0                        ;  msbs: dst=0 src0=0 src1=0 src2=0
	v_pk_mul_f32 v[116:117], v[116:117], v[118:119] op_sel_hi:[1,0]
	s_set_vgpr_msb 4                        ;  msbs: dst=0 src0=0 src1=1 src2=0
	s_delay_alu instid0(VALU_DEP_1) | instskip(SKIP_1) | instid1(VALU_DEP_1)
	v_pk_fma_f32 v[118:119], v[128:129], v[64:65] /*v[320:321]*/, v[116:117] neg_lo:[0,0,1] neg_hi:[0,0,1]
	v_pk_fma_f32 v[116:117], v[128:129], v[64:65] /*v[320:321]*/, v[116:117] op_sel_hi:[1,0,1]
	v_mov_b32_e32 v119, v117
	s_wait_loadcnt_dscnt 0x0
	v_pk_mul_f32 v[116:117], v[130:131], v[66:67] /*v[322:323]*/ op_sel:[1,1] op_sel_hi:[0,1]
	s_set_vgpr_msb 0                        ;  msbs: dst=0 src0=0 src1=0 src2=0
	s_delay_alu instid0(VALU_DEP_2) | instskip(SKIP_1) | instid1(VALU_DEP_2)
	v_pk_add_f32 v[0:1], v[0:1], v[118:119]
	s_set_vgpr_msb 4                        ;  msbs: dst=0 src0=0 src1=1 src2=0
	v_pk_fma_f32 v[118:119], v[130:131], v[66:67] /*v[322:323]*/, v[116:117] neg_lo:[0,0,1] neg_hi:[0,0,1]
	v_pk_fma_f32 v[116:117], v[130:131], v[66:67] /*v[322:323]*/, v[116:117] op_sel_hi:[1,0,1]
	s_delay_alu instid0(VALU_DEP_1) | instskip(SKIP_2) | instid1(VALU_DEP_2)
	v_dual_mov_b32 v116, v133 :: v_dual_mov_b32 v119, v117
	v_mov_b32_e32 v117, v132
	s_set_vgpr_msb 0                        ;  msbs: dst=0 src0=0 src1=0 src2=0
	v_pk_add_f32 v[0:1], v[0:1], v[118:119]
	s_set_vgpr_msb 1                        ;  msbs: dst=0 src0=1 src1=0 src2=0
	v_mov_b32_e32 v118, v69 /*v325*/
	s_set_vgpr_msb 0                        ;  msbs: dst=0 src0=0 src1=0 src2=0
	s_delay_alu instid0(VALU_DEP_1) | instskip(SKIP_1) | instid1(VALU_DEP_1)
	v_pk_mul_f32 v[116:117], v[116:117], v[118:119] op_sel_hi:[1,0]
	s_set_vgpr_msb 4                        ;  msbs: dst=0 src0=0 src1=1 src2=0
	v_pk_fma_f32 v[118:119], v[132:133], v[68:69] /*v[324:325]*/, v[116:117] neg_lo:[0,0,1] neg_hi:[0,0,1]
	v_pk_fma_f32 v[116:117], v[132:133], v[68:69] /*v[324:325]*/, v[116:117] op_sel_hi:[1,0,1]
	s_delay_alu instid0(VALU_DEP_1) | instskip(SKIP_4) | instid1(VALU_DEP_1)
	v_mov_b32_e32 v119, v117
	scratch_load_b64 v[116:117], off, off
	s_set_vgpr_msb 0                        ;  msbs: dst=0 src0=0 src1=0 src2=0
	v_pk_add_f32 v[0:1], v[0:1], v[118:119]
	s_wait_loadcnt 0x0
	v_pk_add_f32 v[0:1], v[116:117], v[0:1] neg_lo:[0,1] neg_hi:[0,1]
	scratch_store_b64 off, v[0:1], off
	s_cbranch_vccz .LBB56_468
; %bb.356:
	s_wait_xcnt 0x0
	v_mov_b32_e32 v0, 0
	global_load_b32 v1, v0, s[2:3] offset:220
	s_wait_loadcnt 0x0
	v_cmp_ne_u32_e32 vcc_lo, 56, v1
	s_cbranch_vccz .LBB56_358
; %bb.357:
	v_lshlrev_b32_e32 v1, 3, v1
	scratch_load_b64 v[116:117], v1, off offset:-8
	scratch_load_b64 v[118:119], off, off offset:440
	s_wait_loadcnt 0x1
	scratch_store_b64 off, v[116:117], off offset:440
	s_wait_loadcnt 0x0
	scratch_store_b64 v1, v[118:119], off offset:-8
.LBB56_358:
	global_load_b32 v0, v0, s[2:3] offset:216
	s_wait_loadcnt 0x0
	v_cmp_eq_u32_e32 vcc_lo, 55, v0
	s_cbranch_vccnz .LBB56_360
; %bb.359:
	s_wait_xcnt 0x0
	v_lshlrev_b32_e32 v0, 3, v0
	s_delay_alu instid0(VALU_DEP_1)
	v_mov_b32_e32 v118, v0
	scratch_load_b64 v[0:1], v118, off offset:-8
	scratch_load_b64 v[116:117], off, off offset:432
	s_wait_loadcnt 0x1
	scratch_store_b64 off, v[0:1], off offset:432
	s_wait_loadcnt 0x0
	scratch_store_b64 v118, v[116:117], off offset:-8
.LBB56_360:
	s_wait_xcnt 0x0
	v_mov_b32_e32 v0, 0
	global_load_b32 v1, v0, s[2:3] offset:212
	s_wait_loadcnt 0x0
	v_cmp_eq_u32_e32 vcc_lo, 54, v1
	s_cbranch_vccnz .LBB56_362
; %bb.361:
	v_lshlrev_b32_e32 v1, 3, v1
	scratch_load_b64 v[116:117], v1, off offset:-8
	scratch_load_b64 v[118:119], off, off offset:424
	s_wait_loadcnt 0x1
	scratch_store_b64 off, v[116:117], off offset:424
	s_wait_loadcnt 0x0
	scratch_store_b64 v1, v[118:119], off offset:-8
.LBB56_362:
	global_load_b32 v0, v0, s[2:3] offset:208
	s_wait_loadcnt 0x0
	v_cmp_eq_u32_e32 vcc_lo, 53, v0
	s_cbranch_vccnz .LBB56_364
; %bb.363:
	s_wait_xcnt 0x0
	v_lshlrev_b32_e32 v0, 3, v0
	s_delay_alu instid0(VALU_DEP_1)
	v_mov_b32_e32 v118, v0
	scratch_load_b64 v[0:1], v118, off offset:-8
	scratch_load_b64 v[116:117], off, off offset:416
	s_wait_loadcnt 0x1
	scratch_store_b64 off, v[0:1], off offset:416
	s_wait_loadcnt 0x0
	scratch_store_b64 v118, v[116:117], off offset:-8
.LBB56_364:
	s_wait_xcnt 0x0
	v_mov_b32_e32 v0, 0
	global_load_b32 v1, v0, s[2:3] offset:204
	s_wait_loadcnt 0x0
	v_cmp_eq_u32_e32 vcc_lo, 52, v1
	s_cbranch_vccnz .LBB56_366
; %bb.365:
	v_lshlrev_b32_e32 v1, 3, v1
	scratch_load_b64 v[116:117], v1, off offset:-8
	scratch_load_b64 v[118:119], off, off offset:408
	s_wait_loadcnt 0x1
	scratch_store_b64 off, v[116:117], off offset:408
	s_wait_loadcnt 0x0
	scratch_store_b64 v1, v[118:119], off offset:-8
.LBB56_366:
	;; [unrolled: 31-line block ×27, first 2 shown]
	global_load_b32 v116, v0, s[2:3]
	scratch_load_b64 v[0:1], off, off
	s_wait_loadcnt 0x1
	v_cmp_eq_u32_e32 vcc_lo, 1, v116
	s_cbranch_vccnz .LBB56_468
; %bb.467:
	v_lshlrev_b32_e32 v116, 3, v116
	s_delay_alu instid0(VALU_DEP_1)
	v_mov_b32_e32 v118, v116
	scratch_load_b64 v[116:117], v118, off offset:-8
	s_wait_loadcnt 0x0
	scratch_store_b64 off, v[116:117], off
	scratch_store_b64 v118, v[0:1], off offset:-8
	scratch_load_b64 v[0:1], off, off
.LBB56_468:
	v_lshl_add_u64 v[116:117], v[6:7], 3, s[4:5]
	v_lshl_add_u64 v[118:119], v[8:9], 3, s[4:5]
	;; [unrolled: 1-line block ×4, first 2 shown]
	s_clause 0x1b
	scratch_load_b128 v[112:115], off, off offset:8
	scratch_load_b128 v[120:123], off, off offset:24
	;; [unrolled: 1-line block ×28, first 2 shown]
	v_lshl_add_u64 v[10:11], v[10:11], 3, s[4:5]
	v_lshl_add_u64 v[12:13], v[12:13], 3, s[4:5]
	;; [unrolled: 1-line block ×51, first 2 shown]
	s_wait_loadcnt 0x1c
	global_store_b64 v[2:3], v[0:1], off
	s_wait_loadcnt 0x1b
	s_clause 0x1
	global_store_b64 v[4:5], v[112:113], off
	global_store_b64 v[116:117], v[114:115], off
	s_wait_loadcnt 0x1a
	s_clause 0x1
	global_store_b64 v[118:119], v[120:121], off
	;; [unrolled: 4-line block ×28, first 2 shown]
	global_store_b64 v[8:9], v[226:227], off
	s_sendmsg sendmsg(MSG_DEALLOC_VGPRS)
	s_endpgm
	.section	.rodata,"a",@progbits
	.p2align	6, 0x0
	.amdhsa_kernel _ZN9rocsolver6v33100L18getri_kernel_smallILi57E19rocblas_complex_numIfEPS3_EEvT1_iilPiilS6_bb
		.amdhsa_group_segment_fixed_size 920
		.amdhsa_private_segment_fixed_size 464
		.amdhsa_kernarg_size 60
		.amdhsa_user_sgpr_count 2
		.amdhsa_user_sgpr_dispatch_ptr 0
		.amdhsa_user_sgpr_queue_ptr 0
		.amdhsa_user_sgpr_kernarg_segment_ptr 1
		.amdhsa_user_sgpr_dispatch_id 0
		.amdhsa_user_sgpr_kernarg_preload_length 0
		.amdhsa_user_sgpr_kernarg_preload_offset 0
		.amdhsa_user_sgpr_private_segment_size 0
		.amdhsa_wavefront_size32 1
		.amdhsa_uses_dynamic_stack 0
		.amdhsa_enable_private_segment 1
		.amdhsa_system_sgpr_workgroup_id_x 1
		.amdhsa_system_sgpr_workgroup_id_y 0
		.amdhsa_system_sgpr_workgroup_id_z 0
		.amdhsa_system_sgpr_workgroup_info 0
		.amdhsa_system_vgpr_workitem_id 0
		.amdhsa_next_free_vgpr 346
		.amdhsa_next_free_sgpr 19
		.amdhsa_named_barrier_count 0
		.amdhsa_reserve_vcc 1
		.amdhsa_float_round_mode_32 0
		.amdhsa_float_round_mode_16_64 0
		.amdhsa_float_denorm_mode_32 3
		.amdhsa_float_denorm_mode_16_64 3
		.amdhsa_fp16_overflow 0
		.amdhsa_memory_ordered 1
		.amdhsa_forward_progress 1
		.amdhsa_inst_pref_size 255
		.amdhsa_round_robin_scheduling 0
		.amdhsa_exception_fp_ieee_invalid_op 0
		.amdhsa_exception_fp_denorm_src 0
		.amdhsa_exception_fp_ieee_div_zero 0
		.amdhsa_exception_fp_ieee_overflow 0
		.amdhsa_exception_fp_ieee_underflow 0
		.amdhsa_exception_fp_ieee_inexact 0
		.amdhsa_exception_int_div_zero 0
	.end_amdhsa_kernel
	.section	.text._ZN9rocsolver6v33100L18getri_kernel_smallILi57E19rocblas_complex_numIfEPS3_EEvT1_iilPiilS6_bb,"axG",@progbits,_ZN9rocsolver6v33100L18getri_kernel_smallILi57E19rocblas_complex_numIfEPS3_EEvT1_iilPiilS6_bb,comdat
.Lfunc_end56:
	.size	_ZN9rocsolver6v33100L18getri_kernel_smallILi57E19rocblas_complex_numIfEPS3_EEvT1_iilPiilS6_bb, .Lfunc_end56-_ZN9rocsolver6v33100L18getri_kernel_smallILi57E19rocblas_complex_numIfEPS3_EEvT1_iilPiilS6_bb
                                        ; -- End function
	.set _ZN9rocsolver6v33100L18getri_kernel_smallILi57E19rocblas_complex_numIfEPS3_EEvT1_iilPiilS6_bb.num_vgpr, 346
	.set _ZN9rocsolver6v33100L18getri_kernel_smallILi57E19rocblas_complex_numIfEPS3_EEvT1_iilPiilS6_bb.num_agpr, 0
	.set _ZN9rocsolver6v33100L18getri_kernel_smallILi57E19rocblas_complex_numIfEPS3_EEvT1_iilPiilS6_bb.numbered_sgpr, 19
	.set _ZN9rocsolver6v33100L18getri_kernel_smallILi57E19rocblas_complex_numIfEPS3_EEvT1_iilPiilS6_bb.num_named_barrier, 0
	.set _ZN9rocsolver6v33100L18getri_kernel_smallILi57E19rocblas_complex_numIfEPS3_EEvT1_iilPiilS6_bb.private_seg_size, 464
	.set _ZN9rocsolver6v33100L18getri_kernel_smallILi57E19rocblas_complex_numIfEPS3_EEvT1_iilPiilS6_bb.uses_vcc, 1
	.set _ZN9rocsolver6v33100L18getri_kernel_smallILi57E19rocblas_complex_numIfEPS3_EEvT1_iilPiilS6_bb.uses_flat_scratch, 1
	.set _ZN9rocsolver6v33100L18getri_kernel_smallILi57E19rocblas_complex_numIfEPS3_EEvT1_iilPiilS6_bb.has_dyn_sized_stack, 0
	.set _ZN9rocsolver6v33100L18getri_kernel_smallILi57E19rocblas_complex_numIfEPS3_EEvT1_iilPiilS6_bb.has_recursion, 0
	.set _ZN9rocsolver6v33100L18getri_kernel_smallILi57E19rocblas_complex_numIfEPS3_EEvT1_iilPiilS6_bb.has_indirect_call, 0
	.section	.AMDGPU.csdata,"",@progbits
; Kernel info:
; codeLenInByte = 118788
; TotalNumSgprs: 21
; NumVgprs: 346
; ScratchSize: 464
; MemoryBound: 0
; FloatMode: 240
; IeeeMode: 1
; LDSByteSize: 920 bytes/workgroup (compile time only)
; SGPRBlocks: 0
; VGPRBlocks: 21
; NumSGPRsForWavesPerEU: 21
; NumVGPRsForWavesPerEU: 346
; NamedBarCnt: 0
; Occupancy: 2
; WaveLimiterHint : 1
; COMPUTE_PGM_RSRC2:SCRATCH_EN: 1
; COMPUTE_PGM_RSRC2:USER_SGPR: 2
; COMPUTE_PGM_RSRC2:TRAP_HANDLER: 0
; COMPUTE_PGM_RSRC2:TGID_X_EN: 1
; COMPUTE_PGM_RSRC2:TGID_Y_EN: 0
; COMPUTE_PGM_RSRC2:TGID_Z_EN: 0
; COMPUTE_PGM_RSRC2:TIDIG_COMP_CNT: 0
	.section	.text._ZN9rocsolver6v33100L18getri_kernel_smallILi58E19rocblas_complex_numIfEPS3_EEvT1_iilPiilS6_bb,"axG",@progbits,_ZN9rocsolver6v33100L18getri_kernel_smallILi58E19rocblas_complex_numIfEPS3_EEvT1_iilPiilS6_bb,comdat
	.globl	_ZN9rocsolver6v33100L18getri_kernel_smallILi58E19rocblas_complex_numIfEPS3_EEvT1_iilPiilS6_bb ; -- Begin function _ZN9rocsolver6v33100L18getri_kernel_smallILi58E19rocblas_complex_numIfEPS3_EEvT1_iilPiilS6_bb
	.p2align	8
	.type	_ZN9rocsolver6v33100L18getri_kernel_smallILi58E19rocblas_complex_numIfEPS3_EEvT1_iilPiilS6_bb,@function
_ZN9rocsolver6v33100L18getri_kernel_smallILi58E19rocblas_complex_numIfEPS3_EEvT1_iilPiilS6_bb: ; @_ZN9rocsolver6v33100L18getri_kernel_smallILi58E19rocblas_complex_numIfEPS3_EEvT1_iilPiilS6_bb
; %bb.0:
	s_mov_b32 s2, exec_lo
	v_cmpx_gt_u32_e32 58, v0
	s_cbranch_execz .LBB57_246
; %bb.1:
	s_clause 0x2
	s_load_b32 s2, s[0:1], 0x38
	s_load_b128 s[12:15], s[0:1], 0x10
	s_load_b128 s[4:7], s[0:1], 0x28
	s_getreg_b32 s9, hwreg(HW_REG_IB_STS2, 6, 4)
	s_wait_kmcnt 0x0
	s_bitcmp1_b32 s2, 8
	s_cselect_b32 s18, -1, 0
	s_bfe_u32 s3, ttmp6, 0x4000c
	s_and_b32 s8, ttmp6, 15
	s_add_co_i32 s3, s3, 1
	s_delay_alu instid0(SALU_CYCLE_1) | instskip(NEXT) | instid1(SALU_CYCLE_1)
	s_mul_i32 s3, ttmp9, s3
	s_add_co_i32 s8, s8, s3
	s_cmp_eq_u32 s9, 0
	s_cselect_b32 s16, ttmp9, s8
	s_bfe_u32 s2, s2, 0x10008
	s_ashr_i32 s17, s16, 31
	s_cmp_eq_u32 s2, 0
                                        ; implicit-def: $sgpr2_sgpr3
	s_cbranch_scc1 .LBB57_3
; %bb.2:
	s_load_b32 s2, s[0:1], 0x20
	s_mul_u64 s[4:5], s[4:5], s[16:17]
	s_delay_alu instid0(SALU_CYCLE_1) | instskip(NEXT) | instid1(SALU_CYCLE_1)
	s_lshl_b64 s[4:5], s[4:5], 2
	s_add_nc_u64 s[4:5], s[14:15], s[4:5]
	s_wait_kmcnt 0x0
	s_ashr_i32 s3, s2, 31
	s_delay_alu instid0(SALU_CYCLE_1) | instskip(NEXT) | instid1(SALU_CYCLE_1)
	s_lshl_b64 s[2:3], s[2:3], 2
	s_add_nc_u64 s[2:3], s[4:5], s[2:3]
.LBB57_3:
	s_clause 0x1
	s_load_b128 s[8:11], s[0:1], 0x0
	s_load_b32 s14, s[0:1], 0x38
	s_wait_xcnt 0x0
	s_mul_u64 s[0:1], s[12:13], s[16:17]
	s_delay_alu instid0(SALU_CYCLE_1)
	s_lshl_b64 s[0:1], s[0:1], 3
	s_wait_kmcnt 0x0
	v_add3_u32 v6, s11, s11, v0
	s_ashr_i32 s5, s10, 31
	s_mov_b32 s4, s10
	s_add_nc_u64 s[0:1], s[8:9], s[0:1]
	s_lshl_b64 s[4:5], s[4:5], 3
	v_add_nc_u32_e32 v8, s11, v6
	s_add_nc_u64 s[4:5], s[0:1], s[4:5]
	s_ashr_i32 s1, s11, 31
	s_mov_b32 s0, s11
	s_bitcmp0_b32 s14, 0
	v_add_nc_u32_e32 v10, s11, v8
	s_delay_alu instid0(VALU_DEP_1) | instskip(NEXT) | instid1(VALU_DEP_1)
	v_add_nc_u32_e32 v12, s11, v10
	v_add_nc_u32_e32 v14, s11, v12
	s_delay_alu instid0(VALU_DEP_1) | instskip(NEXT) | instid1(VALU_DEP_1)
	v_add_nc_u32_e32 v16, s11, v14
	;; [unrolled: 3-line block ×17, first 2 shown]
	v_add_nc_u32_e32 v78, s11, v76
	s_delay_alu instid0(VALU_DEP_1) | instskip(NEXT) | instid1(VALU_DEP_1)
	v_dual_lshlrev_b32 v118, 3, v0 :: v_dual_add_nc_u32 v80, s11, v78
	v_dual_mov_b32 v119, 0 :: v_dual_add_nc_u32 v82, s11, v80
	s_delay_alu instid0(VALU_DEP_1) | instskip(NEXT) | instid1(VALU_DEP_2)
	v_add_nc_u64_e32 v[2:3], s[4:5], v[118:119]
	v_add_nc_u32_e32 v84, s11, v82
	s_delay_alu instid0(VALU_DEP_2) | instskip(SKIP_1) | instid1(VALU_DEP_2)
	v_lshl_add_u64 v[4:5], s[0:1], 3, v[2:3]
	s_mov_b32 s1, -1
	v_add_nc_u32_e32 v86, s11, v84
	s_clause 0x9
	global_load_b64 v[120:121], v0, s[4:5] scale_offset
	global_load_b64 v[122:123], v[4:5], off
	global_load_b64 v[124:125], v6, s[4:5] scale_offset
	global_load_b64 v[126:127], v8, s[4:5] scale_offset
	global_load_b64 v[128:129], v10, s[4:5] scale_offset
	global_load_b64 v[130:131], v12, s[4:5] scale_offset
	global_load_b64 v[132:133], v14, s[4:5] scale_offset
	global_load_b64 v[134:135], v16, s[4:5] scale_offset
	global_load_b64 v[136:137], v18, s[4:5] scale_offset
	global_load_b64 v[138:139], v20, s[4:5] scale_offset
	v_add_nc_u32_e32 v88, s11, v86
	s_clause 0xf
	global_load_b64 v[140:141], v22, s[4:5] scale_offset
	global_load_b64 v[142:143], v24, s[4:5] scale_offset
	;; [unrolled: 1-line block ×16, first 2 shown]
	v_add_nc_u32_e32 v90, s11, v88
	s_clause 0xf
	global_load_b64 v[172:173], v54, s[4:5] scale_offset
	global_load_b64 v[174:175], v56, s[4:5] scale_offset
	;; [unrolled: 1-line block ×16, first 2 shown]
	v_add_nc_u32_e32 v92, s11, v90
	s_delay_alu instid0(VALU_DEP_1)
	v_add_nc_u32_e32 v94, s11, v92
	s_clause 0x3
	global_load_b64 v[204:205], v86, s[4:5] scale_offset
	global_load_b64 v[206:207], v88, s[4:5] scale_offset
	;; [unrolled: 1-line block ×4, first 2 shown]
	v_add_nc_u32_e32 v96, s11, v94
	s_delay_alu instid0(VALU_DEP_1) | instskip(NEXT) | instid1(VALU_DEP_1)
	v_add_nc_u32_e32 v98, s11, v96
	v_add_nc_u32_e32 v100, s11, v98
	s_delay_alu instid0(VALU_DEP_1) | instskip(NEXT) | instid1(VALU_DEP_1)
	v_add_nc_u32_e32 v102, s11, v100
	v_add_nc_u32_e32 v104, s11, v102
	s_delay_alu instid0(VALU_DEP_1)
	v_add_nc_u32_e32 v106, s11, v104
	s_clause 0x3
	global_load_b64 v[212:213], v94, s[4:5] scale_offset
	global_load_b64 v[214:215], v96, s[4:5] scale_offset
	;; [unrolled: 1-line block ×4, first 2 shown]
	v_add_nc_u32_e32 v108, s11, v106
	s_delay_alu instid0(VALU_DEP_1) | instskip(NEXT) | instid1(VALU_DEP_1)
	v_add_nc_u32_e32 v110, s11, v108
	v_add_nc_u32_e32 v112, s11, v110
	s_delay_alu instid0(VALU_DEP_1)
	v_add_nc_u32_e32 v114, s11, v112
	s_clause 0x3
	global_load_b64 v[220:221], v102, s[4:5] scale_offset
	global_load_b64 v[222:223], v104, s[4:5] scale_offset
	;; [unrolled: 1-line block ×4, first 2 shown]
	v_add_nc_u32_e32 v116, s11, v114
	s_clause 0x3
	global_load_b64 v[228:229], v110, s[4:5] scale_offset
	global_load_b64 v[230:231], v112, s[4:5] scale_offset
	;; [unrolled: 1-line block ×4, first 2 shown]
	s_wait_loadcnt 0x38
	scratch_store_b128 off, v[120:123], off
	s_wait_loadcnt 0x36
	scratch_store_b128 off, v[124:127], off offset:16
	s_wait_loadcnt 0x34
	scratch_store_b128 off, v[128:131], off offset:32
	;; [unrolled: 2-line block ×28, first 2 shown]
	s_cbranch_scc1 .LBB57_244
; %bb.4:
	v_cmp_eq_u32_e64 s0, 0, v0
	s_wait_xcnt 0x0
	s_and_saveexec_b32 s1, s0
; %bb.5:
	v_mov_b32_e32 v1, 0
	ds_store_b32 v1, v1 offset:928
; %bb.6:
	s_or_b32 exec_lo, exec_lo, s1
	s_wait_storecnt_dscnt 0x0
	s_barrier_signal -1
	s_barrier_wait -1
	scratch_load_b64 v[120:121], v0, off scale_offset
	s_wait_loadcnt 0x0
	v_cmp_eq_f32_e32 vcc_lo, 0, v120
	v_cmp_eq_f32_e64 s1, 0, v121
	s_and_b32 s1, vcc_lo, s1
	s_delay_alu instid0(SALU_CYCLE_1)
	s_and_saveexec_b32 s8, s1
	s_cbranch_execz .LBB57_10
; %bb.7:
	v_mov_b32_e32 v1, 0
	s_mov_b32 s9, 0
	ds_load_b32 v7, v1 offset:928
	s_wait_dscnt 0x0
	v_readfirstlane_b32 s1, v7
	v_add_nc_u32_e32 v7, 1, v0
	s_cmp_eq_u32 s1, 0
	s_delay_alu instid0(VALU_DEP_1) | instskip(SKIP_1) | instid1(SALU_CYCLE_1)
	v_cmp_gt_i32_e32 vcc_lo, s1, v7
	s_cselect_b32 s10, -1, 0
	s_or_b32 s10, s10, vcc_lo
	s_delay_alu instid0(SALU_CYCLE_1)
	s_and_b32 exec_lo, exec_lo, s10
	s_cbranch_execz .LBB57_10
; %bb.8:
	v_mov_b32_e32 v9, s1
.LBB57_9:                               ; =>This Inner Loop Header: Depth=1
	ds_cmpstore_rtn_b32 v9, v1, v7, v9 offset:928
	s_wait_dscnt 0x0
	v_cmp_ne_u32_e32 vcc_lo, 0, v9
	v_cmp_le_i32_e64 s1, v9, v7
	s_and_b32 s1, vcc_lo, s1
	s_delay_alu instid0(SALU_CYCLE_1) | instskip(NEXT) | instid1(SALU_CYCLE_1)
	s_and_b32 s1, exec_lo, s1
	s_or_b32 s9, s1, s9
	s_delay_alu instid0(SALU_CYCLE_1)
	s_and_not1_b32 exec_lo, exec_lo, s9
	s_cbranch_execnz .LBB57_9
.LBB57_10:
	s_or_b32 exec_lo, exec_lo, s8
	v_mov_b32_e32 v1, 0
	s_barrier_signal -1
	s_barrier_wait -1
	ds_load_b32 v7, v1 offset:928
	s_and_saveexec_b32 s1, s0
	s_cbranch_execz .LBB57_12
; %bb.11:
	s_lshl_b64 s[8:9], s[16:17], 2
	s_delay_alu instid0(SALU_CYCLE_1)
	s_add_nc_u64 s[8:9], s[6:7], s[8:9]
	s_wait_dscnt 0x0
	global_store_b32 v1, v7, s[8:9]
.LBB57_12:
	s_wait_xcnt 0x0
	s_or_b32 exec_lo, exec_lo, s1
	s_wait_dscnt 0x0
	v_cmp_ne_u32_e32 vcc_lo, 0, v7
	s_mov_b32 s1, 0
	s_cbranch_vccnz .LBB57_244
; %bb.13:
	v_lshl_add_u32 v7, v0, 3, 0
                                        ; implicit-def: $vgpr123
                                        ; implicit-def: $vgpr124
	scratch_load_b64 v[120:121], v7, off
	s_wait_loadcnt 0x0
	v_cmp_ngt_f32_e64 s1, |v120|, |v121|
	s_wait_xcnt 0x0
	s_and_saveexec_b32 s8, s1
	s_delay_alu instid0(SALU_CYCLE_1)
	s_xor_b32 s1, exec_lo, s8
	s_cbranch_execz .LBB57_15
; %bb.14:
	v_div_scale_f32 v1, null, v121, v121, v120
	v_div_scale_f32 v13, vcc_lo, v120, v121, v120
	s_delay_alu instid0(VALU_DEP_2) | instskip(SKIP_1) | instid1(TRANS32_DEP_1)
	v_rcp_f32_e32 v9, v1
	v_nop
	v_fma_f32 v11, -v1, v9, 1.0
	s_delay_alu instid0(VALU_DEP_1) | instskip(NEXT) | instid1(VALU_DEP_1)
	v_fmac_f32_e32 v9, v11, v9
	v_mul_f32_e32 v11, v13, v9
	s_delay_alu instid0(VALU_DEP_1) | instskip(NEXT) | instid1(VALU_DEP_1)
	v_fma_f32 v15, -v1, v11, v13
	v_fmac_f32_e32 v11, v15, v9
	s_delay_alu instid0(VALU_DEP_1) | instskip(NEXT) | instid1(VALU_DEP_1)
	v_fma_f32 v1, -v1, v11, v13
	v_div_fmas_f32 v1, v1, v9, v11
	s_delay_alu instid0(VALU_DEP_1) | instskip(NEXT) | instid1(VALU_DEP_1)
	v_div_fixup_f32 v1, v1, v121, v120
	v_fmac_f32_e32 v121, v120, v1
	s_delay_alu instid0(VALU_DEP_1) | instskip(NEXT) | instid1(VALU_DEP_1)
	v_div_scale_f32 v9, null, v121, v121, -1.0
	v_rcp_f32_e32 v11, v9
	v_nop
	s_delay_alu instid0(TRANS32_DEP_1) | instskip(NEXT) | instid1(VALU_DEP_1)
	v_fma_f32 v13, -v9, v11, 1.0
	v_fmac_f32_e32 v11, v13, v11
	v_div_scale_f32 v13, vcc_lo, -1.0, v121, -1.0
	s_delay_alu instid0(VALU_DEP_1) | instskip(NEXT) | instid1(VALU_DEP_1)
	v_mul_f32_e32 v15, v13, v11
	v_fma_f32 v17, -v9, v15, v13
	s_delay_alu instid0(VALU_DEP_1) | instskip(NEXT) | instid1(VALU_DEP_1)
	v_fmac_f32_e32 v15, v17, v11
	v_fma_f32 v9, -v9, v15, v13
	s_delay_alu instid0(VALU_DEP_1) | instskip(NEXT) | instid1(VALU_DEP_1)
	v_div_fmas_f32 v9, v9, v11, v15
	v_div_fixup_f32 v123, v9, v121, -1.0
                                        ; implicit-def: $vgpr120_vgpr121
	s_delay_alu instid0(VALU_DEP_1) | instskip(NEXT) | instid1(VALU_DEP_1)
	v_mul_f32_e32 v124, v1, v123
	v_xor_b32_e32 v122, 0x80000000, v124
.LBB57_15:
	s_and_not1_saveexec_b32 s1, s1
	s_cbranch_execz .LBB57_17
; %bb.16:
	v_div_scale_f32 v1, null, v120, v120, v121
	v_div_scale_f32 v13, vcc_lo, v121, v120, v121
	s_delay_alu instid0(VALU_DEP_2) | instskip(SKIP_1) | instid1(TRANS32_DEP_1)
	v_rcp_f32_e32 v9, v1
	v_nop
	v_fma_f32 v11, -v1, v9, 1.0
	s_delay_alu instid0(VALU_DEP_1) | instskip(NEXT) | instid1(VALU_DEP_1)
	v_fmac_f32_e32 v9, v11, v9
	v_mul_f32_e32 v11, v13, v9
	s_delay_alu instid0(VALU_DEP_1) | instskip(NEXT) | instid1(VALU_DEP_1)
	v_fma_f32 v15, -v1, v11, v13
	v_fmac_f32_e32 v11, v15, v9
	s_delay_alu instid0(VALU_DEP_1) | instskip(NEXT) | instid1(VALU_DEP_1)
	v_fma_f32 v1, -v1, v11, v13
	v_div_fmas_f32 v1, v1, v9, v11
	s_delay_alu instid0(VALU_DEP_1) | instskip(NEXT) | instid1(VALU_DEP_1)
	v_div_fixup_f32 v1, v1, v120, v121
	v_fmac_f32_e32 v120, v121, v1
	s_delay_alu instid0(VALU_DEP_1) | instskip(SKIP_1) | instid1(VALU_DEP_2)
	v_div_scale_f32 v9, null, v120, v120, 1.0
	v_div_scale_f32 v15, vcc_lo, 1.0, v120, 1.0
	v_rcp_f32_e32 v11, v9
	v_nop
	s_delay_alu instid0(TRANS32_DEP_1) | instskip(NEXT) | instid1(VALU_DEP_1)
	v_fma_f32 v13, -v9, v11, 1.0
	v_fmac_f32_e32 v11, v13, v11
	s_delay_alu instid0(VALU_DEP_1) | instskip(NEXT) | instid1(VALU_DEP_1)
	v_mul_f32_e32 v13, v15, v11
	v_fma_f32 v17, -v9, v13, v15
	s_delay_alu instid0(VALU_DEP_1) | instskip(NEXT) | instid1(VALU_DEP_1)
	v_fmac_f32_e32 v13, v17, v11
	v_fma_f32 v9, -v9, v13, v15
	s_delay_alu instid0(VALU_DEP_1) | instskip(NEXT) | instid1(VALU_DEP_1)
	v_div_fmas_f32 v9, v9, v11, v13
	v_div_fixup_f32 v122, v9, v120, 1.0
	s_delay_alu instid0(VALU_DEP_1)
	v_xor_b32_e32 v124, 0x80000000, v122
	v_mul_f32_e64 v123, v1, -v122
.LBB57_17:
	s_or_b32 exec_lo, exec_lo, s1
	scratch_store_b64 v7, v[122:123], off
	scratch_load_b64 v[120:121], off, off offset:8
	v_xor_b32_e32 v125, 0x80000000, v123
	v_add_nc_u32_e32 v1, 0x1d0, v118
	s_wait_loadcnt 0x0
	ds_store_2addr_b64 v118, v[124:125], v[120:121] offset1:58
	s_wait_storecnt_dscnt 0x0
	s_barrier_signal -1
	s_barrier_wait -1
	s_wait_xcnt 0x0
	s_and_saveexec_b32 s1, s0
	s_cbranch_execz .LBB57_19
; %bb.18:
	scratch_load_b64 v[120:121], v7, off
	ds_load_b64 v[122:123], v1
	s_wait_loadcnt_dscnt 0x0
	v_pk_mul_f32 v[126:127], v[122:123], v[120:121] op_sel:[1,1] op_sel_hi:[0,1]
	s_delay_alu instid0(VALU_DEP_1) | instskip(SKIP_2) | instid1(VALU_DEP_3)
	v_pk_fma_f32 v[128:129], v[122:123], v[120:121], v[126:127] op_sel_hi:[1,0,1]
	v_mov_b32_e32 v9, 0
	v_pk_fma_f32 v[120:121], v[122:123], v[120:121], v[126:127] neg_lo:[0,0,1] neg_hi:[0,0,1]
	v_mov_b32_e32 v121, v129
	ds_load_b64 v[124:125], v9 offset:8
	v_pk_add_f32 v[120:121], v[120:121], 0 op_sel_hi:[1,0]
	s_wait_dscnt 0x0
	s_delay_alu instid0(VALU_DEP_1) | instskip(NEXT) | instid1(VALU_DEP_1)
	v_pk_mul_f32 v[122:123], v[120:121], v[124:125] op_sel:[1,1] op_sel_hi:[0,1]
	v_pk_fma_f32 v[126:127], v[120:121], v[124:125], v[122:123] op_sel_hi:[1,0,1]
	v_pk_fma_f32 v[120:121], v[120:121], v[124:125], v[122:123] neg_lo:[0,0,1] neg_hi:[0,0,1]
	s_delay_alu instid0(VALU_DEP_2)
	v_mov_b32_e32 v121, v127
	scratch_store_b64 off, v[120:121], off offset:8
.LBB57_19:
	s_wait_xcnt 0x0
	s_or_b32 exec_lo, exec_lo, s1
	s_wait_storecnt 0x0
	s_barrier_signal -1
	s_barrier_wait -1
	scratch_load_b64 v[120:121], off, off offset:16
	s_mov_b32 s1, exec_lo
	s_wait_loadcnt 0x0
	ds_store_b64 v1, v[120:121]
	s_wait_dscnt 0x0
	s_barrier_signal -1
	s_barrier_wait -1
	v_cmpx_gt_u32_e32 2, v0
	s_cbranch_execz .LBB57_23
; %bb.20:
	scratch_load_b64 v[120:121], v7, off
	ds_load_b64 v[122:123], v1
	s_wait_loadcnt_dscnt 0x0
	v_pk_mul_f32 v[124:125], v[122:123], v[120:121] op_sel:[1,1] op_sel_hi:[0,1]
	s_delay_alu instid0(VALU_DEP_1) | instskip(SKIP_1) | instid1(VALU_DEP_2)
	v_pk_fma_f32 v[126:127], v[122:123], v[120:121], v[124:125] op_sel_hi:[1,0,1]
	v_pk_fma_f32 v[120:121], v[122:123], v[120:121], v[124:125] neg_lo:[0,0,1] neg_hi:[0,0,1]
	v_mov_b32_e32 v121, v127
	s_delay_alu instid0(VALU_DEP_1)
	v_pk_add_f32 v[120:121], v[120:121], 0 op_sel_hi:[1,0]
	s_and_saveexec_b32 s8, s0
	s_cbranch_execz .LBB57_22
; %bb.21:
	scratch_load_b64 v[122:123], off, off offset:8
	v_mov_b32_e32 v7, 0
	ds_load_b64 v[124:125], v7 offset:472
	s_wait_loadcnt_dscnt 0x0
	v_pk_mul_f32 v[126:127], v[124:125], v[122:123] op_sel:[1,1] op_sel_hi:[0,1]
	s_delay_alu instid0(VALU_DEP_1) | instskip(SKIP_1) | instid1(VALU_DEP_2)
	v_pk_fma_f32 v[128:129], v[124:125], v[122:123], v[126:127] op_sel_hi:[1,0,1]
	v_pk_fma_f32 v[122:123], v[124:125], v[122:123], v[126:127] neg_lo:[0,0,1] neg_hi:[0,0,1]
	v_mov_b32_e32 v123, v129
	s_delay_alu instid0(VALU_DEP_1)
	v_pk_add_f32 v[120:121], v[120:121], v[122:123]
.LBB57_22:
	s_or_b32 exec_lo, exec_lo, s8
	v_mov_b32_e32 v7, 0
	ds_load_b64 v[122:123], v7 offset:16
	s_wait_dscnt 0x0
	v_pk_mul_f32 v[124:125], v[120:121], v[122:123] op_sel:[1,1] op_sel_hi:[0,1]
	s_delay_alu instid0(VALU_DEP_1) | instskip(SKIP_1) | instid1(VALU_DEP_2)
	v_pk_fma_f32 v[126:127], v[120:121], v[122:123], v[124:125] op_sel_hi:[1,0,1]
	v_pk_fma_f32 v[120:121], v[120:121], v[122:123], v[124:125] neg_lo:[0,0,1] neg_hi:[0,0,1]
	v_mov_b32_e32 v121, v127
	scratch_store_b64 off, v[120:121], off offset:16
.LBB57_23:
	s_wait_xcnt 0x0
	s_or_b32 exec_lo, exec_lo, s1
	s_wait_storecnt 0x0
	s_barrier_signal -1
	s_barrier_wait -1
	scratch_load_b64 v[120:121], off, off offset:24
	v_add_nc_u32_e32 v7, -1, v0
	s_mov_b32 s0, exec_lo
	s_wait_loadcnt 0x0
	ds_store_b64 v1, v[120:121]
	s_wait_dscnt 0x0
	s_barrier_signal -1
	s_barrier_wait -1
	v_cmpx_gt_u32_e32 3, v0
	s_cbranch_execz .LBB57_27
; %bb.24:
	v_dual_mov_b32 v120, 0 :: v_dual_add_nc_u32 v9, -1, v0
	v_add_nc_u32_e32 v11, 0x1d0, v118
	v_mov_b32_e32 v13, v118
	s_mov_b32 s1, 0
	s_delay_alu instid0(VALU_DEP_3)
	v_mov_b32_e32 v121, v120
.LBB57_25:                              ; =>This Inner Loop Header: Depth=1
	scratch_load_b64 v[122:123], v13, off
	ds_load_b64 v[124:125], v11
	s_wait_xcnt 0x0
	v_dual_add_nc_u32 v11, 8, v11 :: v_dual_add_nc_u32 v13, 8, v13
	s_wait_loadcnt_dscnt 0x0
	v_pk_mul_f32 v[126:127], v[124:125], v[122:123] op_sel:[1,1] op_sel_hi:[0,1]
	s_delay_alu instid0(VALU_DEP_1) | instskip(SKIP_2) | instid1(VALU_DEP_3)
	v_pk_fma_f32 v[128:129], v[124:125], v[122:123], v[126:127] op_sel_hi:[1,0,1]
	v_add_nc_u32_e32 v9, 1, v9
	v_pk_fma_f32 v[122:123], v[124:125], v[122:123], v[126:127] neg_lo:[0,0,1] neg_hi:[0,0,1]
	v_mov_b32_e32 v123, v129
	s_delay_alu instid0(VALU_DEP_3) | instskip(NEXT) | instid1(VALU_DEP_2)
	v_cmp_lt_u32_e32 vcc_lo, 1, v9
	v_pk_add_f32 v[120:121], v[120:121], v[122:123]
	s_or_b32 s1, vcc_lo, s1
	s_delay_alu instid0(SALU_CYCLE_1)
	s_and_not1_b32 exec_lo, exec_lo, s1
	s_cbranch_execnz .LBB57_25
; %bb.26:
	s_or_b32 exec_lo, exec_lo, s1
	v_mov_b32_e32 v9, 0
	ds_load_b64 v[122:123], v9 offset:24
	s_wait_dscnt 0x0
	v_pk_mul_f32 v[124:125], v[120:121], v[122:123] op_sel:[1,1] op_sel_hi:[0,1]
	s_delay_alu instid0(VALU_DEP_1) | instskip(SKIP_1) | instid1(VALU_DEP_2)
	v_pk_fma_f32 v[126:127], v[120:121], v[122:123], v[124:125] op_sel_hi:[1,0,1]
	v_pk_fma_f32 v[120:121], v[120:121], v[122:123], v[124:125] neg_lo:[0,0,1] neg_hi:[0,0,1]
	v_mov_b32_e32 v121, v127
	scratch_store_b64 off, v[120:121], off offset:24
.LBB57_27:
	s_wait_xcnt 0x0
	s_or_b32 exec_lo, exec_lo, s0
	s_wait_storecnt 0x0
	s_barrier_signal -1
	s_barrier_wait -1
	scratch_load_b64 v[120:121], off, off offset:32
	s_mov_b32 s0, exec_lo
	s_wait_loadcnt 0x0
	ds_store_b64 v1, v[120:121]
	s_wait_dscnt 0x0
	s_barrier_signal -1
	s_barrier_wait -1
	v_cmpx_gt_u32_e32 4, v0
	s_cbranch_execz .LBB57_31
; %bb.28:
	v_dual_mov_b32 v120, 0 :: v_dual_add_nc_u32 v9, -1, v0
	v_add_nc_u32_e32 v11, 0x1d0, v118
	v_mov_b32_e32 v13, v118
	s_mov_b32 s1, 0
	s_delay_alu instid0(VALU_DEP_3)
	v_mov_b32_e32 v121, v120
.LBB57_29:                              ; =>This Inner Loop Header: Depth=1
	scratch_load_b64 v[122:123], v13, off
	ds_load_b64 v[124:125], v11
	s_wait_xcnt 0x0
	v_dual_add_nc_u32 v11, 8, v11 :: v_dual_add_nc_u32 v13, 8, v13
	s_wait_loadcnt_dscnt 0x0
	v_pk_mul_f32 v[126:127], v[124:125], v[122:123] op_sel:[1,1] op_sel_hi:[0,1]
	s_delay_alu instid0(VALU_DEP_1) | instskip(SKIP_2) | instid1(VALU_DEP_3)
	v_pk_fma_f32 v[128:129], v[124:125], v[122:123], v[126:127] op_sel_hi:[1,0,1]
	v_add_nc_u32_e32 v9, 1, v9
	v_pk_fma_f32 v[122:123], v[124:125], v[122:123], v[126:127] neg_lo:[0,0,1] neg_hi:[0,0,1]
	v_mov_b32_e32 v123, v129
	s_delay_alu instid0(VALU_DEP_3) | instskip(NEXT) | instid1(VALU_DEP_2)
	v_cmp_lt_u32_e32 vcc_lo, 2, v9
	v_pk_add_f32 v[120:121], v[120:121], v[122:123]
	s_or_b32 s1, vcc_lo, s1
	s_delay_alu instid0(SALU_CYCLE_1)
	s_and_not1_b32 exec_lo, exec_lo, s1
	s_cbranch_execnz .LBB57_29
; %bb.30:
	s_or_b32 exec_lo, exec_lo, s1
	v_mov_b32_e32 v9, 0
	ds_load_b64 v[122:123], v9 offset:32
	s_wait_dscnt 0x0
	v_pk_mul_f32 v[124:125], v[120:121], v[122:123] op_sel:[1,1] op_sel_hi:[0,1]
	s_delay_alu instid0(VALU_DEP_1) | instskip(SKIP_1) | instid1(VALU_DEP_2)
	v_pk_fma_f32 v[126:127], v[120:121], v[122:123], v[124:125] op_sel_hi:[1,0,1]
	v_pk_fma_f32 v[120:121], v[120:121], v[122:123], v[124:125] neg_lo:[0,0,1] neg_hi:[0,0,1]
	v_mov_b32_e32 v121, v127
	scratch_store_b64 off, v[120:121], off offset:32
.LBB57_31:
	s_wait_xcnt 0x0
	s_or_b32 exec_lo, exec_lo, s0
	s_wait_storecnt 0x0
	s_barrier_signal -1
	s_barrier_wait -1
	scratch_load_b64 v[120:121], off, off offset:40
	;; [unrolled: 52-line block ×19, first 2 shown]
	s_mov_b32 s0, exec_lo
	s_wait_loadcnt 0x0
	ds_store_b64 v1, v[120:121]
	s_wait_dscnt 0x0
	s_barrier_signal -1
	s_barrier_wait -1
	v_cmpx_gt_u32_e32 22, v0
	s_cbranch_execz .LBB57_103
; %bb.100:
	v_dual_mov_b32 v120, 0 :: v_dual_add_nc_u32 v9, -1, v0
	v_add_nc_u32_e32 v11, 0x1d0, v118
	v_mov_b32_e32 v13, v118
	s_mov_b32 s1, 0
	s_delay_alu instid0(VALU_DEP_3)
	v_mov_b32_e32 v121, v120
.LBB57_101:                             ; =>This Inner Loop Header: Depth=1
	scratch_load_b64 v[122:123], v13, off
	ds_load_b64 v[124:125], v11
	s_wait_xcnt 0x0
	v_dual_add_nc_u32 v11, 8, v11 :: v_dual_add_nc_u32 v13, 8, v13
	s_wait_loadcnt_dscnt 0x0
	v_pk_mul_f32 v[126:127], v[124:125], v[122:123] op_sel:[1,1] op_sel_hi:[0,1]
	s_delay_alu instid0(VALU_DEP_1) | instskip(SKIP_2) | instid1(VALU_DEP_3)
	v_pk_fma_f32 v[128:129], v[124:125], v[122:123], v[126:127] op_sel_hi:[1,0,1]
	v_add_nc_u32_e32 v9, 1, v9
	v_pk_fma_f32 v[122:123], v[124:125], v[122:123], v[126:127] neg_lo:[0,0,1] neg_hi:[0,0,1]
	v_mov_b32_e32 v123, v129
	s_delay_alu instid0(VALU_DEP_3) | instskip(NEXT) | instid1(VALU_DEP_2)
	v_cmp_lt_u32_e32 vcc_lo, 20, v9
	v_pk_add_f32 v[120:121], v[120:121], v[122:123]
	s_or_b32 s1, vcc_lo, s1
	s_delay_alu instid0(SALU_CYCLE_1)
	s_and_not1_b32 exec_lo, exec_lo, s1
	s_cbranch_execnz .LBB57_101
; %bb.102:
	s_or_b32 exec_lo, exec_lo, s1
	v_mov_b32_e32 v9, 0
	ds_load_b64 v[122:123], v9 offset:176
	s_wait_dscnt 0x0
	v_pk_mul_f32 v[124:125], v[120:121], v[122:123] op_sel:[1,1] op_sel_hi:[0,1]
	s_delay_alu instid0(VALU_DEP_1) | instskip(SKIP_1) | instid1(VALU_DEP_2)
	v_pk_fma_f32 v[126:127], v[120:121], v[122:123], v[124:125] op_sel_hi:[1,0,1]
	v_pk_fma_f32 v[120:121], v[120:121], v[122:123], v[124:125] neg_lo:[0,0,1] neg_hi:[0,0,1]
	v_mov_b32_e32 v121, v127
	scratch_store_b64 off, v[120:121], off offset:176
.LBB57_103:
	s_wait_xcnt 0x0
	s_or_b32 exec_lo, exec_lo, s0
	s_wait_storecnt 0x0
	s_barrier_signal -1
	s_barrier_wait -1
	scratch_load_b64 v[120:121], off, off offset:184
	s_mov_b32 s0, exec_lo
	s_wait_loadcnt 0x0
	ds_store_b64 v1, v[120:121]
	s_wait_dscnt 0x0
	s_barrier_signal -1
	s_barrier_wait -1
	v_cmpx_gt_u32_e32 23, v0
	s_cbranch_execz .LBB57_107
; %bb.104:
	v_dual_mov_b32 v120, 0 :: v_dual_add_nc_u32 v9, -1, v0
	v_add_nc_u32_e32 v11, 0x1d0, v118
	v_mov_b32_e32 v13, v118
	s_mov_b32 s1, 0
	s_delay_alu instid0(VALU_DEP_3)
	v_mov_b32_e32 v121, v120
.LBB57_105:                             ; =>This Inner Loop Header: Depth=1
	scratch_load_b64 v[122:123], v13, off
	ds_load_b64 v[124:125], v11
	s_wait_xcnt 0x0
	v_dual_add_nc_u32 v11, 8, v11 :: v_dual_add_nc_u32 v13, 8, v13
	s_wait_loadcnt_dscnt 0x0
	v_pk_mul_f32 v[126:127], v[124:125], v[122:123] op_sel:[1,1] op_sel_hi:[0,1]
	s_delay_alu instid0(VALU_DEP_1) | instskip(SKIP_2) | instid1(VALU_DEP_3)
	v_pk_fma_f32 v[128:129], v[124:125], v[122:123], v[126:127] op_sel_hi:[1,0,1]
	v_add_nc_u32_e32 v9, 1, v9
	v_pk_fma_f32 v[122:123], v[124:125], v[122:123], v[126:127] neg_lo:[0,0,1] neg_hi:[0,0,1]
	v_mov_b32_e32 v123, v129
	s_delay_alu instid0(VALU_DEP_3) | instskip(NEXT) | instid1(VALU_DEP_2)
	v_cmp_lt_u32_e32 vcc_lo, 21, v9
	v_pk_add_f32 v[120:121], v[120:121], v[122:123]
	s_or_b32 s1, vcc_lo, s1
	s_delay_alu instid0(SALU_CYCLE_1)
	s_and_not1_b32 exec_lo, exec_lo, s1
	s_cbranch_execnz .LBB57_105
; %bb.106:
	s_or_b32 exec_lo, exec_lo, s1
	v_mov_b32_e32 v9, 0
	ds_load_b64 v[122:123], v9 offset:184
	s_wait_dscnt 0x0
	v_pk_mul_f32 v[124:125], v[120:121], v[122:123] op_sel:[1,1] op_sel_hi:[0,1]
	s_delay_alu instid0(VALU_DEP_1) | instskip(SKIP_1) | instid1(VALU_DEP_2)
	v_pk_fma_f32 v[126:127], v[120:121], v[122:123], v[124:125] op_sel_hi:[1,0,1]
	v_pk_fma_f32 v[120:121], v[120:121], v[122:123], v[124:125] neg_lo:[0,0,1] neg_hi:[0,0,1]
	v_mov_b32_e32 v121, v127
	scratch_store_b64 off, v[120:121], off offset:184
.LBB57_107:
	s_wait_xcnt 0x0
	s_or_b32 exec_lo, exec_lo, s0
	s_wait_storecnt 0x0
	s_barrier_signal -1
	s_barrier_wait -1
	scratch_load_b64 v[120:121], off, off offset:192
	;; [unrolled: 52-line block ×35, first 2 shown]
	s_mov_b32 s0, exec_lo
	s_wait_loadcnt 0x0
	ds_store_b64 v1, v[120:121]
	s_wait_dscnt 0x0
	s_barrier_signal -1
	s_barrier_wait -1
	v_cmpx_ne_u32_e32 57, v0
	s_cbranch_execz .LBB57_243
; %bb.240:
	v_dual_mov_b32 v120, 0 :: v_dual_mov_b32 v9, v118
	s_mov_b32 s1, 0
	s_delay_alu instid0(VALU_DEP_1)
	v_mov_b32_e32 v121, v120
.LBB57_241:                             ; =>This Inner Loop Header: Depth=1
	scratch_load_b64 v[118:119], v9, off
	ds_load_b64 v[122:123], v1
	v_add_nc_u32_e32 v1, 8, v1
	s_wait_xcnt 0x0
	v_add_nc_u32_e32 v9, 8, v9
	s_wait_loadcnt_dscnt 0x0
	v_pk_mul_f32 v[124:125], v[122:123], v[118:119] op_sel:[1,1] op_sel_hi:[0,1]
	s_delay_alu instid0(VALU_DEP_1) | instskip(SKIP_2) | instid1(VALU_DEP_3)
	v_pk_fma_f32 v[126:127], v[122:123], v[118:119], v[124:125] op_sel_hi:[1,0,1]
	v_add_nc_u32_e32 v7, 1, v7
	v_pk_fma_f32 v[118:119], v[122:123], v[118:119], v[124:125] neg_lo:[0,0,1] neg_hi:[0,0,1]
	v_mov_b32_e32 v119, v127
	s_delay_alu instid0(VALU_DEP_3) | instskip(NEXT) | instid1(VALU_DEP_2)
	v_cmp_lt_u32_e32 vcc_lo, 55, v7
	v_pk_add_f32 v[120:121], v[120:121], v[118:119]
	s_or_b32 s1, vcc_lo, s1
	s_delay_alu instid0(SALU_CYCLE_1)
	s_and_not1_b32 exec_lo, exec_lo, s1
	s_cbranch_execnz .LBB57_241
; %bb.242:
	s_or_b32 exec_lo, exec_lo, s1
	v_mov_b32_e32 v1, 0
	ds_load_b64 v[118:119], v1 offset:456
	s_wait_dscnt 0x0
	v_pk_mul_f32 v[122:123], v[120:121], v[118:119] op_sel:[1,1] op_sel_hi:[0,1]
	s_delay_alu instid0(VALU_DEP_1) | instskip(SKIP_1) | instid1(VALU_DEP_2)
	v_pk_fma_f32 v[124:125], v[120:121], v[118:119], v[122:123] op_sel_hi:[1,0,1]
	v_pk_fma_f32 v[118:119], v[120:121], v[118:119], v[122:123] neg_lo:[0,0,1] neg_hi:[0,0,1]
	v_mov_b32_e32 v119, v125
	scratch_store_b64 off, v[118:119], off offset:456
.LBB57_243:
	s_wait_xcnt 0x0
	s_or_b32 exec_lo, exec_lo, s0
	s_mov_b32 s1, -1
	s_wait_storecnt 0x0
	s_barrier_signal -1
	s_barrier_wait -1
.LBB57_244:
	s_and_b32 vcc_lo, exec_lo, s1
	s_cbranch_vccz .LBB57_246
; %bb.245:
	v_mov_b32_e32 v1, 0
	s_lshl_b64 s[0:1], s[16:17], 2
	s_delay_alu instid0(SALU_CYCLE_1)
	s_add_nc_u64 s[0:1], s[6:7], s[0:1]
	global_load_b32 v1, v1, s[0:1]
	s_wait_loadcnt 0x0
	v_cmp_ne_u32_e32 vcc_lo, 0, v1
	s_cbranch_vccz .LBB57_247
.LBB57_246:
	s_sendmsg sendmsg(MSG_DEALLOC_VGPRS)
	s_endpgm
.LBB57_247:
	s_wait_xcnt 0x0
	v_lshl_add_u32 v1, v0, 3, 0x1d0
	s_mov_b32 s0, exec_lo
	v_cmpx_eq_u32_e32 57, v0
	s_cbranch_execz .LBB57_249
; %bb.248:
	scratch_load_b64 v[118:119], off, off offset:448
	v_mov_b64_e32 v[120:121], 0
	scratch_store_b64 off, v[120:121], off offset:448
	s_wait_loadcnt 0x0
	ds_store_b64 v1, v[118:119]
.LBB57_249:
	s_wait_xcnt 0x0
	s_or_b32 exec_lo, exec_lo, s0
	s_wait_storecnt_dscnt 0x0
	s_barrier_signal -1
	s_barrier_wait -1
	s_clause 0x1
	scratch_load_b64 v[118:119], off, off offset:456
	scratch_load_b64 v[120:121], off, off offset:448
	v_mov_b32_e32 v7, 0
	s_mov_b32 s0, exec_lo
	ds_load_b64 v[122:123], v7 offset:920
	s_wait_loadcnt_dscnt 0x100
	v_pk_mul_f32 v[124:125], v[122:123], v[118:119] op_sel:[1,1] op_sel_hi:[0,1]
	s_delay_alu instid0(VALU_DEP_1) | instskip(SKIP_1) | instid1(VALU_DEP_2)
	v_pk_fma_f32 v[126:127], v[122:123], v[118:119], v[124:125] op_sel_hi:[1,0,1]
	v_pk_fma_f32 v[118:119], v[122:123], v[118:119], v[124:125] neg_lo:[0,0,1] neg_hi:[0,0,1]
	v_mov_b32_e32 v119, v127
	s_delay_alu instid0(VALU_DEP_1) | instskip(SKIP_1) | instid1(VALU_DEP_1)
	v_pk_add_f32 v[118:119], v[118:119], 0 op_sel_hi:[1,0]
	s_wait_loadcnt 0x0
	v_pk_add_f32 v[118:119], v[120:121], v[118:119] neg_lo:[0,1] neg_hi:[0,1]
	scratch_store_b64 off, v[118:119], off offset:448
	s_wait_xcnt 0x0
	v_cmpx_lt_u32_e32 55, v0
	s_cbranch_execz .LBB57_251
; %bb.250:
	scratch_load_b64 v[118:119], off, off offset:440
	v_mov_b64_e32 v[120:121], 0
	scratch_store_b64 off, v[120:121], off offset:440
	s_wait_loadcnt 0x0
	ds_store_b64 v1, v[118:119]
.LBB57_251:
	s_wait_xcnt 0x0
	s_or_b32 exec_lo, exec_lo, s0
	s_wait_storecnt_dscnt 0x0
	s_barrier_signal -1
	s_barrier_wait -1
	s_clause 0x1
	scratch_load_b128 v[118:121], off, off offset:448
	scratch_load_b64 v[126:127], off, off offset:440
	ds_load_b128 v[122:125], v7 offset:912
	s_mov_b32 s0, exec_lo
	s_wait_dscnt 0x0
	v_dual_mov_b32 v128, v125 :: v_dual_mov_b32 v129, v124
	s_wait_loadcnt 0x1
	v_pk_mul_f32 v[130:131], v[122:123], v[118:119] op_sel:[1,1] op_sel_hi:[0,1]
	s_delay_alu instid0(VALU_DEP_1) | instskip(SKIP_2) | instid1(VALU_DEP_3)
	v_pk_fma_f32 v[134:135], v[122:123], v[118:119], v[130:131] op_sel_hi:[1,0,1]
	v_mov_b32_e32 v132, v121
	v_pk_fma_f32 v[118:119], v[122:123], v[118:119], v[130:131] neg_lo:[0,0,1] neg_hi:[0,0,1]
	v_mov_b32_e32 v119, v135
	s_delay_alu instid0(VALU_DEP_3) | instskip(NEXT) | instid1(VALU_DEP_2)
	v_pk_mul_f32 v[128:129], v[128:129], v[132:133] op_sel_hi:[1,0]
	v_pk_add_f32 v[118:119], v[118:119], 0 op_sel_hi:[1,0]
	s_delay_alu instid0(VALU_DEP_2) | instskip(SKIP_1) | instid1(VALU_DEP_2)
	v_pk_fma_f32 v[122:123], v[124:125], v[120:121], v[128:129] op_sel_hi:[1,0,1]
	v_pk_fma_f32 v[120:121], v[124:125], v[120:121], v[128:129] neg_lo:[0,0,1] neg_hi:[0,0,1]
	v_mov_b32_e32 v121, v123
	s_delay_alu instid0(VALU_DEP_1) | instskip(SKIP_1) | instid1(VALU_DEP_1)
	v_pk_add_f32 v[118:119], v[118:119], v[120:121]
	s_wait_loadcnt 0x0
	v_pk_add_f32 v[118:119], v[126:127], v[118:119] neg_lo:[0,1] neg_hi:[0,1]
	scratch_store_b64 off, v[118:119], off offset:440
	s_wait_xcnt 0x0
	v_cmpx_lt_u32_e32 54, v0
	s_cbranch_execz .LBB57_253
; %bb.252:
	scratch_load_b64 v[118:119], off, off offset:432
	v_mov_b64_e32 v[120:121], 0
	scratch_store_b64 off, v[120:121], off offset:432
	s_wait_loadcnt 0x0
	ds_store_b64 v1, v[118:119]
.LBB57_253:
	s_wait_xcnt 0x0
	s_or_b32 exec_lo, exec_lo, s0
	s_wait_storecnt_dscnt 0x0
	s_barrier_signal -1
	s_barrier_wait -1
	s_clause 0x2
	scratch_load_b128 v[118:121], off, off offset:440
	scratch_load_b64 v[126:127], off, off offset:456
	scratch_load_b64 v[128:129], off, off offset:432
	v_mov_b32_e32 v7, 0
	ds_load_2addr_b64 v[122:125], v7 offset0:113 offset1:114
	ds_load_b64 v[130:131], v7 offset:920
	s_mov_b32 s0, exec_lo
	s_wait_dscnt 0x1
	v_dual_mov_b32 v132, v125 :: v_dual_mov_b32 v133, v124
	s_wait_loadcnt 0x2
	v_mov_b32_e32 v136, v121
	v_pk_mul_f32 v[134:135], v[122:123], v[118:119] op_sel:[1,1] op_sel_hi:[0,1]
	s_delay_alu instid0(VALU_DEP_2) | instskip(NEXT) | instid1(VALU_DEP_2)
	v_pk_mul_f32 v[132:133], v[132:133], v[136:137] op_sel_hi:[1,0]
	v_pk_fma_f32 v[138:139], v[122:123], v[118:119], v[134:135] op_sel_hi:[1,0,1]
	v_pk_fma_f32 v[118:119], v[122:123], v[118:119], v[134:135] neg_lo:[0,0,1] neg_hi:[0,0,1]
	s_wait_loadcnt_dscnt 0x100
	v_pk_mul_f32 v[134:135], v[130:131], v[126:127] op_sel:[1,1] op_sel_hi:[0,1]
	v_pk_fma_f32 v[122:123], v[124:125], v[120:121], v[132:133] op_sel_hi:[1,0,1]
	v_mov_b32_e32 v119, v139
	v_pk_fma_f32 v[120:121], v[124:125], v[120:121], v[132:133] neg_lo:[0,0,1] neg_hi:[0,0,1]
	s_delay_alu instid0(VALU_DEP_4) | instskip(NEXT) | instid1(VALU_DEP_4)
	v_pk_fma_f32 v[124:125], v[130:131], v[126:127], v[134:135] neg_lo:[0,0,1] neg_hi:[0,0,1]
	v_mov_b32_e32 v121, v123
	s_delay_alu instid0(VALU_DEP_4) | instskip(SKIP_1) | instid1(VALU_DEP_2)
	v_pk_add_f32 v[118:119], v[118:119], 0 op_sel_hi:[1,0]
	v_pk_fma_f32 v[122:123], v[130:131], v[126:127], v[134:135] op_sel_hi:[1,0,1]
	v_pk_add_f32 v[118:119], v[118:119], v[120:121]
	s_delay_alu instid0(VALU_DEP_2) | instskip(NEXT) | instid1(VALU_DEP_1)
	v_mov_b32_e32 v125, v123
	v_pk_add_f32 v[118:119], v[118:119], v[124:125]
	s_wait_loadcnt 0x0
	s_delay_alu instid0(VALU_DEP_1)
	v_pk_add_f32 v[118:119], v[128:129], v[118:119] neg_lo:[0,1] neg_hi:[0,1]
	scratch_store_b64 off, v[118:119], off offset:432
	s_wait_xcnt 0x0
	v_cmpx_lt_u32_e32 53, v0
	s_cbranch_execz .LBB57_255
; %bb.254:
	scratch_load_b64 v[118:119], off, off offset:424
	v_mov_b64_e32 v[120:121], 0
	scratch_store_b64 off, v[120:121], off offset:424
	s_wait_loadcnt 0x0
	ds_store_b64 v1, v[118:119]
.LBB57_255:
	s_wait_xcnt 0x0
	s_or_b32 exec_lo, exec_lo, s0
	s_wait_storecnt_dscnt 0x0
	s_barrier_signal -1
	s_barrier_wait -1
	s_clause 0x2
	scratch_load_b128 v[118:121], off, off offset:432
	scratch_load_b128 v[122:125], off, off offset:448
	scratch_load_b64 v[134:135], off, off offset:424
	ds_load_b128 v[126:129], v7 offset:896
	ds_load_b128 v[130:133], v7 offset:912
	s_mov_b32 s0, exec_lo
	s_wait_dscnt 0x1
	v_dual_mov_b32 v136, v129 :: v_dual_mov_b32 v137, v128
	s_wait_loadcnt_dscnt 0x200
	v_dual_mov_b32 v142, v133 :: v_dual_mov_b32 v140, v121
	v_pk_mul_f32 v[138:139], v[126:127], v[118:119] op_sel:[1,1] op_sel_hi:[0,1]
	s_delay_alu instid0(VALU_DEP_2) | instskip(NEXT) | instid1(VALU_DEP_2)
	v_pk_mul_f32 v[136:137], v[136:137], v[140:141] op_sel_hi:[1,0]
	v_pk_fma_f32 v[144:145], v[126:127], v[118:119], v[138:139] op_sel_hi:[1,0,1]
	v_pk_fma_f32 v[118:119], v[126:127], v[118:119], v[138:139] neg_lo:[0,0,1] neg_hi:[0,0,1]
	v_mov_b32_e32 v143, v132
	s_wait_loadcnt 0x1
	v_pk_mul_f32 v[140:141], v[130:131], v[122:123] op_sel:[1,1] op_sel_hi:[0,1]
	v_pk_fma_f32 v[126:127], v[128:129], v[120:121], v[136:137] op_sel_hi:[1,0,1]
	v_dual_mov_b32 v119, v145 :: v_dual_mov_b32 v126, v125
	v_pk_fma_f32 v[120:121], v[128:129], v[120:121], v[136:137] neg_lo:[0,0,1] neg_hi:[0,0,1]
	s_delay_alu instid0(VALU_DEP_4) | instskip(NEXT) | instid1(VALU_DEP_4)
	v_pk_fma_f32 v[138:139], v[130:131], v[122:123], v[140:141] op_sel_hi:[1,0,1]
	v_mov_b32_e32 v121, v127
	s_delay_alu instid0(VALU_DEP_4) | instskip(SKIP_2) | instid1(VALU_DEP_3)
	v_pk_add_f32 v[118:119], v[118:119], 0 op_sel_hi:[1,0]
	v_pk_mul_f32 v[126:127], v[142:143], v[126:127] op_sel_hi:[1,0]
	v_pk_fma_f32 v[122:123], v[130:131], v[122:123], v[140:141] neg_lo:[0,0,1] neg_hi:[0,0,1]
	v_pk_add_f32 v[118:119], v[118:119], v[120:121]
	s_delay_alu instid0(VALU_DEP_3) | instskip(SKIP_2) | instid1(VALU_DEP_3)
	v_pk_fma_f32 v[120:121], v[132:133], v[124:125], v[126:127] op_sel_hi:[1,0,1]
	v_mov_b32_e32 v123, v139
	v_pk_fma_f32 v[124:125], v[132:133], v[124:125], v[126:127] neg_lo:[0,0,1] neg_hi:[0,0,1]
	v_mov_b32_e32 v125, v121
	s_delay_alu instid0(VALU_DEP_3) | instskip(NEXT) | instid1(VALU_DEP_1)
	v_pk_add_f32 v[118:119], v[118:119], v[122:123]
	v_pk_add_f32 v[118:119], v[118:119], v[124:125]
	s_wait_loadcnt 0x0
	s_delay_alu instid0(VALU_DEP_1)
	v_pk_add_f32 v[118:119], v[134:135], v[118:119] neg_lo:[0,1] neg_hi:[0,1]
	scratch_store_b64 off, v[118:119], off offset:424
	s_wait_xcnt 0x0
	v_cmpx_lt_u32_e32 52, v0
	s_cbranch_execz .LBB57_257
; %bb.256:
	scratch_load_b64 v[118:119], off, off offset:416
	v_mov_b64_e32 v[120:121], 0
	scratch_store_b64 off, v[120:121], off offset:416
	s_wait_loadcnt 0x0
	ds_store_b64 v1, v[118:119]
.LBB57_257:
	s_wait_xcnt 0x0
	s_or_b32 exec_lo, exec_lo, s0
	s_wait_storecnt_dscnt 0x0
	s_barrier_signal -1
	s_barrier_wait -1
	s_clause 0x3
	scratch_load_b128 v[118:121], off, off offset:424
	scratch_load_b128 v[122:125], off, off offset:440
	scratch_load_b64 v[134:135], off, off offset:456
	scratch_load_b64 v[136:137], off, off offset:416
	v_mov_b32_e32 v7, 0
	ds_load_2addr_b64 v[126:129], v7 offset0:111 offset1:112
	ds_load_2addr_b64 v[130:133], v7 offset0:113 offset1:114
	s_mov_b32 s0, exec_lo
	s_wait_dscnt 0x1
	v_dual_mov_b32 v138, v129 :: v_dual_mov_b32 v139, v128
	ds_load_b64 v[144:145], v7 offset:920
	s_wait_dscnt 0x1
	v_dual_mov_b32 v146, v133 :: v_dual_mov_b32 v147, v132
	s_wait_loadcnt 0x3
	v_pk_mul_f32 v[140:141], v[126:127], v[118:119] op_sel:[1,1] op_sel_hi:[0,1]
	v_mov_b32_e32 v142, v121
	s_delay_alu instid0(VALU_DEP_2) | instskip(NEXT) | instid1(VALU_DEP_2)
	v_pk_fma_f32 v[148:149], v[126:127], v[118:119], v[140:141] op_sel_hi:[1,0,1]
	v_pk_mul_f32 v[138:139], v[138:139], v[142:143] op_sel_hi:[1,0]
	v_pk_fma_f32 v[118:119], v[126:127], v[118:119], v[140:141] neg_lo:[0,0,1] neg_hi:[0,0,1]
	s_wait_loadcnt 0x2
	v_pk_mul_f32 v[142:143], v[130:131], v[122:123] op_sel:[1,1] op_sel_hi:[0,1]
	v_dual_mov_b32 v148, v125 :: v_dual_mov_b32 v119, v149
	v_pk_fma_f32 v[126:127], v[128:129], v[120:121], v[138:139] op_sel_hi:[1,0,1]
	v_pk_fma_f32 v[120:121], v[128:129], v[120:121], v[138:139] neg_lo:[0,0,1] neg_hi:[0,0,1]
	s_delay_alu instid0(VALU_DEP_4) | instskip(NEXT) | instid1(VALU_DEP_4)
	v_pk_fma_f32 v[140:141], v[130:131], v[122:123], v[142:143] op_sel_hi:[1,0,1]
	v_pk_mul_f32 v[146:147], v[146:147], v[148:149] op_sel_hi:[1,0]
	v_pk_add_f32 v[118:119], v[118:119], 0 op_sel_hi:[1,0]
	v_mov_b32_e32 v121, v127
	v_pk_fma_f32 v[122:123], v[130:131], v[122:123], v[142:143] neg_lo:[0,0,1] neg_hi:[0,0,1]
	v_mov_b32_e32 v123, v141
	v_pk_fma_f32 v[126:127], v[132:133], v[124:125], v[146:147] op_sel_hi:[1,0,1]
	v_pk_fma_f32 v[124:125], v[132:133], v[124:125], v[146:147] neg_lo:[0,0,1] neg_hi:[0,0,1]
	v_pk_add_f32 v[118:119], v[118:119], v[120:121]
	s_wait_loadcnt_dscnt 0x100
	v_pk_mul_f32 v[120:121], v[144:145], v[134:135] op_sel:[1,1] op_sel_hi:[0,1]
	s_delay_alu instid0(VALU_DEP_2) | instskip(NEXT) | instid1(VALU_DEP_2)
	v_pk_add_f32 v[118:119], v[118:119], v[122:123]
	v_pk_fma_f32 v[122:123], v[144:145], v[134:135], v[120:121] op_sel_hi:[1,0,1]
	v_mov_b32_e32 v125, v127
	v_pk_fma_f32 v[120:121], v[144:145], v[134:135], v[120:121] neg_lo:[0,0,1] neg_hi:[0,0,1]
	s_delay_alu instid0(VALU_DEP_3) | instskip(NEXT) | instid1(VALU_DEP_3)
	v_mov_b32_e32 v121, v123
	v_pk_add_f32 v[118:119], v[118:119], v[124:125]
	s_delay_alu instid0(VALU_DEP_1) | instskip(SKIP_1) | instid1(VALU_DEP_1)
	v_pk_add_f32 v[118:119], v[118:119], v[120:121]
	s_wait_loadcnt 0x0
	v_pk_add_f32 v[118:119], v[136:137], v[118:119] neg_lo:[0,1] neg_hi:[0,1]
	scratch_store_b64 off, v[118:119], off offset:416
	s_wait_xcnt 0x0
	v_cmpx_lt_u32_e32 51, v0
	s_cbranch_execz .LBB57_259
; %bb.258:
	scratch_load_b64 v[118:119], off, off offset:408
	v_mov_b64_e32 v[120:121], 0
	scratch_store_b64 off, v[120:121], off offset:408
	s_wait_loadcnt 0x0
	ds_store_b64 v1, v[118:119]
.LBB57_259:
	s_wait_xcnt 0x0
	s_or_b32 exec_lo, exec_lo, s0
	s_wait_storecnt_dscnt 0x0
	s_barrier_signal -1
	s_barrier_wait -1
	s_clause 0x3
	scratch_load_b128 v[118:121], off, off offset:416
	scratch_load_b128 v[122:125], off, off offset:432
	;; [unrolled: 1-line block ×3, first 2 shown]
	scratch_load_b64 v[142:143], off, off offset:408
	ds_load_b128 v[130:133], v7 offset:880
	ds_load_b128 v[134:137], v7 offset:896
	;; [unrolled: 1-line block ×3, first 2 shown]
	s_mov_b32 s0, exec_lo
	s_wait_dscnt 0x2
	v_dual_mov_b32 v144, v133 :: v_dual_mov_b32 v145, v132
	s_wait_dscnt 0x1
	v_dual_mov_b32 v146, v137 :: v_dual_mov_b32 v147, v136
	;; [unrolled: 2-line block ×3, first 2 shown]
	s_wait_loadcnt 0x3
	v_pk_mul_f32 v[148:149], v[130:131], v[118:119] op_sel:[1,1] op_sel_hi:[0,1]
	v_mov_b32_e32 v150, v121
	s_delay_alu instid0(VALU_DEP_2) | instskip(NEXT) | instid1(VALU_DEP_2)
	v_pk_fma_f32 v[154:155], v[130:131], v[118:119], v[148:149] op_sel_hi:[1,0,1]
	v_pk_mul_f32 v[144:145], v[144:145], v[150:151] op_sel_hi:[1,0]
	v_pk_fma_f32 v[118:119], v[130:131], v[118:119], v[148:149] neg_lo:[0,0,1] neg_hi:[0,0,1]
	s_wait_loadcnt 0x2
	v_pk_mul_f32 v[150:151], v[134:135], v[122:123] op_sel:[1,1] op_sel_hi:[0,1]
	v_mov_b32_e32 v154, v125
	v_pk_fma_f32 v[130:131], v[132:133], v[120:121], v[144:145] op_sel_hi:[1,0,1]
	v_mov_b32_e32 v119, v155
	v_pk_fma_f32 v[120:121], v[132:133], v[120:121], v[144:145] neg_lo:[0,0,1] neg_hi:[0,0,1]
	v_pk_fma_f32 v[148:149], v[134:135], v[122:123], v[150:151] op_sel_hi:[1,0,1]
	v_pk_mul_f32 v[146:147], v[146:147], v[154:155] op_sel_hi:[1,0]
	v_mov_b32_e32 v121, v131
	v_pk_add_f32 v[118:119], v[118:119], 0 op_sel_hi:[1,0]
	v_pk_fma_f32 v[122:123], v[134:135], v[122:123], v[150:151] neg_lo:[0,0,1] neg_hi:[0,0,1]
	s_wait_loadcnt 0x1
	v_pk_mul_f32 v[130:131], v[138:139], v[126:127] op_sel:[1,1] op_sel_hi:[0,1]
	v_mov_b32_e32 v123, v149
	v_pk_fma_f32 v[132:133], v[136:137], v[124:125], v[146:147] op_sel_hi:[1,0,1]
	v_pk_add_f32 v[118:119], v[118:119], v[120:121]
	v_mov_b32_e32 v120, v129
	v_pk_fma_f32 v[124:125], v[136:137], v[124:125], v[146:147] neg_lo:[0,0,1] neg_hi:[0,0,1]
	v_pk_fma_f32 v[134:135], v[138:139], v[126:127], v[130:131] op_sel_hi:[1,0,1]
	v_mov_b32_e32 v125, v133
	v_pk_add_f32 v[118:119], v[118:119], v[122:123]
	v_pk_mul_f32 v[120:121], v[152:153], v[120:121] op_sel_hi:[1,0]
	v_pk_fma_f32 v[122:123], v[138:139], v[126:127], v[130:131] neg_lo:[0,0,1] neg_hi:[0,0,1]
	v_mov_b32_e32 v123, v135
	s_delay_alu instid0(VALU_DEP_4) | instskip(NEXT) | instid1(VALU_DEP_4)
	v_pk_add_f32 v[118:119], v[118:119], v[124:125]
	v_pk_fma_f32 v[124:125], v[140:141], v[128:129], v[120:121] op_sel_hi:[1,0,1]
	v_pk_fma_f32 v[120:121], v[140:141], v[128:129], v[120:121] neg_lo:[0,0,1] neg_hi:[0,0,1]
	s_delay_alu instid0(VALU_DEP_3) | instskip(NEXT) | instid1(VALU_DEP_3)
	v_pk_add_f32 v[118:119], v[118:119], v[122:123]
	v_mov_b32_e32 v121, v125
	s_delay_alu instid0(VALU_DEP_1) | instskip(SKIP_1) | instid1(VALU_DEP_1)
	v_pk_add_f32 v[118:119], v[118:119], v[120:121]
	s_wait_loadcnt 0x0
	v_pk_add_f32 v[118:119], v[142:143], v[118:119] neg_lo:[0,1] neg_hi:[0,1]
	scratch_store_b64 off, v[118:119], off offset:408
	s_wait_xcnt 0x0
	v_cmpx_lt_u32_e32 50, v0
	s_cbranch_execz .LBB57_261
; %bb.260:
	scratch_load_b64 v[118:119], off, off offset:400
	v_mov_b64_e32 v[120:121], 0
	scratch_store_b64 off, v[120:121], off offset:400
	s_wait_loadcnt 0x0
	ds_store_b64 v1, v[118:119]
.LBB57_261:
	s_wait_xcnt 0x0
	s_or_b32 exec_lo, exec_lo, s0
	s_wait_storecnt_dscnt 0x0
	s_barrier_signal -1
	s_barrier_wait -1
	s_clause 0x4
	scratch_load_b128 v[118:121], off, off offset:408
	scratch_load_b128 v[122:125], off, off offset:424
	scratch_load_b128 v[126:129], off, off offset:440
	scratch_load_b64 v[142:143], off, off offset:456
	scratch_load_b64 v[144:145], off, off offset:400
	v_mov_b32_e32 v7, 0
	ds_load_2addr_b64 v[130:133], v7 offset0:109 offset1:110
	ds_load_2addr_b64 v[134:137], v7 offset0:111 offset1:112
	;; [unrolled: 1-line block ×3, first 2 shown]
	ds_load_b64 v[146:147], v7 offset:920
	s_mov_b32 s0, exec_lo
	s_wait_dscnt 0x3
	v_dual_mov_b32 v148, v133 :: v_dual_mov_b32 v149, v132
	s_wait_dscnt 0x2
	v_dual_mov_b32 v150, v137 :: v_dual_mov_b32 v151, v136
	;; [unrolled: 2-line block ×3, first 2 shown]
	s_wait_loadcnt 0x4
	v_pk_mul_f32 v[152:153], v[130:131], v[118:119] op_sel:[1,1] op_sel_hi:[0,1]
	v_mov_b32_e32 v154, v121
	s_wait_loadcnt 0x3
	v_pk_mul_f32 v[158:159], v[134:135], v[122:123] op_sel:[1,1] op_sel_hi:[0,1]
	s_wait_loadcnt 0x2
	v_pk_mul_f32 v[162:163], v[138:139], v[126:127] op_sel:[1,1] op_sel_hi:[0,1]
	v_pk_fma_f32 v[160:161], v[130:131], v[118:119], v[152:153] op_sel_hi:[1,0,1]
	v_pk_mul_f32 v[148:149], v[148:149], v[154:155] op_sel_hi:[1,0]
	v_pk_fma_f32 v[118:119], v[130:131], v[118:119], v[152:153] neg_lo:[0,0,1] neg_hi:[0,0,1]
	v_mov_b32_e32 v154, v125
	v_pk_fma_f32 v[152:153], v[134:135], v[122:123], v[158:159] op_sel_hi:[1,0,1]
	v_mov_b32_e32 v119, v161
	v_pk_fma_f32 v[130:131], v[132:133], v[120:121], v[148:149] op_sel_hi:[1,0,1]
	v_pk_fma_f32 v[120:121], v[132:133], v[120:121], v[148:149] neg_lo:[0,0,1] neg_hi:[0,0,1]
	v_pk_mul_f32 v[150:151], v[150:151], v[154:155] op_sel_hi:[1,0]
	v_pk_fma_f32 v[122:123], v[134:135], v[122:123], v[158:159] neg_lo:[0,0,1] neg_hi:[0,0,1]
	v_pk_add_f32 v[118:119], v[118:119], 0 op_sel_hi:[1,0]
	v_dual_mov_b32 v121, v131 :: v_dual_mov_b32 v130, v129
	s_delay_alu instid0(VALU_DEP_4) | instskip(SKIP_2) | instid1(VALU_DEP_4)
	v_pk_fma_f32 v[132:133], v[136:137], v[124:125], v[150:151] op_sel_hi:[1,0,1]
	v_mov_b32_e32 v123, v153
	v_pk_fma_f32 v[124:125], v[136:137], v[124:125], v[150:151] neg_lo:[0,0,1] neg_hi:[0,0,1]
	v_pk_add_f32 v[118:119], v[118:119], v[120:121]
	v_pk_fma_f32 v[120:121], v[138:139], v[126:127], v[162:163] op_sel_hi:[1,0,1]
	v_pk_mul_f32 v[130:131], v[156:157], v[130:131] op_sel_hi:[1,0]
	v_mov_b32_e32 v125, v133
	s_delay_alu instid0(VALU_DEP_4)
	v_pk_add_f32 v[118:119], v[118:119], v[122:123]
	v_pk_fma_f32 v[122:123], v[138:139], v[126:127], v[162:163] neg_lo:[0,0,1] neg_hi:[0,0,1]
	v_mov_b32_e32 v123, v121
	v_pk_fma_f32 v[120:121], v[140:141], v[128:129], v[130:131] op_sel_hi:[1,0,1]
	v_pk_fma_f32 v[126:127], v[140:141], v[128:129], v[130:131] neg_lo:[0,0,1] neg_hi:[0,0,1]
	v_pk_add_f32 v[118:119], v[118:119], v[124:125]
	s_wait_loadcnt_dscnt 0x100
	v_pk_mul_f32 v[124:125], v[146:147], v[142:143] op_sel:[1,1] op_sel_hi:[0,1]
	v_mov_b32_e32 v127, v121
	s_delay_alu instid0(VALU_DEP_3) | instskip(NEXT) | instid1(VALU_DEP_3)
	v_pk_add_f32 v[118:119], v[118:119], v[122:123]
	v_pk_fma_f32 v[120:121], v[146:147], v[142:143], v[124:125] op_sel_hi:[1,0,1]
	v_pk_fma_f32 v[122:123], v[146:147], v[142:143], v[124:125] neg_lo:[0,0,1] neg_hi:[0,0,1]
	s_delay_alu instid0(VALU_DEP_3) | instskip(NEXT) | instid1(VALU_DEP_3)
	v_pk_add_f32 v[118:119], v[118:119], v[126:127]
	v_mov_b32_e32 v123, v121
	s_delay_alu instid0(VALU_DEP_1) | instskip(SKIP_1) | instid1(VALU_DEP_1)
	v_pk_add_f32 v[118:119], v[118:119], v[122:123]
	s_wait_loadcnt 0x0
	v_pk_add_f32 v[118:119], v[144:145], v[118:119] neg_lo:[0,1] neg_hi:[0,1]
	scratch_store_b64 off, v[118:119], off offset:400
	s_wait_xcnt 0x0
	v_cmpx_lt_u32_e32 49, v0
	s_cbranch_execz .LBB57_263
; %bb.262:
	scratch_load_b64 v[118:119], off, off offset:392
	v_mov_b64_e32 v[120:121], 0
	scratch_store_b64 off, v[120:121], off offset:392
	s_wait_loadcnt 0x0
	ds_store_b64 v1, v[118:119]
.LBB57_263:
	s_wait_xcnt 0x0
	s_or_b32 exec_lo, exec_lo, s0
	s_wait_storecnt_dscnt 0x0
	s_barrier_signal -1
	s_barrier_wait -1
	s_clause 0x4
	scratch_load_b128 v[118:121], off, off offset:400
	scratch_load_b128 v[122:125], off, off offset:416
	;; [unrolled: 1-line block ×4, first 2 shown]
	scratch_load_b64 v[150:151], off, off offset:392
	ds_load_b128 v[134:137], v7 offset:864
	ds_load_b128 v[138:141], v7 offset:880
	ds_load_b128 v[142:145], v7 offset:896
	ds_load_b128 v[146:149], v7 offset:912
	s_mov_b32 s0, exec_lo
	s_wait_dscnt 0x3
	v_dual_mov_b32 v152, v137 :: v_dual_mov_b32 v153, v136
	s_wait_dscnt 0x2
	v_dual_mov_b32 v154, v141 :: v_dual_mov_b32 v155, v140
	;; [unrolled: 2-line block ×3, first 2 shown]
	v_dual_mov_b32 v157, v144 :: v_dual_mov_b32 v162, v149
	s_wait_loadcnt 0x4
	v_mov_b32_e32 v160, v121
	v_pk_mul_f32 v[158:159], v[134:135], v[118:119] op_sel:[1,1] op_sel_hi:[0,1]
	s_wait_loadcnt 0x3
	v_pk_mul_f32 v[164:165], v[138:139], v[122:123] op_sel:[1,1] op_sel_hi:[0,1]
	s_wait_loadcnt 0x2
	v_pk_mul_f32 v[168:169], v[142:143], v[126:127] op_sel:[1,1] op_sel_hi:[0,1]
	v_pk_mul_f32 v[152:153], v[152:153], v[160:161] op_sel_hi:[1,0]
	v_pk_fma_f32 v[166:167], v[134:135], v[118:119], v[158:159] op_sel_hi:[1,0,1]
	v_pk_fma_f32 v[118:119], v[134:135], v[118:119], v[158:159] neg_lo:[0,0,1] neg_hi:[0,0,1]
	v_mov_b32_e32 v160, v125
	v_pk_fma_f32 v[158:159], v[138:139], v[122:123], v[164:165] op_sel_hi:[1,0,1]
	v_pk_fma_f32 v[134:135], v[136:137], v[120:121], v[152:153] op_sel_hi:[1,0,1]
	v_mov_b32_e32 v119, v167
	v_pk_fma_f32 v[120:121], v[136:137], v[120:121], v[152:153] neg_lo:[0,0,1] neg_hi:[0,0,1]
	v_pk_mul_f32 v[154:155], v[154:155], v[160:161] op_sel_hi:[1,0]
	s_delay_alu instid0(VALU_DEP_4) | instskip(NEXT) | instid1(VALU_DEP_4)
	v_dual_mov_b32 v134, v129 :: v_dual_mov_b32 v121, v135
	v_pk_add_f32 v[118:119], v[118:119], 0 op_sel_hi:[1,0]
	v_pk_fma_f32 v[122:123], v[138:139], v[122:123], v[164:165] neg_lo:[0,0,1] neg_hi:[0,0,1]
	v_mov_b32_e32 v123, v159
	v_pk_fma_f32 v[136:137], v[140:141], v[124:125], v[154:155] op_sel_hi:[1,0,1]
	v_pk_mul_f32 v[134:135], v[156:157], v[134:135] op_sel_hi:[1,0]
	v_pk_add_f32 v[118:119], v[118:119], v[120:121]
	v_pk_fma_f32 v[120:121], v[142:143], v[126:127], v[168:169] op_sel_hi:[1,0,1]
	v_pk_fma_f32 v[124:125], v[140:141], v[124:125], v[154:155] neg_lo:[0,0,1] neg_hi:[0,0,1]
	v_mov_b32_e32 v125, v137
	v_pk_fma_f32 v[126:127], v[142:143], v[126:127], v[168:169] neg_lo:[0,0,1] neg_hi:[0,0,1]
	v_pk_add_f32 v[118:119], v[118:119], v[122:123]
	v_mov_b32_e32 v127, v121
	v_pk_fma_f32 v[120:121], v[144:145], v[128:129], v[134:135] op_sel_hi:[1,0,1]
	s_wait_loadcnt 0x1
	v_pk_mul_f32 v[122:123], v[146:147], v[130:131] op_sel:[1,1] op_sel_hi:[0,1]
	v_mov_b32_e32 v120, v133
	v_pk_add_f32 v[118:119], v[118:119], v[124:125]
	v_pk_fma_f32 v[128:129], v[144:145], v[128:129], v[134:135] neg_lo:[0,0,1] neg_hi:[0,0,1]
	v_mov_b32_e32 v129, v121
	v_pk_fma_f32 v[124:125], v[146:147], v[130:131], v[122:123] op_sel_hi:[1,0,1]
	v_pk_mul_f32 v[120:121], v[162:163], v[120:121] op_sel_hi:[1,0]
	v_pk_add_f32 v[118:119], v[118:119], v[126:127]
	v_pk_fma_f32 v[122:123], v[146:147], v[130:131], v[122:123] neg_lo:[0,0,1] neg_hi:[0,0,1]
	s_delay_alu instid0(VALU_DEP_4) | instskip(NEXT) | instid1(VALU_DEP_4)
	v_mov_b32_e32 v123, v125
	v_pk_fma_f32 v[124:125], v[148:149], v[132:133], v[120:121] op_sel_hi:[1,0,1]
	s_delay_alu instid0(VALU_DEP_4) | instskip(SKIP_1) | instid1(VALU_DEP_3)
	v_pk_add_f32 v[118:119], v[118:119], v[128:129]
	v_pk_fma_f32 v[120:121], v[148:149], v[132:133], v[120:121] neg_lo:[0,0,1] neg_hi:[0,0,1]
	v_mov_b32_e32 v121, v125
	s_delay_alu instid0(VALU_DEP_3) | instskip(NEXT) | instid1(VALU_DEP_1)
	v_pk_add_f32 v[118:119], v[118:119], v[122:123]
	v_pk_add_f32 v[118:119], v[118:119], v[120:121]
	s_wait_loadcnt 0x0
	s_delay_alu instid0(VALU_DEP_1)
	v_pk_add_f32 v[118:119], v[150:151], v[118:119] neg_lo:[0,1] neg_hi:[0,1]
	scratch_store_b64 off, v[118:119], off offset:392
	s_wait_xcnt 0x0
	v_cmpx_lt_u32_e32 48, v0
	s_cbranch_execz .LBB57_265
; %bb.264:
	scratch_load_b64 v[118:119], off, off offset:384
	v_mov_b64_e32 v[120:121], 0
	scratch_store_b64 off, v[120:121], off offset:384
	s_wait_loadcnt 0x0
	ds_store_b64 v1, v[118:119]
.LBB57_265:
	s_wait_xcnt 0x0
	s_or_b32 exec_lo, exec_lo, s0
	s_wait_storecnt_dscnt 0x0
	s_barrier_signal -1
	s_barrier_wait -1
	s_clause 0x5
	scratch_load_b128 v[118:121], off, off offset:392
	scratch_load_b128 v[122:125], off, off offset:408
	scratch_load_b128 v[126:129], off, off offset:424
	scratch_load_b128 v[130:133], off, off offset:440
	scratch_load_b64 v[150:151], off, off offset:456
	scratch_load_b64 v[152:153], off, off offset:384
	v_mov_b32_e32 v7, 0
	ds_load_2addr_b64 v[134:137], v7 offset0:107 offset1:108
	ds_load_2addr_b64 v[138:141], v7 offset0:109 offset1:110
	;; [unrolled: 1-line block ×4, first 2 shown]
	ds_load_b64 v[154:155], v7 offset:920
	s_mov_b32 s0, exec_lo
	s_wait_dscnt 0x4
	v_dual_mov_b32 v156, v137 :: v_dual_mov_b32 v157, v136
	s_wait_dscnt 0x1
	v_dual_mov_b32 v158, v141 :: v_dual_mov_b32 v163, v148
	v_dual_mov_b32 v159, v140 :: v_dual_mov_b32 v160, v145
	;; [unrolled: 1-line block ×3, first 2 shown]
	s_wait_loadcnt 0x5
	v_dual_mov_b32 v164, v121 :: v_dual_mul_f32 v165, v134, v119
	v_mul_f32_e32 v9, v135, v119
	s_wait_loadcnt 0x4
	v_pk_mul_f32 v[166:167], v[138:139], v[122:123] op_sel:[1,1] op_sel_hi:[0,1]
	v_mov_b32_e32 v168, v125
	s_wait_loadcnt 0x3
	v_pk_mul_f32 v[170:171], v[142:143], v[126:127] op_sel:[1,1] op_sel_hi:[0,1]
	v_pk_mul_f32 v[156:157], v[156:157], v[164:165] op_sel_hi:[1,0]
	v_fmac_f32_e32 v165, v135, v118
	v_dual_fma_f32 v164, v134, v118, -v9 :: v_dual_mov_b32 v118, v129
	v_pk_fma_f32 v[172:173], v[138:139], v[122:123], v[166:167] op_sel_hi:[1,0,1]
	s_delay_alu instid0(VALU_DEP_4)
	v_pk_fma_f32 v[134:135], v[136:137], v[120:121], v[156:157] op_sel_hi:[1,0,1]
	v_pk_fma_f32 v[120:121], v[136:137], v[120:121], v[156:157] neg_lo:[0,0,1] neg_hi:[0,0,1]
	v_pk_mul_f32 v[158:159], v[158:159], v[168:169] op_sel_hi:[1,0]
	v_pk_add_f32 v[164:165], v[164:165], 0 op_sel_hi:[1,0]
	v_pk_fma_f32 v[122:123], v[138:139], v[122:123], v[166:167] neg_lo:[0,0,1] neg_hi:[0,0,1]
	v_dual_mov_b32 v121, v135 :: v_dual_mov_b32 v123, v173
	s_delay_alu instid0(VALU_DEP_4) | instskip(SKIP_2) | instid1(VALU_DEP_4)
	v_pk_fma_f32 v[136:137], v[140:141], v[124:125], v[158:159] op_sel_hi:[1,0,1]
	v_pk_fma_f32 v[124:125], v[140:141], v[124:125], v[158:159] neg_lo:[0,0,1] neg_hi:[0,0,1]
	v_pk_fma_f32 v[138:139], v[142:143], v[126:127], v[170:171] op_sel_hi:[1,0,1]
	v_pk_add_f32 v[120:121], v[164:165], v[120:121]
	v_pk_mul_f32 v[118:119], v[160:161], v[118:119] op_sel_hi:[1,0]
	v_mov_b32_e32 v125, v137
	v_pk_fma_f32 v[126:127], v[142:143], v[126:127], v[170:171] neg_lo:[0,0,1] neg_hi:[0,0,1]
	s_wait_loadcnt 0x2
	v_pk_mul_f32 v[134:135], v[146:147], v[130:131] op_sel:[1,1] op_sel_hi:[0,1]
	v_pk_add_f32 v[120:121], v[120:121], v[122:123]
	v_mov_b32_e32 v122, v133
	v_pk_fma_f32 v[136:137], v[144:145], v[128:129], v[118:119] op_sel_hi:[1,0,1]
	v_mov_b32_e32 v127, v139
	v_pk_fma_f32 v[118:119], v[144:145], v[128:129], v[118:119] neg_lo:[0,0,1] neg_hi:[0,0,1]
	v_pk_add_f32 v[120:121], v[120:121], v[124:125]
	v_pk_fma_f32 v[124:125], v[146:147], v[130:131], v[134:135] op_sel_hi:[1,0,1]
	v_pk_mul_f32 v[122:123], v[162:163], v[122:123] op_sel_hi:[1,0]
	v_mov_b32_e32 v119, v137
	s_delay_alu instid0(VALU_DEP_4)
	v_pk_add_f32 v[120:121], v[120:121], v[126:127]
	v_pk_fma_f32 v[126:127], v[146:147], v[130:131], v[134:135] neg_lo:[0,0,1] neg_hi:[0,0,1]
	v_mov_b32_e32 v127, v125
	v_pk_fma_f32 v[124:125], v[148:149], v[132:133], v[122:123] op_sel_hi:[1,0,1]
	v_pk_fma_f32 v[122:123], v[148:149], v[132:133], v[122:123] neg_lo:[0,0,1] neg_hi:[0,0,1]
	v_pk_add_f32 v[118:119], v[120:121], v[118:119]
	s_wait_loadcnt_dscnt 0x100
	v_pk_mul_f32 v[120:121], v[154:155], v[150:151] op_sel:[1,1] op_sel_hi:[0,1]
	v_mov_b32_e32 v123, v125
	s_delay_alu instid0(VALU_DEP_3) | instskip(NEXT) | instid1(VALU_DEP_3)
	v_pk_add_f32 v[118:119], v[118:119], v[126:127]
	v_pk_fma_f32 v[124:125], v[154:155], v[150:151], v[120:121] op_sel_hi:[1,0,1]
	v_pk_fma_f32 v[120:121], v[154:155], v[150:151], v[120:121] neg_lo:[0,0,1] neg_hi:[0,0,1]
	s_delay_alu instid0(VALU_DEP_3) | instskip(NEXT) | instid1(VALU_DEP_3)
	v_pk_add_f32 v[118:119], v[118:119], v[122:123]
	v_mov_b32_e32 v121, v125
	s_delay_alu instid0(VALU_DEP_1) | instskip(SKIP_1) | instid1(VALU_DEP_1)
	v_pk_add_f32 v[118:119], v[118:119], v[120:121]
	s_wait_loadcnt 0x0
	v_pk_add_f32 v[118:119], v[152:153], v[118:119] neg_lo:[0,1] neg_hi:[0,1]
	scratch_store_b64 off, v[118:119], off offset:384
	s_wait_xcnt 0x0
	v_cmpx_lt_u32_e32 47, v0
	s_cbranch_execz .LBB57_267
; %bb.266:
	scratch_load_b64 v[118:119], off, off offset:376
	v_mov_b64_e32 v[120:121], 0
	scratch_store_b64 off, v[120:121], off offset:376
	s_wait_loadcnt 0x0
	ds_store_b64 v1, v[118:119]
.LBB57_267:
	s_wait_xcnt 0x0
	s_or_b32 exec_lo, exec_lo, s0
	s_wait_storecnt_dscnt 0x0
	s_barrier_signal -1
	s_barrier_wait -1
	s_clause 0x5
	scratch_load_b128 v[118:121], off, off offset:384
	scratch_load_b128 v[122:125], off, off offset:400
	;; [unrolled: 1-line block ×5, first 2 shown]
	scratch_load_b64 v[158:159], off, off offset:376
	ds_load_b128 v[138:141], v7 offset:864
	ds_load_b128 v[142:145], v7 offset:880
	;; [unrolled: 1-line block ×5, first 2 shown]
	s_mov_b32 s0, exec_lo
	s_wait_dscnt 0x4
	v_dual_mov_b32 v160, v141 :: v_dual_mov_b32 v161, v140
	s_wait_dscnt 0x3
	v_dual_mov_b32 v162, v145 :: v_dual_mov_b32 v163, v144
	;; [unrolled: 2-line block ×4, first 2 shown]
	s_wait_loadcnt_dscnt 0x500
	v_dual_mul_f32 v169, v154, v119 :: v_dual_mul_f32 v171, v156, v121
	v_dual_mul_f32 v7, v155, v119 :: v_dual_mul_f32 v9, v157, v121
	s_wait_loadcnt 0x4
	v_pk_mul_f32 v[172:173], v[138:139], v[122:123] op_sel:[1,1] op_sel_hi:[0,1]
	s_wait_loadcnt 0x3
	v_dual_mov_b32 v174, v125 :: v_dual_mov_b32 v178, v129
	v_dual_fmac_f32 v169, v155, v118 :: v_dual_fma_f32 v168, v154, v118, -v7
	v_dual_fmac_f32 v171, v157, v120 :: v_dual_fma_f32 v170, v156, v120, -v9
	v_pk_fma_f32 v[118:119], v[138:139], v[122:123], v[172:173] op_sel_hi:[1,0,1]
	s_delay_alu instid0(VALU_DEP_4) | instskip(NEXT) | instid1(VALU_DEP_4)
	v_pk_mul_f32 v[120:121], v[160:161], v[174:175] op_sel_hi:[1,0]
	v_pk_add_f32 v[154:155], v[168:169], 0 op_sel_hi:[1,0]
	v_pk_fma_f32 v[122:123], v[138:139], v[122:123], v[172:173] neg_lo:[0,0,1] neg_hi:[0,0,1]
	v_pk_mul_f32 v[176:177], v[142:143], v[126:127] op_sel:[1,1] op_sel_hi:[0,1]
	v_mov_b32_e32 v123, v119
	v_pk_fma_f32 v[118:119], v[140:141], v[124:125], v[120:121] op_sel_hi:[1,0,1]
	v_pk_add_f32 v[138:139], v[154:155], v[170:171]
	v_pk_fma_f32 v[120:121], v[140:141], v[124:125], v[120:121] neg_lo:[0,0,1] neg_hi:[0,0,1]
	v_pk_fma_f32 v[154:155], v[142:143], v[126:127], v[176:177] op_sel_hi:[1,0,1]
	v_pk_mul_f32 v[160:161], v[162:163], v[178:179] op_sel_hi:[1,0]
	v_mov_b32_e32 v121, v119
	v_pk_add_f32 v[118:119], v[138:139], v[122:123]
	s_wait_loadcnt 0x2
	v_pk_mul_f32 v[156:157], v[146:147], v[130:131] op_sel:[1,1] op_sel_hi:[0,1]
	v_mov_b32_e32 v122, v133
	v_pk_fma_f32 v[124:125], v[142:143], v[126:127], v[176:177] neg_lo:[0,0,1] neg_hi:[0,0,1]
	v_mov_b32_e32 v125, v155
	v_pk_fma_f32 v[126:127], v[144:145], v[128:129], v[160:161] op_sel_hi:[1,0,1]
	v_pk_add_f32 v[118:119], v[118:119], v[120:121]
	v_pk_fma_f32 v[120:121], v[146:147], v[130:131], v[156:157] op_sel_hi:[1,0,1]
	v_pk_mul_f32 v[122:123], v[164:165], v[122:123] op_sel_hi:[1,0]
	v_pk_fma_f32 v[128:129], v[144:145], v[128:129], v[160:161] neg_lo:[0,0,1] neg_hi:[0,0,1]
	v_mov_b32_e32 v129, v127
	v_pk_add_f32 v[118:119], v[118:119], v[124:125]
	v_pk_fma_f32 v[126:127], v[146:147], v[130:131], v[156:157] neg_lo:[0,0,1] neg_hi:[0,0,1]
	v_mov_b32_e32 v127, v121
	v_pk_fma_f32 v[120:121], v[148:149], v[132:133], v[122:123] op_sel_hi:[1,0,1]
	s_wait_loadcnt 0x1
	v_pk_mul_f32 v[124:125], v[150:151], v[134:135] op_sel:[1,1] op_sel_hi:[0,1]
	v_pk_add_f32 v[118:119], v[118:119], v[128:129]
	v_mov_b32_e32 v120, v137
	v_pk_fma_f32 v[122:123], v[148:149], v[132:133], v[122:123] neg_lo:[0,0,1] neg_hi:[0,0,1]
	v_mov_b32_e32 v123, v121
	v_pk_fma_f32 v[128:129], v[150:151], v[134:135], v[124:125] op_sel_hi:[1,0,1]
	v_pk_add_f32 v[118:119], v[118:119], v[126:127]
	v_pk_mul_f32 v[120:121], v[166:167], v[120:121] op_sel_hi:[1,0]
	v_pk_fma_f32 v[124:125], v[150:151], v[134:135], v[124:125] neg_lo:[0,0,1] neg_hi:[0,0,1]
	s_delay_alu instid0(VALU_DEP_3) | instskip(NEXT) | instid1(VALU_DEP_3)
	v_pk_add_f32 v[118:119], v[118:119], v[122:123]
	v_pk_fma_f32 v[122:123], v[152:153], v[136:137], v[120:121] op_sel_hi:[1,0,1]
	v_mov_b32_e32 v125, v129
	v_pk_fma_f32 v[120:121], v[152:153], v[136:137], v[120:121] neg_lo:[0,0,1] neg_hi:[0,0,1]
	s_delay_alu instid0(VALU_DEP_3) | instskip(NEXT) | instid1(VALU_DEP_3)
	v_mov_b32_e32 v121, v123
	v_pk_add_f32 v[118:119], v[118:119], v[124:125]
	s_delay_alu instid0(VALU_DEP_1) | instskip(SKIP_1) | instid1(VALU_DEP_1)
	v_pk_add_f32 v[118:119], v[118:119], v[120:121]
	s_wait_loadcnt 0x0
	v_pk_add_f32 v[118:119], v[158:159], v[118:119] neg_lo:[0,1] neg_hi:[0,1]
	scratch_store_b64 off, v[118:119], off offset:376
	s_wait_xcnt 0x0
	v_cmpx_lt_u32_e32 46, v0
	s_cbranch_execz .LBB57_269
; %bb.268:
	scratch_load_b64 v[118:119], off, off offset:368
	v_mov_b64_e32 v[120:121], 0
	scratch_store_b64 off, v[120:121], off offset:368
	s_wait_loadcnt 0x0
	ds_store_b64 v1, v[118:119]
.LBB57_269:
	s_wait_xcnt 0x0
	s_or_b32 exec_lo, exec_lo, s0
	s_wait_storecnt_dscnt 0x0
	s_barrier_signal -1
	s_barrier_wait -1
	s_clause 0x6
	scratch_load_b128 v[118:121], off, off offset:376
	scratch_load_b128 v[122:125], off, off offset:392
	;; [unrolled: 1-line block ×5, first 2 shown]
	scratch_load_b64 v[158:159], off, off offset:456
	scratch_load_b64 v[160:161], off, off offset:368
	v_mov_b32_e32 v7, 0
	ds_load_2addr_b64 v[138:141], v7 offset0:107 offset1:108
	ds_load_2addr_b64 v[142:145], v7 offset0:109 offset1:110
	;; [unrolled: 1-line block ×5, first 2 shown]
	ds_load_b64 v[162:163], v7 offset:920
	s_mov_b32 s0, exec_lo
	s_wait_dscnt 0x5
	v_dual_mov_b32 v164, v141 :: v_dual_mov_b32 v165, v140
	s_wait_dscnt 0x2
	v_dual_mov_b32 v166, v145 :: v_dual_mov_b32 v171, v152
	v_dual_mov_b32 v167, v144 :: v_dual_mov_b32 v168, v149
	;; [unrolled: 1-line block ×3, first 2 shown]
	s_wait_loadcnt_dscnt 0x601
	v_dual_mul_f32 v9, v154, v119 :: v_dual_mul_f32 v11, v155, v119
	v_dual_mul_f32 v13, v157, v121 :: v_dual_mul_f32 v173, v156, v121
	s_wait_loadcnt 0x5
	v_dual_mul_f32 v175, v138, v123 :: v_dual_mul_f32 v15, v139, v123
	s_wait_loadcnt 0x4
	v_dual_mov_b32 v174, v125 :: v_dual_mov_b32 v178, v129
	v_dual_fmac_f32 v9, v155, v118 :: v_dual_fma_f32 v11, v154, v118, -v11
	v_fmac_f32_e32 v173, v157, v120
	v_pk_mul_f32 v[176:177], v[142:143], v[126:127] op_sel:[1,1] op_sel_hi:[0,1]
	s_delay_alu instid0(VALU_DEP_3)
	v_dual_fma_f32 v172, v156, v120, -v13 :: v_dual_add_f32 v121, 0, v9
	v_pk_mul_f32 v[118:119], v[164:165], v[174:175] op_sel_hi:[1,0]
	s_wait_loadcnt 0x3
	v_dual_add_f32 v120, 0, v11 :: v_dual_mov_b32 v154, v133
	v_fmac_f32_e32 v175, v139, v122
	v_fma_f32 v174, v138, v122, -v15
	v_pk_fma_f32 v[122:123], v[140:141], v[124:125], v[118:119] op_sel_hi:[1,0,1]
	s_delay_alu instid0(VALU_DEP_4) | instskip(SKIP_4) | instid1(VALU_DEP_4)
	v_pk_add_f32 v[120:121], v[120:121], v[172:173]
	v_pk_fma_f32 v[138:139], v[142:143], v[126:127], v[176:177] op_sel_hi:[1,0,1]
	v_pk_fma_f32 v[118:119], v[140:141], v[124:125], v[118:119] neg_lo:[0,0,1] neg_hi:[0,0,1]
	v_pk_fma_f32 v[124:125], v[142:143], v[126:127], v[176:177] neg_lo:[0,0,1] neg_hi:[0,0,1]
	v_pk_mul_f32 v[156:157], v[166:167], v[178:179] op_sel_hi:[1,0]
	v_dual_mov_b32 v119, v123 :: v_dual_mov_b32 v125, v139
	v_pk_add_f32 v[120:121], v[120:121], v[174:175]
	v_pk_mul_f32 v[180:181], v[146:147], v[130:131] op_sel:[1,1] op_sel_hi:[0,1]
	s_delay_alu instid0(VALU_DEP_4)
	v_pk_fma_f32 v[126:127], v[144:145], v[128:129], v[156:157] op_sel_hi:[1,0,1]
	v_pk_fma_f32 v[128:129], v[144:145], v[128:129], v[156:157] neg_lo:[0,0,1] neg_hi:[0,0,1]
	v_pk_mul_f32 v[138:139], v[168:169], v[154:155] op_sel_hi:[1,0]
	v_pk_add_f32 v[118:119], v[120:121], v[118:119]
	v_pk_fma_f32 v[120:121], v[146:147], v[130:131], v[180:181] op_sel_hi:[1,0,1]
	s_wait_loadcnt 0x2
	v_dual_mov_b32 v129, v127 :: v_dual_mov_b32 v120, v137
	v_pk_mul_f32 v[122:123], v[150:151], v[134:135] op_sel:[1,1] op_sel_hi:[0,1]
	v_pk_add_f32 v[118:119], v[118:119], v[124:125]
	v_pk_fma_f32 v[124:125], v[146:147], v[130:131], v[180:181] neg_lo:[0,0,1] neg_hi:[0,0,1]
	v_pk_fma_f32 v[126:127], v[148:149], v[132:133], v[138:139] op_sel_hi:[1,0,1]
	v_mov_b32_e32 v125, v121
	v_pk_fma_f32 v[130:131], v[148:149], v[132:133], v[138:139] neg_lo:[0,0,1] neg_hi:[0,0,1]
	v_pk_add_f32 v[118:119], v[118:119], v[128:129]
	v_pk_fma_f32 v[128:129], v[150:151], v[134:135], v[122:123] op_sel_hi:[1,0,1]
	v_pk_mul_f32 v[120:121], v[170:171], v[120:121] op_sel_hi:[1,0]
	v_mov_b32_e32 v131, v127
	v_pk_fma_f32 v[122:123], v[150:151], v[134:135], v[122:123] neg_lo:[0,0,1] neg_hi:[0,0,1]
	v_pk_add_f32 v[118:119], v[118:119], v[124:125]
	s_wait_loadcnt_dscnt 0x100
	v_pk_mul_f32 v[126:127], v[162:163], v[158:159] op_sel:[1,1] op_sel_hi:[0,1]
	v_pk_fma_f32 v[124:125], v[152:153], v[136:137], v[120:121] op_sel_hi:[1,0,1]
	v_mov_b32_e32 v123, v129
	v_pk_fma_f32 v[120:121], v[152:153], v[136:137], v[120:121] neg_lo:[0,0,1] neg_hi:[0,0,1]
	v_pk_add_f32 v[118:119], v[118:119], v[130:131]
	s_delay_alu instid0(VALU_DEP_4) | instskip(SKIP_1) | instid1(VALU_DEP_3)
	v_mov_b32_e32 v121, v125
	v_pk_fma_f32 v[124:125], v[162:163], v[158:159], v[126:127] neg_lo:[0,0,1] neg_hi:[0,0,1]
	v_pk_add_f32 v[118:119], v[118:119], v[122:123]
	v_pk_fma_f32 v[122:123], v[162:163], v[158:159], v[126:127] op_sel_hi:[1,0,1]
	s_delay_alu instid0(VALU_DEP_2) | instskip(NEXT) | instid1(VALU_DEP_2)
	v_pk_add_f32 v[118:119], v[118:119], v[120:121]
	v_mov_b32_e32 v125, v123
	s_delay_alu instid0(VALU_DEP_1) | instskip(SKIP_1) | instid1(VALU_DEP_1)
	v_pk_add_f32 v[118:119], v[118:119], v[124:125]
	s_wait_loadcnt 0x0
	v_pk_add_f32 v[118:119], v[160:161], v[118:119] neg_lo:[0,1] neg_hi:[0,1]
	scratch_store_b64 off, v[118:119], off offset:368
	s_wait_xcnt 0x0
	v_cmpx_lt_u32_e32 45, v0
	s_cbranch_execz .LBB57_271
; %bb.270:
	scratch_load_b64 v[118:119], off, off offset:360
	v_mov_b64_e32 v[120:121], 0
	scratch_store_b64 off, v[120:121], off offset:360
	s_wait_loadcnt 0x0
	ds_store_b64 v1, v[118:119]
.LBB57_271:
	s_wait_xcnt 0x0
	s_or_b32 exec_lo, exec_lo, s0
	s_wait_storecnt_dscnt 0x0
	s_barrier_signal -1
	s_barrier_wait -1
	s_clause 0x6
	scratch_load_b128 v[118:121], off, off offset:368
	scratch_load_b128 v[122:125], off, off offset:384
	;; [unrolled: 1-line block ×6, first 2 shown]
	scratch_load_b64 v[166:167], off, off offset:360
	ds_load_b128 v[142:145], v7 offset:864
	ds_load_b128 v[146:149], v7 offset:880
	;; [unrolled: 1-line block ×6, first 2 shown]
	s_mov_b32 s0, exec_lo
	s_wait_dscnt 0x5
	v_dual_mov_b32 v168, v145 :: v_dual_mov_b32 v169, v144
	s_wait_dscnt 0x4
	v_dual_mov_b32 v170, v149 :: v_dual_mov_b32 v171, v148
	s_wait_dscnt 0x3
	v_dual_mov_b32 v172, v153 :: v_dual_mov_b32 v173, v152
	s_wait_dscnt 0x2
	v_dual_mov_b32 v174, v157 :: v_dual_mov_b32 v175, v156
	s_wait_loadcnt_dscnt 0x601
	v_dual_mul_f32 v7, v158, v119 :: v_dual_mul_f32 v9, v160, v121
	v_dual_mul_f32 v11, v159, v119 :: v_dual_mul_f32 v13, v161, v121
	s_wait_loadcnt 0x4
	s_delay_alu instid0(VALU_DEP_2)
	v_dual_mov_b32 v182, v129 :: v_dual_fmac_f32 v7, v159, v118
	s_wait_dscnt 0x0
	v_dual_mul_f32 v177, v162, v123 :: v_dual_mul_f32 v179, v164, v125
	v_dual_fma_f32 v11, v158, v118, -v11 :: v_dual_fmac_f32 v9, v161, v120
	v_dual_mul_f32 v15, v163, v123 :: v_dual_mul_f32 v17, v165, v125
	v_dual_fma_f32 v13, v160, v120, -v13 :: v_dual_add_f32 v7, 0, v7
	s_wait_loadcnt 0x3
	s_delay_alu instid0(VALU_DEP_3) | instskip(SKIP_3) | instid1(VALU_DEP_4)
	v_dual_add_f32 v11, 0, v11 :: v_dual_mov_b32 v120, v133
	v_pk_mul_f32 v[180:181], v[142:143], v[126:127] op_sel:[1,1] op_sel_hi:[0,1]
	v_dual_fmac_f32 v177, v163, v122 :: v_dual_fma_f32 v176, v162, v122, -v15
	v_dual_add_f32 v123, v7, v9 :: v_dual_fmac_f32 v179, v165, v124
	v_dual_add_f32 v122, v11, v13 :: v_dual_fma_f32 v178, v164, v124, -v17
	s_delay_alu instid0(VALU_DEP_4) | instskip(SKIP_2) | instid1(VALU_DEP_4)
	v_pk_fma_f32 v[124:125], v[142:143], v[126:127], v[180:181] op_sel_hi:[1,0,1]
	v_pk_mul_f32 v[158:159], v[168:169], v[182:183] op_sel_hi:[1,0]
	v_pk_fma_f32 v[126:127], v[142:143], v[126:127], v[180:181] neg_lo:[0,0,1] neg_hi:[0,0,1]
	v_pk_add_f32 v[122:123], v[122:123], v[176:177]
	v_pk_mul_f32 v[118:119], v[146:147], v[130:131] op_sel:[1,1] op_sel_hi:[0,1]
	v_mov_b32_e32 v127, v125
	v_pk_fma_f32 v[124:125], v[144:145], v[128:129], v[158:159] op_sel_hi:[1,0,1]
	v_pk_fma_f32 v[128:129], v[144:145], v[128:129], v[158:159] neg_lo:[0,0,1] neg_hi:[0,0,1]
	v_pk_add_f32 v[122:123], v[122:123], v[178:179]
	v_pk_fma_f32 v[142:143], v[146:147], v[130:131], v[118:119] op_sel_hi:[1,0,1]
	v_pk_mul_f32 v[120:121], v[170:171], v[120:121] op_sel_hi:[1,0]
	v_mov_b32_e32 v129, v125
	v_pk_fma_f32 v[118:119], v[146:147], v[130:131], v[118:119] neg_lo:[0,0,1] neg_hi:[0,0,1]
	v_pk_add_f32 v[122:123], v[122:123], v[126:127]
	s_wait_loadcnt 0x2
	v_pk_mul_f32 v[160:161], v[150:151], v[134:135] op_sel:[1,1] op_sel_hi:[0,1]
	v_dual_mov_b32 v124, v137 :: v_dual_mov_b32 v119, v143
	v_pk_fma_f32 v[126:127], v[148:149], v[132:133], v[120:121] op_sel_hi:[1,0,1]
	v_pk_add_f32 v[122:123], v[122:123], v[128:129]
	v_pk_fma_f32 v[120:121], v[148:149], v[132:133], v[120:121] neg_lo:[0,0,1] neg_hi:[0,0,1]
	v_pk_fma_f32 v[128:129], v[150:151], v[134:135], v[160:161] op_sel_hi:[1,0,1]
	v_pk_mul_f32 v[124:125], v[172:173], v[124:125] op_sel_hi:[1,0]
	v_mov_b32_e32 v121, v127
	v_pk_add_f32 v[118:119], v[122:123], v[118:119]
	v_pk_fma_f32 v[126:127], v[150:151], v[134:135], v[160:161] neg_lo:[0,0,1] neg_hi:[0,0,1]
	s_wait_loadcnt 0x1
	v_pk_mul_f32 v[122:123], v[154:155], v[138:139] op_sel:[1,1] op_sel_hi:[0,1]
	v_mov_b32_e32 v127, v129
	v_pk_fma_f32 v[128:129], v[152:153], v[136:137], v[124:125] op_sel_hi:[1,0,1]
	v_pk_add_f32 v[118:119], v[118:119], v[120:121]
	v_mov_b32_e32 v120, v141
	v_pk_fma_f32 v[124:125], v[152:153], v[136:137], v[124:125] neg_lo:[0,0,1] neg_hi:[0,0,1]
	v_pk_fma_f32 v[130:131], v[154:155], v[138:139], v[122:123] op_sel_hi:[1,0,1]
	v_mov_b32_e32 v125, v129
	v_pk_add_f32 v[118:119], v[118:119], v[126:127]
	v_pk_mul_f32 v[120:121], v[174:175], v[120:121] op_sel_hi:[1,0]
	v_pk_fma_f32 v[122:123], v[154:155], v[138:139], v[122:123] neg_lo:[0,0,1] neg_hi:[0,0,1]
	s_delay_alu instid0(VALU_DEP_3) | instskip(NEXT) | instid1(VALU_DEP_3)
	v_pk_add_f32 v[118:119], v[118:119], v[124:125]
	v_pk_fma_f32 v[124:125], v[156:157], v[140:141], v[120:121] op_sel_hi:[1,0,1]
	v_mov_b32_e32 v123, v131
	v_pk_fma_f32 v[120:121], v[156:157], v[140:141], v[120:121] neg_lo:[0,0,1] neg_hi:[0,0,1]
	s_delay_alu instid0(VALU_DEP_3) | instskip(NEXT) | instid1(VALU_DEP_3)
	v_mov_b32_e32 v121, v125
	v_pk_add_f32 v[118:119], v[118:119], v[122:123]
	s_delay_alu instid0(VALU_DEP_1) | instskip(SKIP_1) | instid1(VALU_DEP_1)
	v_pk_add_f32 v[118:119], v[118:119], v[120:121]
	s_wait_loadcnt 0x0
	v_pk_add_f32 v[118:119], v[166:167], v[118:119] neg_lo:[0,1] neg_hi:[0,1]
	scratch_store_b64 off, v[118:119], off offset:360
	s_wait_xcnt 0x0
	v_cmpx_lt_u32_e32 44, v0
	s_cbranch_execz .LBB57_273
; %bb.272:
	scratch_load_b64 v[118:119], off, off offset:352
	v_mov_b64_e32 v[120:121], 0
	scratch_store_b64 off, v[120:121], off offset:352
	s_wait_loadcnt 0x0
	ds_store_b64 v1, v[118:119]
.LBB57_273:
	s_wait_xcnt 0x0
	s_or_b32 exec_lo, exec_lo, s0
	s_wait_storecnt_dscnt 0x0
	s_barrier_signal -1
	s_barrier_wait -1
	s_clause 0x7
	scratch_load_b128 v[118:121], off, off offset:360
	scratch_load_b128 v[122:125], off, off offset:376
	;; [unrolled: 1-line block ×6, first 2 shown]
	scratch_load_b64 v[166:167], off, off offset:456
	scratch_load_b64 v[168:169], off, off offset:352
	v_mov_b32_e32 v7, 0
	ds_load_2addr_b64 v[142:145], v7 offset0:107 offset1:108
	ds_load_2addr_b64 v[146:149], v7 offset0:109 offset1:110
	;; [unrolled: 1-line block ×6, first 2 shown]
	ds_load_b64 v[170:171], v7 offset:920
	s_mov_b32 s0, exec_lo
	s_wait_dscnt 0x6
	v_dual_mov_b32 v172, v145 :: v_dual_mov_b32 v173, v144
	s_wait_dscnt 0x3
	v_dual_mov_b32 v174, v149 :: v_dual_mov_b32 v179, v156
	v_dual_mov_b32 v175, v148 :: v_dual_mov_b32 v176, v153
	;; [unrolled: 1-line block ×3, first 2 shown]
	s_wait_loadcnt_dscnt 0x702
	v_dual_mul_f32 v9, v158, v119 :: v_dual_mul_f32 v15, v159, v119
	v_dual_mul_f32 v17, v161, v121 :: v_dual_mul_f32 v11, v160, v121
	s_wait_loadcnt_dscnt 0x601
	s_delay_alu instid0(VALU_DEP_2) | instskip(NEXT) | instid1(VALU_DEP_3)
	v_dual_mul_f32 v13, v162, v123 :: v_dual_fmac_f32 v9, v159, v118
	v_dual_fma_f32 v15, v158, v118, -v15 :: v_dual_mul_f32 v19, v163, v123
	v_mul_f32_e32 v21, v165, v125
	s_wait_loadcnt 0x4
	v_dual_mov_b32 v118, v133 :: v_dual_fma_f32 v17, v160, v120, -v17
	v_dual_fmac_f32 v11, v161, v120 :: v_dual_add_f32 v9, 0, v9
	v_dual_add_f32 v15, 0, v15 :: v_dual_fmac_f32 v13, v163, v122
	v_dual_mul_f32 v181, v164, v125 :: v_dual_mul_f32 v183, v142, v127
	v_dual_mul_f32 v23, v143, v127 :: v_dual_mov_b32 v182, v129
	s_delay_alu instid0(VALU_DEP_4) | instskip(NEXT) | instid1(VALU_DEP_3)
	v_dual_fma_f32 v19, v162, v122, -v19 :: v_dual_add_f32 v9, v9, v11
	v_dual_add_f32 v11, v15, v17 :: v_dual_fmac_f32 v181, v165, v124
	v_pk_mul_f32 v[184:185], v[146:147], v[130:131] op_sel:[1,1] op_sel_hi:[0,1]
	s_delay_alu instid0(VALU_DEP_3)
	v_dual_fma_f32 v180, v164, v124, -v21 :: v_dual_add_f32 v125, v9, v13
	v_pk_mul_f32 v[122:123], v[172:173], v[182:183] op_sel_hi:[1,0]
	s_wait_loadcnt 0x3
	v_dual_add_f32 v124, v11, v19 :: v_dual_mov_b32 v158, v137
	v_fmac_f32_e32 v183, v143, v126
	v_fma_f32 v182, v142, v126, -v23
	v_pk_fma_f32 v[126:127], v[144:145], v[128:129], v[122:123] op_sel_hi:[1,0,1]
	s_delay_alu instid0(VALU_DEP_4) | instskip(SKIP_4) | instid1(VALU_DEP_4)
	v_pk_add_f32 v[124:125], v[124:125], v[180:181]
	v_pk_fma_f32 v[142:143], v[146:147], v[130:131], v[184:185] op_sel_hi:[1,0,1]
	v_pk_fma_f32 v[122:123], v[144:145], v[128:129], v[122:123] neg_lo:[0,0,1] neg_hi:[0,0,1]
	v_pk_fma_f32 v[128:129], v[146:147], v[130:131], v[184:185] neg_lo:[0,0,1] neg_hi:[0,0,1]
	v_pk_mul_f32 v[118:119], v[174:175], v[118:119] op_sel_hi:[1,0]
	v_dual_mov_b32 v123, v127 :: v_dual_mov_b32 v129, v143
	v_pk_add_f32 v[124:125], v[124:125], v[182:183]
	v_pk_mul_f32 v[120:121], v[150:151], v[134:135] op_sel:[1,1] op_sel_hi:[0,1]
	s_delay_alu instid0(VALU_DEP_4)
	v_pk_fma_f32 v[130:131], v[148:149], v[132:133], v[118:119] op_sel_hi:[1,0,1]
	v_pk_fma_f32 v[118:119], v[148:149], v[132:133], v[118:119] neg_lo:[0,0,1] neg_hi:[0,0,1]
	v_pk_mul_f32 v[142:143], v[176:177], v[158:159] op_sel_hi:[1,0]
	v_pk_add_f32 v[122:123], v[124:125], v[122:123]
	v_pk_fma_f32 v[124:125], v[150:151], v[134:135], v[120:121] op_sel_hi:[1,0,1]
	s_wait_loadcnt 0x2
	v_dual_mov_b32 v119, v131 :: v_dual_mov_b32 v124, v141
	v_pk_fma_f32 v[120:121], v[150:151], v[134:135], v[120:121] neg_lo:[0,0,1] neg_hi:[0,0,1]
	v_pk_add_f32 v[122:123], v[122:123], v[128:129]
	v_pk_mul_f32 v[126:127], v[154:155], v[138:139] op_sel:[1,1] op_sel_hi:[0,1]
	v_pk_fma_f32 v[128:129], v[152:153], v[136:137], v[142:143] op_sel_hi:[1,0,1]
	v_mov_b32_e32 v121, v125
	v_pk_fma_f32 v[130:131], v[152:153], v[136:137], v[142:143] neg_lo:[0,0,1] neg_hi:[0,0,1]
	v_pk_add_f32 v[118:119], v[122:123], v[118:119]
	v_pk_fma_f32 v[122:123], v[154:155], v[138:139], v[126:127] op_sel_hi:[1,0,1]
	v_pk_mul_f32 v[124:125], v[178:179], v[124:125] op_sel_hi:[1,0]
	v_mov_b32_e32 v131, v129
	s_delay_alu instid0(VALU_DEP_4)
	v_pk_add_f32 v[118:119], v[118:119], v[120:121]
	v_pk_fma_f32 v[120:121], v[154:155], v[138:139], v[126:127] neg_lo:[0,0,1] neg_hi:[0,0,1]
	v_mov_b32_e32 v121, v123
	v_pk_fma_f32 v[122:123], v[156:157], v[140:141], v[124:125] op_sel_hi:[1,0,1]
	s_wait_loadcnt_dscnt 0x100
	v_pk_mul_f32 v[126:127], v[170:171], v[166:167] op_sel:[1,1] op_sel_hi:[0,1]
	v_pk_add_f32 v[118:119], v[118:119], v[130:131]
	v_pk_fma_f32 v[124:125], v[156:157], v[140:141], v[124:125] neg_lo:[0,0,1] neg_hi:[0,0,1]
	v_mov_b32_e32 v125, v123
	s_delay_alu instid0(VALU_DEP_4) | instskip(NEXT) | instid1(VALU_DEP_4)
	v_pk_fma_f32 v[122:123], v[170:171], v[166:167], v[126:127] neg_lo:[0,0,1] neg_hi:[0,0,1]
	v_pk_add_f32 v[118:119], v[118:119], v[120:121]
	v_pk_fma_f32 v[120:121], v[170:171], v[166:167], v[126:127] op_sel_hi:[1,0,1]
	s_delay_alu instid0(VALU_DEP_2) | instskip(NEXT) | instid1(VALU_DEP_2)
	v_pk_add_f32 v[118:119], v[118:119], v[124:125]
	v_mov_b32_e32 v123, v121
	s_delay_alu instid0(VALU_DEP_1) | instskip(SKIP_1) | instid1(VALU_DEP_1)
	v_pk_add_f32 v[118:119], v[118:119], v[122:123]
	s_wait_loadcnt 0x0
	v_pk_add_f32 v[118:119], v[168:169], v[118:119] neg_lo:[0,1] neg_hi:[0,1]
	scratch_store_b64 off, v[118:119], off offset:352
	s_wait_xcnt 0x0
	v_cmpx_lt_u32_e32 43, v0
	s_cbranch_execz .LBB57_275
; %bb.274:
	scratch_load_b64 v[118:119], off, off offset:344
	v_mov_b64_e32 v[120:121], 0
	scratch_store_b64 off, v[120:121], off offset:344
	s_wait_loadcnt 0x0
	ds_store_b64 v1, v[118:119]
.LBB57_275:
	s_wait_xcnt 0x0
	s_or_b32 exec_lo, exec_lo, s0
	s_wait_storecnt_dscnt 0x0
	s_barrier_signal -1
	s_barrier_wait -1
	s_clause 0x7
	scratch_load_b128 v[118:121], off, off offset:352
	scratch_load_b128 v[122:125], off, off offset:368
	;; [unrolled: 1-line block ×7, first 2 shown]
	scratch_load_b64 v[174:175], off, off offset:344
	ds_load_b128 v[146:149], v7 offset:864
	ds_load_b128 v[150:153], v7 offset:880
	;; [unrolled: 1-line block ×7, first 2 shown]
	s_mov_b32 s0, exec_lo
	s_wait_dscnt 0x6
	v_dual_mov_b32 v176, v149 :: v_dual_mov_b32 v177, v148
	s_wait_dscnt 0x5
	v_dual_mov_b32 v178, v153 :: v_dual_mov_b32 v179, v152
	;; [unrolled: 2-line block ×4, first 2 shown]
	s_wait_loadcnt_dscnt 0x702
	v_dual_mul_f32 v7, v162, v119 :: v_dual_mul_f32 v9, v164, v121
	v_dual_mul_f32 v15, v163, v119 :: v_dual_mul_f32 v17, v165, v121
	s_wait_loadcnt_dscnt 0x601
	v_dual_mul_f32 v11, v166, v123 :: v_dual_mul_f32 v13, v168, v125
	s_delay_alu instid0(VALU_DEP_3) | instskip(NEXT) | instid1(VALU_DEP_3)
	v_dual_fmac_f32 v7, v163, v118 :: v_dual_fmac_f32 v9, v165, v120
	v_dual_fma_f32 v15, v162, v118, -v15 :: v_dual_fma_f32 v17, v164, v120, -v17
	v_dual_mul_f32 v19, v167, v123 :: v_dual_mul_f32 v21, v169, v125
	s_wait_loadcnt 0x4
	s_delay_alu instid0(VALU_DEP_3) | instskip(NEXT) | instid1(VALU_DEP_3)
	v_dual_add_f32 v7, 0, v7 :: v_dual_mov_b32 v120, v133
	v_dual_add_f32 v15, 0, v15 :: v_dual_fmac_f32 v11, v167, v122
	s_delay_alu instid0(VALU_DEP_2) | instskip(SKIP_2) | instid1(VALU_DEP_3)
	v_dual_fma_f32 v19, v166, v122, -v19 :: v_dual_add_f32 v7, v7, v9
	s_wait_dscnt 0x0
	v_dual_mul_f32 v185, v170, v127 :: v_dual_mul_f32 v187, v172, v129
	v_dual_add_f32 v9, v15, v17 :: v_dual_fmac_f32 v13, v169, v124
	v_dual_mul_f32 v23, v171, v127 :: v_dual_mul_f32 v25, v173, v129
	v_dual_fma_f32 v15, v168, v124, -v21 :: v_dual_add_f32 v7, v7, v11
	s_delay_alu instid0(VALU_DEP_3) | instskip(SKIP_3) | instid1(VALU_DEP_3)
	v_dual_add_f32 v9, v9, v19 :: v_dual_fmac_f32 v185, v171, v126
	v_pk_mul_f32 v[118:119], v[146:147], v[130:131] op_sel:[1,1] op_sel_hi:[0,1]
	s_wait_loadcnt 0x3
	v_dual_mov_b32 v124, v137 :: v_dual_fma_f32 v184, v170, v126, -v23
	v_dual_add_f32 v127, v7, v13 :: v_dual_add_f32 v126, v9, v15
	v_dual_fmac_f32 v187, v173, v128 :: v_dual_fma_f32 v186, v172, v128, -v25
	v_pk_fma_f32 v[128:129], v[146:147], v[130:131], v[118:119] op_sel_hi:[1,0,1]
	v_pk_mul_f32 v[120:121], v[176:177], v[120:121] op_sel_hi:[1,0]
	s_delay_alu instid0(VALU_DEP_4)
	v_pk_add_f32 v[126:127], v[126:127], v[184:185]
	v_pk_fma_f32 v[118:119], v[146:147], v[130:131], v[118:119] neg_lo:[0,0,1] neg_hi:[0,0,1]
	v_pk_mul_f32 v[122:123], v[150:151], v[134:135] op_sel:[1,1] op_sel_hi:[0,1]
	v_mov_b32_e32 v119, v129
	v_pk_fma_f32 v[128:129], v[148:149], v[132:133], v[120:121] op_sel_hi:[1,0,1]
	v_pk_add_f32 v[126:127], v[126:127], v[186:187]
	v_pk_fma_f32 v[120:121], v[148:149], v[132:133], v[120:121] neg_lo:[0,0,1] neg_hi:[0,0,1]
	v_pk_fma_f32 v[130:131], v[150:151], v[134:135], v[122:123] op_sel_hi:[1,0,1]
	v_pk_mul_f32 v[124:125], v[178:179], v[124:125] op_sel_hi:[1,0]
	v_mov_b32_e32 v121, v129
	v_pk_add_f32 v[118:119], v[126:127], v[118:119]
	s_wait_loadcnt 0x2
	v_pk_mul_f32 v[162:163], v[154:155], v[138:139] op_sel:[1,1] op_sel_hi:[0,1]
	v_mov_b32_e32 v126, v141
	v_pk_fma_f32 v[122:123], v[150:151], v[134:135], v[122:123] neg_lo:[0,0,1] neg_hi:[0,0,1]
	v_mov_b32_e32 v123, v131
	v_pk_fma_f32 v[128:129], v[152:153], v[136:137], v[124:125] op_sel_hi:[1,0,1]
	v_pk_add_f32 v[118:119], v[118:119], v[120:121]
	v_pk_fma_f32 v[120:121], v[154:155], v[138:139], v[162:163] op_sel_hi:[1,0,1]
	v_pk_mul_f32 v[126:127], v[180:181], v[126:127] op_sel_hi:[1,0]
	v_pk_fma_f32 v[124:125], v[152:153], v[136:137], v[124:125] neg_lo:[0,0,1] neg_hi:[0,0,1]
	v_mov_b32_e32 v125, v129
	v_pk_add_f32 v[118:119], v[118:119], v[122:123]
	v_pk_fma_f32 v[128:129], v[154:155], v[138:139], v[162:163] neg_lo:[0,0,1] neg_hi:[0,0,1]
	v_mov_b32_e32 v129, v121
	v_pk_fma_f32 v[120:121], v[156:157], v[140:141], v[126:127] op_sel_hi:[1,0,1]
	s_wait_loadcnt 0x1
	v_pk_mul_f32 v[122:123], v[158:159], v[142:143] op_sel:[1,1] op_sel_hi:[0,1]
	v_pk_add_f32 v[118:119], v[118:119], v[124:125]
	v_mov_b32_e32 v120, v145
	v_pk_fma_f32 v[126:127], v[156:157], v[140:141], v[126:127] neg_lo:[0,0,1] neg_hi:[0,0,1]
	v_mov_b32_e32 v127, v121
	v_pk_fma_f32 v[124:125], v[158:159], v[142:143], v[122:123] op_sel_hi:[1,0,1]
	v_pk_add_f32 v[118:119], v[118:119], v[128:129]
	v_pk_mul_f32 v[120:121], v[182:183], v[120:121] op_sel_hi:[1,0]
	v_pk_fma_f32 v[122:123], v[158:159], v[142:143], v[122:123] neg_lo:[0,0,1] neg_hi:[0,0,1]
	s_delay_alu instid0(VALU_DEP_4) | instskip(NEXT) | instid1(VALU_DEP_4)
	v_mov_b32_e32 v123, v125
	v_pk_add_f32 v[118:119], v[118:119], v[126:127]
	s_delay_alu instid0(VALU_DEP_4) | instskip(SKIP_1) | instid1(VALU_DEP_2)
	v_pk_fma_f32 v[124:125], v[160:161], v[144:145], v[120:121] op_sel_hi:[1,0,1]
	v_pk_fma_f32 v[120:121], v[160:161], v[144:145], v[120:121] neg_lo:[0,0,1] neg_hi:[0,0,1]
	v_mov_b32_e32 v121, v125
	s_delay_alu instid0(VALU_DEP_4) | instskip(NEXT) | instid1(VALU_DEP_1)
	v_pk_add_f32 v[118:119], v[118:119], v[122:123]
	v_pk_add_f32 v[118:119], v[118:119], v[120:121]
	s_wait_loadcnt 0x0
	s_delay_alu instid0(VALU_DEP_1)
	v_pk_add_f32 v[118:119], v[174:175], v[118:119] neg_lo:[0,1] neg_hi:[0,1]
	scratch_store_b64 off, v[118:119], off offset:344
	s_wait_xcnt 0x0
	v_cmpx_lt_u32_e32 42, v0
	s_cbranch_execz .LBB57_277
; %bb.276:
	scratch_load_b64 v[118:119], off, off offset:336
	v_mov_b64_e32 v[120:121], 0
	scratch_store_b64 off, v[120:121], off offset:336
	s_wait_loadcnt 0x0
	ds_store_b64 v1, v[118:119]
.LBB57_277:
	s_wait_xcnt 0x0
	s_or_b32 exec_lo, exec_lo, s0
	s_wait_storecnt_dscnt 0x0
	s_barrier_signal -1
	s_barrier_wait -1
	s_clause 0x8
	scratch_load_b128 v[118:121], off, off offset:344
	scratch_load_b128 v[122:125], off, off offset:360
	scratch_load_b128 v[126:129], off, off offset:376
	scratch_load_b128 v[130:133], off, off offset:392
	scratch_load_b128 v[134:137], off, off offset:408
	scratch_load_b128 v[138:141], off, off offset:424
	scratch_load_b128 v[142:145], off, off offset:440
	scratch_load_b64 v[174:175], off, off offset:456
	scratch_load_b64 v[176:177], off, off offset:336
	v_mov_b32_e32 v7, 0
	ds_load_2addr_b64 v[146:149], v7 offset0:107 offset1:108
	ds_load_2addr_b64 v[150:153], v7 offset0:109 offset1:110
	;; [unrolled: 1-line block ×7, first 2 shown]
	ds_load_b64 v[178:179], v7 offset:920
	s_mov_b32 s0, exec_lo
	s_wait_dscnt 0x7
	v_dual_mov_b32 v180, v149 :: v_dual_mov_b32 v181, v148
	s_wait_dscnt 0x4
	v_dual_mov_b32 v182, v153 :: v_dual_mov_b32 v187, v160
	v_dual_mov_b32 v183, v152 :: v_dual_mov_b32 v184, v157
	;; [unrolled: 1-line block ×3, first 2 shown]
	s_wait_loadcnt_dscnt 0x803
	v_dual_mul_f32 v9, v162, v119 :: v_dual_mul_f32 v19, v163, v119
	v_dual_mul_f32 v21, v165, v121 :: v_dual_mul_f32 v11, v164, v121
	s_wait_loadcnt_dscnt 0x702
	v_mul_f32_e32 v13, v166, v123
	s_wait_loadcnt 0x5
	v_dual_mul_f32 v31, v147, v131 :: v_dual_fma_f32 v19, v162, v118, -v19
	v_dual_fmac_f32 v9, v163, v118 :: v_dual_mov_b32 v118, v133
	v_dual_mul_f32 v23, v167, v123 :: v_dual_mul_f32 v25, v169, v125
	v_dual_fmac_f32 v11, v165, v120 :: v_dual_fma_f32 v21, v164, v120, -v21
	s_delay_alu instid0(VALU_DEP_3) | instskip(SKIP_3) | instid1(VALU_DEP_3)
	v_dual_add_f32 v9, 0, v9 :: v_dual_add_f32 v19, 0, v19
	s_wait_dscnt 0x1
	v_dual_mul_f32 v15, v168, v125 :: v_dual_mul_f32 v17, v170, v127
	v_dual_fmac_f32 v13, v167, v122 :: v_dual_fma_f32 v23, v166, v122, -v23
	v_dual_add_f32 v9, v9, v11 :: v_dual_add_f32 v11, v19, v21
	v_dual_mul_f32 v27, v171, v127 :: v_dual_mul_f32 v29, v173, v129
	s_wait_loadcnt 0x4
	v_dual_mov_b32 v122, v137 :: v_dual_fma_f32 v19, v168, v124, -v25
	s_delay_alu instid0(VALU_DEP_3) | instskip(SKIP_2) | instid1(VALU_DEP_2)
	v_dual_fmac_f32 v15, v169, v124 :: v_dual_add_f32 v11, v11, v23
	v_dual_add_f32 v9, v9, v13 :: v_dual_fmac_f32 v17, v171, v126
	v_dual_mul_f32 v189, v172, v129 :: v_dual_mul_f32 v191, v146, v131
	v_dual_fma_f32 v13, v170, v126, -v27 :: v_dual_add_f32 v9, v9, v15
	s_delay_alu instid0(VALU_DEP_2) | instskip(SKIP_1) | instid1(VALU_DEP_3)
	v_dual_add_f32 v11, v11, v19 :: v_dual_fmac_f32 v189, v173, v128
	v_pk_mul_f32 v[120:121], v[150:151], v[134:135] op_sel:[1,1] op_sel_hi:[0,1]
	v_dual_fma_f32 v188, v172, v128, -v29 :: v_dual_add_f32 v127, v9, v17
	v_pk_mul_f32 v[118:119], v[180:181], v[118:119] op_sel_hi:[1,0]
	s_wait_loadcnt 0x3
	v_dual_add_f32 v126, v11, v13 :: v_dual_mov_b32 v128, v141
	v_fmac_f32_e32 v191, v147, v130
	v_fma_f32 v190, v146, v130, -v31
	v_pk_fma_f32 v[130:131], v[148:149], v[132:133], v[118:119] op_sel_hi:[1,0,1]
	s_delay_alu instid0(VALU_DEP_4) | instskip(SKIP_4) | instid1(VALU_DEP_4)
	v_pk_add_f32 v[126:127], v[126:127], v[188:189]
	v_pk_fma_f32 v[146:147], v[150:151], v[134:135], v[120:121] op_sel_hi:[1,0,1]
	v_pk_fma_f32 v[118:119], v[148:149], v[132:133], v[118:119] neg_lo:[0,0,1] neg_hi:[0,0,1]
	v_pk_fma_f32 v[120:121], v[150:151], v[134:135], v[120:121] neg_lo:[0,0,1] neg_hi:[0,0,1]
	v_pk_mul_f32 v[122:123], v[182:183], v[122:123] op_sel_hi:[1,0]
	v_dual_mov_b32 v119, v131 :: v_dual_mov_b32 v121, v147
	v_pk_add_f32 v[126:127], v[126:127], v[190:191]
	v_pk_mul_f32 v[124:125], v[154:155], v[138:139] op_sel:[1,1] op_sel_hi:[0,1]
	s_delay_alu instid0(VALU_DEP_4)
	v_pk_fma_f32 v[132:133], v[152:153], v[136:137], v[122:123] op_sel_hi:[1,0,1]
	v_pk_fma_f32 v[122:123], v[152:153], v[136:137], v[122:123] neg_lo:[0,0,1] neg_hi:[0,0,1]
	v_pk_mul_f32 v[128:129], v[184:185], v[128:129] op_sel_hi:[1,0]
	v_pk_add_f32 v[118:119], v[126:127], v[118:119]
	v_pk_fma_f32 v[126:127], v[154:155], v[138:139], v[124:125] op_sel_hi:[1,0,1]
	v_mov_b32_e32 v123, v133
	v_pk_fma_f32 v[124:125], v[154:155], v[138:139], v[124:125] neg_lo:[0,0,1] neg_hi:[0,0,1]
	s_wait_loadcnt 0x2
	v_pk_mul_f32 v[130:131], v[158:159], v[142:143] op_sel:[1,1] op_sel_hi:[0,1]
	v_pk_add_f32 v[118:119], v[118:119], v[120:121]
	v_dual_mov_b32 v120, v145 :: v_dual_mov_b32 v125, v127
	v_pk_fma_f32 v[126:127], v[156:157], v[140:141], v[128:129] op_sel_hi:[1,0,1]
	v_pk_fma_f32 v[128:129], v[156:157], v[140:141], v[128:129] neg_lo:[0,0,1] neg_hi:[0,0,1]
	s_delay_alu instid0(VALU_DEP_4)
	v_pk_add_f32 v[118:119], v[118:119], v[122:123]
	v_pk_fma_f32 v[122:123], v[158:159], v[142:143], v[130:131] op_sel_hi:[1,0,1]
	v_pk_mul_f32 v[120:121], v[186:187], v[120:121] op_sel_hi:[1,0]
	v_mov_b32_e32 v129, v127
	s_wait_loadcnt_dscnt 0x100
	v_pk_mul_f32 v[126:127], v[178:179], v[174:175] op_sel:[1,1] op_sel_hi:[0,1]
	v_pk_add_f32 v[118:119], v[118:119], v[124:125]
	v_pk_fma_f32 v[124:125], v[158:159], v[142:143], v[130:131] neg_lo:[0,0,1] neg_hi:[0,0,1]
	v_mov_b32_e32 v125, v123
	v_pk_fma_f32 v[122:123], v[160:161], v[144:145], v[120:121] op_sel_hi:[1,0,1]
	v_pk_fma_f32 v[120:121], v[160:161], v[144:145], v[120:121] neg_lo:[0,0,1] neg_hi:[0,0,1]
	v_pk_add_f32 v[118:119], v[118:119], v[128:129]
	s_delay_alu instid0(VALU_DEP_3) | instskip(SKIP_1) | instid1(VALU_DEP_3)
	v_mov_b32_e32 v121, v123
	v_pk_fma_f32 v[122:123], v[178:179], v[174:175], v[126:127] op_sel_hi:[1,0,1]
	v_pk_add_f32 v[118:119], v[118:119], v[124:125]
	v_pk_fma_f32 v[124:125], v[178:179], v[174:175], v[126:127] neg_lo:[0,0,1] neg_hi:[0,0,1]
	s_delay_alu instid0(VALU_DEP_3) | instskip(NEXT) | instid1(VALU_DEP_3)
	v_mov_b32_e32 v125, v123
	v_pk_add_f32 v[118:119], v[118:119], v[120:121]
	s_delay_alu instid0(VALU_DEP_1) | instskip(SKIP_1) | instid1(VALU_DEP_1)
	v_pk_add_f32 v[118:119], v[118:119], v[124:125]
	s_wait_loadcnt 0x0
	v_pk_add_f32 v[118:119], v[176:177], v[118:119] neg_lo:[0,1] neg_hi:[0,1]
	scratch_store_b64 off, v[118:119], off offset:336
	s_wait_xcnt 0x0
	v_cmpx_lt_u32_e32 41, v0
	s_cbranch_execz .LBB57_279
; %bb.278:
	scratch_load_b64 v[118:119], off, off offset:328
	v_mov_b64_e32 v[120:121], 0
	scratch_store_b64 off, v[120:121], off offset:328
	s_wait_loadcnt 0x0
	ds_store_b64 v1, v[118:119]
.LBB57_279:
	s_wait_xcnt 0x0
	s_or_b32 exec_lo, exec_lo, s0
	s_wait_storecnt_dscnt 0x0
	s_barrier_signal -1
	s_barrier_wait -1
	s_clause 0x8
	scratch_load_b128 v[118:121], off, off offset:336
	scratch_load_b128 v[122:125], off, off offset:352
	;; [unrolled: 1-line block ×8, first 2 shown]
	scratch_load_b64 v[182:183], off, off offset:328
	ds_load_b128 v[150:153], v7 offset:864
	ds_load_b128 v[154:157], v7 offset:880
	ds_load_b128 v[158:161], v7 offset:896
	ds_load_b128 v[162:165], v7 offset:912
	ds_load_b128 v[166:169], v7 offset:800
	ds_load_b128 v[170:173], v7 offset:816
	ds_load_b128 v[174:177], v7 offset:832
	ds_load_b128 v[178:181], v7 offset:848
	s_mov_b32 s0, exec_lo
	s_wait_dscnt 0x7
	v_dual_mov_b32 v184, v153 :: v_dual_mov_b32 v185, v152
	s_wait_dscnt 0x6
	v_dual_mov_b32 v186, v157 :: v_dual_mov_b32 v187, v156
	;; [unrolled: 2-line block ×4, first 2 shown]
	s_wait_loadcnt_dscnt 0x803
	v_dual_mul_f32 v7, v166, v119 :: v_dual_mul_f32 v9, v168, v121
	v_dual_mul_f32 v19, v167, v119 :: v_dual_mul_f32 v21, v169, v121
	s_wait_loadcnt_dscnt 0x702
	v_dual_mul_f32 v11, v170, v123 :: v_dual_mul_f32 v13, v172, v125
	s_delay_alu instid0(VALU_DEP_3) | instskip(SKIP_3) | instid1(VALU_DEP_3)
	v_dual_fmac_f32 v7, v167, v118 :: v_dual_fmac_f32 v9, v169, v120
	s_wait_loadcnt_dscnt 0x500
	v_dual_fma_f32 v19, v166, v118, -v19 :: v_dual_mul_f32 v31, v179, v131
	v_dual_mul_f32 v23, v171, v123 :: v_dual_mul_f32 v25, v173, v125
	v_dual_fma_f32 v21, v168, v120, -v21 :: v_dual_add_f32 v7, 0, v7
	s_delay_alu instid0(VALU_DEP_3) | instskip(SKIP_1) | instid1(VALU_DEP_3)
	v_dual_add_f32 v19, 0, v19 :: v_dual_mul_f32 v33, v181, v133
	v_dual_fmac_f32 v11, v171, v122 :: v_dual_fmac_f32 v13, v173, v124
	v_dual_fma_f32 v23, v170, v122, -v23 :: v_dual_add_f32 v7, v7, v9
	s_delay_alu instid0(VALU_DEP_3) | instskip(SKIP_4) | instid1(VALU_DEP_3)
	v_dual_add_f32 v9, v19, v21 :: v_dual_fma_f32 v19, v172, v124, -v25
	v_dual_mul_f32 v15, v174, v127 :: v_dual_mul_f32 v17, v176, v129
	v_dual_mul_f32 v27, v175, v127 :: v_dual_mul_f32 v29, v177, v129
	s_wait_loadcnt 0x4
	v_dual_add_f32 v7, v7, v11 :: v_dual_mov_b32 v120, v137
	v_dual_add_f32 v9, v9, v23 :: v_dual_fmac_f32 v15, v175, v126
	s_delay_alu instid0(VALU_DEP_2) | instskip(SKIP_1) | instid1(VALU_DEP_3)
	v_dual_fma_f32 v11, v174, v126, -v27 :: v_dual_add_f32 v7, v7, v13
	v_dual_mul_f32 v193, v178, v131 :: v_dual_mul_f32 v195, v180, v133
	v_dual_add_f32 v9, v9, v19 :: v_dual_fma_f32 v13, v176, v128, -v29
	s_delay_alu instid0(VALU_DEP_3) | instskip(SKIP_1) | instid1(VALU_DEP_3)
	v_dual_fmac_f32 v17, v177, v128 :: v_dual_add_f32 v7, v7, v15
	v_pk_mul_f32 v[118:119], v[150:151], v[134:135] op_sel:[1,1] op_sel_hi:[0,1]
	v_dual_add_f32 v9, v9, v11 :: v_dual_fmac_f32 v193, v179, v130
	s_wait_loadcnt 0x3
	v_dual_mov_b32 v124, v141 :: v_dual_fma_f32 v192, v178, v130, -v31
	v_dual_add_f32 v127, v7, v17 :: v_dual_fmac_f32 v195, v181, v132
	s_delay_alu instid0(VALU_DEP_3) | instskip(SKIP_3) | instid1(VALU_DEP_4)
	v_dual_add_f32 v126, v9, v13 :: v_dual_fma_f32 v194, v180, v132, -v33
	v_pk_fma_f32 v[128:129], v[150:151], v[134:135], v[118:119] op_sel_hi:[1,0,1]
	v_pk_mul_f32 v[120:121], v[184:185], v[120:121] op_sel_hi:[1,0]
	v_pk_fma_f32 v[118:119], v[150:151], v[134:135], v[118:119] neg_lo:[0,0,1] neg_hi:[0,0,1]
	v_pk_add_f32 v[126:127], v[126:127], v[192:193]
	v_pk_mul_f32 v[122:123], v[154:155], v[138:139] op_sel:[1,1] op_sel_hi:[0,1]
	v_mov_b32_e32 v119, v129
	v_pk_fma_f32 v[128:129], v[152:153], v[136:137], v[120:121] op_sel_hi:[1,0,1]
	v_pk_fma_f32 v[120:121], v[152:153], v[136:137], v[120:121] neg_lo:[0,0,1] neg_hi:[0,0,1]
	v_pk_add_f32 v[126:127], v[126:127], v[194:195]
	v_pk_fma_f32 v[132:133], v[154:155], v[138:139], v[122:123] op_sel_hi:[1,0,1]
	v_pk_mul_f32 v[124:125], v[186:187], v[124:125] op_sel_hi:[1,0]
	v_mov_b32_e32 v121, v129
	s_wait_loadcnt 0x2
	v_pk_mul_f32 v[130:131], v[158:159], v[142:143] op_sel:[1,1] op_sel_hi:[0,1]
	v_pk_add_f32 v[118:119], v[126:127], v[118:119]
	v_mov_b32_e32 v126, v145
	v_pk_fma_f32 v[122:123], v[154:155], v[138:139], v[122:123] neg_lo:[0,0,1] neg_hi:[0,0,1]
	v_mov_b32_e32 v123, v133
	v_pk_fma_f32 v[128:129], v[156:157], v[140:141], v[124:125] op_sel_hi:[1,0,1]
	v_pk_add_f32 v[118:119], v[118:119], v[120:121]
	v_pk_fma_f32 v[120:121], v[158:159], v[142:143], v[130:131] op_sel_hi:[1,0,1]
	v_pk_mul_f32 v[126:127], v[188:189], v[126:127] op_sel_hi:[1,0]
	v_pk_fma_f32 v[124:125], v[156:157], v[140:141], v[124:125] neg_lo:[0,0,1] neg_hi:[0,0,1]
	v_mov_b32_e32 v125, v129
	v_pk_add_f32 v[118:119], v[118:119], v[122:123]
	v_pk_fma_f32 v[128:129], v[158:159], v[142:143], v[130:131] neg_lo:[0,0,1] neg_hi:[0,0,1]
	v_mov_b32_e32 v129, v121
	v_pk_fma_f32 v[120:121], v[160:161], v[144:145], v[126:127] op_sel_hi:[1,0,1]
	s_wait_loadcnt 0x1
	v_pk_mul_f32 v[122:123], v[162:163], v[146:147] op_sel:[1,1] op_sel_hi:[0,1]
	v_pk_add_f32 v[118:119], v[118:119], v[124:125]
	v_mov_b32_e32 v120, v149
	v_pk_fma_f32 v[126:127], v[160:161], v[144:145], v[126:127] neg_lo:[0,0,1] neg_hi:[0,0,1]
	v_mov_b32_e32 v127, v121
	v_pk_fma_f32 v[124:125], v[162:163], v[146:147], v[122:123] op_sel_hi:[1,0,1]
	v_pk_add_f32 v[118:119], v[118:119], v[128:129]
	v_pk_mul_f32 v[120:121], v[190:191], v[120:121] op_sel_hi:[1,0]
	v_pk_fma_f32 v[122:123], v[162:163], v[146:147], v[122:123] neg_lo:[0,0,1] neg_hi:[0,0,1]
	s_delay_alu instid0(VALU_DEP_4) | instskip(NEXT) | instid1(VALU_DEP_4)
	v_mov_b32_e32 v123, v125
	v_pk_add_f32 v[118:119], v[118:119], v[126:127]
	s_delay_alu instid0(VALU_DEP_4) | instskip(SKIP_1) | instid1(VALU_DEP_2)
	v_pk_fma_f32 v[124:125], v[164:165], v[148:149], v[120:121] op_sel_hi:[1,0,1]
	v_pk_fma_f32 v[120:121], v[164:165], v[148:149], v[120:121] neg_lo:[0,0,1] neg_hi:[0,0,1]
	v_mov_b32_e32 v121, v125
	s_delay_alu instid0(VALU_DEP_4) | instskip(NEXT) | instid1(VALU_DEP_1)
	v_pk_add_f32 v[118:119], v[118:119], v[122:123]
	v_pk_add_f32 v[118:119], v[118:119], v[120:121]
	s_wait_loadcnt 0x0
	s_delay_alu instid0(VALU_DEP_1)
	v_pk_add_f32 v[118:119], v[182:183], v[118:119] neg_lo:[0,1] neg_hi:[0,1]
	scratch_store_b64 off, v[118:119], off offset:328
	s_wait_xcnt 0x0
	v_cmpx_lt_u32_e32 40, v0
	s_cbranch_execz .LBB57_281
; %bb.280:
	scratch_load_b64 v[118:119], off, off offset:320
	v_mov_b64_e32 v[120:121], 0
	scratch_store_b64 off, v[120:121], off offset:320
	s_wait_loadcnt 0x0
	ds_store_b64 v1, v[118:119]
.LBB57_281:
	s_wait_xcnt 0x0
	s_or_b32 exec_lo, exec_lo, s0
	s_wait_storecnt_dscnt 0x0
	s_barrier_signal -1
	s_barrier_wait -1
	s_clause 0x9
	scratch_load_b128 v[118:121], off, off offset:328
	scratch_load_b128 v[122:125], off, off offset:344
	;; [unrolled: 1-line block ×8, first 2 shown]
	scratch_load_b64 v[182:183], off, off offset:456
	scratch_load_b64 v[184:185], off, off offset:320
	v_mov_b32_e32 v7, 0
	ds_load_2addr_b64 v[150:153], v7 offset0:107 offset1:108
	ds_load_2addr_b64 v[154:157], v7 offset0:109 offset1:110
	;; [unrolled: 1-line block ×8, first 2 shown]
	ds_load_b64 v[186:187], v7 offset:920
	s_mov_b32 s0, exec_lo
	s_wait_dscnt 0x8
	v_dual_mov_b32 v188, v153 :: v_dual_mov_b32 v189, v152
	s_wait_dscnt 0x5
	v_dual_mov_b32 v190, v157 :: v_dual_mov_b32 v195, v164
	v_dual_mov_b32 v191, v156 :: v_dual_mov_b32 v192, v161
	;; [unrolled: 1-line block ×3, first 2 shown]
	s_wait_loadcnt_dscnt 0x904
	v_dual_mul_f32 v9, v166, v119 :: v_dual_mul_f32 v23, v167, v119
	v_dual_mul_f32 v25, v169, v121 :: v_dual_mul_f32 v11, v168, v121
	s_wait_loadcnt_dscnt 0x803
	v_mul_f32_e32 v13, v170, v123
	s_wait_loadcnt_dscnt 0x601
	v_dual_mul_f32 v35, v179, v131 :: v_dual_fma_f32 v23, v166, v118, -v23
	v_dual_fmac_f32 v9, v167, v118 :: v_dual_mul_f32 v37, v181, v133
	v_dual_mul_f32 v27, v171, v123 :: v_dual_mul_f32 v29, v173, v125
	v_dual_fmac_f32 v11, v169, v120 :: v_dual_fma_f32 v25, v168, v120, -v25
	s_delay_alu instid0(VALU_DEP_3) | instskip(SKIP_3) | instid1(VALU_DEP_3)
	v_dual_add_f32 v9, 0, v9 :: v_dual_add_f32 v23, 0, v23
	v_dual_mul_f32 v15, v172, v125 :: v_dual_mul_f32 v17, v174, v127
	s_wait_loadcnt 0x5
	v_dual_mul_f32 v39, v151, v135 :: v_dual_fma_f32 v27, v170, v122, -v27
	v_dual_fmac_f32 v13, v171, v122 :: v_dual_add_f32 v9, v9, v11
	v_dual_add_f32 v11, v23, v25 :: v_dual_mov_b32 v118, v137
	v_dual_mul_f32 v31, v175, v127 :: v_dual_mul_f32 v33, v177, v129
	v_dual_fmac_f32 v15, v173, v124 :: v_dual_fma_f32 v23, v172, v124, -v29
	s_delay_alu instid0(VALU_DEP_3) | instskip(SKIP_1) | instid1(VALU_DEP_4)
	v_dual_add_f32 v9, v9, v13 :: v_dual_add_f32 v11, v11, v27
	v_dual_mul_f32 v19, v176, v129 :: v_dual_mul_f32 v21, v178, v131
	v_dual_fmac_f32 v17, v175, v126 :: v_dual_fma_f32 v13, v174, v126, -v31
	s_delay_alu instid0(VALU_DEP_3) | instskip(SKIP_3) | instid1(VALU_DEP_3)
	v_dual_add_f32 v9, v9, v15 :: v_dual_fma_f32 v15, v176, v128, -v33
	s_wait_loadcnt 0x4
	v_dual_add_f32 v11, v11, v23 :: v_dual_mov_b32 v122, v141
	v_fmac_f32_e32 v19, v177, v128
	v_dual_add_f32 v9, v9, v17 :: v_dual_fmac_f32 v21, v179, v130
	s_delay_alu instid0(VALU_DEP_3) | instskip(SKIP_1) | instid1(VALU_DEP_3)
	v_add_f32_e32 v11, v11, v13
	v_dual_mul_f32 v197, v180, v133 :: v_dual_mul_f32 v199, v150, v135
	v_dual_fma_f32 v13, v178, v130, -v35 :: v_dual_add_f32 v9, v9, v19
	s_delay_alu instid0(VALU_DEP_2) | instskip(SKIP_1) | instid1(VALU_DEP_3)
	v_dual_add_f32 v11, v11, v15 :: v_dual_fmac_f32 v197, v181, v132
	v_pk_mul_f32 v[120:121], v[154:155], v[138:139] op_sel:[1,1] op_sel_hi:[0,1]
	v_dual_fma_f32 v196, v180, v132, -v37 :: v_dual_add_f32 v127, v9, v21
	v_pk_mul_f32 v[118:119], v[188:189], v[118:119] op_sel_hi:[1,0]
	s_wait_loadcnt 0x3
	v_dual_add_f32 v126, v11, v13 :: v_dual_mov_b32 v128, v145
	v_pk_fma_f32 v[132:133], v[154:155], v[138:139], v[120:121] op_sel_hi:[1,0,1]
	v_fmac_f32_e32 v199, v151, v134
	v_pk_fma_f32 v[130:131], v[152:153], v[136:137], v[118:119] op_sel_hi:[1,0,1]
	v_fma_f32 v198, v150, v134, -v39
	v_pk_add_f32 v[126:127], v[126:127], v[196:197]
	v_pk_fma_f32 v[118:119], v[152:153], v[136:137], v[118:119] neg_lo:[0,0,1] neg_hi:[0,0,1]
	v_pk_fma_f32 v[120:121], v[154:155], v[138:139], v[120:121] neg_lo:[0,0,1] neg_hi:[0,0,1]
	v_pk_mul_f32 v[122:123], v[190:191], v[122:123] op_sel_hi:[1,0]
	v_dual_mov_b32 v119, v131 :: v_dual_mov_b32 v121, v133
	v_pk_add_f32 v[126:127], v[126:127], v[198:199]
	v_pk_mul_f32 v[124:125], v[158:159], v[142:143] op_sel:[1,1] op_sel_hi:[0,1]
	s_delay_alu instid0(VALU_DEP_4)
	v_pk_fma_f32 v[132:133], v[156:157], v[140:141], v[122:123] op_sel_hi:[1,0,1]
	v_pk_fma_f32 v[122:123], v[156:157], v[140:141], v[122:123] neg_lo:[0,0,1] neg_hi:[0,0,1]
	v_pk_mul_f32 v[128:129], v[192:193], v[128:129] op_sel_hi:[1,0]
	v_pk_add_f32 v[118:119], v[126:127], v[118:119]
	v_pk_fma_f32 v[126:127], v[158:159], v[142:143], v[124:125] op_sel_hi:[1,0,1]
	v_mov_b32_e32 v123, v133
	v_pk_fma_f32 v[124:125], v[158:159], v[142:143], v[124:125] neg_lo:[0,0,1] neg_hi:[0,0,1]
	s_wait_loadcnt 0x2
	v_pk_mul_f32 v[130:131], v[162:163], v[146:147] op_sel:[1,1] op_sel_hi:[0,1]
	v_pk_add_f32 v[118:119], v[118:119], v[120:121]
	v_dual_mov_b32 v120, v149 :: v_dual_mov_b32 v125, v127
	v_pk_fma_f32 v[126:127], v[160:161], v[144:145], v[128:129] op_sel_hi:[1,0,1]
	v_pk_fma_f32 v[128:129], v[160:161], v[144:145], v[128:129] neg_lo:[0,0,1] neg_hi:[0,0,1]
	s_delay_alu instid0(VALU_DEP_4)
	v_pk_add_f32 v[118:119], v[118:119], v[122:123]
	v_pk_fma_f32 v[122:123], v[162:163], v[146:147], v[130:131] op_sel_hi:[1,0,1]
	v_pk_mul_f32 v[120:121], v[194:195], v[120:121] op_sel_hi:[1,0]
	v_mov_b32_e32 v129, v127
	s_wait_loadcnt_dscnt 0x100
	v_pk_mul_f32 v[126:127], v[186:187], v[182:183] op_sel:[1,1] op_sel_hi:[0,1]
	v_pk_add_f32 v[118:119], v[118:119], v[124:125]
	v_pk_fma_f32 v[124:125], v[162:163], v[146:147], v[130:131] neg_lo:[0,0,1] neg_hi:[0,0,1]
	v_mov_b32_e32 v125, v123
	v_pk_fma_f32 v[122:123], v[164:165], v[148:149], v[120:121] op_sel_hi:[1,0,1]
	v_pk_fma_f32 v[120:121], v[164:165], v[148:149], v[120:121] neg_lo:[0,0,1] neg_hi:[0,0,1]
	v_pk_add_f32 v[118:119], v[118:119], v[128:129]
	s_delay_alu instid0(VALU_DEP_3) | instskip(SKIP_1) | instid1(VALU_DEP_3)
	v_mov_b32_e32 v121, v123
	v_pk_fma_f32 v[122:123], v[186:187], v[182:183], v[126:127] op_sel_hi:[1,0,1]
	v_pk_add_f32 v[118:119], v[118:119], v[124:125]
	v_pk_fma_f32 v[124:125], v[186:187], v[182:183], v[126:127] neg_lo:[0,0,1] neg_hi:[0,0,1]
	s_delay_alu instid0(VALU_DEP_3) | instskip(NEXT) | instid1(VALU_DEP_3)
	v_mov_b32_e32 v125, v123
	v_pk_add_f32 v[118:119], v[118:119], v[120:121]
	s_delay_alu instid0(VALU_DEP_1) | instskip(SKIP_1) | instid1(VALU_DEP_1)
	v_pk_add_f32 v[118:119], v[118:119], v[124:125]
	s_wait_loadcnt 0x0
	v_pk_add_f32 v[118:119], v[184:185], v[118:119] neg_lo:[0,1] neg_hi:[0,1]
	scratch_store_b64 off, v[118:119], off offset:320
	s_wait_xcnt 0x0
	v_cmpx_lt_u32_e32 39, v0
	s_cbranch_execz .LBB57_283
; %bb.282:
	scratch_load_b64 v[118:119], off, off offset:312
	v_mov_b64_e32 v[120:121], 0
	scratch_store_b64 off, v[120:121], off offset:312
	s_wait_loadcnt 0x0
	ds_store_b64 v1, v[118:119]
.LBB57_283:
	s_wait_xcnt 0x0
	s_or_b32 exec_lo, exec_lo, s0
	s_wait_storecnt_dscnt 0x0
	s_barrier_signal -1
	s_barrier_wait -1
	s_clause 0x9
	scratch_load_b128 v[118:121], off, off offset:320
	scratch_load_b128 v[122:125], off, off offset:336
	;; [unrolled: 1-line block ×9, first 2 shown]
	scratch_load_b64 v[190:191], off, off offset:312
	ds_load_b128 v[154:157], v7 offset:864
	ds_load_b128 v[158:161], v7 offset:880
	;; [unrolled: 1-line block ×9, first 2 shown]
	s_mov_b32 s0, exec_lo
	s_wait_dscnt 0x8
	v_dual_mov_b32 v192, v157 :: v_dual_mov_b32 v193, v156
	s_wait_dscnt 0x7
	v_dual_mov_b32 v194, v161 :: v_dual_mov_b32 v195, v160
	;; [unrolled: 2-line block ×4, first 2 shown]
	s_wait_loadcnt_dscnt 0x904
	v_dual_mul_f32 v7, v170, v119 :: v_dual_mul_f32 v9, v172, v121
	v_dual_mul_f32 v23, v171, v119 :: v_dual_mul_f32 v25, v173, v121
	s_wait_loadcnt_dscnt 0x803
	v_dual_mul_f32 v11, v174, v123 :: v_dual_mul_f32 v13, v176, v125
	s_delay_alu instid0(VALU_DEP_3) | instskip(SKIP_3) | instid1(VALU_DEP_3)
	v_dual_fmac_f32 v7, v171, v118 :: v_dual_fmac_f32 v9, v173, v120
	s_wait_loadcnt_dscnt 0x601
	v_dual_fma_f32 v23, v170, v118, -v23 :: v_dual_mul_f32 v35, v183, v131
	v_dual_mul_f32 v27, v175, v123 :: v_dual_mul_f32 v29, v177, v125
	v_dual_fma_f32 v25, v172, v120, -v25 :: v_dual_add_f32 v7, 0, v7
	s_delay_alu instid0(VALU_DEP_3) | instskip(SKIP_1) | instid1(VALU_DEP_3)
	v_dual_add_f32 v23, 0, v23 :: v_dual_mul_f32 v37, v185, v133
	v_dual_fmac_f32 v11, v175, v122 :: v_dual_fmac_f32 v13, v177, v124
	v_dual_fma_f32 v27, v174, v122, -v27 :: v_dual_add_f32 v7, v7, v9
	s_delay_alu instid0(VALU_DEP_3) | instskip(SKIP_2) | instid1(VALU_DEP_4)
	v_dual_add_f32 v9, v23, v25 :: v_dual_fma_f32 v25, v176, v124, -v29
	v_dual_mul_f32 v15, v178, v127 :: v_dual_mul_f32 v17, v180, v129
	v_dual_mul_f32 v31, v179, v127 :: v_dual_mul_f32 v33, v181, v129
	v_add_f32_e32 v7, v7, v11
	s_delay_alu instid0(VALU_DEP_3) | instskip(NEXT) | instid1(VALU_DEP_3)
	v_dual_add_f32 v9, v9, v27 :: v_dual_fmac_f32 v15, v179, v126
	v_fma_f32 v27, v178, v126, -v31
	v_dual_mul_f32 v19, v182, v131 :: v_dual_mul_f32 v21, v184, v133
	s_delay_alu instid0(VALU_DEP_4) | instskip(NEXT) | instid1(VALU_DEP_4)
	v_dual_add_f32 v7, v7, v13 :: v_dual_fmac_f32 v17, v181, v128
	v_dual_add_f32 v9, v9, v25 :: v_dual_fma_f32 v13, v180, v128, -v33
	s_wait_loadcnt 0x4
	s_delay_alu instid0(VALU_DEP_2) | instskip(NEXT) | instid1(VALU_DEP_2)
	v_dual_mov_b32 v120, v141 :: v_dual_add_f32 v7, v7, v15
	v_dual_fmac_f32 v19, v183, v130 :: v_dual_add_f32 v9, v9, v27
	v_fma_f32 v15, v182, v130, -v35
	s_wait_dscnt 0x0
	v_dual_mul_f32 v201, v186, v135 :: v_dual_mul_f32 v203, v188, v137
	v_add_f32_e32 v7, v7, v17
	v_dual_add_f32 v9, v9, v13 :: v_dual_fma_f32 v13, v184, v132, -v37
	v_dual_mul_f32 v23, v187, v135 :: v_dual_mul_f32 v11, v189, v137
	s_delay_alu instid0(VALU_DEP_3) | instskip(NEXT) | instid1(VALU_DEP_3)
	v_dual_fmac_f32 v21, v185, v132 :: v_dual_add_f32 v7, v7, v19
	v_dual_add_f32 v9, v9, v15 :: v_dual_fmac_f32 v201, v187, v134
	v_pk_mul_f32 v[118:119], v[154:155], v[138:139] op_sel:[1,1] op_sel_hi:[0,1]
	s_wait_loadcnt 0x3
	v_dual_mov_b32 v124, v145 :: v_dual_fma_f32 v200, v186, v134, -v23
	v_dual_add_f32 v127, v7, v21 :: v_dual_fmac_f32 v203, v189, v136
	v_dual_add_f32 v126, v9, v13 :: v_dual_fma_f32 v202, v188, v136, -v11
	v_pk_fma_f32 v[128:129], v[154:155], v[138:139], v[118:119] op_sel_hi:[1,0,1]
	v_pk_mul_f32 v[120:121], v[192:193], v[120:121] op_sel_hi:[1,0]
	v_pk_fma_f32 v[118:119], v[154:155], v[138:139], v[118:119] neg_lo:[0,0,1] neg_hi:[0,0,1]
	s_delay_alu instid0(VALU_DEP_4)
	v_pk_add_f32 v[126:127], v[126:127], v[200:201]
	v_pk_mul_f32 v[122:123], v[158:159], v[142:143] op_sel:[1,1] op_sel_hi:[0,1]
	v_mov_b32_e32 v119, v129
	v_pk_fma_f32 v[128:129], v[156:157], v[140:141], v[120:121] op_sel_hi:[1,0,1]
	v_pk_fma_f32 v[120:121], v[156:157], v[140:141], v[120:121] neg_lo:[0,0,1] neg_hi:[0,0,1]
	v_pk_add_f32 v[126:127], v[126:127], v[202:203]
	v_pk_fma_f32 v[132:133], v[158:159], v[142:143], v[122:123] op_sel_hi:[1,0,1]
	v_pk_mul_f32 v[124:125], v[194:195], v[124:125] op_sel_hi:[1,0]
	v_mov_b32_e32 v121, v129
	s_wait_loadcnt 0x2
	v_pk_mul_f32 v[130:131], v[162:163], v[146:147] op_sel:[1,1] op_sel_hi:[0,1]
	v_pk_add_f32 v[118:119], v[126:127], v[118:119]
	v_mov_b32_e32 v126, v149
	v_pk_fma_f32 v[122:123], v[158:159], v[142:143], v[122:123] neg_lo:[0,0,1] neg_hi:[0,0,1]
	v_mov_b32_e32 v123, v133
	v_pk_fma_f32 v[128:129], v[160:161], v[144:145], v[124:125] op_sel_hi:[1,0,1]
	v_pk_add_f32 v[118:119], v[118:119], v[120:121]
	v_pk_fma_f32 v[120:121], v[162:163], v[146:147], v[130:131] op_sel_hi:[1,0,1]
	v_pk_mul_f32 v[126:127], v[196:197], v[126:127] op_sel_hi:[1,0]
	v_pk_fma_f32 v[124:125], v[160:161], v[144:145], v[124:125] neg_lo:[0,0,1] neg_hi:[0,0,1]
	v_mov_b32_e32 v125, v129
	v_pk_add_f32 v[118:119], v[118:119], v[122:123]
	v_pk_fma_f32 v[128:129], v[162:163], v[146:147], v[130:131] neg_lo:[0,0,1] neg_hi:[0,0,1]
	v_mov_b32_e32 v129, v121
	v_pk_fma_f32 v[120:121], v[164:165], v[148:149], v[126:127] op_sel_hi:[1,0,1]
	s_wait_loadcnt 0x1
	v_pk_mul_f32 v[122:123], v[166:167], v[150:151] op_sel:[1,1] op_sel_hi:[0,1]
	v_pk_add_f32 v[118:119], v[118:119], v[124:125]
	v_mov_b32_e32 v120, v153
	v_pk_fma_f32 v[126:127], v[164:165], v[148:149], v[126:127] neg_lo:[0,0,1] neg_hi:[0,0,1]
	v_mov_b32_e32 v127, v121
	v_pk_fma_f32 v[124:125], v[166:167], v[150:151], v[122:123] op_sel_hi:[1,0,1]
	v_pk_add_f32 v[118:119], v[118:119], v[128:129]
	v_pk_mul_f32 v[120:121], v[198:199], v[120:121] op_sel_hi:[1,0]
	v_pk_fma_f32 v[122:123], v[166:167], v[150:151], v[122:123] neg_lo:[0,0,1] neg_hi:[0,0,1]
	s_delay_alu instid0(VALU_DEP_4) | instskip(NEXT) | instid1(VALU_DEP_4)
	v_mov_b32_e32 v123, v125
	v_pk_add_f32 v[118:119], v[118:119], v[126:127]
	s_delay_alu instid0(VALU_DEP_4) | instskip(SKIP_1) | instid1(VALU_DEP_2)
	v_pk_fma_f32 v[124:125], v[168:169], v[152:153], v[120:121] op_sel_hi:[1,0,1]
	v_pk_fma_f32 v[120:121], v[168:169], v[152:153], v[120:121] neg_lo:[0,0,1] neg_hi:[0,0,1]
	v_mov_b32_e32 v121, v125
	s_delay_alu instid0(VALU_DEP_4) | instskip(NEXT) | instid1(VALU_DEP_1)
	v_pk_add_f32 v[118:119], v[118:119], v[122:123]
	v_pk_add_f32 v[118:119], v[118:119], v[120:121]
	s_wait_loadcnt 0x0
	s_delay_alu instid0(VALU_DEP_1)
	v_pk_add_f32 v[118:119], v[190:191], v[118:119] neg_lo:[0,1] neg_hi:[0,1]
	scratch_store_b64 off, v[118:119], off offset:312
	s_wait_xcnt 0x0
	v_cmpx_lt_u32_e32 38, v0
	s_cbranch_execz .LBB57_285
; %bb.284:
	scratch_load_b64 v[118:119], off, off offset:304
	v_mov_b64_e32 v[120:121], 0
	scratch_store_b64 off, v[120:121], off offset:304
	s_wait_loadcnt 0x0
	ds_store_b64 v1, v[118:119]
.LBB57_285:
	s_wait_xcnt 0x0
	s_or_b32 exec_lo, exec_lo, s0
	s_wait_storecnt_dscnt 0x0
	s_barrier_signal -1
	s_barrier_wait -1
	s_clause 0xa
	scratch_load_b128 v[118:121], off, off offset:312
	scratch_load_b128 v[122:125], off, off offset:328
	;; [unrolled: 1-line block ×9, first 2 shown]
	scratch_load_b64 v[190:191], off, off offset:456
	scratch_load_b64 v[192:193], off, off offset:304
	v_mov_b32_e32 v7, 0
	ds_load_2addr_b64 v[154:157], v7 offset0:107 offset1:108
	ds_load_2addr_b64 v[158:161], v7 offset0:109 offset1:110
	;; [unrolled: 1-line block ×9, first 2 shown]
	ds_load_b64 v[194:195], v7 offset:920
	s_mov_b32 s0, exec_lo
	s_wait_dscnt 0x9
	v_dual_mov_b32 v196, v157 :: v_dual_mov_b32 v197, v156
	s_wait_dscnt 0x6
	v_dual_mov_b32 v198, v161 :: v_dual_mov_b32 v203, v168
	v_dual_mov_b32 v199, v160 :: v_dual_mov_b32 v200, v165
	v_dual_mov_b32 v201, v164 :: v_dual_mov_b32 v202, v169
	s_wait_loadcnt_dscnt 0xa05
	v_dual_mul_f32 v9, v170, v119 :: v_dual_mul_f32 v27, v171, v119
	v_dual_mul_f32 v29, v173, v121 :: v_dual_mul_f32 v11, v172, v121
	s_wait_loadcnt_dscnt 0x904
	v_mul_f32_e32 v13, v174, v123
	s_wait_loadcnt_dscnt 0x702
	v_dual_mul_f32 v39, v183, v131 :: v_dual_fma_f32 v27, v170, v118, -v27
	v_dual_fmac_f32 v9, v171, v118 :: v_dual_mul_f32 v41, v185, v133
	v_dual_mul_f32 v31, v175, v123 :: v_dual_mul_f32 v33, v177, v125
	v_dual_fmac_f32 v11, v173, v120 :: v_dual_fma_f32 v29, v172, v120, -v29
	s_delay_alu instid0(VALU_DEP_3) | instskip(SKIP_3) | instid1(VALU_DEP_3)
	v_dual_add_f32 v9, 0, v9 :: v_dual_add_f32 v27, 0, v27
	v_dual_mul_f32 v15, v176, v125 :: v_dual_mul_f32 v17, v178, v127
	s_wait_loadcnt_dscnt 0x601
	v_dual_mul_f32 v43, v187, v135 :: v_dual_fma_f32 v31, v174, v122, -v31
	v_dual_fmac_f32 v13, v175, v122 :: v_dual_add_f32 v9, v9, v11
	s_delay_alu instid0(VALU_DEP_3) | instskip(SKIP_2) | instid1(VALU_DEP_3)
	v_dual_add_f32 v11, v27, v29 :: v_dual_fmac_f32 v15, v177, v124
	v_dual_mul_f32 v35, v179, v127 :: v_dual_mul_f32 v37, v181, v129
	v_dual_mul_f32 v27, v189, v137 :: v_dual_fma_f32 v29, v176, v124, -v33
	v_dual_add_f32 v9, v9, v13 :: v_dual_add_f32 v11, v11, v31
	v_dual_mul_f32 v19, v180, v129 :: v_dual_mul_f32 v21, v182, v131
	s_wait_loadcnt 0x5
	v_dual_mul_f32 v13, v155, v139 :: v_dual_fma_f32 v31, v178, v126, -v35
	s_delay_alu instid0(VALU_DEP_3) | instskip(SKIP_2) | instid1(VALU_DEP_2)
	v_dual_fmac_f32 v17, v179, v126 :: v_dual_add_f32 v9, v9, v15
	v_dual_add_f32 v11, v11, v29 :: v_dual_mov_b32 v118, v141
	v_dual_fmac_f32 v19, v181, v128 :: v_dual_fma_f32 v15, v180, v128, -v37
	v_dual_add_f32 v9, v9, v17 :: v_dual_add_f32 v11, v11, v31
	v_dual_mul_f32 v23, v184, v133 :: v_dual_mul_f32 v25, v186, v135
	v_dual_fmac_f32 v21, v183, v130 :: v_dual_fma_f32 v17, v182, v130, -v39
	s_delay_alu instid0(VALU_DEP_3) | instskip(SKIP_3) | instid1(VALU_DEP_3)
	v_add_f32_e32 v9, v9, v19
	s_wait_loadcnt 0x4
	v_dual_add_f32 v11, v11, v15 :: v_dual_mov_b32 v122, v145
	v_dual_fmac_f32 v23, v185, v132 :: v_dual_fma_f32 v15, v184, v132, -v41
	v_dual_add_f32 v9, v9, v21 :: v_dual_fmac_f32 v25, v187, v134
	s_delay_alu instid0(VALU_DEP_3) | instskip(SKIP_1) | instid1(VALU_DEP_3)
	v_add_f32_e32 v11, v11, v17
	v_dual_mul_f32 v205, v188, v137 :: v_dual_mul_f32 v207, v154, v139
	v_dual_fma_f32 v17, v186, v134, -v43 :: v_dual_add_f32 v9, v9, v23
	s_delay_alu instid0(VALU_DEP_2) | instskip(SKIP_2) | instid1(VALU_DEP_4)
	v_dual_add_f32 v11, v11, v15 :: v_dual_fmac_f32 v205, v189, v136
	v_fma_f32 v204, v188, v136, -v27
	v_pk_mul_f32 v[118:119], v[196:197], v[118:119] op_sel_hi:[1,0]
	v_add_f32_e32 v127, v9, v25
	s_wait_loadcnt 0x3
	v_dual_add_f32 v126, v11, v17 :: v_dual_mov_b32 v128, v149
	v_pk_mul_f32 v[120:121], v[158:159], v[142:143] op_sel:[1,1] op_sel_hi:[0,1]
	v_dual_fmac_f32 v207, v155, v138 :: v_dual_fma_f32 v206, v154, v138, -v13
	v_pk_fma_f32 v[130:131], v[156:157], v[140:141], v[118:119] op_sel_hi:[1,0,1]
	s_delay_alu instid0(VALU_DEP_4)
	v_pk_add_f32 v[126:127], v[126:127], v[204:205]
	v_pk_fma_f32 v[118:119], v[156:157], v[140:141], v[118:119] neg_lo:[0,0,1] neg_hi:[0,0,1]
	v_pk_fma_f32 v[132:133], v[158:159], v[142:143], v[120:121] op_sel_hi:[1,0,1]
	v_pk_mul_f32 v[122:123], v[198:199], v[122:123] op_sel_hi:[1,0]
	v_mov_b32_e32 v119, v131
	v_pk_add_f32 v[126:127], v[126:127], v[206:207]
	v_pk_fma_f32 v[120:121], v[158:159], v[142:143], v[120:121] neg_lo:[0,0,1] neg_hi:[0,0,1]
	v_pk_mul_f32 v[124:125], v[162:163], v[146:147] op_sel:[1,1] op_sel_hi:[0,1]
	v_mov_b32_e32 v121, v133
	v_pk_fma_f32 v[132:133], v[160:161], v[144:145], v[122:123] op_sel_hi:[1,0,1]
	v_pk_add_f32 v[118:119], v[126:127], v[118:119]
	v_pk_fma_f32 v[122:123], v[160:161], v[144:145], v[122:123] neg_lo:[0,0,1] neg_hi:[0,0,1]
	v_pk_fma_f32 v[126:127], v[162:163], v[146:147], v[124:125] op_sel_hi:[1,0,1]
	v_pk_mul_f32 v[128:129], v[200:201], v[128:129] op_sel_hi:[1,0]
	v_mov_b32_e32 v123, v133
	v_pk_add_f32 v[118:119], v[118:119], v[120:121]
	v_pk_fma_f32 v[124:125], v[162:163], v[146:147], v[124:125] neg_lo:[0,0,1] neg_hi:[0,0,1]
	s_wait_loadcnt 0x2
	v_pk_mul_f32 v[130:131], v[166:167], v[150:151] op_sel:[1,1] op_sel_hi:[0,1]
	v_dual_mov_b32 v120, v153 :: v_dual_mov_b32 v125, v127
	v_pk_fma_f32 v[126:127], v[164:165], v[148:149], v[128:129] op_sel_hi:[1,0,1]
	v_pk_add_f32 v[118:119], v[118:119], v[122:123]
	v_pk_fma_f32 v[128:129], v[164:165], v[148:149], v[128:129] neg_lo:[0,0,1] neg_hi:[0,0,1]
	v_pk_fma_f32 v[122:123], v[166:167], v[150:151], v[130:131] op_sel_hi:[1,0,1]
	v_pk_mul_f32 v[120:121], v[202:203], v[120:121] op_sel_hi:[1,0]
	v_mov_b32_e32 v129, v127
	v_pk_add_f32 v[118:119], v[118:119], v[124:125]
	v_pk_fma_f32 v[124:125], v[166:167], v[150:151], v[130:131] neg_lo:[0,0,1] neg_hi:[0,0,1]
	v_mov_b32_e32 v125, v123
	v_pk_fma_f32 v[122:123], v[168:169], v[152:153], v[120:121] op_sel_hi:[1,0,1]
	s_wait_loadcnt_dscnt 0x100
	v_pk_mul_f32 v[126:127], v[194:195], v[190:191] op_sel:[1,1] op_sel_hi:[0,1]
	v_pk_add_f32 v[118:119], v[118:119], v[128:129]
	v_pk_fma_f32 v[120:121], v[168:169], v[152:153], v[120:121] neg_lo:[0,0,1] neg_hi:[0,0,1]
	v_mov_b32_e32 v121, v123
	s_delay_alu instid0(VALU_DEP_4) | instskip(NEXT) | instid1(VALU_DEP_4)
	v_pk_fma_f32 v[122:123], v[194:195], v[190:191], v[126:127] op_sel_hi:[1,0,1]
	v_pk_add_f32 v[118:119], v[118:119], v[124:125]
	v_pk_fma_f32 v[124:125], v[194:195], v[190:191], v[126:127] neg_lo:[0,0,1] neg_hi:[0,0,1]
	s_delay_alu instid0(VALU_DEP_3) | instskip(NEXT) | instid1(VALU_DEP_3)
	v_mov_b32_e32 v125, v123
	v_pk_add_f32 v[118:119], v[118:119], v[120:121]
	s_delay_alu instid0(VALU_DEP_1) | instskip(SKIP_1) | instid1(VALU_DEP_1)
	v_pk_add_f32 v[118:119], v[118:119], v[124:125]
	s_wait_loadcnt 0x0
	v_pk_add_f32 v[118:119], v[192:193], v[118:119] neg_lo:[0,1] neg_hi:[0,1]
	scratch_store_b64 off, v[118:119], off offset:304
	s_wait_xcnt 0x0
	v_cmpx_lt_u32_e32 37, v0
	s_cbranch_execz .LBB57_287
; %bb.286:
	scratch_load_b64 v[118:119], off, off offset:296
	v_mov_b64_e32 v[120:121], 0
	scratch_store_b64 off, v[120:121], off offset:296
	s_wait_loadcnt 0x0
	ds_store_b64 v1, v[118:119]
.LBB57_287:
	s_wait_xcnt 0x0
	s_or_b32 exec_lo, exec_lo, s0
	s_wait_storecnt_dscnt 0x0
	s_barrier_signal -1
	s_barrier_wait -1
	s_clause 0xa
	scratch_load_b128 v[118:121], off, off offset:304
	scratch_load_b128 v[122:125], off, off offset:320
	scratch_load_b128 v[126:129], off, off offset:336
	scratch_load_b128 v[130:133], off, off offset:352
	scratch_load_b128 v[134:137], off, off offset:368
	scratch_load_b128 v[138:141], off, off offset:384
	scratch_load_b128 v[142:145], off, off offset:400
	scratch_load_b128 v[146:149], off, off offset:416
	scratch_load_b128 v[150:153], off, off offset:432
	scratch_load_b128 v[154:157], off, off offset:448
	scratch_load_b64 v[198:199], off, off offset:296
	ds_load_b128 v[158:161], v7 offset:864
	ds_load_b128 v[162:165], v7 offset:880
	ds_load_b128 v[166:169], v7 offset:896
	ds_load_b128 v[170:173], v7 offset:912
	ds_load_b128 v[174:177], v7 offset:768
	ds_load_b128 v[178:181], v7 offset:784
	ds_load_b128 v[182:185], v7 offset:800
	ds_load_b128 v[186:189], v7 offset:816
	ds_load_b128 v[190:193], v7 offset:832
	ds_load_b128 v[194:197], v7 offset:848
	s_mov_b32 s0, exec_lo
	s_wait_dscnt 0x9
	v_dual_mov_b32 v200, v161 :: v_dual_mov_b32 v201, v160
	s_wait_dscnt 0x8
	v_dual_mov_b32 v202, v165 :: v_dual_mov_b32 v203, v164
	;; [unrolled: 2-line block ×4, first 2 shown]
	s_wait_loadcnt_dscnt 0xa05
	v_dual_mul_f32 v7, v174, v119 :: v_dual_mul_f32 v9, v176, v121
	v_dual_mul_f32 v27, v175, v119 :: v_dual_mul_f32 v29, v177, v121
	s_wait_loadcnt_dscnt 0x904
	v_dual_mul_f32 v11, v178, v123 :: v_dual_mul_f32 v13, v180, v125
	s_delay_alu instid0(VALU_DEP_3) | instskip(SKIP_3) | instid1(VALU_DEP_3)
	v_dual_fmac_f32 v7, v175, v118 :: v_dual_fmac_f32 v9, v177, v120
	s_wait_loadcnt_dscnt 0x702
	v_dual_fma_f32 v27, v174, v118, -v27 :: v_dual_mul_f32 v39, v187, v131
	v_dual_mul_f32 v31, v179, v123 :: v_dual_mul_f32 v33, v181, v125
	v_dual_fma_f32 v29, v176, v120, -v29 :: v_dual_add_f32 v7, 0, v7
	s_delay_alu instid0(VALU_DEP_3) | instskip(SKIP_1) | instid1(VALU_DEP_3)
	v_dual_add_f32 v27, 0, v27 :: v_dual_mul_f32 v41, v189, v133
	v_dual_fmac_f32 v11, v179, v122 :: v_dual_fmac_f32 v13, v181, v124
	v_dual_fma_f32 v31, v178, v122, -v31 :: v_dual_add_f32 v7, v7, v9
	s_delay_alu instid0(VALU_DEP_3) | instskip(SKIP_2) | instid1(VALU_DEP_4)
	v_dual_add_f32 v9, v27, v29 :: v_dual_fma_f32 v29, v180, v124, -v33
	v_dual_mul_f32 v15, v182, v127 :: v_dual_mul_f32 v17, v184, v129
	v_dual_mul_f32 v35, v183, v127 :: v_dual_mul_f32 v37, v185, v129
	v_add_f32_e32 v7, v7, v11
	s_delay_alu instid0(VALU_DEP_3) | instskip(NEXT) | instid1(VALU_DEP_3)
	v_dual_add_f32 v9, v9, v31 :: v_dual_fmac_f32 v15, v183, v126
	v_fma_f32 v31, v182, v126, -v35
	v_dual_mul_f32 v19, v186, v131 :: v_dual_mul_f32 v21, v188, v133
	s_delay_alu instid0(VALU_DEP_4) | instskip(SKIP_2) | instid1(VALU_DEP_2)
	v_dual_add_f32 v7, v7, v13 :: v_dual_fmac_f32 v17, v185, v128
	s_wait_loadcnt_dscnt 0x500
	v_dual_add_f32 v9, v9, v29 :: v_dual_mul_f32 v13, v195, v139
	v_dual_fma_f32 v29, v184, v128, -v37 :: v_dual_add_f32 v7, v7, v15
	v_mul_f32_e32 v15, v197, v141
	s_delay_alu instid0(VALU_DEP_3) | instskip(NEXT) | instid1(VALU_DEP_3)
	v_dual_add_f32 v9, v9, v31 :: v_dual_fmac_f32 v19, v187, v130
	v_dual_fma_f32 v31, v186, v130, -v39 :: v_dual_add_f32 v7, v7, v17
	v_fmac_f32_e32 v21, v189, v132
	s_delay_alu instid0(VALU_DEP_3) | instskip(SKIP_4) | instid1(VALU_DEP_3)
	v_dual_add_f32 v9, v9, v29 :: v_dual_fma_f32 v17, v188, v132, -v41
	v_dual_mul_f32 v23, v190, v135 :: v_dual_mul_f32 v25, v192, v137
	v_dual_mul_f32 v27, v191, v135 :: v_dual_mul_f32 v11, v193, v137
	s_wait_loadcnt 0x4
	v_dual_add_f32 v7, v7, v19 :: v_dual_mov_b32 v120, v145
	v_dual_add_f32 v9, v9, v31 :: v_dual_fmac_f32 v23, v191, v134
	s_delay_alu instid0(VALU_DEP_2) | instskip(SKIP_1) | instid1(VALU_DEP_3)
	v_dual_fma_f32 v19, v190, v134, -v27 :: v_dual_add_f32 v7, v7, v21
	v_dual_mul_f32 v209, v194, v139 :: v_dual_mul_f32 v211, v196, v141
	v_dual_add_f32 v9, v9, v17 :: v_dual_fma_f32 v11, v192, v136, -v11
	s_delay_alu instid0(VALU_DEP_3) | instskip(SKIP_1) | instid1(VALU_DEP_3)
	v_dual_fmac_f32 v25, v193, v136 :: v_dual_add_f32 v7, v7, v23
	v_pk_mul_f32 v[118:119], v[158:159], v[142:143] op_sel:[1,1] op_sel_hi:[0,1]
	v_dual_add_f32 v9, v9, v19 :: v_dual_fmac_f32 v209, v195, v138
	s_wait_loadcnt 0x3
	v_dual_mov_b32 v124, v149 :: v_dual_fma_f32 v208, v194, v138, -v13
	s_delay_alu instid0(VALU_DEP_2)
	v_dual_add_f32 v127, v7, v25 :: v_dual_add_f32 v126, v9, v11
	v_fmac_f32_e32 v211, v197, v140
	v_pk_fma_f32 v[128:129], v[158:159], v[142:143], v[118:119] op_sel_hi:[1,0,1]
	v_fma_f32 v210, v196, v140, -v15
	v_pk_mul_f32 v[120:121], v[200:201], v[120:121] op_sel_hi:[1,0]
	v_pk_add_f32 v[126:127], v[126:127], v[208:209]
	v_pk_fma_f32 v[118:119], v[158:159], v[142:143], v[118:119] neg_lo:[0,0,1] neg_hi:[0,0,1]
	v_pk_mul_f32 v[122:123], v[162:163], v[146:147] op_sel:[1,1] op_sel_hi:[0,1]
	v_mov_b32_e32 v119, v129
	v_pk_fma_f32 v[128:129], v[160:161], v[144:145], v[120:121] op_sel_hi:[1,0,1]
	v_pk_add_f32 v[126:127], v[126:127], v[210:211]
	v_pk_fma_f32 v[120:121], v[160:161], v[144:145], v[120:121] neg_lo:[0,0,1] neg_hi:[0,0,1]
	v_pk_fma_f32 v[132:133], v[162:163], v[146:147], v[122:123] op_sel_hi:[1,0,1]
	v_pk_mul_f32 v[124:125], v[202:203], v[124:125] op_sel_hi:[1,0]
	v_mov_b32_e32 v121, v129
	v_pk_add_f32 v[118:119], v[126:127], v[118:119]
	s_wait_loadcnt 0x2
	v_pk_mul_f32 v[130:131], v[166:167], v[150:151] op_sel:[1,1] op_sel_hi:[0,1]
	v_mov_b32_e32 v126, v153
	v_pk_fma_f32 v[122:123], v[162:163], v[146:147], v[122:123] neg_lo:[0,0,1] neg_hi:[0,0,1]
	v_pk_fma_f32 v[128:129], v[164:165], v[148:149], v[124:125] op_sel_hi:[1,0,1]
	v_mov_b32_e32 v123, v133
	v_pk_add_f32 v[118:119], v[118:119], v[120:121]
	v_pk_fma_f32 v[120:121], v[166:167], v[150:151], v[130:131] op_sel_hi:[1,0,1]
	v_pk_mul_f32 v[126:127], v[204:205], v[126:127] op_sel_hi:[1,0]
	v_pk_fma_f32 v[124:125], v[164:165], v[148:149], v[124:125] neg_lo:[0,0,1] neg_hi:[0,0,1]
	v_mov_b32_e32 v125, v129
	v_pk_add_f32 v[118:119], v[118:119], v[122:123]
	v_pk_fma_f32 v[128:129], v[166:167], v[150:151], v[130:131] neg_lo:[0,0,1] neg_hi:[0,0,1]
	v_mov_b32_e32 v129, v121
	v_pk_fma_f32 v[120:121], v[168:169], v[152:153], v[126:127] op_sel_hi:[1,0,1]
	s_wait_loadcnt 0x1
	v_pk_mul_f32 v[122:123], v[170:171], v[154:155] op_sel:[1,1] op_sel_hi:[0,1]
	v_pk_add_f32 v[118:119], v[118:119], v[124:125]
	v_mov_b32_e32 v120, v157
	v_pk_fma_f32 v[126:127], v[168:169], v[152:153], v[126:127] neg_lo:[0,0,1] neg_hi:[0,0,1]
	s_delay_alu instid0(VALU_DEP_4)
	v_pk_fma_f32 v[124:125], v[170:171], v[154:155], v[122:123] op_sel_hi:[1,0,1]
	v_mov_b32_e32 v127, v121
	v_pk_add_f32 v[118:119], v[118:119], v[128:129]
	v_pk_mul_f32 v[120:121], v[206:207], v[120:121] op_sel_hi:[1,0]
	v_pk_fma_f32 v[122:123], v[170:171], v[154:155], v[122:123] neg_lo:[0,0,1] neg_hi:[0,0,1]
	v_mov_b32_e32 v123, v125
	s_delay_alu instid0(VALU_DEP_4) | instskip(NEXT) | instid1(VALU_DEP_4)
	v_pk_add_f32 v[118:119], v[118:119], v[126:127]
	v_pk_fma_f32 v[124:125], v[172:173], v[156:157], v[120:121] op_sel_hi:[1,0,1]
	v_pk_fma_f32 v[120:121], v[172:173], v[156:157], v[120:121] neg_lo:[0,0,1] neg_hi:[0,0,1]
	s_delay_alu instid0(VALU_DEP_3) | instskip(NEXT) | instid1(VALU_DEP_3)
	v_pk_add_f32 v[118:119], v[118:119], v[122:123]
	v_mov_b32_e32 v121, v125
	s_delay_alu instid0(VALU_DEP_1) | instskip(SKIP_1) | instid1(VALU_DEP_1)
	v_pk_add_f32 v[118:119], v[118:119], v[120:121]
	s_wait_loadcnt 0x0
	v_pk_add_f32 v[118:119], v[198:199], v[118:119] neg_lo:[0,1] neg_hi:[0,1]
	scratch_store_b64 off, v[118:119], off offset:296
	s_wait_xcnt 0x0
	v_cmpx_lt_u32_e32 36, v0
	s_cbranch_execz .LBB57_289
; %bb.288:
	scratch_load_b64 v[118:119], off, off offset:288
	v_mov_b64_e32 v[120:121], 0
	scratch_store_b64 off, v[120:121], off offset:288
	s_wait_loadcnt 0x0
	ds_store_b64 v1, v[118:119]
.LBB57_289:
	s_wait_xcnt 0x0
	s_or_b32 exec_lo, exec_lo, s0
	s_wait_storecnt_dscnt 0x0
	s_barrier_signal -1
	s_barrier_wait -1
	s_clause 0xb
	scratch_load_b128 v[118:121], off, off offset:296
	scratch_load_b128 v[122:125], off, off offset:312
	;; [unrolled: 1-line block ×10, first 2 shown]
	scratch_load_b64 v[198:199], off, off offset:456
	scratch_load_b64 v[200:201], off, off offset:288
	v_mov_b32_e32 v7, 0
	ds_load_2addr_b64 v[158:161], v7 offset0:107 offset1:108
	ds_load_2addr_b64 v[162:165], v7 offset0:109 offset1:110
	;; [unrolled: 1-line block ×10, first 2 shown]
	ds_load_b64 v[202:203], v7 offset:920
	s_mov_b32 s0, exec_lo
	s_wait_dscnt 0xa
	v_dual_mov_b32 v204, v161 :: v_dual_mov_b32 v205, v160
	s_wait_dscnt 0x7
	v_dual_mov_b32 v206, v165 :: v_dual_mov_b32 v211, v172
	v_dual_mov_b32 v207, v164 :: v_dual_mov_b32 v208, v169
	;; [unrolled: 1-line block ×3, first 2 shown]
	s_wait_loadcnt_dscnt 0xb06
	v_dual_mul_f32 v9, v174, v119 :: v_dual_mul_f32 v31, v175, v119
	v_dual_mul_f32 v33, v177, v121 :: v_dual_mul_f32 v11, v176, v121
	s_wait_loadcnt_dscnt 0xa05
	v_mul_f32_e32 v13, v178, v123
	s_wait_loadcnt_dscnt 0x803
	v_dual_mul_f32 v43, v187, v131 :: v_dual_fma_f32 v31, v174, v118, -v31
	v_dual_fmac_f32 v9, v175, v118 :: v_dual_mul_f32 v45, v189, v133
	v_dual_mul_f32 v35, v179, v123 :: v_dual_mul_f32 v37, v181, v125
	v_dual_fmac_f32 v11, v177, v120 :: v_dual_fma_f32 v33, v176, v120, -v33
	s_delay_alu instid0(VALU_DEP_3) | instskip(SKIP_3) | instid1(VALU_DEP_3)
	v_dual_add_f32 v9, 0, v9 :: v_dual_add_f32 v31, 0, v31
	v_dual_mul_f32 v15, v180, v125 :: v_dual_mul_f32 v17, v182, v127
	s_wait_loadcnt_dscnt 0x702
	v_dual_mul_f32 v47, v191, v135 :: v_dual_fma_f32 v35, v178, v122, -v35
	v_dual_fmac_f32 v13, v179, v122 :: v_dual_add_f32 v9, v9, v11
	s_delay_alu instid0(VALU_DEP_3) | instskip(SKIP_2) | instid1(VALU_DEP_3)
	v_dual_add_f32 v11, v31, v33 :: v_dual_fmac_f32 v15, v181, v124
	v_dual_mul_f32 v39, v183, v127 :: v_dual_mul_f32 v41, v185, v129
	v_dual_mul_f32 v31, v193, v137 :: v_dual_fma_f32 v33, v180, v124, -v37
	v_dual_add_f32 v9, v9, v13 :: v_dual_add_f32 v11, v11, v35
	v_dual_mul_f32 v19, v184, v129 :: v_dual_mul_f32 v21, v186, v131
	s_wait_loadcnt_dscnt 0x601
	v_dual_mul_f32 v13, v195, v139 :: v_dual_fma_f32 v35, v182, v126, -v39
	s_delay_alu instid0(VALU_DEP_3) | instskip(NEXT) | instid1(VALU_DEP_3)
	v_dual_fmac_f32 v17, v183, v126 :: v_dual_add_f32 v9, v9, v15
	v_dual_add_f32 v11, v11, v33 :: v_dual_fmac_f32 v19, v185, v128
	v_dual_mul_f32 v15, v197, v141 :: v_dual_fma_f32 v33, v184, v128, -v41
	s_delay_alu instid0(VALU_DEP_2) | instskip(SKIP_3) | instid1(VALU_DEP_3)
	v_dual_add_f32 v9, v9, v17 :: v_dual_add_f32 v11, v11, v35
	v_dual_mul_f32 v23, v188, v133 :: v_dual_mul_f32 v25, v190, v135
	s_wait_loadcnt 0x5
	v_dual_mul_f32 v17, v159, v143 :: v_dual_fma_f32 v35, v186, v130, -v43
	v_dual_fmac_f32 v21, v187, v130 :: v_dual_add_f32 v9, v9, v19
	v_dual_add_f32 v11, v11, v33 :: v_dual_mov_b32 v118, v145
	v_dual_fmac_f32 v23, v189, v132 :: v_dual_fma_f32 v19, v188, v132, -v45
	s_delay_alu instid0(VALU_DEP_2) | instskip(SKIP_2) | instid1(VALU_DEP_3)
	v_dual_add_f32 v9, v9, v21 :: v_dual_add_f32 v11, v11, v35
	v_dual_mul_f32 v27, v192, v137 :: v_dual_mul_f32 v29, v194, v139
	v_dual_fmac_f32 v25, v191, v134 :: v_dual_fma_f32 v21, v190, v134, -v47
	v_add_f32_e32 v9, v9, v23
	s_wait_loadcnt 0x4
	v_dual_add_f32 v11, v11, v19 :: v_dual_mov_b32 v122, v149
	v_fmac_f32_e32 v27, v193, v136
	s_delay_alu instid0(VALU_DEP_3) | instskip(SKIP_1) | instid1(VALU_DEP_4)
	v_dual_fma_f32 v19, v192, v136, -v31 :: v_dual_add_f32 v9, v9, v25
	v_fmac_f32_e32 v29, v195, v138
	v_add_f32_e32 v11, v11, v21
	v_dual_mul_f32 v213, v196, v141 :: v_dual_mul_f32 v215, v158, v143
	s_delay_alu instid0(VALU_DEP_4) | instskip(NEXT) | instid1(VALU_DEP_2)
	v_dual_fma_f32 v13, v194, v138, -v13 :: v_dual_add_f32 v9, v9, v27
	v_dual_add_f32 v11, v11, v19 :: v_dual_fmac_f32 v213, v197, v140
	v_fma_f32 v212, v196, v140, -v15
	v_pk_mul_f32 v[118:119], v[204:205], v[118:119] op_sel_hi:[1,0]
	s_delay_alu instid0(VALU_DEP_4)
	v_add_f32_e32 v127, v9, v29
	s_wait_loadcnt 0x3
	v_dual_add_f32 v126, v11, v13 :: v_dual_mov_b32 v128, v153
	v_pk_mul_f32 v[120:121], v[162:163], v[146:147] op_sel:[1,1] op_sel_hi:[0,1]
	v_dual_fmac_f32 v215, v159, v142 :: v_dual_fma_f32 v214, v158, v142, -v17
	v_pk_fma_f32 v[130:131], v[160:161], v[144:145], v[118:119] op_sel_hi:[1,0,1]
	s_delay_alu instid0(VALU_DEP_4)
	v_pk_add_f32 v[126:127], v[126:127], v[212:213]
	v_pk_fma_f32 v[118:119], v[160:161], v[144:145], v[118:119] neg_lo:[0,0,1] neg_hi:[0,0,1]
	v_pk_fma_f32 v[132:133], v[162:163], v[146:147], v[120:121] op_sel_hi:[1,0,1]
	v_pk_mul_f32 v[122:123], v[206:207], v[122:123] op_sel_hi:[1,0]
	v_mov_b32_e32 v119, v131
	v_pk_add_f32 v[126:127], v[126:127], v[214:215]
	v_pk_fma_f32 v[120:121], v[162:163], v[146:147], v[120:121] neg_lo:[0,0,1] neg_hi:[0,0,1]
	v_pk_mul_f32 v[124:125], v[166:167], v[150:151] op_sel:[1,1] op_sel_hi:[0,1]
	v_mov_b32_e32 v121, v133
	v_pk_fma_f32 v[132:133], v[164:165], v[148:149], v[122:123] op_sel_hi:[1,0,1]
	v_pk_add_f32 v[118:119], v[126:127], v[118:119]
	v_pk_fma_f32 v[122:123], v[164:165], v[148:149], v[122:123] neg_lo:[0,0,1] neg_hi:[0,0,1]
	v_pk_fma_f32 v[126:127], v[166:167], v[150:151], v[124:125] op_sel_hi:[1,0,1]
	v_pk_mul_f32 v[128:129], v[208:209], v[128:129] op_sel_hi:[1,0]
	v_mov_b32_e32 v123, v133
	v_pk_add_f32 v[118:119], v[118:119], v[120:121]
	v_pk_fma_f32 v[124:125], v[166:167], v[150:151], v[124:125] neg_lo:[0,0,1] neg_hi:[0,0,1]
	s_wait_loadcnt 0x2
	v_pk_mul_f32 v[130:131], v[170:171], v[154:155] op_sel:[1,1] op_sel_hi:[0,1]
	v_dual_mov_b32 v120, v157 :: v_dual_mov_b32 v125, v127
	v_pk_fma_f32 v[126:127], v[168:169], v[152:153], v[128:129] op_sel_hi:[1,0,1]
	v_pk_add_f32 v[118:119], v[118:119], v[122:123]
	v_pk_fma_f32 v[128:129], v[168:169], v[152:153], v[128:129] neg_lo:[0,0,1] neg_hi:[0,0,1]
	v_pk_fma_f32 v[122:123], v[170:171], v[154:155], v[130:131] op_sel_hi:[1,0,1]
	v_pk_mul_f32 v[120:121], v[210:211], v[120:121] op_sel_hi:[1,0]
	v_mov_b32_e32 v129, v127
	v_pk_add_f32 v[118:119], v[118:119], v[124:125]
	v_pk_fma_f32 v[124:125], v[170:171], v[154:155], v[130:131] neg_lo:[0,0,1] neg_hi:[0,0,1]
	v_mov_b32_e32 v125, v123
	v_pk_fma_f32 v[122:123], v[172:173], v[156:157], v[120:121] op_sel_hi:[1,0,1]
	s_wait_loadcnt_dscnt 0x100
	v_pk_mul_f32 v[126:127], v[202:203], v[198:199] op_sel:[1,1] op_sel_hi:[0,1]
	v_pk_add_f32 v[118:119], v[118:119], v[128:129]
	v_pk_fma_f32 v[120:121], v[172:173], v[156:157], v[120:121] neg_lo:[0,0,1] neg_hi:[0,0,1]
	v_mov_b32_e32 v121, v123
	s_delay_alu instid0(VALU_DEP_4) | instskip(NEXT) | instid1(VALU_DEP_4)
	v_pk_fma_f32 v[122:123], v[202:203], v[198:199], v[126:127] op_sel_hi:[1,0,1]
	v_pk_add_f32 v[118:119], v[118:119], v[124:125]
	v_pk_fma_f32 v[124:125], v[202:203], v[198:199], v[126:127] neg_lo:[0,0,1] neg_hi:[0,0,1]
	s_delay_alu instid0(VALU_DEP_3) | instskip(NEXT) | instid1(VALU_DEP_3)
	v_mov_b32_e32 v125, v123
	v_pk_add_f32 v[118:119], v[118:119], v[120:121]
	s_delay_alu instid0(VALU_DEP_1) | instskip(SKIP_1) | instid1(VALU_DEP_1)
	v_pk_add_f32 v[118:119], v[118:119], v[124:125]
	s_wait_loadcnt 0x0
	v_pk_add_f32 v[118:119], v[200:201], v[118:119] neg_lo:[0,1] neg_hi:[0,1]
	scratch_store_b64 off, v[118:119], off offset:288
	s_wait_xcnt 0x0
	v_cmpx_lt_u32_e32 35, v0
	s_cbranch_execz .LBB57_291
; %bb.290:
	scratch_load_b64 v[118:119], off, off offset:280
	v_mov_b64_e32 v[120:121], 0
	scratch_store_b64 off, v[120:121], off offset:280
	s_wait_loadcnt 0x0
	ds_store_b64 v1, v[118:119]
.LBB57_291:
	s_wait_xcnt 0x0
	s_or_b32 exec_lo, exec_lo, s0
	s_wait_storecnt_dscnt 0x0
	s_barrier_signal -1
	s_barrier_wait -1
	s_clause 0xb
	scratch_load_b128 v[118:121], off, off offset:288
	scratch_load_b128 v[122:125], off, off offset:304
	;; [unrolled: 1-line block ×11, first 2 shown]
	scratch_load_b64 v[206:207], off, off offset:280
	ds_load_b128 v[162:165], v7 offset:864
	ds_load_b128 v[166:169], v7 offset:880
	;; [unrolled: 1-line block ×11, first 2 shown]
	s_mov_b32 s0, exec_lo
	s_wait_dscnt 0xa
	v_dual_mov_b32 v208, v165 :: v_dual_mov_b32 v209, v164
	s_wait_dscnt 0x9
	v_dual_mov_b32 v210, v169 :: v_dual_mov_b32 v211, v168
	;; [unrolled: 2-line block ×4, first 2 shown]
	s_wait_loadcnt_dscnt 0xb06
	v_dual_mul_f32 v7, v178, v119 :: v_dual_mul_f32 v9, v180, v121
	v_dual_mul_f32 v31, v179, v119 :: v_dual_mul_f32 v33, v181, v121
	s_wait_loadcnt_dscnt 0xa05
	v_dual_mul_f32 v11, v182, v123 :: v_dual_mul_f32 v13, v184, v125
	s_delay_alu instid0(VALU_DEP_3) | instskip(SKIP_3) | instid1(VALU_DEP_3)
	v_dual_fmac_f32 v7, v179, v118 :: v_dual_fmac_f32 v9, v181, v120
	s_wait_loadcnt_dscnt 0x803
	v_dual_fma_f32 v31, v178, v118, -v31 :: v_dual_mul_f32 v43, v191, v131
	v_dual_mul_f32 v35, v183, v123 :: v_dual_mul_f32 v37, v185, v125
	v_dual_fma_f32 v33, v180, v120, -v33 :: v_dual_add_f32 v7, 0, v7
	s_delay_alu instid0(VALU_DEP_3) | instskip(SKIP_1) | instid1(VALU_DEP_3)
	v_dual_add_f32 v31, 0, v31 :: v_dual_mul_f32 v45, v193, v133
	v_dual_fmac_f32 v11, v183, v122 :: v_dual_fmac_f32 v13, v185, v124
	v_dual_fma_f32 v35, v182, v122, -v35 :: v_dual_add_f32 v7, v7, v9
	s_delay_alu instid0(VALU_DEP_3) | instskip(SKIP_2) | instid1(VALU_DEP_4)
	v_dual_add_f32 v9, v31, v33 :: v_dual_fma_f32 v33, v184, v124, -v37
	v_dual_mul_f32 v15, v186, v127 :: v_dual_mul_f32 v17, v188, v129
	v_dual_mul_f32 v39, v187, v127 :: v_dual_mul_f32 v41, v189, v129
	v_add_f32_e32 v7, v7, v11
	s_delay_alu instid0(VALU_DEP_3) | instskip(NEXT) | instid1(VALU_DEP_3)
	v_dual_add_f32 v9, v9, v35 :: v_dual_fmac_f32 v15, v187, v126
	v_fma_f32 v35, v186, v126, -v39
	v_dual_mul_f32 v19, v190, v131 :: v_dual_mul_f32 v21, v192, v133
	s_delay_alu instid0(VALU_DEP_4) | instskip(SKIP_2) | instid1(VALU_DEP_2)
	v_dual_add_f32 v7, v7, v13 :: v_dual_fmac_f32 v17, v189, v128
	s_wait_loadcnt_dscnt 0x601
	v_dual_add_f32 v9, v9, v33 :: v_dual_mul_f32 v13, v199, v139
	v_dual_fma_f32 v33, v188, v128, -v41 :: v_dual_add_f32 v7, v7, v15
	v_mul_f32_e32 v15, v201, v141
	s_delay_alu instid0(VALU_DEP_3) | instskip(NEXT) | instid1(VALU_DEP_3)
	v_dual_add_f32 v9, v9, v35 :: v_dual_fmac_f32 v19, v191, v130
	v_dual_fma_f32 v35, v190, v130, -v43 :: v_dual_add_f32 v7, v7, v17
	v_fmac_f32_e32 v21, v193, v132
	s_wait_loadcnt_dscnt 0x500
	s_delay_alu instid0(VALU_DEP_3) | instskip(SKIP_3) | instid1(VALU_DEP_3)
	v_dual_add_f32 v9, v9, v33 :: v_dual_mul_f32 v17, v203, v143
	v_dual_mul_f32 v23, v194, v135 :: v_dual_mul_f32 v25, v196, v137
	v_dual_mul_f32 v31, v195, v135 :: v_dual_mul_f32 v11, v197, v137
	v_dual_fma_f32 v33, v192, v132, -v45 :: v_dual_add_f32 v7, v7, v19
	v_dual_add_f32 v9, v9, v35 :: v_dual_fmac_f32 v23, v195, v134
	s_delay_alu instid0(VALU_DEP_3) | instskip(NEXT) | instid1(VALU_DEP_3)
	v_dual_mul_f32 v19, v205, v145 :: v_dual_fma_f32 v31, v194, v134, -v31
	v_dual_add_f32 v7, v7, v21 :: v_dual_fmac_f32 v25, v197, v136
	s_delay_alu instid0(VALU_DEP_3) | instskip(SKIP_2) | instid1(VALU_DEP_3)
	v_dual_add_f32 v9, v9, v33 :: v_dual_fma_f32 v11, v196, v136, -v11
	v_dual_mul_f32 v27, v198, v139 :: v_dual_mul_f32 v29, v200, v141
	s_wait_loadcnt 0x4
	v_dual_add_f32 v7, v7, v23 :: v_dual_mov_b32 v120, v149
	s_delay_alu instid0(VALU_DEP_2) | instskip(NEXT) | instid1(VALU_DEP_2)
	v_dual_add_f32 v9, v9, v31 :: v_dual_fmac_f32 v27, v199, v138
	v_dual_fma_f32 v13, v198, v138, -v13 :: v_dual_add_f32 v7, v7, v25
	v_dual_mul_f32 v217, v202, v143 :: v_dual_mul_f32 v219, v204, v145
	s_delay_alu instid0(VALU_DEP_3) | instskip(NEXT) | instid1(VALU_DEP_3)
	v_dual_add_f32 v9, v9, v11 :: v_dual_fma_f32 v11, v200, v140, -v15
	v_dual_fmac_f32 v29, v201, v140 :: v_dual_add_f32 v7, v7, v27
	v_pk_mul_f32 v[118:119], v[162:163], v[146:147] op_sel:[1,1] op_sel_hi:[0,1]
	s_delay_alu instid0(VALU_DEP_3) | instskip(SKIP_2) | instid1(VALU_DEP_2)
	v_dual_add_f32 v9, v9, v13 :: v_dual_fmac_f32 v217, v203, v142
	s_wait_loadcnt 0x3
	v_dual_mov_b32 v124, v153 :: v_dual_fma_f32 v216, v202, v142, -v17
	v_dual_add_f32 v127, v7, v29 :: v_dual_add_f32 v126, v9, v11
	v_fmac_f32_e32 v219, v205, v144
	v_pk_fma_f32 v[128:129], v[162:163], v[146:147], v[118:119] op_sel_hi:[1,0,1]
	v_fma_f32 v218, v204, v144, -v19
	v_pk_mul_f32 v[120:121], v[208:209], v[120:121] op_sel_hi:[1,0]
	v_pk_add_f32 v[126:127], v[126:127], v[216:217]
	v_pk_fma_f32 v[118:119], v[162:163], v[146:147], v[118:119] neg_lo:[0,0,1] neg_hi:[0,0,1]
	v_pk_mul_f32 v[122:123], v[166:167], v[150:151] op_sel:[1,1] op_sel_hi:[0,1]
	v_mov_b32_e32 v119, v129
	v_pk_fma_f32 v[128:129], v[164:165], v[148:149], v[120:121] op_sel_hi:[1,0,1]
	v_pk_add_f32 v[126:127], v[126:127], v[218:219]
	v_pk_fma_f32 v[120:121], v[164:165], v[148:149], v[120:121] neg_lo:[0,0,1] neg_hi:[0,0,1]
	v_pk_fma_f32 v[132:133], v[166:167], v[150:151], v[122:123] op_sel_hi:[1,0,1]
	v_pk_mul_f32 v[124:125], v[210:211], v[124:125] op_sel_hi:[1,0]
	v_mov_b32_e32 v121, v129
	v_pk_add_f32 v[118:119], v[126:127], v[118:119]
	s_wait_loadcnt 0x2
	v_pk_mul_f32 v[130:131], v[170:171], v[154:155] op_sel:[1,1] op_sel_hi:[0,1]
	v_mov_b32_e32 v126, v157
	v_pk_fma_f32 v[122:123], v[166:167], v[150:151], v[122:123] neg_lo:[0,0,1] neg_hi:[0,0,1]
	v_pk_fma_f32 v[128:129], v[168:169], v[152:153], v[124:125] op_sel_hi:[1,0,1]
	v_mov_b32_e32 v123, v133
	v_pk_add_f32 v[118:119], v[118:119], v[120:121]
	v_pk_fma_f32 v[120:121], v[170:171], v[154:155], v[130:131] op_sel_hi:[1,0,1]
	v_pk_mul_f32 v[126:127], v[212:213], v[126:127] op_sel_hi:[1,0]
	v_pk_fma_f32 v[124:125], v[168:169], v[152:153], v[124:125] neg_lo:[0,0,1] neg_hi:[0,0,1]
	v_mov_b32_e32 v125, v129
	v_pk_add_f32 v[118:119], v[118:119], v[122:123]
	v_pk_fma_f32 v[128:129], v[170:171], v[154:155], v[130:131] neg_lo:[0,0,1] neg_hi:[0,0,1]
	v_mov_b32_e32 v129, v121
	v_pk_fma_f32 v[120:121], v[172:173], v[156:157], v[126:127] op_sel_hi:[1,0,1]
	s_wait_loadcnt 0x1
	v_pk_mul_f32 v[122:123], v[174:175], v[158:159] op_sel:[1,1] op_sel_hi:[0,1]
	v_pk_add_f32 v[118:119], v[118:119], v[124:125]
	v_mov_b32_e32 v120, v161
	v_pk_fma_f32 v[126:127], v[172:173], v[156:157], v[126:127] neg_lo:[0,0,1] neg_hi:[0,0,1]
	s_delay_alu instid0(VALU_DEP_4)
	v_pk_fma_f32 v[124:125], v[174:175], v[158:159], v[122:123] op_sel_hi:[1,0,1]
	v_mov_b32_e32 v127, v121
	v_pk_add_f32 v[118:119], v[118:119], v[128:129]
	v_pk_mul_f32 v[120:121], v[214:215], v[120:121] op_sel_hi:[1,0]
	v_pk_fma_f32 v[122:123], v[174:175], v[158:159], v[122:123] neg_lo:[0,0,1] neg_hi:[0,0,1]
	v_mov_b32_e32 v123, v125
	s_delay_alu instid0(VALU_DEP_4) | instskip(NEXT) | instid1(VALU_DEP_4)
	v_pk_add_f32 v[118:119], v[118:119], v[126:127]
	v_pk_fma_f32 v[124:125], v[176:177], v[160:161], v[120:121] op_sel_hi:[1,0,1]
	v_pk_fma_f32 v[120:121], v[176:177], v[160:161], v[120:121] neg_lo:[0,0,1] neg_hi:[0,0,1]
	s_delay_alu instid0(VALU_DEP_3) | instskip(NEXT) | instid1(VALU_DEP_3)
	v_pk_add_f32 v[118:119], v[118:119], v[122:123]
	v_mov_b32_e32 v121, v125
	s_delay_alu instid0(VALU_DEP_1) | instskip(SKIP_1) | instid1(VALU_DEP_1)
	v_pk_add_f32 v[118:119], v[118:119], v[120:121]
	s_wait_loadcnt 0x0
	v_pk_add_f32 v[118:119], v[206:207], v[118:119] neg_lo:[0,1] neg_hi:[0,1]
	scratch_store_b64 off, v[118:119], off offset:280
	s_wait_xcnt 0x0
	v_cmpx_lt_u32_e32 34, v0
	s_cbranch_execz .LBB57_293
; %bb.292:
	scratch_load_b64 v[118:119], off, off offset:272
	v_mov_b64_e32 v[120:121], 0
	scratch_store_b64 off, v[120:121], off offset:272
	s_wait_loadcnt 0x0
	ds_store_b64 v1, v[118:119]
.LBB57_293:
	s_wait_xcnt 0x0
	s_or_b32 exec_lo, exec_lo, s0
	s_wait_storecnt_dscnt 0x0
	s_barrier_signal -1
	s_barrier_wait -1
	s_clause 0xc
	scratch_load_b128 v[118:121], off, off offset:280
	scratch_load_b128 v[122:125], off, off offset:296
	;; [unrolled: 1-line block ×11, first 2 shown]
	scratch_load_b64 v[206:207], off, off offset:456
	scratch_load_b64 v[208:209], off, off offset:272
	v_mov_b32_e32 v7, 0
	ds_load_2addr_b64 v[162:165], v7 offset0:107 offset1:108
	ds_load_2addr_b64 v[166:169], v7 offset0:109 offset1:110
	;; [unrolled: 1-line block ×11, first 2 shown]
	ds_load_b64 v[210:211], v7 offset:920
	s_mov_b32 s0, exec_lo
	s_wait_dscnt 0xb
	v_dual_mov_b32 v212, v165 :: v_dual_mov_b32 v213, v164
	s_wait_dscnt 0x8
	v_dual_mov_b32 v214, v169 :: v_dual_mov_b32 v219, v176
	v_dual_mov_b32 v215, v168 :: v_dual_mov_b32 v216, v173
	;; [unrolled: 1-line block ×3, first 2 shown]
	s_wait_loadcnt_dscnt 0xc07
	v_dual_mul_f32 v9, v178, v119 :: v_dual_mul_f32 v35, v179, v119
	v_dual_mul_f32 v37, v181, v121 :: v_dual_mul_f32 v11, v180, v121
	s_wait_loadcnt_dscnt 0xb06
	v_mul_f32_e32 v13, v182, v123
	s_wait_loadcnt_dscnt 0x904
	v_dual_mul_f32 v47, v191, v131 :: v_dual_fma_f32 v35, v178, v118, -v35
	v_dual_fmac_f32 v9, v179, v118 :: v_dual_mul_f32 v49, v193, v133
	v_dual_mul_f32 v39, v183, v123 :: v_dual_mul_f32 v41, v185, v125
	v_dual_fmac_f32 v11, v181, v120 :: v_dual_fma_f32 v37, v180, v120, -v37
	s_delay_alu instid0(VALU_DEP_3) | instskip(SKIP_3) | instid1(VALU_DEP_3)
	v_dual_add_f32 v9, 0, v9 :: v_dual_add_f32 v35, 0, v35
	v_dual_mul_f32 v15, v184, v125 :: v_dual_mul_f32 v17, v186, v127
	s_wait_loadcnt_dscnt 0x803
	v_dual_mul_f32 v51, v195, v135 :: v_dual_fma_f32 v39, v182, v122, -v39
	v_dual_fmac_f32 v13, v183, v122 :: v_dual_add_f32 v9, v9, v11
	s_delay_alu instid0(VALU_DEP_3) | instskip(SKIP_2) | instid1(VALU_DEP_3)
	v_dual_add_f32 v11, v35, v37 :: v_dual_fmac_f32 v15, v185, v124
	v_dual_mul_f32 v43, v187, v127 :: v_dual_mul_f32 v45, v189, v129
	v_dual_mul_f32 v35, v197, v137 :: v_dual_fma_f32 v37, v184, v124, -v41
	v_dual_add_f32 v9, v9, v13 :: v_dual_add_f32 v11, v11, v39
	v_dual_mul_f32 v19, v188, v129 :: v_dual_mul_f32 v21, v190, v131
	s_wait_loadcnt_dscnt 0x701
	v_dual_mul_f32 v13, v203, v139 :: v_dual_fma_f32 v39, v186, v126, -v43
	s_delay_alu instid0(VALU_DEP_3) | instskip(NEXT) | instid1(VALU_DEP_3)
	v_dual_fmac_f32 v17, v187, v126 :: v_dual_add_f32 v9, v9, v15
	v_dual_add_f32 v11, v11, v37 :: v_dual_fmac_f32 v19, v189, v128
	v_dual_mul_f32 v15, v205, v141 :: v_dual_fma_f32 v37, v188, v128, -v45
	s_delay_alu instid0(VALU_DEP_2) | instskip(SKIP_3) | instid1(VALU_DEP_3)
	v_dual_add_f32 v9, v9, v17 :: v_dual_add_f32 v11, v11, v39
	v_dual_mul_f32 v23, v192, v133 :: v_dual_mul_f32 v25, v194, v135
	s_wait_loadcnt 0x6
	v_dual_mul_f32 v17, v199, v143 :: v_dual_fma_f32 v39, v190, v130, -v47
	v_dual_fmac_f32 v21, v191, v130 :: v_dual_add_f32 v9, v9, v19
	s_delay_alu instid0(VALU_DEP_3) | instskip(SKIP_1) | instid1(VALU_DEP_2)
	v_dual_add_f32 v11, v11, v37 :: v_dual_fmac_f32 v23, v193, v132
	v_dual_mul_f32 v19, v201, v145 :: v_dual_fma_f32 v37, v192, v132, -v49
	v_dual_add_f32 v9, v9, v21 :: v_dual_add_f32 v11, v11, v39
	v_dual_mul_f32 v27, v196, v137 :: v_dual_mul_f32 v29, v202, v139
	s_wait_loadcnt 0x5
	v_dual_mul_f32 v21, v163, v147 :: v_dual_fma_f32 v39, v194, v134, -v51
	s_delay_alu instid0(VALU_DEP_3) | instskip(SKIP_2) | instid1(VALU_DEP_3)
	v_dual_fmac_f32 v25, v195, v134 :: v_dual_add_f32 v9, v9, v23
	v_dual_add_f32 v11, v11, v37 :: v_dual_mov_b32 v118, v149
	v_fmac_f32_e32 v27, v197, v136
	v_dual_fma_f32 v23, v196, v136, -v35 :: v_dual_add_f32 v9, v9, v25
	s_delay_alu instid0(VALU_DEP_3) | instskip(SKIP_1) | instid1(VALU_DEP_3)
	v_dual_add_f32 v11, v11, v39 :: v_dual_mul_f32 v31, v204, v141
	v_dual_mul_f32 v33, v198, v143 :: v_dual_fmac_f32 v29, v203, v138
	v_dual_add_f32 v9, v9, v27 :: v_dual_fma_f32 v13, v202, v138, -v13
	s_wait_loadcnt 0x4
	s_delay_alu instid0(VALU_DEP_3) | instskip(SKIP_3) | instid1(VALU_DEP_4)
	v_dual_add_f32 v11, v11, v23 :: v_dual_mov_b32 v122, v153
	v_fma_f32 v15, v204, v140, -v15
	v_fmac_f32_e32 v31, v205, v140
	v_dual_add_f32 v9, v9, v29 :: v_dual_fmac_f32 v33, v199, v142
	v_add_f32_e32 v11, v11, v13
	v_dual_mul_f32 v221, v200, v145 :: v_dual_mul_f32 v223, v162, v147
	s_delay_alu instid0(VALU_DEP_3) | instskip(NEXT) | instid1(VALU_DEP_2)
	v_dual_fma_f32 v13, v198, v142, -v17 :: v_dual_add_f32 v9, v9, v31
	v_dual_add_f32 v11, v11, v15 :: v_dual_fmac_f32 v221, v201, v144
	v_fma_f32 v220, v200, v144, -v19
	v_pk_mul_f32 v[118:119], v[212:213], v[118:119] op_sel_hi:[1,0]
	s_delay_alu instid0(VALU_DEP_4)
	v_add_f32_e32 v127, v9, v33
	s_wait_loadcnt 0x3
	v_dual_add_f32 v126, v11, v13 :: v_dual_mov_b32 v128, v157
	v_pk_mul_f32 v[120:121], v[166:167], v[150:151] op_sel:[1,1] op_sel_hi:[0,1]
	v_dual_fmac_f32 v223, v163, v146 :: v_dual_fma_f32 v222, v162, v146, -v21
	v_pk_fma_f32 v[130:131], v[164:165], v[148:149], v[118:119] op_sel_hi:[1,0,1]
	s_delay_alu instid0(VALU_DEP_4)
	v_pk_add_f32 v[126:127], v[126:127], v[220:221]
	v_pk_fma_f32 v[118:119], v[164:165], v[148:149], v[118:119] neg_lo:[0,0,1] neg_hi:[0,0,1]
	v_pk_fma_f32 v[132:133], v[166:167], v[150:151], v[120:121] op_sel_hi:[1,0,1]
	v_pk_mul_f32 v[122:123], v[214:215], v[122:123] op_sel_hi:[1,0]
	v_mov_b32_e32 v119, v131
	v_pk_add_f32 v[126:127], v[126:127], v[222:223]
	v_pk_fma_f32 v[120:121], v[166:167], v[150:151], v[120:121] neg_lo:[0,0,1] neg_hi:[0,0,1]
	v_pk_mul_f32 v[124:125], v[170:171], v[154:155] op_sel:[1,1] op_sel_hi:[0,1]
	v_mov_b32_e32 v121, v133
	v_pk_fma_f32 v[132:133], v[168:169], v[152:153], v[122:123] op_sel_hi:[1,0,1]
	v_pk_add_f32 v[118:119], v[126:127], v[118:119]
	v_pk_fma_f32 v[122:123], v[168:169], v[152:153], v[122:123] neg_lo:[0,0,1] neg_hi:[0,0,1]
	v_pk_fma_f32 v[126:127], v[170:171], v[154:155], v[124:125] op_sel_hi:[1,0,1]
	v_pk_mul_f32 v[128:129], v[216:217], v[128:129] op_sel_hi:[1,0]
	v_mov_b32_e32 v123, v133
	v_pk_add_f32 v[118:119], v[118:119], v[120:121]
	v_pk_fma_f32 v[124:125], v[170:171], v[154:155], v[124:125] neg_lo:[0,0,1] neg_hi:[0,0,1]
	s_wait_loadcnt 0x2
	v_pk_mul_f32 v[130:131], v[174:175], v[158:159] op_sel:[1,1] op_sel_hi:[0,1]
	v_dual_mov_b32 v120, v161 :: v_dual_mov_b32 v125, v127
	v_pk_fma_f32 v[126:127], v[172:173], v[156:157], v[128:129] op_sel_hi:[1,0,1]
	v_pk_add_f32 v[118:119], v[118:119], v[122:123]
	v_pk_fma_f32 v[128:129], v[172:173], v[156:157], v[128:129] neg_lo:[0,0,1] neg_hi:[0,0,1]
	v_pk_fma_f32 v[122:123], v[174:175], v[158:159], v[130:131] op_sel_hi:[1,0,1]
	v_pk_mul_f32 v[120:121], v[218:219], v[120:121] op_sel_hi:[1,0]
	v_mov_b32_e32 v129, v127
	v_pk_add_f32 v[118:119], v[118:119], v[124:125]
	v_pk_fma_f32 v[124:125], v[174:175], v[158:159], v[130:131] neg_lo:[0,0,1] neg_hi:[0,0,1]
	v_mov_b32_e32 v125, v123
	v_pk_fma_f32 v[122:123], v[176:177], v[160:161], v[120:121] op_sel_hi:[1,0,1]
	s_wait_loadcnt_dscnt 0x100
	v_pk_mul_f32 v[126:127], v[210:211], v[206:207] op_sel:[1,1] op_sel_hi:[0,1]
	v_pk_add_f32 v[118:119], v[118:119], v[128:129]
	v_pk_fma_f32 v[120:121], v[176:177], v[160:161], v[120:121] neg_lo:[0,0,1] neg_hi:[0,0,1]
	v_mov_b32_e32 v121, v123
	s_delay_alu instid0(VALU_DEP_4) | instskip(NEXT) | instid1(VALU_DEP_4)
	v_pk_fma_f32 v[122:123], v[210:211], v[206:207], v[126:127] op_sel_hi:[1,0,1]
	v_pk_add_f32 v[118:119], v[118:119], v[124:125]
	v_pk_fma_f32 v[124:125], v[210:211], v[206:207], v[126:127] neg_lo:[0,0,1] neg_hi:[0,0,1]
	s_delay_alu instid0(VALU_DEP_3) | instskip(NEXT) | instid1(VALU_DEP_3)
	v_mov_b32_e32 v125, v123
	v_pk_add_f32 v[118:119], v[118:119], v[120:121]
	s_delay_alu instid0(VALU_DEP_1) | instskip(SKIP_1) | instid1(VALU_DEP_1)
	v_pk_add_f32 v[118:119], v[118:119], v[124:125]
	s_wait_loadcnt 0x0
	v_pk_add_f32 v[118:119], v[208:209], v[118:119] neg_lo:[0,1] neg_hi:[0,1]
	scratch_store_b64 off, v[118:119], off offset:272
	s_wait_xcnt 0x0
	v_cmpx_lt_u32_e32 33, v0
	s_cbranch_execz .LBB57_295
; %bb.294:
	scratch_load_b64 v[118:119], off, off offset:264
	v_mov_b64_e32 v[120:121], 0
	scratch_store_b64 off, v[120:121], off offset:264
	s_wait_loadcnt 0x0
	ds_store_b64 v1, v[118:119]
.LBB57_295:
	s_wait_xcnt 0x0
	s_or_b32 exec_lo, exec_lo, s0
	s_wait_storecnt_dscnt 0x0
	s_barrier_signal -1
	s_barrier_wait -1
	s_clause 0xc
	scratch_load_b128 v[118:121], off, off offset:272
	scratch_load_b128 v[122:125], off, off offset:288
	;; [unrolled: 1-line block ×12, first 2 shown]
	scratch_load_b64 v[214:215], off, off offset:264
	ds_load_b128 v[166:169], v7 offset:864
	ds_load_b128 v[170:173], v7 offset:880
	;; [unrolled: 1-line block ×12, first 2 shown]
	s_mov_b32 s0, exec_lo
	s_wait_dscnt 0xb
	v_dual_mov_b32 v216, v169 :: v_dual_mov_b32 v217, v168
	s_wait_dscnt 0xa
	v_dual_mov_b32 v218, v173 :: v_dual_mov_b32 v219, v172
	;; [unrolled: 2-line block ×4, first 2 shown]
	s_wait_loadcnt_dscnt 0xc07
	v_dual_mul_f32 v7, v182, v119 :: v_dual_mul_f32 v9, v184, v121
	v_dual_mul_f32 v35, v183, v119 :: v_dual_mul_f32 v37, v185, v121
	s_wait_loadcnt_dscnt 0xb06
	v_dual_mul_f32 v11, v186, v123 :: v_dual_mul_f32 v13, v188, v125
	s_delay_alu instid0(VALU_DEP_3) | instskip(SKIP_3) | instid1(VALU_DEP_3)
	v_dual_fmac_f32 v7, v183, v118 :: v_dual_fmac_f32 v9, v185, v120
	s_wait_loadcnt_dscnt 0x904
	v_dual_fma_f32 v35, v182, v118, -v35 :: v_dual_mul_f32 v47, v195, v131
	v_dual_mul_f32 v39, v187, v123 :: v_dual_mul_f32 v41, v189, v125
	v_dual_fma_f32 v37, v184, v120, -v37 :: v_dual_add_f32 v7, 0, v7
	s_delay_alu instid0(VALU_DEP_3) | instskip(SKIP_1) | instid1(VALU_DEP_3)
	v_dual_add_f32 v35, 0, v35 :: v_dual_mul_f32 v49, v197, v133
	v_dual_fmac_f32 v11, v187, v122 :: v_dual_fmac_f32 v13, v189, v124
	v_dual_fma_f32 v39, v186, v122, -v39 :: v_dual_add_f32 v7, v7, v9
	s_delay_alu instid0(VALU_DEP_3) | instskip(SKIP_2) | instid1(VALU_DEP_4)
	v_dual_add_f32 v9, v35, v37 :: v_dual_fma_f32 v37, v188, v124, -v41
	v_dual_mul_f32 v15, v190, v127 :: v_dual_mul_f32 v17, v192, v129
	v_dual_mul_f32 v43, v191, v127 :: v_dual_mul_f32 v45, v193, v129
	v_add_f32_e32 v7, v7, v11
	s_delay_alu instid0(VALU_DEP_3) | instskip(NEXT) | instid1(VALU_DEP_3)
	v_dual_add_f32 v9, v9, v39 :: v_dual_fmac_f32 v15, v191, v126
	v_fma_f32 v39, v190, v126, -v43
	v_dual_mul_f32 v19, v194, v131 :: v_dual_mul_f32 v21, v196, v133
	s_delay_alu instid0(VALU_DEP_4) | instskip(SKIP_2) | instid1(VALU_DEP_2)
	v_dual_add_f32 v7, v7, v13 :: v_dual_fmac_f32 v17, v193, v128
	s_wait_loadcnt_dscnt 0x702
	v_dual_add_f32 v9, v9, v37 :: v_dual_mul_f32 v13, v203, v139
	v_dual_fma_f32 v37, v192, v128, -v45 :: v_dual_add_f32 v7, v7, v15
	v_mul_f32_e32 v15, v205, v141
	s_delay_alu instid0(VALU_DEP_3) | instskip(NEXT) | instid1(VALU_DEP_3)
	v_dual_add_f32 v9, v9, v39 :: v_dual_fmac_f32 v19, v195, v130
	v_dual_fma_f32 v39, v194, v130, -v47 :: v_dual_add_f32 v7, v7, v17
	v_fmac_f32_e32 v21, v197, v132
	s_wait_loadcnt_dscnt 0x601
	s_delay_alu instid0(VALU_DEP_3) | instskip(SKIP_3) | instid1(VALU_DEP_3)
	v_dual_add_f32 v9, v9, v37 :: v_dual_mul_f32 v17, v207, v143
	v_dual_mul_f32 v23, v198, v135 :: v_dual_mul_f32 v25, v200, v137
	v_dual_mul_f32 v35, v199, v135 :: v_dual_mul_f32 v11, v201, v137
	v_dual_fma_f32 v37, v196, v132, -v49 :: v_dual_add_f32 v7, v7, v19
	v_dual_add_f32 v9, v9, v39 :: v_dual_fmac_f32 v23, v199, v134
	s_delay_alu instid0(VALU_DEP_3) | instskip(NEXT) | instid1(VALU_DEP_3)
	v_dual_mul_f32 v19, v209, v145 :: v_dual_fma_f32 v35, v198, v134, -v35
	v_dual_add_f32 v7, v7, v21 :: v_dual_fmac_f32 v25, v201, v136
	s_wait_loadcnt_dscnt 0x500
	s_delay_alu instid0(VALU_DEP_3) | instskip(SKIP_1) | instid1(VALU_DEP_3)
	v_dual_add_f32 v9, v9, v37 :: v_dual_mul_f32 v21, v211, v147
	v_dual_mul_f32 v27, v202, v139 :: v_dual_mul_f32 v29, v204, v141
	v_dual_fma_f32 v11, v200, v136, -v11 :: v_dual_add_f32 v7, v7, v23
	s_delay_alu instid0(VALU_DEP_2) | instskip(SKIP_1) | instid1(VALU_DEP_2)
	v_dual_add_f32 v9, v9, v35 :: v_dual_fmac_f32 v27, v203, v138
	v_dual_mul_f32 v23, v213, v149 :: v_dual_fma_f32 v13, v202, v138, -v13
	v_dual_add_f32 v7, v7, v25 :: v_dual_add_f32 v9, v9, v11
	v_dual_mul_f32 v31, v206, v143 :: v_dual_mul_f32 v33, v208, v145
	v_dual_fmac_f32 v29, v205, v140 :: v_dual_fma_f32 v11, v204, v140, -v15
	s_delay_alu instid0(VALU_DEP_3) | instskip(SKIP_1) | instid1(VALU_DEP_3)
	v_dual_add_f32 v7, v7, v27 :: v_dual_add_f32 v9, v9, v13
	s_wait_loadcnt 0x4
	v_dual_mov_b32 v120, v153 :: v_dual_fmac_f32 v31, v207, v142
	s_delay_alu instid0(VALU_DEP_2) | instskip(NEXT) | instid1(VALU_DEP_3)
	v_dual_fma_f32 v13, v206, v142, -v17 :: v_dual_add_f32 v7, v7, v29
	v_dual_add_f32 v9, v9, v11 :: v_dual_fma_f32 v11, v208, v144, -v19
	v_dual_mul_f32 v225, v210, v147 :: v_dual_mul_f32 v227, v212, v149
	s_delay_alu instid0(VALU_DEP_3) | instskip(NEXT) | instid1(VALU_DEP_2)
	v_dual_fmac_f32 v33, v209, v144 :: v_dual_add_f32 v7, v7, v31
	v_dual_add_f32 v9, v9, v13 :: v_dual_fmac_f32 v225, v211, v146
	v_pk_mul_f32 v[118:119], v[166:167], v[150:151] op_sel:[1,1] op_sel_hi:[0,1]
	s_wait_loadcnt 0x3
	v_dual_mov_b32 v124, v157 :: v_dual_fma_f32 v224, v210, v146, -v21
	s_delay_alu instid0(VALU_DEP_3)
	v_dual_add_f32 v127, v7, v33 :: v_dual_add_f32 v126, v9, v11
	v_fmac_f32_e32 v227, v213, v148
	v_pk_fma_f32 v[128:129], v[166:167], v[150:151], v[118:119] op_sel_hi:[1,0,1]
	v_fma_f32 v226, v212, v148, -v23
	v_pk_mul_f32 v[120:121], v[216:217], v[120:121] op_sel_hi:[1,0]
	v_pk_add_f32 v[126:127], v[126:127], v[224:225]
	v_pk_fma_f32 v[118:119], v[166:167], v[150:151], v[118:119] neg_lo:[0,0,1] neg_hi:[0,0,1]
	v_pk_mul_f32 v[122:123], v[170:171], v[154:155] op_sel:[1,1] op_sel_hi:[0,1]
	v_mov_b32_e32 v119, v129
	v_pk_fma_f32 v[128:129], v[168:169], v[152:153], v[120:121] op_sel_hi:[1,0,1]
	v_pk_add_f32 v[126:127], v[126:127], v[226:227]
	v_pk_fma_f32 v[120:121], v[168:169], v[152:153], v[120:121] neg_lo:[0,0,1] neg_hi:[0,0,1]
	v_pk_fma_f32 v[132:133], v[170:171], v[154:155], v[122:123] op_sel_hi:[1,0,1]
	v_pk_mul_f32 v[124:125], v[218:219], v[124:125] op_sel_hi:[1,0]
	v_mov_b32_e32 v121, v129
	v_pk_add_f32 v[118:119], v[126:127], v[118:119]
	s_wait_loadcnt 0x2
	v_pk_mul_f32 v[130:131], v[174:175], v[158:159] op_sel:[1,1] op_sel_hi:[0,1]
	v_mov_b32_e32 v126, v161
	v_pk_fma_f32 v[122:123], v[170:171], v[154:155], v[122:123] neg_lo:[0,0,1] neg_hi:[0,0,1]
	v_pk_fma_f32 v[128:129], v[172:173], v[156:157], v[124:125] op_sel_hi:[1,0,1]
	v_mov_b32_e32 v123, v133
	v_pk_add_f32 v[118:119], v[118:119], v[120:121]
	v_pk_fma_f32 v[120:121], v[174:175], v[158:159], v[130:131] op_sel_hi:[1,0,1]
	v_pk_mul_f32 v[126:127], v[220:221], v[126:127] op_sel_hi:[1,0]
	v_pk_fma_f32 v[124:125], v[172:173], v[156:157], v[124:125] neg_lo:[0,0,1] neg_hi:[0,0,1]
	v_mov_b32_e32 v125, v129
	v_pk_add_f32 v[118:119], v[118:119], v[122:123]
	v_pk_fma_f32 v[128:129], v[174:175], v[158:159], v[130:131] neg_lo:[0,0,1] neg_hi:[0,0,1]
	v_mov_b32_e32 v129, v121
	v_pk_fma_f32 v[120:121], v[176:177], v[160:161], v[126:127] op_sel_hi:[1,0,1]
	s_wait_loadcnt 0x1
	v_pk_mul_f32 v[122:123], v[178:179], v[162:163] op_sel:[1,1] op_sel_hi:[0,1]
	v_pk_add_f32 v[118:119], v[118:119], v[124:125]
	v_mov_b32_e32 v120, v165
	v_pk_fma_f32 v[126:127], v[176:177], v[160:161], v[126:127] neg_lo:[0,0,1] neg_hi:[0,0,1]
	s_delay_alu instid0(VALU_DEP_4)
	v_pk_fma_f32 v[124:125], v[178:179], v[162:163], v[122:123] op_sel_hi:[1,0,1]
	v_mov_b32_e32 v127, v121
	v_pk_add_f32 v[118:119], v[118:119], v[128:129]
	v_pk_mul_f32 v[120:121], v[222:223], v[120:121] op_sel_hi:[1,0]
	v_pk_fma_f32 v[122:123], v[178:179], v[162:163], v[122:123] neg_lo:[0,0,1] neg_hi:[0,0,1]
	v_mov_b32_e32 v123, v125
	s_delay_alu instid0(VALU_DEP_4) | instskip(NEXT) | instid1(VALU_DEP_4)
	v_pk_add_f32 v[118:119], v[118:119], v[126:127]
	v_pk_fma_f32 v[124:125], v[180:181], v[164:165], v[120:121] op_sel_hi:[1,0,1]
	v_pk_fma_f32 v[120:121], v[180:181], v[164:165], v[120:121] neg_lo:[0,0,1] neg_hi:[0,0,1]
	s_delay_alu instid0(VALU_DEP_3) | instskip(NEXT) | instid1(VALU_DEP_3)
	v_pk_add_f32 v[118:119], v[118:119], v[122:123]
	v_mov_b32_e32 v121, v125
	s_delay_alu instid0(VALU_DEP_1) | instskip(SKIP_1) | instid1(VALU_DEP_1)
	v_pk_add_f32 v[118:119], v[118:119], v[120:121]
	s_wait_loadcnt 0x0
	v_pk_add_f32 v[118:119], v[214:215], v[118:119] neg_lo:[0,1] neg_hi:[0,1]
	scratch_store_b64 off, v[118:119], off offset:264
	s_wait_xcnt 0x0
	v_cmpx_lt_u32_e32 32, v0
	s_cbranch_execz .LBB57_297
; %bb.296:
	scratch_load_b64 v[118:119], off, off offset:256
	v_mov_b64_e32 v[120:121], 0
	scratch_store_b64 off, v[120:121], off offset:256
	s_wait_loadcnt 0x0
	ds_store_b64 v1, v[118:119]
.LBB57_297:
	s_wait_xcnt 0x0
	s_or_b32 exec_lo, exec_lo, s0
	s_wait_storecnt_dscnt 0x0
	s_barrier_signal -1
	s_barrier_wait -1
	s_clause 0xd
	scratch_load_b128 v[118:121], off, off offset:264
	scratch_load_b128 v[122:125], off, off offset:280
	;; [unrolled: 1-line block ×12, first 2 shown]
	scratch_load_b64 v[214:215], off, off offset:456
	scratch_load_b64 v[216:217], off, off offset:256
	v_mov_b32_e32 v7, 0
	ds_load_2addr_b64 v[166:169], v7 offset0:107 offset1:108
	ds_load_2addr_b64 v[170:173], v7 offset0:109 offset1:110
	;; [unrolled: 1-line block ×12, first 2 shown]
	ds_load_b64 v[218:219], v7 offset:920
	s_mov_b32 s0, exec_lo
	s_wait_dscnt 0xc
	v_dual_mov_b32 v220, v169 :: v_dual_mov_b32 v221, v168
	s_wait_dscnt 0x9
	v_dual_mov_b32 v222, v173 :: v_dual_mov_b32 v227, v180
	v_dual_mov_b32 v223, v172 :: v_dual_mov_b32 v224, v177
	;; [unrolled: 1-line block ×3, first 2 shown]
	s_wait_loadcnt_dscnt 0xd08
	v_dual_mul_f32 v9, v182, v119 :: v_dual_mul_f32 v39, v183, v119
	v_dual_mul_f32 v41, v185, v121 :: v_dual_mul_f32 v11, v184, v121
	s_wait_loadcnt_dscnt 0xc07
	v_mul_f32_e32 v13, v186, v123
	s_wait_loadcnt_dscnt 0xa05
	v_dual_mul_f32 v51, v195, v131 :: v_dual_fma_f32 v39, v182, v118, -v39
	v_dual_fmac_f32 v9, v183, v118 :: v_dual_mul_f32 v53, v197, v133
	v_dual_mul_f32 v43, v187, v123 :: v_dual_mul_f32 v45, v189, v125
	v_dual_fmac_f32 v11, v185, v120 :: v_dual_fma_f32 v41, v184, v120, -v41
	s_delay_alu instid0(VALU_DEP_3) | instskip(SKIP_3) | instid1(VALU_DEP_3)
	v_dual_add_f32 v9, 0, v9 :: v_dual_add_f32 v39, 0, v39
	v_dual_mul_f32 v15, v188, v125 :: v_dual_mul_f32 v17, v190, v127
	s_wait_loadcnt_dscnt 0x904
	v_dual_mul_f32 v55, v199, v135 :: v_dual_fma_f32 v43, v186, v122, -v43
	v_dual_fmac_f32 v13, v187, v122 :: v_dual_add_f32 v9, v9, v11
	s_delay_alu instid0(VALU_DEP_3) | instskip(SKIP_2) | instid1(VALU_DEP_3)
	v_dual_add_f32 v11, v39, v41 :: v_dual_fmac_f32 v15, v189, v124
	v_dual_mul_f32 v47, v191, v127 :: v_dual_mul_f32 v49, v193, v129
	v_dual_mul_f32 v39, v201, v137 :: v_dual_fma_f32 v41, v188, v124, -v45
	v_dual_add_f32 v9, v9, v13 :: v_dual_add_f32 v11, v11, v43
	v_dual_mul_f32 v19, v192, v129 :: v_dual_mul_f32 v21, v194, v131
	s_wait_loadcnt_dscnt 0x803
	v_dual_mul_f32 v13, v203, v139 :: v_dual_fma_f32 v43, v190, v126, -v47
	s_delay_alu instid0(VALU_DEP_3) | instskip(NEXT) | instid1(VALU_DEP_3)
	v_dual_fmac_f32 v17, v191, v126 :: v_dual_add_f32 v9, v9, v15
	v_dual_add_f32 v11, v11, v41 :: v_dual_fmac_f32 v19, v193, v128
	v_dual_mul_f32 v15, v205, v141 :: v_dual_fma_f32 v41, v192, v128, -v49
	s_delay_alu instid0(VALU_DEP_2) | instskip(SKIP_3) | instid1(VALU_DEP_3)
	v_dual_add_f32 v9, v9, v17 :: v_dual_add_f32 v11, v11, v43
	v_dual_mul_f32 v23, v196, v133 :: v_dual_mul_f32 v25, v198, v135
	s_wait_loadcnt_dscnt 0x702
	v_dual_mul_f32 v17, v207, v143 :: v_dual_fma_f32 v43, v194, v130, -v51
	v_dual_fmac_f32 v21, v195, v130 :: v_dual_add_f32 v9, v9, v19
	s_delay_alu instid0(VALU_DEP_3) | instskip(SKIP_1) | instid1(VALU_DEP_2)
	v_dual_add_f32 v11, v11, v41 :: v_dual_fmac_f32 v23, v197, v132
	v_dual_mul_f32 v19, v209, v145 :: v_dual_fma_f32 v41, v196, v132, -v53
	v_dual_add_f32 v9, v9, v21 :: v_dual_add_f32 v11, v11, v43
	v_dual_mul_f32 v27, v200, v137 :: v_dual_mul_f32 v29, v202, v139
	s_wait_loadcnt_dscnt 0x601
	v_dual_mul_f32 v21, v211, v147 :: v_dual_fma_f32 v43, v198, v134, -v55
	s_delay_alu instid0(VALU_DEP_3) | instskip(NEXT) | instid1(VALU_DEP_3)
	v_dual_fmac_f32 v25, v199, v134 :: v_dual_add_f32 v9, v9, v23
	v_dual_add_f32 v11, v11, v41 :: v_dual_fmac_f32 v27, v201, v136
	v_dual_mul_f32 v23, v213, v149 :: v_dual_fma_f32 v39, v200, v136, -v39
	s_delay_alu instid0(VALU_DEP_2) | instskip(SKIP_3) | instid1(VALU_DEP_3)
	v_dual_add_f32 v9, v9, v25 :: v_dual_add_f32 v11, v11, v43
	v_dual_mul_f32 v31, v204, v141 :: v_dual_mul_f32 v33, v206, v143
	s_wait_loadcnt 0x5
	v_dual_mul_f32 v25, v167, v151 :: v_dual_fma_f32 v13, v202, v138, -v13
	v_dual_fmac_f32 v29, v203, v138 :: v_dual_add_f32 v9, v9, v27
	v_dual_add_f32 v11, v11, v39 :: v_dual_mov_b32 v118, v153
	v_fmac_f32_e32 v31, v205, v140
	s_delay_alu instid0(VALU_DEP_3) | instskip(NEXT) | instid1(VALU_DEP_3)
	v_dual_fma_f32 v15, v204, v140, -v15 :: v_dual_add_f32 v9, v9, v29
	v_add_f32_e32 v11, v11, v13
	v_dual_mul_f32 v35, v208, v145 :: v_dual_mul_f32 v37, v210, v147
	s_delay_alu instid0(VALU_DEP_3) | instskip(NEXT) | instid1(VALU_DEP_3)
	v_dual_fmac_f32 v33, v207, v142 :: v_dual_add_f32 v9, v9, v31
	v_dual_fma_f32 v13, v206, v142, -v17 :: v_dual_add_f32 v11, v11, v15
	s_wait_loadcnt 0x4
	v_dual_mov_b32 v122, v157 :: v_dual_fma_f32 v15, v208, v144, -v19
	v_fmac_f32_e32 v35, v209, v144
	v_dual_add_f32 v9, v9, v33 :: v_dual_fmac_f32 v37, v211, v146
	v_add_f32_e32 v11, v11, v13
	v_dual_mul_f32 v229, v212, v149 :: v_dual_mul_f32 v231, v166, v151
	s_delay_alu instid0(VALU_DEP_3) | instskip(NEXT) | instid1(VALU_DEP_2)
	v_dual_fma_f32 v13, v210, v146, -v21 :: v_dual_add_f32 v9, v9, v35
	v_dual_add_f32 v11, v11, v15 :: v_dual_fmac_f32 v229, v213, v148
	v_fma_f32 v228, v212, v148, -v23
	v_pk_mul_f32 v[118:119], v[220:221], v[118:119] op_sel_hi:[1,0]
	s_delay_alu instid0(VALU_DEP_4)
	v_add_f32_e32 v127, v9, v37
	s_wait_loadcnt 0x3
	v_dual_add_f32 v126, v11, v13 :: v_dual_mov_b32 v128, v161
	v_pk_mul_f32 v[120:121], v[170:171], v[154:155] op_sel:[1,1] op_sel_hi:[0,1]
	v_dual_fmac_f32 v231, v167, v150 :: v_dual_fma_f32 v230, v166, v150, -v25
	v_pk_fma_f32 v[130:131], v[168:169], v[152:153], v[118:119] op_sel_hi:[1,0,1]
	s_delay_alu instid0(VALU_DEP_4)
	v_pk_add_f32 v[126:127], v[126:127], v[228:229]
	v_pk_fma_f32 v[118:119], v[168:169], v[152:153], v[118:119] neg_lo:[0,0,1] neg_hi:[0,0,1]
	v_pk_fma_f32 v[132:133], v[170:171], v[154:155], v[120:121] op_sel_hi:[1,0,1]
	v_pk_mul_f32 v[122:123], v[222:223], v[122:123] op_sel_hi:[1,0]
	v_mov_b32_e32 v119, v131
	v_pk_add_f32 v[126:127], v[126:127], v[230:231]
	v_pk_fma_f32 v[120:121], v[170:171], v[154:155], v[120:121] neg_lo:[0,0,1] neg_hi:[0,0,1]
	v_pk_mul_f32 v[124:125], v[174:175], v[158:159] op_sel:[1,1] op_sel_hi:[0,1]
	v_mov_b32_e32 v121, v133
	v_pk_fma_f32 v[132:133], v[172:173], v[156:157], v[122:123] op_sel_hi:[1,0,1]
	v_pk_add_f32 v[118:119], v[126:127], v[118:119]
	v_pk_fma_f32 v[122:123], v[172:173], v[156:157], v[122:123] neg_lo:[0,0,1] neg_hi:[0,0,1]
	v_pk_fma_f32 v[126:127], v[174:175], v[158:159], v[124:125] op_sel_hi:[1,0,1]
	v_pk_mul_f32 v[128:129], v[224:225], v[128:129] op_sel_hi:[1,0]
	v_mov_b32_e32 v123, v133
	v_pk_add_f32 v[118:119], v[118:119], v[120:121]
	v_pk_fma_f32 v[124:125], v[174:175], v[158:159], v[124:125] neg_lo:[0,0,1] neg_hi:[0,0,1]
	s_wait_loadcnt 0x2
	v_pk_mul_f32 v[130:131], v[178:179], v[162:163] op_sel:[1,1] op_sel_hi:[0,1]
	v_dual_mov_b32 v120, v165 :: v_dual_mov_b32 v125, v127
	v_pk_fma_f32 v[126:127], v[176:177], v[160:161], v[128:129] op_sel_hi:[1,0,1]
	v_pk_add_f32 v[118:119], v[118:119], v[122:123]
	v_pk_fma_f32 v[128:129], v[176:177], v[160:161], v[128:129] neg_lo:[0,0,1] neg_hi:[0,0,1]
	v_pk_fma_f32 v[122:123], v[178:179], v[162:163], v[130:131] op_sel_hi:[1,0,1]
	v_pk_mul_f32 v[120:121], v[226:227], v[120:121] op_sel_hi:[1,0]
	v_mov_b32_e32 v129, v127
	v_pk_add_f32 v[118:119], v[118:119], v[124:125]
	v_pk_fma_f32 v[124:125], v[178:179], v[162:163], v[130:131] neg_lo:[0,0,1] neg_hi:[0,0,1]
	v_mov_b32_e32 v125, v123
	v_pk_fma_f32 v[122:123], v[180:181], v[164:165], v[120:121] op_sel_hi:[1,0,1]
	s_wait_loadcnt_dscnt 0x100
	v_pk_mul_f32 v[126:127], v[218:219], v[214:215] op_sel:[1,1] op_sel_hi:[0,1]
	v_pk_add_f32 v[118:119], v[118:119], v[128:129]
	v_pk_fma_f32 v[120:121], v[180:181], v[164:165], v[120:121] neg_lo:[0,0,1] neg_hi:[0,0,1]
	v_mov_b32_e32 v121, v123
	s_delay_alu instid0(VALU_DEP_4) | instskip(NEXT) | instid1(VALU_DEP_4)
	v_pk_fma_f32 v[122:123], v[218:219], v[214:215], v[126:127] op_sel_hi:[1,0,1]
	v_pk_add_f32 v[118:119], v[118:119], v[124:125]
	v_pk_fma_f32 v[124:125], v[218:219], v[214:215], v[126:127] neg_lo:[0,0,1] neg_hi:[0,0,1]
	s_delay_alu instid0(VALU_DEP_3) | instskip(NEXT) | instid1(VALU_DEP_3)
	v_mov_b32_e32 v125, v123
	v_pk_add_f32 v[118:119], v[118:119], v[120:121]
	s_delay_alu instid0(VALU_DEP_1) | instskip(SKIP_1) | instid1(VALU_DEP_1)
	v_pk_add_f32 v[118:119], v[118:119], v[124:125]
	s_wait_loadcnt 0x0
	v_pk_add_f32 v[118:119], v[216:217], v[118:119] neg_lo:[0,1] neg_hi:[0,1]
	scratch_store_b64 off, v[118:119], off offset:256
	s_wait_xcnt 0x0
	v_cmpx_lt_u32_e32 31, v0
	s_cbranch_execz .LBB57_299
; %bb.298:
	scratch_load_b64 v[118:119], off, off offset:248
	v_mov_b64_e32 v[120:121], 0
	scratch_store_b64 off, v[120:121], off offset:248
	s_wait_loadcnt 0x0
	ds_store_b64 v1, v[118:119]
.LBB57_299:
	s_wait_xcnt 0x0
	s_or_b32 exec_lo, exec_lo, s0
	s_wait_storecnt_dscnt 0x0
	s_barrier_signal -1
	s_barrier_wait -1
	s_clause 0xd
	scratch_load_b128 v[118:121], off, off offset:256
	scratch_load_b128 v[122:125], off, off offset:272
	;; [unrolled: 1-line block ×13, first 2 shown]
	scratch_load_b64 v[222:223], off, off offset:248
	ds_load_b128 v[170:173], v7 offset:864
	ds_load_b128 v[174:177], v7 offset:880
	ds_load_b128 v[178:181], v7 offset:896
	ds_load_b128 v[182:185], v7 offset:912
	ds_load_b128 v[186:189], v7 offset:720
	ds_load_b128 v[190:193], v7 offset:736
	ds_load_b128 v[194:197], v7 offset:752
	ds_load_b128 v[198:201], v7 offset:768
	ds_load_b128 v[202:205], v7 offset:848
	ds_load_b128 v[206:209], v7 offset:784
	ds_load_b128 v[210:213], v7 offset:800
	ds_load_b128 v[214:217], v7 offset:816
	ds_load_b128 v[218:221], v7 offset:832
	s_mov_b32 s0, exec_lo
	s_wait_dscnt 0xc
	v_dual_mov_b32 v224, v173 :: v_dual_mov_b32 v225, v172
	s_wait_dscnt 0xb
	v_dual_mov_b32 v226, v177 :: v_dual_mov_b32 v227, v176
	;; [unrolled: 2-line block ×4, first 2 shown]
	s_wait_loadcnt_dscnt 0xd08
	v_dual_mul_f32 v7, v186, v119 :: v_dual_mul_f32 v9, v188, v121
	v_dual_mul_f32 v39, v187, v119 :: v_dual_mul_f32 v41, v189, v121
	s_wait_loadcnt_dscnt 0xc07
	v_dual_mul_f32 v11, v190, v123 :: v_dual_mul_f32 v13, v192, v125
	s_delay_alu instid0(VALU_DEP_3) | instskip(SKIP_3) | instid1(VALU_DEP_3)
	v_dual_fmac_f32 v7, v187, v118 :: v_dual_fmac_f32 v9, v189, v120
	s_wait_loadcnt_dscnt 0xa05
	v_dual_fma_f32 v39, v186, v118, -v39 :: v_dual_mul_f32 v51, v199, v131
	v_dual_mul_f32 v43, v191, v123 :: v_dual_mul_f32 v45, v193, v125
	v_dual_fma_f32 v41, v188, v120, -v41 :: v_dual_add_f32 v7, 0, v7
	s_delay_alu instid0(VALU_DEP_3) | instskip(SKIP_1) | instid1(VALU_DEP_3)
	v_dual_add_f32 v39, 0, v39 :: v_dual_mul_f32 v53, v201, v133
	v_dual_fmac_f32 v11, v191, v122 :: v_dual_fmac_f32 v13, v193, v124
	v_dual_fma_f32 v43, v190, v122, -v43 :: v_dual_add_f32 v7, v7, v9
	s_delay_alu instid0(VALU_DEP_3) | instskip(SKIP_2) | instid1(VALU_DEP_4)
	v_dual_add_f32 v9, v39, v41 :: v_dual_fma_f32 v41, v192, v124, -v45
	v_dual_mul_f32 v15, v194, v127 :: v_dual_mul_f32 v17, v196, v129
	v_dual_mul_f32 v47, v195, v127 :: v_dual_mul_f32 v49, v197, v129
	v_add_f32_e32 v7, v7, v11
	s_delay_alu instid0(VALU_DEP_3) | instskip(NEXT) | instid1(VALU_DEP_3)
	v_dual_add_f32 v9, v9, v43 :: v_dual_fmac_f32 v15, v195, v126
	v_fma_f32 v43, v194, v126, -v47
	v_dual_mul_f32 v19, v198, v131 :: v_dual_mul_f32 v21, v200, v133
	s_delay_alu instid0(VALU_DEP_4) | instskip(SKIP_2) | instid1(VALU_DEP_2)
	v_dual_add_f32 v7, v7, v13 :: v_dual_fmac_f32 v17, v197, v128
	s_wait_loadcnt_dscnt 0x802
	v_dual_add_f32 v9, v9, v41 :: v_dual_mul_f32 v13, v211, v139
	v_dual_fma_f32 v41, v196, v128, -v49 :: v_dual_add_f32 v7, v7, v15
	v_mul_f32_e32 v15, v213, v141
	s_delay_alu instid0(VALU_DEP_3) | instskip(NEXT) | instid1(VALU_DEP_3)
	v_dual_add_f32 v9, v9, v43 :: v_dual_fmac_f32 v19, v199, v130
	v_dual_fma_f32 v43, v198, v130, -v51 :: v_dual_add_f32 v7, v7, v17
	v_fmac_f32_e32 v21, v201, v132
	s_wait_loadcnt_dscnt 0x701
	s_delay_alu instid0(VALU_DEP_3) | instskip(SKIP_3) | instid1(VALU_DEP_3)
	v_dual_add_f32 v9, v9, v41 :: v_dual_mul_f32 v17, v215, v143
	v_dual_mul_f32 v23, v206, v135 :: v_dual_mul_f32 v25, v208, v137
	v_dual_mul_f32 v39, v207, v135 :: v_dual_mul_f32 v11, v209, v137
	v_dual_fma_f32 v41, v200, v132, -v53 :: v_dual_add_f32 v7, v7, v19
	v_dual_add_f32 v9, v9, v43 :: v_dual_fmac_f32 v23, v207, v134
	s_delay_alu instid0(VALU_DEP_3) | instskip(NEXT) | instid1(VALU_DEP_3)
	v_dual_mul_f32 v19, v217, v145 :: v_dual_fma_f32 v39, v206, v134, -v39
	v_dual_add_f32 v7, v7, v21 :: v_dual_fmac_f32 v25, v209, v136
	s_wait_loadcnt_dscnt 0x600
	s_delay_alu instid0(VALU_DEP_3) | instskip(SKIP_1) | instid1(VALU_DEP_3)
	v_dual_add_f32 v9, v9, v41 :: v_dual_mul_f32 v21, v219, v147
	v_dual_mul_f32 v27, v210, v139 :: v_dual_mul_f32 v29, v212, v141
	v_dual_fma_f32 v11, v208, v136, -v11 :: v_dual_add_f32 v7, v7, v23
	s_delay_alu instid0(VALU_DEP_2) | instskip(SKIP_1) | instid1(VALU_DEP_2)
	v_dual_add_f32 v9, v9, v39 :: v_dual_fmac_f32 v27, v211, v138
	v_dual_mul_f32 v23, v221, v149 :: v_dual_fma_f32 v13, v210, v138, -v13
	v_dual_add_f32 v7, v7, v25 :: v_dual_add_f32 v9, v9, v11
	v_dual_mul_f32 v31, v214, v143 :: v_dual_mul_f32 v33, v216, v145
	s_wait_loadcnt 0x5
	v_dual_mul_f32 v11, v203, v151 :: v_dual_fmac_f32 v29, v213, v140
	s_delay_alu instid0(VALU_DEP_3) | instskip(NEXT) | instid1(VALU_DEP_3)
	v_dual_fma_f32 v15, v212, v140, -v15 :: v_dual_add_f32 v7, v7, v27
	v_dual_add_f32 v9, v9, v13 :: v_dual_fmac_f32 v31, v215, v142
	v_dual_mul_f32 v13, v205, v153 :: v_dual_fma_f32 v17, v214, v142, -v17
	s_delay_alu instid0(VALU_DEP_2) | instskip(SKIP_2) | instid1(VALU_DEP_3)
	v_dual_add_f32 v7, v7, v29 :: v_dual_add_f32 v9, v9, v15
	v_dual_mul_f32 v35, v218, v147 :: v_dual_mul_f32 v37, v220, v149
	v_dual_fmac_f32 v33, v217, v144 :: v_dual_fma_f32 v15, v216, v144, -v19
	v_dual_add_f32 v7, v7, v31 :: v_dual_add_f32 v9, v9, v17
	s_wait_loadcnt 0x4
	s_delay_alu instid0(VALU_DEP_3) | instskip(NEXT) | instid1(VALU_DEP_2)
	v_dual_mov_b32 v120, v157 :: v_dual_fmac_f32 v35, v219, v146
	v_dual_fma_f32 v17, v218, v146, -v21 :: v_dual_add_f32 v7, v7, v33
	s_delay_alu instid0(VALU_DEP_3) | instskip(SKIP_1) | instid1(VALU_DEP_3)
	v_dual_add_f32 v9, v9, v15 :: v_dual_fma_f32 v15, v220, v148, -v23
	v_dual_mul_f32 v233, v202, v151 :: v_dual_mul_f32 v235, v204, v153
	v_dual_fmac_f32 v37, v221, v148 :: v_dual_add_f32 v7, v7, v35
	s_delay_alu instid0(VALU_DEP_2) | instskip(SKIP_3) | instid1(VALU_DEP_3)
	v_dual_add_f32 v9, v9, v17 :: v_dual_fmac_f32 v233, v203, v150
	v_pk_mul_f32 v[118:119], v[170:171], v[154:155] op_sel:[1,1] op_sel_hi:[0,1]
	s_wait_loadcnt 0x3
	v_dual_mov_b32 v124, v161 :: v_dual_fma_f32 v232, v202, v150, -v11
	v_dual_add_f32 v127, v7, v37 :: v_dual_add_f32 v126, v9, v15
	v_dual_fmac_f32 v235, v205, v152 :: v_dual_fma_f32 v234, v204, v152, -v13
	v_pk_fma_f32 v[128:129], v[170:171], v[154:155], v[118:119] op_sel_hi:[1,0,1]
	v_pk_mul_f32 v[120:121], v[224:225], v[120:121] op_sel_hi:[1,0]
	s_delay_alu instid0(VALU_DEP_4)
	v_pk_add_f32 v[126:127], v[126:127], v[232:233]
	v_pk_fma_f32 v[118:119], v[170:171], v[154:155], v[118:119] neg_lo:[0,0,1] neg_hi:[0,0,1]
	v_pk_mul_f32 v[122:123], v[174:175], v[158:159] op_sel:[1,1] op_sel_hi:[0,1]
	v_mov_b32_e32 v119, v129
	v_pk_fma_f32 v[128:129], v[172:173], v[156:157], v[120:121] op_sel_hi:[1,0,1]
	v_pk_add_f32 v[126:127], v[126:127], v[234:235]
	v_pk_fma_f32 v[120:121], v[172:173], v[156:157], v[120:121] neg_lo:[0,0,1] neg_hi:[0,0,1]
	v_pk_fma_f32 v[132:133], v[174:175], v[158:159], v[122:123] op_sel_hi:[1,0,1]
	v_pk_mul_f32 v[124:125], v[226:227], v[124:125] op_sel_hi:[1,0]
	v_mov_b32_e32 v121, v129
	v_pk_add_f32 v[118:119], v[126:127], v[118:119]
	s_wait_loadcnt 0x2
	v_pk_mul_f32 v[130:131], v[178:179], v[162:163] op_sel:[1,1] op_sel_hi:[0,1]
	v_mov_b32_e32 v126, v165
	v_pk_fma_f32 v[122:123], v[174:175], v[158:159], v[122:123] neg_lo:[0,0,1] neg_hi:[0,0,1]
	v_mov_b32_e32 v123, v133
	v_pk_fma_f32 v[128:129], v[176:177], v[160:161], v[124:125] op_sel_hi:[1,0,1]
	v_pk_add_f32 v[118:119], v[118:119], v[120:121]
	v_pk_fma_f32 v[120:121], v[178:179], v[162:163], v[130:131] op_sel_hi:[1,0,1]
	v_pk_mul_f32 v[126:127], v[228:229], v[126:127] op_sel_hi:[1,0]
	v_pk_fma_f32 v[124:125], v[176:177], v[160:161], v[124:125] neg_lo:[0,0,1] neg_hi:[0,0,1]
	v_mov_b32_e32 v125, v129
	v_pk_add_f32 v[118:119], v[118:119], v[122:123]
	v_pk_fma_f32 v[128:129], v[178:179], v[162:163], v[130:131] neg_lo:[0,0,1] neg_hi:[0,0,1]
	v_mov_b32_e32 v129, v121
	v_pk_fma_f32 v[120:121], v[180:181], v[164:165], v[126:127] op_sel_hi:[1,0,1]
	s_wait_loadcnt 0x1
	v_pk_mul_f32 v[122:123], v[182:183], v[166:167] op_sel:[1,1] op_sel_hi:[0,1]
	v_pk_add_f32 v[118:119], v[118:119], v[124:125]
	v_mov_b32_e32 v120, v169
	v_pk_fma_f32 v[126:127], v[180:181], v[164:165], v[126:127] neg_lo:[0,0,1] neg_hi:[0,0,1]
	v_mov_b32_e32 v127, v121
	v_pk_fma_f32 v[124:125], v[182:183], v[166:167], v[122:123] op_sel_hi:[1,0,1]
	v_pk_add_f32 v[118:119], v[118:119], v[128:129]
	v_pk_mul_f32 v[120:121], v[230:231], v[120:121] op_sel_hi:[1,0]
	v_pk_fma_f32 v[122:123], v[182:183], v[166:167], v[122:123] neg_lo:[0,0,1] neg_hi:[0,0,1]
	s_delay_alu instid0(VALU_DEP_4) | instskip(NEXT) | instid1(VALU_DEP_4)
	v_mov_b32_e32 v123, v125
	v_pk_add_f32 v[118:119], v[118:119], v[126:127]
	s_delay_alu instid0(VALU_DEP_4) | instskip(SKIP_1) | instid1(VALU_DEP_2)
	v_pk_fma_f32 v[124:125], v[184:185], v[168:169], v[120:121] op_sel_hi:[1,0,1]
	v_pk_fma_f32 v[120:121], v[184:185], v[168:169], v[120:121] neg_lo:[0,0,1] neg_hi:[0,0,1]
	v_mov_b32_e32 v121, v125
	s_delay_alu instid0(VALU_DEP_4) | instskip(NEXT) | instid1(VALU_DEP_1)
	v_pk_add_f32 v[118:119], v[118:119], v[122:123]
	v_pk_add_f32 v[118:119], v[118:119], v[120:121]
	s_wait_loadcnt 0x0
	s_delay_alu instid0(VALU_DEP_1)
	v_pk_add_f32 v[118:119], v[222:223], v[118:119] neg_lo:[0,1] neg_hi:[0,1]
	scratch_store_b64 off, v[118:119], off offset:248
	s_wait_xcnt 0x0
	v_cmpx_lt_u32_e32 30, v0
	s_cbranch_execz .LBB57_301
; %bb.300:
	scratch_load_b64 v[118:119], off, off offset:240
	v_mov_b64_e32 v[120:121], 0
	scratch_store_b64 off, v[120:121], off offset:240
	s_wait_loadcnt 0x0
	ds_store_b64 v1, v[118:119]
.LBB57_301:
	s_wait_xcnt 0x0
	s_or_b32 exec_lo, exec_lo, s0
	s_wait_storecnt_dscnt 0x0
	s_barrier_signal -1
	s_barrier_wait -1
	s_clause 0xe
	scratch_load_b128 v[118:121], off, off offset:248
	scratch_load_b128 v[122:125], off, off offset:264
	;; [unrolled: 1-line block ×13, first 2 shown]
	scratch_load_b64 v[222:223], off, off offset:456
	scratch_load_b64 v[224:225], off, off offset:240
	v_mov_b32_e32 v7, 0
	ds_load_2addr_b64 v[170:173], v7 offset0:107 offset1:108
	ds_load_2addr_b64 v[174:177], v7 offset0:109 offset1:110
	;; [unrolled: 1-line block ×13, first 2 shown]
	ds_load_b64 v[226:227], v7 offset:920
	s_mov_b32 s0, exec_lo
	s_wait_dscnt 0xd
	v_dual_mov_b32 v228, v173 :: v_dual_mov_b32 v229, v172
	s_wait_dscnt 0xa
	v_dual_mov_b32 v230, v177 :: v_dual_mov_b32 v235, v184
	v_dual_mov_b32 v231, v176 :: v_dual_mov_b32 v232, v181
	;; [unrolled: 1-line block ×3, first 2 shown]
	s_wait_loadcnt_dscnt 0xe09
	v_dual_mul_f32 v9, v186, v119 :: v_dual_mul_f32 v43, v187, v119
	v_dual_mul_f32 v45, v189, v121 :: v_dual_mul_f32 v11, v188, v121
	s_wait_loadcnt_dscnt 0xd08
	v_mul_f32_e32 v13, v190, v123
	s_wait_loadcnt_dscnt 0xb05
	v_dual_mul_f32 v55, v203, v131 :: v_dual_fma_f32 v43, v186, v118, -v43
	v_dual_fmac_f32 v9, v187, v118 :: v_dual_mul_f32 v57, v205, v133
	v_dual_mul_f32 v47, v191, v123 :: v_dual_mul_f32 v49, v193, v125
	v_dual_fmac_f32 v11, v189, v120 :: v_dual_fma_f32 v45, v188, v120, -v45
	s_delay_alu instid0(VALU_DEP_3) | instskip(SKIP_3) | instid1(VALU_DEP_3)
	v_dual_add_f32 v9, 0, v9 :: v_dual_add_f32 v43, 0, v43
	v_dual_mul_f32 v15, v192, v125 :: v_dual_mul_f32 v17, v194, v127
	s_wait_loadcnt_dscnt 0xa04
	v_dual_mul_f32 v59, v207, v135 :: v_dual_fma_f32 v47, v190, v122, -v47
	v_dual_fmac_f32 v13, v191, v122 :: v_dual_add_f32 v9, v9, v11
	s_delay_alu instid0(VALU_DEP_3) | instskip(SKIP_2) | instid1(VALU_DEP_3)
	v_dual_add_f32 v11, v43, v45 :: v_dual_fmac_f32 v15, v193, v124
	v_dual_mul_f32 v51, v195, v127 :: v_dual_mul_f32 v53, v197, v129
	v_dual_mul_f32 v43, v209, v137 :: v_dual_fma_f32 v45, v192, v124, -v49
	v_dual_add_f32 v9, v9, v13 :: v_dual_add_f32 v11, v11, v47
	v_dual_mul_f32 v19, v196, v129 :: v_dual_mul_f32 v21, v202, v131
	s_wait_loadcnt_dscnt 0x903
	v_dual_mul_f32 v13, v211, v139 :: v_dual_fma_f32 v47, v194, v126, -v51
	s_delay_alu instid0(VALU_DEP_3) | instskip(NEXT) | instid1(VALU_DEP_3)
	v_dual_fmac_f32 v17, v195, v126 :: v_dual_add_f32 v9, v9, v15
	v_dual_add_f32 v11, v11, v45 :: v_dual_fmac_f32 v19, v197, v128
	v_dual_mul_f32 v15, v213, v141 :: v_dual_fma_f32 v45, v196, v128, -v53
	s_delay_alu instid0(VALU_DEP_2) | instskip(SKIP_3) | instid1(VALU_DEP_3)
	v_dual_add_f32 v9, v9, v17 :: v_dual_add_f32 v11, v11, v47
	v_dual_mul_f32 v23, v204, v133 :: v_dual_mul_f32 v25, v206, v135
	s_wait_loadcnt_dscnt 0x802
	v_dual_mul_f32 v17, v215, v143 :: v_dual_fma_f32 v47, v202, v130, -v55
	v_dual_fmac_f32 v21, v203, v130 :: v_dual_add_f32 v9, v9, v19
	s_delay_alu instid0(VALU_DEP_3) | instskip(SKIP_1) | instid1(VALU_DEP_2)
	v_dual_add_f32 v11, v11, v45 :: v_dual_fmac_f32 v23, v205, v132
	v_dual_mul_f32 v19, v217, v145 :: v_dual_fma_f32 v45, v204, v132, -v57
	v_dual_add_f32 v9, v9, v21 :: v_dual_add_f32 v11, v11, v47
	v_dual_mul_f32 v27, v208, v137 :: v_dual_mul_f32 v29, v210, v139
	s_wait_loadcnt_dscnt 0x701
	v_dual_mul_f32 v21, v219, v147 :: v_dual_fma_f32 v47, v206, v134, -v59
	s_delay_alu instid0(VALU_DEP_3) | instskip(NEXT) | instid1(VALU_DEP_3)
	v_dual_fmac_f32 v25, v207, v134 :: v_dual_add_f32 v9, v9, v23
	v_dual_add_f32 v11, v11, v45 :: v_dual_fmac_f32 v27, v209, v136
	v_dual_mul_f32 v23, v221, v149 :: v_dual_fma_f32 v43, v208, v136, -v43
	s_delay_alu instid0(VALU_DEP_2) | instskip(SKIP_3) | instid1(VALU_DEP_3)
	v_dual_add_f32 v9, v9, v25 :: v_dual_add_f32 v11, v11, v47
	v_dual_mul_f32 v31, v212, v141 :: v_dual_mul_f32 v33, v214, v143
	s_wait_loadcnt 0x6
	v_dual_mul_f32 v25, v199, v151 :: v_dual_fma_f32 v13, v210, v138, -v13
	v_dual_fmac_f32 v29, v211, v138 :: v_dual_add_f32 v9, v9, v27
	v_dual_add_f32 v11, v11, v43 :: v_dual_mul_f32 v27, v201, v153
	v_fmac_f32_e32 v31, v213, v140
	s_delay_alu instid0(VALU_DEP_3) | instskip(NEXT) | instid1(VALU_DEP_3)
	v_dual_fma_f32 v15, v212, v140, -v15 :: v_dual_add_f32 v9, v9, v29
	v_add_f32_e32 v11, v11, v13
	v_dual_mul_f32 v35, v216, v145 :: v_dual_mul_f32 v37, v218, v147
	s_wait_loadcnt 0x5
	v_dual_mul_f32 v13, v171, v155 :: v_dual_fma_f32 v17, v214, v142, -v17
	v_dual_fmac_f32 v33, v215, v142 :: v_dual_add_f32 v9, v9, v31
	v_dual_add_f32 v11, v11, v15 :: v_dual_mov_b32 v118, v157
	v_fmac_f32_e32 v35, v217, v144
	s_delay_alu instid0(VALU_DEP_3) | instskip(NEXT) | instid1(VALU_DEP_3)
	v_dual_fma_f32 v15, v216, v144, -v19 :: v_dual_add_f32 v9, v9, v33
	v_add_f32_e32 v11, v11, v17
	v_dual_mul_f32 v39, v220, v149 :: v_dual_mul_f32 v41, v198, v151
	s_delay_alu instid0(VALU_DEP_3) | instskip(NEXT) | instid1(VALU_DEP_3)
	v_dual_fmac_f32 v37, v219, v146 :: v_dual_add_f32 v9, v9, v35
	v_dual_fma_f32 v17, v218, v146, -v21 :: v_dual_add_f32 v11, v11, v15
	s_wait_loadcnt 0x4
	v_dual_mov_b32 v122, v161 :: v_dual_fma_f32 v15, v220, v148, -v23
	v_fmac_f32_e32 v39, v221, v148
	v_dual_add_f32 v9, v9, v37 :: v_dual_fmac_f32 v41, v199, v150
	v_add_f32_e32 v11, v11, v17
	v_dual_mul_f32 v237, v200, v153 :: v_dual_mul_f32 v239, v170, v155
	s_delay_alu instid0(VALU_DEP_3) | instskip(NEXT) | instid1(VALU_DEP_2)
	v_dual_fma_f32 v17, v198, v150, -v25 :: v_dual_add_f32 v9, v9, v39
	v_dual_add_f32 v11, v11, v15 :: v_dual_fmac_f32 v237, v201, v152
	v_fma_f32 v236, v200, v152, -v27
	v_pk_mul_f32 v[118:119], v[228:229], v[118:119] op_sel_hi:[1,0]
	s_delay_alu instid0(VALU_DEP_4)
	v_add_f32_e32 v127, v9, v41
	s_wait_loadcnt 0x3
	v_dual_add_f32 v126, v11, v17 :: v_dual_mov_b32 v128, v165
	v_pk_mul_f32 v[120:121], v[174:175], v[158:159] op_sel:[1,1] op_sel_hi:[0,1]
	v_dual_fmac_f32 v239, v171, v154 :: v_dual_fma_f32 v238, v170, v154, -v13
	v_pk_fma_f32 v[130:131], v[172:173], v[156:157], v[118:119] op_sel_hi:[1,0,1]
	s_delay_alu instid0(VALU_DEP_4)
	v_pk_add_f32 v[126:127], v[126:127], v[236:237]
	v_pk_fma_f32 v[118:119], v[172:173], v[156:157], v[118:119] neg_lo:[0,0,1] neg_hi:[0,0,1]
	v_pk_fma_f32 v[132:133], v[174:175], v[158:159], v[120:121] op_sel_hi:[1,0,1]
	v_pk_mul_f32 v[122:123], v[230:231], v[122:123] op_sel_hi:[1,0]
	v_mov_b32_e32 v119, v131
	v_pk_add_f32 v[126:127], v[126:127], v[238:239]
	v_pk_fma_f32 v[120:121], v[174:175], v[158:159], v[120:121] neg_lo:[0,0,1] neg_hi:[0,0,1]
	v_pk_mul_f32 v[124:125], v[178:179], v[162:163] op_sel:[1,1] op_sel_hi:[0,1]
	v_mov_b32_e32 v121, v133
	v_pk_fma_f32 v[132:133], v[176:177], v[160:161], v[122:123] op_sel_hi:[1,0,1]
	v_pk_add_f32 v[118:119], v[126:127], v[118:119]
	v_pk_fma_f32 v[122:123], v[176:177], v[160:161], v[122:123] neg_lo:[0,0,1] neg_hi:[0,0,1]
	v_pk_fma_f32 v[126:127], v[178:179], v[162:163], v[124:125] op_sel_hi:[1,0,1]
	v_pk_mul_f32 v[128:129], v[232:233], v[128:129] op_sel_hi:[1,0]
	v_mov_b32_e32 v123, v133
	v_pk_add_f32 v[118:119], v[118:119], v[120:121]
	v_pk_fma_f32 v[124:125], v[178:179], v[162:163], v[124:125] neg_lo:[0,0,1] neg_hi:[0,0,1]
	s_wait_loadcnt 0x2
	v_pk_mul_f32 v[130:131], v[182:183], v[166:167] op_sel:[1,1] op_sel_hi:[0,1]
	v_dual_mov_b32 v120, v169 :: v_dual_mov_b32 v125, v127
	v_pk_fma_f32 v[126:127], v[180:181], v[164:165], v[128:129] op_sel_hi:[1,0,1]
	v_pk_add_f32 v[118:119], v[118:119], v[122:123]
	v_pk_fma_f32 v[128:129], v[180:181], v[164:165], v[128:129] neg_lo:[0,0,1] neg_hi:[0,0,1]
	v_pk_fma_f32 v[122:123], v[182:183], v[166:167], v[130:131] op_sel_hi:[1,0,1]
	v_pk_mul_f32 v[120:121], v[234:235], v[120:121] op_sel_hi:[1,0]
	v_mov_b32_e32 v129, v127
	v_pk_add_f32 v[118:119], v[118:119], v[124:125]
	v_pk_fma_f32 v[124:125], v[182:183], v[166:167], v[130:131] neg_lo:[0,0,1] neg_hi:[0,0,1]
	v_mov_b32_e32 v125, v123
	v_pk_fma_f32 v[122:123], v[184:185], v[168:169], v[120:121] op_sel_hi:[1,0,1]
	s_wait_loadcnt_dscnt 0x100
	v_pk_mul_f32 v[126:127], v[226:227], v[222:223] op_sel:[1,1] op_sel_hi:[0,1]
	v_pk_add_f32 v[118:119], v[118:119], v[128:129]
	v_pk_fma_f32 v[120:121], v[184:185], v[168:169], v[120:121] neg_lo:[0,0,1] neg_hi:[0,0,1]
	v_mov_b32_e32 v121, v123
	s_delay_alu instid0(VALU_DEP_4) | instskip(NEXT) | instid1(VALU_DEP_4)
	v_pk_fma_f32 v[122:123], v[226:227], v[222:223], v[126:127] op_sel_hi:[1,0,1]
	v_pk_add_f32 v[118:119], v[118:119], v[124:125]
	v_pk_fma_f32 v[124:125], v[226:227], v[222:223], v[126:127] neg_lo:[0,0,1] neg_hi:[0,0,1]
	s_delay_alu instid0(VALU_DEP_3) | instskip(NEXT) | instid1(VALU_DEP_3)
	v_mov_b32_e32 v125, v123
	v_pk_add_f32 v[118:119], v[118:119], v[120:121]
	s_delay_alu instid0(VALU_DEP_1) | instskip(SKIP_1) | instid1(VALU_DEP_1)
	v_pk_add_f32 v[118:119], v[118:119], v[124:125]
	s_wait_loadcnt 0x0
	v_pk_add_f32 v[118:119], v[224:225], v[118:119] neg_lo:[0,1] neg_hi:[0,1]
	scratch_store_b64 off, v[118:119], off offset:240
	s_wait_xcnt 0x0
	v_cmpx_lt_u32_e32 29, v0
	s_cbranch_execz .LBB57_303
; %bb.302:
	scratch_load_b64 v[118:119], off, off offset:232
	v_mov_b64_e32 v[120:121], 0
	scratch_store_b64 off, v[120:121], off offset:232
	s_wait_loadcnt 0x0
	ds_store_b64 v1, v[118:119]
.LBB57_303:
	s_wait_xcnt 0x0
	s_or_b32 exec_lo, exec_lo, s0
	s_wait_storecnt_dscnt 0x0
	s_barrier_signal -1
	s_barrier_wait -1
	s_clause 0xe
	scratch_load_b128 v[118:121], off, off offset:240
	scratch_load_b128 v[122:125], off, off offset:256
	;; [unrolled: 1-line block ×14, first 2 shown]
	scratch_load_b64 v[230:231], off, off offset:232
	ds_load_b128 v[174:177], v7 offset:864
	ds_load_b128 v[178:181], v7 offset:880
	;; [unrolled: 1-line block ×14, first 2 shown]
	s_mov_b32 s0, exec_lo
	s_wait_dscnt 0xd
	v_dual_mov_b32 v232, v177 :: v_dual_mov_b32 v233, v176
	s_wait_dscnt 0xc
	v_dual_mov_b32 v234, v181 :: v_dual_mov_b32 v235, v180
	;; [unrolled: 2-line block ×4, first 2 shown]
	s_wait_loadcnt_dscnt 0xe09
	v_dual_mul_f32 v7, v190, v119 :: v_dual_mul_f32 v9, v192, v121
	v_dual_mul_f32 v43, v191, v119 :: v_dual_mul_f32 v45, v193, v121
	s_wait_loadcnt_dscnt 0xd08
	v_dual_mul_f32 v11, v194, v123 :: v_dual_mul_f32 v13, v196, v125
	s_delay_alu instid0(VALU_DEP_3) | instskip(SKIP_3) | instid1(VALU_DEP_3)
	v_dual_fmac_f32 v7, v191, v118 :: v_dual_fmac_f32 v9, v193, v120
	s_wait_loadcnt_dscnt 0xb06
	v_dual_fma_f32 v43, v190, v118, -v43 :: v_dual_mul_f32 v55, v203, v131
	v_dual_mul_f32 v47, v195, v123 :: v_dual_mul_f32 v49, v197, v125
	v_dual_fma_f32 v45, v192, v120, -v45 :: v_dual_add_f32 v7, 0, v7
	s_delay_alu instid0(VALU_DEP_3) | instskip(SKIP_1) | instid1(VALU_DEP_3)
	v_dual_add_f32 v43, 0, v43 :: v_dual_mul_f32 v57, v205, v133
	v_dual_fmac_f32 v11, v195, v122 :: v_dual_fmac_f32 v13, v197, v124
	v_dual_fma_f32 v47, v194, v122, -v47 :: v_dual_add_f32 v7, v7, v9
	s_delay_alu instid0(VALU_DEP_3) | instskip(SKIP_2) | instid1(VALU_DEP_4)
	v_dual_add_f32 v9, v43, v45 :: v_dual_fma_f32 v45, v196, v124, -v49
	v_dual_mul_f32 v15, v198, v127 :: v_dual_mul_f32 v17, v200, v129
	v_dual_mul_f32 v51, v199, v127 :: v_dual_mul_f32 v53, v201, v129
	v_add_f32_e32 v7, v7, v11
	s_delay_alu instid0(VALU_DEP_3) | instskip(NEXT) | instid1(VALU_DEP_3)
	v_dual_add_f32 v9, v9, v47 :: v_dual_fmac_f32 v15, v199, v126
	v_fma_f32 v47, v198, v126, -v51
	v_dual_mul_f32 v19, v202, v131 :: v_dual_mul_f32 v21, v204, v133
	s_delay_alu instid0(VALU_DEP_4) | instskip(SKIP_2) | instid1(VALU_DEP_2)
	v_dual_add_f32 v7, v7, v13 :: v_dual_fmac_f32 v17, v201, v128
	s_wait_loadcnt_dscnt 0x904
	v_dual_add_f32 v9, v9, v45 :: v_dual_mul_f32 v13, v211, v139
	v_dual_fma_f32 v45, v200, v128, -v53 :: v_dual_add_f32 v7, v7, v15
	v_mul_f32_e32 v15, v213, v141
	s_delay_alu instid0(VALU_DEP_3) | instskip(NEXT) | instid1(VALU_DEP_3)
	v_dual_add_f32 v9, v9, v47 :: v_dual_fmac_f32 v19, v203, v130
	v_dual_fma_f32 v47, v202, v130, -v55 :: v_dual_add_f32 v7, v7, v17
	v_fmac_f32_e32 v21, v205, v132
	s_wait_loadcnt_dscnt 0x803
	s_delay_alu instid0(VALU_DEP_3) | instskip(SKIP_3) | instid1(VALU_DEP_3)
	v_dual_add_f32 v9, v9, v45 :: v_dual_mul_f32 v17, v215, v143
	v_dual_mul_f32 v23, v206, v135 :: v_dual_mul_f32 v25, v208, v137
	v_dual_mul_f32 v43, v207, v135 :: v_dual_mul_f32 v11, v209, v137
	v_dual_fma_f32 v45, v204, v132, -v57 :: v_dual_add_f32 v7, v7, v19
	v_dual_add_f32 v9, v9, v47 :: v_dual_fmac_f32 v23, v207, v134
	s_delay_alu instid0(VALU_DEP_3) | instskip(NEXT) | instid1(VALU_DEP_3)
	v_dual_mul_f32 v19, v217, v145 :: v_dual_fma_f32 v43, v206, v134, -v43
	v_dual_add_f32 v7, v7, v21 :: v_dual_fmac_f32 v25, v209, v136
	s_wait_loadcnt_dscnt 0x702
	s_delay_alu instid0(VALU_DEP_3) | instskip(SKIP_1) | instid1(VALU_DEP_3)
	v_dual_add_f32 v9, v9, v45 :: v_dual_mul_f32 v21, v219, v147
	v_dual_mul_f32 v27, v210, v139 :: v_dual_mul_f32 v29, v212, v141
	v_dual_fma_f32 v11, v208, v136, -v11 :: v_dual_add_f32 v7, v7, v23
	s_delay_alu instid0(VALU_DEP_2) | instskip(SKIP_1) | instid1(VALU_DEP_2)
	v_dual_add_f32 v9, v9, v43 :: v_dual_fmac_f32 v27, v211, v138
	v_dual_mul_f32 v23, v221, v149 :: v_dual_fma_f32 v13, v210, v138, -v13
	v_dual_add_f32 v7, v7, v25 :: v_dual_add_f32 v9, v9, v11
	v_dual_mul_f32 v31, v214, v143 :: v_dual_mul_f32 v33, v216, v145
	s_wait_loadcnt_dscnt 0x601
	v_dual_mul_f32 v11, v223, v151 :: v_dual_fmac_f32 v29, v213, v140
	s_delay_alu instid0(VALU_DEP_3) | instskip(NEXT) | instid1(VALU_DEP_3)
	v_dual_fma_f32 v15, v212, v140, -v15 :: v_dual_add_f32 v7, v7, v27
	v_dual_add_f32 v9, v9, v13 :: v_dual_fmac_f32 v31, v215, v142
	v_dual_mul_f32 v13, v225, v153 :: v_dual_fma_f32 v17, v214, v142, -v17
	s_delay_alu instid0(VALU_DEP_2) | instskip(SKIP_3) | instid1(VALU_DEP_3)
	v_dual_add_f32 v7, v7, v29 :: v_dual_add_f32 v9, v9, v15
	v_dual_mul_f32 v35, v218, v147 :: v_dual_mul_f32 v37, v220, v149
	s_wait_loadcnt_dscnt 0x500
	v_dual_mul_f32 v15, v227, v155 :: v_dual_fmac_f32 v33, v217, v144
	v_dual_fma_f32 v19, v216, v144, -v19 :: v_dual_add_f32 v7, v7, v31
	s_delay_alu instid0(VALU_DEP_3) | instskip(SKIP_1) | instid1(VALU_DEP_2)
	v_dual_add_f32 v9, v9, v17 :: v_dual_fmac_f32 v35, v219, v146
	v_dual_mul_f32 v17, v229, v157 :: v_dual_fma_f32 v21, v218, v146, -v21
	v_dual_add_f32 v7, v7, v33 :: v_dual_add_f32 v9, v9, v19
	v_dual_mul_f32 v39, v222, v151 :: v_dual_mul_f32 v41, v224, v153
	v_dual_fmac_f32 v37, v221, v148 :: v_dual_fma_f32 v19, v220, v148, -v23
	s_delay_alu instid0(VALU_DEP_3) | instskip(SKIP_1) | instid1(VALU_DEP_3)
	v_dual_add_f32 v7, v7, v35 :: v_dual_add_f32 v9, v9, v21
	s_wait_loadcnt 0x4
	v_dual_mov_b32 v120, v161 :: v_dual_fmac_f32 v39, v223, v150
	s_delay_alu instid0(VALU_DEP_2) | instskip(NEXT) | instid1(VALU_DEP_3)
	v_dual_fma_f32 v11, v222, v150, -v11 :: v_dual_add_f32 v7, v7, v37
	v_dual_add_f32 v9, v9, v19 :: v_dual_fma_f32 v13, v224, v152, -v13
	v_dual_mul_f32 v241, v226, v155 :: v_dual_mul_f32 v243, v228, v157
	s_delay_alu instid0(VALU_DEP_3) | instskip(NEXT) | instid1(VALU_DEP_2)
	v_dual_fmac_f32 v41, v225, v152 :: v_dual_add_f32 v7, v7, v39
	v_dual_add_f32 v9, v9, v11 :: v_dual_fmac_f32 v241, v227, v154
	v_pk_mul_f32 v[118:119], v[174:175], v[158:159] op_sel:[1,1] op_sel_hi:[0,1]
	s_wait_loadcnt 0x3
	v_dual_mov_b32 v124, v165 :: v_dual_fma_f32 v240, v226, v154, -v15
	v_dual_add_f32 v127, v7, v41 :: v_dual_fmac_f32 v243, v229, v156
	v_dual_add_f32 v126, v9, v13 :: v_dual_fma_f32 v242, v228, v156, -v17
	v_pk_fma_f32 v[128:129], v[174:175], v[158:159], v[118:119] op_sel_hi:[1,0,1]
	v_pk_mul_f32 v[120:121], v[232:233], v[120:121] op_sel_hi:[1,0]
	v_pk_fma_f32 v[118:119], v[174:175], v[158:159], v[118:119] neg_lo:[0,0,1] neg_hi:[0,0,1]
	s_delay_alu instid0(VALU_DEP_4)
	v_pk_add_f32 v[126:127], v[126:127], v[240:241]
	v_pk_mul_f32 v[122:123], v[178:179], v[162:163] op_sel:[1,1] op_sel_hi:[0,1]
	v_mov_b32_e32 v119, v129
	v_pk_fma_f32 v[128:129], v[176:177], v[160:161], v[120:121] op_sel_hi:[1,0,1]
	v_pk_fma_f32 v[120:121], v[176:177], v[160:161], v[120:121] neg_lo:[0,0,1] neg_hi:[0,0,1]
	v_pk_add_f32 v[126:127], v[126:127], v[242:243]
	v_pk_fma_f32 v[132:133], v[178:179], v[162:163], v[122:123] op_sel_hi:[1,0,1]
	v_pk_mul_f32 v[124:125], v[234:235], v[124:125] op_sel_hi:[1,0]
	v_mov_b32_e32 v121, v129
	s_wait_loadcnt 0x2
	v_pk_mul_f32 v[130:131], v[182:183], v[166:167] op_sel:[1,1] op_sel_hi:[0,1]
	v_pk_add_f32 v[118:119], v[126:127], v[118:119]
	v_mov_b32_e32 v126, v169
	v_pk_fma_f32 v[122:123], v[178:179], v[162:163], v[122:123] neg_lo:[0,0,1] neg_hi:[0,0,1]
	v_mov_b32_e32 v123, v133
	v_pk_fma_f32 v[128:129], v[180:181], v[164:165], v[124:125] op_sel_hi:[1,0,1]
	v_pk_add_f32 v[118:119], v[118:119], v[120:121]
	v_pk_fma_f32 v[120:121], v[182:183], v[166:167], v[130:131] op_sel_hi:[1,0,1]
	v_pk_mul_f32 v[126:127], v[236:237], v[126:127] op_sel_hi:[1,0]
	v_pk_fma_f32 v[124:125], v[180:181], v[164:165], v[124:125] neg_lo:[0,0,1] neg_hi:[0,0,1]
	v_mov_b32_e32 v125, v129
	v_pk_add_f32 v[118:119], v[118:119], v[122:123]
	v_pk_fma_f32 v[128:129], v[182:183], v[166:167], v[130:131] neg_lo:[0,0,1] neg_hi:[0,0,1]
	v_mov_b32_e32 v129, v121
	v_pk_fma_f32 v[120:121], v[184:185], v[168:169], v[126:127] op_sel_hi:[1,0,1]
	s_wait_loadcnt 0x1
	v_pk_mul_f32 v[122:123], v[186:187], v[170:171] op_sel:[1,1] op_sel_hi:[0,1]
	v_pk_add_f32 v[118:119], v[118:119], v[124:125]
	v_mov_b32_e32 v120, v173
	v_pk_fma_f32 v[126:127], v[184:185], v[168:169], v[126:127] neg_lo:[0,0,1] neg_hi:[0,0,1]
	v_mov_b32_e32 v127, v121
	v_pk_fma_f32 v[124:125], v[186:187], v[170:171], v[122:123] op_sel_hi:[1,0,1]
	v_pk_add_f32 v[118:119], v[118:119], v[128:129]
	v_pk_mul_f32 v[120:121], v[238:239], v[120:121] op_sel_hi:[1,0]
	v_pk_fma_f32 v[122:123], v[186:187], v[170:171], v[122:123] neg_lo:[0,0,1] neg_hi:[0,0,1]
	s_delay_alu instid0(VALU_DEP_4) | instskip(NEXT) | instid1(VALU_DEP_4)
	v_mov_b32_e32 v123, v125
	v_pk_add_f32 v[118:119], v[118:119], v[126:127]
	s_delay_alu instid0(VALU_DEP_4) | instskip(SKIP_1) | instid1(VALU_DEP_2)
	v_pk_fma_f32 v[124:125], v[188:189], v[172:173], v[120:121] op_sel_hi:[1,0,1]
	v_pk_fma_f32 v[120:121], v[188:189], v[172:173], v[120:121] neg_lo:[0,0,1] neg_hi:[0,0,1]
	v_mov_b32_e32 v121, v125
	s_delay_alu instid0(VALU_DEP_4) | instskip(NEXT) | instid1(VALU_DEP_1)
	v_pk_add_f32 v[118:119], v[118:119], v[122:123]
	v_pk_add_f32 v[118:119], v[118:119], v[120:121]
	s_wait_loadcnt 0x0
	s_delay_alu instid0(VALU_DEP_1)
	v_pk_add_f32 v[118:119], v[230:231], v[118:119] neg_lo:[0,1] neg_hi:[0,1]
	scratch_store_b64 off, v[118:119], off offset:232
	s_wait_xcnt 0x0
	v_cmpx_lt_u32_e32 28, v0
	s_cbranch_execz .LBB57_305
; %bb.304:
	scratch_load_b64 v[118:119], off, off offset:224
	v_mov_b64_e32 v[120:121], 0
	scratch_store_b64 off, v[120:121], off offset:224
	s_wait_loadcnt 0x0
	ds_store_b64 v1, v[118:119]
.LBB57_305:
	s_wait_xcnt 0x0
	s_or_b32 exec_lo, exec_lo, s0
	s_wait_storecnt_dscnt 0x0
	s_barrier_signal -1
	s_barrier_wait -1
	s_clause 0xf
	scratch_load_b128 v[118:121], off, off offset:232
	scratch_load_b128 v[122:125], off, off offset:248
	scratch_load_b128 v[126:129], off, off offset:264
	scratch_load_b128 v[130:133], off, off offset:280
	scratch_load_b128 v[134:137], off, off offset:296
	scratch_load_b128 v[138:141], off, off offset:312
	scratch_load_b128 v[142:145], off, off offset:328
	scratch_load_b128 v[146:149], off, off offset:344
	scratch_load_b128 v[150:153], off, off offset:360
	scratch_load_b128 v[154:157], off, off offset:376
	scratch_load_b128 v[158:161], off, off offset:392
	scratch_load_b128 v[162:165], off, off offset:408
	scratch_load_b128 v[166:169], off, off offset:424
	scratch_load_b128 v[170:173], off, off offset:440
	scratch_load_b64 v[230:231], off, off offset:456
	scratch_load_b64 v[232:233], off, off offset:224
	v_mov_b32_e32 v7, 0
	ds_load_2addr_b64 v[174:177], v7 offset0:107 offset1:108
	ds_load_2addr_b64 v[178:181], v7 offset0:109 offset1:110
	;; [unrolled: 1-line block ×14, first 2 shown]
	ds_load_b64 v[234:235], v7 offset:920
	s_mov_b32 s0, exec_lo
	s_wait_dscnt 0xe
	v_dual_mov_b32 v236, v177 :: v_dual_mov_b32 v237, v176
	s_wait_dscnt 0xb
	v_dual_mov_b32 v238, v181 :: v_dual_mov_b32 v243, v188
	v_dual_mov_b32 v239, v180 :: v_dual_mov_b32 v240, v185
	;; [unrolled: 1-line block ×3, first 2 shown]
	s_wait_loadcnt_dscnt 0xf0a
	v_dual_mul_f32 v9, v190, v119 :: v_dual_mul_f32 v47, v191, v119
	v_dual_mul_f32 v49, v193, v121 :: v_dual_mul_f32 v11, v192, v121
	s_wait_loadcnt_dscnt 0xe09
	v_mul_f32_e32 v13, v194, v123
	s_wait_loadcnt_dscnt 0xc07
	v_dual_mul_f32 v59, v203, v131 :: v_dual_fma_f32 v47, v190, v118, -v47
	v_dual_fmac_f32 v9, v191, v118 :: v_dual_mul_f32 v61, v205, v133
	v_dual_mul_f32 v51, v195, v123 :: v_dual_mul_f32 v53, v197, v125
	v_dual_fmac_f32 v11, v193, v120 :: v_dual_fma_f32 v49, v192, v120, -v49
	s_delay_alu instid0(VALU_DEP_3) | instskip(SKIP_3) | instid1(VALU_DEP_3)
	v_dual_add_f32 v9, 0, v9 :: v_dual_add_f32 v47, 0, v47
	v_dual_mul_f32 v15, v196, v125 :: v_dual_mul_f32 v17, v198, v127
	s_wait_loadcnt_dscnt 0xb06
	v_dual_mul_f32 v63, v207, v135 :: v_dual_fma_f32 v51, v194, v122, -v51
	v_dual_fmac_f32 v13, v195, v122 :: v_dual_add_f32 v9, v9, v11
	s_delay_alu instid0(VALU_DEP_3) | instskip(SKIP_2) | instid1(VALU_DEP_3)
	v_dual_add_f32 v11, v47, v49 :: v_dual_fmac_f32 v15, v197, v124
	v_dual_mul_f32 v55, v199, v127 :: v_dual_mul_f32 v57, v201, v129
	v_dual_mul_f32 v47, v209, v137 :: v_dual_fma_f32 v49, v196, v124, -v53
	v_dual_add_f32 v9, v9, v13 :: v_dual_add_f32 v11, v11, v51
	v_dual_mul_f32 v19, v200, v129 :: v_dual_mul_f32 v21, v202, v131
	s_wait_loadcnt_dscnt 0xa05
	v_dual_mul_f32 v13, v211, v139 :: v_dual_fma_f32 v51, v198, v126, -v55
	s_delay_alu instid0(VALU_DEP_3) | instskip(NEXT) | instid1(VALU_DEP_3)
	v_dual_fmac_f32 v17, v199, v126 :: v_dual_add_f32 v9, v9, v15
	v_dual_add_f32 v11, v11, v49 :: v_dual_fmac_f32 v19, v201, v128
	v_dual_mul_f32 v15, v213, v141 :: v_dual_fma_f32 v49, v200, v128, -v57
	s_delay_alu instid0(VALU_DEP_2) | instskip(SKIP_3) | instid1(VALU_DEP_3)
	v_dual_add_f32 v9, v9, v17 :: v_dual_add_f32 v11, v11, v51
	v_dual_mul_f32 v23, v204, v133 :: v_dual_mul_f32 v25, v206, v135
	s_wait_loadcnt_dscnt 0x904
	v_dual_mul_f32 v17, v215, v143 :: v_dual_fma_f32 v51, v202, v130, -v59
	v_dual_fmac_f32 v21, v203, v130 :: v_dual_add_f32 v9, v9, v19
	s_delay_alu instid0(VALU_DEP_3) | instskip(SKIP_1) | instid1(VALU_DEP_2)
	v_dual_add_f32 v11, v11, v49 :: v_dual_fmac_f32 v23, v205, v132
	v_dual_mul_f32 v19, v217, v145 :: v_dual_fma_f32 v49, v204, v132, -v61
	v_dual_add_f32 v9, v9, v21 :: v_dual_add_f32 v11, v11, v51
	v_dual_mul_f32 v27, v208, v137 :: v_dual_mul_f32 v29, v210, v139
	s_wait_loadcnt_dscnt 0x803
	v_dual_mul_f32 v21, v219, v147 :: v_dual_fma_f32 v51, v206, v134, -v63
	s_delay_alu instid0(VALU_DEP_3) | instskip(NEXT) | instid1(VALU_DEP_3)
	v_dual_fmac_f32 v25, v207, v134 :: v_dual_add_f32 v9, v9, v23
	v_dual_add_f32 v11, v11, v49 :: v_dual_fmac_f32 v27, v209, v136
	v_dual_mul_f32 v23, v221, v149 :: v_dual_fma_f32 v47, v208, v136, -v47
	s_delay_alu instid0(VALU_DEP_2) | instskip(SKIP_3) | instid1(VALU_DEP_3)
	v_dual_add_f32 v9, v9, v25 :: v_dual_add_f32 v11, v11, v51
	v_dual_mul_f32 v31, v212, v141 :: v_dual_mul_f32 v33, v214, v143
	s_wait_loadcnt_dscnt 0x702
	v_dual_mul_f32 v25, v223, v151 :: v_dual_fma_f32 v13, v210, v138, -v13
	v_dual_fmac_f32 v29, v211, v138 :: v_dual_add_f32 v9, v9, v27
	v_dual_add_f32 v11, v11, v47 :: v_dual_mul_f32 v27, v225, v153
	v_fmac_f32_e32 v31, v213, v140
	s_delay_alu instid0(VALU_DEP_3) | instskip(NEXT) | instid1(VALU_DEP_3)
	v_dual_fma_f32 v15, v212, v140, -v15 :: v_dual_add_f32 v9, v9, v29
	v_add_f32_e32 v11, v11, v13
	v_dual_mul_f32 v35, v216, v145 :: v_dual_mul_f32 v37, v218, v147
	s_wait_loadcnt_dscnt 0x601
	v_dual_mul_f32 v13, v227, v155 :: v_dual_fma_f32 v17, v214, v142, -v17
	v_dual_fmac_f32 v33, v215, v142 :: v_dual_add_f32 v9, v9, v31
	v_dual_add_f32 v11, v11, v15 :: v_dual_mul_f32 v15, v229, v157
	v_fmac_f32_e32 v35, v217, v144
	s_delay_alu instid0(VALU_DEP_3) | instskip(NEXT) | instid1(VALU_DEP_3)
	v_dual_fma_f32 v19, v216, v144, -v19 :: v_dual_add_f32 v9, v9, v33
	v_add_f32_e32 v11, v11, v17
	v_dual_mul_f32 v39, v220, v149 :: v_dual_mul_f32 v41, v222, v151
	s_wait_loadcnt 0x5
	v_dual_mul_f32 v17, v175, v159 :: v_dual_fma_f32 v21, v218, v146, -v21
	v_dual_fmac_f32 v37, v219, v146 :: v_dual_add_f32 v9, v9, v35
	v_dual_add_f32 v11, v11, v19 :: v_dual_mov_b32 v118, v161
	v_fmac_f32_e32 v39, v221, v148
	s_delay_alu instid0(VALU_DEP_3) | instskip(NEXT) | instid1(VALU_DEP_3)
	v_dual_fma_f32 v19, v220, v148, -v23 :: v_dual_add_f32 v9, v9, v37
	v_add_f32_e32 v11, v11, v21
	v_dual_mul_f32 v43, v224, v153 :: v_dual_mul_f32 v45, v226, v155
	s_delay_alu instid0(VALU_DEP_3) | instskip(NEXT) | instid1(VALU_DEP_3)
	v_dual_fmac_f32 v41, v223, v150 :: v_dual_add_f32 v9, v9, v39
	v_dual_fma_f32 v21, v222, v150, -v25 :: v_dual_add_f32 v11, v11, v19
	s_wait_loadcnt 0x4
	v_dual_mov_b32 v122, v165 :: v_dual_fma_f32 v19, v224, v152, -v27
	v_fmac_f32_e32 v43, v225, v152
	v_dual_add_f32 v9, v9, v41 :: v_dual_fmac_f32 v45, v227, v154
	v_add_f32_e32 v11, v11, v21
	v_dual_mul_f32 v245, v228, v157 :: v_dual_mul_f32 v247, v174, v159
	s_delay_alu instid0(VALU_DEP_3) | instskip(NEXT) | instid1(VALU_DEP_2)
	v_dual_fma_f32 v13, v226, v154, -v13 :: v_dual_add_f32 v9, v9, v43
	v_dual_add_f32 v11, v11, v19 :: v_dual_fmac_f32 v245, v229, v156
	v_fma_f32 v244, v228, v156, -v15
	v_pk_mul_f32 v[118:119], v[236:237], v[118:119] op_sel_hi:[1,0]
	s_delay_alu instid0(VALU_DEP_4)
	v_add_f32_e32 v127, v9, v45
	s_wait_loadcnt 0x3
	v_dual_add_f32 v126, v11, v13 :: v_dual_mov_b32 v128, v169
	v_pk_mul_f32 v[120:121], v[178:179], v[162:163] op_sel:[1,1] op_sel_hi:[0,1]
	v_dual_fmac_f32 v247, v175, v158 :: v_dual_fma_f32 v246, v174, v158, -v17
	v_pk_fma_f32 v[130:131], v[176:177], v[160:161], v[118:119] op_sel_hi:[1,0,1]
	s_delay_alu instid0(VALU_DEP_4)
	v_pk_add_f32 v[126:127], v[126:127], v[244:245]
	v_pk_fma_f32 v[118:119], v[176:177], v[160:161], v[118:119] neg_lo:[0,0,1] neg_hi:[0,0,1]
	v_pk_fma_f32 v[132:133], v[178:179], v[162:163], v[120:121] op_sel_hi:[1,0,1]
	v_pk_mul_f32 v[122:123], v[238:239], v[122:123] op_sel_hi:[1,0]
	v_mov_b32_e32 v119, v131
	v_pk_add_f32 v[126:127], v[126:127], v[246:247]
	v_pk_fma_f32 v[120:121], v[178:179], v[162:163], v[120:121] neg_lo:[0,0,1] neg_hi:[0,0,1]
	v_pk_mul_f32 v[124:125], v[182:183], v[166:167] op_sel:[1,1] op_sel_hi:[0,1]
	v_mov_b32_e32 v121, v133
	v_pk_fma_f32 v[132:133], v[180:181], v[164:165], v[122:123] op_sel_hi:[1,0,1]
	v_pk_add_f32 v[118:119], v[126:127], v[118:119]
	v_pk_fma_f32 v[122:123], v[180:181], v[164:165], v[122:123] neg_lo:[0,0,1] neg_hi:[0,0,1]
	v_pk_fma_f32 v[126:127], v[182:183], v[166:167], v[124:125] op_sel_hi:[1,0,1]
	v_pk_mul_f32 v[128:129], v[240:241], v[128:129] op_sel_hi:[1,0]
	v_mov_b32_e32 v123, v133
	v_pk_add_f32 v[118:119], v[118:119], v[120:121]
	v_pk_fma_f32 v[124:125], v[182:183], v[166:167], v[124:125] neg_lo:[0,0,1] neg_hi:[0,0,1]
	s_wait_loadcnt 0x2
	v_pk_mul_f32 v[130:131], v[186:187], v[170:171] op_sel:[1,1] op_sel_hi:[0,1]
	v_dual_mov_b32 v120, v173 :: v_dual_mov_b32 v125, v127
	v_pk_fma_f32 v[126:127], v[184:185], v[168:169], v[128:129] op_sel_hi:[1,0,1]
	v_pk_add_f32 v[118:119], v[118:119], v[122:123]
	v_pk_fma_f32 v[128:129], v[184:185], v[168:169], v[128:129] neg_lo:[0,0,1] neg_hi:[0,0,1]
	v_pk_fma_f32 v[122:123], v[186:187], v[170:171], v[130:131] op_sel_hi:[1,0,1]
	v_pk_mul_f32 v[120:121], v[242:243], v[120:121] op_sel_hi:[1,0]
	v_mov_b32_e32 v129, v127
	v_pk_add_f32 v[118:119], v[118:119], v[124:125]
	v_pk_fma_f32 v[124:125], v[186:187], v[170:171], v[130:131] neg_lo:[0,0,1] neg_hi:[0,0,1]
	v_mov_b32_e32 v125, v123
	v_pk_fma_f32 v[122:123], v[188:189], v[172:173], v[120:121] op_sel_hi:[1,0,1]
	s_wait_loadcnt_dscnt 0x100
	v_pk_mul_f32 v[126:127], v[234:235], v[230:231] op_sel:[1,1] op_sel_hi:[0,1]
	v_pk_add_f32 v[118:119], v[118:119], v[128:129]
	v_pk_fma_f32 v[120:121], v[188:189], v[172:173], v[120:121] neg_lo:[0,0,1] neg_hi:[0,0,1]
	v_mov_b32_e32 v121, v123
	s_delay_alu instid0(VALU_DEP_4) | instskip(NEXT) | instid1(VALU_DEP_4)
	v_pk_fma_f32 v[122:123], v[234:235], v[230:231], v[126:127] op_sel_hi:[1,0,1]
	v_pk_add_f32 v[118:119], v[118:119], v[124:125]
	v_pk_fma_f32 v[124:125], v[234:235], v[230:231], v[126:127] neg_lo:[0,0,1] neg_hi:[0,0,1]
	s_delay_alu instid0(VALU_DEP_3) | instskip(NEXT) | instid1(VALU_DEP_3)
	v_mov_b32_e32 v125, v123
	v_pk_add_f32 v[118:119], v[118:119], v[120:121]
	s_delay_alu instid0(VALU_DEP_1) | instskip(SKIP_1) | instid1(VALU_DEP_1)
	v_pk_add_f32 v[118:119], v[118:119], v[124:125]
	s_wait_loadcnt 0x0
	v_pk_add_f32 v[118:119], v[232:233], v[118:119] neg_lo:[0,1] neg_hi:[0,1]
	scratch_store_b64 off, v[118:119], off offset:224
	s_wait_xcnt 0x0
	v_cmpx_lt_u32_e32 27, v0
	s_cbranch_execz .LBB57_307
; %bb.306:
	scratch_load_b64 v[118:119], off, off offset:216
	v_mov_b64_e32 v[120:121], 0
	scratch_store_b64 off, v[120:121], off offset:216
	s_wait_loadcnt 0x0
	ds_store_b64 v1, v[118:119]
.LBB57_307:
	s_wait_xcnt 0x0
	s_or_b32 exec_lo, exec_lo, s0
	s_wait_storecnt_dscnt 0x0
	s_barrier_signal -1
	s_barrier_wait -1
	s_clause 0xf
	scratch_load_b128 v[118:121], off, off offset:224
	scratch_load_b128 v[122:125], off, off offset:240
	;; [unrolled: 1-line block ×15, first 2 shown]
	scratch_load_b64 v[238:239], off, off offset:216
	ds_load_b128 v[178:181], v7 offset:864
	ds_load_b128 v[182:185], v7 offset:880
	;; [unrolled: 1-line block ×15, first 2 shown]
	s_mov_b32 s0, exec_lo
	s_wait_dscnt 0xe
	v_dual_mov_b32 v240, v181 :: v_dual_mov_b32 v241, v180
	s_wait_dscnt 0xd
	v_dual_mov_b32 v242, v185 :: v_dual_mov_b32 v243, v184
	s_wait_dscnt 0xc
	v_dual_mov_b32 v244, v189 :: v_dual_mov_b32 v245, v188
	s_wait_dscnt 0xb
	v_dual_mov_b32 v246, v193 :: v_dual_mov_b32 v247, v192
	s_wait_loadcnt_dscnt 0xf0a
	v_dual_mul_f32 v7, v194, v119 :: v_dual_mul_f32 v9, v196, v121
	v_dual_mul_f32 v47, v195, v119 :: v_dual_mul_f32 v49, v197, v121
	s_wait_loadcnt_dscnt 0xe09
	v_dual_mul_f32 v11, v198, v123 :: v_dual_mul_f32 v13, v200, v125
	s_delay_alu instid0(VALU_DEP_3) | instskip(SKIP_3) | instid1(VALU_DEP_3)
	v_dual_fmac_f32 v7, v195, v118 :: v_dual_fmac_f32 v9, v197, v120
	s_wait_loadcnt_dscnt 0xc06
	v_dual_fma_f32 v47, v194, v118, -v47 :: v_dual_mul_f32 v59, v211, v131
	v_dual_mul_f32 v51, v199, v123 :: v_dual_mul_f32 v53, v201, v125
	v_dual_fma_f32 v49, v196, v120, -v49 :: v_dual_add_f32 v7, 0, v7
	s_delay_alu instid0(VALU_DEP_3) | instskip(SKIP_1) | instid1(VALU_DEP_3)
	v_dual_add_f32 v47, 0, v47 :: v_dual_mul_f32 v61, v213, v133
	v_dual_fmac_f32 v11, v199, v122 :: v_dual_fmac_f32 v13, v201, v124
	v_dual_fma_f32 v51, v198, v122, -v51 :: v_dual_add_f32 v7, v7, v9
	s_delay_alu instid0(VALU_DEP_3) | instskip(SKIP_2) | instid1(VALU_DEP_4)
	v_dual_add_f32 v9, v47, v49 :: v_dual_fma_f32 v49, v200, v124, -v53
	v_dual_mul_f32 v15, v206, v127 :: v_dual_mul_f32 v17, v208, v129
	v_dual_mul_f32 v55, v207, v127 :: v_dual_mul_f32 v57, v209, v129
	v_add_f32_e32 v7, v7, v11
	s_delay_alu instid0(VALU_DEP_3) | instskip(NEXT) | instid1(VALU_DEP_3)
	v_dual_add_f32 v9, v9, v51 :: v_dual_fmac_f32 v15, v207, v126
	v_fma_f32 v51, v206, v126, -v55
	v_dual_mul_f32 v19, v210, v131 :: v_dual_mul_f32 v21, v212, v133
	s_delay_alu instid0(VALU_DEP_4) | instskip(SKIP_2) | instid1(VALU_DEP_2)
	v_dual_add_f32 v7, v7, v13 :: v_dual_fmac_f32 v17, v209, v128
	s_wait_loadcnt_dscnt 0xa04
	v_dual_add_f32 v9, v9, v49 :: v_dual_mul_f32 v13, v219, v139
	v_dual_fma_f32 v49, v208, v128, -v57 :: v_dual_add_f32 v7, v7, v15
	v_mul_f32_e32 v15, v221, v141
	s_delay_alu instid0(VALU_DEP_3) | instskip(NEXT) | instid1(VALU_DEP_3)
	v_dual_add_f32 v9, v9, v51 :: v_dual_fmac_f32 v19, v211, v130
	v_dual_fma_f32 v51, v210, v130, -v59 :: v_dual_add_f32 v7, v7, v17
	v_fmac_f32_e32 v21, v213, v132
	s_wait_loadcnt_dscnt 0x903
	s_delay_alu instid0(VALU_DEP_3) | instskip(SKIP_3) | instid1(VALU_DEP_3)
	v_dual_add_f32 v9, v9, v49 :: v_dual_mul_f32 v17, v223, v143
	v_dual_mul_f32 v23, v214, v135 :: v_dual_mul_f32 v25, v216, v137
	v_dual_mul_f32 v47, v215, v135 :: v_dual_mul_f32 v11, v217, v137
	v_dual_fma_f32 v49, v212, v132, -v61 :: v_dual_add_f32 v7, v7, v19
	v_dual_add_f32 v9, v9, v51 :: v_dual_fmac_f32 v23, v215, v134
	s_delay_alu instid0(VALU_DEP_3) | instskip(NEXT) | instid1(VALU_DEP_3)
	v_dual_mul_f32 v19, v225, v145 :: v_dual_fma_f32 v47, v214, v134, -v47
	v_dual_add_f32 v7, v7, v21 :: v_dual_fmac_f32 v25, v217, v136
	s_wait_loadcnt_dscnt 0x802
	s_delay_alu instid0(VALU_DEP_3) | instskip(SKIP_1) | instid1(VALU_DEP_3)
	v_dual_add_f32 v9, v9, v49 :: v_dual_mul_f32 v21, v227, v147
	v_dual_mul_f32 v27, v218, v139 :: v_dual_mul_f32 v29, v220, v141
	v_dual_fma_f32 v11, v216, v136, -v11 :: v_dual_add_f32 v7, v7, v23
	s_delay_alu instid0(VALU_DEP_2) | instskip(SKIP_1) | instid1(VALU_DEP_2)
	v_dual_add_f32 v9, v9, v47 :: v_dual_fmac_f32 v27, v219, v138
	v_dual_mul_f32 v23, v229, v149 :: v_dual_fma_f32 v13, v218, v138, -v13
	v_dual_add_f32 v7, v7, v25 :: v_dual_add_f32 v9, v9, v11
	v_dual_mul_f32 v31, v222, v143 :: v_dual_mul_f32 v33, v224, v145
	s_wait_loadcnt_dscnt 0x701
	v_dual_mul_f32 v11, v231, v151 :: v_dual_fmac_f32 v29, v221, v140
	s_delay_alu instid0(VALU_DEP_3) | instskip(NEXT) | instid1(VALU_DEP_3)
	v_dual_fma_f32 v15, v220, v140, -v15 :: v_dual_add_f32 v7, v7, v27
	v_dual_add_f32 v9, v9, v13 :: v_dual_fmac_f32 v31, v223, v142
	v_dual_mul_f32 v13, v233, v153 :: v_dual_fma_f32 v17, v222, v142, -v17
	s_delay_alu instid0(VALU_DEP_2) | instskip(SKIP_3) | instid1(VALU_DEP_3)
	v_dual_add_f32 v7, v7, v29 :: v_dual_add_f32 v9, v9, v15
	v_dual_mul_f32 v35, v226, v147 :: v_dual_mul_f32 v37, v228, v149
	s_wait_loadcnt_dscnt 0x600
	v_dual_mul_f32 v15, v235, v155 :: v_dual_fmac_f32 v33, v225, v144
	v_dual_fma_f32 v19, v224, v144, -v19 :: v_dual_add_f32 v7, v7, v31
	s_delay_alu instid0(VALU_DEP_3) | instskip(SKIP_1) | instid1(VALU_DEP_2)
	v_dual_add_f32 v9, v9, v17 :: v_dual_fmac_f32 v35, v227, v146
	v_dual_mul_f32 v17, v237, v157 :: v_dual_fma_f32 v21, v226, v146, -v21
	v_dual_add_f32 v7, v7, v33 :: v_dual_add_f32 v9, v9, v19
	v_dual_mul_f32 v39, v230, v151 :: v_dual_mul_f32 v41, v232, v153
	s_wait_loadcnt 0x5
	v_dual_mul_f32 v19, v203, v159 :: v_dual_fmac_f32 v37, v229, v148
	s_delay_alu instid0(VALU_DEP_3) | instskip(NEXT) | instid1(VALU_DEP_3)
	v_dual_fma_f32 v23, v228, v148, -v23 :: v_dual_add_f32 v7, v7, v35
	v_dual_add_f32 v9, v9, v21 :: v_dual_fmac_f32 v39, v231, v150
	v_dual_mul_f32 v21, v205, v161 :: v_dual_fma_f32 v11, v230, v150, -v11
	s_delay_alu instid0(VALU_DEP_2) | instskip(SKIP_1) | instid1(VALU_DEP_2)
	v_dual_add_f32 v7, v7, v37 :: v_dual_add_f32 v9, v9, v23
	v_dual_mul_f32 v43, v234, v155 :: v_dual_mul_f32 v45, v236, v157
	v_dual_fmac_f32 v41, v233, v152 :: v_dual_add_f32 v7, v7, v39
	s_delay_alu instid0(VALU_DEP_3) | instskip(SKIP_1) | instid1(VALU_DEP_3)
	v_dual_fma_f32 v13, v232, v152, -v13 :: v_dual_add_f32 v9, v9, v11
	s_wait_loadcnt 0x4
	v_dual_mov_b32 v120, v165 :: v_dual_fmac_f32 v43, v235, v154
	s_delay_alu instid0(VALU_DEP_3) | instskip(NEXT) | instid1(VALU_DEP_3)
	v_dual_fma_f32 v11, v234, v154, -v15 :: v_dual_add_f32 v7, v7, v41
	v_dual_add_f32 v9, v9, v13 :: v_dual_fma_f32 v13, v236, v156, -v17
	v_dual_mul_f32 v249, v202, v159 :: v_dual_mul_f32 v251, v204, v161
	s_delay_alu instid0(VALU_DEP_3) | instskip(NEXT) | instid1(VALU_DEP_2)
	v_dual_fmac_f32 v45, v237, v156 :: v_dual_add_f32 v7, v7, v43
	v_dual_add_f32 v9, v9, v11 :: v_dual_fmac_f32 v249, v203, v158
	v_pk_mul_f32 v[118:119], v[178:179], v[162:163] op_sel:[1,1] op_sel_hi:[0,1]
	s_wait_loadcnt 0x3
	v_dual_mov_b32 v124, v169 :: v_dual_fma_f32 v248, v202, v158, -v19
	v_dual_add_f32 v127, v7, v45 :: v_dual_fmac_f32 v251, v205, v160
	v_dual_add_f32 v126, v9, v13 :: v_dual_fma_f32 v250, v204, v160, -v21
	v_pk_fma_f32 v[128:129], v[178:179], v[162:163], v[118:119] op_sel_hi:[1,0,1]
	v_pk_mul_f32 v[120:121], v[240:241], v[120:121] op_sel_hi:[1,0]
	v_pk_fma_f32 v[118:119], v[178:179], v[162:163], v[118:119] neg_lo:[0,0,1] neg_hi:[0,0,1]
	s_delay_alu instid0(VALU_DEP_4)
	v_pk_add_f32 v[126:127], v[126:127], v[248:249]
	v_pk_mul_f32 v[122:123], v[182:183], v[166:167] op_sel:[1,1] op_sel_hi:[0,1]
	v_mov_b32_e32 v119, v129
	v_pk_fma_f32 v[128:129], v[180:181], v[164:165], v[120:121] op_sel_hi:[1,0,1]
	v_pk_fma_f32 v[120:121], v[180:181], v[164:165], v[120:121] neg_lo:[0,0,1] neg_hi:[0,0,1]
	v_pk_add_f32 v[126:127], v[126:127], v[250:251]
	v_pk_fma_f32 v[132:133], v[182:183], v[166:167], v[122:123] op_sel_hi:[1,0,1]
	v_pk_mul_f32 v[124:125], v[242:243], v[124:125] op_sel_hi:[1,0]
	v_mov_b32_e32 v121, v129
	s_wait_loadcnt 0x2
	v_pk_mul_f32 v[130:131], v[186:187], v[170:171] op_sel:[1,1] op_sel_hi:[0,1]
	v_pk_add_f32 v[118:119], v[126:127], v[118:119]
	v_mov_b32_e32 v126, v173
	v_pk_fma_f32 v[122:123], v[182:183], v[166:167], v[122:123] neg_lo:[0,0,1] neg_hi:[0,0,1]
	v_mov_b32_e32 v123, v133
	v_pk_fma_f32 v[128:129], v[184:185], v[168:169], v[124:125] op_sel_hi:[1,0,1]
	v_pk_add_f32 v[118:119], v[118:119], v[120:121]
	v_pk_fma_f32 v[120:121], v[186:187], v[170:171], v[130:131] op_sel_hi:[1,0,1]
	v_pk_mul_f32 v[126:127], v[244:245], v[126:127] op_sel_hi:[1,0]
	v_pk_fma_f32 v[124:125], v[184:185], v[168:169], v[124:125] neg_lo:[0,0,1] neg_hi:[0,0,1]
	v_mov_b32_e32 v125, v129
	v_pk_add_f32 v[118:119], v[118:119], v[122:123]
	v_pk_fma_f32 v[128:129], v[186:187], v[170:171], v[130:131] neg_lo:[0,0,1] neg_hi:[0,0,1]
	v_mov_b32_e32 v129, v121
	v_pk_fma_f32 v[120:121], v[188:189], v[172:173], v[126:127] op_sel_hi:[1,0,1]
	s_wait_loadcnt 0x1
	v_pk_mul_f32 v[122:123], v[190:191], v[174:175] op_sel:[1,1] op_sel_hi:[0,1]
	v_pk_add_f32 v[118:119], v[118:119], v[124:125]
	v_mov_b32_e32 v120, v177
	v_pk_fma_f32 v[126:127], v[188:189], v[172:173], v[126:127] neg_lo:[0,0,1] neg_hi:[0,0,1]
	v_mov_b32_e32 v127, v121
	v_pk_fma_f32 v[124:125], v[190:191], v[174:175], v[122:123] op_sel_hi:[1,0,1]
	v_pk_add_f32 v[118:119], v[118:119], v[128:129]
	v_pk_mul_f32 v[120:121], v[246:247], v[120:121] op_sel_hi:[1,0]
	v_pk_fma_f32 v[122:123], v[190:191], v[174:175], v[122:123] neg_lo:[0,0,1] neg_hi:[0,0,1]
	s_delay_alu instid0(VALU_DEP_4) | instskip(NEXT) | instid1(VALU_DEP_4)
	v_mov_b32_e32 v123, v125
	v_pk_add_f32 v[118:119], v[118:119], v[126:127]
	s_delay_alu instid0(VALU_DEP_4) | instskip(SKIP_1) | instid1(VALU_DEP_2)
	v_pk_fma_f32 v[124:125], v[192:193], v[176:177], v[120:121] op_sel_hi:[1,0,1]
	v_pk_fma_f32 v[120:121], v[192:193], v[176:177], v[120:121] neg_lo:[0,0,1] neg_hi:[0,0,1]
	v_mov_b32_e32 v121, v125
	s_delay_alu instid0(VALU_DEP_4) | instskip(NEXT) | instid1(VALU_DEP_1)
	v_pk_add_f32 v[118:119], v[118:119], v[122:123]
	v_pk_add_f32 v[118:119], v[118:119], v[120:121]
	s_wait_loadcnt 0x0
	s_delay_alu instid0(VALU_DEP_1)
	v_pk_add_f32 v[118:119], v[238:239], v[118:119] neg_lo:[0,1] neg_hi:[0,1]
	scratch_store_b64 off, v[118:119], off offset:216
	s_wait_xcnt 0x0
	v_cmpx_lt_u32_e32 26, v0
	s_cbranch_execz .LBB57_309
; %bb.308:
	scratch_load_b64 v[118:119], off, off offset:208
	v_mov_b64_e32 v[120:121], 0
	scratch_store_b64 off, v[120:121], off offset:208
	s_wait_loadcnt 0x0
	ds_store_b64 v1, v[118:119]
.LBB57_309:
	s_wait_xcnt 0x0
	s_or_b32 exec_lo, exec_lo, s0
	s_wait_storecnt_dscnt 0x0
	s_barrier_signal -1
	s_barrier_wait -1
	s_clause 0x10
	scratch_load_b128 v[118:121], off, off offset:216
	scratch_load_b128 v[122:125], off, off offset:232
	;; [unrolled: 1-line block ×15, first 2 shown]
	scratch_load_b64 v[238:239], off, off offset:456
	scratch_load_b64 v[240:241], off, off offset:208
	v_mov_b32_e32 v7, 0
	ds_load_2addr_b64 v[178:181], v7 offset0:107 offset1:108
	ds_load_2addr_b64 v[182:185], v7 offset0:109 offset1:110
	;; [unrolled: 1-line block ×15, first 2 shown]
	ds_load_b64 v[242:243], v7 offset:920
	s_mov_b32 s0, exec_lo
	s_wait_dscnt 0xf
	v_dual_mov_b32 v244, v181 :: v_dual_mov_b32 v245, v180
	s_wait_dscnt 0xc
	v_dual_mov_b32 v246, v185 :: v_dual_mov_b32 v251, v192
	v_dual_mov_b32 v247, v184 :: v_dual_mov_b32 v248, v189
	;; [unrolled: 1-line block ×3, first 2 shown]
	s_wait_loadcnt_dscnt 0x100b
	v_dual_mul_f32 v9, v194, v119 :: v_dual_mul_f32 v51, v195, v119
	v_dual_mul_f32 v53, v197, v121 :: v_dual_mul_f32 v11, v196, v121
	s_wait_loadcnt_dscnt 0xf09
	v_mul_f32_e32 v13, v202, v123
	s_wait_loadcnt_dscnt 0xd07
	v_dual_mul_f32 v63, v211, v131 :: v_dual_fma_f32 v51, v194, v118, -v51
	v_dual_fmac_f32 v9, v195, v118 :: v_dual_mul_f32 v65, v213, v133
	v_dual_mul_f32 v55, v203, v123 :: v_dual_mul_f32 v57, v205, v125
	v_dual_fmac_f32 v11, v197, v120 :: v_dual_fma_f32 v53, v196, v120, -v53
	s_delay_alu instid0(VALU_DEP_3) | instskip(SKIP_3) | instid1(VALU_DEP_3)
	v_dual_add_f32 v9, 0, v9 :: v_dual_add_f32 v51, 0, v51
	v_dual_mul_f32 v15, v204, v125 :: v_dual_mul_f32 v17, v206, v127
	s_wait_loadcnt_dscnt 0xc06
	v_dual_mul_f32 v67, v215, v135 :: v_dual_fma_f32 v55, v202, v122, -v55
	v_dual_fmac_f32 v13, v203, v122 :: v_dual_add_f32 v9, v9, v11
	s_delay_alu instid0(VALU_DEP_3) | instskip(SKIP_2) | instid1(VALU_DEP_3)
	v_dual_add_f32 v11, v51, v53 :: v_dual_fmac_f32 v15, v205, v124
	v_dual_mul_f32 v59, v207, v127 :: v_dual_mul_f32 v61, v209, v129
	v_dual_mul_f32 v51, v217, v137 :: v_dual_fma_f32 v53, v204, v124, -v57
	v_dual_add_f32 v9, v9, v13 :: v_dual_add_f32 v11, v11, v55
	v_dual_mul_f32 v19, v208, v129 :: v_dual_mul_f32 v21, v210, v131
	s_wait_loadcnt_dscnt 0xb05
	v_dual_mul_f32 v13, v219, v139 :: v_dual_fma_f32 v55, v206, v126, -v59
	s_delay_alu instid0(VALU_DEP_3) | instskip(NEXT) | instid1(VALU_DEP_3)
	v_dual_fmac_f32 v17, v207, v126 :: v_dual_add_f32 v9, v9, v15
	v_dual_add_f32 v11, v11, v53 :: v_dual_fmac_f32 v19, v209, v128
	v_dual_mul_f32 v15, v221, v141 :: v_dual_fma_f32 v53, v208, v128, -v61
	s_delay_alu instid0(VALU_DEP_2) | instskip(SKIP_3) | instid1(VALU_DEP_3)
	v_dual_add_f32 v9, v9, v17 :: v_dual_add_f32 v11, v11, v55
	v_dual_mul_f32 v23, v212, v133 :: v_dual_mul_f32 v25, v214, v135
	s_wait_loadcnt_dscnt 0xa04
	v_dual_mul_f32 v17, v223, v143 :: v_dual_fma_f32 v55, v210, v130, -v63
	v_dual_fmac_f32 v21, v211, v130 :: v_dual_add_f32 v9, v9, v19
	s_delay_alu instid0(VALU_DEP_3) | instskip(SKIP_1) | instid1(VALU_DEP_2)
	v_dual_add_f32 v11, v11, v53 :: v_dual_fmac_f32 v23, v213, v132
	v_dual_mul_f32 v19, v225, v145 :: v_dual_fma_f32 v53, v212, v132, -v65
	v_dual_add_f32 v9, v9, v21 :: v_dual_add_f32 v11, v11, v55
	v_dual_mul_f32 v27, v216, v137 :: v_dual_mul_f32 v29, v218, v139
	s_wait_loadcnt_dscnt 0x903
	v_dual_mul_f32 v21, v227, v147 :: v_dual_fma_f32 v55, v214, v134, -v67
	s_delay_alu instid0(VALU_DEP_3) | instskip(NEXT) | instid1(VALU_DEP_3)
	v_dual_fmac_f32 v25, v215, v134 :: v_dual_add_f32 v9, v9, v23
	v_dual_add_f32 v11, v11, v53 :: v_dual_fmac_f32 v27, v217, v136
	v_dual_mul_f32 v23, v229, v149 :: v_dual_fma_f32 v51, v216, v136, -v51
	s_delay_alu instid0(VALU_DEP_2) | instskip(SKIP_3) | instid1(VALU_DEP_3)
	v_dual_add_f32 v9, v9, v25 :: v_dual_add_f32 v11, v11, v55
	v_dual_mul_f32 v31, v220, v141 :: v_dual_mul_f32 v33, v222, v143
	s_wait_loadcnt_dscnt 0x802
	v_dual_mul_f32 v25, v231, v151 :: v_dual_fma_f32 v13, v218, v138, -v13
	v_dual_fmac_f32 v29, v219, v138 :: v_dual_add_f32 v9, v9, v27
	v_dual_add_f32 v11, v11, v51 :: v_dual_mul_f32 v27, v233, v153
	v_fmac_f32_e32 v31, v221, v140
	s_delay_alu instid0(VALU_DEP_3) | instskip(NEXT) | instid1(VALU_DEP_3)
	v_dual_fma_f32 v15, v220, v140, -v15 :: v_dual_add_f32 v9, v9, v29
	v_add_f32_e32 v11, v11, v13
	v_dual_mul_f32 v35, v224, v145 :: v_dual_mul_f32 v37, v226, v147
	s_wait_loadcnt_dscnt 0x701
	v_dual_mul_f32 v13, v235, v155 :: v_dual_fma_f32 v17, v222, v142, -v17
	v_dual_fmac_f32 v33, v223, v142 :: v_dual_add_f32 v9, v9, v31
	v_dual_add_f32 v11, v11, v15 :: v_dual_mul_f32 v15, v237, v157
	v_fmac_f32_e32 v35, v225, v144
	s_delay_alu instid0(VALU_DEP_3) | instskip(NEXT) | instid1(VALU_DEP_3)
	v_dual_fma_f32 v19, v224, v144, -v19 :: v_dual_add_f32 v9, v9, v33
	v_add_f32_e32 v11, v11, v17
	v_dual_mul_f32 v39, v228, v149 :: v_dual_mul_f32 v41, v230, v151
	s_wait_loadcnt 0x6
	v_dual_mul_f32 v17, v199, v159 :: v_dual_fma_f32 v21, v226, v146, -v21
	v_dual_fmac_f32 v37, v227, v146 :: v_dual_add_f32 v9, v9, v35
	v_dual_add_f32 v11, v11, v19 :: v_dual_mul_f32 v19, v201, v161
	v_fmac_f32_e32 v39, v229, v148
	s_delay_alu instid0(VALU_DEP_3) | instskip(NEXT) | instid1(VALU_DEP_3)
	v_dual_fma_f32 v23, v228, v148, -v23 :: v_dual_add_f32 v9, v9, v37
	v_add_f32_e32 v11, v11, v21
	v_dual_mul_f32 v43, v232, v153 :: v_dual_mul_f32 v45, v234, v155
	s_wait_loadcnt 0x5
	v_dual_mul_f32 v21, v179, v163 :: v_dual_fma_f32 v25, v230, v150, -v25
	v_dual_fmac_f32 v41, v231, v150 :: v_dual_add_f32 v9, v9, v39
	v_dual_add_f32 v11, v11, v23 :: v_dual_mov_b32 v118, v165
	v_fmac_f32_e32 v43, v233, v152
	s_delay_alu instid0(VALU_DEP_3) | instskip(NEXT) | instid1(VALU_DEP_3)
	v_dual_fma_f32 v23, v232, v152, -v27 :: v_dual_add_f32 v9, v9, v41
	v_add_f32_e32 v11, v11, v25
	v_dual_mul_f32 v47, v236, v157 :: v_dual_mul_f32 v49, v198, v159
	s_delay_alu instid0(VALU_DEP_3) | instskip(NEXT) | instid1(VALU_DEP_3)
	v_dual_fmac_f32 v45, v235, v154 :: v_dual_add_f32 v9, v9, v43
	v_dual_fma_f32 v13, v234, v154, -v13 :: v_dual_add_f32 v11, v11, v23
	s_wait_loadcnt 0x4
	v_dual_mov_b32 v122, v169 :: v_dual_fma_f32 v15, v236, v156, -v15
	v_fmac_f32_e32 v47, v237, v156
	v_dual_add_f32 v9, v9, v45 :: v_dual_fmac_f32 v49, v199, v158
	v_add_f32_e32 v11, v11, v13
	v_dual_mul_f32 v253, v200, v161 :: v_dual_mul_f32 v255, v178, v163
	s_delay_alu instid0(VALU_DEP_3) | instskip(NEXT) | instid1(VALU_DEP_2)
	v_dual_fma_f32 v13, v198, v158, -v17 :: v_dual_add_f32 v9, v9, v47
	v_dual_add_f32 v11, v11, v15 :: v_dual_fmac_f32 v253, v201, v160
	v_fma_f32 v252, v200, v160, -v19
	v_pk_mul_f32 v[118:119], v[244:245], v[118:119] op_sel_hi:[1,0]
	s_delay_alu instid0(VALU_DEP_4)
	v_add_f32_e32 v127, v9, v49
	s_wait_loadcnt 0x3
	v_dual_add_f32 v126, v11, v13 :: v_dual_mov_b32 v128, v173
	v_pk_mul_f32 v[120:121], v[182:183], v[166:167] op_sel:[1,1] op_sel_hi:[0,1]
	v_dual_fmac_f32 v255, v179, v162 :: v_dual_fma_f32 v254, v178, v162, -v21
	v_pk_fma_f32 v[130:131], v[180:181], v[164:165], v[118:119] op_sel_hi:[1,0,1]
	s_delay_alu instid0(VALU_DEP_4)
	v_pk_add_f32 v[126:127], v[126:127], v[252:253]
	v_pk_fma_f32 v[118:119], v[180:181], v[164:165], v[118:119] neg_lo:[0,0,1] neg_hi:[0,0,1]
	v_pk_fma_f32 v[132:133], v[182:183], v[166:167], v[120:121] op_sel_hi:[1,0,1]
	v_pk_mul_f32 v[122:123], v[246:247], v[122:123] op_sel_hi:[1,0]
	v_mov_b32_e32 v119, v131
	v_pk_add_f32 v[126:127], v[126:127], v[254:255]
	v_pk_fma_f32 v[120:121], v[182:183], v[166:167], v[120:121] neg_lo:[0,0,1] neg_hi:[0,0,1]
	v_pk_mul_f32 v[124:125], v[186:187], v[170:171] op_sel:[1,1] op_sel_hi:[0,1]
	v_mov_b32_e32 v121, v133
	v_pk_fma_f32 v[132:133], v[184:185], v[168:169], v[122:123] op_sel_hi:[1,0,1]
	v_pk_add_f32 v[118:119], v[126:127], v[118:119]
	v_pk_fma_f32 v[122:123], v[184:185], v[168:169], v[122:123] neg_lo:[0,0,1] neg_hi:[0,0,1]
	v_pk_fma_f32 v[126:127], v[186:187], v[170:171], v[124:125] op_sel_hi:[1,0,1]
	v_pk_mul_f32 v[128:129], v[248:249], v[128:129] op_sel_hi:[1,0]
	v_mov_b32_e32 v123, v133
	v_pk_add_f32 v[118:119], v[118:119], v[120:121]
	v_pk_fma_f32 v[124:125], v[186:187], v[170:171], v[124:125] neg_lo:[0,0,1] neg_hi:[0,0,1]
	s_wait_loadcnt 0x2
	v_pk_mul_f32 v[130:131], v[190:191], v[174:175] op_sel:[1,1] op_sel_hi:[0,1]
	v_dual_mov_b32 v120, v177 :: v_dual_mov_b32 v125, v127
	v_pk_fma_f32 v[126:127], v[188:189], v[172:173], v[128:129] op_sel_hi:[1,0,1]
	v_pk_add_f32 v[118:119], v[118:119], v[122:123]
	v_pk_fma_f32 v[128:129], v[188:189], v[172:173], v[128:129] neg_lo:[0,0,1] neg_hi:[0,0,1]
	v_pk_fma_f32 v[122:123], v[190:191], v[174:175], v[130:131] op_sel_hi:[1,0,1]
	v_pk_mul_f32 v[120:121], v[250:251], v[120:121] op_sel_hi:[1,0]
	v_mov_b32_e32 v129, v127
	v_pk_add_f32 v[118:119], v[118:119], v[124:125]
	v_pk_fma_f32 v[124:125], v[190:191], v[174:175], v[130:131] neg_lo:[0,0,1] neg_hi:[0,0,1]
	v_mov_b32_e32 v125, v123
	v_pk_fma_f32 v[122:123], v[192:193], v[176:177], v[120:121] op_sel_hi:[1,0,1]
	s_wait_loadcnt_dscnt 0x100
	v_pk_mul_f32 v[126:127], v[242:243], v[238:239] op_sel:[1,1] op_sel_hi:[0,1]
	v_pk_add_f32 v[118:119], v[118:119], v[128:129]
	v_pk_fma_f32 v[120:121], v[192:193], v[176:177], v[120:121] neg_lo:[0,0,1] neg_hi:[0,0,1]
	v_mov_b32_e32 v121, v123
	s_delay_alu instid0(VALU_DEP_4) | instskip(NEXT) | instid1(VALU_DEP_4)
	v_pk_fma_f32 v[122:123], v[242:243], v[238:239], v[126:127] op_sel_hi:[1,0,1]
	v_pk_add_f32 v[118:119], v[118:119], v[124:125]
	v_pk_fma_f32 v[124:125], v[242:243], v[238:239], v[126:127] neg_lo:[0,0,1] neg_hi:[0,0,1]
	s_delay_alu instid0(VALU_DEP_3) | instskip(NEXT) | instid1(VALU_DEP_3)
	v_mov_b32_e32 v125, v123
	v_pk_add_f32 v[118:119], v[118:119], v[120:121]
	s_delay_alu instid0(VALU_DEP_1) | instskip(SKIP_1) | instid1(VALU_DEP_1)
	v_pk_add_f32 v[118:119], v[118:119], v[124:125]
	s_wait_loadcnt 0x0
	v_pk_add_f32 v[118:119], v[240:241], v[118:119] neg_lo:[0,1] neg_hi:[0,1]
	scratch_store_b64 off, v[118:119], off offset:208
	s_wait_xcnt 0x0
	v_cmpx_lt_u32_e32 25, v0
	s_cbranch_execz .LBB57_311
; %bb.310:
	scratch_load_b64 v[118:119], off, off offset:200
	v_mov_b64_e32 v[120:121], 0
	scratch_store_b64 off, v[120:121], off offset:200
	s_wait_loadcnt 0x0
	ds_store_b64 v1, v[118:119]
.LBB57_311:
	s_wait_xcnt 0x0
	s_or_b32 exec_lo, exec_lo, s0
	s_wait_storecnt_dscnt 0x0
	s_barrier_signal -1
	s_barrier_wait -1
	s_clause 0x10
	scratch_load_b128 v[118:121], off, off offset:208
	scratch_load_b128 v[122:125], off, off offset:224
	;; [unrolled: 1-line block ×16, first 2 shown]
	scratch_load_b64 v[246:247], off, off offset:200
	ds_load_b128 v[182:185], v7 offset:864
	ds_load_b128 v[186:189], v7 offset:880
	;; [unrolled: 1-line block ×16, first 2 shown]
	s_mov_b32 s0, exec_lo
	s_wait_dscnt 0xf
	v_dual_mov_b32 v248, v185 :: v_dual_mov_b32 v249, v184
	s_wait_dscnt 0xe
	v_dual_mov_b32 v250, v189 :: v_dual_mov_b32 v251, v188
	;; [unrolled: 2-line block ×4, first 2 shown]
	s_wait_loadcnt_dscnt 0x100b
	v_dual_mul_f32 v7, v198, v119 :: v_dual_mul_f32 v9, v200, v121
	v_dual_mul_f32 v51, v199, v119 :: v_dual_mul_f32 v53, v201, v121
	s_wait_loadcnt_dscnt 0xf0a
	v_dual_mul_f32 v11, v202, v123 :: v_dual_mul_f32 v13, v204, v125
	s_delay_alu instid0(VALU_DEP_3) | instskip(SKIP_3) | instid1(VALU_DEP_3)
	v_dual_fmac_f32 v7, v199, v118 :: v_dual_fmac_f32 v9, v201, v120
	s_wait_loadcnt_dscnt 0xd08
	v_dual_fma_f32 v51, v198, v118, -v51 :: v_dual_mul_f32 v63, v211, v131
	v_dual_mul_f32 v55, v203, v123 :: v_dual_mul_f32 v57, v205, v125
	v_dual_fma_f32 v53, v200, v120, -v53 :: v_dual_add_f32 v7, 0, v7
	s_delay_alu instid0(VALU_DEP_3) | instskip(SKIP_1) | instid1(VALU_DEP_3)
	v_dual_add_f32 v51, 0, v51 :: v_dual_mul_f32 v65, v213, v133
	v_dual_fmac_f32 v11, v203, v122 :: v_dual_fmac_f32 v13, v205, v124
	v_dual_fma_f32 v55, v202, v122, -v55 :: v_dual_add_f32 v7, v7, v9
	s_delay_alu instid0(VALU_DEP_3) | instskip(SKIP_2) | instid1(VALU_DEP_4)
	v_dual_add_f32 v9, v51, v53 :: v_dual_fma_f32 v53, v204, v124, -v57
	v_dual_mul_f32 v15, v206, v127 :: v_dual_mul_f32 v17, v208, v129
	v_dual_mul_f32 v59, v207, v127 :: v_dual_mul_f32 v61, v209, v129
	v_add_f32_e32 v7, v7, v11
	s_delay_alu instid0(VALU_DEP_3) | instskip(NEXT) | instid1(VALU_DEP_3)
	v_dual_add_f32 v9, v9, v55 :: v_dual_fmac_f32 v15, v207, v126
	v_fma_f32 v55, v206, v126, -v59
	v_dual_mul_f32 v19, v210, v131 :: v_dual_mul_f32 v21, v212, v133
	s_delay_alu instid0(VALU_DEP_4) | instskip(SKIP_2) | instid1(VALU_DEP_2)
	v_dual_add_f32 v7, v7, v13 :: v_dual_fmac_f32 v17, v209, v128
	s_wait_loadcnt_dscnt 0xb06
	v_dual_add_f32 v9, v9, v53 :: v_dual_mul_f32 v13, v219, v139
	v_dual_fma_f32 v53, v208, v128, -v61 :: v_dual_add_f32 v7, v7, v15
	v_mul_f32_e32 v15, v221, v141
	s_delay_alu instid0(VALU_DEP_3) | instskip(NEXT) | instid1(VALU_DEP_3)
	v_dual_add_f32 v9, v9, v55 :: v_dual_fmac_f32 v19, v211, v130
	v_dual_fma_f32 v55, v210, v130, -v63 :: v_dual_add_f32 v7, v7, v17
	v_fmac_f32_e32 v21, v213, v132
	s_wait_loadcnt_dscnt 0xa05
	s_delay_alu instid0(VALU_DEP_3) | instskip(SKIP_3) | instid1(VALU_DEP_3)
	v_dual_add_f32 v9, v9, v53 :: v_dual_mul_f32 v17, v223, v143
	v_dual_mul_f32 v23, v214, v135 :: v_dual_mul_f32 v25, v216, v137
	v_dual_mul_f32 v51, v215, v135 :: v_dual_mul_f32 v11, v217, v137
	v_dual_fma_f32 v53, v212, v132, -v65 :: v_dual_add_f32 v7, v7, v19
	v_dual_add_f32 v9, v9, v55 :: v_dual_fmac_f32 v23, v215, v134
	s_delay_alu instid0(VALU_DEP_3) | instskip(NEXT) | instid1(VALU_DEP_3)
	v_dual_mul_f32 v19, v225, v145 :: v_dual_fma_f32 v51, v214, v134, -v51
	v_dual_add_f32 v7, v7, v21 :: v_dual_fmac_f32 v25, v217, v136
	s_wait_loadcnt_dscnt 0x904
	s_delay_alu instid0(VALU_DEP_3) | instskip(SKIP_1) | instid1(VALU_DEP_3)
	v_dual_add_f32 v9, v9, v53 :: v_dual_mul_f32 v21, v227, v147
	v_dual_mul_f32 v27, v218, v139 :: v_dual_mul_f32 v29, v220, v141
	v_dual_fma_f32 v11, v216, v136, -v11 :: v_dual_add_f32 v7, v7, v23
	s_delay_alu instid0(VALU_DEP_2) | instskip(SKIP_1) | instid1(VALU_DEP_2)
	v_dual_add_f32 v9, v9, v51 :: v_dual_fmac_f32 v27, v219, v138
	v_dual_mul_f32 v23, v229, v149 :: v_dual_fma_f32 v13, v218, v138, -v13
	v_dual_add_f32 v7, v7, v25 :: v_dual_add_f32 v9, v9, v11
	v_dual_mul_f32 v31, v222, v143 :: v_dual_mul_f32 v33, v224, v145
	s_wait_loadcnt_dscnt 0x803
	v_dual_mul_f32 v11, v231, v151 :: v_dual_fmac_f32 v29, v221, v140
	s_delay_alu instid0(VALU_DEP_3) | instskip(NEXT) | instid1(VALU_DEP_3)
	v_dual_fma_f32 v15, v220, v140, -v15 :: v_dual_add_f32 v7, v7, v27
	v_dual_add_f32 v9, v9, v13 :: v_dual_fmac_f32 v31, v223, v142
	v_dual_mul_f32 v13, v233, v153 :: v_dual_fma_f32 v17, v222, v142, -v17
	s_delay_alu instid0(VALU_DEP_2) | instskip(SKIP_3) | instid1(VALU_DEP_3)
	v_dual_add_f32 v7, v7, v29 :: v_dual_add_f32 v9, v9, v15
	v_dual_mul_f32 v35, v226, v147 :: v_dual_mul_f32 v37, v228, v149
	s_wait_loadcnt_dscnt 0x702
	v_dual_mul_f32 v15, v235, v155 :: v_dual_fmac_f32 v33, v225, v144
	v_dual_fma_f32 v19, v224, v144, -v19 :: v_dual_add_f32 v7, v7, v31
	s_delay_alu instid0(VALU_DEP_3) | instskip(SKIP_1) | instid1(VALU_DEP_2)
	v_dual_add_f32 v9, v9, v17 :: v_dual_fmac_f32 v35, v227, v146
	v_dual_mul_f32 v17, v237, v157 :: v_dual_fma_f32 v21, v226, v146, -v21
	v_dual_add_f32 v7, v7, v33 :: v_dual_add_f32 v9, v9, v19
	v_dual_mul_f32 v39, v230, v151 :: v_dual_mul_f32 v41, v232, v153
	s_wait_loadcnt_dscnt 0x601
	v_dual_mul_f32 v19, v239, v159 :: v_dual_fmac_f32 v37, v229, v148
	s_delay_alu instid0(VALU_DEP_3) | instskip(NEXT) | instid1(VALU_DEP_3)
	v_dual_fma_f32 v23, v228, v148, -v23 :: v_dual_add_f32 v7, v7, v35
	v_dual_add_f32 v9, v9, v21 :: v_dual_fmac_f32 v39, v231, v150
	v_dual_mul_f32 v21, v241, v161 :: v_dual_fma_f32 v11, v230, v150, -v11
	s_delay_alu instid0(VALU_DEP_2) | instskip(SKIP_3) | instid1(VALU_DEP_3)
	v_dual_add_f32 v7, v7, v37 :: v_dual_add_f32 v9, v9, v23
	v_dual_mul_f32 v43, v234, v155 :: v_dual_mul_f32 v45, v236, v157
	s_wait_loadcnt_dscnt 0x500
	v_dual_mul_f32 v23, v243, v163 :: v_dual_fmac_f32 v41, v233, v152
	v_dual_fma_f32 v13, v232, v152, -v13 :: v_dual_add_f32 v7, v7, v39
	s_delay_alu instid0(VALU_DEP_3) | instskip(SKIP_1) | instid1(VALU_DEP_3)
	v_dual_add_f32 v9, v9, v11 :: v_dual_fmac_f32 v43, v235, v154
	v_dual_mul_f32 v11, v245, v165 :: v_dual_fma_f32 v15, v234, v154, -v15
	v_dual_add_f32 v7, v7, v41 :: v_dual_fmac_f32 v45, v237, v156
	s_delay_alu instid0(VALU_DEP_3) | instskip(SKIP_2) | instid1(VALU_DEP_3)
	v_dual_add_f32 v9, v9, v13 :: v_dual_fma_f32 v13, v236, v156, -v17
	v_dual_mul_f32 v47, v238, v159 :: v_dual_mul_f32 v49, v240, v161
	s_wait_loadcnt 0x4
	v_dual_add_f32 v7, v7, v43 :: v_dual_mov_b32 v120, v169
	s_delay_alu instid0(VALU_DEP_2) | instskip(NEXT) | instid1(VALU_DEP_2)
	v_dual_add_f32 v9, v9, v15 :: v_dual_fmac_f32 v47, v239, v158
	v_dual_fma_f32 v15, v238, v158, -v19 :: v_dual_add_f32 v7, v7, v45
	s_set_vgpr_msb 64                       ;  msbs: dst=1 src0=0 src1=0 src2=0
	v_dual_mul_f32 v1 /*v257*/, v242, v163 :: v_dual_mul_f32 v3 /*v259*/, v244, v165
	s_set_vgpr_msb 0                        ;  msbs: dst=0 src0=0 src1=0 src2=0
	v_dual_add_f32 v9, v9, v13 :: v_dual_fma_f32 v13, v240, v160, -v21
	v_dual_fmac_f32 v49, v241, v160 :: v_dual_add_f32 v7, v7, v47
	v_pk_mul_f32 v[118:119], v[182:183], v[166:167] op_sel:[1,1] op_sel_hi:[0,1]
	s_delay_alu instid0(VALU_DEP_3)
	v_add_f32_e32 v9, v9, v15
	s_set_vgpr_msb 64                       ;  msbs: dst=1 src0=0 src1=0 src2=0
	v_dual_fmac_f32 v1 /*v257*/, v243, v162 :: v_dual_fmac_f32 v3 /*v259*/, v245, v164
	v_fma_f32 v0 /*v256*/, v242, v162, -v23
	s_set_vgpr_msb 0                        ;  msbs: dst=0 src0=0 src1=0 src2=0
	v_add_f32_e32 v127, v7, v49
	v_add_f32_e32 v126, v9, v13
	s_set_vgpr_msb 64                       ;  msbs: dst=1 src0=0 src1=0 src2=0
	v_fma_f32 v2 /*v258*/, v244, v164, -v11
	s_set_vgpr_msb 0                        ;  msbs: dst=0 src0=0 src1=0 src2=0
	v_pk_fma_f32 v[128:129], v[182:183], v[166:167], v[118:119] op_sel_hi:[1,0,1]
	v_pk_mul_f32 v[120:121], v[248:249], v[120:121] op_sel_hi:[1,0]
	v_pk_fma_f32 v[118:119], v[182:183], v[166:167], v[118:119] neg_lo:[0,0,1] neg_hi:[0,0,1]
	s_set_vgpr_msb 4                        ;  msbs: dst=0 src0=0 src1=1 src2=0
	v_pk_add_f32 v[126:127], v[126:127], v[0:1] /*v[256:257]*/
	s_wait_loadcnt 0x3
	s_set_vgpr_msb 0                        ;  msbs: dst=0 src0=0 src1=0 src2=0
	v_pk_mul_f32 v[122:123], v[186:187], v[170:171] op_sel:[1,1] op_sel_hi:[0,1]
	v_dual_mov_b32 v124, v173 :: v_dual_mov_b32 v119, v129
	v_pk_fma_f32 v[128:129], v[184:185], v[168:169], v[120:121] op_sel_hi:[1,0,1]
	s_set_vgpr_msb 4                        ;  msbs: dst=0 src0=0 src1=1 src2=0
	v_pk_add_f32 v[126:127], v[126:127], v[2:3] /*v[258:259]*/
	s_set_vgpr_msb 0                        ;  msbs: dst=0 src0=0 src1=0 src2=0
	v_pk_fma_f32 v[120:121], v[184:185], v[168:169], v[120:121] neg_lo:[0,0,1] neg_hi:[0,0,1]
	v_pk_fma_f32 v[132:133], v[186:187], v[170:171], v[122:123] op_sel_hi:[1,0,1]
	v_pk_mul_f32 v[124:125], v[250:251], v[124:125] op_sel_hi:[1,0]
	v_mov_b32_e32 v121, v129
	v_pk_add_f32 v[118:119], v[126:127], v[118:119]
	s_wait_loadcnt 0x2
	v_pk_mul_f32 v[130:131], v[190:191], v[174:175] op_sel:[1,1] op_sel_hi:[0,1]
	v_mov_b32_e32 v126, v177
	v_pk_fma_f32 v[122:123], v[186:187], v[170:171], v[122:123] neg_lo:[0,0,1] neg_hi:[0,0,1]
	v_pk_fma_f32 v[128:129], v[188:189], v[172:173], v[124:125] op_sel_hi:[1,0,1]
	v_mov_b32_e32 v123, v133
	v_pk_add_f32 v[118:119], v[118:119], v[120:121]
	v_pk_fma_f32 v[120:121], v[190:191], v[174:175], v[130:131] op_sel_hi:[1,0,1]
	v_pk_mul_f32 v[126:127], v[252:253], v[126:127] op_sel_hi:[1,0]
	v_pk_fma_f32 v[124:125], v[188:189], v[172:173], v[124:125] neg_lo:[0,0,1] neg_hi:[0,0,1]
	v_mov_b32_e32 v125, v129
	v_pk_add_f32 v[118:119], v[118:119], v[122:123]
	v_pk_fma_f32 v[128:129], v[190:191], v[174:175], v[130:131] neg_lo:[0,0,1] neg_hi:[0,0,1]
	v_mov_b32_e32 v129, v121
	v_pk_fma_f32 v[120:121], v[192:193], v[176:177], v[126:127] op_sel_hi:[1,0,1]
	s_wait_loadcnt 0x1
	v_pk_mul_f32 v[122:123], v[194:195], v[178:179] op_sel:[1,1] op_sel_hi:[0,1]
	v_pk_add_f32 v[118:119], v[118:119], v[124:125]
	v_mov_b32_e32 v120, v181
	v_pk_fma_f32 v[126:127], v[192:193], v[176:177], v[126:127] neg_lo:[0,0,1] neg_hi:[0,0,1]
	s_delay_alu instid0(VALU_DEP_4)
	v_pk_fma_f32 v[124:125], v[194:195], v[178:179], v[122:123] op_sel_hi:[1,0,1]
	v_mov_b32_e32 v127, v121
	v_pk_add_f32 v[118:119], v[118:119], v[128:129]
	v_pk_mul_f32 v[120:121], v[254:255], v[120:121] op_sel_hi:[1,0]
	v_pk_fma_f32 v[122:123], v[194:195], v[178:179], v[122:123] neg_lo:[0,0,1] neg_hi:[0,0,1]
	v_mov_b32_e32 v123, v125
	s_delay_alu instid0(VALU_DEP_4) | instskip(NEXT) | instid1(VALU_DEP_4)
	v_pk_add_f32 v[118:119], v[118:119], v[126:127]
	v_pk_fma_f32 v[124:125], v[196:197], v[180:181], v[120:121] op_sel_hi:[1,0,1]
	v_pk_fma_f32 v[120:121], v[196:197], v[180:181], v[120:121] neg_lo:[0,0,1] neg_hi:[0,0,1]
	s_delay_alu instid0(VALU_DEP_3) | instskip(NEXT) | instid1(VALU_DEP_3)
	v_pk_add_f32 v[118:119], v[118:119], v[122:123]
	v_mov_b32_e32 v121, v125
	s_delay_alu instid0(VALU_DEP_1) | instskip(SKIP_1) | instid1(VALU_DEP_1)
	v_pk_add_f32 v[118:119], v[118:119], v[120:121]
	s_wait_loadcnt 0x0
	v_pk_add_f32 v[118:119], v[246:247], v[118:119] neg_lo:[0,1] neg_hi:[0,1]
	scratch_store_b64 off, v[118:119], off offset:200
	s_wait_xcnt 0x0
	v_cmpx_lt_u32_e32 24, v0
	s_cbranch_execz .LBB57_313
; %bb.312:
	scratch_load_b64 v[118:119], off, off offset:192
	v_mov_b64_e32 v[120:121], 0
	scratch_store_b64 off, v[120:121], off offset:192
	s_wait_loadcnt 0x0
	ds_store_b64 v1, v[118:119]
.LBB57_313:
	s_wait_xcnt 0x0
	s_or_b32 exec_lo, exec_lo, s0
	s_wait_storecnt_dscnt 0x0
	s_barrier_signal -1
	s_barrier_wait -1
	s_clause 0x11
	scratch_load_b128 v[118:121], off, off offset:200
	scratch_load_b128 v[122:125], off, off offset:216
	;; [unrolled: 1-line block ×16, first 2 shown]
	scratch_load_b64 v[246:247], off, off offset:456
	scratch_load_b64 v[248:249], off, off offset:192
	v_mov_b32_e32 v7, 0
	ds_load_2addr_b64 v[182:185], v7 offset0:107 offset1:108
	ds_load_2addr_b64 v[186:189], v7 offset0:109 offset1:110
	ds_load_2addr_b64 v[190:193], v7 offset0:111 offset1:112
	ds_load_2addr_b64 v[194:197], v7 offset0:113 offset1:114
	ds_load_2addr_b64 v[198:201], v7 offset0:83 offset1:84
	ds_load_2addr_b64 v[202:205], v7 offset0:85 offset1:86
	ds_load_2addr_b64 v[206:209], v7 offset0:87 offset1:88
	ds_load_2addr_b64 v[210:213], v7 offset0:89 offset1:90
	ds_load_2addr_b64 v[214:217], v7 offset0:91 offset1:92
	ds_load_2addr_b64 v[218:221], v7 offset0:93 offset1:94
	ds_load_2addr_b64 v[222:225], v7 offset0:95 offset1:96
	ds_load_2addr_b64 v[226:229], v7 offset0:97 offset1:98
	ds_load_2addr_b64 v[230:233], v7 offset0:99 offset1:100
	ds_load_2addr_b64 v[234:237], v7 offset0:101 offset1:102
	ds_load_2addr_b64 v[238:241], v7 offset0:103 offset1:104
	ds_load_2addr_b64 v[242:245], v7 offset0:105 offset1:106
	ds_load_b64 v[250:251], v7 offset:920
	s_mov_b32 s0, exec_lo
	s_wait_dscnt 0xf
	v_dual_mov_b32 v252, v185 :: v_dual_mov_b32 v255, v188
	v_dual_mov_b32 v253, v184 :: v_dual_mov_b32 v254, v189
	s_wait_dscnt 0xe
	s_set_vgpr_msb 64                       ;  msbs: dst=1 src0=0 src1=0 src2=0
	v_dual_mov_b32 v0 /*v256*/, v193 :: v_dual_mov_b32 v1 /*v257*/, v192
	s_wait_dscnt 0xd
	v_dual_mov_b32 v2 /*v258*/, v197 :: v_dual_mov_b32 v3 /*v259*/, v196
	s_wait_loadcnt_dscnt 0x110c
	s_set_vgpr_msb 0                        ;  msbs: dst=0 src0=0 src1=0 src2=0
	v_dual_mul_f32 v9, v198, v119 :: v_dual_mul_f32 v55, v199, v119
	v_dual_mul_f32 v57, v201, v121 :: v_dual_mul_f32 v11, v200, v121
	s_wait_loadcnt_dscnt 0x100b
	v_mul_f32_e32 v13, v202, v123
	s_wait_loadcnt_dscnt 0xe09
	v_dual_mul_f32 v67, v211, v131 :: v_dual_fma_f32 v55, v198, v118, -v55
	v_dual_fmac_f32 v9, v199, v118 :: v_dual_mul_f32 v69, v213, v133
	v_dual_mul_f32 v59, v203, v123 :: v_dual_mul_f32 v61, v205, v125
	v_dual_fmac_f32 v11, v201, v120 :: v_dual_fma_f32 v57, v200, v120, -v57
	s_delay_alu instid0(VALU_DEP_3) | instskip(SKIP_3) | instid1(VALU_DEP_3)
	v_dual_add_f32 v9, 0, v9 :: v_dual_add_f32 v55, 0, v55
	v_dual_mul_f32 v15, v204, v125 :: v_dual_mul_f32 v17, v206, v127
	s_wait_loadcnt_dscnt 0xd08
	v_dual_mul_f32 v71, v215, v135 :: v_dual_fma_f32 v59, v202, v122, -v59
	v_dual_fmac_f32 v13, v203, v122 :: v_dual_add_f32 v9, v9, v11
	s_delay_alu instid0(VALU_DEP_3) | instskip(SKIP_2) | instid1(VALU_DEP_3)
	v_dual_add_f32 v11, v55, v57 :: v_dual_fmac_f32 v15, v205, v124
	v_dual_mul_f32 v63, v207, v127 :: v_dual_mul_f32 v65, v209, v129
	v_dual_mul_f32 v55, v217, v137 :: v_dual_fma_f32 v57, v204, v124, -v61
	v_dual_add_f32 v9, v9, v13 :: v_dual_add_f32 v11, v11, v59
	v_dual_mul_f32 v19, v208, v129 :: v_dual_mul_f32 v21, v210, v131
	s_wait_loadcnt_dscnt 0xc07
	v_dual_mul_f32 v13, v219, v139 :: v_dual_fma_f32 v59, v206, v126, -v63
	s_delay_alu instid0(VALU_DEP_3) | instskip(NEXT) | instid1(VALU_DEP_3)
	v_dual_fmac_f32 v17, v207, v126 :: v_dual_add_f32 v9, v9, v15
	v_dual_add_f32 v11, v11, v57 :: v_dual_fmac_f32 v19, v209, v128
	v_dual_mul_f32 v15, v221, v141 :: v_dual_fma_f32 v57, v208, v128, -v65
	s_delay_alu instid0(VALU_DEP_2) | instskip(SKIP_3) | instid1(VALU_DEP_3)
	v_dual_add_f32 v9, v9, v17 :: v_dual_add_f32 v11, v11, v59
	v_dual_mul_f32 v23, v212, v133 :: v_dual_mul_f32 v25, v214, v135
	s_wait_loadcnt_dscnt 0xb06
	v_dual_mul_f32 v17, v223, v143 :: v_dual_fma_f32 v59, v210, v130, -v67
	v_dual_fmac_f32 v21, v211, v130 :: v_dual_add_f32 v9, v9, v19
	s_delay_alu instid0(VALU_DEP_3) | instskip(SKIP_1) | instid1(VALU_DEP_2)
	v_dual_add_f32 v11, v11, v57 :: v_dual_fmac_f32 v23, v213, v132
	v_dual_mul_f32 v19, v225, v145 :: v_dual_fma_f32 v57, v212, v132, -v69
	v_dual_add_f32 v9, v9, v21 :: v_dual_add_f32 v11, v11, v59
	v_dual_mul_f32 v27, v216, v137 :: v_dual_mul_f32 v29, v218, v139
	s_wait_loadcnt_dscnt 0xa05
	v_dual_mul_f32 v21, v227, v147 :: v_dual_fma_f32 v59, v214, v134, -v71
	s_delay_alu instid0(VALU_DEP_3) | instskip(NEXT) | instid1(VALU_DEP_3)
	v_dual_fmac_f32 v25, v215, v134 :: v_dual_add_f32 v9, v9, v23
	v_dual_add_f32 v11, v11, v57 :: v_dual_fmac_f32 v27, v217, v136
	v_dual_mul_f32 v23, v229, v149 :: v_dual_fma_f32 v55, v216, v136, -v55
	s_delay_alu instid0(VALU_DEP_2) | instskip(SKIP_3) | instid1(VALU_DEP_3)
	v_dual_add_f32 v9, v9, v25 :: v_dual_add_f32 v11, v11, v59
	v_dual_mul_f32 v31, v220, v141 :: v_dual_mul_f32 v33, v222, v143
	s_wait_loadcnt_dscnt 0x904
	v_dual_mul_f32 v25, v231, v151 :: v_dual_fma_f32 v13, v218, v138, -v13
	v_dual_fmac_f32 v29, v219, v138 :: v_dual_add_f32 v9, v9, v27
	v_dual_add_f32 v11, v11, v55 :: v_dual_mul_f32 v27, v233, v153
	v_fmac_f32_e32 v31, v221, v140
	s_delay_alu instid0(VALU_DEP_3) | instskip(NEXT) | instid1(VALU_DEP_3)
	v_dual_fma_f32 v15, v220, v140, -v15 :: v_dual_add_f32 v9, v9, v29
	v_add_f32_e32 v11, v11, v13
	v_dual_mul_f32 v35, v224, v145 :: v_dual_mul_f32 v37, v226, v147
	s_wait_loadcnt_dscnt 0x803
	v_dual_mul_f32 v13, v235, v155 :: v_dual_fma_f32 v17, v222, v142, -v17
	v_dual_fmac_f32 v33, v223, v142 :: v_dual_add_f32 v9, v9, v31
	v_dual_add_f32 v11, v11, v15 :: v_dual_mul_f32 v15, v237, v157
	v_fmac_f32_e32 v35, v225, v144
	s_delay_alu instid0(VALU_DEP_3) | instskip(NEXT) | instid1(VALU_DEP_3)
	v_dual_fma_f32 v19, v224, v144, -v19 :: v_dual_add_f32 v9, v9, v33
	v_add_f32_e32 v11, v11, v17
	;; [unrolled: 9-line block ×4, first 2 shown]
	v_dual_mul_f32 v47, v236, v157 :: v_dual_mul_f32 v49, v238, v159
	s_wait_loadcnt 0x5
	v_dual_mul_f32 v25, v183, v167 :: v_dual_fma_f32 v13, v234, v154, -v13
	v_dual_fmac_f32 v45, v235, v154 :: v_dual_add_f32 v9, v9, v43
	v_dual_add_f32 v11, v11, v27 :: v_dual_mov_b32 v118, v169
	v_fmac_f32_e32 v47, v237, v156
	s_delay_alu instid0(VALU_DEP_3) | instskip(NEXT) | instid1(VALU_DEP_3)
	v_dual_fma_f32 v15, v236, v156, -v15 :: v_dual_add_f32 v9, v9, v45
	v_add_f32_e32 v11, v11, v13
	v_dual_mul_f32 v51, v240, v161 :: v_dual_mul_f32 v53, v242, v163
	s_delay_alu instid0(VALU_DEP_3) | instskip(NEXT) | instid1(VALU_DEP_3)
	v_dual_fmac_f32 v49, v239, v158 :: v_dual_add_f32 v9, v9, v47
	v_dual_fma_f32 v13, v238, v158, -v17 :: v_dual_add_f32 v11, v11, v15
	s_wait_loadcnt 0x4
	v_dual_mov_b32 v122, v173 :: v_dual_fma_f32 v15, v240, v160, -v19
	v_fmac_f32_e32 v51, v241, v160
	v_dual_add_f32 v9, v9, v49 :: v_dual_fmac_f32 v53, v243, v162
	v_add_f32_e32 v11, v11, v13
	s_set_vgpr_msb 64                       ;  msbs: dst=1 src0=0 src1=0 src2=0
	v_dual_mul_f32 v5 /*v261*/, v244, v165 :: v_dual_mul_f32 v7 /*v263*/, v182, v167
	s_set_vgpr_msb 0                        ;  msbs: dst=0 src0=0 src1=0 src2=0
	v_dual_fma_f32 v13, v242, v162, -v21 :: v_dual_add_f32 v9, v9, v51
	v_add_f32_e32 v11, v11, v15
	s_set_vgpr_msb 64                       ;  msbs: dst=1 src0=0 src1=0 src2=0
	v_dual_fmac_f32 v5 /*v261*/, v245, v164 :: v_dual_fmac_f32 v7 /*v263*/, v183, v166
	v_dual_fma_f32 v4 /*v260*/, v244, v164, -v23 :: v_dual_fma_f32 v6 /*v262*/, v182, v166, -v25
	s_set_vgpr_msb 0                        ;  msbs: dst=0 src0=0 src1=0 src2=0
	v_pk_mul_f32 v[118:119], v[252:253], v[118:119] op_sel_hi:[1,0]
	v_add_f32_e32 v127, v9, v53
	s_wait_loadcnt 0x3
	v_dual_add_f32 v126, v11, v13 :: v_dual_mov_b32 v128, v177
	v_pk_mul_f32 v[120:121], v[186:187], v[170:171] op_sel:[1,1] op_sel_hi:[0,1]
	v_pk_fma_f32 v[130:131], v[184:185], v[168:169], v[118:119] op_sel_hi:[1,0,1]
	v_pk_fma_f32 v[118:119], v[184:185], v[168:169], v[118:119] neg_lo:[0,0,1] neg_hi:[0,0,1]
	s_set_vgpr_msb 4                        ;  msbs: dst=0 src0=0 src1=1 src2=0
	v_pk_add_f32 v[126:127], v[126:127], v[4:5] /*v[260:261]*/
	s_set_vgpr_msb 0                        ;  msbs: dst=0 src0=0 src1=0 src2=0
	v_pk_mul_f32 v[122:123], v[254:255], v[122:123] op_sel_hi:[1,0]
	v_pk_fma_f32 v[132:133], v[186:187], v[170:171], v[120:121] op_sel_hi:[1,0,1]
	v_mov_b32_e32 v119, v131
	v_pk_fma_f32 v[120:121], v[186:187], v[170:171], v[120:121] neg_lo:[0,0,1] neg_hi:[0,0,1]
	s_set_vgpr_msb 4                        ;  msbs: dst=0 src0=0 src1=1 src2=0
	v_pk_add_f32 v[126:127], v[126:127], v[6:7] /*v[262:263]*/
	s_set_vgpr_msb 0                        ;  msbs: dst=0 src0=0 src1=0 src2=0
	v_pk_mul_f32 v[124:125], v[190:191], v[174:175] op_sel:[1,1] op_sel_hi:[0,1]
	v_mov_b32_e32 v121, v133
	v_pk_fma_f32 v[132:133], v[188:189], v[172:173], v[122:123] op_sel_hi:[1,0,1]
	v_pk_fma_f32 v[122:123], v[188:189], v[172:173], v[122:123] neg_lo:[0,0,1] neg_hi:[0,0,1]
	v_pk_add_f32 v[118:119], v[126:127], v[118:119]
	v_pk_fma_f32 v[126:127], v[190:191], v[174:175], v[124:125] op_sel_hi:[1,0,1]
	s_set_vgpr_msb 1                        ;  msbs: dst=0 src0=1 src1=0 src2=0
	v_pk_mul_f32 v[128:129], v[0:1] /*v[256:257]*/, v[128:129] op_sel_hi:[1,0]
	s_set_vgpr_msb 0                        ;  msbs: dst=0 src0=0 src1=0 src2=0
	v_mov_b32_e32 v123, v133
	v_pk_fma_f32 v[124:125], v[190:191], v[174:175], v[124:125] neg_lo:[0,0,1] neg_hi:[0,0,1]
	v_pk_add_f32 v[118:119], v[118:119], v[120:121]
	s_wait_loadcnt 0x2
	v_pk_mul_f32 v[130:131], v[194:195], v[178:179] op_sel:[1,1] op_sel_hi:[0,1]
	v_dual_mov_b32 v120, v181 :: v_dual_mov_b32 v125, v127
	v_pk_fma_f32 v[126:127], v[192:193], v[176:177], v[128:129] op_sel_hi:[1,0,1]
	v_pk_add_f32 v[118:119], v[118:119], v[122:123]
	v_pk_fma_f32 v[128:129], v[192:193], v[176:177], v[128:129] neg_lo:[0,0,1] neg_hi:[0,0,1]
	v_pk_fma_f32 v[122:123], v[194:195], v[178:179], v[130:131] op_sel_hi:[1,0,1]
	s_set_vgpr_msb 1                        ;  msbs: dst=0 src0=1 src1=0 src2=0
	v_pk_mul_f32 v[120:121], v[2:3] /*v[258:259]*/, v[120:121] op_sel_hi:[1,0]
	s_set_vgpr_msb 0                        ;  msbs: dst=0 src0=0 src1=0 src2=0
	v_mov_b32_e32 v129, v127
	v_pk_add_f32 v[118:119], v[118:119], v[124:125]
	v_pk_fma_f32 v[124:125], v[194:195], v[178:179], v[130:131] neg_lo:[0,0,1] neg_hi:[0,0,1]
	v_mov_b32_e32 v125, v123
	v_pk_fma_f32 v[122:123], v[196:197], v[180:181], v[120:121] op_sel_hi:[1,0,1]
	s_wait_loadcnt_dscnt 0x100
	v_pk_mul_f32 v[126:127], v[250:251], v[246:247] op_sel:[1,1] op_sel_hi:[0,1]
	v_pk_add_f32 v[118:119], v[118:119], v[128:129]
	v_pk_fma_f32 v[120:121], v[196:197], v[180:181], v[120:121] neg_lo:[0,0,1] neg_hi:[0,0,1]
	v_mov_b32_e32 v121, v123
	s_delay_alu instid0(VALU_DEP_4) | instskip(NEXT) | instid1(VALU_DEP_4)
	v_pk_fma_f32 v[122:123], v[250:251], v[246:247], v[126:127] op_sel_hi:[1,0,1]
	v_pk_add_f32 v[118:119], v[118:119], v[124:125]
	v_pk_fma_f32 v[124:125], v[250:251], v[246:247], v[126:127] neg_lo:[0,0,1] neg_hi:[0,0,1]
	s_delay_alu instid0(VALU_DEP_3) | instskip(NEXT) | instid1(VALU_DEP_3)
	v_mov_b32_e32 v125, v123
	v_pk_add_f32 v[118:119], v[118:119], v[120:121]
	s_delay_alu instid0(VALU_DEP_1) | instskip(SKIP_1) | instid1(VALU_DEP_1)
	v_pk_add_f32 v[118:119], v[118:119], v[124:125]
	s_wait_loadcnt 0x0
	v_pk_add_f32 v[118:119], v[248:249], v[118:119] neg_lo:[0,1] neg_hi:[0,1]
	scratch_store_b64 off, v[118:119], off offset:192
	s_wait_xcnt 0x0
	v_cmpx_lt_u32_e32 23, v0
	s_cbranch_execz .LBB57_315
; %bb.314:
	scratch_load_b64 v[118:119], off, off offset:184
	v_mov_b64_e32 v[120:121], 0
	scratch_store_b64 off, v[120:121], off offset:184
	s_wait_loadcnt 0x0
	ds_store_b64 v1, v[118:119]
.LBB57_315:
	s_wait_xcnt 0x0
	s_or_b32 exec_lo, exec_lo, s0
	s_wait_storecnt_dscnt 0x0
	s_barrier_signal -1
	s_barrier_wait -1
	s_clause 0x11
	scratch_load_b128 v[118:121], off, off offset:192
	scratch_load_b128 v[122:125], off, off offset:208
	scratch_load_b128 v[126:129], off, off offset:224
	scratch_load_b128 v[130:133], off, off offset:240
	scratch_load_b128 v[134:137], off, off offset:256
	scratch_load_b128 v[138:141], off, off offset:272
	scratch_load_b128 v[142:145], off, off offset:288
	scratch_load_b128 v[146:149], off, off offset:304
	scratch_load_b128 v[150:153], off, off offset:320
	scratch_load_b128 v[154:157], off, off offset:336
	scratch_load_b128 v[158:161], off, off offset:352
	scratch_load_b128 v[162:165], off, off offset:368
	scratch_load_b128 v[166:169], off, off offset:384
	scratch_load_b128 v[170:173], off, off offset:400
	scratch_load_b128 v[174:177], off, off offset:416
	scratch_load_b128 v[178:181], off, off offset:432
	scratch_load_b128 v[182:185], off, off offset:448
	scratch_load_b64 v[254:255], off, off offset:184
	ds_load_b128 v[186:189], v7 offset:864
	ds_load_b128 v[190:193], v7 offset:880
	;; [unrolled: 1-line block ×17, first 2 shown]
	s_mov_b32 s0, exec_lo
	s_wait_dscnt 0x10
	s_set_vgpr_msb 64                       ;  msbs: dst=1 src0=0 src1=0 src2=0
	v_dual_mov_b32 v0 /*v256*/, v189 :: v_dual_mov_b32 v1 /*v257*/, v188
	s_wait_dscnt 0xf
	v_dual_mov_b32 v2 /*v258*/, v193 :: v_dual_mov_b32 v3 /*v259*/, v192
	s_wait_dscnt 0xe
	;; [unrolled: 2-line block ×3, first 2 shown]
	v_dual_mov_b32 v6 /*v262*/, v201 :: v_dual_mov_b32 v7 /*v263*/, v200
	s_wait_loadcnt_dscnt 0x110b
	s_set_vgpr_msb 0                        ;  msbs: dst=0 src0=0 src1=0 src2=0
	v_dual_mul_f32 v7, v206, v119 :: v_dual_mul_f32 v9, v208, v121
	v_dual_mul_f32 v55, v207, v119 :: v_dual_mul_f32 v57, v209, v121
	s_wait_loadcnt_dscnt 0x100a
	v_dual_mul_f32 v11, v210, v123 :: v_dual_mul_f32 v13, v212, v125
	s_delay_alu instid0(VALU_DEP_3) | instskip(SKIP_3) | instid1(VALU_DEP_3)
	v_dual_fmac_f32 v7, v207, v118 :: v_dual_fmac_f32 v9, v209, v120
	s_wait_loadcnt_dscnt 0xe08
	v_dual_fma_f32 v55, v206, v118, -v55 :: v_dual_mul_f32 v67, v219, v131
	v_dual_mul_f32 v59, v211, v123 :: v_dual_mul_f32 v61, v213, v125
	v_dual_fma_f32 v57, v208, v120, -v57 :: v_dual_add_f32 v7, 0, v7
	s_delay_alu instid0(VALU_DEP_3) | instskip(SKIP_1) | instid1(VALU_DEP_3)
	v_dual_add_f32 v55, 0, v55 :: v_dual_mul_f32 v69, v221, v133
	v_dual_fmac_f32 v11, v211, v122 :: v_dual_fmac_f32 v13, v213, v124
	v_dual_fma_f32 v59, v210, v122, -v59 :: v_dual_add_f32 v7, v7, v9
	s_delay_alu instid0(VALU_DEP_3) | instskip(SKIP_2) | instid1(VALU_DEP_4)
	v_dual_add_f32 v9, v55, v57 :: v_dual_fma_f32 v57, v212, v124, -v61
	v_dual_mul_f32 v15, v214, v127 :: v_dual_mul_f32 v17, v216, v129
	v_dual_mul_f32 v63, v215, v127 :: v_dual_mul_f32 v65, v217, v129
	v_add_f32_e32 v7, v7, v11
	s_delay_alu instid0(VALU_DEP_3) | instskip(NEXT) | instid1(VALU_DEP_3)
	v_dual_add_f32 v9, v9, v59 :: v_dual_fmac_f32 v15, v215, v126
	v_fma_f32 v59, v214, v126, -v63
	v_dual_mul_f32 v19, v218, v131 :: v_dual_mul_f32 v21, v220, v133
	s_delay_alu instid0(VALU_DEP_4) | instskip(SKIP_2) | instid1(VALU_DEP_2)
	v_dual_add_f32 v7, v7, v13 :: v_dual_fmac_f32 v17, v217, v128
	s_wait_loadcnt_dscnt 0xc06
	v_dual_add_f32 v9, v9, v57 :: v_dual_mul_f32 v13, v227, v139
	v_dual_fma_f32 v57, v216, v128, -v65 :: v_dual_add_f32 v7, v7, v15
	v_mul_f32_e32 v15, v229, v141
	s_delay_alu instid0(VALU_DEP_3) | instskip(NEXT) | instid1(VALU_DEP_3)
	v_dual_add_f32 v9, v9, v59 :: v_dual_fmac_f32 v19, v219, v130
	v_dual_fma_f32 v59, v218, v130, -v67 :: v_dual_add_f32 v7, v7, v17
	v_fmac_f32_e32 v21, v221, v132
	s_wait_loadcnt_dscnt 0xb05
	s_delay_alu instid0(VALU_DEP_3) | instskip(SKIP_3) | instid1(VALU_DEP_3)
	v_dual_add_f32 v9, v9, v57 :: v_dual_mul_f32 v17, v231, v143
	v_dual_mul_f32 v23, v222, v135 :: v_dual_mul_f32 v25, v224, v137
	v_dual_mul_f32 v55, v223, v135 :: v_dual_mul_f32 v11, v225, v137
	v_dual_fma_f32 v57, v220, v132, -v69 :: v_dual_add_f32 v7, v7, v19
	v_dual_add_f32 v9, v9, v59 :: v_dual_fmac_f32 v23, v223, v134
	s_delay_alu instid0(VALU_DEP_3) | instskip(NEXT) | instid1(VALU_DEP_3)
	v_dual_mul_f32 v19, v233, v145 :: v_dual_fma_f32 v55, v222, v134, -v55
	v_dual_add_f32 v7, v7, v21 :: v_dual_fmac_f32 v25, v225, v136
	s_wait_loadcnt_dscnt 0xa04
	s_delay_alu instid0(VALU_DEP_3) | instskip(SKIP_1) | instid1(VALU_DEP_3)
	v_dual_add_f32 v9, v9, v57 :: v_dual_mul_f32 v21, v235, v147
	v_dual_mul_f32 v27, v226, v139 :: v_dual_mul_f32 v29, v228, v141
	v_dual_fma_f32 v11, v224, v136, -v11 :: v_dual_add_f32 v7, v7, v23
	s_delay_alu instid0(VALU_DEP_2) | instskip(SKIP_1) | instid1(VALU_DEP_2)
	v_dual_add_f32 v9, v9, v55 :: v_dual_fmac_f32 v27, v227, v138
	v_dual_mul_f32 v23, v237, v149 :: v_dual_fma_f32 v13, v226, v138, -v13
	v_dual_add_f32 v7, v7, v25 :: v_dual_add_f32 v9, v9, v11
	v_dual_mul_f32 v31, v230, v143 :: v_dual_mul_f32 v33, v232, v145
	s_wait_loadcnt_dscnt 0x903
	v_dual_mul_f32 v11, v239, v151 :: v_dual_fmac_f32 v29, v229, v140
	s_delay_alu instid0(VALU_DEP_3) | instskip(NEXT) | instid1(VALU_DEP_3)
	v_dual_fma_f32 v15, v228, v140, -v15 :: v_dual_add_f32 v7, v7, v27
	v_dual_add_f32 v9, v9, v13 :: v_dual_fmac_f32 v31, v231, v142
	v_dual_mul_f32 v13, v241, v153 :: v_dual_fma_f32 v17, v230, v142, -v17
	s_delay_alu instid0(VALU_DEP_2) | instskip(SKIP_3) | instid1(VALU_DEP_3)
	v_dual_add_f32 v7, v7, v29 :: v_dual_add_f32 v9, v9, v15
	v_dual_mul_f32 v35, v234, v147 :: v_dual_mul_f32 v37, v236, v149
	s_wait_loadcnt_dscnt 0x802
	v_dual_mul_f32 v15, v243, v155 :: v_dual_fmac_f32 v33, v233, v144
	v_dual_fma_f32 v19, v232, v144, -v19 :: v_dual_add_f32 v7, v7, v31
	s_delay_alu instid0(VALU_DEP_3) | instskip(SKIP_1) | instid1(VALU_DEP_2)
	v_dual_add_f32 v9, v9, v17 :: v_dual_fmac_f32 v35, v235, v146
	v_dual_mul_f32 v17, v245, v157 :: v_dual_fma_f32 v21, v234, v146, -v21
	v_dual_add_f32 v7, v7, v33 :: v_dual_add_f32 v9, v9, v19
	v_dual_mul_f32 v39, v238, v151 :: v_dual_mul_f32 v41, v240, v153
	s_wait_loadcnt_dscnt 0x701
	v_dual_mul_f32 v19, v247, v159 :: v_dual_fmac_f32 v37, v237, v148
	s_delay_alu instid0(VALU_DEP_3) | instskip(NEXT) | instid1(VALU_DEP_3)
	v_dual_fma_f32 v23, v236, v148, -v23 :: v_dual_add_f32 v7, v7, v35
	v_dual_add_f32 v9, v9, v21 :: v_dual_fmac_f32 v39, v239, v150
	v_dual_mul_f32 v21, v249, v161 :: v_dual_fma_f32 v11, v238, v150, -v11
	s_delay_alu instid0(VALU_DEP_2) | instskip(SKIP_3) | instid1(VALU_DEP_3)
	v_dual_add_f32 v7, v7, v37 :: v_dual_add_f32 v9, v9, v23
	v_dual_mul_f32 v43, v242, v155 :: v_dual_mul_f32 v45, v244, v157
	s_wait_loadcnt_dscnt 0x600
	v_dual_mul_f32 v23, v251, v163 :: v_dual_fmac_f32 v41, v241, v152
	v_dual_fma_f32 v13, v240, v152, -v13 :: v_dual_add_f32 v7, v7, v39
	s_delay_alu instid0(VALU_DEP_3) | instskip(SKIP_1) | instid1(VALU_DEP_3)
	v_dual_add_f32 v9, v9, v11 :: v_dual_fmac_f32 v43, v243, v154
	v_dual_mul_f32 v11, v253, v165 :: v_dual_fma_f32 v15, v242, v154, -v15
	v_dual_add_f32 v7, v7, v41 :: v_dual_fmac_f32 v45, v245, v156
	s_wait_loadcnt 0x5
	s_delay_alu instid0(VALU_DEP_3) | instskip(SKIP_1) | instid1(VALU_DEP_3)
	v_dual_add_f32 v9, v9, v13 :: v_dual_mul_f32 v13, v203, v167
	v_dual_mul_f32 v47, v246, v159 :: v_dual_mul_f32 v49, v248, v161
	v_dual_fma_f32 v17, v244, v156, -v17 :: v_dual_add_f32 v7, v7, v43
	s_delay_alu instid0(VALU_DEP_2) | instskip(SKIP_1) | instid1(VALU_DEP_3)
	v_dual_add_f32 v9, v9, v15 :: v_dual_fmac_f32 v47, v247, v158
	v_dual_mul_f32 v15, v205, v169 :: v_dual_fma_f32 v19, v246, v158, -v19
	v_dual_add_f32 v7, v7, v45 :: v_dual_fmac_f32 v49, v249, v160
	s_delay_alu instid0(VALU_DEP_3) | instskip(SKIP_2) | instid1(VALU_DEP_3)
	v_dual_add_f32 v9, v9, v17 :: v_dual_fma_f32 v17, v248, v160, -v21
	v_dual_mul_f32 v51, v250, v163 :: v_dual_mul_f32 v53, v252, v165
	s_wait_loadcnt 0x4
	v_dual_add_f32 v7, v7, v47 :: v_dual_mov_b32 v120, v173
	s_delay_alu instid0(VALU_DEP_2) | instskip(NEXT) | instid1(VALU_DEP_2)
	v_dual_add_f32 v9, v9, v19 :: v_dual_fmac_f32 v51, v251, v162
	v_dual_fma_f32 v19, v250, v162, -v23 :: v_dual_add_f32 v7, v7, v49
	s_set_vgpr_msb 64                       ;  msbs: dst=1 src0=0 src1=0 src2=0
	v_dual_mul_f32 v9 /*v265*/, v202, v167 :: v_dual_mul_f32 v11 /*v267*/, v204, v169
	s_set_vgpr_msb 0                        ;  msbs: dst=0 src0=0 src1=0 src2=0
	v_dual_add_f32 v9, v9, v17 :: v_dual_fma_f32 v11, v252, v164, -v11
	v_dual_fmac_f32 v53, v253, v164 :: v_dual_add_f32 v7, v7, v51
	v_pk_mul_f32 v[118:119], v[186:187], v[170:171] op_sel:[1,1] op_sel_hi:[0,1]
	s_delay_alu instid0(VALU_DEP_3)
	v_add_f32_e32 v9, v9, v19
	s_set_vgpr_msb 64                       ;  msbs: dst=1 src0=0 src1=0 src2=0
	v_dual_fmac_f32 v9 /*v265*/, v203, v166 :: v_dual_fmac_f32 v11 /*v267*/, v205, v168
	v_dual_fma_f32 v8 /*v264*/, v202, v166, -v13 :: v_dual_fma_f32 v10 /*v266*/, v204, v168, -v15
	s_set_vgpr_msb 0                        ;  msbs: dst=0 src0=0 src1=0 src2=0
	v_dual_add_f32 v127, v7, v53 :: v_dual_add_f32 v126, v9, v11
	v_pk_fma_f32 v[128:129], v[186:187], v[170:171], v[118:119] op_sel_hi:[1,0,1]
	s_set_vgpr_msb 1                        ;  msbs: dst=0 src0=1 src1=0 src2=0
	v_pk_mul_f32 v[120:121], v[0:1] /*v[256:257]*/, v[120:121] op_sel_hi:[1,0]
	s_set_vgpr_msb 0                        ;  msbs: dst=0 src0=0 src1=0 src2=0
	v_pk_fma_f32 v[118:119], v[186:187], v[170:171], v[118:119] neg_lo:[0,0,1] neg_hi:[0,0,1]
	s_wait_loadcnt 0x3
	v_pk_mul_f32 v[122:123], v[190:191], v[174:175] op_sel:[1,1] op_sel_hi:[0,1]
	s_set_vgpr_msb 4                        ;  msbs: dst=0 src0=0 src1=1 src2=0
	v_pk_add_f32 v[126:127], v[126:127], v[8:9] /*v[264:265]*/
	v_dual_mov_b32 v124, v177 :: v_dual_mov_b32 v119, v129
	s_set_vgpr_msb 0                        ;  msbs: dst=0 src0=0 src1=0 src2=0
	v_pk_fma_f32 v[128:129], v[188:189], v[172:173], v[120:121] op_sel_hi:[1,0,1]
	v_pk_fma_f32 v[120:121], v[188:189], v[172:173], v[120:121] neg_lo:[0,0,1] neg_hi:[0,0,1]
	s_set_vgpr_msb 4                        ;  msbs: dst=0 src0=0 src1=1 src2=0
	v_pk_add_f32 v[126:127], v[126:127], v[10:11] /*v[266:267]*/
	s_set_vgpr_msb 0                        ;  msbs: dst=0 src0=0 src1=0 src2=0
	v_pk_fma_f32 v[132:133], v[190:191], v[174:175], v[122:123] op_sel_hi:[1,0,1]
	s_set_vgpr_msb 1                        ;  msbs: dst=0 src0=1 src1=0 src2=0
	v_pk_mul_f32 v[124:125], v[2:3] /*v[258:259]*/, v[124:125] op_sel_hi:[1,0]
	s_set_vgpr_msb 0                        ;  msbs: dst=0 src0=0 src1=0 src2=0
	v_mov_b32_e32 v121, v129
	s_wait_loadcnt 0x2
	v_pk_mul_f32 v[130:131], v[194:195], v[178:179] op_sel:[1,1] op_sel_hi:[0,1]
	v_pk_add_f32 v[118:119], v[126:127], v[118:119]
	v_mov_b32_e32 v126, v181
	v_pk_fma_f32 v[122:123], v[190:191], v[174:175], v[122:123] neg_lo:[0,0,1] neg_hi:[0,0,1]
	v_pk_fma_f32 v[128:129], v[192:193], v[176:177], v[124:125] op_sel_hi:[1,0,1]
	v_mov_b32_e32 v123, v133
	v_pk_add_f32 v[118:119], v[118:119], v[120:121]
	v_pk_fma_f32 v[120:121], v[194:195], v[178:179], v[130:131] op_sel_hi:[1,0,1]
	s_set_vgpr_msb 1                        ;  msbs: dst=0 src0=1 src1=0 src2=0
	v_pk_mul_f32 v[126:127], v[4:5] /*v[260:261]*/, v[126:127] op_sel_hi:[1,0]
	s_set_vgpr_msb 0                        ;  msbs: dst=0 src0=0 src1=0 src2=0
	v_pk_fma_f32 v[124:125], v[192:193], v[176:177], v[124:125] neg_lo:[0,0,1] neg_hi:[0,0,1]
	v_mov_b32_e32 v125, v129
	v_pk_add_f32 v[118:119], v[118:119], v[122:123]
	v_pk_fma_f32 v[128:129], v[194:195], v[178:179], v[130:131] neg_lo:[0,0,1] neg_hi:[0,0,1]
	v_mov_b32_e32 v129, v121
	v_pk_fma_f32 v[120:121], v[196:197], v[180:181], v[126:127] op_sel_hi:[1,0,1]
	s_wait_loadcnt 0x1
	v_pk_mul_f32 v[122:123], v[198:199], v[182:183] op_sel:[1,1] op_sel_hi:[0,1]
	v_pk_add_f32 v[118:119], v[118:119], v[124:125]
	v_mov_b32_e32 v120, v185
	v_pk_fma_f32 v[126:127], v[196:197], v[180:181], v[126:127] neg_lo:[0,0,1] neg_hi:[0,0,1]
	s_delay_alu instid0(VALU_DEP_4)
	v_pk_fma_f32 v[124:125], v[198:199], v[182:183], v[122:123] op_sel_hi:[1,0,1]
	v_mov_b32_e32 v127, v121
	v_pk_add_f32 v[118:119], v[118:119], v[128:129]
	s_set_vgpr_msb 1                        ;  msbs: dst=0 src0=1 src1=0 src2=0
	v_pk_mul_f32 v[120:121], v[6:7] /*v[262:263]*/, v[120:121] op_sel_hi:[1,0]
	s_set_vgpr_msb 0                        ;  msbs: dst=0 src0=0 src1=0 src2=0
	v_pk_fma_f32 v[122:123], v[198:199], v[182:183], v[122:123] neg_lo:[0,0,1] neg_hi:[0,0,1]
	v_mov_b32_e32 v123, v125
	v_pk_add_f32 v[118:119], v[118:119], v[126:127]
	v_pk_fma_f32 v[124:125], v[200:201], v[184:185], v[120:121] op_sel_hi:[1,0,1]
	v_pk_fma_f32 v[120:121], v[200:201], v[184:185], v[120:121] neg_lo:[0,0,1] neg_hi:[0,0,1]
	s_delay_alu instid0(VALU_DEP_3) | instskip(NEXT) | instid1(VALU_DEP_3)
	v_pk_add_f32 v[118:119], v[118:119], v[122:123]
	v_mov_b32_e32 v121, v125
	s_delay_alu instid0(VALU_DEP_1) | instskip(SKIP_1) | instid1(VALU_DEP_1)
	v_pk_add_f32 v[118:119], v[118:119], v[120:121]
	s_wait_loadcnt 0x0
	v_pk_add_f32 v[118:119], v[254:255], v[118:119] neg_lo:[0,1] neg_hi:[0,1]
	scratch_store_b64 off, v[118:119], off offset:184
	s_wait_xcnt 0x0
	v_cmpx_lt_u32_e32 22, v0
	s_cbranch_execz .LBB57_317
; %bb.316:
	scratch_load_b64 v[118:119], off, off offset:176
	v_mov_b64_e32 v[120:121], 0
	scratch_store_b64 off, v[120:121], off offset:176
	s_wait_loadcnt 0x0
	ds_store_b64 v1, v[118:119]
.LBB57_317:
	s_wait_xcnt 0x0
	s_or_b32 exec_lo, exec_lo, s0
	s_wait_storecnt_dscnt 0x0
	s_barrier_signal -1
	s_barrier_wait -1
	s_clause 0x13
	scratch_load_b128 v[118:121], off, off offset:184
	scratch_load_b128 v[122:125], off, off offset:200
	;; [unrolled: 1-line block ×17, first 2 shown]
	scratch_load_b64 v[254:255], off, off offset:456
	s_set_vgpr_msb 64                       ;  msbs: dst=1 src0=0 src1=0 src2=0
	scratch_load_b64 v[0:1] /*v[256:257]*/, off, off offset:176
	s_set_vgpr_msb 0                        ;  msbs: dst=0 src0=0 src1=0 src2=0
	v_mov_b32_e32 v7, 0
	ds_load_2addr_b64 v[186:189], v7 offset0:107 offset1:108
	ds_load_2addr_b64 v[190:193], v7 offset0:109 offset1:110
	;; [unrolled: 1-line block ×17, first 2 shown]
	s_set_vgpr_msb 64                       ;  msbs: dst=1 src0=0 src1=0 src2=0
	ds_load_b64 v[2:3] /*v[258:259]*/, v7 offset:920
	s_mov_b32 s0, exec_lo
	s_wait_dscnt 0x11
	v_dual_mov_b32 v4 /*v260*/, v189 :: v_dual_mov_b32 v5 /*v261*/, v188
	s_wait_dscnt 0x10
	v_dual_mov_b32 v6 /*v262*/, v193 :: v_dual_mov_b32 v7 /*v263*/, v192
	;; [unrolled: 2-line block ×4, first 2 shown]
	s_wait_loadcnt_dscnt 0x120c
	s_set_vgpr_msb 0                        ;  msbs: dst=0 src0=0 src1=0 src2=0
	v_dual_mul_f32 v9, v206, v119 :: v_dual_mul_f32 v59, v207, v119
	v_dual_mul_f32 v61, v209, v121 :: v_dual_mul_f32 v11, v208, v121
	s_wait_loadcnt_dscnt 0x110b
	v_mul_f32_e32 v13, v210, v123
	s_wait_loadcnt_dscnt 0xf09
	v_dual_mul_f32 v71, v219, v131 :: v_dual_fma_f32 v59, v206, v118, -v59
	v_dual_fmac_f32 v9, v207, v118 :: v_dual_mul_f32 v73, v221, v133
	v_dual_mul_f32 v63, v211, v123 :: v_dual_mul_f32 v65, v213, v125
	v_dual_fmac_f32 v11, v209, v120 :: v_dual_fma_f32 v61, v208, v120, -v61
	s_delay_alu instid0(VALU_DEP_3) | instskip(SKIP_3) | instid1(VALU_DEP_3)
	v_dual_add_f32 v9, 0, v9 :: v_dual_add_f32 v59, 0, v59
	v_dual_mul_f32 v15, v212, v125 :: v_dual_mul_f32 v17, v214, v127
	s_wait_loadcnt_dscnt 0xe08
	v_dual_mul_f32 v75, v223, v135 :: v_dual_fma_f32 v63, v210, v122, -v63
	v_dual_fmac_f32 v13, v211, v122 :: v_dual_add_f32 v9, v9, v11
	s_delay_alu instid0(VALU_DEP_3) | instskip(SKIP_2) | instid1(VALU_DEP_3)
	v_dual_add_f32 v11, v59, v61 :: v_dual_fmac_f32 v15, v213, v124
	v_dual_mul_f32 v67, v215, v127 :: v_dual_mul_f32 v69, v217, v129
	v_dual_mul_f32 v59, v225, v137 :: v_dual_fma_f32 v61, v212, v124, -v65
	v_dual_add_f32 v9, v9, v13 :: v_dual_add_f32 v11, v11, v63
	v_dual_mul_f32 v19, v216, v129 :: v_dual_mul_f32 v21, v218, v131
	s_wait_loadcnt_dscnt 0xd07
	v_dual_mul_f32 v13, v227, v139 :: v_dual_fma_f32 v63, v214, v126, -v67
	s_delay_alu instid0(VALU_DEP_3) | instskip(NEXT) | instid1(VALU_DEP_3)
	v_dual_fmac_f32 v17, v215, v126 :: v_dual_add_f32 v9, v9, v15
	v_dual_add_f32 v11, v11, v61 :: v_dual_fmac_f32 v19, v217, v128
	v_dual_mul_f32 v15, v229, v141 :: v_dual_fma_f32 v61, v216, v128, -v69
	s_delay_alu instid0(VALU_DEP_2) | instskip(SKIP_3) | instid1(VALU_DEP_3)
	v_dual_add_f32 v9, v9, v17 :: v_dual_add_f32 v11, v11, v63
	v_dual_mul_f32 v23, v220, v133 :: v_dual_mul_f32 v25, v222, v135
	s_wait_loadcnt_dscnt 0xc06
	v_dual_mul_f32 v17, v231, v143 :: v_dual_fma_f32 v63, v218, v130, -v71
	v_dual_fmac_f32 v21, v219, v130 :: v_dual_add_f32 v9, v9, v19
	s_delay_alu instid0(VALU_DEP_3) | instskip(SKIP_1) | instid1(VALU_DEP_2)
	v_dual_add_f32 v11, v11, v61 :: v_dual_fmac_f32 v23, v221, v132
	v_dual_mul_f32 v19, v233, v145 :: v_dual_fma_f32 v61, v220, v132, -v73
	v_dual_add_f32 v9, v9, v21 :: v_dual_add_f32 v11, v11, v63
	v_dual_mul_f32 v27, v224, v137 :: v_dual_mul_f32 v29, v226, v139
	s_wait_loadcnt_dscnt 0xb05
	v_dual_mul_f32 v21, v235, v147 :: v_dual_fma_f32 v63, v222, v134, -v75
	s_delay_alu instid0(VALU_DEP_3) | instskip(NEXT) | instid1(VALU_DEP_3)
	v_dual_fmac_f32 v25, v223, v134 :: v_dual_add_f32 v9, v9, v23
	v_dual_add_f32 v11, v11, v61 :: v_dual_fmac_f32 v27, v225, v136
	v_dual_mul_f32 v23, v237, v149 :: v_dual_fma_f32 v59, v224, v136, -v59
	s_delay_alu instid0(VALU_DEP_2) | instskip(SKIP_3) | instid1(VALU_DEP_3)
	v_dual_add_f32 v9, v9, v25 :: v_dual_add_f32 v11, v11, v63
	v_dual_mul_f32 v31, v228, v141 :: v_dual_mul_f32 v33, v230, v143
	s_wait_loadcnt_dscnt 0xa04
	v_dual_mul_f32 v25, v239, v151 :: v_dual_fma_f32 v13, v226, v138, -v13
	v_dual_fmac_f32 v29, v227, v138 :: v_dual_add_f32 v9, v9, v27
	v_dual_add_f32 v11, v11, v59 :: v_dual_mul_f32 v27, v241, v153
	v_fmac_f32_e32 v31, v229, v140
	s_delay_alu instid0(VALU_DEP_3) | instskip(NEXT) | instid1(VALU_DEP_3)
	v_dual_fma_f32 v15, v228, v140, -v15 :: v_dual_add_f32 v9, v9, v29
	v_add_f32_e32 v11, v11, v13
	v_dual_mul_f32 v35, v232, v145 :: v_dual_mul_f32 v37, v234, v147
	s_wait_loadcnt_dscnt 0x903
	v_dual_mul_f32 v13, v243, v155 :: v_dual_fma_f32 v17, v230, v142, -v17
	v_dual_fmac_f32 v33, v231, v142 :: v_dual_add_f32 v9, v9, v31
	v_dual_add_f32 v11, v11, v15 :: v_dual_mul_f32 v15, v245, v157
	v_fmac_f32_e32 v35, v233, v144
	s_delay_alu instid0(VALU_DEP_3) | instskip(NEXT) | instid1(VALU_DEP_3)
	v_dual_fma_f32 v19, v232, v144, -v19 :: v_dual_add_f32 v9, v9, v33
	v_add_f32_e32 v11, v11, v17
	;; [unrolled: 9-line block ×4, first 2 shown]
	v_dual_mul_f32 v47, v244, v157 :: v_dual_mul_f32 v49, v246, v159
	s_wait_loadcnt 0x6
	v_dual_mul_f32 v25, v199, v167 :: v_dual_fma_f32 v13, v242, v154, -v13
	v_dual_fmac_f32 v45, v243, v154 :: v_dual_add_f32 v9, v9, v43
	v_dual_add_f32 v11, v11, v27 :: v_dual_mul_f32 v27, v201, v169
	v_fmac_f32_e32 v47, v245, v156
	s_delay_alu instid0(VALU_DEP_3) | instskip(NEXT) | instid1(VALU_DEP_3)
	v_dual_fma_f32 v15, v244, v156, -v15 :: v_dual_add_f32 v9, v9, v45
	v_add_f32_e32 v11, v11, v13
	v_dual_mul_f32 v51, v248, v161 :: v_dual_mul_f32 v53, v250, v163
	s_wait_loadcnt 0x5
	v_dual_mul_f32 v13, v187, v171 :: v_dual_fma_f32 v17, v246, v158, -v17
	v_dual_fmac_f32 v49, v247, v158 :: v_dual_add_f32 v9, v9, v47
	v_dual_add_f32 v11, v11, v15 :: v_dual_mov_b32 v118, v173
	v_fmac_f32_e32 v51, v249, v160
	s_delay_alu instid0(VALU_DEP_3) | instskip(NEXT) | instid1(VALU_DEP_3)
	v_dual_fma_f32 v15, v248, v160, -v19 :: v_dual_add_f32 v9, v9, v49
	v_add_f32_e32 v11, v11, v17
	v_dual_mul_f32 v55, v252, v165 :: v_dual_mul_f32 v57, v198, v167
	s_delay_alu instid0(VALU_DEP_3) | instskip(NEXT) | instid1(VALU_DEP_3)
	v_dual_fmac_f32 v53, v251, v162 :: v_dual_add_f32 v9, v9, v51
	v_dual_fma_f32 v17, v250, v162, -v21 :: v_dual_add_f32 v11, v11, v15
	s_wait_loadcnt 0x4
	v_dual_mov_b32 v122, v177 :: v_dual_fma_f32 v15, v252, v164, -v23
	v_fmac_f32_e32 v55, v253, v164
	v_dual_add_f32 v9, v9, v53 :: v_dual_fmac_f32 v57, v199, v166
	v_add_f32_e32 v11, v11, v17
	s_set_vgpr_msb 64                       ;  msbs: dst=1 src0=0 src1=0 src2=0
	v_dual_mul_f32 v13 /*v269*/, v200, v169 :: v_dual_mul_f32 v15 /*v271*/, v186, v171
	s_set_vgpr_msb 0                        ;  msbs: dst=0 src0=0 src1=0 src2=0
	v_dual_fma_f32 v17, v198, v166, -v25 :: v_dual_add_f32 v9, v9, v55
	v_add_f32_e32 v11, v11, v15
	s_set_vgpr_msb 64                       ;  msbs: dst=1 src0=0 src1=0 src2=0
	v_dual_fmac_f32 v13 /*v269*/, v201, v168 :: v_dual_fmac_f32 v15 /*v271*/, v187, v170
	v_dual_fma_f32 v12 /*v268*/, v200, v168, -v27 :: v_dual_fma_f32 v14 /*v270*/, v186, v170, -v13
	s_set_vgpr_msb 1                        ;  msbs: dst=0 src0=1 src1=0 src2=0
	v_pk_mul_f32 v[118:119], v[4:5] /*v[260:261]*/, v[118:119] op_sel_hi:[1,0]
	s_set_vgpr_msb 0                        ;  msbs: dst=0 src0=0 src1=0 src2=0
	v_add_f32_e32 v127, v9, v57
	s_wait_loadcnt 0x3
	v_dual_add_f32 v126, v11, v17 :: v_dual_mov_b32 v128, v181
	v_pk_mul_f32 v[120:121], v[190:191], v[174:175] op_sel:[1,1] op_sel_hi:[0,1]
	v_pk_fma_f32 v[130:131], v[188:189], v[172:173], v[118:119] op_sel_hi:[1,0,1]
	v_pk_fma_f32 v[118:119], v[188:189], v[172:173], v[118:119] neg_lo:[0,0,1] neg_hi:[0,0,1]
	s_set_vgpr_msb 4                        ;  msbs: dst=0 src0=0 src1=1 src2=0
	v_pk_add_f32 v[126:127], v[126:127], v[12:13] /*v[268:269]*/
	s_set_vgpr_msb 1                        ;  msbs: dst=0 src0=1 src1=0 src2=0
	v_pk_mul_f32 v[122:123], v[6:7] /*v[262:263]*/, v[122:123] op_sel_hi:[1,0]
	s_set_vgpr_msb 0                        ;  msbs: dst=0 src0=0 src1=0 src2=0
	v_pk_fma_f32 v[132:133], v[190:191], v[174:175], v[120:121] op_sel_hi:[1,0,1]
	v_mov_b32_e32 v119, v131
	v_pk_fma_f32 v[120:121], v[190:191], v[174:175], v[120:121] neg_lo:[0,0,1] neg_hi:[0,0,1]
	s_set_vgpr_msb 4                        ;  msbs: dst=0 src0=0 src1=1 src2=0
	v_pk_add_f32 v[126:127], v[126:127], v[14:15] /*v[270:271]*/
	s_set_vgpr_msb 0                        ;  msbs: dst=0 src0=0 src1=0 src2=0
	v_pk_mul_f32 v[124:125], v[194:195], v[178:179] op_sel:[1,1] op_sel_hi:[0,1]
	v_mov_b32_e32 v121, v133
	v_pk_fma_f32 v[132:133], v[192:193], v[176:177], v[122:123] op_sel_hi:[1,0,1]
	v_pk_fma_f32 v[122:123], v[192:193], v[176:177], v[122:123] neg_lo:[0,0,1] neg_hi:[0,0,1]
	v_pk_add_f32 v[118:119], v[126:127], v[118:119]
	v_pk_fma_f32 v[126:127], v[194:195], v[178:179], v[124:125] op_sel_hi:[1,0,1]
	s_set_vgpr_msb 1                        ;  msbs: dst=0 src0=1 src1=0 src2=0
	v_pk_mul_f32 v[128:129], v[8:9] /*v[264:265]*/, v[128:129] op_sel_hi:[1,0]
	s_set_vgpr_msb 0                        ;  msbs: dst=0 src0=0 src1=0 src2=0
	v_mov_b32_e32 v123, v133
	v_pk_fma_f32 v[124:125], v[194:195], v[178:179], v[124:125] neg_lo:[0,0,1] neg_hi:[0,0,1]
	v_pk_add_f32 v[118:119], v[118:119], v[120:121]
	s_wait_loadcnt 0x2
	v_pk_mul_f32 v[130:131], v[202:203], v[182:183] op_sel:[1,1] op_sel_hi:[0,1]
	v_dual_mov_b32 v120, v185 :: v_dual_mov_b32 v125, v127
	v_pk_fma_f32 v[126:127], v[196:197], v[180:181], v[128:129] op_sel_hi:[1,0,1]
	v_pk_add_f32 v[118:119], v[118:119], v[122:123]
	v_pk_fma_f32 v[128:129], v[196:197], v[180:181], v[128:129] neg_lo:[0,0,1] neg_hi:[0,0,1]
	v_pk_fma_f32 v[122:123], v[202:203], v[182:183], v[130:131] op_sel_hi:[1,0,1]
	s_set_vgpr_msb 1                        ;  msbs: dst=0 src0=1 src1=0 src2=0
	v_pk_mul_f32 v[120:121], v[10:11] /*v[266:267]*/, v[120:121] op_sel_hi:[1,0]
	s_set_vgpr_msb 0                        ;  msbs: dst=0 src0=0 src1=0 src2=0
	v_mov_b32_e32 v129, v127
	v_pk_add_f32 v[118:119], v[118:119], v[124:125]
	v_pk_fma_f32 v[124:125], v[202:203], v[182:183], v[130:131] neg_lo:[0,0,1] neg_hi:[0,0,1]
	v_mov_b32_e32 v125, v123
	v_pk_fma_f32 v[122:123], v[204:205], v[184:185], v[120:121] op_sel_hi:[1,0,1]
	s_wait_loadcnt_dscnt 0x100
	s_set_vgpr_msb 1                        ;  msbs: dst=0 src0=1 src1=0 src2=0
	v_pk_mul_f32 v[126:127], v[2:3] /*v[258:259]*/, v[254:255] op_sel:[1,1] op_sel_hi:[0,1]
	s_set_vgpr_msb 0                        ;  msbs: dst=0 src0=0 src1=0 src2=0
	v_pk_add_f32 v[118:119], v[118:119], v[128:129]
	v_pk_fma_f32 v[120:121], v[204:205], v[184:185], v[120:121] neg_lo:[0,0,1] neg_hi:[0,0,1]
	v_mov_b32_e32 v121, v123
	s_set_vgpr_msb 1                        ;  msbs: dst=0 src0=1 src1=0 src2=0
	v_pk_fma_f32 v[122:123], v[2:3] /*v[258:259]*/, v[254:255], v[126:127] op_sel_hi:[1,0,1]
	s_set_vgpr_msb 0                        ;  msbs: dst=0 src0=0 src1=0 src2=0
	v_pk_add_f32 v[118:119], v[118:119], v[124:125]
	s_set_vgpr_msb 1                        ;  msbs: dst=0 src0=1 src1=0 src2=0
	v_pk_fma_f32 v[124:125], v[2:3] /*v[258:259]*/, v[254:255], v[126:127] neg_lo:[0,0,1] neg_hi:[0,0,1]
	s_set_vgpr_msb 0                        ;  msbs: dst=0 src0=0 src1=0 src2=0
	v_mov_b32_e32 v125, v123
	v_pk_add_f32 v[118:119], v[118:119], v[120:121]
	s_delay_alu instid0(VALU_DEP_1) | instskip(SKIP_2) | instid1(VALU_DEP_1)
	v_pk_add_f32 v[118:119], v[118:119], v[124:125]
	s_wait_loadcnt 0x0
	s_set_vgpr_msb 1                        ;  msbs: dst=0 src0=1 src1=0 src2=0
	v_pk_add_f32 v[118:119], v[0:1] /*v[256:257]*/, v[118:119] neg_lo:[0,1] neg_hi:[0,1]
	scratch_store_b64 off, v[118:119], off offset:176
	s_wait_xcnt 0x0
	v_cmpx_lt_u32_e32 21, v0
	s_set_vgpr_msb 0                        ;  msbs: dst=0 src0=0 src1=0 src2=0
	s_cbranch_execz .LBB57_319
; %bb.318:
	scratch_load_b64 v[118:119], off, off offset:168
	v_mov_b64_e32 v[120:121], 0
	scratch_store_b64 off, v[120:121], off offset:168
	s_wait_loadcnt 0x0
	ds_store_b64 v1, v[118:119]
.LBB57_319:
	s_wait_xcnt 0x0
	s_or_b32 exec_lo, exec_lo, s0
	s_wait_storecnt_dscnt 0x0
	s_barrier_signal -1
	s_barrier_wait -1
	s_clause 0x13
	scratch_load_b128 v[118:121], off, off offset:176
	scratch_load_b128 v[122:125], off, off offset:192
	;; [unrolled: 1-line block ×18, first 2 shown]
	s_set_vgpr_msb 64                       ;  msbs: dst=1 src0=0 src1=0 src2=0
	scratch_load_b64 v[6:7] /*v[262:263]*/, off, off offset:168
	s_set_vgpr_msb 0                        ;  msbs: dst=0 src0=0 src1=0 src2=0
	ds_load_b128 v[190:193], v7 offset:864
	ds_load_b128 v[194:197], v7 offset:880
	;; [unrolled: 1-line block ×17, first 2 shown]
	s_set_vgpr_msb 64                       ;  msbs: dst=1 src0=0 src1=0 src2=0
	ds_load_b128 v[2:5] /*v[258:261]*/, v7 offset:848
	s_mov_b32 s0, exec_lo
	s_wait_dscnt 0x11
	v_dual_mov_b32 v8 /*v264*/, v193 :: v_dual_mov_b32 v9 /*v265*/, v192
	s_wait_dscnt 0x10
	v_dual_mov_b32 v10 /*v266*/, v197 :: v_dual_mov_b32 v11 /*v267*/, v196
	;; [unrolled: 2-line block ×4, first 2 shown]
	s_wait_loadcnt_dscnt 0x120d
	s_set_vgpr_msb 0                        ;  msbs: dst=0 src0=0 src1=0 src2=0
	v_dual_mul_f32 v7, v206, v119 :: v_dual_mul_f32 v9, v208, v121
	s_wait_loadcnt_dscnt 0x110c
	v_dual_mul_f32 v59, v207, v119 :: v_dual_mul_f32 v65, v213, v125
	s_wait_loadcnt_dscnt 0x100b
	v_mul_f32_e32 v67, v215, v127
	v_dual_fmac_f32 v7, v207, v118 :: v_dual_fmac_f32 v9, v209, v120
	s_delay_alu instid0(VALU_DEP_3)
	v_dual_fma_f32 v59, v206, v118, -v59 :: v_dual_mul_f32 v61, v209, v121
	v_dual_mul_f32 v11, v210, v123 :: v_dual_mul_f32 v13, v212, v125
	v_dual_mul_f32 v63, v211, v123 :: v_dual_mul_f32 v69, v217, v129
	s_wait_loadcnt_dscnt 0x601
	v_mul_f32_e32 v55, v254, v167
	s_set_vgpr_msb 1                        ;  msbs: dst=0 src0=1 src1=0 src2=0
	v_dual_mul_f32 v57, v0 /*v256*/, v169 :: v_dual_add_f32 v7, 0, v7
	s_set_vgpr_msb 0                        ;  msbs: dst=0 src0=0 src1=0 src2=0
	v_dual_mul_f32 v71, v219, v131 :: v_dual_fma_f32 v61, v208, v120, -v61
	v_dual_add_f32 v59, 0, v59 :: v_dual_mul_f32 v73, v221, v133
	v_dual_fmac_f32 v11, v211, v122 :: v_dual_fmac_f32 v13, v213, v124
	v_dual_fma_f32 v63, v210, v122, -v63 :: v_dual_add_f32 v7, v7, v9
	s_delay_alu instid0(VALU_DEP_3) | instskip(SKIP_1) | instid1(VALU_DEP_3)
	v_dual_add_f32 v9, v59, v61 :: v_dual_fma_f32 v61, v212, v124, -v65
	v_dual_mul_f32 v15, v214, v127 :: v_dual_mul_f32 v17, v216, v129
	v_add_f32_e32 v7, v7, v11
	s_delay_alu instid0(VALU_DEP_3) | instskip(NEXT) | instid1(VALU_DEP_3)
	v_dual_add_f32 v9, v9, v63 :: v_dual_fma_f32 v63, v214, v126, -v67
	v_dual_fmac_f32 v15, v215, v126 :: v_dual_mul_f32 v19, v218, v131
	v_mul_f32_e32 v21, v220, v133
	s_delay_alu instid0(VALU_DEP_4) | instskip(NEXT) | instid1(VALU_DEP_4)
	v_dual_add_f32 v7, v7, v13 :: v_dual_fmac_f32 v17, v217, v128
	v_dual_add_f32 v9, v9, v61 :: v_dual_mul_f32 v13, v227, v139
	s_delay_alu instid0(VALU_DEP_2) | instskip(SKIP_1) | instid1(VALU_DEP_3)
	v_dual_fma_f32 v61, v216, v128, -v69 :: v_dual_add_f32 v7, v7, v15
	v_mul_f32_e32 v15, v229, v141
	v_dual_add_f32 v9, v9, v63 :: v_dual_fmac_f32 v19, v219, v130
	s_delay_alu instid0(VALU_DEP_3) | instskip(SKIP_1) | instid1(VALU_DEP_3)
	v_dual_fma_f32 v63, v218, v130, -v71 :: v_dual_add_f32 v7, v7, v17
	v_fmac_f32_e32 v21, v221, v132
	v_dual_add_f32 v9, v9, v61 :: v_dual_mul_f32 v17, v231, v143
	v_dual_mul_f32 v23, v222, v135 :: v_dual_mul_f32 v25, v224, v137
	v_dual_mul_f32 v59, v223, v135 :: v_dual_mul_f32 v11, v225, v137
	v_dual_fma_f32 v61, v220, v132, -v73 :: v_dual_add_f32 v7, v7, v19
	s_delay_alu instid0(VALU_DEP_3) | instskip(NEXT) | instid1(VALU_DEP_3)
	v_dual_add_f32 v9, v9, v63 :: v_dual_fmac_f32 v23, v223, v134
	v_dual_mul_f32 v19, v233, v145 :: v_dual_fma_f32 v59, v222, v134, -v59
	s_delay_alu instid0(VALU_DEP_3) | instskip(NEXT) | instid1(VALU_DEP_3)
	v_dual_add_f32 v7, v7, v21 :: v_dual_fmac_f32 v25, v225, v136
	v_dual_add_f32 v9, v9, v61 :: v_dual_mul_f32 v21, v235, v147
	v_dual_mul_f32 v27, v226, v139 :: v_dual_mul_f32 v29, v228, v141
	s_delay_alu instid0(VALU_DEP_3) | instskip(NEXT) | instid1(VALU_DEP_2)
	v_dual_fma_f32 v11, v224, v136, -v11 :: v_dual_add_f32 v7, v7, v23
	v_dual_add_f32 v9, v9, v59 :: v_dual_fmac_f32 v27, v227, v138
	v_dual_mul_f32 v23, v237, v149 :: v_dual_fma_f32 v13, v226, v138, -v13
	s_delay_alu instid0(VALU_DEP_2) | instskip(SKIP_2) | instid1(VALU_DEP_3)
	v_dual_add_f32 v7, v7, v25 :: v_dual_add_f32 v9, v9, v11
	v_dual_mul_f32 v31, v230, v143 :: v_dual_mul_f32 v33, v232, v145
	v_dual_mul_f32 v11, v239, v151 :: v_dual_fmac_f32 v29, v229, v140
	v_dual_fma_f32 v15, v228, v140, -v15 :: v_dual_add_f32 v7, v7, v27
	s_delay_alu instid0(VALU_DEP_3) | instskip(SKIP_1) | instid1(VALU_DEP_2)
	v_dual_add_f32 v9, v9, v13 :: v_dual_fmac_f32 v31, v231, v142
	v_dual_mul_f32 v13, v241, v153 :: v_dual_fma_f32 v17, v230, v142, -v17
	v_dual_add_f32 v7, v7, v29 :: v_dual_add_f32 v9, v9, v15
	v_dual_mul_f32 v35, v234, v147 :: v_dual_mul_f32 v37, v236, v149
	v_dual_mul_f32 v15, v243, v155 :: v_dual_fmac_f32 v33, v233, v144
	s_delay_alu instid0(VALU_DEP_3) | instskip(NEXT) | instid1(VALU_DEP_3)
	v_dual_fma_f32 v19, v232, v144, -v19 :: v_dual_add_f32 v7, v7, v31
	v_dual_add_f32 v9, v9, v17 :: v_dual_fmac_f32 v35, v235, v146
	v_dual_mul_f32 v17, v245, v157 :: v_dual_fma_f32 v21, v234, v146, -v21
	s_delay_alu instid0(VALU_DEP_2) | instskip(SKIP_2) | instid1(VALU_DEP_3)
	v_dual_add_f32 v7, v7, v33 :: v_dual_add_f32 v9, v9, v19
	v_dual_mul_f32 v39, v238, v151 :: v_dual_mul_f32 v41, v240, v153
	v_dual_mul_f32 v19, v247, v159 :: v_dual_fmac_f32 v37, v237, v148
	v_dual_fma_f32 v23, v236, v148, -v23 :: v_dual_add_f32 v7, v7, v35
	s_delay_alu instid0(VALU_DEP_3) | instskip(SKIP_1) | instid1(VALU_DEP_2)
	v_dual_add_f32 v9, v9, v21 :: v_dual_fmac_f32 v39, v239, v150
	v_dual_mul_f32 v21, v249, v161 :: v_dual_fma_f32 v11, v238, v150, -v11
	v_dual_add_f32 v7, v7, v37 :: v_dual_add_f32 v9, v9, v23
	v_dual_mul_f32 v43, v242, v155 :: v_dual_mul_f32 v45, v244, v157
	v_dual_mul_f32 v23, v251, v163 :: v_dual_fmac_f32 v41, v241, v152
	s_delay_alu instid0(VALU_DEP_3) | instskip(NEXT) | instid1(VALU_DEP_3)
	v_dual_fma_f32 v13, v240, v152, -v13 :: v_dual_add_f32 v7, v7, v39
	v_dual_add_f32 v9, v9, v11 :: v_dual_fmac_f32 v43, v243, v154
	v_dual_mul_f32 v11, v253, v165 :: v_dual_fma_f32 v15, v242, v154, -v15
	s_delay_alu instid0(VALU_DEP_3) | instskip(NEXT) | instid1(VALU_DEP_3)
	v_dual_add_f32 v7, v7, v41 :: v_dual_fmac_f32 v45, v245, v156
	v_dual_add_f32 v9, v9, v13 :: v_dual_mul_f32 v13, v255, v167
	v_dual_mul_f32 v47, v246, v159 :: v_dual_mul_f32 v49, v248, v161
	s_delay_alu instid0(VALU_DEP_3) | instskip(NEXT) | instid1(VALU_DEP_2)
	v_dual_fma_f32 v17, v244, v156, -v17 :: v_dual_add_f32 v7, v7, v43
	v_dual_add_f32 v9, v9, v15 :: v_dual_fmac_f32 v47, v247, v158
	v_fma_f32 v19, v246, v158, -v19
	v_dual_mul_f32 v51, v250, v163 :: v_dual_mul_f32 v53, v252, v165
	s_delay_alu instid0(VALU_DEP_4) | instskip(NEXT) | instid1(VALU_DEP_4)
	v_add_f32_e32 v7, v7, v45
	v_dual_add_f32 v9, v9, v17 :: v_dual_fma_f32 v21, v248, v160, -v21
	s_delay_alu instid0(VALU_DEP_3) | instskip(NEXT) | instid1(VALU_DEP_3)
	v_dual_fmac_f32 v49, v249, v160 :: v_dual_fmac_f32 v51, v251, v162
	v_add_f32_e32 v7, v7, v47
	s_delay_alu instid0(VALU_DEP_3)
	v_dual_add_f32 v9, v9, v19 :: v_dual_fma_f32 v23, v250, v162, -v23
	v_fma_f32 v11, v252, v164, -v11
	s_wait_loadcnt_dscnt 0x500
	s_set_vgpr_msb 1                        ;  msbs: dst=0 src0=1 src1=0 src2=0
	v_dual_mul_f32 v15, v1 /*v257*/, v169 :: v_dual_mul_f32 v17, v3 /*v259*/, v171
	s_set_vgpr_msb 0                        ;  msbs: dst=0 src0=0 src1=0 src2=0
	v_add_f32_e32 v7, v7, v49
	v_add_f32_e32 v9, v9, v21
	v_fmac_f32_e32 v53, v253, v164
	s_wait_loadcnt 0x4
	v_dual_mov_b32 v120, v177 :: v_dual_fma_f32 v13, v254, v166, -v13
	v_add_f32_e32 v7, v7, v51
	v_dual_add_f32 v9, v9, v23 :: v_dual_fmac_f32 v55, v255, v166
	s_set_vgpr_msb 0x41                     ;  msbs: dst=1 src0=1 src1=0 src2=0
	v_dual_mul_f32 v17 /*v273*/, v2 /*v258*/, v171 :: v_dual_mul_f32 v19 /*v275*/, v4 /*v260*/, v173
	s_set_vgpr_msb 0                        ;  msbs: dst=0 src0=0 src1=0 src2=0
	s_delay_alu instid0(VALU_DEP_2)
	v_dual_add_f32 v7, v7, v53 :: v_dual_add_f32 v9, v9, v11
	s_set_vgpr_msb 1                        ;  msbs: dst=0 src0=1 src1=0 src2=0
	v_dual_mul_f32 v19, v5 /*v261*/, v173 :: v_dual_fma_f32 v11, v0 /*v256*/, v168, -v15
	v_fmac_f32_e32 v57, v1 /*v257*/, v168
	s_set_vgpr_msb 0                        ;  msbs: dst=0 src0=0 src1=0 src2=0
	v_dual_add_f32 v7, v7, v55 :: v_dual_add_f32 v9, v9, v13
	v_pk_mul_f32 v[118:119], v[190:191], v[174:175] op_sel:[1,1] op_sel_hi:[0,1]
	s_wait_loadcnt 0x3
	v_mov_b32_e32 v124, v181
	s_set_vgpr_msb 0x41                     ;  msbs: dst=1 src0=1 src1=0 src2=0
	v_dual_fmac_f32 v17 /*v273*/, v3 /*v259*/, v170 :: v_dual_fmac_f32 v19 /*v275*/, v5 /*v261*/, v172
	v_dual_fma_f32 v16 /*v272*/, v2 /*v258*/, v170, -v17 :: v_dual_fma_f32 v18 /*v274*/, v4 /*v260*/, v172, -v19
	s_set_vgpr_msb 0                        ;  msbs: dst=0 src0=0 src1=0 src2=0
	v_dual_add_f32 v127, v7, v57 :: v_dual_add_f32 v126, v9, v11
	v_pk_fma_f32 v[128:129], v[190:191], v[174:175], v[118:119] op_sel_hi:[1,0,1]
	s_set_vgpr_msb 1                        ;  msbs: dst=0 src0=1 src1=0 src2=0
	v_pk_mul_f32 v[120:121], v[8:9] /*v[264:265]*/, v[120:121] op_sel_hi:[1,0]
	s_set_vgpr_msb 0                        ;  msbs: dst=0 src0=0 src1=0 src2=0
	v_pk_fma_f32 v[118:119], v[190:191], v[174:175], v[118:119] neg_lo:[0,0,1] neg_hi:[0,0,1]
	v_pk_mul_f32 v[122:123], v[194:195], v[178:179] op_sel:[1,1] op_sel_hi:[0,1]
	s_set_vgpr_msb 4                        ;  msbs: dst=0 src0=0 src1=1 src2=0
	v_pk_add_f32 v[126:127], v[126:127], v[16:17] /*v[272:273]*/
	v_mov_b32_e32 v119, v129
	s_set_vgpr_msb 0                        ;  msbs: dst=0 src0=0 src1=0 src2=0
	v_pk_fma_f32 v[128:129], v[192:193], v[176:177], v[120:121] op_sel_hi:[1,0,1]
	v_pk_fma_f32 v[120:121], v[192:193], v[176:177], v[120:121] neg_lo:[0,0,1] neg_hi:[0,0,1]
	v_pk_fma_f32 v[132:133], v[194:195], v[178:179], v[122:123] op_sel_hi:[1,0,1]
	s_set_vgpr_msb 4                        ;  msbs: dst=0 src0=0 src1=1 src2=0
	v_pk_add_f32 v[126:127], v[126:127], v[18:19] /*v[274:275]*/
	s_set_vgpr_msb 1                        ;  msbs: dst=0 src0=1 src1=0 src2=0
	v_pk_mul_f32 v[124:125], v[10:11] /*v[266:267]*/, v[124:125] op_sel_hi:[1,0]
	s_set_vgpr_msb 0                        ;  msbs: dst=0 src0=0 src1=0 src2=0
	v_mov_b32_e32 v121, v129
	s_wait_loadcnt 0x2
	v_pk_mul_f32 v[130:131], v[198:199], v[182:183] op_sel:[1,1] op_sel_hi:[0,1]
	v_pk_fma_f32 v[122:123], v[194:195], v[178:179], v[122:123] neg_lo:[0,0,1] neg_hi:[0,0,1]
	v_pk_add_f32 v[118:119], v[126:127], v[118:119]
	v_dual_mov_b32 v126, v185 :: v_dual_mov_b32 v123, v133
	v_pk_fma_f32 v[128:129], v[196:197], v[180:181], v[124:125] op_sel_hi:[1,0,1]
	v_pk_fma_f32 v[124:125], v[196:197], v[180:181], v[124:125] neg_lo:[0,0,1] neg_hi:[0,0,1]
	s_delay_alu instid0(VALU_DEP_4)
	v_pk_add_f32 v[118:119], v[118:119], v[120:121]
	v_pk_fma_f32 v[120:121], v[198:199], v[182:183], v[130:131] op_sel_hi:[1,0,1]
	s_set_vgpr_msb 1                        ;  msbs: dst=0 src0=1 src1=0 src2=0
	v_pk_mul_f32 v[126:127], v[12:13] /*v[268:269]*/, v[126:127] op_sel_hi:[1,0]
	s_set_vgpr_msb 0                        ;  msbs: dst=0 src0=0 src1=0 src2=0
	v_mov_b32_e32 v125, v129
	v_pk_fma_f32 v[128:129], v[198:199], v[182:183], v[130:131] neg_lo:[0,0,1] neg_hi:[0,0,1]
	v_pk_add_f32 v[118:119], v[118:119], v[122:123]
	v_mov_b32_e32 v129, v121
	v_pk_fma_f32 v[120:121], v[200:201], v[184:185], v[126:127] op_sel_hi:[1,0,1]
	s_wait_loadcnt 0x1
	v_pk_mul_f32 v[122:123], v[202:203], v[186:187] op_sel:[1,1] op_sel_hi:[0,1]
	v_mov_b32_e32 v120, v189
	v_pk_add_f32 v[118:119], v[118:119], v[124:125]
	v_pk_fma_f32 v[126:127], v[200:201], v[184:185], v[126:127] neg_lo:[0,0,1] neg_hi:[0,0,1]
	v_mov_b32_e32 v127, v121
	v_pk_fma_f32 v[124:125], v[202:203], v[186:187], v[122:123] op_sel_hi:[1,0,1]
	s_set_vgpr_msb 1                        ;  msbs: dst=0 src0=1 src1=0 src2=0
	v_pk_mul_f32 v[120:121], v[14:15] /*v[270:271]*/, v[120:121] op_sel_hi:[1,0]
	s_set_vgpr_msb 0                        ;  msbs: dst=0 src0=0 src1=0 src2=0
	v_pk_add_f32 v[118:119], v[118:119], v[128:129]
	v_pk_fma_f32 v[122:123], v[202:203], v[186:187], v[122:123] neg_lo:[0,0,1] neg_hi:[0,0,1]
	v_mov_b32_e32 v123, v125
	v_pk_fma_f32 v[124:125], v[204:205], v[188:189], v[120:121] op_sel_hi:[1,0,1]
	s_delay_alu instid0(VALU_DEP_4) | instskip(SKIP_1) | instid1(VALU_DEP_3)
	v_pk_add_f32 v[118:119], v[118:119], v[126:127]
	v_pk_fma_f32 v[120:121], v[204:205], v[188:189], v[120:121] neg_lo:[0,0,1] neg_hi:[0,0,1]
	v_mov_b32_e32 v121, v125
	s_delay_alu instid0(VALU_DEP_3) | instskip(NEXT) | instid1(VALU_DEP_1)
	v_pk_add_f32 v[118:119], v[118:119], v[122:123]
	v_pk_add_f32 v[118:119], v[118:119], v[120:121]
	s_wait_loadcnt 0x0
	s_set_vgpr_msb 1                        ;  msbs: dst=0 src0=1 src1=0 src2=0
	s_delay_alu instid0(VALU_DEP_1)
	v_pk_add_f32 v[118:119], v[6:7] /*v[262:263]*/, v[118:119] neg_lo:[0,1] neg_hi:[0,1]
	scratch_store_b64 off, v[118:119], off offset:168
	s_wait_xcnt 0x0
	v_cmpx_lt_u32_e32 20, v0
	s_set_vgpr_msb 0                        ;  msbs: dst=0 src0=0 src1=0 src2=0
	s_cbranch_execz .LBB57_321
; %bb.320:
	scratch_load_b64 v[118:119], off, off offset:160
	v_mov_b64_e32 v[120:121], 0
	scratch_store_b64 off, v[120:121], off offset:160
	s_wait_loadcnt 0x0
	ds_store_b64 v1, v[118:119]
.LBB57_321:
	s_wait_xcnt 0x0
	s_or_b32 exec_lo, exec_lo, s0
	s_wait_storecnt_dscnt 0x0
	s_barrier_signal -1
	s_barrier_wait -1
	s_clause 0x14
	scratch_load_b128 v[118:121], off, off offset:168
	scratch_load_b128 v[122:125], off, off offset:184
	;; [unrolled: 1-line block ×18, first 2 shown]
	s_set_vgpr_msb 64                       ;  msbs: dst=1 src0=0 src1=0 src2=0
	scratch_load_b64 v[6:7] /*v[262:263]*/, off, off offset:456
	scratch_load_b64 v[8:9] /*v[264:265]*/, off, off offset:160
	s_set_vgpr_msb 0                        ;  msbs: dst=0 src0=0 src1=0 src2=0
	v_mov_b32_e32 v7, 0
	ds_load_2addr_b64 v[190:193], v7 offset0:107 offset1:108
	ds_load_2addr_b64 v[194:197], v7 offset0:109 offset1:110
	;; [unrolled: 1-line block ×17, first 2 shown]
	s_set_vgpr_msb 64                       ;  msbs: dst=1 src0=0 src1=0 src2=0
	ds_load_2addr_b64 v[2:5] /*v[258:261]*/, v7 offset0:105 offset1:106
	ds_load_b64 v[10:11] /*v[266:267]*/, v7 offset:920
	s_mov_b32 s0, exec_lo
	s_wait_dscnt 0x12
	v_dual_mov_b32 v12 /*v268*/, v193 :: v_dual_mov_b32 v13 /*v269*/, v192
	s_wait_dscnt 0x11
	v_dual_mov_b32 v14 /*v270*/, v197 :: v_dual_mov_b32 v15 /*v271*/, v196
	;; [unrolled: 2-line block ×4, first 2 shown]
	s_wait_loadcnt 0x13
	s_set_vgpr_msb 0                        ;  msbs: dst=0 src0=0 src1=0 src2=0
	v_dual_mul_f32 v9, v202, v119 :: v_dual_mul_f32 v63, v203, v119
	v_dual_mul_f32 v65, v205, v121 :: v_dual_mul_f32 v11, v204, v121
	s_wait_loadcnt 0x12
	v_mul_f32_e32 v13, v206, v123
	s_wait_loadcnt_dscnt 0x100b
	v_dual_mul_f32 v75, v219, v131 :: v_dual_fma_f32 v63, v202, v118, -v63
	v_dual_fmac_f32 v9, v203, v118 :: v_dual_mul_f32 v77, v221, v133
	v_dual_mul_f32 v67, v207, v123 :: v_dual_mul_f32 v69, v209, v125
	v_dual_fmac_f32 v11, v205, v120 :: v_dual_fma_f32 v65, v204, v120, -v65
	s_delay_alu instid0(VALU_DEP_3) | instskip(SKIP_3) | instid1(VALU_DEP_3)
	v_dual_add_f32 v9, 0, v9 :: v_dual_add_f32 v63, 0, v63
	v_dual_mul_f32 v15, v208, v125 :: v_dual_mul_f32 v17, v214, v127
	s_wait_loadcnt_dscnt 0xf0a
	v_dual_mul_f32 v79, v223, v135 :: v_dual_fma_f32 v67, v206, v122, -v67
	v_dual_fmac_f32 v13, v207, v122 :: v_dual_add_f32 v9, v9, v11
	s_delay_alu instid0(VALU_DEP_3) | instskip(SKIP_2) | instid1(VALU_DEP_3)
	v_dual_add_f32 v11, v63, v65 :: v_dual_fmac_f32 v15, v209, v124
	v_dual_mul_f32 v71, v215, v127 :: v_dual_mul_f32 v73, v217, v129
	v_dual_mul_f32 v63, v225, v137 :: v_dual_fma_f32 v65, v208, v124, -v69
	v_dual_add_f32 v9, v9, v13 :: v_dual_add_f32 v11, v11, v67
	v_dual_mul_f32 v19, v216, v129 :: v_dual_mul_f32 v21, v218, v131
	s_wait_loadcnt_dscnt 0xe09
	v_dual_mul_f32 v13, v227, v139 :: v_dual_fma_f32 v67, v214, v126, -v71
	s_delay_alu instid0(VALU_DEP_3) | instskip(NEXT) | instid1(VALU_DEP_3)
	v_dual_fmac_f32 v17, v215, v126 :: v_dual_add_f32 v9, v9, v15
	v_dual_add_f32 v11, v11, v65 :: v_dual_fmac_f32 v19, v217, v128
	v_dual_mul_f32 v15, v229, v141 :: v_dual_fma_f32 v65, v216, v128, -v73
	s_delay_alu instid0(VALU_DEP_2) | instskip(SKIP_3) | instid1(VALU_DEP_3)
	v_dual_add_f32 v9, v9, v17 :: v_dual_add_f32 v11, v11, v67
	v_dual_mul_f32 v23, v220, v133 :: v_dual_mul_f32 v25, v222, v135
	s_wait_loadcnt_dscnt 0xd08
	v_dual_mul_f32 v17, v231, v143 :: v_dual_fma_f32 v67, v218, v130, -v75
	v_dual_fmac_f32 v21, v219, v130 :: v_dual_add_f32 v9, v9, v19
	s_delay_alu instid0(VALU_DEP_3) | instskip(SKIP_1) | instid1(VALU_DEP_2)
	v_dual_add_f32 v11, v11, v65 :: v_dual_fmac_f32 v23, v221, v132
	v_dual_mul_f32 v19, v233, v145 :: v_dual_fma_f32 v65, v220, v132, -v77
	v_dual_add_f32 v9, v9, v21 :: v_dual_add_f32 v11, v11, v67
	v_dual_mul_f32 v27, v224, v137 :: v_dual_mul_f32 v29, v226, v139
	s_wait_loadcnt_dscnt 0xc07
	v_dual_mul_f32 v21, v235, v147 :: v_dual_fma_f32 v67, v222, v134, -v79
	s_delay_alu instid0(VALU_DEP_3) | instskip(NEXT) | instid1(VALU_DEP_3)
	v_dual_fmac_f32 v25, v223, v134 :: v_dual_add_f32 v9, v9, v23
	v_dual_add_f32 v11, v11, v65 :: v_dual_fmac_f32 v27, v225, v136
	v_dual_mul_f32 v23, v237, v149 :: v_dual_fma_f32 v63, v224, v136, -v63
	s_delay_alu instid0(VALU_DEP_2) | instskip(SKIP_3) | instid1(VALU_DEP_3)
	v_dual_add_f32 v9, v9, v25 :: v_dual_add_f32 v11, v11, v67
	v_dual_mul_f32 v31, v228, v141 :: v_dual_mul_f32 v33, v230, v143
	s_wait_loadcnt_dscnt 0xb06
	v_dual_mul_f32 v25, v239, v151 :: v_dual_fma_f32 v13, v226, v138, -v13
	v_dual_fmac_f32 v29, v227, v138 :: v_dual_add_f32 v9, v9, v27
	v_dual_add_f32 v11, v11, v63 :: v_dual_mul_f32 v27, v241, v153
	v_fmac_f32_e32 v31, v229, v140
	s_delay_alu instid0(VALU_DEP_3) | instskip(NEXT) | instid1(VALU_DEP_3)
	v_dual_fma_f32 v15, v228, v140, -v15 :: v_dual_add_f32 v9, v9, v29
	v_add_f32_e32 v11, v11, v13
	v_dual_mul_f32 v35, v232, v145 :: v_dual_mul_f32 v37, v234, v147
	s_wait_loadcnt_dscnt 0xa05
	v_dual_mul_f32 v13, v243, v155 :: v_dual_fma_f32 v17, v230, v142, -v17
	v_dual_fmac_f32 v33, v231, v142 :: v_dual_add_f32 v9, v9, v31
	v_dual_add_f32 v11, v11, v15 :: v_dual_mul_f32 v15, v245, v157
	v_fmac_f32_e32 v35, v233, v144
	s_delay_alu instid0(VALU_DEP_3) | instskip(NEXT) | instid1(VALU_DEP_3)
	v_dual_fma_f32 v19, v232, v144, -v19 :: v_dual_add_f32 v9, v9, v33
	v_add_f32_e32 v11, v11, v17
	;; [unrolled: 9-line block ×4, first 2 shown]
	v_dual_mul_f32 v47, v244, v157 :: v_dual_mul_f32 v49, v246, v159
	s_wait_loadcnt_dscnt 0x702
	v_dual_mul_f32 v25, v255, v167 :: v_dual_fma_f32 v13, v242, v154, -v13
	v_dual_fmac_f32 v45, v243, v154 :: v_dual_add_f32 v9, v9, v43
	s_delay_alu instid0(VALU_DEP_3) | instskip(SKIP_2) | instid1(VALU_DEP_4)
	v_dual_add_f32 v11, v11, v27 :: v_dual_fmac_f32 v47, v245, v156
	v_fma_f32 v15, v244, v156, -v15
	v_dual_mul_f32 v51, v248, v161 :: v_dual_mul_f32 v53, v250, v163
	v_add_f32_e32 v9, v9, v45
	s_delay_alu instid0(VALU_DEP_4) | instskip(NEXT) | instid1(VALU_DEP_3)
	v_dual_add_f32 v11, v11, v13 :: v_dual_fma_f32 v17, v246, v158, -v17
	v_dual_fmac_f32 v49, v247, v158 :: v_dual_fmac_f32 v51, v249, v160
	s_delay_alu instid0(VALU_DEP_3) | instskip(NEXT) | instid1(VALU_DEP_3)
	v_add_f32_e32 v9, v9, v47
	v_dual_add_f32 v11, v11, v15 :: v_dual_fma_f32 v19, v248, v160, -v19
	v_dual_mul_f32 v55, v252, v165 :: v_dual_mul_f32 v57, v254, v167
	s_delay_alu instid0(VALU_DEP_3) | instskip(NEXT) | instid1(VALU_DEP_3)
	v_add_f32_e32 v9, v9, v49
	v_dual_add_f32 v11, v11, v17 :: v_dual_fma_f32 v21, v250, v162, -v21
	s_delay_alu instid0(VALU_DEP_3) | instskip(NEXT) | instid1(VALU_DEP_3)
	v_dual_fmac_f32 v53, v251, v162 :: v_dual_fmac_f32 v55, v253, v164
	v_add_f32_e32 v9, v9, v51
	s_delay_alu instid0(VALU_DEP_3)
	v_dual_add_f32 v11, v11, v19 :: v_dual_fma_f32 v19, v252, v164, -v23
	s_wait_loadcnt_dscnt 0x601
	s_set_vgpr_msb 1                        ;  msbs: dst=0 src0=1 src1=0 src2=0
	v_dual_mul_f32 v59, v0 /*v256*/, v169 :: v_dual_mul_f32 v61, v2 /*v258*/, v171
	s_set_vgpr_msb 0                        ;  msbs: dst=0 src0=0 src1=0 src2=0
	v_add_f32_e32 v9, v9, v53
	v_dual_add_f32 v11, v11, v21 :: v_dual_fma_f32 v21, v254, v166, -v25
	s_set_vgpr_msb 1                        ;  msbs: dst=0 src0=1 src1=0 src2=0
	v_dual_mul_f32 v27, v1 /*v257*/, v169 :: v_dual_mul_f32 v13, v3 /*v259*/, v171
	s_set_vgpr_msb 0                        ;  msbs: dst=0 src0=0 src1=0 src2=0
	v_dual_fmac_f32 v57, v255, v166 :: v_dual_add_f32 v9, v9, v55
	s_wait_loadcnt 0x4
	v_dual_add_f32 v11, v11, v19 :: v_dual_mov_b32 v122, v181
	s_set_vgpr_msb 1                        ;  msbs: dst=0 src0=1 src1=0 src2=0
	v_dual_mul_f32 v15, v5 /*v261*/, v173 :: v_dual_fma_f32 v19, v0 /*v256*/, v168, -v27
	s_set_vgpr_msb 0                        ;  msbs: dst=0 src0=0 src1=0 src2=0
	v_dual_mul_f32 v17, v191, v175 :: v_dual_mov_b32 v118, v177
	s_set_vgpr_msb 1                        ;  msbs: dst=0 src0=1 src1=0 src2=0
	v_dual_fmac_f32 v59, v1 /*v257*/, v168 :: v_dual_fmac_f32 v61, v3 /*v259*/, v170
	s_set_vgpr_msb 0                        ;  msbs: dst=0 src0=0 src1=0 src2=0
	v_add_f32_e32 v11, v11, v21
	v_add_f32_e32 v9, v9, v57
	s_set_vgpr_msb 0x41                     ;  msbs: dst=1 src0=1 src1=0 src2=0
	v_dual_mul_f32 v21 /*v277*/, v4 /*v260*/, v173 :: v_dual_fma_f32 v20 /*v276*/, v4 /*v260*/, v172, -v15
	s_set_vgpr_msb 1                        ;  msbs: dst=0 src0=1 src1=0 src2=0
	v_fma_f32 v13, v2 /*v258*/, v170, -v13
	s_set_vgpr_msb 0                        ;  msbs: dst=0 src0=0 src1=0 src2=0
	v_add_f32_e32 v11, v11, v19
	v_add_f32_e32 v9, v9, v59
	s_set_vgpr_msb 1                        ;  msbs: dst=0 src0=1 src1=0 src2=0
	v_pk_mul_f32 v[118:119], v[12:13] /*v[268:269]*/, v[118:119] op_sel_hi:[1,0]
	s_set_vgpr_msb 64                       ;  msbs: dst=1 src0=0 src1=0 src2=0
	v_dual_mul_f32 v23 /*v279*/, v190, v175 :: v_dual_fma_f32 v22 /*v278*/, v190, v174, -v17
	s_set_vgpr_msb 0x41                     ;  msbs: dst=1 src0=1 src1=0 src2=0
	v_fmac_f32_e32 v21 /*v277*/, v5 /*v261*/, v172
	s_wait_loadcnt 0x3
	s_set_vgpr_msb 0                        ;  msbs: dst=0 src0=0 src1=0 src2=0
	v_dual_add_f32 v126, v11, v13 :: v_dual_mov_b32 v128, v185
	v_pk_fma_f32 v[130:131], v[192:193], v[176:177], v[118:119] op_sel_hi:[1,0,1]
	v_add_f32_e32 v127, v9, v61
	v_pk_fma_f32 v[118:119], v[192:193], v[176:177], v[118:119] neg_lo:[0,0,1] neg_hi:[0,0,1]
	v_pk_mul_f32 v[120:121], v[194:195], v[178:179] op_sel:[1,1] op_sel_hi:[0,1]
	s_set_vgpr_msb 64                       ;  msbs: dst=1 src0=0 src1=0 src2=0
	v_fmac_f32_e32 v23 /*v279*/, v191, v174
	s_set_vgpr_msb 4                        ;  msbs: dst=0 src0=0 src1=1 src2=0
	v_mov_b32_e32 v119, v131
	v_pk_add_f32 v[126:127], v[126:127], v[20:21] /*v[276:277]*/
	s_set_vgpr_msb 1                        ;  msbs: dst=0 src0=1 src1=0 src2=0
	v_pk_mul_f32 v[122:123], v[14:15] /*v[270:271]*/, v[122:123] op_sel_hi:[1,0]
	s_set_vgpr_msb 0                        ;  msbs: dst=0 src0=0 src1=0 src2=0
	v_pk_fma_f32 v[132:133], v[194:195], v[178:179], v[120:121] op_sel_hi:[1,0,1]
	v_pk_fma_f32 v[120:121], v[194:195], v[178:179], v[120:121] neg_lo:[0,0,1] neg_hi:[0,0,1]
	v_pk_mul_f32 v[124:125], v[198:199], v[182:183] op_sel:[1,1] op_sel_hi:[0,1]
	s_set_vgpr_msb 4                        ;  msbs: dst=0 src0=0 src1=1 src2=0
	v_pk_add_f32 v[126:127], v[126:127], v[22:23] /*v[278:279]*/
	s_set_vgpr_msb 1                        ;  msbs: dst=0 src0=1 src1=0 src2=0
	v_pk_mul_f32 v[128:129], v[16:17] /*v[272:273]*/, v[128:129] op_sel_hi:[1,0]
	s_set_vgpr_msb 0                        ;  msbs: dst=0 src0=0 src1=0 src2=0
	v_mov_b32_e32 v121, v133
	v_pk_fma_f32 v[132:133], v[196:197], v[180:181], v[122:123] op_sel_hi:[1,0,1]
	v_pk_fma_f32 v[122:123], v[196:197], v[180:181], v[122:123] neg_lo:[0,0,1] neg_hi:[0,0,1]
	v_pk_add_f32 v[118:119], v[126:127], v[118:119]
	v_pk_fma_f32 v[126:127], v[198:199], v[182:183], v[124:125] op_sel_hi:[1,0,1]
	v_pk_fma_f32 v[124:125], v[198:199], v[182:183], v[124:125] neg_lo:[0,0,1] neg_hi:[0,0,1]
	v_mov_b32_e32 v123, v133
	s_wait_loadcnt 0x2
	v_pk_mul_f32 v[130:131], v[210:211], v[186:187] op_sel:[1,1] op_sel_hi:[0,1]
	v_pk_add_f32 v[118:119], v[118:119], v[120:121]
	v_dual_mov_b32 v120, v189 :: v_dual_mov_b32 v125, v127
	v_pk_fma_f32 v[126:127], v[200:201], v[184:185], v[128:129] op_sel_hi:[1,0,1]
	v_pk_fma_f32 v[128:129], v[200:201], v[184:185], v[128:129] neg_lo:[0,0,1] neg_hi:[0,0,1]
	s_delay_alu instid0(VALU_DEP_4)
	v_pk_add_f32 v[118:119], v[118:119], v[122:123]
	v_pk_fma_f32 v[122:123], v[210:211], v[186:187], v[130:131] op_sel_hi:[1,0,1]
	s_set_vgpr_msb 1                        ;  msbs: dst=0 src0=1 src1=0 src2=0
	v_pk_mul_f32 v[120:121], v[18:19] /*v[274:275]*/, v[120:121] op_sel_hi:[1,0]
	s_set_vgpr_msb 0                        ;  msbs: dst=0 src0=0 src1=0 src2=0
	v_mov_b32_e32 v129, v127
	s_wait_loadcnt_dscnt 0x100
	s_set_vgpr_msb 5                        ;  msbs: dst=0 src0=1 src1=1 src2=0
	v_pk_mul_f32 v[126:127], v[10:11] /*v[266:267]*/, v[6:7] /*v[262:263]*/ op_sel:[1,1] op_sel_hi:[0,1]
	s_set_vgpr_msb 0                        ;  msbs: dst=0 src0=0 src1=0 src2=0
	v_pk_add_f32 v[118:119], v[118:119], v[124:125]
	v_pk_fma_f32 v[124:125], v[210:211], v[186:187], v[130:131] neg_lo:[0,0,1] neg_hi:[0,0,1]
	v_mov_b32_e32 v125, v123
	v_pk_fma_f32 v[122:123], v[212:213], v[188:189], v[120:121] op_sel_hi:[1,0,1]
	v_pk_fma_f32 v[120:121], v[212:213], v[188:189], v[120:121] neg_lo:[0,0,1] neg_hi:[0,0,1]
	v_pk_add_f32 v[118:119], v[118:119], v[128:129]
	s_delay_alu instid0(VALU_DEP_3)
	v_mov_b32_e32 v121, v123
	s_set_vgpr_msb 5                        ;  msbs: dst=0 src0=1 src1=1 src2=0
	v_pk_fma_f32 v[122:123], v[10:11] /*v[266:267]*/, v[6:7] /*v[262:263]*/, v[126:127] op_sel_hi:[1,0,1]
	s_set_vgpr_msb 0                        ;  msbs: dst=0 src0=0 src1=0 src2=0
	v_pk_add_f32 v[118:119], v[118:119], v[124:125]
	s_set_vgpr_msb 5                        ;  msbs: dst=0 src0=1 src1=1 src2=0
	v_pk_fma_f32 v[124:125], v[10:11] /*v[266:267]*/, v[6:7] /*v[262:263]*/, v[126:127] neg_lo:[0,0,1] neg_hi:[0,0,1]
	s_set_vgpr_msb 0                        ;  msbs: dst=0 src0=0 src1=0 src2=0
	v_mov_b32_e32 v125, v123
	v_pk_add_f32 v[118:119], v[118:119], v[120:121]
	s_delay_alu instid0(VALU_DEP_1) | instskip(SKIP_2) | instid1(VALU_DEP_1)
	v_pk_add_f32 v[118:119], v[118:119], v[124:125]
	s_wait_loadcnt 0x0
	s_set_vgpr_msb 1                        ;  msbs: dst=0 src0=1 src1=0 src2=0
	v_pk_add_f32 v[118:119], v[8:9] /*v[264:265]*/, v[118:119] neg_lo:[0,1] neg_hi:[0,1]
	scratch_store_b64 off, v[118:119], off offset:160
	s_wait_xcnt 0x0
	v_cmpx_lt_u32_e32 19, v0
	s_set_vgpr_msb 0                        ;  msbs: dst=0 src0=0 src1=0 src2=0
	s_cbranch_execz .LBB57_323
; %bb.322:
	scratch_load_b64 v[118:119], off, off offset:152
	v_mov_b64_e32 v[120:121], 0
	scratch_store_b64 off, v[120:121], off offset:152
	s_wait_loadcnt 0x0
	ds_store_b64 v1, v[118:119]
.LBB57_323:
	s_wait_xcnt 0x0
	s_or_b32 exec_lo, exec_lo, s0
	s_wait_storecnt_dscnt 0x0
	s_barrier_signal -1
	s_barrier_wait -1
	s_clause 0x14
	scratch_load_b128 v[118:121], off, off offset:160
	scratch_load_b128 v[122:125], off, off offset:176
	;; [unrolled: 1-line block ×19, first 2 shown]
	s_set_vgpr_msb 64                       ;  msbs: dst=1 src0=0 src1=0 src2=0
	scratch_load_b64 v[14:15] /*v[270:271]*/, off, off offset:152
	s_set_vgpr_msb 0                        ;  msbs: dst=0 src0=0 src1=0 src2=0
	ds_load_b128 v[194:197], v7 offset:864
	ds_load_b128 v[198:201], v7 offset:880
	;; [unrolled: 1-line block ×16, first 2 shown]
	s_set_vgpr_msb 64                       ;  msbs: dst=1 src0=0 src1=0 src2=0
	ds_load_b128 v[2:5] /*v[258:261]*/, v7 offset:800
	ds_load_b128 v[6:9] /*v[262:265]*/, v7 offset:816
	;; [unrolled: 1-line block ×3, first 2 shown]
	s_mov_b32 s0, exec_lo
	s_wait_dscnt 0x12
	v_dual_mov_b32 v16 /*v272*/, v197 :: v_dual_mov_b32 v17 /*v273*/, v196
	s_wait_dscnt 0x11
	v_dual_mov_b32 v18 /*v274*/, v201 :: v_dual_mov_b32 v19 /*v275*/, v200
	;; [unrolled: 2-line block ×4, first 2 shown]
	s_wait_loadcnt_dscnt 0x130d
	s_set_vgpr_msb 0                        ;  msbs: dst=0 src0=0 src1=0 src2=0
	v_dual_mul_f32 v7, v214, v119 :: v_dual_mul_f32 v9, v216, v121
	s_wait_loadcnt_dscnt 0x120c
	v_dual_mul_f32 v63, v215, v119 :: v_dual_mul_f32 v69, v221, v125
	v_dual_mul_f32 v11, v218, v123 :: v_dual_mul_f32 v13, v220, v125
	s_delay_alu instid0(VALU_DEP_3)
	v_dual_fmac_f32 v7, v215, v118 :: v_dual_fmac_f32 v9, v217, v120
	v_dual_mul_f32 v65, v217, v121 :: v_dual_mul_f32 v67, v219, v123
	s_wait_loadcnt_dscnt 0x903
	v_dual_mul_f32 v73, v225, v129 :: v_dual_mul_f32 v47, v254, v159
	v_dual_mul_f32 v71, v223, v127 :: v_dual_fma_f32 v63, v214, v118, -v63
	s_wait_loadcnt_dscnt 0x600
	s_set_vgpr_msb 1                        ;  msbs: dst=0 src0=1 src1=0 src2=0
	v_dual_mul_f32 v61, v12 /*v268*/, v173 :: v_dual_add_f32 v7, 0, v7
	s_set_vgpr_msb 0                        ;  msbs: dst=0 src0=0 src1=0 src2=0
	v_dual_mul_f32 v75, v227, v131 :: v_dual_fma_f32 v65, v216, v120, -v65
	v_dual_add_f32 v63, 0, v63 :: v_dual_mul_f32 v77, v229, v133
	v_dual_fmac_f32 v11, v219, v122 :: v_dual_fmac_f32 v13, v221, v124
	v_dual_fma_f32 v67, v218, v122, -v67 :: v_dual_add_f32 v7, v7, v9
	v_dual_mul_f32 v15, v222, v127 :: v_dual_mul_f32 v17, v224, v129
	s_delay_alu instid0(VALU_DEP_4) | instskip(NEXT) | instid1(VALU_DEP_3)
	v_dual_add_f32 v9, v63, v65 :: v_dual_fma_f32 v65, v220, v124, -v69
	v_add_f32_e32 v7, v7, v11
	s_delay_alu instid0(VALU_DEP_3) | instskip(NEXT) | instid1(VALU_DEP_3)
	v_dual_fmac_f32 v15, v223, v126 :: v_dual_mul_f32 v19, v226, v131
	v_dual_mul_f32 v21, v228, v133 :: v_dual_add_f32 v9, v9, v67
	s_delay_alu instid0(VALU_DEP_3) | instskip(SKIP_1) | instid1(VALU_DEP_3)
	v_dual_fma_f32 v67, v222, v126, -v71 :: v_dual_add_f32 v7, v7, v13
	v_dual_fmac_f32 v17, v225, v128 :: v_dual_mul_f32 v13, v235, v139
	v_dual_add_f32 v9, v9, v65 :: v_dual_fma_f32 v65, v224, v128, -v73
	s_delay_alu instid0(VALU_DEP_3) | instskip(SKIP_1) | instid1(VALU_DEP_3)
	v_add_f32_e32 v7, v7, v15
	v_dual_fmac_f32 v19, v227, v130 :: v_dual_mul_f32 v23, v230, v135
	v_dual_mul_f32 v25, v232, v137 :: v_dual_add_f32 v9, v9, v67
	s_delay_alu instid0(VALU_DEP_3) | instskip(SKIP_1) | instid1(VALU_DEP_3)
	v_dual_add_f32 v7, v7, v17 :: v_dual_fmac_f32 v21, v229, v132
	v_dual_mul_f32 v15, v237, v141 :: v_dual_fma_f32 v67, v226, v130, -v75
	v_dual_add_f32 v9, v9, v65 :: v_dual_mul_f32 v17, v239, v143
	s_delay_alu instid0(VALU_DEP_3) | instskip(SKIP_1) | instid1(VALU_DEP_3)
	v_dual_fma_f32 v65, v228, v132, -v77 :: v_dual_add_f32 v7, v7, v19
	v_dual_mul_f32 v63, v231, v135 :: v_dual_mul_f32 v11, v233, v137
	v_dual_add_f32 v9, v9, v67 :: v_dual_fmac_f32 v23, v231, v134
	s_delay_alu instid0(VALU_DEP_3) | instskip(SKIP_1) | instid1(VALU_DEP_4)
	v_dual_add_f32 v7, v7, v21 :: v_dual_fmac_f32 v25, v233, v136
	v_dual_mul_f32 v27, v234, v139 :: v_dual_mul_f32 v29, v236, v141
	v_dual_mul_f32 v19, v241, v145 :: v_dual_fma_f32 v63, v230, v134, -v63
	s_delay_alu instid0(VALU_DEP_4) | instskip(NEXT) | instid1(VALU_DEP_4)
	v_dual_add_f32 v9, v9, v65 :: v_dual_mul_f32 v21, v243, v147
	v_dual_fma_f32 v11, v232, v136, -v11 :: v_dual_add_f32 v7, v7, v23
	s_delay_alu instid0(VALU_DEP_2) | instskip(SKIP_1) | instid1(VALU_DEP_3)
	v_dual_fmac_f32 v27, v235, v138 :: v_dual_add_f32 v9, v9, v63
	v_dual_mul_f32 v31, v238, v143 :: v_dual_mul_f32 v33, v240, v145
	v_add_f32_e32 v7, v7, v25
	v_dual_mul_f32 v23, v245, v149 :: v_dual_fma_f32 v13, v234, v138, -v13
	s_delay_alu instid0(VALU_DEP_4) | instskip(SKIP_1) | instid1(VALU_DEP_4)
	v_add_f32_e32 v9, v9, v11
	v_dual_mul_f32 v11, v247, v151 :: v_dual_fmac_f32 v29, v237, v140
	v_dual_fma_f32 v15, v236, v140, -v15 :: v_dual_add_f32 v7, v7, v27
	s_delay_alu instid0(VALU_DEP_3) | instskip(SKIP_1) | instid1(VALU_DEP_2)
	v_dual_add_f32 v9, v9, v13 :: v_dual_fmac_f32 v31, v239, v142
	v_dual_mul_f32 v35, v242, v147 :: v_dual_mul_f32 v37, v244, v149
	v_dual_add_f32 v7, v7, v29 :: v_dual_add_f32 v9, v9, v15
	v_dual_mul_f32 v13, v249, v153 :: v_dual_fma_f32 v17, v238, v142, -v17
	v_dual_mul_f32 v15, v251, v155 :: v_dual_fmac_f32 v33, v241, v144
	s_delay_alu instid0(VALU_DEP_3) | instskip(NEXT) | instid1(VALU_DEP_3)
	v_dual_fma_f32 v19, v240, v144, -v19 :: v_dual_add_f32 v7, v7, v31
	v_dual_add_f32 v9, v9, v17 :: v_dual_fmac_f32 v35, v243, v146
	v_dual_mul_f32 v39, v246, v151 :: v_dual_mul_f32 v41, v248, v153
	s_delay_alu instid0(VALU_DEP_2) | instskip(SKIP_2) | instid1(VALU_DEP_3)
	v_dual_add_f32 v7, v7, v33 :: v_dual_add_f32 v9, v9, v19
	v_dual_mul_f32 v17, v253, v157 :: v_dual_fma_f32 v21, v242, v146, -v21
	v_dual_mul_f32 v19, v255, v159 :: v_dual_fmac_f32 v37, v245, v148
	v_dual_fma_f32 v23, v244, v148, -v23 :: v_dual_add_f32 v7, v7, v35
	s_delay_alu instid0(VALU_DEP_3) | instskip(SKIP_2) | instid1(VALU_DEP_3)
	v_dual_add_f32 v9, v9, v21 :: v_dual_fmac_f32 v39, v247, v150
	v_fma_f32 v11, v246, v150, -v11
	v_dual_mul_f32 v43, v250, v155 :: v_dual_mul_f32 v45, v252, v157
	v_dual_add_f32 v7, v7, v37 :: v_dual_add_f32 v9, v9, v23
	v_fma_f32 v13, v248, v152, -v13
	s_delay_alu instid0(VALU_DEP_3) | instskip(NEXT) | instid1(VALU_DEP_3)
	v_dual_fmac_f32 v41, v249, v152 :: v_dual_fmac_f32 v43, v251, v154
	v_add_f32_e32 v7, v7, v39
	s_delay_alu instid0(VALU_DEP_4)
	v_dual_add_f32 v9, v9, v11 :: v_dual_fma_f32 v15, v250, v154, -v15
	s_set_vgpr_msb 1                        ;  msbs: dst=0 src0=1 src1=0 src2=0
	v_dual_mul_f32 v49, v0 /*v256*/, v161 :: v_dual_mul_f32 v51, v2 /*v258*/, v163
	s_set_vgpr_msb 0                        ;  msbs: dst=0 src0=0 src1=0 src2=0
	v_add_f32_e32 v7, v7, v41
	v_dual_add_f32 v9, v9, v13 :: v_dual_fma_f32 v17, v252, v156, -v17
	v_dual_fmac_f32 v45, v253, v156 :: v_dual_fmac_f32 v47, v255, v158
	s_delay_alu instid0(VALU_DEP_3) | instskip(NEXT) | instid1(VALU_DEP_3)
	v_add_f32_e32 v7, v7, v43
	v_dual_add_f32 v9, v9, v15 :: v_dual_fma_f32 v19, v254, v158, -v19
	s_set_vgpr_msb 1                        ;  msbs: dst=0 src0=1 src1=0 src2=0
	v_dual_mul_f32 v21, v1 /*v257*/, v161 :: v_dual_mul_f32 v23, v3 /*v259*/, v163
	s_set_vgpr_msb 0                        ;  msbs: dst=0 src0=0 src1=0 src2=0
	v_add_f32_e32 v7, v7, v45
	v_add_f32_e32 v9, v9, v17
	s_set_vgpr_msb 1                        ;  msbs: dst=0 src0=1 src1=0 src2=0
	v_dual_fmac_f32 v49, v1 /*v257*/, v160 :: v_dual_fmac_f32 v51, v3 /*v259*/, v162
	v_dual_mul_f32 v53, v4 /*v260*/, v165 :: v_dual_mul_f32 v55, v6 /*v262*/, v167
	s_set_vgpr_msb 0                        ;  msbs: dst=0 src0=0 src1=0 src2=0
	v_add_f32_e32 v7, v7, v47
	s_set_vgpr_msb 1                        ;  msbs: dst=0 src0=1 src1=0 src2=0
	v_fma_f32 v21, v0 /*v256*/, v160, -v21
	s_set_vgpr_msb 0                        ;  msbs: dst=0 src0=0 src1=0 src2=0
	v_add_f32_e32 v9, v9, v19
	s_set_vgpr_msb 1                        ;  msbs: dst=0 src0=1 src1=0 src2=0
	v_dual_mul_f32 v11, v5 /*v261*/, v165 :: v_dual_mul_f32 v13, v7 /*v263*/, v167
	s_set_vgpr_msb 0                        ;  msbs: dst=0 src0=0 src1=0 src2=0
	v_add_f32_e32 v7, v7, v49
	s_set_vgpr_msb 1                        ;  msbs: dst=0 src0=1 src1=0 src2=0
	v_dual_mul_f32 v19, v13 /*v269*/, v173 :: v_dual_fma_f32 v23, v2 /*v258*/, v162, -v23
	v_fmac_f32_e32 v53, v5 /*v261*/, v164
	s_wait_loadcnt 0x5
	s_set_vgpr_msb 0                        ;  msbs: dst=0 src0=0 src1=0 src2=0
	v_dual_add_f32 v9, v9, v21 :: v_dual_mul_f32 v21, v203, v175
	v_add_f32_e32 v7, v7, v51
	s_set_vgpr_msb 1                        ;  msbs: dst=0 src0=1 src1=0 src2=0
	v_dual_mul_f32 v57, v8 /*v264*/, v169 :: v_dual_mul_f32 v59, v10 /*v266*/, v171
	v_dual_fma_f32 v11, v4 /*v260*/, v164, -v11 :: v_dual_fma_f32 v13, v6 /*v262*/, v166, -v13
	s_set_vgpr_msb 0                        ;  msbs: dst=0 src0=0 src1=0 src2=0
	v_add_f32_e32 v9, v9, v23
	v_mul_f32_e32 v23, v205, v177
	s_set_vgpr_msb 1                        ;  msbs: dst=0 src0=1 src1=0 src2=0
	v_dual_fmac_f32 v55, v7 /*v263*/, v166 :: v_dual_fmac_f32 v57, v9 /*v265*/, v168
	s_set_vgpr_msb 0                        ;  msbs: dst=0 src0=0 src1=0 src2=0
	v_add_f32_e32 v7, v7, v53
	s_set_vgpr_msb 1                        ;  msbs: dst=0 src0=1 src1=0 src2=0
	v_dual_mul_f32 v15, v9 /*v265*/, v169 :: v_dual_mul_f32 v17, v11 /*v267*/, v171
	v_dual_fmac_f32 v59, v11 /*v267*/, v170 :: v_dual_fmac_f32 v61, v13 /*v269*/, v172
	s_set_vgpr_msb 0                        ;  msbs: dst=0 src0=0 src1=0 src2=0
	v_add_f32_e32 v7, v7, v55
	v_add_f32_e32 v9, v9, v11
	s_set_vgpr_msb 1                        ;  msbs: dst=0 src0=1 src1=0 src2=0
	v_fma_f32 v11, v8 /*v264*/, v168, -v15
	s_set_vgpr_msb 64                       ;  msbs: dst=1 src0=0 src1=0 src2=0
	v_dual_mul_f32 v25 /*v281*/, v202, v175 :: v_dual_mul_f32 v27 /*v283*/, v204, v177
	s_set_vgpr_msb 0                        ;  msbs: dst=0 src0=0 src1=0 src2=0
	v_add_f32_e32 v7, v7, v57
	v_add_f32_e32 v9, v9, v13
	s_wait_loadcnt 0x4
	v_mov_b32_e32 v120, v181
	s_set_vgpr_msb 1                        ;  msbs: dst=0 src0=1 src1=0 src2=0
	v_fma_f32 v13, v10 /*v266*/, v170, -v17
	s_set_vgpr_msb 0                        ;  msbs: dst=0 src0=0 src1=0 src2=0
	v_pk_mul_f32 v[118:119], v[194:195], v[178:179] op_sel:[1,1] op_sel_hi:[0,1]
	v_add_f32_e32 v7, v7, v59
	v_add_f32_e32 v9, v9, v11
	s_set_vgpr_msb 1                        ;  msbs: dst=0 src0=1 src1=0 src2=0
	v_fma_f32 v11, v12 /*v268*/, v172, -v19
	s_set_vgpr_msb 64                       ;  msbs: dst=1 src0=0 src1=0 src2=0
	v_dual_fmac_f32 v25 /*v281*/, v203, v174 :: v_dual_fmac_f32 v27 /*v283*/, v205, v176
	s_set_vgpr_msb 0                        ;  msbs: dst=0 src0=0 src1=0 src2=0
	v_add_f32_e32 v127, v7, v61
	v_add_f32_e32 v9, v9, v13
	s_set_vgpr_msb 64                       ;  msbs: dst=1 src0=0 src1=0 src2=0
	v_dual_fma_f32 v24 /*v280*/, v202, v174, -v21 :: v_dual_fma_f32 v26 /*v282*/, v204, v176, -v23
	s_set_vgpr_msb 0                        ;  msbs: dst=0 src0=0 src1=0 src2=0
	v_pk_fma_f32 v[128:129], v[194:195], v[178:179], v[118:119] op_sel_hi:[1,0,1]
	s_set_vgpr_msb 1                        ;  msbs: dst=0 src0=1 src1=0 src2=0
	v_pk_mul_f32 v[120:121], v[16:17] /*v[272:273]*/, v[120:121] op_sel_hi:[1,0]
	s_set_vgpr_msb 0                        ;  msbs: dst=0 src0=0 src1=0 src2=0
	v_add_f32_e32 v126, v9, v11
	v_pk_fma_f32 v[118:119], v[194:195], v[178:179], v[118:119] neg_lo:[0,0,1] neg_hi:[0,0,1]
	s_wait_loadcnt 0x3
	v_pk_mul_f32 v[122:123], v[198:199], v[182:183] op_sel:[1,1] op_sel_hi:[0,1]
	v_dual_mov_b32 v124, v185 :: v_dual_mov_b32 v119, v129
	s_set_vgpr_msb 4                        ;  msbs: dst=0 src0=0 src1=1 src2=0
	v_pk_add_f32 v[126:127], v[126:127], v[24:25] /*v[280:281]*/
	s_set_vgpr_msb 0                        ;  msbs: dst=0 src0=0 src1=0 src2=0
	v_pk_fma_f32 v[128:129], v[196:197], v[180:181], v[120:121] op_sel_hi:[1,0,1]
	v_pk_fma_f32 v[120:121], v[196:197], v[180:181], v[120:121] neg_lo:[0,0,1] neg_hi:[0,0,1]
	v_pk_fma_f32 v[132:133], v[198:199], v[182:183], v[122:123] op_sel_hi:[1,0,1]
	s_set_vgpr_msb 1                        ;  msbs: dst=0 src0=1 src1=0 src2=0
	v_pk_mul_f32 v[124:125], v[18:19] /*v[274:275]*/, v[124:125] op_sel_hi:[1,0]
	s_set_vgpr_msb 4                        ;  msbs: dst=0 src0=0 src1=1 src2=0
	v_pk_add_f32 v[126:127], v[126:127], v[26:27] /*v[282:283]*/
	v_mov_b32_e32 v121, v129
	s_wait_loadcnt 0x2
	s_set_vgpr_msb 0                        ;  msbs: dst=0 src0=0 src1=0 src2=0
	v_pk_mul_f32 v[130:131], v[206:207], v[186:187] op_sel:[1,1] op_sel_hi:[0,1]
	v_pk_fma_f32 v[122:123], v[198:199], v[182:183], v[122:123] neg_lo:[0,0,1] neg_hi:[0,0,1]
	v_pk_fma_f32 v[128:129], v[200:201], v[184:185], v[124:125] op_sel_hi:[1,0,1]
	v_pk_add_f32 v[118:119], v[126:127], v[118:119]
	v_dual_mov_b32 v126, v189 :: v_dual_mov_b32 v123, v133
	v_pk_fma_f32 v[124:125], v[200:201], v[184:185], v[124:125] neg_lo:[0,0,1] neg_hi:[0,0,1]
	s_delay_alu instid0(VALU_DEP_4) | instskip(NEXT) | instid1(VALU_DEP_4)
	v_mov_b32_e32 v125, v129
	v_pk_add_f32 v[118:119], v[118:119], v[120:121]
	v_pk_fma_f32 v[120:121], v[206:207], v[186:187], v[130:131] op_sel_hi:[1,0,1]
	s_set_vgpr_msb 1                        ;  msbs: dst=0 src0=1 src1=0 src2=0
	v_pk_mul_f32 v[126:127], v[20:21] /*v[276:277]*/, v[126:127] op_sel_hi:[1,0]
	s_set_vgpr_msb 0                        ;  msbs: dst=0 src0=0 src1=0 src2=0
	v_pk_fma_f32 v[128:129], v[206:207], v[186:187], v[130:131] neg_lo:[0,0,1] neg_hi:[0,0,1]
	v_pk_add_f32 v[118:119], v[118:119], v[122:123]
	v_mov_b32_e32 v129, v121
	v_pk_fma_f32 v[120:121], v[208:209], v[188:189], v[126:127] op_sel_hi:[1,0,1]
	s_wait_loadcnt 0x1
	v_pk_mul_f32 v[122:123], v[210:211], v[190:191] op_sel:[1,1] op_sel_hi:[0,1]
	v_mov_b32_e32 v120, v193
	v_pk_add_f32 v[118:119], v[118:119], v[124:125]
	v_pk_fma_f32 v[126:127], v[208:209], v[188:189], v[126:127] neg_lo:[0,0,1] neg_hi:[0,0,1]
	s_delay_alu instid0(VALU_DEP_4) | instskip(SKIP_1) | instid1(VALU_DEP_4)
	v_pk_fma_f32 v[124:125], v[210:211], v[190:191], v[122:123] op_sel_hi:[1,0,1]
	v_mov_b32_e32 v127, v121
	v_pk_add_f32 v[118:119], v[118:119], v[128:129]
	s_set_vgpr_msb 1                        ;  msbs: dst=0 src0=1 src1=0 src2=0
	v_pk_mul_f32 v[120:121], v[22:23] /*v[278:279]*/, v[120:121] op_sel_hi:[1,0]
	s_set_vgpr_msb 0                        ;  msbs: dst=0 src0=0 src1=0 src2=0
	v_pk_fma_f32 v[122:123], v[210:211], v[190:191], v[122:123] neg_lo:[0,0,1] neg_hi:[0,0,1]
	v_mov_b32_e32 v123, v125
	v_pk_add_f32 v[118:119], v[118:119], v[126:127]
	v_pk_fma_f32 v[124:125], v[212:213], v[192:193], v[120:121] op_sel_hi:[1,0,1]
	v_pk_fma_f32 v[120:121], v[212:213], v[192:193], v[120:121] neg_lo:[0,0,1] neg_hi:[0,0,1]
	s_delay_alu instid0(VALU_DEP_3) | instskip(NEXT) | instid1(VALU_DEP_3)
	v_pk_add_f32 v[118:119], v[118:119], v[122:123]
	v_mov_b32_e32 v121, v125
	s_delay_alu instid0(VALU_DEP_1) | instskip(SKIP_2) | instid1(VALU_DEP_1)
	v_pk_add_f32 v[118:119], v[118:119], v[120:121]
	s_wait_loadcnt 0x0
	s_set_vgpr_msb 1                        ;  msbs: dst=0 src0=1 src1=0 src2=0
	v_pk_add_f32 v[118:119], v[14:15] /*v[270:271]*/, v[118:119] neg_lo:[0,1] neg_hi:[0,1]
	scratch_store_b64 off, v[118:119], off offset:152
	s_wait_xcnt 0x0
	v_cmpx_lt_u32_e32 18, v0
	s_set_vgpr_msb 0                        ;  msbs: dst=0 src0=0 src1=0 src2=0
	s_cbranch_execz .LBB57_325
; %bb.324:
	scratch_load_b64 v[118:119], off, off offset:144
	v_mov_b64_e32 v[120:121], 0
	scratch_store_b64 off, v[120:121], off offset:144
	s_wait_loadcnt 0x0
	ds_store_b64 v1, v[118:119]
.LBB57_325:
	s_wait_xcnt 0x0
	s_or_b32 exec_lo, exec_lo, s0
	s_wait_storecnt_dscnt 0x0
	s_barrier_signal -1
	s_barrier_wait -1
	s_clause 0xf
	scratch_load_b128 v[122:125], off, off offset:152
	scratch_load_b128 v[130:133], off, off offset:168
	;; [unrolled: 1-line block ×16, first 2 shown]
	v_mov_b32_e32 v7, 0
	s_mov_b32 s0, exec_lo
	ds_load_2addr_b64 v[118:121], v7 offset0:77 offset1:78
	ds_load_2addr_b64 v[126:129], v7 offset0:79 offset1:80
	s_wait_loadcnt_dscnt 0xf01
	v_dual_mul_f32 v9, v118, v123 :: v_dual_mul_f32 v11, v120, v125
	ds_load_2addr_b64 v[134:137], v7 offset0:81 offset1:82
	ds_load_2addr_b64 v[142:145], v7 offset0:83 offset1:84
	;; [unrolled: 1-line block ×4, first 2 shown]
	v_dual_fmac_f32 v9, v119, v122 :: v_dual_fmac_f32 v11, v121, v124
	ds_load_2addr_b64 v[150:153], v7 offset0:85 offset1:86
	ds_load_2addr_b64 v[158:161], v7 offset0:87 offset1:88
	ds_load_2addr_b64 v[166:169], v7 offset0:89 offset1:90
	ds_load_2addr_b64 v[174:177], v7 offset0:91 offset1:92
	v_add_f32_e32 v9, 0, v9
	ds_load_2addr_b64 v[182:185], v7 offset0:93 offset1:94
	ds_load_2addr_b64 v[190:193], v7 offset0:95 offset1:96
	;; [unrolled: 1-line block ×4, first 2 shown]
	v_add_f32_e32 v9, v9, v11
	s_wait_loadcnt_dscnt 0xe0c
	v_mul_f32_e32 v11, v126, v131
	ds_load_2addr_b64 v[214:217], v7 offset0:101 offset1:102
	ds_load_2addr_b64 v[222:225], v7 offset0:103 offset1:104
	s_clause 0x4
	scratch_load_b128 v[246:249], off, off offset:408
	scratch_load_b128 v[250:253], off, off offset:424
	;; [unrolled: 1-line block ×3, first 2 shown]
	s_set_vgpr_msb 64                       ;  msbs: dst=1 src0=0 src1=0 src2=0
	scratch_load_b64 v[8:9] /*v[264:265]*/, off, off offset:456
	s_set_vgpr_msb 0                        ;  msbs: dst=0 src0=0 src1=0 src2=0
	v_fmac_f32_e32 v11, v127, v130
	s_wait_loadcnt_dscnt 0x40a
	s_set_vgpr_msb 64                       ;  msbs: dst=1 src0=0 src1=0 src2=0
	v_dual_mul_f32 v5 /*v261*/, v232, v237 :: v_dual_mul_f32 v7 /*v263*/, v238, v243
	s_set_vgpr_msb 0                        ;  msbs: dst=0 src0=0 src1=0 src2=0
	v_dual_add_f32 v9, v9, v11 :: v_dual_mul_f32 v11, v128, v133
	s_set_vgpr_msb 64                       ;  msbs: dst=1 src0=0 src1=0 src2=0
	s_delay_alu instid0(VALU_DEP_2) | instskip(SKIP_1) | instid1(VALU_DEP_2)
	v_fmac_f32_e32 v5 /*v261*/, v233, v236
	s_set_vgpr_msb 0                        ;  msbs: dst=0 src0=0 src1=0 src2=0
	v_fmac_f32_e32 v11, v129, v132
	s_delay_alu instid0(VALU_DEP_1) | instskip(SKIP_1) | instid1(VALU_DEP_1)
	v_add_f32_e32 v9, v9, v11
	v_mul_f32_e32 v11, v134, v139
	v_fmac_f32_e32 v11, v135, v138
	s_delay_alu instid0(VALU_DEP_1) | instskip(NEXT) | instid1(VALU_DEP_1)
	v_dual_add_f32 v9, v9, v11 :: v_dual_mul_f32 v11, v136, v141
	v_fmac_f32_e32 v11, v137, v140
	s_delay_alu instid0(VALU_DEP_1) | instskip(SKIP_1) | instid1(VALU_DEP_1)
	v_add_f32_e32 v9, v9, v11
	v_mul_f32_e32 v11, v142, v147
	v_fmac_f32_e32 v11, v143, v146
	s_delay_alu instid0(VALU_DEP_1) | instskip(NEXT) | instid1(VALU_DEP_1)
	v_dual_add_f32 v9, v9, v11 :: v_dual_mul_f32 v11, v144, v149
	v_fmac_f32_e32 v11, v145, v148
	s_delay_alu instid0(VALU_DEP_1) | instskip(SKIP_2) | instid1(VALU_DEP_1)
	v_add_f32_e32 v9, v9, v11
	s_wait_dscnt 0x9
	v_mul_f32_e32 v11, v150, v155
	v_fmac_f32_e32 v11, v151, v154
	s_delay_alu instid0(VALU_DEP_1) | instskip(NEXT) | instid1(VALU_DEP_1)
	v_dual_add_f32 v9, v9, v11 :: v_dual_mul_f32 v11, v152, v157
	v_fmac_f32_e32 v11, v153, v156
	s_delay_alu instid0(VALU_DEP_1) | instskip(SKIP_2) | instid1(VALU_DEP_1)
	v_add_f32_e32 v9, v9, v11
	s_wait_dscnt 0x8
	;; [unrolled: 8-line block ×10, first 2 shown]
	v_mul_f32_e32 v11, v222, v227
	v_fmac_f32_e32 v11, v223, v226
	s_delay_alu instid0(VALU_DEP_1) | instskip(NEXT) | instid1(VALU_DEP_1)
	v_dual_add_f32 v9, v9, v11 :: v_dual_mul_f32 v11, v224, v229
	v_fmac_f32_e32 v11, v225, v228
	s_delay_alu instid0(VALU_DEP_1) | instskip(SKIP_1) | instid1(VALU_DEP_1)
	v_add_f32_e32 v9, v9, v11
	v_mul_f32_e32 v11, v230, v235
	v_fmac_f32_e32 v11, v231, v234
	s_set_vgpr_msb 64                       ;  msbs: dst=1 src0=0 src1=0 src2=0
	s_delay_alu instid0(VALU_DEP_1) | instskip(SKIP_2) | instid1(VALU_DEP_1)
	v_add_f32_e32 v3 /*v259*/, v9, v11
	s_set_vgpr_msb 0                        ;  msbs: dst=0 src0=0 src1=0 src2=0
	v_dual_mul_f32 v9, v119, v123 :: v_dual_mul_f32 v11, v121, v125
	v_dual_fma_f32 v9, v118, v122, -v9 :: v_dual_fma_f32 v11, v120, v124, -v11
	s_delay_alu instid0(VALU_DEP_1) | instskip(NEXT) | instid1(VALU_DEP_1)
	v_add_f32_e32 v9, 0, v9
	v_add_f32_e32 v9, v9, v11
	v_mul_f32_e32 v11, v127, v131
	s_delay_alu instid0(VALU_DEP_1) | instskip(NEXT) | instid1(VALU_DEP_1)
	v_fma_f32 v11, v126, v130, -v11
	v_add_f32_e32 v9, v9, v11
	v_mul_f32_e32 v11, v129, v133
	s_delay_alu instid0(VALU_DEP_1)
	v_fma_f32 v11, v128, v132, -v11
	ds_load_2addr_b64 v[118:121], v7 offset0:109 offset1:110
	ds_load_2addr_b64 v[122:125], v7 offset0:111 offset1:112
	;; [unrolled: 1-line block ×3, first 2 shown]
	ds_load_b64 v[130:131], v7 offset:920
	v_add_f32_e32 v9, v9, v11
	v_dual_mul_f32 v11, v135, v139 :: v_dual_mov_b32 v135, v240
	s_delay_alu instid0(VALU_DEP_1) | instskip(NEXT) | instid1(VALU_DEP_1)
	v_dual_fma_f32 v11, v134, v138, -v11 :: v_dual_mov_b32 v134, v241
	v_add_f32_e32 v9, v9, v11
	v_mul_f32_e32 v11, v137, v141
	s_delay_alu instid0(VALU_DEP_1) | instskip(NEXT) | instid1(VALU_DEP_1)
	v_dual_fma_f32 v11, v136, v140, -v11 :: v_dual_mov_b32 v136, v245
	v_add_f32_e32 v9, v9, v11
	v_mul_f32_e32 v11, v143, v147
	s_delay_alu instid0(VALU_DEP_3) | instskip(NEXT) | instid1(VALU_DEP_2)
	v_pk_mul_f32 v[134:135], v[134:135], v[136:137] op_sel_hi:[1,0]
	v_fma_f32 v11, v142, v146, -v11
	s_delay_alu instid0(VALU_DEP_2) | instskip(SKIP_1) | instid1(VALU_DEP_3)
	v_pk_fma_f32 v[136:137], v[240:241], v[244:245], v[134:135] neg_lo:[0,0,1] neg_hi:[0,0,1]
	v_pk_fma_f32 v[134:135], v[240:241], v[244:245], v[134:135] op_sel_hi:[1,0,1]
	v_add_f32_e32 v9, v9, v11
	s_delay_alu instid0(VALU_DEP_2) | instskip(SKIP_2) | instid1(VALU_DEP_2)
	v_dual_mul_f32 v11, v145, v149 :: v_dual_mov_b32 v137, v135
	s_wait_loadcnt_dscnt 0x303
	v_pk_mul_f32 v[134:135], v[118:119], v[246:247] op_sel:[1,1] op_sel_hi:[0,1]
	v_fma_f32 v11, v144, v148, -v11
	s_delay_alu instid0(VALU_DEP_1) | instskip(SKIP_1) | instid1(VALU_DEP_1)
	v_add_f32_e32 v9, v9, v11
	v_mul_f32_e32 v11, v151, v155
	v_fma_f32 v11, v150, v154, -v11
	s_delay_alu instid0(VALU_DEP_1) | instskip(SKIP_1) | instid1(VALU_DEP_1)
	v_add_f32_e32 v9, v9, v11
	v_mul_f32_e32 v11, v153, v157
	;; [unrolled: 4-line block ×21, first 2 shown]
	v_fma_f32 v11, v230, v234, -v11
	s_set_vgpr_msb 64                       ;  msbs: dst=1 src0=0 src1=0 src2=0
	s_delay_alu instid0(VALU_DEP_1) | instskip(SKIP_3) | instid1(VALU_DEP_1)
	v_dual_fmac_f32 v7 /*v263*/, v239, v242 :: v_dual_add_f32 v2 /*v258*/, v9, v11
	s_set_vgpr_msb 0                        ;  msbs: dst=0 src0=0 src1=0 src2=0
	v_mul_f32_e32 v9, v233, v237
	s_set_vgpr_msb 64                       ;  msbs: dst=1 src0=0 src1=0 src2=0
	v_fma_f32 v4 /*v260*/, v232, v236, -v9
	s_set_vgpr_msb 0                        ;  msbs: dst=0 src0=0 src1=0 src2=0
	v_mul_f32_e32 v9, v239, v243
	s_set_vgpr_msb 64                       ;  msbs: dst=1 src0=0 src1=0 src2=0
	s_delay_alu instid0(VALU_DEP_1) | instskip(SKIP_3) | instid1(VALU_DEP_1)
	v_fma_f32 v6 /*v262*/, v238, v242, -v9
	s_set_vgpr_msb 5                        ;  msbs: dst=0 src0=1 src1=1 src2=0
	v_pk_add_f32 v[132:133], v[2:3] /*v[258:259]*/, v[4:5] /*v[260:261]*/
	s_set_vgpr_msb 4                        ;  msbs: dst=0 src0=0 src1=1 src2=0
	v_pk_add_f32 v[132:133], v[132:133], v[6:7] /*v[262:263]*/
	s_set_vgpr_msb 0                        ;  msbs: dst=0 src0=0 src1=0 src2=0
	s_delay_alu instid0(VALU_DEP_1) | instskip(SKIP_2) | instid1(VALU_DEP_1)
	v_pk_add_f32 v[132:133], v[132:133], v[136:137]
	v_pk_fma_f32 v[136:137], v[118:119], v[246:247], v[134:135] neg_lo:[0,0,1] neg_hi:[0,0,1]
	v_pk_fma_f32 v[118:119], v[118:119], v[246:247], v[134:135] op_sel_hi:[1,0,1]
	v_dual_mov_b32 v134, v249 :: v_dual_mov_b32 v137, v119
	s_delay_alu instid0(VALU_DEP_1) | instskip(SKIP_1) | instid1(VALU_DEP_1)
	v_pk_add_f32 v[118:119], v[132:133], v[136:137]
	v_dual_mov_b32 v132, v121 :: v_dual_mov_b32 v133, v120
	v_pk_mul_f32 v[132:133], v[132:133], v[134:135] op_sel_hi:[1,0]
	s_delay_alu instid0(VALU_DEP_1) | instskip(SKIP_1) | instid1(VALU_DEP_1)
	v_pk_fma_f32 v[134:135], v[120:121], v[248:249], v[132:133] neg_lo:[0,0,1] neg_hi:[0,0,1]
	v_pk_fma_f32 v[120:121], v[120:121], v[248:249], v[132:133] op_sel_hi:[1,0,1]
	v_mov_b32_e32 v135, v121
	s_wait_loadcnt_dscnt 0x202
	v_pk_mul_f32 v[120:121], v[122:123], v[250:251] op_sel:[1,1] op_sel_hi:[0,1]
	s_delay_alu instid0(VALU_DEP_2) | instskip(NEXT) | instid1(VALU_DEP_2)
	v_pk_add_f32 v[118:119], v[118:119], v[134:135]
	v_pk_fma_f32 v[132:133], v[122:123], v[250:251], v[120:121] neg_lo:[0,0,1] neg_hi:[0,0,1]
	v_pk_fma_f32 v[120:121], v[122:123], v[250:251], v[120:121] op_sel_hi:[1,0,1]
	v_dual_mov_b32 v120, v125 :: v_dual_mov_b32 v122, v253
	s_delay_alu instid0(VALU_DEP_2) | instskip(NEXT) | instid1(VALU_DEP_1)
	v_dual_mov_b32 v133, v121 :: v_dual_mov_b32 v121, v124
	v_pk_add_f32 v[118:119], v[118:119], v[132:133]
	s_delay_alu instid0(VALU_DEP_2) | instskip(NEXT) | instid1(VALU_DEP_1)
	v_pk_mul_f32 v[120:121], v[120:121], v[122:123] op_sel_hi:[1,0]
	v_pk_fma_f32 v[122:123], v[124:125], v[252:253], v[120:121] neg_lo:[0,0,1] neg_hi:[0,0,1]
	v_pk_fma_f32 v[120:121], v[124:125], v[252:253], v[120:121] op_sel_hi:[1,0,1]
	s_delay_alu instid0(VALU_DEP_1) | instskip(SKIP_2) | instid1(VALU_DEP_2)
	v_mov_b32_e32 v123, v121
	s_wait_loadcnt_dscnt 0x101
	v_pk_mul_f32 v[120:121], v[126:127], v[254:255] op_sel:[1,1] op_sel_hi:[0,1]
	v_pk_add_f32 v[118:119], v[118:119], v[122:123]
	s_delay_alu instid0(VALU_DEP_2) | instskip(SKIP_1) | instid1(VALU_DEP_1)
	v_pk_fma_f32 v[122:123], v[126:127], v[254:255], v[120:121] neg_lo:[0,0,1] neg_hi:[0,0,1]
	v_pk_fma_f32 v[120:121], v[126:127], v[254:255], v[120:121] op_sel_hi:[1,0,1]
	v_dual_mov_b32 v120, v129 :: v_dual_mov_b32 v123, v121
	v_mov_b32_e32 v121, v128
	s_delay_alu instid0(VALU_DEP_2) | instskip(SKIP_3) | instid1(VALU_DEP_1)
	v_pk_add_f32 v[118:119], v[118:119], v[122:123]
	s_set_vgpr_msb 1                        ;  msbs: dst=0 src0=1 src1=0 src2=0
	v_mov_b32_e32 v122, v1 /*v257*/
	s_set_vgpr_msb 0                        ;  msbs: dst=0 src0=0 src1=0 src2=0
	v_pk_mul_f32 v[120:121], v[120:121], v[122:123] op_sel_hi:[1,0]
	s_set_vgpr_msb 4                        ;  msbs: dst=0 src0=0 src1=1 src2=0
	s_delay_alu instid0(VALU_DEP_1) | instskip(SKIP_1) | instid1(VALU_DEP_1)
	v_pk_fma_f32 v[122:123], v[128:129], v[0:1] /*v[256:257]*/, v[120:121] neg_lo:[0,0,1] neg_hi:[0,0,1]
	v_pk_fma_f32 v[120:121], v[128:129], v[0:1] /*v[256:257]*/, v[120:121] op_sel_hi:[1,0,1]
	v_mov_b32_e32 v123, v121
	s_wait_loadcnt_dscnt 0x0
	v_pk_mul_f32 v[120:121], v[130:131], v[8:9] /*v[264:265]*/ op_sel:[1,1] op_sel_hi:[0,1]
	s_set_vgpr_msb 0                        ;  msbs: dst=0 src0=0 src1=0 src2=0
	s_delay_alu instid0(VALU_DEP_2) | instskip(SKIP_1) | instid1(VALU_DEP_2)
	v_pk_add_f32 v[118:119], v[118:119], v[122:123]
	s_set_vgpr_msb 4                        ;  msbs: dst=0 src0=0 src1=1 src2=0
	v_pk_fma_f32 v[122:123], v[130:131], v[8:9] /*v[264:265]*/, v[120:121] neg_lo:[0,0,1] neg_hi:[0,0,1]
	v_pk_fma_f32 v[120:121], v[130:131], v[8:9] /*v[264:265]*/, v[120:121] op_sel_hi:[1,0,1]
	s_delay_alu instid0(VALU_DEP_1) | instskip(SKIP_4) | instid1(VALU_DEP_1)
	v_mov_b32_e32 v123, v121
	scratch_load_b64 v[120:121], off, off offset:144
	s_set_vgpr_msb 0                        ;  msbs: dst=0 src0=0 src1=0 src2=0
	v_pk_add_f32 v[118:119], v[118:119], v[122:123]
	s_wait_loadcnt 0x0
	v_pk_add_f32 v[118:119], v[120:121], v[118:119] neg_lo:[0,1] neg_hi:[0,1]
	scratch_store_b64 off, v[118:119], off offset:144
	s_wait_xcnt 0x0
	v_cmpx_lt_u32_e32 17, v0
	s_cbranch_execz .LBB57_327
; %bb.326:
	scratch_load_b64 v[118:119], off, off offset:136
	v_mov_b64_e32 v[120:121], 0
	scratch_store_b64 off, v[120:121], off offset:136
	s_wait_loadcnt 0x0
	ds_store_b64 v1, v[118:119]
.LBB57_327:
	s_wait_xcnt 0x0
	s_or_b32 exec_lo, exec_lo, s0
	s_wait_storecnt_dscnt 0x0
	s_barrier_signal -1
	s_barrier_wait -1
	ds_load_b128 v[118:121], v7 offset:608
	ds_load_b128 v[122:125], v7 offset:624
	ds_load_b128 v[126:129], v7 offset:640
	ds_load_b128 v[130:133], v7 offset:656
	s_clause 0xf
	scratch_load_b128 v[134:137], off, off offset:144
	scratch_load_b128 v[138:141], off, off offset:160
	;; [unrolled: 1-line block ×16, first 2 shown]
	ds_load_b128 v[150:153], v7 offset:672
	ds_load_b128 v[158:161], v7 offset:688
	;; [unrolled: 1-line block ×12, first 2 shown]
	s_clause 0x4
	scratch_load_b128 v[246:249], off, off offset:400
	scratch_load_b128 v[250:253], off, off offset:416
	;; [unrolled: 1-line block ×3, first 2 shown]
	s_set_vgpr_msb 64                       ;  msbs: dst=1 src0=0 src1=0 src2=0
	scratch_load_b128 v[2:5] /*v[258:261]*/, off, off offset:448
	s_mov_b32 s0, exec_lo
	s_wait_loadcnt_dscnt 0x130f
	s_set_vgpr_msb 0                        ;  msbs: dst=0 src0=0 src1=0 src2=0
	v_dual_mul_f32 v9, v118, v135 :: v_dual_mul_f32 v11, v120, v137
	s_delay_alu instid0(VALU_DEP_1) | instskip(NEXT) | instid1(VALU_DEP_1)
	v_dual_fmac_f32 v9, v119, v134 :: v_dual_fmac_f32 v11, v121, v136
	v_add_f32_e32 v9, 0, v9
	s_delay_alu instid0(VALU_DEP_1)
	v_add_f32_e32 v9, v9, v11
	s_wait_loadcnt_dscnt 0x120e
	v_mul_f32_e32 v11, v122, v139
	s_wait_loadcnt_dscnt 0x408
	s_set_vgpr_msb 64                       ;  msbs: dst=1 src0=0 src1=0 src2=0
	v_dual_mul_f32 v9 /*v265*/, v238, v243 :: v_dual_mul_f32 v11 /*v267*/, v240, v245
	s_set_vgpr_msb 0                        ;  msbs: dst=0 src0=0 src1=0 src2=0
	v_fmac_f32_e32 v11, v123, v138
	s_set_vgpr_msb 64                       ;  msbs: dst=1 src0=0 src1=0 src2=0
	s_delay_alu instid0(VALU_DEP_2) | instskip(SKIP_1) | instid1(VALU_DEP_2)
	v_dual_fmac_f32 v9 /*v265*/, v239, v242 :: v_dual_fmac_f32 v11 /*v267*/, v241, v244
	s_set_vgpr_msb 0                        ;  msbs: dst=0 src0=0 src1=0 src2=0
	v_dual_add_f32 v9, v9, v11 :: v_dual_mul_f32 v11, v124, v141
	s_delay_alu instid0(VALU_DEP_1) | instskip(NEXT) | instid1(VALU_DEP_1)
	v_fmac_f32_e32 v11, v125, v140
	v_add_f32_e32 v9, v9, v11
	v_mul_f32_e32 v11, v126, v143
	s_delay_alu instid0(VALU_DEP_1) | instskip(NEXT) | instid1(VALU_DEP_1)
	v_fmac_f32_e32 v11, v127, v142
	v_dual_add_f32 v9, v9, v11 :: v_dual_mul_f32 v11, v128, v145
	s_delay_alu instid0(VALU_DEP_1) | instskip(NEXT) | instid1(VALU_DEP_1)
	v_fmac_f32_e32 v11, v129, v144
	v_add_f32_e32 v9, v9, v11
	v_mul_f32_e32 v11, v130, v147
	s_delay_alu instid0(VALU_DEP_1) | instskip(NEXT) | instid1(VALU_DEP_1)
	v_fmac_f32_e32 v11, v131, v146
	;; [unrolled: 7-line block ×4, first 2 shown]
	v_dual_add_f32 v9, v9, v11 :: v_dual_mul_f32 v11, v160, v165
	s_delay_alu instid0(VALU_DEP_1) | instskip(NEXT) | instid1(VALU_DEP_1)
	v_fmac_f32_e32 v11, v161, v164
	v_add_f32_e32 v9, v9, v11
	s_wait_dscnt 0x7
	v_mul_f32_e32 v11, v166, v171
	s_delay_alu instid0(VALU_DEP_1) | instskip(NEXT) | instid1(VALU_DEP_1)
	v_fmac_f32_e32 v11, v167, v170
	v_dual_add_f32 v9, v9, v11 :: v_dual_mul_f32 v11, v168, v173
	s_delay_alu instid0(VALU_DEP_1) | instskip(NEXT) | instid1(VALU_DEP_1)
	v_fmac_f32_e32 v11, v169, v172
	v_add_f32_e32 v9, v9, v11
	s_wait_dscnt 0x6
	v_mul_f32_e32 v11, v174, v179
	s_delay_alu instid0(VALU_DEP_1) | instskip(NEXT) | instid1(VALU_DEP_1)
	v_fmac_f32_e32 v11, v175, v178
	;; [unrolled: 8-line block ×8, first 2 shown]
	v_dual_add_f32 v9, v9, v11 :: v_dual_mul_f32 v11, v224, v229
	s_delay_alu instid0(VALU_DEP_1) | instskip(NEXT) | instid1(VALU_DEP_1)
	v_fmac_f32_e32 v11, v225, v228
	v_add_f32_e32 v9, v9, v11
	v_mul_f32_e32 v11, v230, v235
	s_delay_alu instid0(VALU_DEP_1) | instskip(NEXT) | instid1(VALU_DEP_1)
	v_fmac_f32_e32 v11, v231, v234
	v_dual_add_f32 v9, v9, v11 :: v_dual_mul_f32 v11, v232, v237
	s_delay_alu instid0(VALU_DEP_1) | instskip(SKIP_1) | instid1(VALU_DEP_1)
	v_fmac_f32_e32 v11, v233, v236
	s_set_vgpr_msb 64                       ;  msbs: dst=1 src0=0 src1=0 src2=0
	v_add_f32_e32 v7 /*v263*/, v9, v11
	s_set_vgpr_msb 0                        ;  msbs: dst=0 src0=0 src1=0 src2=0
	v_dual_mul_f32 v9, v119, v135 :: v_dual_mul_f32 v11, v121, v137
	s_delay_alu instid0(VALU_DEP_1) | instskip(NEXT) | instid1(VALU_DEP_1)
	v_dual_fma_f32 v9, v118, v134, -v9 :: v_dual_fma_f32 v11, v120, v136, -v11
	v_add_f32_e32 v9, 0, v9
	s_delay_alu instid0(VALU_DEP_1) | instskip(SKIP_1) | instid1(VALU_DEP_1)
	v_add_f32_e32 v9, v9, v11
	v_mul_f32_e32 v11, v123, v139
	v_fma_f32 v11, v122, v138, -v11
	s_delay_alu instid0(VALU_DEP_1) | instskip(SKIP_1) | instid1(VALU_DEP_1)
	v_add_f32_e32 v9, v9, v11
	v_mul_f32_e32 v11, v125, v141
	v_fma_f32 v11, v124, v140, -v11
	;; [unrolled: 4-line block ×6, first 2 shown]
	ds_load_b128 v[118:121], v7 offset:864
	ds_load_b128 v[122:125], v7 offset:880
	;; [unrolled: 1-line block ×4, first 2 shown]
	v_add_f32_e32 v9, v9, v11
	v_mul_f32_e32 v11, v151, v155
	s_delay_alu instid0(VALU_DEP_1) | instskip(NEXT) | instid1(VALU_DEP_1)
	v_fma_f32 v11, v150, v154, -v11
	v_add_f32_e32 v9, v9, v11
	v_mul_f32_e32 v11, v153, v157
	s_wait_loadcnt_dscnt 0x303
	v_pk_mul_f32 v[136:137], v[118:119], v[246:247] op_sel:[1,1] op_sel_hi:[0,1]
	s_delay_alu instid0(VALU_DEP_2) | instskip(NEXT) | instid1(VALU_DEP_2)
	v_fma_f32 v11, v152, v156, -v11
	v_pk_fma_f32 v[138:139], v[118:119], v[246:247], v[136:137] neg_lo:[0,0,1] neg_hi:[0,0,1]
	v_pk_fma_f32 v[118:119], v[118:119], v[246:247], v[136:137] op_sel_hi:[1,0,1]
	v_mov_b32_e32 v136, v249
	s_delay_alu instid0(VALU_DEP_4) | instskip(SKIP_1) | instid1(VALU_DEP_1)
	v_add_f32_e32 v9, v9, v11
	v_mul_f32_e32 v11, v159, v163
	v_dual_mov_b32 v139, v119 :: v_dual_fma_f32 v11, v158, v162, -v11
	s_delay_alu instid0(VALU_DEP_1) | instskip(SKIP_1) | instid1(VALU_DEP_1)
	v_add_f32_e32 v9, v9, v11
	v_mul_f32_e32 v11, v161, v165
	v_fma_f32 v11, v160, v164, -v11
	s_delay_alu instid0(VALU_DEP_1) | instskip(SKIP_1) | instid1(VALU_DEP_1)
	v_add_f32_e32 v9, v9, v11
	v_mul_f32_e32 v11, v167, v171
	v_fma_f32 v11, v166, v170, -v11
	;; [unrolled: 4-line block ×19, first 2 shown]
	s_set_vgpr_msb 64                       ;  msbs: dst=1 src0=0 src1=0 src2=0
	s_delay_alu instid0(VALU_DEP_1) | instskip(SKIP_3) | instid1(VALU_DEP_1)
	v_add_f32_e32 v6 /*v262*/, v9, v11
	s_set_vgpr_msb 0                        ;  msbs: dst=0 src0=0 src1=0 src2=0
	v_mul_f32_e32 v9, v239, v243
	s_set_vgpr_msb 64                       ;  msbs: dst=1 src0=0 src1=0 src2=0
	v_fma_f32 v8 /*v264*/, v238, v242, -v9
	s_set_vgpr_msb 0                        ;  msbs: dst=0 src0=0 src1=0 src2=0
	v_mul_f32_e32 v9, v241, v245
	s_set_vgpr_msb 5                        ;  msbs: dst=0 src0=1 src1=1 src2=0
	s_delay_alu instid0(VALU_DEP_2) | instskip(SKIP_1) | instid1(VALU_DEP_2)
	v_pk_add_f32 v[134:135], v[6:7] /*v[262:263]*/, v[8:9] /*v[264:265]*/
	s_set_vgpr_msb 64                       ;  msbs: dst=1 src0=0 src1=0 src2=0
	v_fma_f32 v10 /*v266*/, v240, v244, -v9
	s_set_vgpr_msb 4                        ;  msbs: dst=0 src0=0 src1=1 src2=0
	s_delay_alu instid0(VALU_DEP_1) | instskip(SKIP_1) | instid1(VALU_DEP_1)
	v_pk_add_f32 v[134:135], v[134:135], v[10:11] /*v[266:267]*/
	s_set_vgpr_msb 0                        ;  msbs: dst=0 src0=0 src1=0 src2=0
	v_pk_add_f32 v[118:119], v[134:135], v[138:139]
	v_dual_mov_b32 v134, v121 :: v_dual_mov_b32 v135, v120
	s_delay_alu instid0(VALU_DEP_1) | instskip(NEXT) | instid1(VALU_DEP_1)
	v_pk_mul_f32 v[134:135], v[134:135], v[136:137] op_sel_hi:[1,0]
	v_pk_fma_f32 v[136:137], v[120:121], v[248:249], v[134:135] neg_lo:[0,0,1] neg_hi:[0,0,1]
	v_pk_fma_f32 v[120:121], v[120:121], v[248:249], v[134:135] op_sel_hi:[1,0,1]
	s_delay_alu instid0(VALU_DEP_1) | instskip(SKIP_2) | instid1(VALU_DEP_2)
	v_mov_b32_e32 v137, v121
	s_wait_loadcnt_dscnt 0x202
	v_pk_mul_f32 v[120:121], v[122:123], v[250:251] op_sel:[1,1] op_sel_hi:[0,1]
	v_pk_add_f32 v[118:119], v[118:119], v[136:137]
	s_delay_alu instid0(VALU_DEP_2) | instskip(SKIP_2) | instid1(VALU_DEP_2)
	v_pk_fma_f32 v[134:135], v[122:123], v[250:251], v[120:121] neg_lo:[0,0,1] neg_hi:[0,0,1]
	v_pk_fma_f32 v[120:121], v[122:123], v[250:251], v[120:121] op_sel_hi:[1,0,1]
	v_dual_mov_b32 v120, v125 :: v_dual_mov_b32 v122, v253
	v_dual_mov_b32 v135, v121 :: v_dual_mov_b32 v121, v124
	s_delay_alu instid0(VALU_DEP_1) | instskip(NEXT) | instid1(VALU_DEP_2)
	v_pk_add_f32 v[118:119], v[118:119], v[134:135]
	v_pk_mul_f32 v[120:121], v[120:121], v[122:123] op_sel_hi:[1,0]
	s_delay_alu instid0(VALU_DEP_1) | instskip(SKIP_1) | instid1(VALU_DEP_1)
	v_pk_fma_f32 v[122:123], v[124:125], v[252:253], v[120:121] neg_lo:[0,0,1] neg_hi:[0,0,1]
	v_pk_fma_f32 v[120:121], v[124:125], v[252:253], v[120:121] op_sel_hi:[1,0,1]
	v_mov_b32_e32 v123, v121
	s_wait_loadcnt_dscnt 0x101
	v_pk_mul_f32 v[120:121], v[126:127], v[254:255] op_sel:[1,1] op_sel_hi:[0,1]
	s_delay_alu instid0(VALU_DEP_2) | instskip(NEXT) | instid1(VALU_DEP_2)
	v_pk_add_f32 v[118:119], v[118:119], v[122:123]
	v_pk_fma_f32 v[122:123], v[126:127], v[254:255], v[120:121] neg_lo:[0,0,1] neg_hi:[0,0,1]
	v_pk_fma_f32 v[120:121], v[126:127], v[254:255], v[120:121] op_sel_hi:[1,0,1]
	s_delay_alu instid0(VALU_DEP_1) | instskip(SKIP_1) | instid1(VALU_DEP_2)
	v_dual_mov_b32 v120, v129 :: v_dual_mov_b32 v123, v121
	v_mov_b32_e32 v121, v128
	v_pk_add_f32 v[118:119], v[118:119], v[122:123]
	s_set_vgpr_msb 1                        ;  msbs: dst=0 src0=1 src1=0 src2=0
	v_mov_b32_e32 v122, v1 /*v257*/
	s_set_vgpr_msb 0                        ;  msbs: dst=0 src0=0 src1=0 src2=0
	s_delay_alu instid0(VALU_DEP_1) | instskip(SKIP_1) | instid1(VALU_DEP_1)
	v_pk_mul_f32 v[120:121], v[120:121], v[122:123] op_sel_hi:[1,0]
	s_set_vgpr_msb 4                        ;  msbs: dst=0 src0=0 src1=1 src2=0
	v_pk_fma_f32 v[122:123], v[128:129], v[0:1] /*v[256:257]*/, v[120:121] neg_lo:[0,0,1] neg_hi:[0,0,1]
	v_pk_fma_f32 v[120:121], v[128:129], v[0:1] /*v[256:257]*/, v[120:121] op_sel_hi:[1,0,1]
	s_delay_alu instid0(VALU_DEP_1) | instskip(SKIP_3) | instid1(VALU_DEP_2)
	v_mov_b32_e32 v123, v121
	s_wait_loadcnt_dscnt 0x0
	v_pk_mul_f32 v[120:121], v[130:131], v[2:3] /*v[258:259]*/ op_sel:[1,1] op_sel_hi:[0,1]
	s_set_vgpr_msb 0                        ;  msbs: dst=0 src0=0 src1=0 src2=0
	v_pk_add_f32 v[118:119], v[118:119], v[122:123]
	s_set_vgpr_msb 4                        ;  msbs: dst=0 src0=0 src1=1 src2=0
	s_delay_alu instid0(VALU_DEP_2) | instskip(SKIP_1) | instid1(VALU_DEP_1)
	v_pk_fma_f32 v[122:123], v[130:131], v[2:3] /*v[258:259]*/, v[120:121] neg_lo:[0,0,1] neg_hi:[0,0,1]
	v_pk_fma_f32 v[120:121], v[130:131], v[2:3] /*v[258:259]*/, v[120:121] op_sel_hi:[1,0,1]
	v_dual_mov_b32 v120, v133 :: v_dual_mov_b32 v123, v121
	v_mov_b32_e32 v121, v132
	s_set_vgpr_msb 0                        ;  msbs: dst=0 src0=0 src1=0 src2=0
	s_delay_alu instid0(VALU_DEP_2) | instskip(SKIP_3) | instid1(VALU_DEP_1)
	v_pk_add_f32 v[118:119], v[118:119], v[122:123]
	s_set_vgpr_msb 1                        ;  msbs: dst=0 src0=1 src1=0 src2=0
	v_mov_b32_e32 v122, v5 /*v261*/
	s_set_vgpr_msb 0                        ;  msbs: dst=0 src0=0 src1=0 src2=0
	v_pk_mul_f32 v[120:121], v[120:121], v[122:123] op_sel_hi:[1,0]
	s_set_vgpr_msb 4                        ;  msbs: dst=0 src0=0 src1=1 src2=0
	s_delay_alu instid0(VALU_DEP_1) | instskip(SKIP_1) | instid1(VALU_DEP_1)
	v_pk_fma_f32 v[122:123], v[132:133], v[4:5] /*v[260:261]*/, v[120:121] neg_lo:[0,0,1] neg_hi:[0,0,1]
	v_pk_fma_f32 v[120:121], v[132:133], v[4:5] /*v[260:261]*/, v[120:121] op_sel_hi:[1,0,1]
	v_mov_b32_e32 v123, v121
	scratch_load_b64 v[120:121], off, off offset:136
	s_set_vgpr_msb 0                        ;  msbs: dst=0 src0=0 src1=0 src2=0
	v_pk_add_f32 v[118:119], v[118:119], v[122:123]
	s_wait_loadcnt 0x0
	s_delay_alu instid0(VALU_DEP_1)
	v_pk_add_f32 v[118:119], v[120:121], v[118:119] neg_lo:[0,1] neg_hi:[0,1]
	scratch_store_b64 off, v[118:119], off offset:136
	s_wait_xcnt 0x0
	v_cmpx_lt_u32_e32 16, v0
	s_cbranch_execz .LBB57_329
; %bb.328:
	scratch_load_b64 v[118:119], off, off offset:128
	v_mov_b64_e32 v[120:121], 0
	scratch_store_b64 off, v[120:121], off offset:128
	s_wait_loadcnt 0x0
	ds_store_b64 v1, v[118:119]
.LBB57_329:
	s_wait_xcnt 0x0
	s_or_b32 exec_lo, exec_lo, s0
	s_wait_storecnt_dscnt 0x0
	s_barrier_signal -1
	s_barrier_wait -1
	s_clause 0xf
	scratch_load_b128 v[122:125], off, off offset:136
	scratch_load_b128 v[130:133], off, off offset:152
	;; [unrolled: 1-line block ×16, first 2 shown]
	v_mov_b32_e32 v7, 0
	scratch_load_b128 v[250:253], off, off offset:392
	s_mov_b32 s0, exec_lo
	ds_load_2addr_b64 v[118:121], v7 offset0:75 offset1:76
	ds_load_2addr_b64 v[126:129], v7 offset0:77 offset1:78
	s_wait_loadcnt_dscnt 0x1001
	v_dual_mul_f32 v9, v118, v123 :: v_dual_mul_f32 v11, v120, v125
	ds_load_2addr_b64 v[134:137], v7 offset0:79 offset1:80
	ds_load_2addr_b64 v[142:145], v7 offset0:81 offset1:82
	;; [unrolled: 1-line block ×4, first 2 shown]
	v_dual_fmac_f32 v9, v119, v122 :: v_dual_fmac_f32 v11, v121, v124
	ds_load_2addr_b64 v[150:153], v7 offset0:83 offset1:84
	ds_load_2addr_b64 v[158:161], v7 offset0:85 offset1:86
	;; [unrolled: 1-line block ×3, first 2 shown]
	v_add_f32_e32 v9, 0, v9
	ds_load_2addr_b64 v[166:169], v7 offset0:87 offset1:88
	ds_load_2addr_b64 v[174:177], v7 offset0:89 offset1:90
	;; [unrolled: 1-line block ×4, first 2 shown]
	v_add_f32_e32 v9, v9, v11
	s_wait_loadcnt_dscnt 0xf0b
	v_mul_f32_e32 v11, v126, v131
	ds_load_2addr_b64 v[198:201], v7 offset0:95 offset1:96
	ds_load_2addr_b64 v[206:209], v7 offset0:97 offset1:98
	;; [unrolled: 1-line block ×4, first 2 shown]
	v_fmac_f32_e32 v11, v127, v130
	s_clause 0x4
	scratch_load_b128 v[254:257], off, off offset:408
	s_set_vgpr_msb 64                       ;  msbs: dst=1 src0=0 src1=0 src2=0
	scratch_load_b128 v[2:5] /*v[258:261]*/, off, off offset:424
	scratch_load_b128 v[6:9] /*v[262:265]*/, off, off offset:440
	scratch_load_b64 v[16:17] /*v[272:273]*/, off, off offset:456
	s_wait_loadcnt_dscnt 0x50b
	v_mul_f32_e32 v13 /*v269*/, v240, v245
	s_set_vgpr_msb 0                        ;  msbs: dst=0 src0=0 src1=0 src2=0
	v_dual_add_f32 v9, v9, v11 :: v_dual_mul_f32 v11, v128, v133
	s_wait_loadcnt_dscnt 0x408
	s_set_vgpr_msb 64                       ;  msbs: dst=1 src0=0 src1=0 src2=0
	v_dual_fmac_f32 v13 /*v269*/, v241, v244 :: v_dual_mul_f32 v15 /*v271*/, v246, v251
	s_set_vgpr_msb 0                        ;  msbs: dst=0 src0=0 src1=0 src2=0
	v_fmac_f32_e32 v11, v129, v132
	s_delay_alu instid0(VALU_DEP_1) | instskip(SKIP_1) | instid1(VALU_DEP_1)
	v_add_f32_e32 v9, v9, v11
	v_mul_f32_e32 v11, v134, v139
	v_fmac_f32_e32 v11, v135, v138
	s_delay_alu instid0(VALU_DEP_1) | instskip(NEXT) | instid1(VALU_DEP_1)
	v_dual_add_f32 v9, v9, v11 :: v_dual_mul_f32 v11, v136, v141
	v_fmac_f32_e32 v11, v137, v140
	s_delay_alu instid0(VALU_DEP_1) | instskip(SKIP_1) | instid1(VALU_DEP_1)
	v_add_f32_e32 v9, v9, v11
	v_mul_f32_e32 v11, v142, v147
	v_fmac_f32_e32 v11, v143, v146
	s_delay_alu instid0(VALU_DEP_1) | instskip(NEXT) | instid1(VALU_DEP_1)
	v_dual_add_f32 v9, v9, v11 :: v_dual_mul_f32 v11, v144, v149
	;; [unrolled: 7-line block ×4, first 2 shown]
	v_fmac_f32_e32 v11, v161, v164
	s_delay_alu instid0(VALU_DEP_1) | instskip(SKIP_2) | instid1(VALU_DEP_1)
	v_add_f32_e32 v9, v9, v11
	s_wait_dscnt 0x7
	v_mul_f32_e32 v11, v166, v171
	v_fmac_f32_e32 v11, v167, v170
	s_delay_alu instid0(VALU_DEP_1) | instskip(NEXT) | instid1(VALU_DEP_1)
	v_dual_add_f32 v9, v9, v11 :: v_dual_mul_f32 v11, v168, v173
	v_fmac_f32_e32 v11, v169, v172
	s_delay_alu instid0(VALU_DEP_1) | instskip(SKIP_2) | instid1(VALU_DEP_1)
	v_add_f32_e32 v9, v9, v11
	s_wait_dscnt 0x6
	v_mul_f32_e32 v11, v174, v179
	v_fmac_f32_e32 v11, v175, v178
	s_delay_alu instid0(VALU_DEP_1) | instskip(NEXT) | instid1(VALU_DEP_1)
	v_dual_add_f32 v9, v9, v11 :: v_dual_mul_f32 v11, v176, v181
	;; [unrolled: 8-line block ×8, first 2 shown]
	v_fmac_f32_e32 v11, v225, v228
	s_delay_alu instid0(VALU_DEP_1) | instskip(SKIP_1) | instid1(VALU_DEP_1)
	v_add_f32_e32 v9, v9, v11
	v_mul_f32_e32 v11, v230, v235
	v_fmac_f32_e32 v11, v231, v234
	s_delay_alu instid0(VALU_DEP_1) | instskip(NEXT) | instid1(VALU_DEP_1)
	v_dual_add_f32 v9, v9, v11 :: v_dual_mul_f32 v11, v232, v237
	v_fmac_f32_e32 v11, v233, v236
	s_delay_alu instid0(VALU_DEP_1) | instskip(SKIP_1) | instid1(VALU_DEP_1)
	v_add_f32_e32 v9, v9, v11
	v_mul_f32_e32 v11, v238, v243
	v_fmac_f32_e32 v11, v239, v242
	s_set_vgpr_msb 64                       ;  msbs: dst=1 src0=0 src1=0 src2=0
	s_delay_alu instid0(VALU_DEP_1) | instskip(SKIP_2) | instid1(VALU_DEP_1)
	v_add_f32_e32 v11 /*v267*/, v9, v11
	s_set_vgpr_msb 0                        ;  msbs: dst=0 src0=0 src1=0 src2=0
	v_dual_mul_f32 v9, v119, v123 :: v_dual_mul_f32 v11, v121, v125
	v_dual_fma_f32 v9, v118, v122, -v9 :: v_dual_fma_f32 v11, v120, v124, -v11
	s_delay_alu instid0(VALU_DEP_1) | instskip(NEXT) | instid1(VALU_DEP_1)
	v_add_f32_e32 v9, 0, v9
	v_add_f32_e32 v9, v9, v11
	v_mul_f32_e32 v11, v127, v131
	s_delay_alu instid0(VALU_DEP_1) | instskip(NEXT) | instid1(VALU_DEP_1)
	v_fma_f32 v11, v126, v130, -v11
	v_add_f32_e32 v9, v9, v11
	v_mul_f32_e32 v11, v129, v133
	s_delay_alu instid0(VALU_DEP_1)
	v_fma_f32 v11, v128, v132, -v11
	ds_load_2addr_b64 v[118:121], v7 offset0:109 offset1:110
	ds_load_2addr_b64 v[122:125], v7 offset0:111 offset1:112
	;; [unrolled: 1-line block ×3, first 2 shown]
	ds_load_b64 v[130:131], v7 offset:920
	v_add_f32_e32 v9, v9, v11
	v_dual_mul_f32 v11, v135, v139 :: v_dual_mov_b32 v135, v248
	s_delay_alu instid0(VALU_DEP_1) | instskip(NEXT) | instid1(VALU_DEP_1)
	v_dual_fma_f32 v11, v134, v138, -v11 :: v_dual_mov_b32 v134, v249
	v_add_f32_e32 v9, v9, v11
	v_mul_f32_e32 v11, v137, v141
	s_delay_alu instid0(VALU_DEP_1) | instskip(NEXT) | instid1(VALU_DEP_1)
	v_dual_fma_f32 v11, v136, v140, -v11 :: v_dual_mov_b32 v136, v253
	v_add_f32_e32 v9, v9, v11
	v_mul_f32_e32 v11, v143, v147
	s_delay_alu instid0(VALU_DEP_3) | instskip(NEXT) | instid1(VALU_DEP_2)
	v_pk_mul_f32 v[134:135], v[134:135], v[136:137] op_sel_hi:[1,0]
	v_fma_f32 v11, v142, v146, -v11
	s_delay_alu instid0(VALU_DEP_2) | instskip(SKIP_1) | instid1(VALU_DEP_3)
	v_pk_fma_f32 v[136:137], v[248:249], v[252:253], v[134:135] neg_lo:[0,0,1] neg_hi:[0,0,1]
	v_pk_fma_f32 v[134:135], v[248:249], v[252:253], v[134:135] op_sel_hi:[1,0,1]
	v_add_f32_e32 v9, v9, v11
	s_delay_alu instid0(VALU_DEP_2) | instskip(SKIP_2) | instid1(VALU_DEP_2)
	v_dual_mul_f32 v11, v145, v149 :: v_dual_mov_b32 v137, v135
	s_wait_loadcnt_dscnt 0x303
	v_pk_mul_f32 v[134:135], v[118:119], v[254:255] op_sel:[1,1] op_sel_hi:[0,1]
	v_fma_f32 v11, v144, v148, -v11
	s_delay_alu instid0(VALU_DEP_1) | instskip(SKIP_1) | instid1(VALU_DEP_1)
	v_add_f32_e32 v9, v9, v11
	v_mul_f32_e32 v11, v151, v155
	v_fma_f32 v11, v150, v154, -v11
	s_delay_alu instid0(VALU_DEP_1) | instskip(SKIP_1) | instid1(VALU_DEP_1)
	v_add_f32_e32 v9, v9, v11
	v_mul_f32_e32 v11, v153, v157
	;; [unrolled: 4-line block ×23, first 2 shown]
	v_fma_f32 v11, v238, v242, -v11
	s_set_vgpr_msb 64                       ;  msbs: dst=1 src0=0 src1=0 src2=0
	s_delay_alu instid0(VALU_DEP_1) | instskip(SKIP_3) | instid1(VALU_DEP_1)
	v_dual_fmac_f32 v15 /*v271*/, v247, v250 :: v_dual_add_f32 v10 /*v266*/, v9, v11
	s_set_vgpr_msb 0                        ;  msbs: dst=0 src0=0 src1=0 src2=0
	v_mul_f32_e32 v9, v241, v245
	s_set_vgpr_msb 64                       ;  msbs: dst=1 src0=0 src1=0 src2=0
	v_fma_f32 v12 /*v268*/, v240, v244, -v9
	s_set_vgpr_msb 0                        ;  msbs: dst=0 src0=0 src1=0 src2=0
	v_mul_f32_e32 v9, v247, v251
	s_set_vgpr_msb 64                       ;  msbs: dst=1 src0=0 src1=0 src2=0
	s_delay_alu instid0(VALU_DEP_1) | instskip(SKIP_3) | instid1(VALU_DEP_1)
	v_fma_f32 v14 /*v270*/, v246, v250, -v9
	s_set_vgpr_msb 5                        ;  msbs: dst=0 src0=1 src1=1 src2=0
	v_pk_add_f32 v[132:133], v[10:11] /*v[266:267]*/, v[12:13] /*v[268:269]*/
	s_set_vgpr_msb 4                        ;  msbs: dst=0 src0=0 src1=1 src2=0
	v_pk_add_f32 v[132:133], v[132:133], v[14:15] /*v[270:271]*/
	s_set_vgpr_msb 0                        ;  msbs: dst=0 src0=0 src1=0 src2=0
	s_delay_alu instid0(VALU_DEP_1)
	v_pk_add_f32 v[132:133], v[132:133], v[136:137]
	v_pk_fma_f32 v[136:137], v[118:119], v[254:255], v[134:135] neg_lo:[0,0,1] neg_hi:[0,0,1]
	v_pk_fma_f32 v[118:119], v[118:119], v[254:255], v[134:135] op_sel_hi:[1,0,1]
	s_set_vgpr_msb 1                        ;  msbs: dst=0 src0=1 src1=0 src2=0
	v_mov_b32_e32 v134, v1 /*v257*/
	s_set_vgpr_msb 0                        ;  msbs: dst=0 src0=0 src1=0 src2=0
	s_delay_alu instid0(VALU_DEP_2) | instskip(NEXT) | instid1(VALU_DEP_1)
	v_mov_b32_e32 v137, v119
	v_pk_add_f32 v[118:119], v[132:133], v[136:137]
	v_dual_mov_b32 v132, v121 :: v_dual_mov_b32 v133, v120
	s_delay_alu instid0(VALU_DEP_1) | instskip(SKIP_1) | instid1(VALU_DEP_1)
	v_pk_mul_f32 v[132:133], v[132:133], v[134:135] op_sel_hi:[1,0]
	s_set_vgpr_msb 4                        ;  msbs: dst=0 src0=0 src1=1 src2=0
	v_pk_fma_f32 v[134:135], v[120:121], v[0:1] /*v[256:257]*/, v[132:133] neg_lo:[0,0,1] neg_hi:[0,0,1]
	v_pk_fma_f32 v[120:121], v[120:121], v[0:1] /*v[256:257]*/, v[132:133] op_sel_hi:[1,0,1]
	s_delay_alu instid0(VALU_DEP_1) | instskip(SKIP_3) | instid1(VALU_DEP_2)
	v_mov_b32_e32 v135, v121
	s_wait_loadcnt_dscnt 0x202
	v_pk_mul_f32 v[120:121], v[122:123], v[2:3] /*v[258:259]*/ op_sel:[1,1] op_sel_hi:[0,1]
	s_set_vgpr_msb 0                        ;  msbs: dst=0 src0=0 src1=0 src2=0
	v_pk_add_f32 v[118:119], v[118:119], v[134:135]
	s_set_vgpr_msb 4                        ;  msbs: dst=0 src0=0 src1=1 src2=0
	s_delay_alu instid0(VALU_DEP_2)
	v_pk_fma_f32 v[132:133], v[122:123], v[2:3] /*v[258:259]*/, v[120:121] neg_lo:[0,0,1] neg_hi:[0,0,1]
	v_pk_fma_f32 v[120:121], v[122:123], v[2:3] /*v[258:259]*/, v[120:121] op_sel_hi:[1,0,1]
	v_mov_b32_e32 v120, v125
	s_set_vgpr_msb 1                        ;  msbs: dst=0 src0=1 src1=0 src2=0
	v_mov_b32_e32 v122, v5 /*v261*/
	s_set_vgpr_msb 0                        ;  msbs: dst=0 src0=0 src1=0 src2=0
	v_dual_mov_b32 v133, v121 :: v_dual_mov_b32 v121, v124
	s_delay_alu instid0(VALU_DEP_1) | instskip(NEXT) | instid1(VALU_DEP_2)
	v_pk_add_f32 v[118:119], v[118:119], v[132:133]
	v_pk_mul_f32 v[120:121], v[120:121], v[122:123] op_sel_hi:[1,0]
	s_set_vgpr_msb 4                        ;  msbs: dst=0 src0=0 src1=1 src2=0
	s_delay_alu instid0(VALU_DEP_1) | instskip(SKIP_1) | instid1(VALU_DEP_1)
	v_pk_fma_f32 v[122:123], v[124:125], v[4:5] /*v[260:261]*/, v[120:121] neg_lo:[0,0,1] neg_hi:[0,0,1]
	v_pk_fma_f32 v[120:121], v[124:125], v[4:5] /*v[260:261]*/, v[120:121] op_sel_hi:[1,0,1]
	v_mov_b32_e32 v123, v121
	s_wait_loadcnt_dscnt 0x101
	v_pk_mul_f32 v[120:121], v[126:127], v[6:7] /*v[262:263]*/ op_sel:[1,1] op_sel_hi:[0,1]
	s_set_vgpr_msb 0                        ;  msbs: dst=0 src0=0 src1=0 src2=0
	s_delay_alu instid0(VALU_DEP_2) | instskip(SKIP_1) | instid1(VALU_DEP_2)
	v_pk_add_f32 v[118:119], v[118:119], v[122:123]
	s_set_vgpr_msb 4                        ;  msbs: dst=0 src0=0 src1=1 src2=0
	v_pk_fma_f32 v[122:123], v[126:127], v[6:7] /*v[262:263]*/, v[120:121] neg_lo:[0,0,1] neg_hi:[0,0,1]
	v_pk_fma_f32 v[120:121], v[126:127], v[6:7] /*v[262:263]*/, v[120:121] op_sel_hi:[1,0,1]
	s_delay_alu instid0(VALU_DEP_1) | instskip(SKIP_2) | instid1(VALU_DEP_2)
	v_dual_mov_b32 v120, v129 :: v_dual_mov_b32 v123, v121
	v_mov_b32_e32 v121, v128
	s_set_vgpr_msb 0                        ;  msbs: dst=0 src0=0 src1=0 src2=0
	v_pk_add_f32 v[118:119], v[118:119], v[122:123]
	s_set_vgpr_msb 1                        ;  msbs: dst=0 src0=1 src1=0 src2=0
	v_mov_b32_e32 v122, v9 /*v265*/
	s_set_vgpr_msb 0                        ;  msbs: dst=0 src0=0 src1=0 src2=0
	s_delay_alu instid0(VALU_DEP_1) | instskip(SKIP_1) | instid1(VALU_DEP_1)
	v_pk_mul_f32 v[120:121], v[120:121], v[122:123] op_sel_hi:[1,0]
	s_set_vgpr_msb 4                        ;  msbs: dst=0 src0=0 src1=1 src2=0
	v_pk_fma_f32 v[122:123], v[128:129], v[8:9] /*v[264:265]*/, v[120:121] neg_lo:[0,0,1] neg_hi:[0,0,1]
	v_pk_fma_f32 v[120:121], v[128:129], v[8:9] /*v[264:265]*/, v[120:121] op_sel_hi:[1,0,1]
	s_delay_alu instid0(VALU_DEP_1) | instskip(SKIP_3) | instid1(VALU_DEP_2)
	v_mov_b32_e32 v123, v121
	s_wait_loadcnt_dscnt 0x0
	v_pk_mul_f32 v[120:121], v[130:131], v[16:17] /*v[272:273]*/ op_sel:[1,1] op_sel_hi:[0,1]
	s_set_vgpr_msb 0                        ;  msbs: dst=0 src0=0 src1=0 src2=0
	v_pk_add_f32 v[118:119], v[118:119], v[122:123]
	s_set_vgpr_msb 4                        ;  msbs: dst=0 src0=0 src1=1 src2=0
	s_delay_alu instid0(VALU_DEP_2) | instskip(SKIP_1) | instid1(VALU_DEP_1)
	v_pk_fma_f32 v[122:123], v[130:131], v[16:17] /*v[272:273]*/, v[120:121] neg_lo:[0,0,1] neg_hi:[0,0,1]
	v_pk_fma_f32 v[120:121], v[130:131], v[16:17] /*v[272:273]*/, v[120:121] op_sel_hi:[1,0,1]
	v_mov_b32_e32 v123, v121
	scratch_load_b64 v[120:121], off, off offset:128
	s_set_vgpr_msb 0                        ;  msbs: dst=0 src0=0 src1=0 src2=0
	v_pk_add_f32 v[118:119], v[118:119], v[122:123]
	s_wait_loadcnt 0x0
	s_delay_alu instid0(VALU_DEP_1)
	v_pk_add_f32 v[118:119], v[120:121], v[118:119] neg_lo:[0,1] neg_hi:[0,1]
	scratch_store_b64 off, v[118:119], off offset:128
	s_wait_xcnt 0x0
	v_cmpx_lt_u32_e32 15, v0
	s_cbranch_execz .LBB57_331
; %bb.330:
	scratch_load_b64 v[118:119], off, off offset:120
	v_mov_b64_e32 v[120:121], 0
	scratch_store_b64 off, v[120:121], off offset:120
	s_wait_loadcnt 0x0
	ds_store_b64 v1, v[118:119]
.LBB57_331:
	s_wait_xcnt 0x0
	s_or_b32 exec_lo, exec_lo, s0
	s_wait_storecnt_dscnt 0x0
	s_barrier_signal -1
	s_barrier_wait -1
	ds_load_b128 v[118:121], v7 offset:592
	ds_load_b128 v[122:125], v7 offset:608
	;; [unrolled: 1-line block ×4, first 2 shown]
	s_clause 0x10
	scratch_load_b128 v[134:137], off, off offset:128
	scratch_load_b128 v[138:141], off, off offset:144
	;; [unrolled: 1-line block ×17, first 2 shown]
	ds_load_b128 v[150:153], v7 offset:656
	ds_load_b128 v[158:161], v7 offset:672
	;; [unrolled: 1-line block ×13, first 2 shown]
	s_clause 0x4
	scratch_load_b128 v[254:257], off, off offset:400
	s_set_vgpr_msb 64                       ;  msbs: dst=1 src0=0 src1=0 src2=0
	scratch_load_b128 v[2:5] /*v[258:261]*/, off, off offset:416
	scratch_load_b128 v[6:9] /*v[262:265]*/, off, off offset:432
	;; [unrolled: 1-line block ×3, first 2 shown]
	s_mov_b32 s0, exec_lo
	s_wait_loadcnt_dscnt 0x1410
	s_set_vgpr_msb 0                        ;  msbs: dst=0 src0=0 src1=0 src2=0
	v_dual_mul_f32 v9, v118, v135 :: v_dual_mul_f32 v11, v120, v137
	s_delay_alu instid0(VALU_DEP_1) | instskip(NEXT) | instid1(VALU_DEP_1)
	v_dual_fmac_f32 v9, v119, v134 :: v_dual_fmac_f32 v11, v121, v136
	v_add_f32_e32 v9, 0, v9
	s_delay_alu instid0(VALU_DEP_1)
	v_add_f32_e32 v9, v9, v11
	s_wait_loadcnt_dscnt 0x130f
	v_mul_f32_e32 v11, v122, v139
	s_wait_loadcnt_dscnt 0x40a
	s_set_vgpr_msb 64                       ;  msbs: dst=1 src0=0 src1=0 src2=0
	v_dual_mul_f32 v17 /*v273*/, v246, v251 :: v_dual_mul_f32 v19 /*v275*/, v248, v253
	s_set_vgpr_msb 0                        ;  msbs: dst=0 src0=0 src1=0 src2=0
	v_fmac_f32_e32 v11, v123, v138
	s_set_vgpr_msb 64                       ;  msbs: dst=1 src0=0 src1=0 src2=0
	s_delay_alu instid0(VALU_DEP_2) | instskip(SKIP_1) | instid1(VALU_DEP_2)
	v_dual_fmac_f32 v17 /*v273*/, v247, v250 :: v_dual_fmac_f32 v19 /*v275*/, v249, v252
	s_set_vgpr_msb 0                        ;  msbs: dst=0 src0=0 src1=0 src2=0
	v_dual_add_f32 v9, v9, v11 :: v_dual_mul_f32 v11, v124, v141
	s_delay_alu instid0(VALU_DEP_1) | instskip(NEXT) | instid1(VALU_DEP_1)
	v_fmac_f32_e32 v11, v125, v140
	v_add_f32_e32 v9, v9, v11
	v_mul_f32_e32 v11, v126, v143
	s_delay_alu instid0(VALU_DEP_1) | instskip(NEXT) | instid1(VALU_DEP_1)
	v_fmac_f32_e32 v11, v127, v142
	v_dual_add_f32 v9, v9, v11 :: v_dual_mul_f32 v11, v128, v145
	s_delay_alu instid0(VALU_DEP_1) | instskip(NEXT) | instid1(VALU_DEP_1)
	v_fmac_f32_e32 v11, v129, v144
	v_add_f32_e32 v9, v9, v11
	v_mul_f32_e32 v11, v130, v147
	s_delay_alu instid0(VALU_DEP_1) | instskip(NEXT) | instid1(VALU_DEP_1)
	v_fmac_f32_e32 v11, v131, v146
	;; [unrolled: 7-line block ×4, first 2 shown]
	v_dual_add_f32 v9, v9, v11 :: v_dual_mul_f32 v11, v160, v165
	s_delay_alu instid0(VALU_DEP_1) | instskip(NEXT) | instid1(VALU_DEP_1)
	v_fmac_f32_e32 v11, v161, v164
	v_add_f32_e32 v9, v9, v11
	s_wait_dscnt 0x9
	v_mul_f32_e32 v11, v166, v171
	s_delay_alu instid0(VALU_DEP_1) | instskip(NEXT) | instid1(VALU_DEP_1)
	v_fmac_f32_e32 v11, v167, v170
	v_dual_add_f32 v9, v9, v11 :: v_dual_mul_f32 v11, v168, v173
	s_delay_alu instid0(VALU_DEP_1) | instskip(NEXT) | instid1(VALU_DEP_1)
	v_fmac_f32_e32 v11, v169, v172
	v_add_f32_e32 v9, v9, v11
	s_wait_dscnt 0x8
	v_mul_f32_e32 v11, v174, v179
	s_delay_alu instid0(VALU_DEP_1) | instskip(NEXT) | instid1(VALU_DEP_1)
	v_fmac_f32_e32 v11, v175, v178
	v_dual_add_f32 v9, v9, v11 :: v_dual_mul_f32 v11, v176, v181
	s_delay_alu instid0(VALU_DEP_1) | instskip(NEXT) | instid1(VALU_DEP_1)
	v_fmac_f32_e32 v11, v177, v180
	v_add_f32_e32 v9, v9, v11
	s_wait_dscnt 0x7
	v_mul_f32_e32 v11, v182, v187
	s_delay_alu instid0(VALU_DEP_1) | instskip(NEXT) | instid1(VALU_DEP_1)
	v_fmac_f32_e32 v11, v183, v186
	v_dual_add_f32 v9, v9, v11 :: v_dual_mul_f32 v11, v184, v189
	s_delay_alu instid0(VALU_DEP_1) | instskip(NEXT) | instid1(VALU_DEP_1)
	v_fmac_f32_e32 v11, v185, v188
	v_add_f32_e32 v9, v9, v11
	s_wait_dscnt 0x6
	v_mul_f32_e32 v11, v190, v195
	s_delay_alu instid0(VALU_DEP_1) | instskip(NEXT) | instid1(VALU_DEP_1)
	v_fmac_f32_e32 v11, v191, v194
	v_dual_add_f32 v9, v9, v11 :: v_dual_mul_f32 v11, v192, v197
	s_delay_alu instid0(VALU_DEP_1) | instskip(NEXT) | instid1(VALU_DEP_1)
	v_fmac_f32_e32 v11, v193, v196
	v_add_f32_e32 v9, v9, v11
	s_wait_dscnt 0x5
	v_mul_f32_e32 v11, v198, v203
	s_delay_alu instid0(VALU_DEP_1) | instskip(NEXT) | instid1(VALU_DEP_1)
	v_fmac_f32_e32 v11, v199, v202
	v_dual_add_f32 v9, v9, v11 :: v_dual_mul_f32 v11, v200, v205
	s_delay_alu instid0(VALU_DEP_1) | instskip(NEXT) | instid1(VALU_DEP_1)
	v_fmac_f32_e32 v11, v201, v204
	v_add_f32_e32 v9, v9, v11
	s_wait_dscnt 0x4
	v_mul_f32_e32 v11, v206, v211
	s_delay_alu instid0(VALU_DEP_1) | instskip(NEXT) | instid1(VALU_DEP_1)
	v_fmac_f32_e32 v11, v207, v210
	v_dual_add_f32 v9, v9, v11 :: v_dual_mul_f32 v11, v208, v213
	s_delay_alu instid0(VALU_DEP_1) | instskip(NEXT) | instid1(VALU_DEP_1)
	v_fmac_f32_e32 v11, v209, v212
	v_add_f32_e32 v9, v9, v11
	s_wait_dscnt 0x3
	v_mul_f32_e32 v11, v214, v219
	s_delay_alu instid0(VALU_DEP_1) | instskip(NEXT) | instid1(VALU_DEP_1)
	v_fmac_f32_e32 v11, v215, v218
	v_dual_add_f32 v9, v9, v11 :: v_dual_mul_f32 v11, v216, v221
	s_delay_alu instid0(VALU_DEP_1) | instskip(NEXT) | instid1(VALU_DEP_1)
	v_fmac_f32_e32 v11, v217, v220
	v_add_f32_e32 v9, v9, v11
	s_wait_dscnt 0x2
	v_mul_f32_e32 v11, v222, v227
	s_delay_alu instid0(VALU_DEP_1) | instskip(NEXT) | instid1(VALU_DEP_1)
	v_fmac_f32_e32 v11, v223, v226
	v_dual_add_f32 v9, v9, v11 :: v_dual_mul_f32 v11, v224, v229
	s_delay_alu instid0(VALU_DEP_1) | instskip(NEXT) | instid1(VALU_DEP_1)
	v_fmac_f32_e32 v11, v225, v228
	v_add_f32_e32 v9, v9, v11
	s_wait_dscnt 0x1
	v_mul_f32_e32 v11, v230, v235
	s_delay_alu instid0(VALU_DEP_1) | instskip(NEXT) | instid1(VALU_DEP_1)
	v_fmac_f32_e32 v11, v231, v234
	v_dual_add_f32 v9, v9, v11 :: v_dual_mul_f32 v11, v232, v237
	s_delay_alu instid0(VALU_DEP_1) | instskip(NEXT) | instid1(VALU_DEP_1)
	v_fmac_f32_e32 v11, v233, v236
	v_add_f32_e32 v9, v9, v11
	s_wait_dscnt 0x0
	v_mul_f32_e32 v11, v238, v243
	s_delay_alu instid0(VALU_DEP_1) | instskip(NEXT) | instid1(VALU_DEP_1)
	v_fmac_f32_e32 v11, v239, v242
	v_dual_add_f32 v9, v9, v11 :: v_dual_mul_f32 v11, v240, v245
	s_delay_alu instid0(VALU_DEP_1) | instskip(SKIP_1) | instid1(VALU_DEP_1)
	v_fmac_f32_e32 v11, v241, v244
	s_set_vgpr_msb 64                       ;  msbs: dst=1 src0=0 src1=0 src2=0
	v_add_f32_e32 v15 /*v271*/, v9, v11
	s_set_vgpr_msb 0                        ;  msbs: dst=0 src0=0 src1=0 src2=0
	v_dual_mul_f32 v9, v119, v135 :: v_dual_mul_f32 v11, v121, v137
	s_delay_alu instid0(VALU_DEP_1) | instskip(NEXT) | instid1(VALU_DEP_1)
	v_dual_fma_f32 v9, v118, v134, -v9 :: v_dual_fma_f32 v11, v120, v136, -v11
	v_add_f32_e32 v9, 0, v9
	s_delay_alu instid0(VALU_DEP_1) | instskip(SKIP_1) | instid1(VALU_DEP_1)
	v_add_f32_e32 v9, v9, v11
	v_mul_f32_e32 v11, v123, v139
	v_fma_f32 v11, v122, v138, -v11
	s_delay_alu instid0(VALU_DEP_1) | instskip(SKIP_1) | instid1(VALU_DEP_1)
	v_add_f32_e32 v9, v9, v11
	v_mul_f32_e32 v11, v125, v141
	v_fma_f32 v11, v124, v140, -v11
	;; [unrolled: 4-line block ×6, first 2 shown]
	ds_load_b128 v[118:121], v7 offset:864
	ds_load_b128 v[122:125], v7 offset:880
	ds_load_b128 v[126:129], v7 offset:896
	ds_load_b128 v[130:133], v7 offset:912
	v_add_f32_e32 v9, v9, v11
	v_mul_f32_e32 v11, v151, v155
	s_delay_alu instid0(VALU_DEP_1) | instskip(NEXT) | instid1(VALU_DEP_1)
	v_fma_f32 v11, v150, v154, -v11
	v_add_f32_e32 v9, v9, v11
	v_mul_f32_e32 v11, v153, v157
	s_wait_loadcnt_dscnt 0x303
	v_pk_mul_f32 v[136:137], v[118:119], v[254:255] op_sel:[1,1] op_sel_hi:[0,1]
	s_delay_alu instid0(VALU_DEP_2) | instskip(NEXT) | instid1(VALU_DEP_2)
	v_fma_f32 v11, v152, v156, -v11
	v_pk_fma_f32 v[138:139], v[118:119], v[254:255], v[136:137] neg_lo:[0,0,1] neg_hi:[0,0,1]
	v_pk_fma_f32 v[118:119], v[118:119], v[254:255], v[136:137] op_sel_hi:[1,0,1]
	s_set_vgpr_msb 1                        ;  msbs: dst=0 src0=1 src1=0 src2=0
	v_mov_b32_e32 v136, v1 /*v257*/
	s_set_vgpr_msb 0                        ;  msbs: dst=0 src0=0 src1=0 src2=0
	v_add_f32_e32 v9, v9, v11
	v_mul_f32_e32 v11, v159, v163
	s_delay_alu instid0(VALU_DEP_1) | instskip(NEXT) | instid1(VALU_DEP_1)
	v_dual_mov_b32 v139, v119 :: v_dual_fma_f32 v11, v158, v162, -v11
	v_add_f32_e32 v9, v9, v11
	v_mul_f32_e32 v11, v161, v165
	s_delay_alu instid0(VALU_DEP_1) | instskip(NEXT) | instid1(VALU_DEP_1)
	v_fma_f32 v11, v160, v164, -v11
	v_add_f32_e32 v9, v9, v11
	v_mul_f32_e32 v11, v167, v171
	s_delay_alu instid0(VALU_DEP_1) | instskip(NEXT) | instid1(VALU_DEP_1)
	v_fma_f32 v11, v166, v170, -v11
	;; [unrolled: 4-line block ×20, first 2 shown]
	v_add_f32_e32 v9, v9, v11
	v_mul_f32_e32 v11, v241, v245
	s_delay_alu instid0(VALU_DEP_1) | instskip(SKIP_1) | instid1(VALU_DEP_1)
	v_fma_f32 v11, v240, v244, -v11
	s_set_vgpr_msb 64                       ;  msbs: dst=1 src0=0 src1=0 src2=0
	v_add_f32_e32 v14 /*v270*/, v9, v11
	s_set_vgpr_msb 0                        ;  msbs: dst=0 src0=0 src1=0 src2=0
	v_mul_f32_e32 v9, v247, v251
	s_set_vgpr_msb 64                       ;  msbs: dst=1 src0=0 src1=0 src2=0
	s_delay_alu instid0(VALU_DEP_1) | instskip(SKIP_3) | instid1(VALU_DEP_2)
	v_fma_f32 v16 /*v272*/, v246, v250, -v9
	s_set_vgpr_msb 0                        ;  msbs: dst=0 src0=0 src1=0 src2=0
	v_mul_f32_e32 v9, v249, v253
	s_set_vgpr_msb 5                        ;  msbs: dst=0 src0=1 src1=1 src2=0
	v_pk_add_f32 v[134:135], v[14:15] /*v[270:271]*/, v[16:17] /*v[272:273]*/
	s_set_vgpr_msb 64                       ;  msbs: dst=1 src0=0 src1=0 src2=0
	s_delay_alu instid0(VALU_DEP_2) | instskip(SKIP_1) | instid1(VALU_DEP_1)
	v_fma_f32 v18 /*v274*/, v248, v252, -v9
	s_set_vgpr_msb 4                        ;  msbs: dst=0 src0=0 src1=1 src2=0
	v_pk_add_f32 v[134:135], v[134:135], v[18:19] /*v[274:275]*/
	s_set_vgpr_msb 0                        ;  msbs: dst=0 src0=0 src1=0 src2=0
	s_delay_alu instid0(VALU_DEP_1) | instskip(SKIP_1) | instid1(VALU_DEP_1)
	v_pk_add_f32 v[118:119], v[134:135], v[138:139]
	v_dual_mov_b32 v134, v121 :: v_dual_mov_b32 v135, v120
	v_pk_mul_f32 v[134:135], v[134:135], v[136:137] op_sel_hi:[1,0]
	s_set_vgpr_msb 4                        ;  msbs: dst=0 src0=0 src1=1 src2=0
	s_delay_alu instid0(VALU_DEP_1) | instskip(SKIP_1) | instid1(VALU_DEP_1)
	v_pk_fma_f32 v[136:137], v[120:121], v[0:1] /*v[256:257]*/, v[134:135] neg_lo:[0,0,1] neg_hi:[0,0,1]
	v_pk_fma_f32 v[120:121], v[120:121], v[0:1] /*v[256:257]*/, v[134:135] op_sel_hi:[1,0,1]
	v_mov_b32_e32 v137, v121
	s_wait_loadcnt_dscnt 0x202
	v_pk_mul_f32 v[120:121], v[122:123], v[2:3] /*v[258:259]*/ op_sel:[1,1] op_sel_hi:[0,1]
	s_set_vgpr_msb 0                        ;  msbs: dst=0 src0=0 src1=0 src2=0
	s_delay_alu instid0(VALU_DEP_2) | instskip(SKIP_1) | instid1(VALU_DEP_2)
	v_pk_add_f32 v[118:119], v[118:119], v[136:137]
	s_set_vgpr_msb 4                        ;  msbs: dst=0 src0=0 src1=1 src2=0
	v_pk_fma_f32 v[134:135], v[122:123], v[2:3] /*v[258:259]*/, v[120:121] neg_lo:[0,0,1] neg_hi:[0,0,1]
	v_pk_fma_f32 v[120:121], v[122:123], v[2:3] /*v[258:259]*/, v[120:121] op_sel_hi:[1,0,1]
	v_mov_b32_e32 v120, v125
	s_set_vgpr_msb 1                        ;  msbs: dst=0 src0=1 src1=0 src2=0
	v_mov_b32_e32 v122, v5 /*v261*/
	s_set_vgpr_msb 0                        ;  msbs: dst=0 src0=0 src1=0 src2=0
	v_dual_mov_b32 v135, v121 :: v_dual_mov_b32 v121, v124
	s_delay_alu instid0(VALU_DEP_1) | instskip(NEXT) | instid1(VALU_DEP_2)
	v_pk_add_f32 v[118:119], v[118:119], v[134:135]
	v_pk_mul_f32 v[120:121], v[120:121], v[122:123] op_sel_hi:[1,0]
	s_set_vgpr_msb 4                        ;  msbs: dst=0 src0=0 src1=1 src2=0
	s_delay_alu instid0(VALU_DEP_1) | instskip(SKIP_1) | instid1(VALU_DEP_1)
	v_pk_fma_f32 v[122:123], v[124:125], v[4:5] /*v[260:261]*/, v[120:121] neg_lo:[0,0,1] neg_hi:[0,0,1]
	v_pk_fma_f32 v[120:121], v[124:125], v[4:5] /*v[260:261]*/, v[120:121] op_sel_hi:[1,0,1]
	v_mov_b32_e32 v123, v121
	s_wait_loadcnt_dscnt 0x101
	v_pk_mul_f32 v[120:121], v[126:127], v[6:7] /*v[262:263]*/ op_sel:[1,1] op_sel_hi:[0,1]
	s_set_vgpr_msb 0                        ;  msbs: dst=0 src0=0 src1=0 src2=0
	s_delay_alu instid0(VALU_DEP_2) | instskip(SKIP_1) | instid1(VALU_DEP_2)
	v_pk_add_f32 v[118:119], v[118:119], v[122:123]
	s_set_vgpr_msb 4                        ;  msbs: dst=0 src0=0 src1=1 src2=0
	v_pk_fma_f32 v[122:123], v[126:127], v[6:7] /*v[262:263]*/, v[120:121] neg_lo:[0,0,1] neg_hi:[0,0,1]
	v_pk_fma_f32 v[120:121], v[126:127], v[6:7] /*v[262:263]*/, v[120:121] op_sel_hi:[1,0,1]
	s_delay_alu instid0(VALU_DEP_1) | instskip(SKIP_2) | instid1(VALU_DEP_2)
	v_dual_mov_b32 v120, v129 :: v_dual_mov_b32 v123, v121
	v_mov_b32_e32 v121, v128
	s_set_vgpr_msb 0                        ;  msbs: dst=0 src0=0 src1=0 src2=0
	v_pk_add_f32 v[118:119], v[118:119], v[122:123]
	s_set_vgpr_msb 1                        ;  msbs: dst=0 src0=1 src1=0 src2=0
	v_mov_b32_e32 v122, v9 /*v265*/
	s_set_vgpr_msb 0                        ;  msbs: dst=0 src0=0 src1=0 src2=0
	s_delay_alu instid0(VALU_DEP_1) | instskip(SKIP_1) | instid1(VALU_DEP_1)
	v_pk_mul_f32 v[120:121], v[120:121], v[122:123] op_sel_hi:[1,0]
	s_set_vgpr_msb 4                        ;  msbs: dst=0 src0=0 src1=1 src2=0
	v_pk_fma_f32 v[122:123], v[128:129], v[8:9] /*v[264:265]*/, v[120:121] neg_lo:[0,0,1] neg_hi:[0,0,1]
	v_pk_fma_f32 v[120:121], v[128:129], v[8:9] /*v[264:265]*/, v[120:121] op_sel_hi:[1,0,1]
	s_delay_alu instid0(VALU_DEP_1) | instskip(SKIP_3) | instid1(VALU_DEP_2)
	v_mov_b32_e32 v123, v121
	s_wait_loadcnt_dscnt 0x0
	v_pk_mul_f32 v[120:121], v[130:131], v[10:11] /*v[266:267]*/ op_sel:[1,1] op_sel_hi:[0,1]
	s_set_vgpr_msb 0                        ;  msbs: dst=0 src0=0 src1=0 src2=0
	v_pk_add_f32 v[118:119], v[118:119], v[122:123]
	s_set_vgpr_msb 4                        ;  msbs: dst=0 src0=0 src1=1 src2=0
	s_delay_alu instid0(VALU_DEP_2) | instskip(SKIP_1) | instid1(VALU_DEP_1)
	v_pk_fma_f32 v[122:123], v[130:131], v[10:11] /*v[266:267]*/, v[120:121] neg_lo:[0,0,1] neg_hi:[0,0,1]
	v_pk_fma_f32 v[120:121], v[130:131], v[10:11] /*v[266:267]*/, v[120:121] op_sel_hi:[1,0,1]
	v_dual_mov_b32 v120, v133 :: v_dual_mov_b32 v123, v121
	v_mov_b32_e32 v121, v132
	s_set_vgpr_msb 0                        ;  msbs: dst=0 src0=0 src1=0 src2=0
	s_delay_alu instid0(VALU_DEP_2) | instskip(SKIP_3) | instid1(VALU_DEP_1)
	v_pk_add_f32 v[118:119], v[118:119], v[122:123]
	s_set_vgpr_msb 1                        ;  msbs: dst=0 src0=1 src1=0 src2=0
	v_mov_b32_e32 v122, v13 /*v269*/
	s_set_vgpr_msb 0                        ;  msbs: dst=0 src0=0 src1=0 src2=0
	v_pk_mul_f32 v[120:121], v[120:121], v[122:123] op_sel_hi:[1,0]
	s_set_vgpr_msb 4                        ;  msbs: dst=0 src0=0 src1=1 src2=0
	s_delay_alu instid0(VALU_DEP_1) | instskip(SKIP_1) | instid1(VALU_DEP_1)
	v_pk_fma_f32 v[122:123], v[132:133], v[12:13] /*v[268:269]*/, v[120:121] neg_lo:[0,0,1] neg_hi:[0,0,1]
	v_pk_fma_f32 v[120:121], v[132:133], v[12:13] /*v[268:269]*/, v[120:121] op_sel_hi:[1,0,1]
	v_mov_b32_e32 v123, v121
	scratch_load_b64 v[120:121], off, off offset:120
	s_set_vgpr_msb 0                        ;  msbs: dst=0 src0=0 src1=0 src2=0
	v_pk_add_f32 v[118:119], v[118:119], v[122:123]
	s_wait_loadcnt 0x0
	s_delay_alu instid0(VALU_DEP_1)
	v_pk_add_f32 v[118:119], v[120:121], v[118:119] neg_lo:[0,1] neg_hi:[0,1]
	scratch_store_b64 off, v[118:119], off offset:120
	s_wait_xcnt 0x0
	v_cmpx_lt_u32_e32 14, v0
	s_cbranch_execz .LBB57_333
; %bb.332:
	scratch_load_b64 v[118:119], off, off offset:112
	v_mov_b64_e32 v[120:121], 0
	scratch_store_b64 off, v[120:121], off offset:112
	s_wait_loadcnt 0x0
	ds_store_b64 v1, v[118:119]
.LBB57_333:
	s_wait_xcnt 0x0
	s_or_b32 exec_lo, exec_lo, s0
	s_wait_storecnt_dscnt 0x0
	s_barrier_signal -1
	s_barrier_wait -1
	s_clause 0xf
	scratch_load_b128 v[122:125], off, off offset:120
	scratch_load_b128 v[130:133], off, off offset:136
	;; [unrolled: 1-line block ×16, first 2 shown]
	v_mov_b32_e32 v7, 0
	s_clause 0x2
	scratch_load_b128 v[250:253], off, off offset:376
	s_set_vgpr_msb 64                       ;  msbs: dst=1 src0=0 src1=0 src2=0
	scratch_load_b128 v[2:5] /*v[258:261]*/, off, off offset:392
	s_mov_b32 s0, exec_lo
	s_set_vgpr_msb 0                        ;  msbs: dst=0 src0=0 src1=0 src2=0
	ds_load_2addr_b64 v[118:121], v7 offset0:73 offset1:74
	ds_load_2addr_b64 v[126:129], v7 offset0:75 offset1:76
	s_wait_loadcnt_dscnt 0x1101
	v_dual_mul_f32 v9, v118, v123 :: v_dual_mul_f32 v11, v120, v125
	ds_load_2addr_b64 v[134:137], v7 offset0:77 offset1:78
	ds_load_2addr_b64 v[142:145], v7 offset0:79 offset1:80
	;; [unrolled: 1-line block ×4, first 2 shown]
	v_dual_fmac_f32 v9, v119, v122 :: v_dual_fmac_f32 v11, v121, v124
	ds_load_2addr_b64 v[150:153], v7 offset0:81 offset1:82
	ds_load_2addr_b64 v[158:161], v7 offset0:83 offset1:84
	;; [unrolled: 1-line block ×4, first 2 shown]
	v_add_f32_e32 v9, 0, v9
	ds_load_2addr_b64 v[182:185], v7 offset0:89 offset1:90
	ds_load_2addr_b64 v[190:193], v7 offset0:91 offset1:92
	;; [unrolled: 1-line block ×4, first 2 shown]
	v_add_f32_e32 v9, v9, v11
	s_wait_loadcnt_dscnt 0x100c
	v_mul_f32_e32 v11, v126, v131
	ds_load_2addr_b64 v[214:217], v7 offset0:97 offset1:98
	ds_load_2addr_b64 v[222:225], v7 offset0:99 offset1:100
	ds_load_2addr_b64 v[230:233], v7 offset0:101 offset1:102
	ds_load_2addr_b64 v[238:241], v7 offset0:103 offset1:104
	v_fmac_f32_e32 v11, v127, v130
	s_set_vgpr_msb 64                       ;  msbs: dst=1 src0=0 src1=0 src2=0
	s_clause 0x3
	scratch_load_b128 v[6:9] /*v[262:265]*/, off, off offset:408
	scratch_load_b128 v[10:13] /*v[266:269]*/, off, off offset:424
	;; [unrolled: 1-line block ×3, first 2 shown]
	scratch_load_b64 v[24:25] /*v[280:281]*/, off, off offset:456
	s_wait_loadcnt_dscnt 0x50d
	v_mul_f32_e32 v21 /*v277*/, v248, v253
	s_set_vgpr_msb 0                        ;  msbs: dst=0 src0=0 src1=0 src2=0
	v_dual_add_f32 v9, v9, v11 :: v_dual_mul_f32 v11, v128, v133
	s_set_vgpr_msb 64                       ;  msbs: dst=1 src0=0 src1=0 src2=0
	s_delay_alu instid0(VALU_DEP_2) | instskip(SKIP_1) | instid1(VALU_DEP_2)
	v_fmac_f32_e32 v21 /*v277*/, v249, v252
	s_set_vgpr_msb 0                        ;  msbs: dst=0 src0=0 src1=0 src2=0
	v_fmac_f32_e32 v11, v129, v132
	s_delay_alu instid0(VALU_DEP_1) | instskip(SKIP_1) | instid1(VALU_DEP_1)
	v_add_f32_e32 v9, v9, v11
	v_mul_f32_e32 v11, v134, v139
	v_fmac_f32_e32 v11, v135, v138
	s_delay_alu instid0(VALU_DEP_1) | instskip(NEXT) | instid1(VALU_DEP_1)
	v_dual_add_f32 v9, v9, v11 :: v_dual_mul_f32 v11, v136, v141
	v_fmac_f32_e32 v11, v137, v140
	s_delay_alu instid0(VALU_DEP_1) | instskip(SKIP_1) | instid1(VALU_DEP_1)
	v_add_f32_e32 v9, v9, v11
	v_mul_f32_e32 v11, v142, v147
	v_fmac_f32_e32 v11, v143, v146
	s_delay_alu instid0(VALU_DEP_1) | instskip(NEXT) | instid1(VALU_DEP_1)
	v_dual_add_f32 v9, v9, v11 :: v_dual_mul_f32 v11, v144, v149
	v_fmac_f32_e32 v11, v145, v148
	s_delay_alu instid0(VALU_DEP_1) | instskip(SKIP_2) | instid1(VALU_DEP_1)
	v_add_f32_e32 v9, v9, v11
	s_wait_dscnt 0xb
	v_mul_f32_e32 v11, v150, v155
	v_fmac_f32_e32 v11, v151, v154
	s_delay_alu instid0(VALU_DEP_1) | instskip(NEXT) | instid1(VALU_DEP_1)
	v_dual_add_f32 v9, v9, v11 :: v_dual_mul_f32 v11, v152, v157
	v_fmac_f32_e32 v11, v153, v156
	s_delay_alu instid0(VALU_DEP_1) | instskip(SKIP_2) | instid1(VALU_DEP_1)
	v_add_f32_e32 v9, v9, v11
	s_wait_dscnt 0xa
	;; [unrolled: 8-line block ×12, first 2 shown]
	v_mul_f32_e32 v11, v238, v243
	v_fmac_f32_e32 v11, v239, v242
	s_delay_alu instid0(VALU_DEP_1) | instskip(NEXT) | instid1(VALU_DEP_1)
	v_dual_add_f32 v9, v9, v11 :: v_dual_mul_f32 v11, v240, v245
	v_fmac_f32_e32 v11, v241, v244
	s_delay_alu instid0(VALU_DEP_1) | instskip(SKIP_1) | instid1(VALU_DEP_1)
	v_add_f32_e32 v9, v9, v11
	v_mul_f32_e32 v11, v246, v251
	v_fmac_f32_e32 v11, v247, v250
	s_set_vgpr_msb 64                       ;  msbs: dst=1 src0=0 src1=0 src2=0
	s_delay_alu instid0(VALU_DEP_1) | instskip(SKIP_2) | instid1(VALU_DEP_1)
	v_add_f32_e32 v19 /*v275*/, v9, v11
	s_set_vgpr_msb 0                        ;  msbs: dst=0 src0=0 src1=0 src2=0
	v_dual_mul_f32 v9, v119, v123 :: v_dual_mul_f32 v11, v121, v125
	v_dual_fma_f32 v9, v118, v122, -v9 :: v_dual_fma_f32 v11, v120, v124, -v11
	s_delay_alu instid0(VALU_DEP_1) | instskip(NEXT) | instid1(VALU_DEP_1)
	v_add_f32_e32 v9, 0, v9
	v_add_f32_e32 v9, v9, v11
	v_mul_f32_e32 v11, v127, v131
	s_delay_alu instid0(VALU_DEP_1) | instskip(NEXT) | instid1(VALU_DEP_1)
	v_fma_f32 v11, v126, v130, -v11
	v_add_f32_e32 v9, v9, v11
	v_mul_f32_e32 v11, v129, v133
	s_delay_alu instid0(VALU_DEP_1)
	v_fma_f32 v11, v128, v132, -v11
	ds_load_2addr_b64 v[118:121], v7 offset0:109 offset1:110
	ds_load_2addr_b64 v[122:125], v7 offset0:111 offset1:112
	;; [unrolled: 1-line block ×3, first 2 shown]
	ds_load_b64 v[130:131], v7 offset:920
	v_add_f32_e32 v9, v9, v11
	v_mul_f32_e32 v11, v135, v139
	s_set_vgpr_msb 1                        ;  msbs: dst=0 src0=1 src1=0 src2=0
	v_mov_b32_e32 v135, v0 /*v256*/
	s_set_vgpr_msb 0                        ;  msbs: dst=0 src0=0 src1=0 src2=0
	s_delay_alu instid0(VALU_DEP_2) | instskip(SKIP_3) | instid1(VALU_DEP_2)
	v_fma_f32 v11, v134, v138, -v11
	s_set_vgpr_msb 1                        ;  msbs: dst=0 src0=1 src1=0 src2=0
	v_mov_b32_e32 v134, v1 /*v257*/
	s_set_vgpr_msb 0                        ;  msbs: dst=0 src0=0 src1=0 src2=0
	v_add_f32_e32 v9, v9, v11
	v_mul_f32_e32 v11, v137, v141
	s_delay_alu instid0(VALU_DEP_1)
	v_fma_f32 v11, v136, v140, -v11
	s_wait_loadcnt 0x4
	s_set_vgpr_msb 1                        ;  msbs: dst=0 src0=1 src1=0 src2=0
	v_mov_b32_e32 v136, v5 /*v261*/
	s_set_vgpr_msb 0                        ;  msbs: dst=0 src0=0 src1=0 src2=0
	v_add_f32_e32 v9, v9, v11
	v_mul_f32_e32 v11, v143, v147
	s_delay_alu instid0(VALU_DEP_3) | instskip(NEXT) | instid1(VALU_DEP_2)
	v_pk_mul_f32 v[134:135], v[134:135], v[136:137] op_sel_hi:[1,0]
	v_fma_f32 v11, v142, v146, -v11
	s_set_vgpr_msb 5                        ;  msbs: dst=0 src0=1 src1=1 src2=0
	s_delay_alu instid0(VALU_DEP_2) | instskip(SKIP_3) | instid1(VALU_DEP_2)
	v_pk_fma_f32 v[136:137], v[0:1] /*v[256:257]*/, v[4:5] /*v[260:261]*/, v[134:135] neg_lo:[0,0,1] neg_hi:[0,0,1]
	v_pk_fma_f32 v[134:135], v[0:1] /*v[256:257]*/, v[4:5] /*v[260:261]*/, v[134:135] op_sel_hi:[1,0,1]
	s_set_vgpr_msb 0                        ;  msbs: dst=0 src0=0 src1=0 src2=0
	v_add_f32_e32 v9, v9, v11
	v_dual_mul_f32 v11, v145, v149 :: v_dual_mov_b32 v137, v135
	s_wait_loadcnt_dscnt 0x303
	s_set_vgpr_msb 4                        ;  msbs: dst=0 src0=0 src1=1 src2=0
	v_pk_mul_f32 v[134:135], v[118:119], v[6:7] /*v[262:263]*/ op_sel:[1,1] op_sel_hi:[0,1]
	s_set_vgpr_msb 0                        ;  msbs: dst=0 src0=0 src1=0 src2=0
	v_fma_f32 v11, v144, v148, -v11
	s_delay_alu instid0(VALU_DEP_1) | instskip(SKIP_1) | instid1(VALU_DEP_1)
	v_add_f32_e32 v9, v9, v11
	v_mul_f32_e32 v11, v151, v155
	v_fma_f32 v11, v150, v154, -v11
	s_delay_alu instid0(VALU_DEP_1) | instskip(SKIP_1) | instid1(VALU_DEP_1)
	v_add_f32_e32 v9, v9, v11
	v_mul_f32_e32 v11, v153, v157
	;; [unrolled: 4-line block ×25, first 2 shown]
	v_fma_f32 v11, v246, v250, -v11
	s_set_vgpr_msb 64                       ;  msbs: dst=1 src0=0 src1=0 src2=0
	s_delay_alu instid0(VALU_DEP_1) | instskip(SKIP_3) | instid1(VALU_DEP_1)
	v_add_f32_e32 v18 /*v274*/, v9, v11
	s_set_vgpr_msb 0                        ;  msbs: dst=0 src0=0 src1=0 src2=0
	v_mul_f32_e32 v9, v249, v253
	s_set_vgpr_msb 64                       ;  msbs: dst=1 src0=0 src1=0 src2=0
	v_fma_f32 v20 /*v276*/, v248, v252, -v9
	s_set_vgpr_msb 4                        ;  msbs: dst=0 src0=0 src1=1 src2=0
	v_mul_f32_e32 v9, v255, v3 /*v259*/
	s_set_vgpr_msb 0x44                     ;  msbs: dst=1 src0=0 src1=1 src2=0
	v_mul_f32_e32 v23 /*v279*/, v254, v3 /*v259*/
	s_set_vgpr_msb 5                        ;  msbs: dst=0 src0=1 src1=1 src2=0
	v_pk_add_f32 v[132:133], v[18:19] /*v[274:275]*/, v[20:21] /*v[276:277]*/
	s_set_vgpr_msb 0x44                     ;  msbs: dst=1 src0=0 src1=1 src2=0
	v_fma_f32 v22 /*v278*/, v254, v2 /*v258*/, -v9
	v_fmac_f32_e32 v23 /*v279*/, v255, v2 /*v258*/
	s_set_vgpr_msb 4                        ;  msbs: dst=0 src0=0 src1=1 src2=0
	s_delay_alu instid0(VALU_DEP_1) | instskip(SKIP_1) | instid1(VALU_DEP_1)
	v_pk_add_f32 v[132:133], v[132:133], v[22:23] /*v[278:279]*/
	s_set_vgpr_msb 0                        ;  msbs: dst=0 src0=0 src1=0 src2=0
	v_pk_add_f32 v[132:133], v[132:133], v[136:137]
	s_set_vgpr_msb 4                        ;  msbs: dst=0 src0=0 src1=1 src2=0
	v_pk_fma_f32 v[136:137], v[118:119], v[6:7] /*v[262:263]*/, v[134:135] neg_lo:[0,0,1] neg_hi:[0,0,1]
	v_pk_fma_f32 v[118:119], v[118:119], v[6:7] /*v[262:263]*/, v[134:135] op_sel_hi:[1,0,1]
	s_set_vgpr_msb 1                        ;  msbs: dst=0 src0=1 src1=0 src2=0
	v_mov_b32_e32 v134, v9 /*v265*/
	s_set_vgpr_msb 0                        ;  msbs: dst=0 src0=0 src1=0 src2=0
	s_delay_alu instid0(VALU_DEP_2) | instskip(NEXT) | instid1(VALU_DEP_1)
	v_mov_b32_e32 v137, v119
	v_pk_add_f32 v[118:119], v[132:133], v[136:137]
	v_dual_mov_b32 v132, v121 :: v_dual_mov_b32 v133, v120
	s_delay_alu instid0(VALU_DEP_1) | instskip(SKIP_1) | instid1(VALU_DEP_1)
	v_pk_mul_f32 v[132:133], v[132:133], v[134:135] op_sel_hi:[1,0]
	s_set_vgpr_msb 4                        ;  msbs: dst=0 src0=0 src1=1 src2=0
	v_pk_fma_f32 v[134:135], v[120:121], v[8:9] /*v[264:265]*/, v[132:133] neg_lo:[0,0,1] neg_hi:[0,0,1]
	v_pk_fma_f32 v[120:121], v[120:121], v[8:9] /*v[264:265]*/, v[132:133] op_sel_hi:[1,0,1]
	s_delay_alu instid0(VALU_DEP_1) | instskip(SKIP_3) | instid1(VALU_DEP_2)
	v_mov_b32_e32 v135, v121
	s_wait_loadcnt_dscnt 0x202
	v_pk_mul_f32 v[120:121], v[122:123], v[10:11] /*v[266:267]*/ op_sel:[1,1] op_sel_hi:[0,1]
	s_set_vgpr_msb 0                        ;  msbs: dst=0 src0=0 src1=0 src2=0
	v_pk_add_f32 v[118:119], v[118:119], v[134:135]
	s_set_vgpr_msb 4                        ;  msbs: dst=0 src0=0 src1=1 src2=0
	s_delay_alu instid0(VALU_DEP_2)
	v_pk_fma_f32 v[132:133], v[122:123], v[10:11] /*v[266:267]*/, v[120:121] neg_lo:[0,0,1] neg_hi:[0,0,1]
	v_pk_fma_f32 v[120:121], v[122:123], v[10:11] /*v[266:267]*/, v[120:121] op_sel_hi:[1,0,1]
	v_mov_b32_e32 v120, v125
	s_set_vgpr_msb 1                        ;  msbs: dst=0 src0=1 src1=0 src2=0
	v_mov_b32_e32 v122, v13 /*v269*/
	s_set_vgpr_msb 0                        ;  msbs: dst=0 src0=0 src1=0 src2=0
	v_dual_mov_b32 v133, v121 :: v_dual_mov_b32 v121, v124
	s_delay_alu instid0(VALU_DEP_1) | instskip(NEXT) | instid1(VALU_DEP_2)
	v_pk_add_f32 v[118:119], v[118:119], v[132:133]
	v_pk_mul_f32 v[120:121], v[120:121], v[122:123] op_sel_hi:[1,0]
	s_set_vgpr_msb 4                        ;  msbs: dst=0 src0=0 src1=1 src2=0
	s_delay_alu instid0(VALU_DEP_1) | instskip(SKIP_1) | instid1(VALU_DEP_1)
	v_pk_fma_f32 v[122:123], v[124:125], v[12:13] /*v[268:269]*/, v[120:121] neg_lo:[0,0,1] neg_hi:[0,0,1]
	v_pk_fma_f32 v[120:121], v[124:125], v[12:13] /*v[268:269]*/, v[120:121] op_sel_hi:[1,0,1]
	v_mov_b32_e32 v123, v121
	s_wait_loadcnt_dscnt 0x101
	v_pk_mul_f32 v[120:121], v[126:127], v[14:15] /*v[270:271]*/ op_sel:[1,1] op_sel_hi:[0,1]
	s_set_vgpr_msb 0                        ;  msbs: dst=0 src0=0 src1=0 src2=0
	s_delay_alu instid0(VALU_DEP_2) | instskip(SKIP_1) | instid1(VALU_DEP_2)
	v_pk_add_f32 v[118:119], v[118:119], v[122:123]
	s_set_vgpr_msb 4                        ;  msbs: dst=0 src0=0 src1=1 src2=0
	v_pk_fma_f32 v[122:123], v[126:127], v[14:15] /*v[270:271]*/, v[120:121] neg_lo:[0,0,1] neg_hi:[0,0,1]
	v_pk_fma_f32 v[120:121], v[126:127], v[14:15] /*v[270:271]*/, v[120:121] op_sel_hi:[1,0,1]
	s_delay_alu instid0(VALU_DEP_1) | instskip(SKIP_2) | instid1(VALU_DEP_2)
	v_dual_mov_b32 v120, v129 :: v_dual_mov_b32 v123, v121
	v_mov_b32_e32 v121, v128
	s_set_vgpr_msb 0                        ;  msbs: dst=0 src0=0 src1=0 src2=0
	v_pk_add_f32 v[118:119], v[118:119], v[122:123]
	s_set_vgpr_msb 1                        ;  msbs: dst=0 src0=1 src1=0 src2=0
	v_mov_b32_e32 v122, v17 /*v273*/
	s_set_vgpr_msb 0                        ;  msbs: dst=0 src0=0 src1=0 src2=0
	s_delay_alu instid0(VALU_DEP_1) | instskip(SKIP_1) | instid1(VALU_DEP_1)
	v_pk_mul_f32 v[120:121], v[120:121], v[122:123] op_sel_hi:[1,0]
	s_set_vgpr_msb 4                        ;  msbs: dst=0 src0=0 src1=1 src2=0
	v_pk_fma_f32 v[122:123], v[128:129], v[16:17] /*v[272:273]*/, v[120:121] neg_lo:[0,0,1] neg_hi:[0,0,1]
	v_pk_fma_f32 v[120:121], v[128:129], v[16:17] /*v[272:273]*/, v[120:121] op_sel_hi:[1,0,1]
	s_delay_alu instid0(VALU_DEP_1) | instskip(SKIP_3) | instid1(VALU_DEP_2)
	v_mov_b32_e32 v123, v121
	s_wait_loadcnt_dscnt 0x0
	v_pk_mul_f32 v[120:121], v[130:131], v[24:25] /*v[280:281]*/ op_sel:[1,1] op_sel_hi:[0,1]
	s_set_vgpr_msb 0                        ;  msbs: dst=0 src0=0 src1=0 src2=0
	v_pk_add_f32 v[118:119], v[118:119], v[122:123]
	s_set_vgpr_msb 4                        ;  msbs: dst=0 src0=0 src1=1 src2=0
	s_delay_alu instid0(VALU_DEP_2) | instskip(SKIP_1) | instid1(VALU_DEP_1)
	v_pk_fma_f32 v[122:123], v[130:131], v[24:25] /*v[280:281]*/, v[120:121] neg_lo:[0,0,1] neg_hi:[0,0,1]
	v_pk_fma_f32 v[120:121], v[130:131], v[24:25] /*v[280:281]*/, v[120:121] op_sel_hi:[1,0,1]
	v_mov_b32_e32 v123, v121
	scratch_load_b64 v[120:121], off, off offset:112
	s_set_vgpr_msb 0                        ;  msbs: dst=0 src0=0 src1=0 src2=0
	v_pk_add_f32 v[118:119], v[118:119], v[122:123]
	s_wait_loadcnt 0x0
	s_delay_alu instid0(VALU_DEP_1)
	v_pk_add_f32 v[118:119], v[120:121], v[118:119] neg_lo:[0,1] neg_hi:[0,1]
	scratch_store_b64 off, v[118:119], off offset:112
	s_wait_xcnt 0x0
	v_cmpx_lt_u32_e32 13, v0
	s_cbranch_execz .LBB57_335
; %bb.334:
	scratch_load_b64 v[118:119], off, off offset:104
	v_mov_b64_e32 v[120:121], 0
	scratch_store_b64 off, v[120:121], off offset:104
	s_wait_loadcnt 0x0
	ds_store_b64 v1, v[118:119]
.LBB57_335:
	s_wait_xcnt 0x0
	s_or_b32 exec_lo, exec_lo, s0
	s_wait_storecnt_dscnt 0x0
	s_barrier_signal -1
	s_barrier_wait -1
	ds_load_b128 v[118:121], v7 offset:576
	ds_load_b128 v[122:125], v7 offset:592
	;; [unrolled: 1-line block ×4, first 2 shown]
	s_clause 0x12
	scratch_load_b128 v[134:137], off, off offset:112
	scratch_load_b128 v[138:141], off, off offset:128
	;; [unrolled: 1-line block ×17, first 2 shown]
	s_set_vgpr_msb 64                       ;  msbs: dst=1 src0=0 src1=0 src2=0
	scratch_load_b128 v[2:5] /*v[258:261]*/, off, off offset:384
	s_set_vgpr_msb 0                        ;  msbs: dst=0 src0=0 src1=0 src2=0
	ds_load_b128 v[150:153], v7 offset:640
	ds_load_b128 v[158:161], v7 offset:656
	;; [unrolled: 1-line block ×14, first 2 shown]
	s_set_vgpr_msb 64                       ;  msbs: dst=1 src0=0 src1=0 src2=0
	s_clause 0x3
	scratch_load_b128 v[6:9] /*v[262:265]*/, off, off offset:400
	scratch_load_b128 v[10:13] /*v[266:269]*/, off, off offset:416
	;; [unrolled: 1-line block ×4, first 2 shown]
	s_mov_b32 s0, exec_lo
	s_wait_loadcnt_dscnt 0x1511
	s_set_vgpr_msb 0                        ;  msbs: dst=0 src0=0 src1=0 src2=0
	v_dual_mul_f32 v9, v118, v135 :: v_dual_mul_f32 v11, v120, v137
	s_delay_alu instid0(VALU_DEP_1) | instskip(NEXT) | instid1(VALU_DEP_1)
	v_dual_fmac_f32 v9, v119, v134 :: v_dual_fmac_f32 v11, v121, v136
	v_add_f32_e32 v9, 0, v9
	s_delay_alu instid0(VALU_DEP_1) | instskip(SKIP_2) | instid1(VALU_DEP_1)
	v_add_f32_e32 v9, v9, v11
	s_wait_loadcnt_dscnt 0x1410
	v_mul_f32_e32 v11, v122, v139
	v_fmac_f32_e32 v11, v123, v138
	s_delay_alu instid0(VALU_DEP_1) | instskip(NEXT) | instid1(VALU_DEP_1)
	v_dual_add_f32 v9, v9, v11 :: v_dual_mul_f32 v11, v124, v141
	v_fmac_f32_e32 v11, v125, v140
	s_delay_alu instid0(VALU_DEP_1) | instskip(SKIP_2) | instid1(VALU_DEP_1)
	v_add_f32_e32 v9, v9, v11
	s_wait_loadcnt_dscnt 0x130f
	v_mul_f32_e32 v11, v126, v143
	v_fmac_f32_e32 v11, v127, v142
	s_delay_alu instid0(VALU_DEP_1) | instskip(NEXT) | instid1(VALU_DEP_1)
	v_dual_add_f32 v9, v9, v11 :: v_dual_mul_f32 v11, v128, v145
	v_fmac_f32_e32 v11, v129, v144
	;; [unrolled: 8-line block ×16, first 2 shown]
	s_set_vgpr_msb 64                       ;  msbs: dst=1 src0=0 src1=0 src2=0
	s_delay_alu instid0(VALU_DEP_1) | instskip(SKIP_2) | instid1(VALU_DEP_1)
	v_add_f32_e32 v23 /*v279*/, v9, v11
	s_set_vgpr_msb 0                        ;  msbs: dst=0 src0=0 src1=0 src2=0
	v_dual_mul_f32 v9, v119, v135 :: v_dual_mul_f32 v11, v121, v137
	v_dual_fma_f32 v9, v118, v134, -v9 :: v_dual_fma_f32 v11, v120, v136, -v11
	s_delay_alu instid0(VALU_DEP_1) | instskip(NEXT) | instid1(VALU_DEP_1)
	v_add_f32_e32 v9, 0, v9
	v_add_f32_e32 v9, v9, v11
	v_mul_f32_e32 v11, v123, v139
	s_delay_alu instid0(VALU_DEP_1) | instskip(NEXT) | instid1(VALU_DEP_1)
	v_fma_f32 v11, v122, v138, -v11
	v_add_f32_e32 v9, v9, v11
	v_mul_f32_e32 v11, v125, v141
	s_delay_alu instid0(VALU_DEP_1) | instskip(NEXT) | instid1(VALU_DEP_1)
	v_fma_f32 v11, v124, v140, -v11
	;; [unrolled: 4-line block ×5, first 2 shown]
	v_add_f32_e32 v9, v9, v11
	v_mul_f32_e32 v11, v133, v149
	s_delay_alu instid0(VALU_DEP_1)
	v_fma_f32 v11, v132, v148, -v11
	ds_load_b128 v[118:121], v7 offset:864
	ds_load_b128 v[122:125], v7 offset:880
	;; [unrolled: 1-line block ×4, first 2 shown]
	v_add_f32_e32 v9, v9, v11
	v_mul_f32_e32 v11, v151, v155
	s_delay_alu instid0(VALU_DEP_1) | instskip(NEXT) | instid1(VALU_DEP_1)
	v_fma_f32 v11, v150, v154, -v11
	v_add_f32_e32 v9, v9, v11
	v_mul_f32_e32 v11, v153, v157
	s_wait_loadcnt_dscnt 0x303
	s_set_vgpr_msb 4                        ;  msbs: dst=0 src0=0 src1=1 src2=0
	v_pk_mul_f32 v[136:137], v[118:119], v[6:7] /*v[262:263]*/ op_sel:[1,1] op_sel_hi:[0,1]
	s_set_vgpr_msb 0                        ;  msbs: dst=0 src0=0 src1=0 src2=0
	v_fma_f32 v11, v152, v156, -v11
	s_set_vgpr_msb 4                        ;  msbs: dst=0 src0=0 src1=1 src2=0
	s_delay_alu instid0(VALU_DEP_2)
	v_pk_fma_f32 v[138:139], v[118:119], v[6:7] /*v[262:263]*/, v[136:137] neg_lo:[0,0,1] neg_hi:[0,0,1]
	v_pk_fma_f32 v[118:119], v[118:119], v[6:7] /*v[262:263]*/, v[136:137] op_sel_hi:[1,0,1]
	s_set_vgpr_msb 1                        ;  msbs: dst=0 src0=1 src1=0 src2=0
	v_mov_b32_e32 v136, v9 /*v265*/
	s_set_vgpr_msb 0                        ;  msbs: dst=0 src0=0 src1=0 src2=0
	v_add_f32_e32 v9, v9, v11
	v_mul_f32_e32 v11, v159, v163
	s_delay_alu instid0(VALU_DEP_1) | instskip(NEXT) | instid1(VALU_DEP_1)
	v_dual_mov_b32 v139, v119 :: v_dual_fma_f32 v11, v158, v162, -v11
	v_add_f32_e32 v9, v9, v11
	v_mul_f32_e32 v11, v161, v165
	s_delay_alu instid0(VALU_DEP_1) | instskip(NEXT) | instid1(VALU_DEP_1)
	v_fma_f32 v11, v160, v164, -v11
	v_add_f32_e32 v9, v9, v11
	v_mul_f32_e32 v11, v167, v171
	s_delay_alu instid0(VALU_DEP_1) | instskip(NEXT) | instid1(VALU_DEP_1)
	v_fma_f32 v11, v166, v170, -v11
	v_add_f32_e32 v9, v9, v11
	v_mul_f32_e32 v11, v169, v173
	s_delay_alu instid0(VALU_DEP_1) | instskip(NEXT) | instid1(VALU_DEP_1)
	v_fma_f32 v11, v168, v172, -v11
	v_add_f32_e32 v9, v9, v11
	v_mul_f32_e32 v11, v175, v179
	s_delay_alu instid0(VALU_DEP_1) | instskip(NEXT) | instid1(VALU_DEP_1)
	v_fma_f32 v11, v174, v178, -v11
	v_add_f32_e32 v9, v9, v11
	v_mul_f32_e32 v11, v177, v181
	s_delay_alu instid0(VALU_DEP_1) | instskip(NEXT) | instid1(VALU_DEP_1)
	v_fma_f32 v11, v176, v180, -v11
	v_add_f32_e32 v9, v9, v11
	v_mul_f32_e32 v11, v183, v187
	s_delay_alu instid0(VALU_DEP_1) | instskip(NEXT) | instid1(VALU_DEP_1)
	v_fma_f32 v11, v182, v186, -v11
	v_add_f32_e32 v9, v9, v11
	v_mul_f32_e32 v11, v185, v189
	s_delay_alu instid0(VALU_DEP_1) | instskip(NEXT) | instid1(VALU_DEP_1)
	v_fma_f32 v11, v184, v188, -v11
	v_add_f32_e32 v9, v9, v11
	v_mul_f32_e32 v11, v191, v195
	s_delay_alu instid0(VALU_DEP_1) | instskip(NEXT) | instid1(VALU_DEP_1)
	v_fma_f32 v11, v190, v194, -v11
	v_add_f32_e32 v9, v9, v11
	v_mul_f32_e32 v11, v193, v197
	s_delay_alu instid0(VALU_DEP_1) | instskip(NEXT) | instid1(VALU_DEP_1)
	v_fma_f32 v11, v192, v196, -v11
	v_add_f32_e32 v9, v9, v11
	v_mul_f32_e32 v11, v199, v203
	s_delay_alu instid0(VALU_DEP_1) | instskip(NEXT) | instid1(VALU_DEP_1)
	v_fma_f32 v11, v198, v202, -v11
	v_add_f32_e32 v9, v9, v11
	v_mul_f32_e32 v11, v201, v205
	s_delay_alu instid0(VALU_DEP_1) | instskip(NEXT) | instid1(VALU_DEP_1)
	v_fma_f32 v11, v200, v204, -v11
	v_add_f32_e32 v9, v9, v11
	v_mul_f32_e32 v11, v207, v211
	s_delay_alu instid0(VALU_DEP_1) | instskip(NEXT) | instid1(VALU_DEP_1)
	v_fma_f32 v11, v206, v210, -v11
	v_add_f32_e32 v9, v9, v11
	v_mul_f32_e32 v11, v209, v213
	s_delay_alu instid0(VALU_DEP_1) | instskip(NEXT) | instid1(VALU_DEP_1)
	v_fma_f32 v11, v208, v212, -v11
	v_add_f32_e32 v9, v9, v11
	v_mul_f32_e32 v11, v215, v219
	s_delay_alu instid0(VALU_DEP_1) | instskip(NEXT) | instid1(VALU_DEP_1)
	v_fma_f32 v11, v214, v218, -v11
	v_add_f32_e32 v9, v9, v11
	v_mul_f32_e32 v11, v217, v221
	s_delay_alu instid0(VALU_DEP_1) | instskip(NEXT) | instid1(VALU_DEP_1)
	v_fma_f32 v11, v216, v220, -v11
	v_add_f32_e32 v9, v9, v11
	v_mul_f32_e32 v11, v223, v227
	s_delay_alu instid0(VALU_DEP_1) | instskip(NEXT) | instid1(VALU_DEP_1)
	v_fma_f32 v11, v222, v226, -v11
	v_add_f32_e32 v9, v9, v11
	v_mul_f32_e32 v11, v225, v229
	s_delay_alu instid0(VALU_DEP_1) | instskip(NEXT) | instid1(VALU_DEP_1)
	v_fma_f32 v11, v224, v228, -v11
	v_add_f32_e32 v9, v9, v11
	v_mul_f32_e32 v11, v231, v235
	s_delay_alu instid0(VALU_DEP_1) | instskip(NEXT) | instid1(VALU_DEP_1)
	v_fma_f32 v11, v230, v234, -v11
	v_add_f32_e32 v9, v9, v11
	v_mul_f32_e32 v11, v233, v237
	s_delay_alu instid0(VALU_DEP_1) | instskip(NEXT) | instid1(VALU_DEP_1)
	v_fma_f32 v11, v232, v236, -v11
	v_add_f32_e32 v9, v9, v11
	v_mul_f32_e32 v11, v239, v243
	s_delay_alu instid0(VALU_DEP_1) | instskip(NEXT) | instid1(VALU_DEP_1)
	v_fma_f32 v11, v238, v242, -v11
	v_add_f32_e32 v9, v9, v11
	v_mul_f32_e32 v11, v241, v245
	s_delay_alu instid0(VALU_DEP_1) | instskip(NEXT) | instid1(VALU_DEP_1)
	v_fma_f32 v11, v240, v244, -v11
	v_add_f32_e32 v9, v9, v11
	v_mul_f32_e32 v11, v247, v251
	s_delay_alu instid0(VALU_DEP_1) | instskip(NEXT) | instid1(VALU_DEP_1)
	v_fma_f32 v11, v246, v250, -v11
	v_add_f32_e32 v9, v9, v11
	v_mul_f32_e32 v11, v249, v253
	s_delay_alu instid0(VALU_DEP_1) | instskip(SKIP_1) | instid1(VALU_DEP_1)
	v_fma_f32 v11, v248, v252, -v11
	s_set_vgpr_msb 64                       ;  msbs: dst=1 src0=0 src1=0 src2=0
	v_add_f32_e32 v22 /*v278*/, v9, v11
	s_set_vgpr_msb 4                        ;  msbs: dst=0 src0=0 src1=1 src2=0
	v_mul_f32_e32 v9, v255, v3 /*v259*/
	s_set_vgpr_msb 0x44                     ;  msbs: dst=1 src0=0 src1=1 src2=0
	s_delay_alu instid0(VALU_DEP_1) | instskip(NEXT) | instid1(VALU_DEP_1)
	v_dual_mul_f32 v25 /*v281*/, v254, v3 /*v259*/ :: v_dual_fma_f32 v24 /*v280*/, v254, v2 /*v258*/, -v9
	v_fmac_f32_e32 v25 /*v281*/, v255, v2 /*v258*/
	s_set_vgpr_msb 5                        ;  msbs: dst=0 src0=1 src1=1 src2=0
	v_mul_f32_e32 v9, v1 /*v257*/, v5 /*v261*/
	s_set_vgpr_msb 0x45                     ;  msbs: dst=1 src0=1 src1=1 src2=0
	v_mul_f32_e32 v27 /*v283*/, v0 /*v256*/, v5 /*v261*/
	s_set_vgpr_msb 5                        ;  msbs: dst=0 src0=1 src1=1 src2=0
	v_pk_add_f32 v[134:135], v[22:23] /*v[278:279]*/, v[24:25] /*v[280:281]*/
	s_set_vgpr_msb 0x45                     ;  msbs: dst=1 src0=1 src1=1 src2=0
	v_fma_f32 v26 /*v282*/, v0 /*v256*/, v4 /*v260*/, -v9
	v_fmac_f32_e32 v27 /*v283*/, v1 /*v257*/, v4 /*v260*/
	s_set_vgpr_msb 4                        ;  msbs: dst=0 src0=0 src1=1 src2=0
	s_delay_alu instid0(VALU_DEP_1) | instskip(SKIP_1) | instid1(VALU_DEP_1)
	v_pk_add_f32 v[134:135], v[134:135], v[26:27] /*v[282:283]*/
	s_set_vgpr_msb 0                        ;  msbs: dst=0 src0=0 src1=0 src2=0
	v_pk_add_f32 v[118:119], v[134:135], v[138:139]
	v_dual_mov_b32 v134, v121 :: v_dual_mov_b32 v135, v120
	s_delay_alu instid0(VALU_DEP_1) | instskip(SKIP_1) | instid1(VALU_DEP_1)
	v_pk_mul_f32 v[134:135], v[134:135], v[136:137] op_sel_hi:[1,0]
	s_set_vgpr_msb 4                        ;  msbs: dst=0 src0=0 src1=1 src2=0
	v_pk_fma_f32 v[136:137], v[120:121], v[8:9] /*v[264:265]*/, v[134:135] neg_lo:[0,0,1] neg_hi:[0,0,1]
	v_pk_fma_f32 v[120:121], v[120:121], v[8:9] /*v[264:265]*/, v[134:135] op_sel_hi:[1,0,1]
	s_delay_alu instid0(VALU_DEP_1) | instskip(SKIP_3) | instid1(VALU_DEP_2)
	v_mov_b32_e32 v137, v121
	s_wait_loadcnt_dscnt 0x202
	v_pk_mul_f32 v[120:121], v[122:123], v[10:11] /*v[266:267]*/ op_sel:[1,1] op_sel_hi:[0,1]
	s_set_vgpr_msb 0                        ;  msbs: dst=0 src0=0 src1=0 src2=0
	v_pk_add_f32 v[118:119], v[118:119], v[136:137]
	s_set_vgpr_msb 4                        ;  msbs: dst=0 src0=0 src1=1 src2=0
	s_delay_alu instid0(VALU_DEP_2)
	v_pk_fma_f32 v[134:135], v[122:123], v[10:11] /*v[266:267]*/, v[120:121] neg_lo:[0,0,1] neg_hi:[0,0,1]
	v_pk_fma_f32 v[120:121], v[122:123], v[10:11] /*v[266:267]*/, v[120:121] op_sel_hi:[1,0,1]
	v_mov_b32_e32 v120, v125
	s_set_vgpr_msb 1                        ;  msbs: dst=0 src0=1 src1=0 src2=0
	v_mov_b32_e32 v122, v13 /*v269*/
	s_set_vgpr_msb 0                        ;  msbs: dst=0 src0=0 src1=0 src2=0
	v_dual_mov_b32 v135, v121 :: v_dual_mov_b32 v121, v124
	s_delay_alu instid0(VALU_DEP_1) | instskip(NEXT) | instid1(VALU_DEP_2)
	v_pk_add_f32 v[118:119], v[118:119], v[134:135]
	v_pk_mul_f32 v[120:121], v[120:121], v[122:123] op_sel_hi:[1,0]
	s_set_vgpr_msb 4                        ;  msbs: dst=0 src0=0 src1=1 src2=0
	s_delay_alu instid0(VALU_DEP_1) | instskip(SKIP_1) | instid1(VALU_DEP_1)
	v_pk_fma_f32 v[122:123], v[124:125], v[12:13] /*v[268:269]*/, v[120:121] neg_lo:[0,0,1] neg_hi:[0,0,1]
	v_pk_fma_f32 v[120:121], v[124:125], v[12:13] /*v[268:269]*/, v[120:121] op_sel_hi:[1,0,1]
	v_mov_b32_e32 v123, v121
	s_wait_loadcnt_dscnt 0x101
	v_pk_mul_f32 v[120:121], v[126:127], v[14:15] /*v[270:271]*/ op_sel:[1,1] op_sel_hi:[0,1]
	s_set_vgpr_msb 0                        ;  msbs: dst=0 src0=0 src1=0 src2=0
	s_delay_alu instid0(VALU_DEP_2) | instskip(SKIP_1) | instid1(VALU_DEP_2)
	v_pk_add_f32 v[118:119], v[118:119], v[122:123]
	s_set_vgpr_msb 4                        ;  msbs: dst=0 src0=0 src1=1 src2=0
	v_pk_fma_f32 v[122:123], v[126:127], v[14:15] /*v[270:271]*/, v[120:121] neg_lo:[0,0,1] neg_hi:[0,0,1]
	v_pk_fma_f32 v[120:121], v[126:127], v[14:15] /*v[270:271]*/, v[120:121] op_sel_hi:[1,0,1]
	s_delay_alu instid0(VALU_DEP_1) | instskip(SKIP_2) | instid1(VALU_DEP_2)
	v_dual_mov_b32 v120, v129 :: v_dual_mov_b32 v123, v121
	v_mov_b32_e32 v121, v128
	s_set_vgpr_msb 0                        ;  msbs: dst=0 src0=0 src1=0 src2=0
	v_pk_add_f32 v[118:119], v[118:119], v[122:123]
	s_set_vgpr_msb 1                        ;  msbs: dst=0 src0=1 src1=0 src2=0
	v_mov_b32_e32 v122, v17 /*v273*/
	s_set_vgpr_msb 0                        ;  msbs: dst=0 src0=0 src1=0 src2=0
	s_delay_alu instid0(VALU_DEP_1) | instskip(SKIP_1) | instid1(VALU_DEP_1)
	v_pk_mul_f32 v[120:121], v[120:121], v[122:123] op_sel_hi:[1,0]
	s_set_vgpr_msb 4                        ;  msbs: dst=0 src0=0 src1=1 src2=0
	v_pk_fma_f32 v[122:123], v[128:129], v[16:17] /*v[272:273]*/, v[120:121] neg_lo:[0,0,1] neg_hi:[0,0,1]
	v_pk_fma_f32 v[120:121], v[128:129], v[16:17] /*v[272:273]*/, v[120:121] op_sel_hi:[1,0,1]
	s_delay_alu instid0(VALU_DEP_1) | instskip(SKIP_3) | instid1(VALU_DEP_2)
	v_mov_b32_e32 v123, v121
	s_wait_loadcnt_dscnt 0x0
	v_pk_mul_f32 v[120:121], v[130:131], v[18:19] /*v[274:275]*/ op_sel:[1,1] op_sel_hi:[0,1]
	s_set_vgpr_msb 0                        ;  msbs: dst=0 src0=0 src1=0 src2=0
	v_pk_add_f32 v[118:119], v[118:119], v[122:123]
	s_set_vgpr_msb 4                        ;  msbs: dst=0 src0=0 src1=1 src2=0
	s_delay_alu instid0(VALU_DEP_2) | instskip(SKIP_1) | instid1(VALU_DEP_1)
	v_pk_fma_f32 v[122:123], v[130:131], v[18:19] /*v[274:275]*/, v[120:121] neg_lo:[0,0,1] neg_hi:[0,0,1]
	v_pk_fma_f32 v[120:121], v[130:131], v[18:19] /*v[274:275]*/, v[120:121] op_sel_hi:[1,0,1]
	v_dual_mov_b32 v120, v133 :: v_dual_mov_b32 v123, v121
	v_mov_b32_e32 v121, v132
	s_set_vgpr_msb 0                        ;  msbs: dst=0 src0=0 src1=0 src2=0
	s_delay_alu instid0(VALU_DEP_2) | instskip(SKIP_3) | instid1(VALU_DEP_1)
	v_pk_add_f32 v[118:119], v[118:119], v[122:123]
	s_set_vgpr_msb 1                        ;  msbs: dst=0 src0=1 src1=0 src2=0
	v_mov_b32_e32 v122, v21 /*v277*/
	s_set_vgpr_msb 0                        ;  msbs: dst=0 src0=0 src1=0 src2=0
	v_pk_mul_f32 v[120:121], v[120:121], v[122:123] op_sel_hi:[1,0]
	s_set_vgpr_msb 4                        ;  msbs: dst=0 src0=0 src1=1 src2=0
	s_delay_alu instid0(VALU_DEP_1) | instskip(SKIP_1) | instid1(VALU_DEP_1)
	v_pk_fma_f32 v[122:123], v[132:133], v[20:21] /*v[276:277]*/, v[120:121] neg_lo:[0,0,1] neg_hi:[0,0,1]
	v_pk_fma_f32 v[120:121], v[132:133], v[20:21] /*v[276:277]*/, v[120:121] op_sel_hi:[1,0,1]
	v_mov_b32_e32 v123, v121
	scratch_load_b64 v[120:121], off, off offset:104
	s_set_vgpr_msb 0                        ;  msbs: dst=0 src0=0 src1=0 src2=0
	v_pk_add_f32 v[118:119], v[118:119], v[122:123]
	s_wait_loadcnt 0x0
	s_delay_alu instid0(VALU_DEP_1)
	v_pk_add_f32 v[118:119], v[120:121], v[118:119] neg_lo:[0,1] neg_hi:[0,1]
	scratch_store_b64 off, v[118:119], off offset:104
	s_wait_xcnt 0x0
	v_cmpx_lt_u32_e32 12, v0
	s_cbranch_execz .LBB57_337
; %bb.336:
	scratch_load_b64 v[118:119], off, off offset:96
	v_mov_b64_e32 v[120:121], 0
	scratch_store_b64 off, v[120:121], off offset:96
	s_wait_loadcnt 0x0
	ds_store_b64 v1, v[118:119]
.LBB57_337:
	s_wait_xcnt 0x0
	s_or_b32 exec_lo, exec_lo, s0
	s_wait_storecnt_dscnt 0x0
	s_barrier_signal -1
	s_barrier_wait -1
	s_clause 0xf
	scratch_load_b128 v[122:125], off, off offset:104
	scratch_load_b128 v[130:133], off, off offset:120
	;; [unrolled: 1-line block ×16, first 2 shown]
	v_mov_b32_e32 v7, 0
	s_clause 0x3
	scratch_load_b128 v[250:253], off, off offset:360
	s_set_vgpr_msb 64                       ;  msbs: dst=1 src0=0 src1=0 src2=0
	scratch_load_b128 v[2:5] /*v[258:261]*/, off, off offset:376
	scratch_load_b128 v[10:13] /*v[266:269]*/, off, off offset:392
	s_mov_b32 s0, exec_lo
	s_set_vgpr_msb 0                        ;  msbs: dst=0 src0=0 src1=0 src2=0
	ds_load_2addr_b64 v[118:121], v7 offset0:71 offset1:72
	ds_load_2addr_b64 v[126:129], v7 offset0:73 offset1:74
	s_wait_loadcnt_dscnt 0x1201
	v_dual_mul_f32 v9, v118, v123 :: v_dual_mul_f32 v11, v120, v125
	ds_load_2addr_b64 v[134:137], v7 offset0:75 offset1:76
	ds_load_2addr_b64 v[142:145], v7 offset0:77 offset1:78
	ds_load_2addr_b64 v[150:153], v7 offset0:79 offset1:80
	ds_load_2addr_b64 v[158:161], v7 offset0:81 offset1:82
	v_dual_fmac_f32 v9, v119, v122 :: v_dual_fmac_f32 v11, v121, v124
	ds_load_2addr_b64 v[166:169], v7 offset0:83 offset1:84
	ds_load_2addr_b64 v[174:177], v7 offset0:85 offset1:86
	;; [unrolled: 1-line block ×4, first 2 shown]
	v_add_f32_e32 v9, 0, v9
	ds_load_2addr_b64 v[198:201], v7 offset0:91 offset1:92
	ds_load_2addr_b64 v[206:209], v7 offset0:93 offset1:94
	;; [unrolled: 1-line block ×4, first 2 shown]
	v_add_f32_e32 v9, v9, v11
	s_wait_loadcnt_dscnt 0x110c
	v_mul_f32_e32 v11, v126, v131
	ds_load_2addr_b64 v[230:233], v7 offset0:99 offset1:100
	ds_load_2addr_b64 v[238:241], v7 offset0:101 offset1:102
	;; [unrolled: 1-line block ×4, first 2 shown]
	v_fmac_f32_e32 v11, v127, v130
	s_set_vgpr_msb 64                       ;  msbs: dst=1 src0=0 src1=0 src2=0
	ds_load_2addr_b64 v[6:9] /*v[262:265]*/, v7 offset0:107 offset1:108
	s_clause 0x3
	scratch_load_b128 v[14:17] /*v[270:273]*/, off, off offset:408
	scratch_load_b128 v[18:21] /*v[274:277]*/, off, off offset:424
	scratch_load_b128 v[22:25] /*v[278:281]*/, off, off offset:440
	scratch_load_b64 v[32:33] /*v[288:289]*/, off, off offset:456
	s_set_vgpr_msb 0                        ;  msbs: dst=0 src0=0 src1=0 src2=0
	v_dual_add_f32 v9, v9, v11 :: v_dual_mul_f32 v11, v128, v133
	s_delay_alu instid0(VALU_DEP_1) | instskip(NEXT) | instid1(VALU_DEP_1)
	v_fmac_f32_e32 v11, v129, v132
	v_add_f32_e32 v9, v9, v11
	s_wait_loadcnt_dscnt 0x1410
	v_mul_f32_e32 v11, v134, v139
	s_wait_loadcnt_dscnt 0x400
	s_set_vgpr_msb 0x45                     ;  msbs: dst=1 src0=1 src1=1 src2=0
	v_dual_mul_f32 v29 /*v285*/, v0 /*v256*/, v5 /*v261*/ :: v_dual_mul_f32 v31 /*v287*/, v6 /*v262*/, v11 /*v267*/
	s_set_vgpr_msb 0                        ;  msbs: dst=0 src0=0 src1=0 src2=0
	v_fmac_f32_e32 v11, v135, v138
	s_set_vgpr_msb 0x45                     ;  msbs: dst=1 src0=1 src1=1 src2=0
	s_delay_alu instid0(VALU_DEP_2) | instskip(SKIP_1) | instid1(VALU_DEP_2)
	v_dual_fmac_f32 v29 /*v285*/, v1 /*v257*/, v4 /*v260*/ :: v_dual_fmac_f32 v31 /*v287*/, v7 /*v263*/, v10 /*v266*/
	s_set_vgpr_msb 0                        ;  msbs: dst=0 src0=0 src1=0 src2=0
	v_dual_add_f32 v9, v9, v11 :: v_dual_mul_f32 v11, v136, v141
	s_delay_alu instid0(VALU_DEP_1) | instskip(NEXT) | instid1(VALU_DEP_1)
	v_fmac_f32_e32 v11, v137, v140
	v_add_f32_e32 v9, v9, v11
	v_mul_f32_e32 v11, v142, v147
	s_delay_alu instid0(VALU_DEP_1) | instskip(NEXT) | instid1(VALU_DEP_1)
	v_fmac_f32_e32 v11, v143, v146
	v_dual_add_f32 v9, v9, v11 :: v_dual_mul_f32 v11, v144, v149
	s_delay_alu instid0(VALU_DEP_1) | instskip(NEXT) | instid1(VALU_DEP_1)
	v_fmac_f32_e32 v11, v145, v148
	v_add_f32_e32 v9, v9, v11
	v_mul_f32_e32 v11, v150, v155
	s_delay_alu instid0(VALU_DEP_1) | instskip(NEXT) | instid1(VALU_DEP_1)
	v_fmac_f32_e32 v11, v151, v154
	;; [unrolled: 7-line block ×14, first 2 shown]
	v_dual_add_f32 v9, v9, v11 :: v_dual_mul_f32 v11, v248, v253
	s_delay_alu instid0(VALU_DEP_1) | instskip(NEXT) | instid1(VALU_DEP_1)
	v_fmac_f32_e32 v11, v249, v252
	v_add_f32_e32 v9, v9, v11
	s_set_vgpr_msb 4                        ;  msbs: dst=0 src0=0 src1=1 src2=0
	v_mul_f32_e32 v11, v254, v3 /*v259*/
	s_delay_alu instid0(VALU_DEP_1) | instskip(SKIP_1) | instid1(VALU_DEP_1)
	v_fmac_f32_e32 v11, v255, v2 /*v258*/
	s_set_vgpr_msb 64                       ;  msbs: dst=1 src0=0 src1=0 src2=0
	v_add_f32_e32 v27 /*v283*/, v9, v11
	s_set_vgpr_msb 0                        ;  msbs: dst=0 src0=0 src1=0 src2=0
	v_dual_mul_f32 v9, v119, v123 :: v_dual_mul_f32 v11, v121, v125
	s_delay_alu instid0(VALU_DEP_1) | instskip(NEXT) | instid1(VALU_DEP_1)
	v_dual_fma_f32 v9, v118, v122, -v9 :: v_dual_fma_f32 v11, v120, v124, -v11
	v_add_f32_e32 v9, 0, v9
	s_delay_alu instid0(VALU_DEP_1) | instskip(SKIP_1) | instid1(VALU_DEP_1)
	v_add_f32_e32 v9, v9, v11
	v_mul_f32_e32 v11, v127, v131
	v_fma_f32 v11, v126, v130, -v11
	s_delay_alu instid0(VALU_DEP_1) | instskip(SKIP_1) | instid1(VALU_DEP_1)
	v_add_f32_e32 v9, v9, v11
	v_mul_f32_e32 v11, v129, v133
	v_fma_f32 v11, v128, v132, -v11
	ds_load_2addr_b64 v[118:121], v7 offset0:109 offset1:110
	ds_load_2addr_b64 v[122:125], v7 offset0:111 offset1:112
	;; [unrolled: 1-line block ×3, first 2 shown]
	ds_load_b64 v[130:131], v7 offset:920
	v_add_f32_e32 v9, v9, v11
	v_mul_f32_e32 v11, v135, v139
	s_set_vgpr_msb 1                        ;  msbs: dst=0 src0=1 src1=0 src2=0
	v_mov_b32_e32 v135, v8 /*v264*/
	s_set_vgpr_msb 0                        ;  msbs: dst=0 src0=0 src1=0 src2=0
	s_delay_alu instid0(VALU_DEP_2) | instskip(SKIP_3) | instid1(VALU_DEP_2)
	v_fma_f32 v11, v134, v138, -v11
	s_set_vgpr_msb 1                        ;  msbs: dst=0 src0=1 src1=0 src2=0
	v_mov_b32_e32 v134, v9 /*v265*/
	s_set_vgpr_msb 0                        ;  msbs: dst=0 src0=0 src1=0 src2=0
	v_add_f32_e32 v9, v9, v11
	v_mul_f32_e32 v11, v137, v141
	s_delay_alu instid0(VALU_DEP_1) | instskip(SKIP_3) | instid1(VALU_DEP_2)
	v_fma_f32 v11, v136, v140, -v11
	s_set_vgpr_msb 1                        ;  msbs: dst=0 src0=1 src1=0 src2=0
	v_mov_b32_e32 v136, v13 /*v269*/
	s_set_vgpr_msb 0                        ;  msbs: dst=0 src0=0 src1=0 src2=0
	v_add_f32_e32 v9, v9, v11
	v_mul_f32_e32 v11, v143, v147
	s_delay_alu instid0(VALU_DEP_3) | instskip(NEXT) | instid1(VALU_DEP_2)
	v_pk_mul_f32 v[134:135], v[134:135], v[136:137] op_sel_hi:[1,0]
	v_fma_f32 v11, v142, v146, -v11
	s_set_vgpr_msb 5                        ;  msbs: dst=0 src0=1 src1=1 src2=0
	s_delay_alu instid0(VALU_DEP_2) | instskip(SKIP_3) | instid1(VALU_DEP_2)
	v_pk_fma_f32 v[136:137], v[8:9] /*v[264:265]*/, v[12:13] /*v[268:269]*/, v[134:135] neg_lo:[0,0,1] neg_hi:[0,0,1]
	v_pk_fma_f32 v[134:135], v[8:9] /*v[264:265]*/, v[12:13] /*v[268:269]*/, v[134:135] op_sel_hi:[1,0,1]
	s_set_vgpr_msb 0                        ;  msbs: dst=0 src0=0 src1=0 src2=0
	v_add_f32_e32 v9, v9, v11
	v_dual_mul_f32 v11, v145, v149 :: v_dual_mov_b32 v137, v135
	s_wait_loadcnt_dscnt 0x303
	s_set_vgpr_msb 4                        ;  msbs: dst=0 src0=0 src1=1 src2=0
	v_pk_mul_f32 v[134:135], v[118:119], v[14:15] /*v[270:271]*/ op_sel:[1,1] op_sel_hi:[0,1]
	s_set_vgpr_msb 0                        ;  msbs: dst=0 src0=0 src1=0 src2=0
	v_fma_f32 v11, v144, v148, -v11
	s_delay_alu instid0(VALU_DEP_1) | instskip(SKIP_1) | instid1(VALU_DEP_1)
	v_add_f32_e32 v9, v9, v11
	v_mul_f32_e32 v11, v151, v155
	v_fma_f32 v11, v150, v154, -v11
	s_delay_alu instid0(VALU_DEP_1) | instskip(SKIP_1) | instid1(VALU_DEP_1)
	v_add_f32_e32 v9, v9, v11
	v_mul_f32_e32 v11, v153, v157
	;; [unrolled: 4-line block ×26, first 2 shown]
	v_fma_f32 v11, v248, v252, -v11
	s_delay_alu instid0(VALU_DEP_1) | instskip(SKIP_2) | instid1(VALU_DEP_1)
	v_add_f32_e32 v9, v9, v11
	s_set_vgpr_msb 4                        ;  msbs: dst=0 src0=0 src1=1 src2=0
	v_mul_f32_e32 v11, v255, v3 /*v259*/
	v_fma_f32 v11, v254, v2 /*v258*/, -v11
	s_set_vgpr_msb 64                       ;  msbs: dst=1 src0=0 src1=0 src2=0
	s_delay_alu instid0(VALU_DEP_1) | instskip(SKIP_3) | instid1(VALU_DEP_1)
	v_add_f32_e32 v26 /*v282*/, v9, v11
	s_set_vgpr_msb 5                        ;  msbs: dst=0 src0=1 src1=1 src2=0
	v_mul_f32_e32 v9, v1 /*v257*/, v5 /*v261*/
	s_set_vgpr_msb 0x45                     ;  msbs: dst=1 src0=1 src1=1 src2=0
	v_fma_f32 v28 /*v284*/, v0 /*v256*/, v4 /*v260*/, -v9
	s_set_vgpr_msb 5                        ;  msbs: dst=0 src0=1 src1=1 src2=0
	v_mul_f32_e32 v9, v7 /*v263*/, v11 /*v267*/
	s_set_vgpr_msb 0x45                     ;  msbs: dst=1 src0=1 src1=1 src2=0
	s_delay_alu instid0(VALU_DEP_1) | instskip(SKIP_3) | instid1(VALU_DEP_1)
	v_fma_f32 v30 /*v286*/, v6 /*v262*/, v10 /*v266*/, -v9
	s_set_vgpr_msb 5                        ;  msbs: dst=0 src0=1 src1=1 src2=0
	v_pk_add_f32 v[132:133], v[26:27] /*v[282:283]*/, v[28:29] /*v[284:285]*/
	s_set_vgpr_msb 4                        ;  msbs: dst=0 src0=0 src1=1 src2=0
	v_pk_add_f32 v[132:133], v[132:133], v[30:31] /*v[286:287]*/
	s_set_vgpr_msb 0                        ;  msbs: dst=0 src0=0 src1=0 src2=0
	s_delay_alu instid0(VALU_DEP_1)
	v_pk_add_f32 v[132:133], v[132:133], v[136:137]
	s_set_vgpr_msb 4                        ;  msbs: dst=0 src0=0 src1=1 src2=0
	v_pk_fma_f32 v[136:137], v[118:119], v[14:15] /*v[270:271]*/, v[134:135] neg_lo:[0,0,1] neg_hi:[0,0,1]
	v_pk_fma_f32 v[118:119], v[118:119], v[14:15] /*v[270:271]*/, v[134:135] op_sel_hi:[1,0,1]
	s_set_vgpr_msb 1                        ;  msbs: dst=0 src0=1 src1=0 src2=0
	v_mov_b32_e32 v134, v17 /*v273*/
	s_set_vgpr_msb 0                        ;  msbs: dst=0 src0=0 src1=0 src2=0
	s_delay_alu instid0(VALU_DEP_2) | instskip(NEXT) | instid1(VALU_DEP_1)
	v_mov_b32_e32 v137, v119
	v_pk_add_f32 v[118:119], v[132:133], v[136:137]
	v_dual_mov_b32 v132, v121 :: v_dual_mov_b32 v133, v120
	s_delay_alu instid0(VALU_DEP_1) | instskip(SKIP_1) | instid1(VALU_DEP_1)
	v_pk_mul_f32 v[132:133], v[132:133], v[134:135] op_sel_hi:[1,0]
	s_set_vgpr_msb 4                        ;  msbs: dst=0 src0=0 src1=1 src2=0
	v_pk_fma_f32 v[134:135], v[120:121], v[16:17] /*v[272:273]*/, v[132:133] neg_lo:[0,0,1] neg_hi:[0,0,1]
	v_pk_fma_f32 v[120:121], v[120:121], v[16:17] /*v[272:273]*/, v[132:133] op_sel_hi:[1,0,1]
	s_delay_alu instid0(VALU_DEP_1) | instskip(SKIP_3) | instid1(VALU_DEP_2)
	v_mov_b32_e32 v135, v121
	s_wait_loadcnt_dscnt 0x202
	v_pk_mul_f32 v[120:121], v[122:123], v[18:19] /*v[274:275]*/ op_sel:[1,1] op_sel_hi:[0,1]
	s_set_vgpr_msb 0                        ;  msbs: dst=0 src0=0 src1=0 src2=0
	v_pk_add_f32 v[118:119], v[118:119], v[134:135]
	s_set_vgpr_msb 4                        ;  msbs: dst=0 src0=0 src1=1 src2=0
	s_delay_alu instid0(VALU_DEP_2)
	v_pk_fma_f32 v[132:133], v[122:123], v[18:19] /*v[274:275]*/, v[120:121] neg_lo:[0,0,1] neg_hi:[0,0,1]
	v_pk_fma_f32 v[120:121], v[122:123], v[18:19] /*v[274:275]*/, v[120:121] op_sel_hi:[1,0,1]
	v_mov_b32_e32 v120, v125
	s_set_vgpr_msb 1                        ;  msbs: dst=0 src0=1 src1=0 src2=0
	v_mov_b32_e32 v122, v21 /*v277*/
	s_set_vgpr_msb 0                        ;  msbs: dst=0 src0=0 src1=0 src2=0
	v_dual_mov_b32 v133, v121 :: v_dual_mov_b32 v121, v124
	s_delay_alu instid0(VALU_DEP_1) | instskip(NEXT) | instid1(VALU_DEP_2)
	v_pk_add_f32 v[118:119], v[118:119], v[132:133]
	v_pk_mul_f32 v[120:121], v[120:121], v[122:123] op_sel_hi:[1,0]
	s_set_vgpr_msb 4                        ;  msbs: dst=0 src0=0 src1=1 src2=0
	s_delay_alu instid0(VALU_DEP_1) | instskip(SKIP_1) | instid1(VALU_DEP_1)
	v_pk_fma_f32 v[122:123], v[124:125], v[20:21] /*v[276:277]*/, v[120:121] neg_lo:[0,0,1] neg_hi:[0,0,1]
	v_pk_fma_f32 v[120:121], v[124:125], v[20:21] /*v[276:277]*/, v[120:121] op_sel_hi:[1,0,1]
	v_mov_b32_e32 v123, v121
	s_wait_loadcnt_dscnt 0x101
	v_pk_mul_f32 v[120:121], v[126:127], v[22:23] /*v[278:279]*/ op_sel:[1,1] op_sel_hi:[0,1]
	s_set_vgpr_msb 0                        ;  msbs: dst=0 src0=0 src1=0 src2=0
	s_delay_alu instid0(VALU_DEP_2) | instskip(SKIP_1) | instid1(VALU_DEP_2)
	v_pk_add_f32 v[118:119], v[118:119], v[122:123]
	s_set_vgpr_msb 4                        ;  msbs: dst=0 src0=0 src1=1 src2=0
	v_pk_fma_f32 v[122:123], v[126:127], v[22:23] /*v[278:279]*/, v[120:121] neg_lo:[0,0,1] neg_hi:[0,0,1]
	v_pk_fma_f32 v[120:121], v[126:127], v[22:23] /*v[278:279]*/, v[120:121] op_sel_hi:[1,0,1]
	s_delay_alu instid0(VALU_DEP_1) | instskip(SKIP_2) | instid1(VALU_DEP_2)
	v_dual_mov_b32 v120, v129 :: v_dual_mov_b32 v123, v121
	v_mov_b32_e32 v121, v128
	s_set_vgpr_msb 0                        ;  msbs: dst=0 src0=0 src1=0 src2=0
	v_pk_add_f32 v[118:119], v[118:119], v[122:123]
	s_set_vgpr_msb 1                        ;  msbs: dst=0 src0=1 src1=0 src2=0
	v_mov_b32_e32 v122, v25 /*v281*/
	s_set_vgpr_msb 0                        ;  msbs: dst=0 src0=0 src1=0 src2=0
	s_delay_alu instid0(VALU_DEP_1) | instskip(SKIP_1) | instid1(VALU_DEP_1)
	v_pk_mul_f32 v[120:121], v[120:121], v[122:123] op_sel_hi:[1,0]
	s_set_vgpr_msb 4                        ;  msbs: dst=0 src0=0 src1=1 src2=0
	v_pk_fma_f32 v[122:123], v[128:129], v[24:25] /*v[280:281]*/, v[120:121] neg_lo:[0,0,1] neg_hi:[0,0,1]
	v_pk_fma_f32 v[120:121], v[128:129], v[24:25] /*v[280:281]*/, v[120:121] op_sel_hi:[1,0,1]
	s_delay_alu instid0(VALU_DEP_1) | instskip(SKIP_3) | instid1(VALU_DEP_2)
	v_mov_b32_e32 v123, v121
	s_wait_loadcnt_dscnt 0x0
	v_pk_mul_f32 v[120:121], v[130:131], v[32:33] /*v[288:289]*/ op_sel:[1,1] op_sel_hi:[0,1]
	s_set_vgpr_msb 0                        ;  msbs: dst=0 src0=0 src1=0 src2=0
	v_pk_add_f32 v[118:119], v[118:119], v[122:123]
	s_set_vgpr_msb 4                        ;  msbs: dst=0 src0=0 src1=1 src2=0
	s_delay_alu instid0(VALU_DEP_2) | instskip(SKIP_1) | instid1(VALU_DEP_1)
	v_pk_fma_f32 v[122:123], v[130:131], v[32:33] /*v[288:289]*/, v[120:121] neg_lo:[0,0,1] neg_hi:[0,0,1]
	v_pk_fma_f32 v[120:121], v[130:131], v[32:33] /*v[288:289]*/, v[120:121] op_sel_hi:[1,0,1]
	v_mov_b32_e32 v123, v121
	scratch_load_b64 v[120:121], off, off offset:96
	s_set_vgpr_msb 0                        ;  msbs: dst=0 src0=0 src1=0 src2=0
	v_pk_add_f32 v[118:119], v[118:119], v[122:123]
	s_wait_loadcnt 0x0
	s_delay_alu instid0(VALU_DEP_1)
	v_pk_add_f32 v[118:119], v[120:121], v[118:119] neg_lo:[0,1] neg_hi:[0,1]
	scratch_store_b64 off, v[118:119], off offset:96
	s_wait_xcnt 0x0
	v_cmpx_lt_u32_e32 11, v0
	s_cbranch_execz .LBB57_339
; %bb.338:
	scratch_load_b64 v[118:119], off, off offset:88
	v_mov_b64_e32 v[120:121], 0
	scratch_store_b64 off, v[120:121], off offset:88
	s_wait_loadcnt 0x0
	ds_store_b64 v1, v[118:119]
.LBB57_339:
	s_wait_xcnt 0x0
	s_or_b32 exec_lo, exec_lo, s0
	s_wait_storecnt_dscnt 0x0
	s_barrier_signal -1
	s_barrier_wait -1
	ds_load_b128 v[118:121], v7 offset:560
	ds_load_b128 v[122:125], v7 offset:576
	;; [unrolled: 1-line block ×4, first 2 shown]
	s_clause 0x12
	scratch_load_b128 v[134:137], off, off offset:96
	scratch_load_b128 v[138:141], off, off offset:112
	;; [unrolled: 1-line block ×17, first 2 shown]
	s_set_vgpr_msb 64                       ;  msbs: dst=1 src0=0 src1=0 src2=0
	scratch_load_b128 v[2:5] /*v[258:261]*/, off, off offset:368
	s_set_vgpr_msb 0                        ;  msbs: dst=0 src0=0 src1=0 src2=0
	ds_load_b128 v[150:153], v7 offset:624
	ds_load_b128 v[158:161], v7 offset:640
	;; [unrolled: 1-line block ×14, first 2 shown]
	s_set_vgpr_msb 64                       ;  msbs: dst=1 src0=0 src1=0 src2=0
	ds_load_b128 v[6:9] /*v[262:265]*/, v7 offset:848
	s_clause 0x4
	scratch_load_b128 v[10:13] /*v[266:269]*/, off, off offset:384
	scratch_load_b128 v[14:17] /*v[270:273]*/, off, off offset:400
	;; [unrolled: 1-line block ×5, first 2 shown]
	s_mov_b32 s0, exec_lo
	s_wait_loadcnt_dscnt 0x1612
	s_set_vgpr_msb 0                        ;  msbs: dst=0 src0=0 src1=0 src2=0
	v_dual_mul_f32 v9, v118, v135 :: v_dual_mul_f32 v11, v120, v137
	s_delay_alu instid0(VALU_DEP_1) | instskip(NEXT) | instid1(VALU_DEP_1)
	v_dual_fmac_f32 v9, v119, v134 :: v_dual_fmac_f32 v11, v121, v136
	v_add_f32_e32 v9, 0, v9
	s_delay_alu instid0(VALU_DEP_1) | instskip(SKIP_2) | instid1(VALU_DEP_1)
	v_add_f32_e32 v9, v9, v11
	s_wait_loadcnt_dscnt 0x1511
	v_mul_f32_e32 v11, v122, v139
	v_fmac_f32_e32 v11, v123, v138
	s_delay_alu instid0(VALU_DEP_1) | instskip(NEXT) | instid1(VALU_DEP_1)
	v_dual_add_f32 v9, v9, v11 :: v_dual_mul_f32 v11, v124, v141
	v_fmac_f32_e32 v11, v125, v140
	s_wait_loadcnt_dscnt 0x400
	s_set_vgpr_msb 0x45                     ;  msbs: dst=1 src0=1 src1=1 src2=0
	v_dual_mul_f32 v33 /*v289*/, v6 /*v262*/, v11 /*v267*/ :: v_dual_mul_f32 v35 /*v291*/, v8 /*v264*/, v13 /*v269*/
	s_set_vgpr_msb 0                        ;  msbs: dst=0 src0=0 src1=0 src2=0
	v_add_f32_e32 v9, v9, v11
	v_mul_f32_e32 v11, v126, v143
	s_set_vgpr_msb 0x45                     ;  msbs: dst=1 src0=1 src1=1 src2=0
	v_dual_fmac_f32 v33 /*v289*/, v7 /*v263*/, v10 /*v266*/ :: v_dual_fmac_f32 v35 /*v291*/, v9 /*v265*/, v12 /*v268*/
	s_set_vgpr_msb 0                        ;  msbs: dst=0 src0=0 src1=0 src2=0
	s_delay_alu instid0(VALU_DEP_2) | instskip(NEXT) | instid1(VALU_DEP_1)
	v_fmac_f32_e32 v11, v127, v142
	v_dual_add_f32 v9, v9, v11 :: v_dual_mul_f32 v11, v128, v145
	s_delay_alu instid0(VALU_DEP_1) | instskip(NEXT) | instid1(VALU_DEP_1)
	v_fmac_f32_e32 v11, v129, v144
	v_add_f32_e32 v9, v9, v11
	v_mul_f32_e32 v11, v130, v147
	s_delay_alu instid0(VALU_DEP_1) | instskip(NEXT) | instid1(VALU_DEP_1)
	v_fmac_f32_e32 v11, v131, v146
	v_dual_add_f32 v9, v9, v11 :: v_dual_mul_f32 v11, v132, v149
	s_delay_alu instid0(VALU_DEP_1) | instskip(NEXT) | instid1(VALU_DEP_1)
	v_fmac_f32_e32 v11, v133, v148
	v_add_f32_e32 v9, v9, v11
	v_mul_f32_e32 v11, v150, v155
	s_delay_alu instid0(VALU_DEP_1) | instskip(NEXT) | instid1(VALU_DEP_1)
	;; [unrolled: 7-line block ×14, first 2 shown]
	v_fmac_f32_e32 v11, v247, v250
	v_dual_add_f32 v9, v9, v11 :: v_dual_mul_f32 v11, v248, v253
	s_delay_alu instid0(VALU_DEP_1) | instskip(NEXT) | instid1(VALU_DEP_1)
	v_fmac_f32_e32 v11, v249, v252
	v_add_f32_e32 v9, v9, v11
	s_set_vgpr_msb 4                        ;  msbs: dst=0 src0=0 src1=1 src2=0
	v_mul_f32_e32 v11, v254, v3 /*v259*/
	s_delay_alu instid0(VALU_DEP_1) | instskip(SKIP_1) | instid1(VALU_DEP_1)
	v_fmac_f32_e32 v11, v255, v2 /*v258*/
	s_set_vgpr_msb 0                        ;  msbs: dst=0 src0=0 src1=0 src2=0
	v_add_f32_e32 v9, v9, v11
	s_set_vgpr_msb 5                        ;  msbs: dst=0 src0=1 src1=1 src2=0
	v_mul_f32_e32 v11, v0 /*v256*/, v5 /*v261*/
	s_delay_alu instid0(VALU_DEP_1) | instskip(SKIP_1) | instid1(VALU_DEP_1)
	v_fmac_f32_e32 v11, v1 /*v257*/, v4 /*v260*/
	s_set_vgpr_msb 64                       ;  msbs: dst=1 src0=0 src1=0 src2=0
	v_add_f32_e32 v31 /*v287*/, v9, v11
	s_set_vgpr_msb 0                        ;  msbs: dst=0 src0=0 src1=0 src2=0
	v_dual_mul_f32 v9, v119, v135 :: v_dual_mul_f32 v11, v121, v137
	s_delay_alu instid0(VALU_DEP_1) | instskip(NEXT) | instid1(VALU_DEP_1)
	v_dual_fma_f32 v9, v118, v134, -v9 :: v_dual_fma_f32 v11, v120, v136, -v11
	v_add_f32_e32 v9, 0, v9
	s_delay_alu instid0(VALU_DEP_1) | instskip(SKIP_1) | instid1(VALU_DEP_1)
	v_add_f32_e32 v9, v9, v11
	v_mul_f32_e32 v11, v123, v139
	v_fma_f32 v11, v122, v138, -v11
	s_delay_alu instid0(VALU_DEP_1) | instskip(SKIP_1) | instid1(VALU_DEP_1)
	v_add_f32_e32 v9, v9, v11
	v_mul_f32_e32 v11, v125, v141
	v_fma_f32 v11, v124, v140, -v11
	;; [unrolled: 4-line block ×6, first 2 shown]
	ds_load_b128 v[118:121], v7 offset:864
	ds_load_b128 v[122:125], v7 offset:880
	;; [unrolled: 1-line block ×4, first 2 shown]
	v_add_f32_e32 v9, v9, v11
	v_mul_f32_e32 v11, v151, v155
	s_delay_alu instid0(VALU_DEP_1) | instskip(NEXT) | instid1(VALU_DEP_1)
	v_fma_f32 v11, v150, v154, -v11
	v_add_f32_e32 v9, v9, v11
	v_mul_f32_e32 v11, v153, v157
	s_wait_loadcnt_dscnt 0x303
	s_set_vgpr_msb 4                        ;  msbs: dst=0 src0=0 src1=1 src2=0
	v_pk_mul_f32 v[136:137], v[118:119], v[14:15] /*v[270:271]*/ op_sel:[1,1] op_sel_hi:[0,1]
	s_set_vgpr_msb 0                        ;  msbs: dst=0 src0=0 src1=0 src2=0
	v_fma_f32 v11, v152, v156, -v11
	s_set_vgpr_msb 4                        ;  msbs: dst=0 src0=0 src1=1 src2=0
	s_delay_alu instid0(VALU_DEP_2)
	v_pk_fma_f32 v[138:139], v[118:119], v[14:15] /*v[270:271]*/, v[136:137] neg_lo:[0,0,1] neg_hi:[0,0,1]
	v_pk_fma_f32 v[118:119], v[118:119], v[14:15] /*v[270:271]*/, v[136:137] op_sel_hi:[1,0,1]
	s_set_vgpr_msb 1                        ;  msbs: dst=0 src0=1 src1=0 src2=0
	v_mov_b32_e32 v136, v17 /*v273*/
	s_set_vgpr_msb 0                        ;  msbs: dst=0 src0=0 src1=0 src2=0
	v_add_f32_e32 v9, v9, v11
	v_mul_f32_e32 v11, v159, v163
	s_delay_alu instid0(VALU_DEP_1) | instskip(NEXT) | instid1(VALU_DEP_1)
	v_dual_mov_b32 v139, v119 :: v_dual_fma_f32 v11, v158, v162, -v11
	v_add_f32_e32 v9, v9, v11
	v_mul_f32_e32 v11, v161, v165
	s_delay_alu instid0(VALU_DEP_1) | instskip(NEXT) | instid1(VALU_DEP_1)
	v_fma_f32 v11, v160, v164, -v11
	v_add_f32_e32 v9, v9, v11
	v_mul_f32_e32 v11, v167, v171
	s_delay_alu instid0(VALU_DEP_1) | instskip(NEXT) | instid1(VALU_DEP_1)
	v_fma_f32 v11, v166, v170, -v11
	;; [unrolled: 4-line block ×23, first 2 shown]
	v_add_f32_e32 v9, v9, v11
	s_set_vgpr_msb 4                        ;  msbs: dst=0 src0=0 src1=1 src2=0
	v_mul_f32_e32 v11, v255, v3 /*v259*/
	s_delay_alu instid0(VALU_DEP_1) | instskip(SKIP_1) | instid1(VALU_DEP_1)
	v_fma_f32 v11, v254, v2 /*v258*/, -v11
	s_set_vgpr_msb 0                        ;  msbs: dst=0 src0=0 src1=0 src2=0
	v_add_f32_e32 v9, v9, v11
	s_set_vgpr_msb 5                        ;  msbs: dst=0 src0=1 src1=1 src2=0
	v_mul_f32_e32 v11, v1 /*v257*/, v5 /*v261*/
	s_delay_alu instid0(VALU_DEP_1) | instskip(SKIP_1) | instid1(VALU_DEP_1)
	v_fma_f32 v11, v0 /*v256*/, v4 /*v260*/, -v11
	s_set_vgpr_msb 64                       ;  msbs: dst=1 src0=0 src1=0 src2=0
	v_add_f32_e32 v30 /*v286*/, v9, v11
	s_set_vgpr_msb 5                        ;  msbs: dst=0 src0=1 src1=1 src2=0
	v_mul_f32_e32 v9, v7 /*v263*/, v11 /*v267*/
	s_set_vgpr_msb 0x45                     ;  msbs: dst=1 src0=1 src1=1 src2=0
	s_delay_alu instid0(VALU_DEP_1) | instskip(SKIP_3) | instid1(VALU_DEP_1)
	v_fma_f32 v32 /*v288*/, v6 /*v262*/, v10 /*v266*/, -v9
	s_set_vgpr_msb 5                        ;  msbs: dst=0 src0=1 src1=1 src2=0
	v_mul_f32_e32 v9, v9 /*v265*/, v13 /*v269*/
	s_set_vgpr_msb 0x45                     ;  msbs: dst=1 src0=1 src1=1 src2=0
	v_fma_f32 v34 /*v290*/, v8 /*v264*/, v12 /*v268*/, -v9
	s_set_vgpr_msb 5                        ;  msbs: dst=0 src0=1 src1=1 src2=0
	v_pk_add_f32 v[134:135], v[30:31] /*v[286:287]*/, v[32:33] /*v[288:289]*/
	s_set_vgpr_msb 4                        ;  msbs: dst=0 src0=0 src1=1 src2=0
	s_delay_alu instid0(VALU_DEP_1) | instskip(SKIP_1) | instid1(VALU_DEP_1)
	v_pk_add_f32 v[134:135], v[134:135], v[34:35] /*v[290:291]*/
	s_set_vgpr_msb 0                        ;  msbs: dst=0 src0=0 src1=0 src2=0
	v_pk_add_f32 v[118:119], v[134:135], v[138:139]
	v_dual_mov_b32 v134, v121 :: v_dual_mov_b32 v135, v120
	s_delay_alu instid0(VALU_DEP_1) | instskip(SKIP_1) | instid1(VALU_DEP_1)
	v_pk_mul_f32 v[134:135], v[134:135], v[136:137] op_sel_hi:[1,0]
	s_set_vgpr_msb 4                        ;  msbs: dst=0 src0=0 src1=1 src2=0
	v_pk_fma_f32 v[136:137], v[120:121], v[16:17] /*v[272:273]*/, v[134:135] neg_lo:[0,0,1] neg_hi:[0,0,1]
	v_pk_fma_f32 v[120:121], v[120:121], v[16:17] /*v[272:273]*/, v[134:135] op_sel_hi:[1,0,1]
	s_delay_alu instid0(VALU_DEP_1) | instskip(SKIP_3) | instid1(VALU_DEP_2)
	v_mov_b32_e32 v137, v121
	s_wait_loadcnt_dscnt 0x202
	v_pk_mul_f32 v[120:121], v[122:123], v[18:19] /*v[274:275]*/ op_sel:[1,1] op_sel_hi:[0,1]
	s_set_vgpr_msb 0                        ;  msbs: dst=0 src0=0 src1=0 src2=0
	v_pk_add_f32 v[118:119], v[118:119], v[136:137]
	s_set_vgpr_msb 4                        ;  msbs: dst=0 src0=0 src1=1 src2=0
	s_delay_alu instid0(VALU_DEP_2)
	v_pk_fma_f32 v[134:135], v[122:123], v[18:19] /*v[274:275]*/, v[120:121] neg_lo:[0,0,1] neg_hi:[0,0,1]
	v_pk_fma_f32 v[120:121], v[122:123], v[18:19] /*v[274:275]*/, v[120:121] op_sel_hi:[1,0,1]
	v_mov_b32_e32 v120, v125
	s_set_vgpr_msb 1                        ;  msbs: dst=0 src0=1 src1=0 src2=0
	v_mov_b32_e32 v122, v21 /*v277*/
	s_set_vgpr_msb 0                        ;  msbs: dst=0 src0=0 src1=0 src2=0
	v_dual_mov_b32 v135, v121 :: v_dual_mov_b32 v121, v124
	s_delay_alu instid0(VALU_DEP_1) | instskip(NEXT) | instid1(VALU_DEP_2)
	v_pk_add_f32 v[118:119], v[118:119], v[134:135]
	v_pk_mul_f32 v[120:121], v[120:121], v[122:123] op_sel_hi:[1,0]
	s_set_vgpr_msb 4                        ;  msbs: dst=0 src0=0 src1=1 src2=0
	s_delay_alu instid0(VALU_DEP_1) | instskip(SKIP_1) | instid1(VALU_DEP_1)
	v_pk_fma_f32 v[122:123], v[124:125], v[20:21] /*v[276:277]*/, v[120:121] neg_lo:[0,0,1] neg_hi:[0,0,1]
	v_pk_fma_f32 v[120:121], v[124:125], v[20:21] /*v[276:277]*/, v[120:121] op_sel_hi:[1,0,1]
	v_mov_b32_e32 v123, v121
	s_wait_loadcnt_dscnt 0x101
	v_pk_mul_f32 v[120:121], v[126:127], v[22:23] /*v[278:279]*/ op_sel:[1,1] op_sel_hi:[0,1]
	s_set_vgpr_msb 0                        ;  msbs: dst=0 src0=0 src1=0 src2=0
	s_delay_alu instid0(VALU_DEP_2) | instskip(SKIP_1) | instid1(VALU_DEP_2)
	v_pk_add_f32 v[118:119], v[118:119], v[122:123]
	s_set_vgpr_msb 4                        ;  msbs: dst=0 src0=0 src1=1 src2=0
	v_pk_fma_f32 v[122:123], v[126:127], v[22:23] /*v[278:279]*/, v[120:121] neg_lo:[0,0,1] neg_hi:[0,0,1]
	v_pk_fma_f32 v[120:121], v[126:127], v[22:23] /*v[278:279]*/, v[120:121] op_sel_hi:[1,0,1]
	s_delay_alu instid0(VALU_DEP_1) | instskip(SKIP_2) | instid1(VALU_DEP_2)
	v_dual_mov_b32 v120, v129 :: v_dual_mov_b32 v123, v121
	v_mov_b32_e32 v121, v128
	s_set_vgpr_msb 0                        ;  msbs: dst=0 src0=0 src1=0 src2=0
	v_pk_add_f32 v[118:119], v[118:119], v[122:123]
	s_set_vgpr_msb 1                        ;  msbs: dst=0 src0=1 src1=0 src2=0
	v_mov_b32_e32 v122, v25 /*v281*/
	s_set_vgpr_msb 0                        ;  msbs: dst=0 src0=0 src1=0 src2=0
	s_delay_alu instid0(VALU_DEP_1) | instskip(SKIP_1) | instid1(VALU_DEP_1)
	v_pk_mul_f32 v[120:121], v[120:121], v[122:123] op_sel_hi:[1,0]
	s_set_vgpr_msb 4                        ;  msbs: dst=0 src0=0 src1=1 src2=0
	v_pk_fma_f32 v[122:123], v[128:129], v[24:25] /*v[280:281]*/, v[120:121] neg_lo:[0,0,1] neg_hi:[0,0,1]
	v_pk_fma_f32 v[120:121], v[128:129], v[24:25] /*v[280:281]*/, v[120:121] op_sel_hi:[1,0,1]
	s_delay_alu instid0(VALU_DEP_1) | instskip(SKIP_3) | instid1(VALU_DEP_2)
	v_mov_b32_e32 v123, v121
	s_wait_loadcnt_dscnt 0x0
	v_pk_mul_f32 v[120:121], v[130:131], v[26:27] /*v[282:283]*/ op_sel:[1,1] op_sel_hi:[0,1]
	s_set_vgpr_msb 0                        ;  msbs: dst=0 src0=0 src1=0 src2=0
	v_pk_add_f32 v[118:119], v[118:119], v[122:123]
	s_set_vgpr_msb 4                        ;  msbs: dst=0 src0=0 src1=1 src2=0
	s_delay_alu instid0(VALU_DEP_2) | instskip(SKIP_1) | instid1(VALU_DEP_1)
	v_pk_fma_f32 v[122:123], v[130:131], v[26:27] /*v[282:283]*/, v[120:121] neg_lo:[0,0,1] neg_hi:[0,0,1]
	v_pk_fma_f32 v[120:121], v[130:131], v[26:27] /*v[282:283]*/, v[120:121] op_sel_hi:[1,0,1]
	v_dual_mov_b32 v120, v133 :: v_dual_mov_b32 v123, v121
	v_mov_b32_e32 v121, v132
	s_set_vgpr_msb 0                        ;  msbs: dst=0 src0=0 src1=0 src2=0
	s_delay_alu instid0(VALU_DEP_2) | instskip(SKIP_3) | instid1(VALU_DEP_1)
	v_pk_add_f32 v[118:119], v[118:119], v[122:123]
	s_set_vgpr_msb 1                        ;  msbs: dst=0 src0=1 src1=0 src2=0
	v_mov_b32_e32 v122, v29 /*v285*/
	s_set_vgpr_msb 0                        ;  msbs: dst=0 src0=0 src1=0 src2=0
	v_pk_mul_f32 v[120:121], v[120:121], v[122:123] op_sel_hi:[1,0]
	s_set_vgpr_msb 4                        ;  msbs: dst=0 src0=0 src1=1 src2=0
	s_delay_alu instid0(VALU_DEP_1) | instskip(SKIP_1) | instid1(VALU_DEP_1)
	v_pk_fma_f32 v[122:123], v[132:133], v[28:29] /*v[284:285]*/, v[120:121] neg_lo:[0,0,1] neg_hi:[0,0,1]
	v_pk_fma_f32 v[120:121], v[132:133], v[28:29] /*v[284:285]*/, v[120:121] op_sel_hi:[1,0,1]
	v_mov_b32_e32 v123, v121
	scratch_load_b64 v[120:121], off, off offset:88
	s_set_vgpr_msb 0                        ;  msbs: dst=0 src0=0 src1=0 src2=0
	v_pk_add_f32 v[118:119], v[118:119], v[122:123]
	s_wait_loadcnt 0x0
	s_delay_alu instid0(VALU_DEP_1)
	v_pk_add_f32 v[118:119], v[120:121], v[118:119] neg_lo:[0,1] neg_hi:[0,1]
	scratch_store_b64 off, v[118:119], off offset:88
	s_wait_xcnt 0x0
	v_cmpx_lt_u32_e32 10, v0
	s_cbranch_execz .LBB57_341
; %bb.340:
	scratch_load_b64 v[118:119], off, off offset:80
	v_mov_b64_e32 v[120:121], 0
	scratch_store_b64 off, v[120:121], off offset:80
	s_wait_loadcnt 0x0
	ds_store_b64 v1, v[118:119]
.LBB57_341:
	s_wait_xcnt 0x0
	s_or_b32 exec_lo, exec_lo, s0
	s_wait_storecnt_dscnt 0x0
	s_barrier_signal -1
	s_barrier_wait -1
	s_clause 0xf
	scratch_load_b128 v[122:125], off, off offset:88
	scratch_load_b128 v[130:133], off, off offset:104
	;; [unrolled: 1-line block ×16, first 2 shown]
	v_mov_b32_e32 v7, 0
	s_clause 0x4
	scratch_load_b128 v[250:253], off, off offset:344
	s_set_vgpr_msb 64                       ;  msbs: dst=1 src0=0 src1=0 src2=0
	scratch_load_b128 v[2:5] /*v[258:261]*/, off, off offset:360
	scratch_load_b128 v[10:13] /*v[266:269]*/, off, off offset:376
	;; [unrolled: 1-line block ×3, first 2 shown]
	s_set_vgpr_msb 0                        ;  msbs: dst=0 src0=0 src1=0 src2=0
	ds_load_2addr_b64 v[118:121], v7 offset0:69 offset1:70
	ds_load_2addr_b64 v[126:129], v7 offset0:71 offset1:72
	s_mov_b32 s0, exec_lo
	s_wait_loadcnt_dscnt 0x1301
	v_dual_mul_f32 v9, v118, v123 :: v_dual_mul_f32 v11, v120, v125
	ds_load_2addr_b64 v[134:137], v7 offset0:73 offset1:74
	ds_load_2addr_b64 v[142:145], v7 offset0:75 offset1:76
	;; [unrolled: 1-line block ×4, first 2 shown]
	v_dual_fmac_f32 v9, v119, v122 :: v_dual_fmac_f32 v11, v121, v124
	ds_load_2addr_b64 v[166:169], v7 offset0:81 offset1:82
	ds_load_2addr_b64 v[174:177], v7 offset0:83 offset1:84
	ds_load_2addr_b64 v[182:185], v7 offset0:85 offset1:86
	ds_load_2addr_b64 v[190:193], v7 offset0:87 offset1:88
	v_add_f32_e32 v9, 0, v9
	ds_load_2addr_b64 v[198:201], v7 offset0:89 offset1:90
	ds_load_2addr_b64 v[206:209], v7 offset0:91 offset1:92
	;; [unrolled: 1-line block ×4, first 2 shown]
	v_add_f32_e32 v9, v9, v11
	s_wait_loadcnt_dscnt 0x120c
	v_mul_f32_e32 v11, v126, v131
	ds_load_2addr_b64 v[230:233], v7 offset0:97 offset1:98
	ds_load_2addr_b64 v[238:241], v7 offset0:99 offset1:100
	;; [unrolled: 1-line block ×4, first 2 shown]
	v_fmac_f32_e32 v11, v127, v130
	s_set_vgpr_msb 64                       ;  msbs: dst=1 src0=0 src1=0 src2=0
	ds_load_2addr_b64 v[6:9] /*v[262:265]*/, v7 offset0:105 offset1:106
	ds_load_2addr_b64 v[14:17] /*v[270:273]*/, v7 offset0:107 offset1:108
	s_clause 0x3
	scratch_load_b128 v[22:25] /*v[278:281]*/, off, off offset:408
	scratch_load_b128 v[26:29] /*v[282:285]*/, off, off offset:424
	;; [unrolled: 1-line block ×3, first 2 shown]
	scratch_load_b64 v[40:41] /*v[296:297]*/, off, off offset:456
	s_set_vgpr_msb 0                        ;  msbs: dst=0 src0=0 src1=0 src2=0
	v_dual_add_f32 v9, v9, v11 :: v_dual_mul_f32 v11, v128, v133
	s_delay_alu instid0(VALU_DEP_1) | instskip(NEXT) | instid1(VALU_DEP_1)
	v_fmac_f32_e32 v11, v129, v132
	v_add_f32_e32 v9, v9, v11
	s_wait_loadcnt_dscnt 0x1511
	v_mul_f32_e32 v11, v134, v139
	s_wait_loadcnt_dscnt 0x400
	s_set_vgpr_msb 0x45                     ;  msbs: dst=1 src0=1 src1=1 src2=0
	v_dual_mul_f32 v37 /*v293*/, v8 /*v264*/, v13 /*v269*/ :: v_dual_mul_f32 v39 /*v295*/, v14 /*v270*/, v19 /*v275*/
	s_set_vgpr_msb 0                        ;  msbs: dst=0 src0=0 src1=0 src2=0
	v_fmac_f32_e32 v11, v135, v138
	s_set_vgpr_msb 0x45                     ;  msbs: dst=1 src0=1 src1=1 src2=0
	s_delay_alu instid0(VALU_DEP_2) | instskip(SKIP_1) | instid1(VALU_DEP_2)
	v_dual_fmac_f32 v37 /*v293*/, v9 /*v265*/, v12 /*v268*/ :: v_dual_fmac_f32 v39 /*v295*/, v15 /*v271*/, v18 /*v274*/
	s_set_vgpr_msb 0                        ;  msbs: dst=0 src0=0 src1=0 src2=0
	v_dual_add_f32 v9, v9, v11 :: v_dual_mul_f32 v11, v136, v141
	s_delay_alu instid0(VALU_DEP_1) | instskip(NEXT) | instid1(VALU_DEP_1)
	v_fmac_f32_e32 v11, v137, v140
	v_add_f32_e32 v9, v9, v11
	v_mul_f32_e32 v11, v142, v147
	s_delay_alu instid0(VALU_DEP_1) | instskip(NEXT) | instid1(VALU_DEP_1)
	v_fmac_f32_e32 v11, v143, v146
	v_dual_add_f32 v9, v9, v11 :: v_dual_mul_f32 v11, v144, v149
	s_delay_alu instid0(VALU_DEP_1) | instskip(NEXT) | instid1(VALU_DEP_1)
	v_fmac_f32_e32 v11, v145, v148
	v_add_f32_e32 v9, v9, v11
	v_mul_f32_e32 v11, v150, v155
	s_delay_alu instid0(VALU_DEP_1) | instskip(NEXT) | instid1(VALU_DEP_1)
	v_fmac_f32_e32 v11, v151, v154
	;; [unrolled: 7-line block ×14, first 2 shown]
	v_dual_add_f32 v9, v9, v11 :: v_dual_mul_f32 v11, v248, v253
	s_delay_alu instid0(VALU_DEP_1) | instskip(NEXT) | instid1(VALU_DEP_1)
	v_fmac_f32_e32 v11, v249, v252
	v_add_f32_e32 v9, v9, v11
	s_set_vgpr_msb 4                        ;  msbs: dst=0 src0=0 src1=1 src2=0
	v_mul_f32_e32 v11, v254, v3 /*v259*/
	s_delay_alu instid0(VALU_DEP_1) | instskip(SKIP_1) | instid1(VALU_DEP_1)
	v_fmac_f32_e32 v11, v255, v2 /*v258*/
	s_set_vgpr_msb 0                        ;  msbs: dst=0 src0=0 src1=0 src2=0
	v_add_f32_e32 v9, v9, v11
	s_set_vgpr_msb 5                        ;  msbs: dst=0 src0=1 src1=1 src2=0
	v_mul_f32_e32 v11, v0 /*v256*/, v5 /*v261*/
	s_delay_alu instid0(VALU_DEP_1) | instskip(SKIP_1) | instid1(VALU_DEP_1)
	v_fmac_f32_e32 v11, v1 /*v257*/, v4 /*v260*/
	s_set_vgpr_msb 0                        ;  msbs: dst=0 src0=0 src1=0 src2=0
	v_add_f32_e32 v9, v9, v11
	s_set_vgpr_msb 5                        ;  msbs: dst=0 src0=1 src1=1 src2=0
	v_mul_f32_e32 v11, v6 /*v262*/, v11 /*v267*/
	s_delay_alu instid0(VALU_DEP_1) | instskip(SKIP_1) | instid1(VALU_DEP_1)
	v_fmac_f32_e32 v11, v7 /*v263*/, v10 /*v266*/
	s_set_vgpr_msb 64                       ;  msbs: dst=1 src0=0 src1=0 src2=0
	v_add_f32_e32 v35 /*v291*/, v9, v11
	s_set_vgpr_msb 0                        ;  msbs: dst=0 src0=0 src1=0 src2=0
	v_dual_mul_f32 v9, v119, v123 :: v_dual_mul_f32 v11, v121, v125
	s_delay_alu instid0(VALU_DEP_1) | instskip(NEXT) | instid1(VALU_DEP_1)
	v_dual_fma_f32 v9, v118, v122, -v9 :: v_dual_fma_f32 v11, v120, v124, -v11
	v_add_f32_e32 v9, 0, v9
	s_delay_alu instid0(VALU_DEP_1) | instskip(SKIP_1) | instid1(VALU_DEP_1)
	v_add_f32_e32 v9, v9, v11
	v_mul_f32_e32 v11, v127, v131
	v_fma_f32 v11, v126, v130, -v11
	s_delay_alu instid0(VALU_DEP_1) | instskip(SKIP_1) | instid1(VALU_DEP_1)
	v_add_f32_e32 v9, v9, v11
	v_mul_f32_e32 v11, v129, v133
	v_fma_f32 v11, v128, v132, -v11
	ds_load_2addr_b64 v[118:121], v7 offset0:109 offset1:110
	ds_load_2addr_b64 v[122:125], v7 offset0:111 offset1:112
	;; [unrolled: 1-line block ×3, first 2 shown]
	ds_load_b64 v[130:131], v7 offset:920
	v_add_f32_e32 v9, v9, v11
	v_mul_f32_e32 v11, v135, v139
	s_set_vgpr_msb 1                        ;  msbs: dst=0 src0=1 src1=0 src2=0
	v_mov_b32_e32 v135, v16 /*v272*/
	s_set_vgpr_msb 0                        ;  msbs: dst=0 src0=0 src1=0 src2=0
	s_delay_alu instid0(VALU_DEP_2) | instskip(SKIP_3) | instid1(VALU_DEP_2)
	v_fma_f32 v11, v134, v138, -v11
	s_set_vgpr_msb 1                        ;  msbs: dst=0 src0=1 src1=0 src2=0
	v_mov_b32_e32 v134, v17 /*v273*/
	s_set_vgpr_msb 0                        ;  msbs: dst=0 src0=0 src1=0 src2=0
	v_add_f32_e32 v9, v9, v11
	v_mul_f32_e32 v11, v137, v141
	s_delay_alu instid0(VALU_DEP_1) | instskip(SKIP_3) | instid1(VALU_DEP_2)
	v_fma_f32 v11, v136, v140, -v11
	s_set_vgpr_msb 1                        ;  msbs: dst=0 src0=1 src1=0 src2=0
	v_mov_b32_e32 v136, v21 /*v277*/
	s_set_vgpr_msb 0                        ;  msbs: dst=0 src0=0 src1=0 src2=0
	v_add_f32_e32 v9, v9, v11
	v_mul_f32_e32 v11, v143, v147
	s_delay_alu instid0(VALU_DEP_3) | instskip(NEXT) | instid1(VALU_DEP_2)
	v_pk_mul_f32 v[134:135], v[134:135], v[136:137] op_sel_hi:[1,0]
	v_fma_f32 v11, v142, v146, -v11
	s_set_vgpr_msb 5                        ;  msbs: dst=0 src0=1 src1=1 src2=0
	s_delay_alu instid0(VALU_DEP_2) | instskip(SKIP_3) | instid1(VALU_DEP_2)
	v_pk_fma_f32 v[136:137], v[16:17] /*v[272:273]*/, v[20:21] /*v[276:277]*/, v[134:135] neg_lo:[0,0,1] neg_hi:[0,0,1]
	v_pk_fma_f32 v[134:135], v[16:17] /*v[272:273]*/, v[20:21] /*v[276:277]*/, v[134:135] op_sel_hi:[1,0,1]
	s_set_vgpr_msb 0                        ;  msbs: dst=0 src0=0 src1=0 src2=0
	v_add_f32_e32 v9, v9, v11
	v_dual_mul_f32 v11, v145, v149 :: v_dual_mov_b32 v137, v135
	s_wait_loadcnt_dscnt 0x303
	s_set_vgpr_msb 4                        ;  msbs: dst=0 src0=0 src1=1 src2=0
	v_pk_mul_f32 v[134:135], v[118:119], v[22:23] /*v[278:279]*/ op_sel:[1,1] op_sel_hi:[0,1]
	s_set_vgpr_msb 0                        ;  msbs: dst=0 src0=0 src1=0 src2=0
	v_fma_f32 v11, v144, v148, -v11
	s_delay_alu instid0(VALU_DEP_1) | instskip(SKIP_1) | instid1(VALU_DEP_1)
	v_add_f32_e32 v9, v9, v11
	v_mul_f32_e32 v11, v151, v155
	v_fma_f32 v11, v150, v154, -v11
	s_delay_alu instid0(VALU_DEP_1) | instskip(SKIP_1) | instid1(VALU_DEP_1)
	v_add_f32_e32 v9, v9, v11
	v_mul_f32_e32 v11, v153, v157
	;; [unrolled: 4-line block ×26, first 2 shown]
	v_fma_f32 v11, v248, v252, -v11
	s_delay_alu instid0(VALU_DEP_1) | instskip(SKIP_2) | instid1(VALU_DEP_1)
	v_add_f32_e32 v9, v9, v11
	s_set_vgpr_msb 4                        ;  msbs: dst=0 src0=0 src1=1 src2=0
	v_mul_f32_e32 v11, v255, v3 /*v259*/
	v_fma_f32 v11, v254, v2 /*v258*/, -v11
	s_set_vgpr_msb 0                        ;  msbs: dst=0 src0=0 src1=0 src2=0
	s_delay_alu instid0(VALU_DEP_1) | instskip(SKIP_2) | instid1(VALU_DEP_1)
	v_add_f32_e32 v9, v9, v11
	s_set_vgpr_msb 5                        ;  msbs: dst=0 src0=1 src1=1 src2=0
	v_mul_f32_e32 v11, v1 /*v257*/, v5 /*v261*/
	v_fma_f32 v11, v0 /*v256*/, v4 /*v260*/, -v11
	s_set_vgpr_msb 0                        ;  msbs: dst=0 src0=0 src1=0 src2=0
	s_delay_alu instid0(VALU_DEP_1) | instskip(SKIP_2) | instid1(VALU_DEP_1)
	v_add_f32_e32 v9, v9, v11
	s_set_vgpr_msb 5                        ;  msbs: dst=0 src0=1 src1=1 src2=0
	v_mul_f32_e32 v11, v7 /*v263*/, v11 /*v267*/
	v_fma_f32 v11, v6 /*v262*/, v10 /*v266*/, -v11
	s_set_vgpr_msb 64                       ;  msbs: dst=1 src0=0 src1=0 src2=0
	s_delay_alu instid0(VALU_DEP_1) | instskip(SKIP_3) | instid1(VALU_DEP_1)
	v_add_f32_e32 v34 /*v290*/, v9, v11
	s_set_vgpr_msb 5                        ;  msbs: dst=0 src0=1 src1=1 src2=0
	v_mul_f32_e32 v9, v9 /*v265*/, v13 /*v269*/
	s_set_vgpr_msb 0x45                     ;  msbs: dst=1 src0=1 src1=1 src2=0
	v_fma_f32 v36 /*v292*/, v8 /*v264*/, v12 /*v268*/, -v9
	s_set_vgpr_msb 5                        ;  msbs: dst=0 src0=1 src1=1 src2=0
	v_mul_f32_e32 v9, v15 /*v271*/, v19 /*v275*/
	s_set_vgpr_msb 0x45                     ;  msbs: dst=1 src0=1 src1=1 src2=0
	s_delay_alu instid0(VALU_DEP_1) | instskip(SKIP_3) | instid1(VALU_DEP_1)
	v_fma_f32 v38 /*v294*/, v14 /*v270*/, v18 /*v274*/, -v9
	s_set_vgpr_msb 5                        ;  msbs: dst=0 src0=1 src1=1 src2=0
	v_pk_add_f32 v[132:133], v[34:35] /*v[290:291]*/, v[36:37] /*v[292:293]*/
	s_set_vgpr_msb 4                        ;  msbs: dst=0 src0=0 src1=1 src2=0
	v_pk_add_f32 v[132:133], v[132:133], v[38:39] /*v[294:295]*/
	s_set_vgpr_msb 0                        ;  msbs: dst=0 src0=0 src1=0 src2=0
	s_delay_alu instid0(VALU_DEP_1)
	v_pk_add_f32 v[132:133], v[132:133], v[136:137]
	s_set_vgpr_msb 4                        ;  msbs: dst=0 src0=0 src1=1 src2=0
	v_pk_fma_f32 v[136:137], v[118:119], v[22:23] /*v[278:279]*/, v[134:135] neg_lo:[0,0,1] neg_hi:[0,0,1]
	v_pk_fma_f32 v[118:119], v[118:119], v[22:23] /*v[278:279]*/, v[134:135] op_sel_hi:[1,0,1]
	s_set_vgpr_msb 1                        ;  msbs: dst=0 src0=1 src1=0 src2=0
	v_mov_b32_e32 v134, v25 /*v281*/
	s_set_vgpr_msb 0                        ;  msbs: dst=0 src0=0 src1=0 src2=0
	s_delay_alu instid0(VALU_DEP_2) | instskip(NEXT) | instid1(VALU_DEP_1)
	v_mov_b32_e32 v137, v119
	v_pk_add_f32 v[118:119], v[132:133], v[136:137]
	v_dual_mov_b32 v132, v121 :: v_dual_mov_b32 v133, v120
	s_delay_alu instid0(VALU_DEP_1) | instskip(SKIP_1) | instid1(VALU_DEP_1)
	v_pk_mul_f32 v[132:133], v[132:133], v[134:135] op_sel_hi:[1,0]
	s_set_vgpr_msb 4                        ;  msbs: dst=0 src0=0 src1=1 src2=0
	v_pk_fma_f32 v[134:135], v[120:121], v[24:25] /*v[280:281]*/, v[132:133] neg_lo:[0,0,1] neg_hi:[0,0,1]
	v_pk_fma_f32 v[120:121], v[120:121], v[24:25] /*v[280:281]*/, v[132:133] op_sel_hi:[1,0,1]
	s_delay_alu instid0(VALU_DEP_1) | instskip(SKIP_3) | instid1(VALU_DEP_2)
	v_mov_b32_e32 v135, v121
	s_wait_loadcnt_dscnt 0x202
	v_pk_mul_f32 v[120:121], v[122:123], v[26:27] /*v[282:283]*/ op_sel:[1,1] op_sel_hi:[0,1]
	s_set_vgpr_msb 0                        ;  msbs: dst=0 src0=0 src1=0 src2=0
	v_pk_add_f32 v[118:119], v[118:119], v[134:135]
	s_set_vgpr_msb 4                        ;  msbs: dst=0 src0=0 src1=1 src2=0
	s_delay_alu instid0(VALU_DEP_2)
	v_pk_fma_f32 v[132:133], v[122:123], v[26:27] /*v[282:283]*/, v[120:121] neg_lo:[0,0,1] neg_hi:[0,0,1]
	v_pk_fma_f32 v[120:121], v[122:123], v[26:27] /*v[282:283]*/, v[120:121] op_sel_hi:[1,0,1]
	v_mov_b32_e32 v120, v125
	s_set_vgpr_msb 1                        ;  msbs: dst=0 src0=1 src1=0 src2=0
	v_mov_b32_e32 v122, v29 /*v285*/
	s_set_vgpr_msb 0                        ;  msbs: dst=0 src0=0 src1=0 src2=0
	v_dual_mov_b32 v133, v121 :: v_dual_mov_b32 v121, v124
	s_delay_alu instid0(VALU_DEP_1) | instskip(NEXT) | instid1(VALU_DEP_2)
	v_pk_add_f32 v[118:119], v[118:119], v[132:133]
	v_pk_mul_f32 v[120:121], v[120:121], v[122:123] op_sel_hi:[1,0]
	s_set_vgpr_msb 4                        ;  msbs: dst=0 src0=0 src1=1 src2=0
	s_delay_alu instid0(VALU_DEP_1) | instskip(SKIP_1) | instid1(VALU_DEP_1)
	v_pk_fma_f32 v[122:123], v[124:125], v[28:29] /*v[284:285]*/, v[120:121] neg_lo:[0,0,1] neg_hi:[0,0,1]
	v_pk_fma_f32 v[120:121], v[124:125], v[28:29] /*v[284:285]*/, v[120:121] op_sel_hi:[1,0,1]
	v_mov_b32_e32 v123, v121
	s_wait_loadcnt_dscnt 0x101
	v_pk_mul_f32 v[120:121], v[126:127], v[30:31] /*v[286:287]*/ op_sel:[1,1] op_sel_hi:[0,1]
	s_set_vgpr_msb 0                        ;  msbs: dst=0 src0=0 src1=0 src2=0
	s_delay_alu instid0(VALU_DEP_2) | instskip(SKIP_1) | instid1(VALU_DEP_2)
	v_pk_add_f32 v[118:119], v[118:119], v[122:123]
	s_set_vgpr_msb 4                        ;  msbs: dst=0 src0=0 src1=1 src2=0
	v_pk_fma_f32 v[122:123], v[126:127], v[30:31] /*v[286:287]*/, v[120:121] neg_lo:[0,0,1] neg_hi:[0,0,1]
	v_pk_fma_f32 v[120:121], v[126:127], v[30:31] /*v[286:287]*/, v[120:121] op_sel_hi:[1,0,1]
	s_delay_alu instid0(VALU_DEP_1) | instskip(SKIP_2) | instid1(VALU_DEP_2)
	v_dual_mov_b32 v120, v129 :: v_dual_mov_b32 v123, v121
	v_mov_b32_e32 v121, v128
	s_set_vgpr_msb 0                        ;  msbs: dst=0 src0=0 src1=0 src2=0
	v_pk_add_f32 v[118:119], v[118:119], v[122:123]
	s_set_vgpr_msb 1                        ;  msbs: dst=0 src0=1 src1=0 src2=0
	v_mov_b32_e32 v122, v33 /*v289*/
	s_set_vgpr_msb 0                        ;  msbs: dst=0 src0=0 src1=0 src2=0
	s_delay_alu instid0(VALU_DEP_1) | instskip(SKIP_1) | instid1(VALU_DEP_1)
	v_pk_mul_f32 v[120:121], v[120:121], v[122:123] op_sel_hi:[1,0]
	s_set_vgpr_msb 4                        ;  msbs: dst=0 src0=0 src1=1 src2=0
	v_pk_fma_f32 v[122:123], v[128:129], v[32:33] /*v[288:289]*/, v[120:121] neg_lo:[0,0,1] neg_hi:[0,0,1]
	v_pk_fma_f32 v[120:121], v[128:129], v[32:33] /*v[288:289]*/, v[120:121] op_sel_hi:[1,0,1]
	s_delay_alu instid0(VALU_DEP_1) | instskip(SKIP_3) | instid1(VALU_DEP_2)
	v_mov_b32_e32 v123, v121
	s_wait_loadcnt_dscnt 0x0
	v_pk_mul_f32 v[120:121], v[130:131], v[40:41] /*v[296:297]*/ op_sel:[1,1] op_sel_hi:[0,1]
	s_set_vgpr_msb 0                        ;  msbs: dst=0 src0=0 src1=0 src2=0
	v_pk_add_f32 v[118:119], v[118:119], v[122:123]
	s_set_vgpr_msb 4                        ;  msbs: dst=0 src0=0 src1=1 src2=0
	s_delay_alu instid0(VALU_DEP_2) | instskip(SKIP_1) | instid1(VALU_DEP_1)
	v_pk_fma_f32 v[122:123], v[130:131], v[40:41] /*v[296:297]*/, v[120:121] neg_lo:[0,0,1] neg_hi:[0,0,1]
	v_pk_fma_f32 v[120:121], v[130:131], v[40:41] /*v[296:297]*/, v[120:121] op_sel_hi:[1,0,1]
	v_mov_b32_e32 v123, v121
	scratch_load_b64 v[120:121], off, off offset:80
	s_set_vgpr_msb 0                        ;  msbs: dst=0 src0=0 src1=0 src2=0
	v_pk_add_f32 v[118:119], v[118:119], v[122:123]
	s_wait_loadcnt 0x0
	s_delay_alu instid0(VALU_DEP_1)
	v_pk_add_f32 v[118:119], v[120:121], v[118:119] neg_lo:[0,1] neg_hi:[0,1]
	scratch_store_b64 off, v[118:119], off offset:80
	s_wait_xcnt 0x0
	v_cmpx_lt_u32_e32 9, v0
	s_cbranch_execz .LBB57_343
; %bb.342:
	scratch_load_b64 v[118:119], off, off offset:72
	v_mov_b64_e32 v[120:121], 0
	scratch_store_b64 off, v[120:121], off offset:72
	s_wait_loadcnt 0x0
	ds_store_b64 v1, v[118:119]
.LBB57_343:
	s_wait_xcnt 0x0
	s_or_b32 exec_lo, exec_lo, s0
	s_wait_storecnt_dscnt 0x0
	s_barrier_signal -1
	s_barrier_wait -1
	s_clause 0x17
	scratch_load_b128 v[118:121], off, off offset:80
	scratch_load_b128 v[122:125], off, off offset:96
	;; [unrolled: 1-line block ×24, first 2 shown]
	ds_load_b128 v[214:217], v7 offset:544
	ds_load_b128 v[218:221], v7 offset:560
	;; [unrolled: 1-line block ×6, first 2 shown]
	s_set_vgpr_msb 64                       ;  msbs: dst=1 src0=0 src1=0 src2=0
	scratch_load_b64 v[54:55] /*v[310:311]*/, off, off offset:72
	s_set_vgpr_msb 0                        ;  msbs: dst=0 src0=0 src1=0 src2=0
	ds_load_b128 v[238:241], v7 offset:608
	ds_load_b128 v[242:245], v7 offset:624
	;; [unrolled: 1-line block ×5, first 2 shown]
	s_set_vgpr_msb 64                       ;  msbs: dst=1 src0=0 src1=0 src2=0
	ds_load_b128 v[2:5] /*v[258:261]*/, v7 offset:656
	ds_load_b128 v[6:9] /*v[262:265]*/, v7 offset:672
	;; [unrolled: 1-line block ×13, first 2 shown]
	s_mov_b32 s0, exec_lo
	s_wait_dscnt 0xf
	v_dual_mov_b32 v60 /*v316*/, v249 :: v_dual_mov_b32 v61 /*v317*/, v248
	s_wait_dscnt 0xe
	v_dual_mov_b32 v62 /*v318*/, v253 :: v_dual_mov_b32 v63 /*v319*/, v252
	v_dual_mov_b32 v56 /*v312*/, v233 :: v_dual_mov_b32 v57 /*v313*/, v232
	;; [unrolled: 1-line block ×3, first 2 shown]
	s_wait_loadcnt 0x18
	s_set_vgpr_msb 0                        ;  msbs: dst=0 src0=0 src1=0 src2=0
	v_dual_mul_f32 v7, v214, v119 :: v_dual_mul_f32 v9, v216, v121
	s_wait_loadcnt 0x17
	v_dual_mul_f32 v83, v215, v119 :: v_dual_mul_f32 v89, v221, v125
	v_dual_mul_f32 v11, v218, v123 :: v_dual_mul_f32 v13, v220, v125
	s_delay_alu instid0(VALU_DEP_3)
	v_dual_fmac_f32 v7, v215, v118 :: v_dual_fmac_f32 v9, v217, v120
	s_wait_loadcnt_dscnt 0x120d
	v_dual_mul_f32 v31, v254, v143 :: v_dual_mul_f32 v85, v217, v121
	v_dual_mul_f32 v87, v219, v123 :: v_dual_mul_f32 v93, v225, v129
	v_dual_mul_f32 v91, v223, v127 :: v_dual_fma_f32 v83, v214, v118, -v83
	v_add_f32_e32 v7, 0, v7
	s_delay_alu instid0(VALU_DEP_4)
	v_dual_mul_f32 v95, v227, v131 :: v_dual_fma_f32 v85, v216, v120, -v85
	v_dual_fmac_f32 v11, v219, v122 :: v_dual_fmac_f32 v13, v221, v124
	s_wait_loadcnt_dscnt 0x601
	s_set_vgpr_msb 1                        ;  msbs: dst=0 src0=1 src1=0 src2=0
	v_dual_mul_f32 v81, v48 /*v304*/, v193 :: v_dual_add_f32 v83, 0, v83
	s_set_vgpr_msb 0                        ;  msbs: dst=0 src0=0 src1=0 src2=0
	v_dual_mul_f32 v97, v229, v133 :: v_dual_fma_f32 v87, v218, v122, -v87
	v_dual_add_f32 v7, v7, v9 :: v_dual_mul_f32 v15, v222, v127
	v_mul_f32_e32 v17, v224, v129
	v_dual_add_f32 v9, v83, v85 :: v_dual_fma_f32 v85, v220, v124, -v89
	s_delay_alu instid0(VALU_DEP_3) | instskip(NEXT) | instid1(VALU_DEP_4)
	v_add_f32_e32 v7, v7, v11
	v_dual_fmac_f32 v15, v223, v126 :: v_dual_mul_f32 v19, v226, v131
	s_delay_alu instid0(VALU_DEP_3) | instskip(NEXT) | instid1(VALU_DEP_3)
	v_dual_mul_f32 v21, v228, v133 :: v_dual_add_f32 v9, v9, v87
	v_dual_fma_f32 v87, v222, v126, -v91 :: v_dual_add_f32 v7, v7, v13
	v_dual_fmac_f32 v17, v225, v128 :: v_dual_mul_f32 v13, v243, v139
	s_delay_alu instid0(VALU_DEP_3) | instskip(NEXT) | instid1(VALU_DEP_3)
	v_dual_add_f32 v9, v9, v85 :: v_dual_fma_f32 v85, v224, v128, -v93
	v_add_f32_e32 v7, v7, v15
	v_dual_fmac_f32 v19, v227, v130 :: v_dual_mul_f32 v23, v238, v135
	s_delay_alu instid0(VALU_DEP_3) | instskip(NEXT) | instid1(VALU_DEP_3)
	v_dual_mul_f32 v25, v240, v137 :: v_dual_add_f32 v9, v9, v87
	v_dual_add_f32 v7, v7, v17 :: v_dual_fmac_f32 v21, v229, v132
	v_dual_mul_f32 v83, v239, v135 :: v_dual_mul_f32 v11, v241, v137
	v_dual_mul_f32 v15, v245, v141 :: v_dual_fma_f32 v87, v226, v130, -v95
	s_delay_alu instid0(VALU_DEP_4) | instskip(NEXT) | instid1(VALU_DEP_4)
	v_dual_add_f32 v9, v9, v85 :: v_dual_mul_f32 v17, v255, v143
	v_dual_fma_f32 v85, v228, v132, -v97 :: v_dual_add_f32 v7, v7, v19
	s_delay_alu instid0(VALU_DEP_2) | instskip(SKIP_2) | instid1(VALU_DEP_4)
	v_dual_fmac_f32 v23, v239, v134 :: v_dual_add_f32 v9, v9, v87
	v_fma_f32 v83, v238, v134, -v83
	v_dual_mul_f32 v27, v242, v139 :: v_dual_mul_f32 v29, v244, v141
	v_add_f32_e32 v7, v7, v21
	s_delay_alu instid0(VALU_DEP_4) | instskip(NEXT) | instid1(VALU_DEP_3)
	v_dual_add_f32 v9, v9, v85 :: v_dual_fma_f32 v11, v240, v136, -v11
	v_dual_fmac_f32 v25, v241, v136 :: v_dual_fmac_f32 v27, v243, v138
	s_delay_alu instid0(VALU_DEP_3) | instskip(NEXT) | instid1(VALU_DEP_3)
	v_add_f32_e32 v7, v7, v23
	v_dual_add_f32 v9, v9, v83 :: v_dual_fma_f32 v13, v242, v138, -v13
	s_set_vgpr_msb 1                        ;  msbs: dst=0 src0=1 src1=0 src2=0
	v_dual_mul_f32 v33, v0 /*v256*/, v145 :: v_dual_mul_f32 v35, v2 /*v258*/, v147
	s_set_vgpr_msb 0                        ;  msbs: dst=0 src0=0 src1=0 src2=0
	s_delay_alu instid0(VALU_DEP_2)
	v_dual_add_f32 v7, v7, v25 :: v_dual_add_f32 v9, v9, v11
	v_dual_fma_f32 v15, v244, v140, -v15 :: v_dual_fmac_f32 v29, v245, v140
	s_set_vgpr_msb 1                        ;  msbs: dst=0 src0=1 src1=0 src2=0
	v_dual_mul_f32 v19, v1 /*v257*/, v145 :: v_dual_mul_f32 v21, v3 /*v259*/, v147
	s_set_vgpr_msb 0                        ;  msbs: dst=0 src0=0 src1=0 src2=0
	v_dual_add_f32 v7, v7, v27 :: v_dual_add_f32 v9, v9, v13
	v_dual_fmac_f32 v31, v255, v142 :: v_dual_fma_f32 v17, v254, v142, -v17
	s_set_vgpr_msb 1                        ;  msbs: dst=0 src0=1 src1=0 src2=0
	v_dual_fmac_f32 v33, v1 /*v257*/, v144 :: v_dual_fma_f32 v19, v0 /*v256*/, v144, -v19
	s_set_vgpr_msb 0                        ;  msbs: dst=0 src0=0 src1=0 src2=0
	v_add_f32_e32 v7, v7, v29
	s_set_vgpr_msb 1                        ;  msbs: dst=0 src0=1 src1=0 src2=0
	v_dual_mul_f32 v37, v4 /*v260*/, v149 :: v_dual_mul_f32 v39, v6 /*v262*/, v151
	v_dual_mul_f32 v23, v5 /*v261*/, v149 :: v_dual_mul_f32 v11, v7 /*v263*/, v151
	s_set_vgpr_msb 0                        ;  msbs: dst=0 src0=0 src1=0 src2=0
	v_add_f32_e32 v7, v7, v31
	v_add_f32_e32 v9, v9, v15
	s_set_vgpr_msb 1                        ;  msbs: dst=0 src0=1 src1=0 src2=0
	v_dual_fmac_f32 v35, v3 /*v259*/, v146 :: v_dual_fma_f32 v21, v2 /*v258*/, v146, -v21
	v_dual_fmac_f32 v37, v5 /*v261*/, v148 :: v_dual_fma_f32 v23, v4 /*v260*/, v148, -v23
	s_set_vgpr_msb 0                        ;  msbs: dst=0 src0=0 src1=0 src2=0
	v_add_f32_e32 v7, v7, v33
	v_add_f32_e32 v9, v9, v17
	s_set_vgpr_msb 1                        ;  msbs: dst=0 src0=1 src1=0 src2=0
	v_mul_f32_e32 v17, v13 /*v269*/, v157
	v_dual_mul_f32 v41, v8 /*v264*/, v153 :: v_dual_mul_f32 v43, v10 /*v266*/, v155
	s_set_vgpr_msb 0                        ;  msbs: dst=0 src0=0 src1=0 src2=0
	v_add_f32_e32 v7, v7, v35
	v_add_f32_e32 v9, v9, v19
	s_set_vgpr_msb 1                        ;  msbs: dst=0 src0=1 src1=0 src2=0
	v_dual_mul_f32 v13, v9 /*v265*/, v153 :: v_dual_mul_f32 v15, v11 /*v267*/, v155
	v_mul_f32_e32 v19, v15 /*v271*/, v159
	v_fmac_f32_e32 v39, v7 /*v263*/, v150
	s_set_vgpr_msb 0                        ;  msbs: dst=0 src0=0 src1=0 src2=0
	v_add_f32_e32 v7, v7, v37
	v_add_f32_e32 v9, v9, v21
	s_set_vgpr_msb 1                        ;  msbs: dst=0 src0=1 src1=0 src2=0
	v_mul_f32_e32 v21, v17 /*v273*/, v161
	v_dual_fmac_f32 v41, v9 /*v265*/, v152 :: v_dual_fmac_f32 v43, v11 /*v267*/, v154
	v_fma_f32 v13, v8 /*v264*/, v152, -v13
	s_set_vgpr_msb 0                        ;  msbs: dst=0 src0=0 src1=0 src2=0
	v_add_f32_e32 v7, v7, v39
	s_set_vgpr_msb 1                        ;  msbs: dst=0 src0=1 src1=0 src2=0
	v_dual_mul_f32 v45, v12 /*v268*/, v157 :: v_dual_mul_f32 v47, v14 /*v270*/, v159
	s_set_vgpr_msb 0                        ;  msbs: dst=0 src0=0 src1=0 src2=0
	v_add_f32_e32 v9, v9, v23
	s_set_vgpr_msb 1                        ;  msbs: dst=0 src0=1 src1=0 src2=0
	v_dual_fma_f32 v11, v6 /*v262*/, v150, -v11 :: v_dual_mul_f32 v23, v19 /*v275*/, v163
	s_set_vgpr_msb 0                        ;  msbs: dst=0 src0=0 src1=0 src2=0
	v_add_f32_e32 v7, v7, v41
	s_set_vgpr_msb 1                        ;  msbs: dst=0 src0=1 src1=0 src2=0
	v_dual_fmac_f32 v45, v13 /*v269*/, v156 :: v_dual_fmac_f32 v47, v15 /*v271*/, v158
	v_fma_f32 v17, v12 /*v268*/, v156, -v17
	v_dual_mul_f32 v49, v16 /*v272*/, v161 :: v_dual_mul_f32 v51, v18 /*v274*/, v163
	s_set_vgpr_msb 0                        ;  msbs: dst=0 src0=0 src1=0 src2=0
	v_add_f32_e32 v7, v7, v43
	v_add_f32_e32 v9, v9, v11
	s_set_vgpr_msb 1                        ;  msbs: dst=0 src0=1 src1=0 src2=0
	v_dual_mul_f32 v11, v21 /*v277*/, v165 :: v_dual_fma_f32 v15, v10 /*v266*/, v154, -v15
	v_dual_fmac_f32 v49, v17 /*v273*/, v160 :: v_dual_fmac_f32 v51, v19 /*v275*/, v162
	s_set_vgpr_msb 0                        ;  msbs: dst=0 src0=0 src1=0 src2=0
	v_add_f32_e32 v7, v7, v45
	v_add_f32_e32 v9, v9, v13
	s_set_vgpr_msb 1                        ;  msbs: dst=0 src0=1 src1=0 src2=0
	v_fma_f32 v21, v16 /*v272*/, v160, -v21
	v_dual_mul_f32 v53, v20 /*v276*/, v165 :: v_dual_mul_f32 v55, v22 /*v278*/, v167
	s_set_vgpr_msb 0                        ;  msbs: dst=0 src0=0 src1=0 src2=0
	v_add_f32_e32 v7, v7, v47
	s_set_vgpr_msb 1                        ;  msbs: dst=0 src0=1 src1=0 src2=0
	v_mul_f32_e32 v13, v23 /*v279*/, v167
	s_set_vgpr_msb 0                        ;  msbs: dst=0 src0=0 src1=0 src2=0
	v_add_f32_e32 v9, v9, v15
	s_set_vgpr_msb 1                        ;  msbs: dst=0 src0=1 src1=0 src2=0
	v_dual_mul_f32 v15, v25 /*v281*/, v169 :: v_dual_fma_f32 v19, v14 /*v270*/, v158, -v19
	s_set_vgpr_msb 0                        ;  msbs: dst=0 src0=0 src1=0 src2=0
	v_add_f32_e32 v7, v7, v49
	s_set_vgpr_msb 1                        ;  msbs: dst=0 src0=1 src1=0 src2=0
	v_dual_fmac_f32 v53, v21 /*v277*/, v164 :: v_dual_fma_f32 v11, v20 /*v276*/, v164, -v11
	s_set_vgpr_msb 0                        ;  msbs: dst=0 src0=0 src1=0 src2=0
	v_add_f32_e32 v9, v9, v17
	s_set_vgpr_msb 1                        ;  msbs: dst=0 src0=1 src1=0 src2=0
	v_dual_fmac_f32 v55, v23 /*v279*/, v166 :: v_dual_fma_f32 v13, v22 /*v278*/, v166, -v13
	s_set_vgpr_msb 0                        ;  msbs: dst=0 src0=0 src1=0 src2=0
	v_add_f32_e32 v7, v7, v51
	s_set_vgpr_msb 1                        ;  msbs: dst=0 src0=1 src1=0 src2=0
	v_dual_mul_f32 v57, v24 /*v280*/, v169 :: v_dual_mul_f32 v59, v26 /*v282*/, v171
	v_mul_f32_e32 v17, v27 /*v283*/, v171
	s_set_vgpr_msb 0                        ;  msbs: dst=0 src0=0 src1=0 src2=0
	v_dual_add_f32 v9, v9, v19 :: v_dual_add_f32 v7, v7, v53
	s_set_vgpr_msb 1                        ;  msbs: dst=0 src0=1 src1=0 src2=0
	v_dual_mul_f32 v19, v29 /*v285*/, v173 :: v_dual_fma_f32 v23, v18 /*v274*/, v162, -v23
	v_dual_fmac_f32 v57, v25 /*v281*/, v168 :: v_dual_fma_f32 v15, v24 /*v280*/, v168, -v15
	s_set_vgpr_msb 0                        ;  msbs: dst=0 src0=0 src1=0 src2=0
	v_add_f32_e32 v9, v9, v21
	s_set_vgpr_msb 1                        ;  msbs: dst=0 src0=1 src1=0 src2=0
	v_dual_fmac_f32 v59, v27 /*v283*/, v170 :: v_dual_fma_f32 v17, v26 /*v282*/, v170, -v17
	s_set_vgpr_msb 0                        ;  msbs: dst=0 src0=0 src1=0 src2=0
	v_add_f32_e32 v7, v7, v55
	s_set_vgpr_msb 1                        ;  msbs: dst=0 src0=1 src1=0 src2=0
	v_dual_mul_f32 v61, v28 /*v284*/, v173 :: v_dual_mul_f32 v63, v30 /*v286*/, v175
	v_mul_f32_e32 v21, v31 /*v287*/, v175
	s_set_vgpr_msb 0                        ;  msbs: dst=0 src0=0 src1=0 src2=0
	v_dual_add_f32 v9, v9, v23 :: v_dual_add_f32 v7, v7, v57
	s_set_vgpr_msb 1                        ;  msbs: dst=0 src0=1 src1=0 src2=0
	v_dual_fmac_f32 v61, v29 /*v285*/, v172 :: v_dual_fma_f32 v19, v28 /*v284*/, v172, -v19
	v_dual_fmac_f32 v63, v31 /*v287*/, v174 :: v_dual_fma_f32 v21, v30 /*v286*/, v174, -v21
	s_set_vgpr_msb 0                        ;  msbs: dst=0 src0=0 src1=0 src2=0
	v_add_f32_e32 v7, v7, v59
	s_set_vgpr_msb 1                        ;  msbs: dst=0 src0=1 src1=0 src2=0
	v_dual_mul_f32 v65, v32 /*v288*/, v177 :: v_dual_mul_f32 v67, v34 /*v290*/, v179
	s_set_vgpr_msb 0                        ;  msbs: dst=0 src0=0 src1=0 src2=0
	v_add_f32_e32 v9, v9, v11
	s_set_vgpr_msb 1                        ;  msbs: dst=0 src0=1 src1=0 src2=0
	v_dual_mul_f32 v23, v33 /*v289*/, v177 :: v_dual_mul_f32 v11, v35 /*v291*/, v179
	s_set_vgpr_msb 0                        ;  msbs: dst=0 src0=0 src1=0 src2=0
	v_add_f32_e32 v7, v7, v61
	s_set_vgpr_msb 1                        ;  msbs: dst=0 src0=1 src1=0 src2=0
	v_fmac_f32_e32 v65, v33 /*v289*/, v176
	s_set_vgpr_msb 0                        ;  msbs: dst=0 src0=0 src1=0 src2=0
	v_add_f32_e32 v9, v9, v13
	s_set_vgpr_msb 1                        ;  msbs: dst=0 src0=1 src1=0 src2=0
	v_dual_mul_f32 v69, v36 /*v292*/, v181 :: v_dual_mul_f32 v71, v38 /*v294*/, v183
	s_set_vgpr_msb 0                        ;  msbs: dst=0 src0=0 src1=0 src2=0
	v_add_f32_e32 v7, v7, v63
	s_set_vgpr_msb 1                        ;  msbs: dst=0 src0=1 src1=0 src2=0
	v_fma_f32 v23, v32 /*v288*/, v176, -v23
	s_set_vgpr_msb 0                        ;  msbs: dst=0 src0=0 src1=0 src2=0
	v_add_f32_e32 v9, v9, v15
	s_set_vgpr_msb 1                        ;  msbs: dst=0 src0=1 src1=0 src2=0
	v_dual_fmac_f32 v67, v35 /*v291*/, v178 :: v_dual_fmac_f32 v69, v37 /*v293*/, v180
	s_set_vgpr_msb 0                        ;  msbs: dst=0 src0=0 src1=0 src2=0
	v_add_f32_e32 v7, v7, v65
	s_set_vgpr_msb 1                        ;  msbs: dst=0 src0=1 src1=0 src2=0
	v_dual_mul_f32 v73, v40 /*v296*/, v185 :: v_dual_mul_f32 v75, v42 /*v298*/, v187
	s_set_vgpr_msb 0                        ;  msbs: dst=0 src0=0 src1=0 src2=0
	v_add_f32_e32 v9, v9, v17
	s_set_vgpr_msb 1                        ;  msbs: dst=0 src0=1 src1=0 src2=0
	v_fmac_f32_e32 v71, v39 /*v295*/, v182
	s_set_vgpr_msb 0                        ;  msbs: dst=0 src0=0 src1=0 src2=0
	v_add_f32_e32 v7, v7, v67
	s_set_vgpr_msb 1                        ;  msbs: dst=0 src0=1 src1=0 src2=0
	v_dual_fmac_f32 v73, v41 /*v297*/, v184 :: v_dual_mul_f32 v77, v44 /*v300*/, v189
	v_mul_f32_e32 v79, v46 /*v302*/, v191
	s_set_vgpr_msb 0                        ;  msbs: dst=0 src0=0 src1=0 src2=0
	v_dual_add_f32 v9, v9, v19 :: v_dual_add_f32 v7, v7, v69
	s_set_vgpr_msb 1                        ;  msbs: dst=0 src0=1 src1=0 src2=0
	v_dual_mul_f32 v13, v37 /*v293*/, v181 :: v_dual_mul_f32 v15, v39 /*v295*/, v183
	v_fma_f32 v11, v34 /*v290*/, v178, -v11
	s_set_vgpr_msb 0                        ;  msbs: dst=0 src0=0 src1=0 src2=0
	v_dual_add_f32 v9, v9, v21 :: v_dual_add_f32 v7, v7, v71
	s_wait_loadcnt 0x4
	v_mov_b32_e32 v120, v201
	s_set_vgpr_msb 1                        ;  msbs: dst=0 src0=1 src1=0 src2=0
	v_dual_mul_f32 v21, v45 /*v301*/, v189 :: v_dual_fmac_f32 v75, v43 /*v299*/, v186
	v_fmac_f32_e32 v77, v45 /*v301*/, v188
	s_set_vgpr_msb 0                        ;  msbs: dst=0 src0=0 src1=0 src2=0
	v_dual_add_f32 v9, v9, v23 :: v_dual_add_f32 v7, v7, v73
	s_set_vgpr_msb 1                        ;  msbs: dst=0 src0=1 src1=0 src2=0
	v_dual_mul_f32 v23, v47 /*v303*/, v191 :: v_dual_fma_f32 v13, v36 /*v292*/, v180, -v13
	v_dual_mul_f32 v17, v41 /*v297*/, v185 :: v_dual_mul_f32 v19, v43 /*v299*/, v187
	s_set_vgpr_msb 0                        ;  msbs: dst=0 src0=0 src1=0 src2=0
	v_add_f32_e32 v7, v7, v75
	v_add_f32_e32 v9, v9, v11
	s_set_vgpr_msb 1                        ;  msbs: dst=0 src0=1 src1=0 src2=0
	v_dual_mul_f32 v11, v49 /*v305*/, v193 :: v_dual_fma_f32 v15, v38 /*v294*/, v182, -v15
	v_dual_fmac_f32 v79, v47 /*v303*/, v190 :: v_dual_fmac_f32 v81, v49 /*v305*/, v192
	s_set_vgpr_msb 0                        ;  msbs: dst=0 src0=0 src1=0 src2=0
	v_add_f32_e32 v7, v7, v77
	v_add_f32_e32 v9, v9, v13
	s_wait_dscnt 0x0
	s_set_vgpr_msb 1                        ;  msbs: dst=0 src0=1 src1=0 src2=0
	v_dual_mul_f32 v13, v51 /*v307*/, v195 :: v_dual_fma_f32 v17, v40 /*v296*/, v184, -v17
	s_wait_loadcnt 0x3
	s_set_vgpr_msb 0                        ;  msbs: dst=0 src0=0 src1=0 src2=0
	v_dual_mov_b32 v124, v205 :: v_dual_add_f32 v7, v7, v79
	v_add_f32_e32 v9, v9, v15
	s_set_vgpr_msb 1                        ;  msbs: dst=0 src0=1 src1=0 src2=0
	v_dual_mul_f32 v15, v53 /*v309*/, v197 :: v_dual_fma_f32 v19, v42 /*v298*/, v186, -v19
	s_set_vgpr_msb 0x41                     ;  msbs: dst=1 src0=1 src1=0 src2=0
	v_dual_mul_f32 v65 /*v321*/, v50 /*v306*/, v195 :: v_dual_mul_f32 v67 /*v323*/, v52 /*v308*/, v197
	s_set_vgpr_msb 0                        ;  msbs: dst=0 src0=0 src1=0 src2=0
	v_add_f32_e32 v127, v7, v81
	v_add_f32_e32 v9, v9, v17
	s_set_vgpr_msb 1                        ;  msbs: dst=0 src0=1 src1=0 src2=0
	v_fma_f32 v17, v44 /*v300*/, v188, -v21
	v_fma_f32 v11, v48 /*v304*/, v192, -v11
	s_set_vgpr_msb 0                        ;  msbs: dst=0 src0=0 src1=0 src2=0
	v_pk_mul_f32 v[118:119], v[230:231], v[198:199] op_sel:[1,1] op_sel_hi:[0,1]
	s_set_vgpr_msb 0x41                     ;  msbs: dst=1 src0=1 src1=0 src2=0
	v_dual_fmac_f32 v65 /*v321*/, v51 /*v307*/, v194 :: v_dual_fmac_f32 v67 /*v323*/, v53 /*v309*/, v196
	s_set_vgpr_msb 0                        ;  msbs: dst=0 src0=0 src1=0 src2=0
	v_add_f32_e32 v9, v9, v19
	s_set_vgpr_msb 1                        ;  msbs: dst=0 src0=1 src1=0 src2=0
	v_fma_f32 v19, v46 /*v302*/, v190, -v23
	s_set_vgpr_msb 0x41                     ;  msbs: dst=1 src0=1 src1=0 src2=0
	v_dual_fma_f32 v64 /*v320*/, v50 /*v306*/, v194, -v13 :: v_dual_fma_f32 v66 /*v322*/, v52 /*v308*/, v196, -v15
	s_set_vgpr_msb 0                        ;  msbs: dst=0 src0=0 src1=0 src2=0
	v_pk_fma_f32 v[128:129], v[230:231], v[198:199], v[118:119] op_sel_hi:[1,0,1]
	v_add_f32_e32 v9, v9, v17
	s_set_vgpr_msb 1                        ;  msbs: dst=0 src0=1 src1=0 src2=0
	v_pk_mul_f32 v[120:121], v[56:57] /*v[312:313]*/, v[120:121] op_sel_hi:[1,0]
	s_set_vgpr_msb 0                        ;  msbs: dst=0 src0=0 src1=0 src2=0
	v_pk_fma_f32 v[118:119], v[230:231], v[198:199], v[118:119] neg_lo:[0,0,1] neg_hi:[0,0,1]
	v_pk_mul_f32 v[122:123], v[234:235], v[202:203] op_sel:[1,1] op_sel_hi:[0,1]
	v_mov_b32_e32 v119, v129
	v_add_f32_e32 v9, v9, v19
	v_pk_fma_f32 v[128:129], v[232:233], v[200:201], v[120:121] op_sel_hi:[1,0,1]
	v_pk_fma_f32 v[120:121], v[232:233], v[200:201], v[120:121] neg_lo:[0,0,1] neg_hi:[0,0,1]
	v_pk_fma_f32 v[132:133], v[234:235], v[202:203], v[122:123] op_sel_hi:[1,0,1]
	s_set_vgpr_msb 1                        ;  msbs: dst=0 src0=1 src1=0 src2=0
	v_pk_mul_f32 v[124:125], v[58:59] /*v[314:315]*/, v[124:125] op_sel_hi:[1,0]
	s_set_vgpr_msb 0                        ;  msbs: dst=0 src0=0 src1=0 src2=0
	v_add_f32_e32 v126, v9, v11
	v_mov_b32_e32 v121, v129
	s_wait_loadcnt 0x2
	v_pk_mul_f32 v[130:131], v[246:247], v[206:207] op_sel:[1,1] op_sel_hi:[0,1]
	v_pk_fma_f32 v[122:123], v[234:235], v[202:203], v[122:123] neg_lo:[0,0,1] neg_hi:[0,0,1]
	v_mov_b32_e32 v123, v133
	s_set_vgpr_msb 4                        ;  msbs: dst=0 src0=0 src1=1 src2=0
	v_pk_add_f32 v[126:127], v[126:127], v[64:65] /*v[320:321]*/
	s_set_vgpr_msb 0                        ;  msbs: dst=0 src0=0 src1=0 src2=0
	v_pk_fma_f32 v[128:129], v[236:237], v[204:205], v[124:125] op_sel_hi:[1,0,1]
	v_pk_fma_f32 v[124:125], v[236:237], v[204:205], v[124:125] neg_lo:[0,0,1] neg_hi:[0,0,1]
	s_set_vgpr_msb 4                        ;  msbs: dst=0 src0=0 src1=1 src2=0
	v_pk_add_f32 v[126:127], v[126:127], v[66:67] /*v[322:323]*/
	s_set_vgpr_msb 0                        ;  msbs: dst=0 src0=0 src1=0 src2=0
	s_delay_alu instid0(VALU_DEP_1) | instskip(SKIP_1) | instid1(VALU_DEP_2)
	v_pk_add_f32 v[118:119], v[126:127], v[118:119]
	v_mov_b32_e32 v126, v209
	v_pk_add_f32 v[118:119], v[118:119], v[120:121]
	v_pk_fma_f32 v[120:121], v[246:247], v[206:207], v[130:131] op_sel_hi:[1,0,1]
	s_set_vgpr_msb 1                        ;  msbs: dst=0 src0=1 src1=0 src2=0
	s_delay_alu instid0(VALU_DEP_3)
	v_pk_mul_f32 v[126:127], v[60:61] /*v[316:317]*/, v[126:127] op_sel_hi:[1,0]
	s_set_vgpr_msb 0                        ;  msbs: dst=0 src0=0 src1=0 src2=0
	v_mov_b32_e32 v125, v129
	v_pk_fma_f32 v[128:129], v[246:247], v[206:207], v[130:131] neg_lo:[0,0,1] neg_hi:[0,0,1]
	v_pk_add_f32 v[118:119], v[118:119], v[122:123]
	v_mov_b32_e32 v129, v121
	v_pk_fma_f32 v[120:121], v[248:249], v[208:209], v[126:127] op_sel_hi:[1,0,1]
	s_wait_loadcnt 0x1
	v_pk_mul_f32 v[122:123], v[250:251], v[210:211] op_sel:[1,1] op_sel_hi:[0,1]
	v_mov_b32_e32 v120, v213
	v_pk_add_f32 v[118:119], v[118:119], v[124:125]
	v_pk_fma_f32 v[126:127], v[248:249], v[208:209], v[126:127] neg_lo:[0,0,1] neg_hi:[0,0,1]
	v_mov_b32_e32 v127, v121
	v_pk_fma_f32 v[124:125], v[250:251], v[210:211], v[122:123] op_sel_hi:[1,0,1]
	s_set_vgpr_msb 1                        ;  msbs: dst=0 src0=1 src1=0 src2=0
	v_pk_mul_f32 v[120:121], v[62:63] /*v[318:319]*/, v[120:121] op_sel_hi:[1,0]
	s_set_vgpr_msb 0                        ;  msbs: dst=0 src0=0 src1=0 src2=0
	v_pk_add_f32 v[118:119], v[118:119], v[128:129]
	v_pk_fma_f32 v[122:123], v[250:251], v[210:211], v[122:123] neg_lo:[0,0,1] neg_hi:[0,0,1]
	v_mov_b32_e32 v123, v125
	v_pk_fma_f32 v[124:125], v[252:253], v[212:213], v[120:121] op_sel_hi:[1,0,1]
	s_delay_alu instid0(VALU_DEP_4) | instskip(SKIP_1) | instid1(VALU_DEP_3)
	v_pk_add_f32 v[118:119], v[118:119], v[126:127]
	v_pk_fma_f32 v[120:121], v[252:253], v[212:213], v[120:121] neg_lo:[0,0,1] neg_hi:[0,0,1]
	v_mov_b32_e32 v121, v125
	s_delay_alu instid0(VALU_DEP_3) | instskip(NEXT) | instid1(VALU_DEP_1)
	v_pk_add_f32 v[118:119], v[118:119], v[122:123]
	v_pk_add_f32 v[118:119], v[118:119], v[120:121]
	s_wait_loadcnt 0x0
	s_set_vgpr_msb 1                        ;  msbs: dst=0 src0=1 src1=0 src2=0
	s_delay_alu instid0(VALU_DEP_1)
	v_pk_add_f32 v[118:119], v[54:55] /*v[310:311]*/, v[118:119] neg_lo:[0,1] neg_hi:[0,1]
	scratch_store_b64 off, v[118:119], off offset:72
	s_wait_xcnt 0x0
	v_cmpx_lt_u32_e32 8, v0
	s_set_vgpr_msb 0                        ;  msbs: dst=0 src0=0 src1=0 src2=0
	s_cbranch_execz .LBB57_345
; %bb.344:
	scratch_load_b64 v[118:119], off, off offset:64
	v_mov_b64_e32 v[120:121], 0
	scratch_store_b64 off, v[120:121], off offset:64
	s_wait_loadcnt 0x0
	ds_store_b64 v1, v[118:119]
.LBB57_345:
	s_wait_xcnt 0x0
	s_or_b32 exec_lo, exec_lo, s0
	s_wait_storecnt_dscnt 0x0
	s_barrier_signal -1
	s_barrier_wait -1
	s_clause 0x1a
	scratch_load_b128 v[118:121], off, off offset:72
	scratch_load_b128 v[122:125], off, off offset:88
	;; [unrolled: 1-line block ×24, first 2 shown]
	s_set_vgpr_msb 64                       ;  msbs: dst=1 src0=0 src1=0 src2=0
	scratch_load_b64 v[54:55] /*v[310:311]*/, off, off offset:456
	scratch_load_b64 v[56:57] /*v[312:313]*/, off, off offset:64
	s_set_vgpr_msb 0                        ;  msbs: dst=0 src0=0 src1=0 src2=0
	v_mov_b32_e32 v7, 0
	ds_load_2addr_b64 v[214:217], v7 offset0:67 offset1:68
	ds_load_2addr_b64 v[218:221], v7 offset0:69 offset1:70
	;; [unrolled: 1-line block ×11, first 2 shown]
	s_set_vgpr_msb 64                       ;  msbs: dst=1 src0=0 src1=0 src2=0
	ds_load_2addr_b64 v[2:5] /*v[258:261]*/, v7 offset0:113 offset1:114
	ds_load_2addr_b64 v[6:9] /*v[262:265]*/, v7 offset0:83 offset1:84
	;; [unrolled: 1-line block ×13, first 2 shown]
	ds_load_b64 v[58:59] /*v[314:315]*/, v7 offset:920
	s_wait_dscnt 0x14
	v_dual_mov_b32 v60 /*v316*/, v233 :: v_dual_mov_b32 v61 /*v317*/, v232
	s_wait_dscnt 0x11
	v_dual_mov_b32 v62 /*v318*/, v245 :: v_dual_mov_b32 v63 /*v319*/, v244
	;; [unrolled: 2-line block ×3, first 2 shown]
	s_wait_dscnt 0xd
	s_set_vgpr_msb 0x41                     ;  msbs: dst=1 src0=1 src1=0 src2=0
	v_dual_mov_b32 v66 /*v322*/, v5 /*v261*/ :: v_dual_mov_b32 v67 /*v323*/, v4 /*v260*/
	s_mov_b32 s0, exec_lo
	s_wait_loadcnt 0x19
	s_set_vgpr_msb 0                        ;  msbs: dst=0 src0=0 src1=0 src2=0
	v_dual_mul_f32 v9, v214, v119 :: v_dual_mul_f32 v87, v215, v119
	v_dual_mul_f32 v89, v217, v121 :: v_dual_mul_f32 v11, v216, v121
	s_wait_loadcnt 0x18
	v_mul_f32_e32 v13, v218, v123
	s_wait_loadcnt 0x16
	v_dual_mul_f32 v99, v227, v131 :: v_dual_fma_f32 v87, v214, v118, -v87
	v_dual_fmac_f32 v9, v215, v118 :: v_dual_mul_f32 v101, v229, v133
	v_dual_mul_f32 v91, v219, v123 :: v_dual_mul_f32 v93, v221, v125
	v_dual_fmac_f32 v11, v217, v120 :: v_dual_fma_f32 v89, v216, v120, -v89
	s_delay_alu instid0(VALU_DEP_3) | instskip(SKIP_3) | instid1(VALU_DEP_3)
	v_dual_add_f32 v9, 0, v9 :: v_dual_add_f32 v87, 0, v87
	v_dual_mul_f32 v15, v220, v125 :: v_dual_mul_f32 v17, v222, v127
	s_wait_loadcnt 0x15
	v_dual_mul_f32 v103, v235, v135 :: v_dual_fma_f32 v91, v218, v122, -v91
	v_dual_fmac_f32 v13, v219, v122 :: v_dual_add_f32 v9, v9, v11
	s_delay_alu instid0(VALU_DEP_3) | instskip(SKIP_2) | instid1(VALU_DEP_3)
	v_dual_add_f32 v11, v87, v89 :: v_dual_fmac_f32 v15, v221, v124
	v_dual_mul_f32 v95, v223, v127 :: v_dual_mul_f32 v97, v225, v129
	v_dual_mul_f32 v87, v237, v137 :: v_dual_fma_f32 v89, v220, v124, -v93
	v_dual_add_f32 v9, v9, v13 :: v_dual_add_f32 v11, v11, v91
	v_dual_mul_f32 v19, v224, v129 :: v_dual_mul_f32 v21, v226, v131
	s_wait_loadcnt 0x14
	v_dual_mul_f32 v13, v239, v139 :: v_dual_fma_f32 v91, v222, v126, -v95
	s_delay_alu instid0(VALU_DEP_3) | instskip(NEXT) | instid1(VALU_DEP_3)
	v_dual_fmac_f32 v17, v223, v126 :: v_dual_add_f32 v9, v9, v15
	v_dual_add_f32 v11, v11, v89 :: v_dual_fmac_f32 v19, v225, v128
	v_dual_mul_f32 v15, v241, v141 :: v_dual_fma_f32 v89, v224, v128, -v97
	s_delay_alu instid0(VALU_DEP_2) | instskip(SKIP_3) | instid1(VALU_DEP_3)
	v_dual_add_f32 v9, v9, v17 :: v_dual_add_f32 v11, v11, v91
	v_dual_mul_f32 v23, v228, v133 :: v_dual_mul_f32 v25, v234, v135
	s_wait_loadcnt 0x13
	v_dual_mul_f32 v17, v251, v143 :: v_dual_fma_f32 v91, v226, v130, -v99
	v_dual_fmac_f32 v21, v227, v130 :: v_dual_add_f32 v9, v9, v19
	s_delay_alu instid0(VALU_DEP_3) | instskip(SKIP_1) | instid1(VALU_DEP_2)
	v_dual_add_f32 v11, v11, v89 :: v_dual_fmac_f32 v23, v229, v132
	v_dual_mul_f32 v19, v253, v145 :: v_dual_fma_f32 v89, v228, v132, -v101
	v_dual_add_f32 v9, v9, v21 :: v_dual_add_f32 v11, v11, v91
	v_dual_mul_f32 v27, v236, v137 :: v_dual_mul_f32 v29, v238, v139
	s_wait_loadcnt 0x12
	v_dual_mul_f32 v21, v255, v147 :: v_dual_fma_f32 v91, v234, v134, -v103
	s_delay_alu instid0(VALU_DEP_3) | instskip(NEXT) | instid1(VALU_DEP_3)
	v_dual_fmac_f32 v25, v235, v134 :: v_dual_add_f32 v9, v9, v23
	v_dual_add_f32 v11, v11, v89 :: v_dual_fmac_f32 v27, v237, v136
	v_fma_f32 v87, v236, v136, -v87
	v_dual_mul_f32 v31, v240, v141 :: v_dual_mul_f32 v33, v250, v143
	s_delay_alu instid0(VALU_DEP_3) | instskip(SKIP_1) | instid1(VALU_DEP_3)
	v_dual_add_f32 v9, v9, v25 :: v_dual_add_f32 v11, v11, v91
	v_fma_f32 v13, v238, v138, -v13
	v_dual_fmac_f32 v29, v239, v138 :: v_dual_fmac_f32 v31, v241, v140
	s_delay_alu instid0(VALU_DEP_3) | instskip(NEXT) | instid1(VALU_DEP_4)
	v_add_f32_e32 v9, v9, v27
	v_dual_add_f32 v11, v11, v87 :: v_dual_fma_f32 v15, v240, v140, -v15
	v_dual_mul_f32 v35, v252, v145 :: v_dual_mul_f32 v37, v254, v147
	s_delay_alu instid0(VALU_DEP_3) | instskip(NEXT) | instid1(VALU_DEP_3)
	v_add_f32_e32 v9, v9, v29
	v_dual_add_f32 v11, v11, v13 :: v_dual_fma_f32 v17, v250, v142, -v17
	s_delay_alu instid0(VALU_DEP_3) | instskip(NEXT) | instid1(VALU_DEP_3)
	v_dual_fmac_f32 v33, v251, v142 :: v_dual_fmac_f32 v35, v253, v144
	v_add_f32_e32 v9, v9, v31
	s_delay_alu instid0(VALU_DEP_3)
	v_dual_add_f32 v11, v11, v15 :: v_dual_fma_f32 v19, v252, v144, -v19
	s_wait_loadcnt_dscnt 0x110c
	s_set_vgpr_msb 1                        ;  msbs: dst=0 src0=1 src1=0 src2=0
	v_dual_mul_f32 v39, v0 /*v256*/, v149 :: v_dual_mul_f32 v41, v6 /*v262*/, v151
	s_set_vgpr_msb 0                        ;  msbs: dst=0 src0=0 src1=0 src2=0
	v_add_f32_e32 v9, v9, v33
	v_dual_add_f32 v11, v11, v17 :: v_dual_fma_f32 v21, v254, v146, -v21
	s_set_vgpr_msb 1                        ;  msbs: dst=0 src0=1 src1=0 src2=0
	v_dual_mul_f32 v23, v1 /*v257*/, v149 :: v_dual_mul_f32 v25, v7 /*v263*/, v151
	s_set_vgpr_msb 0                        ;  msbs: dst=0 src0=0 src1=0 src2=0
	v_dual_fmac_f32 v37, v255, v146 :: v_dual_add_f32 v9, v9, v35
	v_add_f32_e32 v11, v11, v19
	s_wait_loadcnt_dscnt 0xf0a
	s_set_vgpr_msb 1                        ;  msbs: dst=0 src0=1 src1=0 src2=0
	v_dual_mul_f32 v19, v17 /*v273*/, v161 :: v_dual_fma_f32 v23, v0 /*v256*/, v148, -v23
	v_fmac_f32_e32 v39, v1 /*v257*/, v148
	s_set_vgpr_msb 0                        ;  msbs: dst=0 src0=0 src1=0 src2=0
	v_add_f32_e32 v9, v9, v37
	v_add_f32_e32 v11, v11, v21
	s_set_vgpr_msb 1                        ;  msbs: dst=0 src0=1 src1=0 src2=0
	v_dual_mul_f32 v43, v8 /*v264*/, v153 :: v_dual_mul_f32 v45, v10 /*v266*/, v155
	v_dual_mul_f32 v27, v9 /*v265*/, v153 :: v_dual_mul_f32 v13, v11 /*v267*/, v155
	s_wait_loadcnt_dscnt 0xe09
	v_mul_f32_e32 v21, v19 /*v275*/, v163
	v_fmac_f32_e32 v41, v7 /*v263*/, v150
	v_dual_fma_f32 v25, v6 /*v262*/, v150, -v25 :: v_dual_fmac_f32 v43, v9 /*v265*/, v152
	s_set_vgpr_msb 0                        ;  msbs: dst=0 src0=0 src1=0 src2=0
	v_add_f32_e32 v9, v9, v39
	v_add_f32_e32 v11, v11, v23
	s_set_vgpr_msb 1                        ;  msbs: dst=0 src0=1 src1=0 src2=0
	v_dual_mul_f32 v23, v21 /*v277*/, v165 :: v_dual_fma_f32 v27, v8 /*v264*/, v152, -v27
	v_dual_mul_f32 v47, v12 /*v268*/, v157 :: v_dual_mul_f32 v49, v14 /*v270*/, v159
	s_set_vgpr_msb 0                        ;  msbs: dst=0 src0=0 src1=0 src2=0
	v_add_f32_e32 v9, v9, v41
	v_add_f32_e32 v11, v11, v25
	s_set_vgpr_msb 1                        ;  msbs: dst=0 src0=1 src1=0 src2=0
	v_dual_mul_f32 v15, v13 /*v269*/, v157 :: v_dual_mul_f32 v17, v15 /*v271*/, v159
	s_wait_loadcnt_dscnt 0xd08
	v_mul_f32_e32 v25, v23 /*v279*/, v167
	v_fmac_f32_e32 v45, v11 /*v267*/, v154
	v_dual_fma_f32 v13, v10 /*v266*/, v154, -v13 :: v_dual_fmac_f32 v47, v13 /*v269*/, v156
	s_set_vgpr_msb 0                        ;  msbs: dst=0 src0=0 src1=0 src2=0
	v_add_f32_e32 v9, v9, v43
	v_add_f32_e32 v11, v11, v27
	s_set_vgpr_msb 1                        ;  msbs: dst=0 src0=1 src1=0 src2=0
	v_dual_mul_f32 v27, v25 /*v281*/, v169 :: v_dual_fma_f32 v15, v12 /*v268*/, v156, -v15
	v_dual_mul_f32 v51, v16 /*v272*/, v161 :: v_dual_mul_f32 v53, v18 /*v274*/, v163
	s_set_vgpr_msb 0                        ;  msbs: dst=0 src0=0 src1=0 src2=0
	v_add_f32_e32 v9, v9, v45
	v_add_f32_e32 v11, v11, v13
	s_wait_loadcnt_dscnt 0xc07
	s_set_vgpr_msb 1                        ;  msbs: dst=0 src0=1 src1=0 src2=0
	v_mul_f32_e32 v13, v27 /*v283*/, v171
	v_fmac_f32_e32 v49, v15 /*v271*/, v158
	v_dual_fma_f32 v17, v14 /*v270*/, v158, -v17 :: v_dual_fmac_f32 v51, v17 /*v273*/, v160
	s_set_vgpr_msb 0                        ;  msbs: dst=0 src0=0 src1=0 src2=0
	v_add_f32_e32 v9, v9, v47
	v_add_f32_e32 v11, v11, v15
	s_set_vgpr_msb 1                        ;  msbs: dst=0 src0=1 src1=0 src2=0
	v_dual_mul_f32 v15, v29 /*v285*/, v173 :: v_dual_fma_f32 v19, v16 /*v272*/, v160, -v19
	v_dual_mul_f32 v55, v20 /*v276*/, v165 :: v_dual_mul_f32 v57, v22 /*v278*/, v167
	s_set_vgpr_msb 0                        ;  msbs: dst=0 src0=0 src1=0 src2=0
	v_add_f32_e32 v9, v9, v49
	v_add_f32_e32 v11, v11, v17
	s_wait_loadcnt_dscnt 0xb06
	s_set_vgpr_msb 1                        ;  msbs: dst=0 src0=1 src1=0 src2=0
	;; [unrolled: 14-line block ×7, first 2 shown]
	v_mul_f32_e32 v21, v51 /*v307*/, v195
	v_fmac_f32_e32 v73, v39 /*v295*/, v182
	v_dual_fma_f32 v25, v38 /*v294*/, v182, -v25 :: v_dual_fmac_f32 v75, v41 /*v297*/, v184
	s_set_vgpr_msb 0                        ;  msbs: dst=0 src0=0 src1=0 src2=0
	v_add_f32_e32 v9, v9, v71
	v_add_f32_e32 v11, v11, v23
	s_set_vgpr_msb 1                        ;  msbs: dst=0 src0=1 src1=0 src2=0
	v_dual_mul_f32 v23, v53 /*v309*/, v197 :: v_dual_fma_f32 v27, v40 /*v296*/, v184, -v27
	v_fmac_f32_e32 v77, v43 /*v299*/, v186
	s_set_vgpr_msb 0                        ;  msbs: dst=0 src0=0 src1=0 src2=0
	v_add_f32_e32 v9, v9, v73
	v_add_f32_e32 v11, v11, v25
	s_set_vgpr_msb 1                        ;  msbs: dst=0 src0=1 src1=0 src2=0
	v_dual_mul_f32 v79, v44 /*v300*/, v189 :: v_dual_mul_f32 v81, v46 /*v302*/, v191
	v_fma_f32 v13, v42 /*v298*/, v186, -v13
	s_set_vgpr_msb 0                        ;  msbs: dst=0 src0=0 src1=0 src2=0
	v_add_f32_e32 v9, v9, v75
	v_add_f32_e32 v11, v11, v27
	s_set_vgpr_msb 1                        ;  msbs: dst=0 src0=1 src1=0 src2=0
	v_fmac_f32_e32 v79, v45 /*v301*/, v188
	v_dual_fma_f32 v15, v44 /*v300*/, v188, -v15 :: v_dual_fmac_f32 v81, v47 /*v303*/, v190
	s_set_vgpr_msb 0                        ;  msbs: dst=0 src0=0 src1=0 src2=0
	v_add_f32_e32 v9, v9, v77
	v_add_f32_e32 v11, v11, v13
	s_set_vgpr_msb 1                        ;  msbs: dst=0 src0=1 src1=0 src2=0
	v_dual_mul_f32 v83, v48 /*v304*/, v193 :: v_dual_mul_f32 v85, v50 /*v306*/, v195
	v_fma_f32 v13, v46 /*v302*/, v190, -v17
	s_set_vgpr_msb 0                        ;  msbs: dst=0 src0=0 src1=0 src2=0
	v_add_f32_e32 v9, v9, v79
	s_wait_loadcnt 0x4
	v_dual_add_f32 v11, v11, v15 :: v_dual_mov_b32 v122, v205
	v_dual_mul_f32 v25, v231, v199 :: v_dual_mov_b32 v118, v201
	s_set_vgpr_msb 1                        ;  msbs: dst=0 src0=1 src1=0 src2=0
	v_fmac_f32_e32 v83, v49 /*v305*/, v192
	v_dual_fma_f32 v15, v48 /*v304*/, v192, -v19 :: v_dual_fmac_f32 v85, v51 /*v307*/, v194
	s_set_vgpr_msb 0                        ;  msbs: dst=0 src0=0 src1=0 src2=0
	v_add_f32_e32 v11, v11, v13
	v_add_f32_e32 v9, v9, v81
	s_set_vgpr_msb 0x41                     ;  msbs: dst=1 src0=1 src1=0 src2=0
	v_dual_mul_f32 v69 /*v325*/, v52 /*v308*/, v197 :: v_dual_fma_f32 v68 /*v324*/, v52 /*v308*/, v196, -v23
	s_set_vgpr_msb 1                        ;  msbs: dst=0 src0=1 src1=0 src2=0
	v_fma_f32 v13, v50 /*v306*/, v194, -v21
	s_set_vgpr_msb 0                        ;  msbs: dst=0 src0=0 src1=0 src2=0
	v_add_f32_e32 v11, v11, v15
	v_add_f32_e32 v9, v9, v83
	s_set_vgpr_msb 1                        ;  msbs: dst=0 src0=1 src1=0 src2=0
	v_pk_mul_f32 v[118:119], v[60:61] /*v[316:317]*/, v[118:119] op_sel_hi:[1,0]
	s_set_vgpr_msb 64                       ;  msbs: dst=1 src0=0 src1=0 src2=0
	v_dual_mul_f32 v71 /*v327*/, v230, v199 :: v_dual_fma_f32 v70 /*v326*/, v230, v198, -v25
	s_set_vgpr_msb 0x41                     ;  msbs: dst=1 src0=1 src1=0 src2=0
	v_fmac_f32_e32 v69 /*v325*/, v53 /*v309*/, v196
	s_wait_loadcnt 0x3
	s_set_vgpr_msb 0                        ;  msbs: dst=0 src0=0 src1=0 src2=0
	v_dual_add_f32 v126, v11, v13 :: v_dual_mov_b32 v128, v209
	v_pk_fma_f32 v[130:131], v[232:233], v[200:201], v[118:119] op_sel_hi:[1,0,1]
	v_add_f32_e32 v127, v9, v85
	v_pk_fma_f32 v[118:119], v[232:233], v[200:201], v[118:119] neg_lo:[0,0,1] neg_hi:[0,0,1]
	v_pk_mul_f32 v[120:121], v[242:243], v[202:203] op_sel:[1,1] op_sel_hi:[0,1]
	s_set_vgpr_msb 64                       ;  msbs: dst=1 src0=0 src1=0 src2=0
	v_fmac_f32_e32 v71 /*v327*/, v231, v198
	s_set_vgpr_msb 4                        ;  msbs: dst=0 src0=0 src1=1 src2=0
	v_mov_b32_e32 v119, v131
	v_pk_add_f32 v[126:127], v[126:127], v[68:69] /*v[324:325]*/
	s_set_vgpr_msb 1                        ;  msbs: dst=0 src0=1 src1=0 src2=0
	v_pk_mul_f32 v[122:123], v[62:63] /*v[318:319]*/, v[122:123] op_sel_hi:[1,0]
	s_set_vgpr_msb 0                        ;  msbs: dst=0 src0=0 src1=0 src2=0
	v_pk_fma_f32 v[132:133], v[242:243], v[202:203], v[120:121] op_sel_hi:[1,0,1]
	v_pk_fma_f32 v[120:121], v[242:243], v[202:203], v[120:121] neg_lo:[0,0,1] neg_hi:[0,0,1]
	v_pk_mul_f32 v[124:125], v[246:247], v[206:207] op_sel:[1,1] op_sel_hi:[0,1]
	s_set_vgpr_msb 4                        ;  msbs: dst=0 src0=0 src1=1 src2=0
	v_pk_add_f32 v[126:127], v[126:127], v[70:71] /*v[326:327]*/
	s_set_vgpr_msb 1                        ;  msbs: dst=0 src0=1 src1=0 src2=0
	v_pk_mul_f32 v[128:129], v[64:65] /*v[320:321]*/, v[128:129] op_sel_hi:[1,0]
	s_set_vgpr_msb 0                        ;  msbs: dst=0 src0=0 src1=0 src2=0
	v_mov_b32_e32 v121, v133
	v_pk_fma_f32 v[132:133], v[244:245], v[204:205], v[122:123] op_sel_hi:[1,0,1]
	v_pk_fma_f32 v[122:123], v[244:245], v[204:205], v[122:123] neg_lo:[0,0,1] neg_hi:[0,0,1]
	v_pk_add_f32 v[118:119], v[126:127], v[118:119]
	v_pk_fma_f32 v[126:127], v[246:247], v[206:207], v[124:125] op_sel_hi:[1,0,1]
	v_pk_fma_f32 v[124:125], v[246:247], v[206:207], v[124:125] neg_lo:[0,0,1] neg_hi:[0,0,1]
	v_mov_b32_e32 v123, v133
	s_wait_loadcnt 0x2
	s_set_vgpr_msb 1                        ;  msbs: dst=0 src0=1 src1=0 src2=0
	v_pk_mul_f32 v[130:131], v[2:3] /*v[258:259]*/, v[210:211] op_sel:[1,1] op_sel_hi:[0,1]
	s_set_vgpr_msb 0                        ;  msbs: dst=0 src0=0 src1=0 src2=0
	v_pk_add_f32 v[118:119], v[118:119], v[120:121]
	v_dual_mov_b32 v120, v213 :: v_dual_mov_b32 v125, v127
	v_pk_fma_f32 v[126:127], v[248:249], v[208:209], v[128:129] op_sel_hi:[1,0,1]
	v_pk_fma_f32 v[128:129], v[248:249], v[208:209], v[128:129] neg_lo:[0,0,1] neg_hi:[0,0,1]
	s_delay_alu instid0(VALU_DEP_4)
	v_pk_add_f32 v[118:119], v[118:119], v[122:123]
	s_set_vgpr_msb 1                        ;  msbs: dst=0 src0=1 src1=0 src2=0
	v_pk_fma_f32 v[122:123], v[2:3] /*v[258:259]*/, v[210:211], v[130:131] op_sel_hi:[1,0,1]
	v_pk_mul_f32 v[120:121], v[66:67] /*v[322:323]*/, v[120:121] op_sel_hi:[1,0]
	s_set_vgpr_msb 0                        ;  msbs: dst=0 src0=0 src1=0 src2=0
	v_mov_b32_e32 v129, v127
	s_wait_loadcnt_dscnt 0x100
	s_set_vgpr_msb 5                        ;  msbs: dst=0 src0=1 src1=1 src2=0
	v_pk_mul_f32 v[126:127], v[58:59] /*v[314:315]*/, v[54:55] /*v[310:311]*/ op_sel:[1,1] op_sel_hi:[0,1]
	s_set_vgpr_msb 0                        ;  msbs: dst=0 src0=0 src1=0 src2=0
	v_pk_add_f32 v[118:119], v[118:119], v[124:125]
	s_set_vgpr_msb 1                        ;  msbs: dst=0 src0=1 src1=0 src2=0
	v_pk_fma_f32 v[124:125], v[2:3] /*v[258:259]*/, v[210:211], v[130:131] neg_lo:[0,0,1] neg_hi:[0,0,1]
	s_set_vgpr_msb 0                        ;  msbs: dst=0 src0=0 src1=0 src2=0
	v_mov_b32_e32 v125, v123
	s_set_vgpr_msb 1                        ;  msbs: dst=0 src0=1 src1=0 src2=0
	v_pk_fma_f32 v[122:123], v[4:5] /*v[260:261]*/, v[212:213], v[120:121] op_sel_hi:[1,0,1]
	v_pk_fma_f32 v[120:121], v[4:5] /*v[260:261]*/, v[212:213], v[120:121] neg_lo:[0,0,1] neg_hi:[0,0,1]
	s_set_vgpr_msb 0                        ;  msbs: dst=0 src0=0 src1=0 src2=0
	v_pk_add_f32 v[118:119], v[118:119], v[128:129]
	s_delay_alu instid0(VALU_DEP_3)
	v_mov_b32_e32 v121, v123
	s_set_vgpr_msb 5                        ;  msbs: dst=0 src0=1 src1=1 src2=0
	v_pk_fma_f32 v[122:123], v[58:59] /*v[314:315]*/, v[54:55] /*v[310:311]*/, v[126:127] op_sel_hi:[1,0,1]
	s_set_vgpr_msb 0                        ;  msbs: dst=0 src0=0 src1=0 src2=0
	v_pk_add_f32 v[118:119], v[118:119], v[124:125]
	s_set_vgpr_msb 5                        ;  msbs: dst=0 src0=1 src1=1 src2=0
	v_pk_fma_f32 v[124:125], v[58:59] /*v[314:315]*/, v[54:55] /*v[310:311]*/, v[126:127] neg_lo:[0,0,1] neg_hi:[0,0,1]
	s_set_vgpr_msb 0                        ;  msbs: dst=0 src0=0 src1=0 src2=0
	v_mov_b32_e32 v125, v123
	v_pk_add_f32 v[118:119], v[118:119], v[120:121]
	s_delay_alu instid0(VALU_DEP_1) | instskip(SKIP_2) | instid1(VALU_DEP_1)
	v_pk_add_f32 v[118:119], v[118:119], v[124:125]
	s_wait_loadcnt 0x0
	s_set_vgpr_msb 1                        ;  msbs: dst=0 src0=1 src1=0 src2=0
	v_pk_add_f32 v[118:119], v[56:57] /*v[312:313]*/, v[118:119] neg_lo:[0,1] neg_hi:[0,1]
	scratch_store_b64 off, v[118:119], off offset:64
	s_wait_xcnt 0x0
	v_cmpx_lt_u32_e32 7, v0
	s_set_vgpr_msb 0                        ;  msbs: dst=0 src0=0 src1=0 src2=0
	s_cbranch_execz .LBB57_347
; %bb.346:
	scratch_load_b64 v[118:119], off, off offset:56
	v_mov_b64_e32 v[120:121], 0
	scratch_store_b64 off, v[120:121], off offset:56
	s_wait_loadcnt 0x0
	ds_store_b64 v1, v[118:119]
.LBB57_347:
	s_wait_xcnt 0x0
	s_or_b32 exec_lo, exec_lo, s0
	s_wait_storecnt_dscnt 0x0
	s_barrier_signal -1
	s_barrier_wait -1
	s_clause 0x18
	scratch_load_b128 v[118:121], off, off offset:64
	scratch_load_b128 v[122:125], off, off offset:80
	;; [unrolled: 1-line block ×25, first 2 shown]
	ds_load_b128 v[218:221], v7 offset:528
	ds_load_b128 v[222:225], v7 offset:544
	;; [unrolled: 1-line block ×10, first 2 shown]
	s_set_vgpr_msb 64                       ;  msbs: dst=1 src0=0 src1=0 src2=0
	ds_load_b128 v[2:5] /*v[258:261]*/, v7 offset:624
	ds_load_b128 v[6:9] /*v[262:265]*/, v7 offset:640
	;; [unrolled: 1-line block ×9, first 2 shown]
	scratch_load_b64 v[62:63] /*v[318:319]*/, off, off offset:56
	ds_load_b128 v[38:41] /*v[294:297]*/, v7 offset:752
	ds_load_b128 v[42:45] /*v[298:301]*/, v7 offset:768
	;; [unrolled: 1-line block ×6, first 2 shown]
	s_mov_b32 s0, exec_lo
	s_wait_dscnt 0x13
	v_dual_mov_b32 v64 /*v320*/, v241 :: v_dual_mov_b32 v65 /*v321*/, v240
	s_wait_dscnt 0x10
	v_dual_mov_b32 v66 /*v322*/, v253 :: v_dual_mov_b32 v67 /*v323*/, v252
	s_wait_dscnt 0xf
	s_set_vgpr_msb 0x41                     ;  msbs: dst=1 src0=1 src1=0 src2=0
	v_dual_mov_b32 v68 /*v324*/, v1 /*v257*/ :: v_dual_mov_b32 v69 /*v325*/, v0 /*v256*/
	s_wait_dscnt 0xc
	v_dual_mov_b32 v70 /*v326*/, v13 /*v269*/ :: v_dual_mov_b32 v71 /*v327*/, v12 /*v268*/
	s_wait_loadcnt 0x19
	s_set_vgpr_msb 0                        ;  msbs: dst=0 src0=0 src1=0 src2=0
	v_dual_mul_f32 v7, v218, v119 :: v_dual_mul_f32 v9, v220, v121
	v_dual_mul_f32 v87, v219, v119 :: v_dual_mul_f32 v89, v221, v121
	s_wait_loadcnt 0x18
	v_dual_mul_f32 v11, v222, v123 :: v_dual_mul_f32 v13, v224, v125
	s_delay_alu instid0(VALU_DEP_3) | instskip(SKIP_3) | instid1(VALU_DEP_3)
	v_dual_fmac_f32 v7, v219, v118 :: v_dual_fmac_f32 v9, v221, v120
	s_wait_loadcnt 0x16
	v_dual_fma_f32 v87, v218, v118, -v87 :: v_dual_mul_f32 v99, v231, v131
	v_dual_mul_f32 v91, v223, v123 :: v_dual_mul_f32 v93, v225, v125
	v_dual_fma_f32 v89, v220, v120, -v89 :: v_dual_add_f32 v7, 0, v7
	s_delay_alu instid0(VALU_DEP_3) | instskip(SKIP_1) | instid1(VALU_DEP_3)
	v_dual_add_f32 v87, 0, v87 :: v_dual_mul_f32 v101, v233, v133
	v_dual_fmac_f32 v11, v223, v122 :: v_dual_fmac_f32 v13, v225, v124
	v_dual_fma_f32 v91, v222, v122, -v91 :: v_dual_add_f32 v7, v7, v9
	s_delay_alu instid0(VALU_DEP_3) | instskip(SKIP_2) | instid1(VALU_DEP_4)
	v_dual_add_f32 v9, v87, v89 :: v_dual_fma_f32 v89, v224, v124, -v93
	v_dual_mul_f32 v15, v226, v127 :: v_dual_mul_f32 v17, v228, v129
	v_dual_mul_f32 v95, v227, v127 :: v_dual_mul_f32 v97, v229, v129
	v_add_f32_e32 v7, v7, v11
	s_delay_alu instid0(VALU_DEP_3) | instskip(NEXT) | instid1(VALU_DEP_3)
	v_dual_add_f32 v9, v9, v91 :: v_dual_fmac_f32 v15, v227, v126
	v_fma_f32 v91, v226, v126, -v95
	v_dual_mul_f32 v19, v230, v131 :: v_dual_mul_f32 v21, v232, v133
	s_delay_alu instid0(VALU_DEP_4) | instskip(SKIP_2) | instid1(VALU_DEP_2)
	v_dual_add_f32 v7, v7, v13 :: v_dual_fmac_f32 v17, v229, v128
	s_wait_loadcnt 0x14
	v_dual_add_f32 v9, v9, v89 :: v_dual_mul_f32 v13, v247, v139
	v_dual_fma_f32 v89, v228, v128, -v97 :: v_dual_add_f32 v7, v7, v15
	v_mul_f32_e32 v15, v249, v141
	s_delay_alu instid0(VALU_DEP_3) | instskip(NEXT) | instid1(VALU_DEP_3)
	v_dual_add_f32 v9, v9, v91 :: v_dual_fmac_f32 v19, v231, v130
	v_dual_fma_f32 v91, v230, v130, -v99 :: v_dual_add_f32 v7, v7, v17
	v_fmac_f32_e32 v21, v233, v132
	s_delay_alu instid0(VALU_DEP_3) | instskip(SKIP_3) | instid1(VALU_DEP_3)
	v_dual_add_f32 v9, v9, v89 :: v_dual_fma_f32 v89, v232, v132, -v101
	v_dual_mul_f32 v23, v242, v135 :: v_dual_mul_f32 v25, v244, v137
	v_dual_mul_f32 v87, v243, v135 :: v_dual_mul_f32 v11, v245, v137
	v_add_f32_e32 v7, v7, v19
	v_dual_add_f32 v9, v9, v91 :: v_dual_fmac_f32 v23, v243, v134
	s_delay_alu instid0(VALU_DEP_3) | instskip(SKIP_1) | instid1(VALU_DEP_4)
	v_fma_f32 v87, v242, v134, -v87
	v_dual_mul_f32 v27, v246, v139 :: v_dual_mul_f32 v29, v248, v141
	v_dual_add_f32 v7, v7, v21 :: v_dual_fmac_f32 v25, v245, v136
	s_delay_alu instid0(VALU_DEP_4) | instskip(NEXT) | instid1(VALU_DEP_3)
	v_dual_add_f32 v9, v9, v89 :: v_dual_fma_f32 v11, v244, v136, -v11
	v_fmac_f32_e32 v27, v247, v138
	s_delay_alu instid0(VALU_DEP_3) | instskip(NEXT) | instid1(VALU_DEP_3)
	v_dual_add_f32 v7, v7, v23 :: v_dual_fma_f32 v13, v246, v138, -v13
	v_add_f32_e32 v9, v9, v87
	s_wait_loadcnt 0x13
	s_set_vgpr_msb 1                        ;  msbs: dst=0 src0=1 src1=0 src2=0
	v_dual_mul_f32 v31, v2 /*v258*/, v143 :: v_dual_mul_f32 v33, v4 /*v260*/, v145
	s_set_vgpr_msb 0                        ;  msbs: dst=0 src0=0 src1=0 src2=0
	v_add_f32_e32 v7, v7, v25
	s_set_vgpr_msb 1                        ;  msbs: dst=0 src0=1 src1=0 src2=0
	v_dual_mul_f32 v17, v3 /*v259*/, v143 :: v_dual_mul_f32 v19, v5 /*v261*/, v145
	s_set_vgpr_msb 0                        ;  msbs: dst=0 src0=0 src1=0 src2=0
	v_add_f32_e32 v9, v9, v11
	v_dual_fmac_f32 v29, v249, v140 :: v_dual_fma_f32 v15, v248, v140, -v15
	v_add_f32_e32 v7, v7, v27
	s_set_vgpr_msb 1                        ;  msbs: dst=0 src0=1 src1=0 src2=0
	v_dual_fmac_f32 v31, v3 /*v259*/, v142 :: v_dual_fma_f32 v17, v2 /*v258*/, v142, -v17
	s_set_vgpr_msb 0                        ;  msbs: dst=0 src0=0 src1=0 src2=0
	v_add_f32_e32 v9, v9, v13
	s_wait_loadcnt 0x12
	s_set_vgpr_msb 1                        ;  msbs: dst=0 src0=1 src1=0 src2=0
	v_dual_mul_f32 v35, v6 /*v262*/, v147 :: v_dual_mul_f32 v37, v8 /*v264*/, v149
	s_set_vgpr_msb 0                        ;  msbs: dst=0 src0=0 src1=0 src2=0
	v_add_f32_e32 v7, v7, v29
	s_set_vgpr_msb 1                        ;  msbs: dst=0 src0=1 src1=0 src2=0
	v_dual_mul_f32 v21, v7 /*v263*/, v147 :: v_dual_mul_f32 v23, v9 /*v265*/, v149
	s_set_vgpr_msb 0                        ;  msbs: dst=0 src0=0 src1=0 src2=0
	v_add_f32_e32 v9, v9, v15
	s_wait_loadcnt_dscnt 0x100a
	s_set_vgpr_msb 1                        ;  msbs: dst=0 src0=1 src1=0 src2=0
	v_dual_mul_f32 v15, v19 /*v275*/, v155 :: v_dual_fmac_f32 v33, v5 /*v261*/, v144
	v_fma_f32 v19, v4 /*v260*/, v144, -v19
	s_set_vgpr_msb 0                        ;  msbs: dst=0 src0=0 src1=0 src2=0
	v_dual_add_f32 v7, v7, v31 :: v_dual_add_f32 v9, v9, v17
	s_set_vgpr_msb 1                        ;  msbs: dst=0 src0=1 src1=0 src2=0
	v_dual_mul_f32 v17, v21 /*v277*/, v157 :: v_dual_fmac_f32 v35, v7 /*v263*/, v146
	v_fma_f32 v21, v6 /*v262*/, v146, -v21
	s_set_vgpr_msb 0                        ;  msbs: dst=0 src0=0 src1=0 src2=0
	v_dual_add_f32 v7, v7, v33 :: v_dual_add_f32 v9, v9, v19
	s_set_vgpr_msb 1                        ;  msbs: dst=0 src0=1 src1=0 src2=0
	v_dual_mul_f32 v11, v15 /*v271*/, v151 :: v_dual_mul_f32 v13, v17 /*v273*/, v153
	s_wait_loadcnt_dscnt 0xf09
	v_dual_mul_f32 v19, v23 /*v279*/, v159 :: v_dual_fmac_f32 v37, v9 /*v265*/, v148
	v_fma_f32 v23, v8 /*v264*/, v148, -v23
	s_set_vgpr_msb 0                        ;  msbs: dst=0 src0=0 src1=0 src2=0
	v_dual_add_f32 v7, v7, v35 :: v_dual_add_f32 v9, v9, v21
	s_set_vgpr_msb 1                        ;  msbs: dst=0 src0=1 src1=0 src2=0
	v_dual_mul_f32 v39, v14 /*v270*/, v151 :: v_dual_mul_f32 v41, v16 /*v272*/, v153
	v_dual_mul_f32 v21, v25 /*v281*/, v161 :: v_dual_fma_f32 v11, v14 /*v270*/, v150, -v11
	s_set_vgpr_msb 0                        ;  msbs: dst=0 src0=0 src1=0 src2=0
	v_dual_add_f32 v7, v7, v37 :: v_dual_add_f32 v9, v9, v23
	s_set_vgpr_msb 1                        ;  msbs: dst=0 src0=1 src1=0 src2=0
	v_dual_fmac_f32 v39, v15 /*v271*/, v150 :: v_dual_fmac_f32 v41, v17 /*v273*/, v152
	s_wait_loadcnt_dscnt 0xe08
	v_dual_mul_f32 v23, v27 /*v283*/, v163 :: v_dual_fma_f32 v13, v16 /*v272*/, v152, -v13
	s_set_vgpr_msb 0                        ;  msbs: dst=0 src0=0 src1=0 src2=0
	v_add_f32_e32 v9, v9, v11
	s_set_vgpr_msb 1                        ;  msbs: dst=0 src0=1 src1=0 src2=0
	v_dual_mul_f32 v43, v18 /*v274*/, v155 :: v_dual_mul_f32 v45, v20 /*v276*/, v157
	v_mul_f32_e32 v11, v29 /*v285*/, v165
	s_set_vgpr_msb 0                        ;  msbs: dst=0 src0=0 src1=0 src2=0
	v_dual_add_f32 v7, v7, v39 :: v_dual_add_f32 v9, v9, v13
	s_wait_loadcnt_dscnt 0xd07
	s_set_vgpr_msb 1                        ;  msbs: dst=0 src0=1 src1=0 src2=0
	v_dual_fma_f32 v15, v18 /*v274*/, v154, -v15 :: v_dual_mul_f32 v13, v31 /*v287*/, v167
	v_dual_fmac_f32 v43, v19 /*v275*/, v154 :: v_dual_fmac_f32 v45, v21 /*v277*/, v156
	s_set_vgpr_msb 0                        ;  msbs: dst=0 src0=0 src1=0 src2=0
	v_add_f32_e32 v7, v7, v41
	s_set_vgpr_msb 1                        ;  msbs: dst=0 src0=1 src1=0 src2=0
	v_fma_f32 v17, v20 /*v276*/, v156, -v17
	s_set_vgpr_msb 0                        ;  msbs: dst=0 src0=0 src1=0 src2=0
	v_add_f32_e32 v9, v9, v15
	s_set_vgpr_msb 1                        ;  msbs: dst=0 src0=1 src1=0 src2=0
	v_dual_mul_f32 v47, v22 /*v278*/, v159 :: v_dual_mul_f32 v49, v24 /*v280*/, v161
	v_mul_f32_e32 v15, v33 /*v289*/, v169
	s_set_vgpr_msb 0                        ;  msbs: dst=0 src0=0 src1=0 src2=0
	v_dual_add_f32 v7, v7, v43 :: v_dual_add_f32 v9, v9, v17
	s_wait_loadcnt_dscnt 0xc06
	s_set_vgpr_msb 1                        ;  msbs: dst=0 src0=1 src1=0 src2=0
	v_dual_fma_f32 v19, v22 /*v278*/, v158, -v19 :: v_dual_mul_f32 v17, v35 /*v291*/, v171
	v_dual_fmac_f32 v47, v23 /*v279*/, v158 :: v_dual_fmac_f32 v49, v25 /*v281*/, v160
	s_set_vgpr_msb 0                        ;  msbs: dst=0 src0=0 src1=0 src2=0
	v_add_f32_e32 v7, v7, v45
	s_set_vgpr_msb 1                        ;  msbs: dst=0 src0=1 src1=0 src2=0
	v_fma_f32 v21, v24 /*v280*/, v160, -v21
	s_set_vgpr_msb 0                        ;  msbs: dst=0 src0=0 src1=0 src2=0
	v_add_f32_e32 v9, v9, v19
	s_set_vgpr_msb 1                        ;  msbs: dst=0 src0=1 src1=0 src2=0
	v_dual_mul_f32 v51, v26 /*v282*/, v163 :: v_dual_mul_f32 v53, v28 /*v284*/, v165
	v_mul_f32_e32 v19, v37 /*v293*/, v173
	s_set_vgpr_msb 0                        ;  msbs: dst=0 src0=0 src1=0 src2=0
	v_dual_add_f32 v7, v7, v47 :: v_dual_add_f32 v9, v9, v21
	s_wait_loadcnt_dscnt 0xb05
	s_set_vgpr_msb 1                        ;  msbs: dst=0 src0=1 src1=0 src2=0
	v_dual_fma_f32 v23, v26 /*v282*/, v162, -v23 :: v_dual_mul_f32 v21, v39 /*v295*/, v175
	v_dual_mul_f32 v55, v30 /*v286*/, v167 :: v_dual_mul_f32 v57, v32 /*v288*/, v169
	v_dual_mul_f32 v59, v34 /*v290*/, v171 :: v_dual_mul_f32 v61, v36 /*v292*/, v173
	v_dual_fmac_f32 v51, v27 /*v283*/, v162 :: v_dual_fmac_f32 v53, v29 /*v285*/, v164
	v_fma_f32 v11, v28 /*v284*/, v164, -v11
	s_set_vgpr_msb 0                        ;  msbs: dst=0 src0=0 src1=0 src2=0
	v_dual_add_f32 v9, v9, v23 :: v_dual_add_f32 v7, v7, v49
	s_set_vgpr_msb 1                        ;  msbs: dst=0 src0=1 src1=0 src2=0
	v_dual_mul_f32 v23, v41 /*v297*/, v177 :: v_dual_fmac_f32 v55, v31 /*v287*/, v166
	v_fma_f32 v13, v30 /*v286*/, v166, -v13
	v_dual_fmac_f32 v57, v33 /*v289*/, v168 :: v_dual_fmac_f32 v59, v35 /*v291*/, v170
	s_set_vgpr_msb 0                        ;  msbs: dst=0 src0=0 src1=0 src2=0
	v_add_f32_e32 v9, v9, v11
	s_set_vgpr_msb 1                        ;  msbs: dst=0 src0=1 src1=0 src2=0
	v_dual_mul_f32 v63, v38 /*v294*/, v175 :: v_dual_mul_f32 v65, v40 /*v296*/, v177
	s_set_vgpr_msb 0                        ;  msbs: dst=0 src0=0 src1=0 src2=0
	v_add_f32_e32 v7, v7, v51
	s_wait_loadcnt_dscnt 0xa04
	s_set_vgpr_msb 1                        ;  msbs: dst=0 src0=1 src1=0 src2=0
	v_dual_mul_f32 v11, v43 /*v299*/, v179 :: v_dual_fma_f32 v15, v32 /*v288*/, v168, -v15
	s_set_vgpr_msb 0                        ;  msbs: dst=0 src0=0 src1=0 src2=0
	v_add_f32_e32 v9, v9, v13
	s_set_vgpr_msb 1                        ;  msbs: dst=0 src0=1 src1=0 src2=0
	v_dual_mul_f32 v13, v45 /*v301*/, v181 :: v_dual_fma_f32 v17, v34 /*v290*/, v170, -v17
	s_set_vgpr_msb 0                        ;  msbs: dst=0 src0=0 src1=0 src2=0
	v_add_f32_e32 v7, v7, v53
	s_set_vgpr_msb 1                        ;  msbs: dst=0 src0=1 src1=0 src2=0
	v_dual_fmac_f32 v61, v37 /*v293*/, v172 :: v_dual_fmac_f32 v63, v39 /*v295*/, v174
	s_set_vgpr_msb 0                        ;  msbs: dst=0 src0=0 src1=0 src2=0
	v_add_f32_e32 v9, v9, v15
	s_set_vgpr_msb 1                        ;  msbs: dst=0 src0=1 src1=0 src2=0
	v_dual_mul_f32 v67, v42 /*v298*/, v179 :: v_dual_mul_f32 v69, v44 /*v300*/, v181
	s_set_vgpr_msb 0                        ;  msbs: dst=0 src0=0 src1=0 src2=0
	v_add_f32_e32 v7, v7, v55
	s_wait_loadcnt_dscnt 0x903
	s_set_vgpr_msb 1                        ;  msbs: dst=0 src0=1 src1=0 src2=0
	v_dual_mul_f32 v15, v47 /*v303*/, v183 :: v_dual_fma_f32 v19, v36 /*v292*/, v172, -v19
	s_set_vgpr_msb 0                        ;  msbs: dst=0 src0=0 src1=0 src2=0
	v_add_f32_e32 v9, v9, v17
	s_set_vgpr_msb 1                        ;  msbs: dst=0 src0=1 src1=0 src2=0
	v_dual_mul_f32 v17, v49 /*v305*/, v185 :: v_dual_fma_f32 v21, v38 /*v294*/, v174, -v21
	s_set_vgpr_msb 0                        ;  msbs: dst=0 src0=0 src1=0 src2=0
	v_add_f32_e32 v7, v7, v57
	s_set_vgpr_msb 1                        ;  msbs: dst=0 src0=1 src1=0 src2=0
	v_dual_fmac_f32 v65, v41 /*v297*/, v176 :: v_dual_fmac_f32 v67, v43 /*v299*/, v178
	s_set_vgpr_msb 0                        ;  msbs: dst=0 src0=0 src1=0 src2=0
	v_add_f32_e32 v9, v9, v19
	s_set_vgpr_msb 1                        ;  msbs: dst=0 src0=1 src1=0 src2=0
	v_dual_mul_f32 v71, v46 /*v302*/, v183 :: v_dual_mul_f32 v73, v48 /*v304*/, v185
	s_set_vgpr_msb 0                        ;  msbs: dst=0 src0=0 src1=0 src2=0
	v_add_f32_e32 v7, v7, v59
	s_wait_loadcnt_dscnt 0x802
	s_set_vgpr_msb 1                        ;  msbs: dst=0 src0=1 src1=0 src2=0
	v_dual_mul_f32 v19, v51 /*v307*/, v187 :: v_dual_fma_f32 v23, v40 /*v296*/, v176, -v23
	s_set_vgpr_msb 0                        ;  msbs: dst=0 src0=0 src1=0 src2=0
	v_add_f32_e32 v9, v9, v21
	s_set_vgpr_msb 1                        ;  msbs: dst=0 src0=1 src1=0 src2=0
	v_dual_mul_f32 v75, v50 /*v306*/, v187 :: v_dual_mul_f32 v77, v52 /*v308*/, v189
	s_set_vgpr_msb 0                        ;  msbs: dst=0 src0=0 src1=0 src2=0
	v_add_f32_e32 v7, v7, v61
	s_set_vgpr_msb 1                        ;  msbs: dst=0 src0=1 src1=0 src2=0
	v_dual_mul_f32 v21, v53 /*v309*/, v189 :: v_dual_fma_f32 v11, v42 /*v298*/, v178, -v11
	v_dual_fmac_f32 v69, v45 /*v301*/, v180 :: v_dual_fmac_f32 v71, v47 /*v303*/, v182
	s_set_vgpr_msb 0                        ;  msbs: dst=0 src0=0 src1=0 src2=0
	v_add_f32_e32 v9, v9, v23
	s_wait_loadcnt_dscnt 0x701
	s_set_vgpr_msb 1                        ;  msbs: dst=0 src0=1 src1=0 src2=0
	v_dual_mul_f32 v23, v55 /*v311*/, v191 :: v_dual_fma_f32 v13, v44 /*v300*/, v180, -v13
	v_dual_fmac_f32 v73, v49 /*v305*/, v184 :: v_dual_fmac_f32 v75, v51 /*v307*/, v186
	s_set_vgpr_msb 0                        ;  msbs: dst=0 src0=0 src1=0 src2=0
	v_add_f32_e32 v9, v9, v11
	v_add_f32_e32 v7, v7, v63
	s_set_vgpr_msb 1                        ;  msbs: dst=0 src0=1 src1=0 src2=0
	v_dual_mul_f32 v79, v54 /*v310*/, v191 :: v_dual_mul_f32 v81, v56 /*v312*/, v193
	v_dual_mul_f32 v11, v57 /*v313*/, v193 :: v_dual_fma_f32 v15, v46 /*v302*/, v182, -v15
	s_set_vgpr_msb 0                        ;  msbs: dst=0 src0=0 src1=0 src2=0
	v_add_f32_e32 v9, v9, v13
	v_add_f32_e32 v7, v7, v65
	s_wait_loadcnt_dscnt 0x600
	s_set_vgpr_msb 1                        ;  msbs: dst=0 src0=1 src1=0 src2=0
	v_dual_mul_f32 v13, v59 /*v315*/, v195 :: v_dual_fma_f32 v17, v48 /*v304*/, v184, -v17
	v_dual_fmac_f32 v77, v53 /*v309*/, v188 :: v_dual_fmac_f32 v79, v55 /*v311*/, v190
	s_set_vgpr_msb 0                        ;  msbs: dst=0 src0=0 src1=0 src2=0
	v_add_f32_e32 v9, v9, v15
	v_add_f32_e32 v7, v7, v67
	s_set_vgpr_msb 1                        ;  msbs: dst=0 src0=1 src1=0 src2=0
	v_dual_mul_f32 v15, v61 /*v317*/, v197 :: v_dual_fma_f32 v19, v50 /*v306*/, v186, -v19
	v_dual_fmac_f32 v81, v57 /*v313*/, v192 :: v_dual_fma_f32 v11, v56 /*v312*/, v192, -v11
	s_set_vgpr_msb 0                        ;  msbs: dst=0 src0=0 src1=0 src2=0
	v_add_f32_e32 v9, v9, v17
	v_add_f32_e32 v7, v7, v69
	s_set_vgpr_msb 1                        ;  msbs: dst=0 src0=1 src1=0 src2=0
	v_dual_mul_f32 v83, v58 /*v314*/, v195 :: v_dual_mul_f32 v85, v60 /*v316*/, v197
	s_wait_loadcnt 0x4
	s_set_vgpr_msb 0                        ;  msbs: dst=0 src0=0 src1=0 src2=0
	v_mov_b32_e32 v120, v205
	v_add_f32_e32 v9, v9, v19
	v_dual_add_f32 v7, v7, v71 :: v_dual_mul_f32 v19, v237, v201
	s_set_vgpr_msb 1                        ;  msbs: dst=0 src0=1 src1=0 src2=0
	v_dual_fma_f32 v21, v52 /*v308*/, v188, -v21 :: v_dual_fma_f32 v23, v54 /*v310*/, v190, -v23
	v_dual_fmac_f32 v83, v59 /*v315*/, v194 :: v_dual_fma_f32 v13, v58 /*v314*/, v194, -v13
	s_set_vgpr_msb 0                        ;  msbs: dst=0 src0=0 src1=0 src2=0
	v_add_f32_e32 v7, v7, v73
	s_set_vgpr_msb 1                        ;  msbs: dst=0 src0=1 src1=0 src2=0
	v_fmac_f32_e32 v85, v61 /*v317*/, v196
	s_wait_loadcnt 0x3
	s_set_vgpr_msb 0                        ;  msbs: dst=0 src0=0 src1=0 src2=0
	v_mov_b32_e32 v124, v209
	s_set_vgpr_msb 64                       ;  msbs: dst=1 src0=0 src1=0 src2=0
	v_dual_mul_f32 v73 /*v329*/, v234, v199 :: v_dual_mul_f32 v75 /*v331*/, v236, v201
	s_set_vgpr_msb 0                        ;  msbs: dst=0 src0=0 src1=0 src2=0
	v_add_f32_e32 v7, v7, v75
	v_pk_mul_f32 v[118:119], v[238:239], v[202:203] op_sel:[1,1] op_sel_hi:[0,1]
	s_set_vgpr_msb 64                       ;  msbs: dst=1 src0=0 src1=0 src2=0
	v_fma_f32 v74 /*v330*/, v236, v200, -v19
	v_dual_fmac_f32 v73 /*v329*/, v235, v198 :: v_dual_fmac_f32 v75 /*v331*/, v237, v200
	s_set_vgpr_msb 0                        ;  msbs: dst=0 src0=0 src1=0 src2=0
	v_add_f32_e32 v7, v7, v77
	v_pk_fma_f32 v[128:129], v[238:239], v[202:203], v[118:119] op_sel_hi:[1,0,1]
	s_set_vgpr_msb 1                        ;  msbs: dst=0 src0=1 src1=0 src2=0
	v_pk_mul_f32 v[120:121], v[64:65] /*v[320:321]*/, v[120:121] op_sel_hi:[1,0]
	s_set_vgpr_msb 0                        ;  msbs: dst=0 src0=0 src1=0 src2=0
	v_pk_fma_f32 v[118:119], v[238:239], v[202:203], v[118:119] neg_lo:[0,0,1] neg_hi:[0,0,1]
	v_pk_mul_f32 v[122:123], v[250:251], v[206:207] op_sel:[1,1] op_sel_hi:[0,1]
	v_dual_add_f32 v7, v7, v79 :: v_dual_mov_b32 v119, v129
	v_pk_fma_f32 v[128:129], v[240:241], v[204:205], v[120:121] op_sel_hi:[1,0,1]
	v_pk_fma_f32 v[120:121], v[240:241], v[204:205], v[120:121] neg_lo:[0,0,1] neg_hi:[0,0,1]
	s_delay_alu instid0(VALU_DEP_4) | instskip(NEXT) | instid1(VALU_DEP_4)
	v_pk_fma_f32 v[132:133], v[250:251], v[206:207], v[122:123] op_sel_hi:[1,0,1]
	v_add_f32_e32 v7, v7, v81
	v_dual_mul_f32 v17, v235, v199 :: v_dual_add_f32 v9, v9, v21
	s_set_vgpr_msb 1                        ;  msbs: dst=0 src0=1 src1=0 src2=0
	v_pk_mul_f32 v[124:125], v[66:67] /*v[322:323]*/, v[124:125] op_sel_hi:[1,0]
	s_set_vgpr_msb 0                        ;  msbs: dst=0 src0=0 src1=0 src2=0
	v_dual_mov_b32 v121, v129 :: v_dual_add_f32 v7, v7, v83
	s_set_vgpr_msb 64                       ;  msbs: dst=1 src0=0 src1=0 src2=0
	v_fma_f32 v72 /*v328*/, v234, v198, -v17
	s_set_vgpr_msb 0                        ;  msbs: dst=0 src0=0 src1=0 src2=0
	v_add_f32_e32 v9, v9, v23
	s_wait_loadcnt 0x2
	v_pk_mul_f32 v[130:131], v[254:255], v[210:211] op_sel:[1,1] op_sel_hi:[0,1]
	v_pk_fma_f32 v[122:123], v[250:251], v[206:207], v[122:123] neg_lo:[0,0,1] neg_hi:[0,0,1]
	v_dual_add_f32 v127, v7, v85 :: v_dual_mov_b32 v123, v133
	v_add_f32_e32 v9, v9, v11
	s_set_vgpr_msb 1                        ;  msbs: dst=0 src0=1 src1=0 src2=0
	v_fma_f32 v11, v60 /*v316*/, v196, -v15
	s_set_vgpr_msb 0                        ;  msbs: dst=0 src0=0 src1=0 src2=0
	v_pk_fma_f32 v[128:129], v[252:253], v[208:209], v[124:125] op_sel_hi:[1,0,1]
	v_pk_fma_f32 v[124:125], v[252:253], v[208:209], v[124:125] neg_lo:[0,0,1] neg_hi:[0,0,1]
	v_add_f32_e32 v9, v9, v13
	s_delay_alu instid0(VALU_DEP_1) | instskip(SKIP_1) | instid1(VALU_DEP_1)
	v_add_f32_e32 v126, v9, v11
	s_set_vgpr_msb 4                        ;  msbs: dst=0 src0=0 src1=1 src2=0
	v_pk_add_f32 v[126:127], v[126:127], v[72:73] /*v[328:329]*/
	s_delay_alu instid0(VALU_DEP_1) | instskip(SKIP_1) | instid1(VALU_DEP_1)
	v_pk_add_f32 v[126:127], v[126:127], v[74:75] /*v[330:331]*/
	s_set_vgpr_msb 0                        ;  msbs: dst=0 src0=0 src1=0 src2=0
	v_pk_add_f32 v[118:119], v[126:127], v[118:119]
	v_mov_b32_e32 v126, v213
	s_delay_alu instid0(VALU_DEP_2) | instskip(SKIP_2) | instid1(VALU_DEP_3)
	v_pk_add_f32 v[118:119], v[118:119], v[120:121]
	v_pk_fma_f32 v[120:121], v[254:255], v[210:211], v[130:131] op_sel_hi:[1,0,1]
	s_set_vgpr_msb 1                        ;  msbs: dst=0 src0=1 src1=0 src2=0
	v_pk_mul_f32 v[126:127], v[68:69] /*v[324:325]*/, v[126:127] op_sel_hi:[1,0]
	s_set_vgpr_msb 0                        ;  msbs: dst=0 src0=0 src1=0 src2=0
	v_mov_b32_e32 v125, v129
	v_pk_fma_f32 v[128:129], v[254:255], v[210:211], v[130:131] neg_lo:[0,0,1] neg_hi:[0,0,1]
	v_pk_add_f32 v[118:119], v[118:119], v[122:123]
	v_mov_b32_e32 v129, v121
	s_set_vgpr_msb 1                        ;  msbs: dst=0 src0=1 src1=0 src2=0
	v_pk_fma_f32 v[120:121], v[0:1] /*v[256:257]*/, v[212:213], v[126:127] op_sel_hi:[1,0,1]
	s_wait_loadcnt 0x1
	v_pk_mul_f32 v[122:123], v[10:11] /*v[266:267]*/, v[214:215] op_sel:[1,1] op_sel_hi:[0,1]
	s_set_vgpr_msb 0                        ;  msbs: dst=0 src0=0 src1=0 src2=0
	v_mov_b32_e32 v120, v217
	v_pk_add_f32 v[118:119], v[118:119], v[124:125]
	s_set_vgpr_msb 1                        ;  msbs: dst=0 src0=1 src1=0 src2=0
	v_pk_fma_f32 v[126:127], v[0:1] /*v[256:257]*/, v[212:213], v[126:127] neg_lo:[0,0,1] neg_hi:[0,0,1]
	s_set_vgpr_msb 0                        ;  msbs: dst=0 src0=0 src1=0 src2=0
	v_mov_b32_e32 v127, v121
	s_set_vgpr_msb 1                        ;  msbs: dst=0 src0=1 src1=0 src2=0
	v_pk_fma_f32 v[124:125], v[10:11] /*v[266:267]*/, v[214:215], v[122:123] op_sel_hi:[1,0,1]
	v_pk_mul_f32 v[120:121], v[70:71] /*v[326:327]*/, v[120:121] op_sel_hi:[1,0]
	s_set_vgpr_msb 0                        ;  msbs: dst=0 src0=0 src1=0 src2=0
	v_pk_add_f32 v[118:119], v[118:119], v[128:129]
	s_set_vgpr_msb 1                        ;  msbs: dst=0 src0=1 src1=0 src2=0
	v_pk_fma_f32 v[122:123], v[10:11] /*v[266:267]*/, v[214:215], v[122:123] neg_lo:[0,0,1] neg_hi:[0,0,1]
	s_set_vgpr_msb 0                        ;  msbs: dst=0 src0=0 src1=0 src2=0
	v_mov_b32_e32 v123, v125
	s_set_vgpr_msb 1                        ;  msbs: dst=0 src0=1 src1=0 src2=0
	v_pk_fma_f32 v[124:125], v[12:13] /*v[268:269]*/, v[216:217], v[120:121] op_sel_hi:[1,0,1]
	s_set_vgpr_msb 0                        ;  msbs: dst=0 src0=0 src1=0 src2=0
	v_pk_add_f32 v[118:119], v[118:119], v[126:127]
	s_set_vgpr_msb 1                        ;  msbs: dst=0 src0=1 src1=0 src2=0
	v_pk_fma_f32 v[120:121], v[12:13] /*v[268:269]*/, v[216:217], v[120:121] neg_lo:[0,0,1] neg_hi:[0,0,1]
	s_set_vgpr_msb 0                        ;  msbs: dst=0 src0=0 src1=0 src2=0
	v_mov_b32_e32 v121, v125
	v_pk_add_f32 v[118:119], v[118:119], v[122:123]
	s_delay_alu instid0(VALU_DEP_1) | instskip(SKIP_2) | instid1(VALU_DEP_1)
	v_pk_add_f32 v[118:119], v[118:119], v[120:121]
	s_wait_loadcnt 0x0
	s_set_vgpr_msb 1                        ;  msbs: dst=0 src0=1 src1=0 src2=0
	v_pk_add_f32 v[118:119], v[62:63] /*v[318:319]*/, v[118:119] neg_lo:[0,1] neg_hi:[0,1]
	scratch_store_b64 off, v[118:119], off offset:56
	s_wait_xcnt 0x0
	v_cmpx_lt_u32_e32 6, v0
	s_set_vgpr_msb 0                        ;  msbs: dst=0 src0=0 src1=0 src2=0
	s_cbranch_execz .LBB57_349
; %bb.348:
	scratch_load_b64 v[118:119], off, off offset:48
	v_mov_b64_e32 v[120:121], 0
	scratch_store_b64 off, v[120:121], off offset:48
	s_wait_loadcnt 0x0
	ds_store_b64 v1, v[118:119]
.LBB57_349:
	s_wait_xcnt 0x0
	s_or_b32 exec_lo, exec_lo, s0
	s_wait_storecnt_dscnt 0x0
	s_barrier_signal -1
	s_barrier_wait -1
	s_clause 0x1b
	scratch_load_b128 v[118:121], off, off offset:56
	scratch_load_b128 v[122:125], off, off offset:72
	;; [unrolled: 1-line block ×25, first 2 shown]
	s_set_vgpr_msb 64                       ;  msbs: dst=1 src0=0 src1=0 src2=0
	scratch_load_b64 v[62:63] /*v[318:319]*/, off, off offset:456
	scratch_load_b64 v[64:65] /*v[320:321]*/, off, off offset:48
	s_set_vgpr_msb 0                        ;  msbs: dst=0 src0=0 src1=0 src2=0
	v_mov_b32_e32 v7, 0
	ds_load_2addr_b64 v[218:221], v7 offset0:65 offset1:66
	ds_load_2addr_b64 v[222:225], v7 offset0:67 offset1:68
	ds_load_2addr_b64 v[226:229], v7 offset0:69 offset1:70
	ds_load_2addr_b64 v[230:233], v7 offset0:71 offset1:72
	ds_load_2addr_b64 v[234:237], v7 offset0:105 offset1:106
	ds_load_2addr_b64 v[238:241], v7 offset0:107 offset1:108
	ds_load_2addr_b64 v[242:245], v7 offset0:73 offset1:74
	ds_load_2addr_b64 v[246:249], v7 offset0:75 offset1:76
	ds_load_2addr_b64 v[250:253], v7 offset0:109 offset1:110
	ds_load_2addr_b64 v[254:257], v7 offset0:111 offset1:112
	s_set_vgpr_msb 64                       ;  msbs: dst=1 src0=0 src1=0 src2=0
	ds_load_2addr_b64 v[2:5] /*v[258:261]*/, v7 offset0:77 offset1:78
	ds_load_2addr_b64 v[6:9] /*v[262:265]*/, v7 offset0:79 offset1:80
	;; [unrolled: 1-line block ×15, first 2 shown]
	ds_load_b64 v[66:67] /*v[322:323]*/, v7 offset:920
	s_wait_dscnt 0x14
	v_dual_mov_b32 v68 /*v324*/, v241 :: v_dual_mov_b32 v69 /*v325*/, v240
	s_wait_dscnt 0x11
	v_dual_mov_b32 v70 /*v326*/, v253 :: v_dual_mov_b32 v71 /*v327*/, v252
	s_wait_dscnt 0x10
	s_set_vgpr_msb 0x41                     ;  msbs: dst=1 src0=1 src1=0 src2=0
	v_dual_mov_b32 v72 /*v328*/, v1 /*v257*/ :: v_dual_mov_b32 v73 /*v329*/, v0 /*v256*/
	s_wait_dscnt 0xd
	v_dual_mov_b32 v74 /*v330*/, v13 /*v269*/ :: v_dual_mov_b32 v75 /*v331*/, v12 /*v268*/
	s_mov_b32 s0, exec_lo
	s_wait_loadcnt 0x1a
	s_set_vgpr_msb 0                        ;  msbs: dst=0 src0=0 src1=0 src2=0
	v_dual_mul_f32 v9, v218, v119 :: v_dual_mul_f32 v61, v219, v119
	s_wait_loadcnt 0x19
	v_dual_mul_f32 v11, v220, v121 :: v_dual_mul_f32 v13, v222, v123
	v_dual_mul_f32 v63, v221, v121 :: v_dual_mul_f32 v77, v223, v123
	s_wait_loadcnt 0x15
	v_dual_mul_f32 v31, v248, v141 :: v_dual_mul_f32 v103, v231, v131
	v_fma_f32 v61, v218, v118, -v61
	v_dual_fmac_f32 v9, v219, v118 :: v_dual_mul_f32 v105, v233, v133
	v_fmac_f32_e32 v11, v221, v120
	s_delay_alu instid0(VALU_DEP_3) | instskip(NEXT) | instid1(VALU_DEP_3)
	v_dual_fma_f32 v63, v220, v120, -v63 :: v_dual_add_f32 v61, 0, v61
	v_add_f32_e32 v9, 0, v9
	v_dual_mul_f32 v15, v224, v125 :: v_dual_mul_f32 v17, v226, v127
	v_dual_mul_f32 v79, v225, v125 :: v_dual_mul_f32 v97, v227, v127
	v_dual_mul_f32 v107, v243, v135 :: v_dual_fma_f32 v77, v222, v122, -v77
	s_delay_alu instid0(VALU_DEP_4) | instskip(NEXT) | instid1(VALU_DEP_3)
	v_dual_fmac_f32 v13, v223, v122 :: v_dual_add_f32 v9, v9, v11
	v_dual_add_f32 v11, v61, v63 :: v_dual_fma_f32 v63, v224, v124, -v79
	v_dual_fmac_f32 v15, v225, v124 :: v_dual_mul_f32 v19, v228, v129
	s_delay_alu instid0(VALU_DEP_3) | instskip(SKIP_1) | instid1(VALU_DEP_4)
	v_dual_mul_f32 v21, v230, v131 :: v_dual_add_f32 v9, v9, v13
	v_fmac_f32_e32 v17, v227, v126
	v_add_f32_e32 v11, v11, v77
	s_wait_loadcnt 0x6
	v_dual_mul_f32 v99, v229, v129 :: v_dual_mul_f32 v101, v234, v199
	v_dual_fma_f32 v77, v226, v126, -v97 :: v_dual_add_f32 v9, v9, v15
	s_delay_alu instid0(VALU_DEP_3) | instskip(SKIP_1) | instid1(VALU_DEP_3)
	v_dual_add_f32 v11, v11, v63 :: v_dual_mul_f32 v15, v249, v141
	v_fmac_f32_e32 v19, v229, v128
	v_dual_fma_f32 v63, v228, v128, -v99 :: v_dual_add_f32 v9, v9, v17
	s_delay_alu instid0(VALU_DEP_3) | instskip(SKIP_2) | instid1(VALU_DEP_4)
	v_add_f32_e32 v11, v11, v77
	v_dual_mul_f32 v23, v232, v133 :: v_dual_mul_f32 v25, v242, v135
	v_dual_fmac_f32 v21, v231, v130 :: v_dual_fma_f32 v77, v230, v130, -v103
	v_add_f32_e32 v9, v9, v19
	s_delay_alu instid0(VALU_DEP_3) | instskip(SKIP_2) | instid1(VALU_DEP_4)
	v_dual_add_f32 v11, v11, v63 :: v_dual_fmac_f32 v23, v233, v132
	v_fma_f32 v63, v232, v132, -v105
	v_dual_mul_f32 v27, v244, v137 :: v_dual_mul_f32 v29, v246, v139
	v_dual_add_f32 v9, v9, v21 :: v_dual_fmac_f32 v25, v243, v134
	s_delay_alu instid0(VALU_DEP_4) | instskip(SKIP_1) | instid1(VALU_DEP_3)
	v_dual_add_f32 v11, v11, v77 :: v_dual_fma_f32 v77, v242, v134, -v107
	v_dual_mul_f32 v61, v245, v137 :: v_dual_mul_f32 v13, v247, v139
	v_add_f32_e32 v9, v9, v23
	s_delay_alu instid0(VALU_DEP_3) | instskip(NEXT) | instid1(VALU_DEP_3)
	v_dual_add_f32 v11, v11, v63 :: v_dual_fmac_f32 v27, v245, v136
	v_fma_f32 v61, v244, v136, -v61
	s_delay_alu instid0(VALU_DEP_3) | instskip(NEXT) | instid1(VALU_DEP_3)
	v_dual_fmac_f32 v29, v247, v138 :: v_dual_add_f32 v9, v9, v25
	v_dual_add_f32 v11, v11, v77 :: v_dual_fma_f32 v13, v246, v138, -v13
	s_set_vgpr_msb 1                        ;  msbs: dst=0 src0=1 src1=0 src2=0
	v_dual_mul_f32 v33, v2 /*v258*/, v143 :: v_dual_mul_f32 v35, v4 /*v260*/, v145
	s_set_vgpr_msb 0                        ;  msbs: dst=0 src0=0 src1=0 src2=0
	s_delay_alu instid0(VALU_DEP_2)
	v_dual_add_f32 v9, v9, v27 :: v_dual_add_f32 v11, v11, v61
	s_set_vgpr_msb 1                        ;  msbs: dst=0 src0=1 src1=0 src2=0
	v_dual_mul_f32 v17, v3 /*v259*/, v143 :: v_dual_mul_f32 v19, v5 /*v261*/, v145
	s_set_vgpr_msb 0                        ;  msbs: dst=0 src0=0 src1=0 src2=0
	v_fmac_f32_e32 v31, v249, v140
	v_dual_fma_f32 v15, v248, v140, -v15 :: v_dual_add_f32 v9, v9, v29
	v_add_f32_e32 v11, v11, v13
	s_wait_dscnt 0xb
	s_set_vgpr_msb 1                        ;  msbs: dst=0 src0=1 src1=0 src2=0
	v_dual_mul_f32 v13, v19 /*v275*/, v155 :: v_dual_fma_f32 v17, v2 /*v258*/, v142, -v17
	v_dual_fmac_f32 v33, v3 /*v259*/, v142 :: v_dual_mul_f32 v37, v6 /*v262*/, v147
	v_mul_f32_e32 v39, v8 /*v264*/, v149
	s_set_vgpr_msb 0                        ;  msbs: dst=0 src0=0 src1=0 src2=0
	v_add_f32_e32 v11, v11, v15
	v_add_f32_e32 v9, v9, v31
	s_set_vgpr_msb 1                        ;  msbs: dst=0 src0=1 src1=0 src2=0
	v_dual_mul_f32 v21, v7 /*v263*/, v147 :: v_dual_mul_f32 v23, v9 /*v265*/, v149
	v_mul_f32_e32 v15, v21 /*v277*/, v157
	v_fmac_f32_e32 v35, v5 /*v261*/, v144
	v_dual_fma_f32 v19, v4 /*v260*/, v144, -v19 :: v_dual_fmac_f32 v37, v7 /*v263*/, v146
	s_set_vgpr_msb 0                        ;  msbs: dst=0 src0=0 src1=0 src2=0
	v_add_f32_e32 v11, v11, v17
	v_add_f32_e32 v9, v9, v33
	s_wait_dscnt 0xa
	s_set_vgpr_msb 1                        ;  msbs: dst=0 src0=1 src1=0 src2=0
	v_dual_mul_f32 v17, v23 /*v279*/, v159 :: v_dual_fma_f32 v21, v6 /*v262*/, v146, -v21
	v_dual_mul_f32 v41, v14 /*v270*/, v151 :: v_dual_mul_f32 v43, v16 /*v272*/, v153
	s_set_vgpr_msb 0                        ;  msbs: dst=0 src0=0 src1=0 src2=0
	v_add_f32_e32 v11, v11, v19
	s_set_vgpr_msb 1                        ;  msbs: dst=0 src0=1 src1=0 src2=0
	v_mul_f32_e32 v19, v25 /*v281*/, v161
	s_set_vgpr_msb 0                        ;  msbs: dst=0 src0=0 src1=0 src2=0
	v_add_f32_e32 v9, v9, v35
	s_set_vgpr_msb 1                        ;  msbs: dst=0 src0=1 src1=0 src2=0
	v_dual_mul_f32 v25, v15 /*v271*/, v151 :: v_dual_mul_f32 v27, v17 /*v273*/, v153
	v_fmac_f32_e32 v39, v9 /*v265*/, v148
	v_dual_fma_f32 v23, v8 /*v264*/, v148, -v23 :: v_dual_fmac_f32 v41, v15 /*v271*/, v150
	s_set_vgpr_msb 0                        ;  msbs: dst=0 src0=0 src1=0 src2=0
	v_add_f32_e32 v11, v11, v21
	v_add_f32_e32 v9, v9, v37
	s_wait_dscnt 0x9
	s_set_vgpr_msb 1                        ;  msbs: dst=0 src0=1 src1=0 src2=0
	v_dual_mul_f32 v21, v27 /*v283*/, v163 :: v_dual_fma_f32 v25, v14 /*v270*/, v150, -v25
	v_dual_mul_f32 v45, v18 /*v274*/, v155 :: v_dual_mul_f32 v47, v20 /*v276*/, v157
	s_set_vgpr_msb 0                        ;  msbs: dst=0 src0=0 src1=0 src2=0
	v_add_f32_e32 v11, v11, v23
	s_set_vgpr_msb 1                        ;  msbs: dst=0 src0=1 src1=0 src2=0
	v_mul_f32_e32 v23, v29 /*v285*/, v165
	s_set_vgpr_msb 0                        ;  msbs: dst=0 src0=0 src1=0 src2=0
	v_add_f32_e32 v9, v9, v39
	s_set_vgpr_msb 1                        ;  msbs: dst=0 src0=1 src1=0 src2=0
	v_fmac_f32_e32 v43, v17 /*v273*/, v152
	v_dual_fma_f32 v27, v16 /*v272*/, v152, -v27 :: v_dual_fmac_f32 v45, v19 /*v275*/, v154
	s_set_vgpr_msb 0                        ;  msbs: dst=0 src0=0 src1=0 src2=0
	v_add_f32_e32 v11, v11, v25
	v_add_f32_e32 v9, v9, v41
	s_wait_dscnt 0x8
	s_set_vgpr_msb 1                        ;  msbs: dst=0 src0=1 src1=0 src2=0
	v_dual_mul_f32 v25, v31 /*v287*/, v167 :: v_dual_fma_f32 v13, v18 /*v274*/, v154, -v13
	v_dual_mul_f32 v49, v22 /*v278*/, v159 :: v_dual_mul_f32 v51, v24 /*v280*/, v161
	s_set_vgpr_msb 0                        ;  msbs: dst=0 src0=0 src1=0 src2=0
	v_add_f32_e32 v11, v11, v27
	s_set_vgpr_msb 1                        ;  msbs: dst=0 src0=1 src1=0 src2=0
	v_mul_f32_e32 v27, v33 /*v289*/, v169
	s_set_vgpr_msb 0                        ;  msbs: dst=0 src0=0 src1=0 src2=0
	v_add_f32_e32 v9, v9, v43
	s_set_vgpr_msb 1                        ;  msbs: dst=0 src0=1 src1=0 src2=0
	v_fmac_f32_e32 v47, v21 /*v277*/, v156
	v_dual_fma_f32 v15, v20 /*v276*/, v156, -v15 :: v_dual_fmac_f32 v49, v23 /*v279*/, v158
	s_set_vgpr_msb 0                        ;  msbs: dst=0 src0=0 src1=0 src2=0
	v_add_f32_e32 v11, v11, v13
	v_add_f32_e32 v9, v9, v45
	s_wait_dscnt 0x7
	s_set_vgpr_msb 1                        ;  msbs: dst=0 src0=1 src1=0 src2=0
	v_dual_mul_f32 v13, v35 /*v291*/, v171 :: v_dual_fma_f32 v17, v22 /*v278*/, v158, -v17
	v_dual_mul_f32 v53, v26 /*v282*/, v163 :: v_dual_mul_f32 v55, v28 /*v284*/, v165
	s_set_vgpr_msb 0                        ;  msbs: dst=0 src0=0 src1=0 src2=0
	v_add_f32_e32 v11, v11, v15
	s_set_vgpr_msb 1                        ;  msbs: dst=0 src0=1 src1=0 src2=0
	v_mul_f32_e32 v15, v37 /*v293*/, v173
	s_set_vgpr_msb 0                        ;  msbs: dst=0 src0=0 src1=0 src2=0
	v_add_f32_e32 v9, v9, v47
	s_set_vgpr_msb 1                        ;  msbs: dst=0 src0=1 src1=0 src2=0
	v_fmac_f32_e32 v51, v25 /*v281*/, v160
	v_dual_fma_f32 v19, v24 /*v280*/, v160, -v19 :: v_dual_fmac_f32 v53, v27 /*v283*/, v162
	s_set_vgpr_msb 0                        ;  msbs: dst=0 src0=0 src1=0 src2=0
	v_add_f32_e32 v11, v11, v17
	v_add_f32_e32 v9, v9, v49
	s_wait_dscnt 0x6
	s_set_vgpr_msb 1                        ;  msbs: dst=0 src0=1 src1=0 src2=0
	v_dual_mul_f32 v17, v39 /*v295*/, v175 :: v_dual_fma_f32 v21, v26 /*v282*/, v162, -v21
	v_dual_mul_f32 v57, v30 /*v286*/, v167 :: v_dual_mul_f32 v59, v32 /*v288*/, v169
	s_set_vgpr_msb 0                        ;  msbs: dst=0 src0=0 src1=0 src2=0
	v_add_f32_e32 v11, v11, v19
	s_set_vgpr_msb 1                        ;  msbs: dst=0 src0=1 src1=0 src2=0
	v_mul_f32_e32 v19, v41 /*v297*/, v177
	s_set_vgpr_msb 0                        ;  msbs: dst=0 src0=0 src1=0 src2=0
	v_add_f32_e32 v9, v9, v51
	s_set_vgpr_msb 1                        ;  msbs: dst=0 src0=1 src1=0 src2=0
	v_fmac_f32_e32 v55, v29 /*v285*/, v164
	v_dual_fma_f32 v23, v28 /*v284*/, v164, -v23 :: v_dual_fmac_f32 v57, v31 /*v287*/, v166
	s_set_vgpr_msb 0                        ;  msbs: dst=0 src0=0 src1=0 src2=0
	v_add_f32_e32 v11, v11, v21
	v_add_f32_e32 v9, v9, v53
	s_wait_dscnt 0x5
	s_set_vgpr_msb 1                        ;  msbs: dst=0 src0=1 src1=0 src2=0
	v_dual_mul_f32 v21, v43 /*v299*/, v179 :: v_dual_fma_f32 v25, v30 /*v286*/, v166, -v25
	v_dual_mul_f32 v65, v34 /*v290*/, v171 :: v_dual_mul_f32 v67, v36 /*v292*/, v173
	s_set_vgpr_msb 0                        ;  msbs: dst=0 src0=0 src1=0 src2=0
	v_add_f32_e32 v11, v11, v23
	s_set_vgpr_msb 1                        ;  msbs: dst=0 src0=1 src1=0 src2=0
	v_mul_f32_e32 v23, v45 /*v301*/, v181
	s_set_vgpr_msb 0                        ;  msbs: dst=0 src0=0 src1=0 src2=0
	v_add_f32_e32 v9, v9, v55
	s_set_vgpr_msb 1                        ;  msbs: dst=0 src0=1 src1=0 src2=0
	v_fmac_f32_e32 v59, v33 /*v289*/, v168
	v_dual_fma_f32 v27, v32 /*v288*/, v168, -v27 :: v_dual_fmac_f32 v65, v35 /*v291*/, v170
	s_set_vgpr_msb 0                        ;  msbs: dst=0 src0=0 src1=0 src2=0
	v_add_f32_e32 v11, v11, v25
	v_add_f32_e32 v9, v9, v57
	s_wait_dscnt 0x4
	s_set_vgpr_msb 1                        ;  msbs: dst=0 src0=1 src1=0 src2=0
	v_dual_mul_f32 v25, v47 /*v303*/, v183 :: v_dual_fma_f32 v13, v34 /*v290*/, v170, -v13
	v_dual_mul_f32 v69, v38 /*v294*/, v175 :: v_dual_mul_f32 v71, v40 /*v296*/, v177
	s_set_vgpr_msb 0                        ;  msbs: dst=0 src0=0 src1=0 src2=0
	v_add_f32_e32 v11, v11, v27
	s_set_vgpr_msb 1                        ;  msbs: dst=0 src0=1 src1=0 src2=0
	v_mul_f32_e32 v27, v49 /*v305*/, v185
	s_set_vgpr_msb 0                        ;  msbs: dst=0 src0=0 src1=0 src2=0
	v_add_f32_e32 v9, v9, v59
	s_set_vgpr_msb 1                        ;  msbs: dst=0 src0=1 src1=0 src2=0
	v_fmac_f32_e32 v67, v37 /*v293*/, v172
	v_dual_fma_f32 v15, v36 /*v292*/, v172, -v15 :: v_dual_fmac_f32 v69, v39 /*v295*/, v174
	s_set_vgpr_msb 0                        ;  msbs: dst=0 src0=0 src1=0 src2=0
	v_add_f32_e32 v11, v11, v13
	v_add_f32_e32 v9, v9, v65
	s_wait_dscnt 0x3
	s_set_vgpr_msb 1                        ;  msbs: dst=0 src0=1 src1=0 src2=0
	v_dual_mul_f32 v13, v51 /*v307*/, v187 :: v_dual_fma_f32 v17, v38 /*v294*/, v174, -v17
	v_dual_mul_f32 v73, v42 /*v298*/, v179 :: v_dual_mul_f32 v75, v44 /*v300*/, v181
	s_set_vgpr_msb 0                        ;  msbs: dst=0 src0=0 src1=0 src2=0
	v_add_f32_e32 v11, v11, v15
	s_set_vgpr_msb 1                        ;  msbs: dst=0 src0=1 src1=0 src2=0
	v_mul_f32_e32 v15, v53 /*v309*/, v189
	s_set_vgpr_msb 0                        ;  msbs: dst=0 src0=0 src1=0 src2=0
	v_add_f32_e32 v9, v9, v67
	s_set_vgpr_msb 1                        ;  msbs: dst=0 src0=1 src1=0 src2=0
	v_fmac_f32_e32 v71, v41 /*v297*/, v176
	v_dual_fma_f32 v19, v40 /*v296*/, v176, -v19 :: v_dual_fmac_f32 v73, v43 /*v299*/, v178
	s_set_vgpr_msb 0                        ;  msbs: dst=0 src0=0 src1=0 src2=0
	v_add_f32_e32 v11, v11, v17
	v_add_f32_e32 v9, v9, v69
	s_wait_dscnt 0x2
	s_set_vgpr_msb 1                        ;  msbs: dst=0 src0=1 src1=0 src2=0
	v_dual_mul_f32 v17, v55 /*v311*/, v191 :: v_dual_fma_f32 v21, v42 /*v298*/, v178, -v21
	v_dual_mul_f32 v81, v46 /*v302*/, v183 :: v_dual_mul_f32 v83, v48 /*v304*/, v185
	s_set_vgpr_msb 0                        ;  msbs: dst=0 src0=0 src1=0 src2=0
	v_add_f32_e32 v11, v11, v19
	s_set_vgpr_msb 1                        ;  msbs: dst=0 src0=1 src1=0 src2=0
	v_mul_f32_e32 v19, v57 /*v313*/, v193
	s_set_vgpr_msb 0                        ;  msbs: dst=0 src0=0 src1=0 src2=0
	v_add_f32_e32 v9, v9, v71
	s_set_vgpr_msb 1                        ;  msbs: dst=0 src0=1 src1=0 src2=0
	v_fmac_f32_e32 v75, v45 /*v301*/, v180
	v_dual_fma_f32 v23, v44 /*v300*/, v180, -v23 :: v_dual_fmac_f32 v81, v47 /*v303*/, v182
	s_set_vgpr_msb 0                        ;  msbs: dst=0 src0=0 src1=0 src2=0
	v_add_f32_e32 v11, v11, v21
	v_add_f32_e32 v9, v9, v73
	s_wait_dscnt 0x1
	s_set_vgpr_msb 1                        ;  msbs: dst=0 src0=1 src1=0 src2=0
	v_dual_mul_f32 v21, v59 /*v315*/, v195 :: v_dual_fma_f32 v25, v46 /*v302*/, v182, -v25
	v_dual_mul_f32 v85, v50 /*v306*/, v187 :: v_dual_mul_f32 v87, v52 /*v308*/, v189
	s_set_vgpr_msb 0                        ;  msbs: dst=0 src0=0 src1=0 src2=0
	v_add_f32_e32 v11, v11, v23
	s_set_vgpr_msb 1                        ;  msbs: dst=0 src0=1 src1=0 src2=0
	v_mul_f32_e32 v23, v61 /*v317*/, v197
	s_set_vgpr_msb 0                        ;  msbs: dst=0 src0=0 src1=0 src2=0
	v_add_f32_e32 v9, v9, v75
	s_set_vgpr_msb 1                        ;  msbs: dst=0 src0=1 src1=0 src2=0
	v_dual_fmac_f32 v83, v49 /*v305*/, v184 :: v_dual_fmac_f32 v85, v51 /*v307*/, v186
	v_dual_fma_f32 v27, v48 /*v304*/, v184, -v27 :: v_dual_fma_f32 v13, v50 /*v306*/, v186, -v13
	s_set_vgpr_msb 0                        ;  msbs: dst=0 src0=0 src1=0 src2=0
	v_add_f32_e32 v11, v11, v25
	v_add_f32_e32 v9, v9, v81
	s_set_vgpr_msb 1                        ;  msbs: dst=0 src0=1 src1=0 src2=0
	v_dual_mul_f32 v89, v54 /*v310*/, v191 :: v_dual_mul_f32 v91, v56 /*v312*/, v193
	v_fmac_f32_e32 v87, v53 /*v309*/, v188
	s_set_vgpr_msb 0                        ;  msbs: dst=0 src0=0 src1=0 src2=0
	v_add_f32_e32 v11, v11, v27
	v_add_f32_e32 v9, v9, v83
	s_set_vgpr_msb 1                        ;  msbs: dst=0 src0=1 src1=0 src2=0
	v_dual_fma_f32 v15, v52 /*v308*/, v188, -v15 :: v_dual_fma_f32 v17, v54 /*v310*/, v190, -v17
	v_fmac_f32_e32 v89, v55 /*v311*/, v190
	s_set_vgpr_msb 0                        ;  msbs: dst=0 src0=0 src1=0 src2=0
	v_add_f32_e32 v11, v11, v13
	v_add_f32_e32 v9, v9, v85
	s_set_vgpr_msb 1                        ;  msbs: dst=0 src0=1 src1=0 src2=0
	v_dual_mul_f32 v93, v58 /*v314*/, v195 :: v_dual_mul_f32 v95, v60 /*v316*/, v197
	v_fmac_f32_e32 v91, v57 /*v313*/, v192
	s_set_vgpr_msb 0                        ;  msbs: dst=0 src0=0 src1=0 src2=0
	v_add_f32_e32 v11, v11, v15
	v_add_f32_e32 v9, v9, v87
	s_set_vgpr_msb 1                        ;  msbs: dst=0 src0=1 src1=0 src2=0
	v_dual_fma_f32 v15, v56 /*v312*/, v192, -v19 :: v_dual_fmac_f32 v93, v59 /*v315*/, v194
	s_wait_loadcnt 0x4
	s_set_vgpr_msb 0                        ;  msbs: dst=0 src0=0 src1=0 src2=0
	v_dual_mov_b32 v124, v209 :: v_dual_add_f32 v11, v11, v17
	v_add_f32_e32 v9, v9, v89
	s_set_vgpr_msb 1                        ;  msbs: dst=0 src0=1 src1=0 src2=0
	v_fma_f32 v17, v58 /*v314*/, v194, -v21
	s_set_vgpr_msb 0                        ;  msbs: dst=0 src0=0 src1=0 src2=0
	v_dual_mul_f32 v25, v235, v199 :: v_dual_mul_f32 v27, v237, v201
	v_add_f32_e32 v11, v11, v15
	v_add_f32_e32 v9, v9, v91
	s_set_vgpr_msb 1                        ;  msbs: dst=0 src0=1 src1=0 src2=0
	v_fmac_f32_e32 v95, v61 /*v317*/, v196
	v_fma_f32 v15, v60 /*v316*/, v196, -v23
	s_set_vgpr_msb 0                        ;  msbs: dst=0 src0=0 src1=0 src2=0
	v_dual_mul_f32 v119, v236, v201 :: v_dual_mul_f32 v121, v238, v203
	v_add_f32_e32 v11, v11, v17
	v_dual_add_f32 v9, v9, v93 :: v_dual_fmac_f32 v101, v235, v198
	v_dual_mul_f32 v13, v239, v203 :: v_dual_mov_b32 v120, v205
	s_delay_alu instid0(VALU_DEP_2) | instskip(NEXT) | instid1(VALU_DEP_4)
	v_dual_fma_f32 v17, v234, v198, -v25 :: v_dual_add_f32 v9, v9, v95
	v_dual_add_f32 v11, v11, v15 :: v_dual_fmac_f32 v119, v237, v200
	v_fma_f32 v118, v236, v200, -v27
	s_set_vgpr_msb 1                        ;  msbs: dst=0 src0=1 src1=0 src2=0
	v_pk_mul_f32 v[128:129], v[68:69] /*v[324:325]*/, v[120:121] op_sel_hi:[1,0]
	s_set_vgpr_msb 0                        ;  msbs: dst=0 src0=0 src1=0 src2=0
	v_add_f32_e32 v131, v9, v101
	s_wait_loadcnt 0x3
	v_dual_add_f32 v130, v11, v17 :: v_dual_mov_b32 v132, v213
	v_pk_mul_f32 v[122:123], v[250:251], v[206:207] op_sel:[1,1] op_sel_hi:[0,1]
	v_fmac_f32_e32 v121, v239, v202
	v_pk_fma_f32 v[134:135], v[240:241], v[204:205], v[128:129] op_sel_hi:[1,0,1]
	v_fma_f32 v120, v238, v202, -v13
	v_pk_add_f32 v[118:119], v[130:131], v[118:119]
	v_pk_fma_f32 v[128:129], v[240:241], v[204:205], v[128:129] neg_lo:[0,0,1] neg_hi:[0,0,1]
	v_pk_fma_f32 v[130:131], v[250:251], v[206:207], v[122:123] op_sel_hi:[1,0,1]
	s_set_vgpr_msb 1                        ;  msbs: dst=0 src0=1 src1=0 src2=0
	v_pk_mul_f32 v[124:125], v[70:71] /*v[326:327]*/, v[124:125] op_sel_hi:[1,0]
	s_set_vgpr_msb 0                        ;  msbs: dst=0 src0=0 src1=0 src2=0
	v_mov_b32_e32 v129, v135
	v_pk_add_f32 v[118:119], v[118:119], v[120:121]
	v_pk_fma_f32 v[122:123], v[250:251], v[206:207], v[122:123] neg_lo:[0,0,1] neg_hi:[0,0,1]
	v_pk_mul_f32 v[126:127], v[254:255], v[210:211] op_sel:[1,1] op_sel_hi:[0,1]
	v_mov_b32_e32 v123, v131
	v_pk_fma_f32 v[130:131], v[252:253], v[208:209], v[124:125] op_sel_hi:[1,0,1]
	v_pk_add_f32 v[118:119], v[118:119], v[128:129]
	v_pk_fma_f32 v[124:125], v[252:253], v[208:209], v[124:125] neg_lo:[0,0,1] neg_hi:[0,0,1]
	v_pk_fma_f32 v[128:129], v[254:255], v[210:211], v[126:127] op_sel_hi:[1,0,1]
	s_set_vgpr_msb 1                        ;  msbs: dst=0 src0=1 src1=0 src2=0
	v_pk_mul_f32 v[132:133], v[72:73] /*v[328:329]*/, v[132:133] op_sel_hi:[1,0]
	s_set_vgpr_msb 0                        ;  msbs: dst=0 src0=0 src1=0 src2=0
	v_mov_b32_e32 v125, v131
	v_pk_add_f32 v[118:119], v[118:119], v[122:123]
	v_pk_fma_f32 v[126:127], v[254:255], v[210:211], v[126:127] neg_lo:[0,0,1] neg_hi:[0,0,1]
	s_wait_loadcnt 0x2
	s_set_vgpr_msb 1                        ;  msbs: dst=0 src0=1 src1=0 src2=0
	v_pk_mul_f32 v[120:121], v[10:11] /*v[266:267]*/, v[214:215] op_sel:[1,1] op_sel_hi:[0,1]
	s_set_vgpr_msb 0                        ;  msbs: dst=0 src0=0 src1=0 src2=0
	v_dual_mov_b32 v122, v217 :: v_dual_mov_b32 v127, v129
	s_set_vgpr_msb 1                        ;  msbs: dst=0 src0=1 src1=0 src2=0
	v_pk_fma_f32 v[128:129], v[0:1] /*v[256:257]*/, v[212:213], v[132:133] op_sel_hi:[1,0,1]
	s_set_vgpr_msb 0                        ;  msbs: dst=0 src0=0 src1=0 src2=0
	v_pk_add_f32 v[118:119], v[118:119], v[124:125]
	s_set_vgpr_msb 1                        ;  msbs: dst=0 src0=1 src1=0 src2=0
	v_pk_fma_f32 v[130:131], v[0:1] /*v[256:257]*/, v[212:213], v[132:133] neg_lo:[0,0,1] neg_hi:[0,0,1]
	v_pk_fma_f32 v[124:125], v[10:11] /*v[266:267]*/, v[214:215], v[120:121] op_sel_hi:[1,0,1]
	v_pk_mul_f32 v[122:123], v[74:75] /*v[330:331]*/, v[122:123] op_sel_hi:[1,0]
	s_set_vgpr_msb 0                        ;  msbs: dst=0 src0=0 src1=0 src2=0
	v_mov_b32_e32 v131, v129
	v_pk_add_f32 v[118:119], v[118:119], v[126:127]
	s_set_vgpr_msb 1                        ;  msbs: dst=0 src0=1 src1=0 src2=0
	v_pk_fma_f32 v[120:121], v[10:11] /*v[266:267]*/, v[214:215], v[120:121] neg_lo:[0,0,1] neg_hi:[0,0,1]
	s_set_vgpr_msb 0                        ;  msbs: dst=0 src0=0 src1=0 src2=0
	v_mov_b32_e32 v121, v125
	s_set_vgpr_msb 1                        ;  msbs: dst=0 src0=1 src1=0 src2=0
	v_pk_fma_f32 v[124:125], v[12:13] /*v[268:269]*/, v[216:217], v[122:123] op_sel_hi:[1,0,1]
	s_wait_loadcnt_dscnt 0x100
	s_set_vgpr_msb 5                        ;  msbs: dst=0 src0=1 src1=1 src2=0
	v_pk_mul_f32 v[126:127], v[66:67] /*v[322:323]*/, v[62:63] /*v[318:319]*/ op_sel:[1,1] op_sel_hi:[0,1]
	s_set_vgpr_msb 0                        ;  msbs: dst=0 src0=0 src1=0 src2=0
	v_pk_add_f32 v[118:119], v[118:119], v[130:131]
	s_set_vgpr_msb 1                        ;  msbs: dst=0 src0=1 src1=0 src2=0
	v_pk_fma_f32 v[122:123], v[12:13] /*v[268:269]*/, v[216:217], v[122:123] neg_lo:[0,0,1] neg_hi:[0,0,1]
	s_set_vgpr_msb 0                        ;  msbs: dst=0 src0=0 src1=0 src2=0
	v_mov_b32_e32 v123, v125
	s_set_vgpr_msb 5                        ;  msbs: dst=0 src0=1 src1=1 src2=0
	v_pk_fma_f32 v[124:125], v[66:67] /*v[322:323]*/, v[62:63] /*v[318:319]*/, v[126:127] neg_lo:[0,0,1] neg_hi:[0,0,1]
	s_set_vgpr_msb 0                        ;  msbs: dst=0 src0=0 src1=0 src2=0
	v_pk_add_f32 v[118:119], v[118:119], v[120:121]
	s_set_vgpr_msb 5                        ;  msbs: dst=0 src0=1 src1=1 src2=0
	v_pk_fma_f32 v[120:121], v[66:67] /*v[322:323]*/, v[62:63] /*v[318:319]*/, v[126:127] op_sel_hi:[1,0,1]
	s_set_vgpr_msb 0                        ;  msbs: dst=0 src0=0 src1=0 src2=0
	s_delay_alu instid0(VALU_DEP_2) | instskip(NEXT) | instid1(VALU_DEP_2)
	v_pk_add_f32 v[118:119], v[118:119], v[122:123]
	v_mov_b32_e32 v125, v121
	s_delay_alu instid0(VALU_DEP_1) | instskip(SKIP_2) | instid1(VALU_DEP_1)
	v_pk_add_f32 v[118:119], v[118:119], v[124:125]
	s_wait_loadcnt 0x0
	s_set_vgpr_msb 1                        ;  msbs: dst=0 src0=1 src1=0 src2=0
	v_pk_add_f32 v[118:119], v[64:65] /*v[320:321]*/, v[118:119] neg_lo:[0,1] neg_hi:[0,1]
	scratch_store_b64 off, v[118:119], off offset:48
	s_wait_xcnt 0x0
	v_cmpx_lt_u32_e32 5, v0
	s_set_vgpr_msb 0                        ;  msbs: dst=0 src0=0 src1=0 src2=0
	s_cbranch_execz .LBB57_351
; %bb.350:
	scratch_load_b64 v[118:119], off, off offset:40
	v_mov_b64_e32 v[120:121], 0
	scratch_store_b64 off, v[120:121], off offset:40
	s_wait_loadcnt 0x0
	ds_store_b64 v1, v[118:119]
.LBB57_351:
	s_wait_xcnt 0x0
	s_or_b32 exec_lo, exec_lo, s0
	s_wait_storecnt_dscnt 0x0
	s_barrier_signal -1
	s_barrier_wait -1
	s_clause 0x18
	scratch_load_b128 v[118:121], off, off offset:48
	scratch_load_b128 v[122:125], off, off offset:64
	;; [unrolled: 1-line block ×25, first 2 shown]
	ds_load_b128 v[218:221], v7 offset:512
	ds_load_b128 v[222:225], v7 offset:528
	scratch_load_b128 v[226:229], off, off offset:448
	ds_load_b128 v[230:233], v7 offset:544
	ds_load_b128 v[234:237], v7 offset:560
	;; [unrolled: 1-line block ×7, first 2 shown]
	s_set_vgpr_msb 64                       ;  msbs: dst=1 src0=0 src1=0 src2=0
	ds_load_b128 v[2:5] /*v[258:261]*/, v7 offset:880
	ds_load_b128 v[6:9] /*v[262:265]*/, v7 offset:896
	;; [unrolled: 1-line block ×17, first 2 shown]
	scratch_load_b64 v[70:71] /*v[326:327]*/, off, off offset:40
	s_wait_dscnt 0x13
	v_dual_mov_b32 v72 /*v328*/, v249 :: v_dual_mov_b32 v73 /*v329*/, v248
	s_wait_dscnt 0x10
	s_set_vgpr_msb 0x41                     ;  msbs: dst=1 src0=1 src1=0 src2=0
	v_dual_mov_b32 v74 /*v330*/, v5 /*v261*/ :: v_dual_mov_b32 v75 /*v331*/, v4 /*v260*/
	s_wait_dscnt 0xf
	v_dual_mov_b32 v76 /*v332*/, v9 /*v265*/ :: v_dual_mov_b32 v77 /*v333*/, v8 /*v264*/
	s_wait_dscnt 0xc
	v_dual_mov_b32 v78 /*v334*/, v21 /*v277*/ :: v_dual_mov_b32 v79 /*v335*/, v20 /*v276*/
	s_mov_b32 s0, exec_lo
	s_wait_loadcnt 0x1a
	s_set_vgpr_msb 0                        ;  msbs: dst=0 src0=0 src1=0 src2=0
	v_dual_mul_f32 v7, v218, v119 :: v_dual_mul_f32 v9, v220, v121
	s_wait_loadcnt 0x19
	v_dual_mul_f32 v91, v219, v119 :: v_dual_mul_f32 v97, v225, v125
	v_dual_mul_f32 v11, v222, v123 :: v_dual_mul_f32 v13, v224, v125
	s_delay_alu instid0(VALU_DEP_3) | instskip(SKIP_4) | instid1(VALU_DEP_3)
	v_dual_fmac_f32 v7, v219, v118 :: v_dual_fmac_f32 v9, v221, v120
	s_wait_loadcnt 0x13
	v_dual_mul_f32 v35, v254, v147 :: v_dual_mul_f32 v93, v221, v121
	v_dual_mul_f32 v95, v223, v123 :: v_dual_mul_f32 v101, v233, v129
	v_dual_mul_f32 v99, v231, v127 :: v_dual_fma_f32 v91, v218, v118, -v91
	v_dual_mul_f32 v103, v235, v131 :: v_dual_fma_f32 v93, v220, v120, -v93
	v_dual_add_f32 v7, 0, v7 :: v_dual_fmac_f32 v11, v223, v122
	s_delay_alu instid0(VALU_DEP_3)
	v_dual_fmac_f32 v13, v225, v124 :: v_dual_add_f32 v91, 0, v91
	v_mul_f32_e32 v105, v237, v133
	s_wait_loadcnt_dscnt 0x601
	s_set_vgpr_msb 1                        ;  msbs: dst=0 src0=1 src1=0 src2=0
	v_mul_f32_e32 v89, v64 /*v320*/, v201
	s_set_vgpr_msb 0                        ;  msbs: dst=0 src0=0 src1=0 src2=0
	v_dual_fma_f32 v95, v222, v122, -v95 :: v_dual_add_f32 v7, v7, v9
	v_dual_mul_f32 v15, v230, v127 :: v_dual_mul_f32 v17, v232, v129
	v_dual_add_f32 v9, v91, v93 :: v_dual_fma_f32 v93, v224, v124, -v97
	s_delay_alu instid0(VALU_DEP_3) | instskip(NEXT) | instid1(VALU_DEP_3)
	v_add_f32_e32 v7, v7, v11
	v_dual_fmac_f32 v15, v231, v126 :: v_dual_mul_f32 v19, v234, v131
	s_delay_alu instid0(VALU_DEP_3) | instskip(NEXT) | instid1(VALU_DEP_3)
	v_dual_mul_f32 v21, v236, v133 :: v_dual_add_f32 v9, v9, v95
	v_dual_fma_f32 v95, v230, v126, -v99 :: v_dual_add_f32 v7, v7, v13
	v_dual_fmac_f32 v17, v233, v128 :: v_dual_mul_f32 v13, v243, v139
	s_delay_alu instid0(VALU_DEP_3) | instskip(NEXT) | instid1(VALU_DEP_3)
	v_dual_add_f32 v9, v9, v93 :: v_dual_fma_f32 v93, v232, v128, -v101
	v_add_f32_e32 v7, v7, v15
	v_dual_fmac_f32 v19, v235, v130 :: v_dual_mul_f32 v23, v238, v135
	s_delay_alu instid0(VALU_DEP_3) | instskip(NEXT) | instid1(VALU_DEP_3)
	v_dual_mul_f32 v25, v240, v137 :: v_dual_add_f32 v9, v9, v95
	v_dual_add_f32 v7, v7, v17 :: v_dual_fmac_f32 v21, v237, v132
	v_dual_mul_f32 v15, v245, v141 :: v_dual_fma_f32 v95, v234, v130, -v103
	s_delay_alu instid0(VALU_DEP_3) | instskip(NEXT) | instid1(VALU_DEP_3)
	v_dual_add_f32 v9, v9, v93 :: v_dual_mul_f32 v17, v251, v143
	v_dual_fma_f32 v93, v236, v132, -v105 :: v_dual_add_f32 v7, v7, v19
	v_dual_mul_f32 v91, v239, v135 :: v_dual_mul_f32 v11, v241, v137
	s_delay_alu instid0(VALU_DEP_3) | instskip(NEXT) | instid1(VALU_DEP_3)
	v_dual_add_f32 v9, v9, v95 :: v_dual_fmac_f32 v23, v239, v134
	v_dual_add_f32 v7, v7, v21 :: v_dual_fmac_f32 v25, v241, v136
	v_dual_mul_f32 v27, v242, v139 :: v_dual_mul_f32 v29, v244, v141
	s_delay_alu instid0(VALU_DEP_4) | instskip(NEXT) | instid1(VALU_DEP_4)
	v_dual_mul_f32 v19, v253, v145 :: v_dual_fma_f32 v91, v238, v134, -v91
	v_dual_add_f32 v9, v9, v93 :: v_dual_mul_f32 v21, v255, v147
	s_delay_alu instid0(VALU_DEP_4) | instskip(NEXT) | instid1(VALU_DEP_2)
	v_dual_fma_f32 v11, v240, v136, -v11 :: v_dual_add_f32 v7, v7, v23
	v_dual_fmac_f32 v27, v243, v138 :: v_dual_add_f32 v9, v9, v91
	v_fma_f32 v13, v242, v138, -v13
	v_dual_mul_f32 v31, v250, v143 :: v_dual_mul_f32 v33, v252, v145
	s_delay_alu instid0(VALU_DEP_3) | instskip(SKIP_1) | instid1(VALU_DEP_3)
	v_dual_add_f32 v7, v7, v25 :: v_dual_add_f32 v9, v9, v11
	v_dual_fma_f32 v15, v244, v140, -v15 :: v_dual_fmac_f32 v29, v245, v140
	v_fmac_f32_e32 v31, v251, v142
	s_delay_alu instid0(VALU_DEP_3)
	v_dual_add_f32 v7, v7, v27 :: v_dual_add_f32 v9, v9, v13
	v_fma_f32 v17, v250, v142, -v17
	s_set_vgpr_msb 1                        ;  msbs: dst=0 src0=1 src1=0 src2=0
	v_dual_mul_f32 v37, v0 /*v256*/, v149 :: v_dual_mul_f32 v39, v10 /*v266*/, v151
	s_set_vgpr_msb 0                        ;  msbs: dst=0 src0=0 src1=0 src2=0
	v_dual_add_f32 v7, v7, v29 :: v_dual_add_f32 v9, v9, v15
	v_dual_fma_f32 v19, v252, v144, -v19 :: v_dual_fmac_f32 v33, v253, v144
	s_set_vgpr_msb 1                        ;  msbs: dst=0 src0=1 src1=0 src2=0
	v_dual_mul_f32 v23, v1 /*v257*/, v149 :: v_dual_mul_f32 v11, v11 /*v267*/, v151
	s_set_vgpr_msb 0                        ;  msbs: dst=0 src0=0 src1=0 src2=0
	v_dual_add_f32 v7, v7, v31 :: v_dual_add_f32 v9, v9, v17
	v_dual_fmac_f32 v35, v255, v146 :: v_dual_fma_f32 v21, v254, v146, -v21
	s_set_vgpr_msb 1                        ;  msbs: dst=0 src0=1 src1=0 src2=0
	v_dual_fmac_f32 v37, v1 /*v257*/, v148 :: v_dual_fma_f32 v23, v0 /*v256*/, v148, -v23
	s_set_vgpr_msb 0                        ;  msbs: dst=0 src0=0 src1=0 src2=0
	v_add_f32_e32 v7, v7, v33
	s_set_vgpr_msb 1                        ;  msbs: dst=0 src0=1 src1=0 src2=0
	v_dual_mul_f32 v41, v12 /*v268*/, v153 :: v_dual_mul_f32 v43, v14 /*v270*/, v155
	v_dual_mul_f32 v13, v13 /*v269*/, v153 :: v_dual_mul_f32 v15, v15 /*v271*/, v155
	s_set_vgpr_msb 0                        ;  msbs: dst=0 src0=0 src1=0 src2=0
	v_add_f32_e32 v7, v7, v35
	v_add_f32_e32 v9, v9, v19
	s_set_vgpr_msb 1                        ;  msbs: dst=0 src0=1 src1=0 src2=0
	v_dual_fmac_f32 v39, v11 /*v267*/, v150 :: v_dual_fmac_f32 v41, v13 /*v269*/, v152
	v_fmac_f32_e32 v43, v15 /*v271*/, v154
	s_set_vgpr_msb 0                        ;  msbs: dst=0 src0=0 src1=0 src2=0
	v_add_f32_e32 v7, v7, v37
	v_add_f32_e32 v9, v9, v21
	s_set_vgpr_msb 1                        ;  msbs: dst=0 src0=1 src1=0 src2=0
	v_dual_mul_f32 v21, v25 /*v281*/, v161 :: v_dual_fma_f32 v13, v12 /*v268*/, v152, -v13
	v_dual_mul_f32 v45, v16 /*v272*/, v157 :: v_dual_mul_f32 v47, v22 /*v278*/, v159
	s_set_vgpr_msb 0                        ;  msbs: dst=0 src0=0 src1=0 src2=0
	v_add_f32_e32 v7, v7, v39
	s_set_vgpr_msb 1                        ;  msbs: dst=0 src0=1 src1=0 src2=0
	v_dual_mul_f32 v17, v17 /*v273*/, v157 :: v_dual_mul_f32 v19, v23 /*v279*/, v159
	s_set_vgpr_msb 0                        ;  msbs: dst=0 src0=0 src1=0 src2=0
	v_add_f32_e32 v9, v9, v23
	s_set_vgpr_msb 1                        ;  msbs: dst=0 src0=1 src1=0 src2=0
	v_dual_fma_f32 v11, v10 /*v266*/, v150, -v11 :: v_dual_mul_f32 v23, v27 /*v283*/, v163
	s_set_vgpr_msb 0                        ;  msbs: dst=0 src0=0 src1=0 src2=0
	v_add_f32_e32 v7, v7, v41
	s_set_vgpr_msb 1                        ;  msbs: dst=0 src0=1 src1=0 src2=0
	v_dual_fmac_f32 v45, v17 /*v273*/, v156 :: v_dual_fmac_f32 v47, v23 /*v279*/, v158
	v_fma_f32 v17, v16 /*v272*/, v156, -v17
	v_dual_mul_f32 v49, v24 /*v280*/, v161 :: v_dual_mul_f32 v51, v26 /*v282*/, v163
	s_set_vgpr_msb 0                        ;  msbs: dst=0 src0=0 src1=0 src2=0
	v_add_f32_e32 v7, v7, v43
	v_add_f32_e32 v9, v9, v11
	s_set_vgpr_msb 1                        ;  msbs: dst=0 src0=1 src1=0 src2=0
	v_dual_mul_f32 v11, v29 /*v285*/, v165 :: v_dual_fma_f32 v15, v14 /*v270*/, v154, -v15
	v_dual_fmac_f32 v49, v25 /*v281*/, v160 :: v_dual_fmac_f32 v51, v27 /*v283*/, v162
	s_set_vgpr_msb 0                        ;  msbs: dst=0 src0=0 src1=0 src2=0
	v_add_f32_e32 v7, v7, v45
	v_add_f32_e32 v9, v9, v13
	s_set_vgpr_msb 1                        ;  msbs: dst=0 src0=1 src1=0 src2=0
	v_fma_f32 v21, v24 /*v280*/, v160, -v21
	v_dual_mul_f32 v53, v28 /*v284*/, v165 :: v_dual_mul_f32 v55, v30 /*v286*/, v167
	s_set_vgpr_msb 0                        ;  msbs: dst=0 src0=0 src1=0 src2=0
	v_add_f32_e32 v7, v7, v47
	s_set_vgpr_msb 1                        ;  msbs: dst=0 src0=1 src1=0 src2=0
	v_mul_f32_e32 v13, v31 /*v287*/, v167
	s_set_vgpr_msb 0                        ;  msbs: dst=0 src0=0 src1=0 src2=0
	v_add_f32_e32 v9, v9, v15
	s_set_vgpr_msb 1                        ;  msbs: dst=0 src0=1 src1=0 src2=0
	v_dual_mul_f32 v15, v33 /*v289*/, v169 :: v_dual_fma_f32 v19, v22 /*v278*/, v158, -v19
	s_set_vgpr_msb 0                        ;  msbs: dst=0 src0=0 src1=0 src2=0
	v_add_f32_e32 v7, v7, v49
	s_set_vgpr_msb 1                        ;  msbs: dst=0 src0=1 src1=0 src2=0
	v_dual_fmac_f32 v53, v29 /*v285*/, v164 :: v_dual_fma_f32 v11, v28 /*v284*/, v164, -v11
	s_set_vgpr_msb 0                        ;  msbs: dst=0 src0=0 src1=0 src2=0
	v_add_f32_e32 v9, v9, v17
	s_set_vgpr_msb 1                        ;  msbs: dst=0 src0=1 src1=0 src2=0
	v_dual_fmac_f32 v55, v31 /*v287*/, v166 :: v_dual_fma_f32 v13, v30 /*v286*/, v166, -v13
	s_set_vgpr_msb 0                        ;  msbs: dst=0 src0=0 src1=0 src2=0
	v_add_f32_e32 v7, v7, v51
	s_set_vgpr_msb 1                        ;  msbs: dst=0 src0=1 src1=0 src2=0
	v_dual_mul_f32 v57, v32 /*v288*/, v169 :: v_dual_mul_f32 v59, v34 /*v290*/, v171
	v_mul_f32_e32 v17, v35 /*v291*/, v171
	s_set_vgpr_msb 0                        ;  msbs: dst=0 src0=0 src1=0 src2=0
	v_dual_add_f32 v9, v9, v19 :: v_dual_add_f32 v7, v7, v53
	s_set_vgpr_msb 1                        ;  msbs: dst=0 src0=1 src1=0 src2=0
	v_dual_mul_f32 v19, v37 /*v293*/, v173 :: v_dual_fma_f32 v23, v26 /*v282*/, v162, -v23
	v_dual_fmac_f32 v57, v33 /*v289*/, v168 :: v_dual_fma_f32 v15, v32 /*v288*/, v168, -v15
	s_set_vgpr_msb 0                        ;  msbs: dst=0 src0=0 src1=0 src2=0
	v_add_f32_e32 v9, v9, v21
	s_set_vgpr_msb 1                        ;  msbs: dst=0 src0=1 src1=0 src2=0
	v_dual_fmac_f32 v59, v35 /*v291*/, v170 :: v_dual_fma_f32 v17, v34 /*v290*/, v170, -v17
	s_set_vgpr_msb 0                        ;  msbs: dst=0 src0=0 src1=0 src2=0
	v_add_f32_e32 v7, v7, v55
	s_set_vgpr_msb 1                        ;  msbs: dst=0 src0=1 src1=0 src2=0
	v_dual_mul_f32 v61, v36 /*v292*/, v173 :: v_dual_mul_f32 v63, v38 /*v294*/, v175
	v_mul_f32_e32 v21, v39 /*v295*/, v175
	s_set_vgpr_msb 0                        ;  msbs: dst=0 src0=0 src1=0 src2=0
	v_dual_add_f32 v9, v9, v23 :: v_dual_add_f32 v7, v7, v57
	s_set_vgpr_msb 1                        ;  msbs: dst=0 src0=1 src1=0 src2=0
	v_dual_fmac_f32 v61, v37 /*v293*/, v172 :: v_dual_fma_f32 v19, v36 /*v292*/, v172, -v19
	v_dual_fmac_f32 v63, v39 /*v295*/, v174 :: v_dual_fma_f32 v21, v38 /*v294*/, v174, -v21
	s_set_vgpr_msb 0                        ;  msbs: dst=0 src0=0 src1=0 src2=0
	v_add_f32_e32 v7, v7, v59
	v_add_f32_e32 v9, v9, v11
	s_set_vgpr_msb 1                        ;  msbs: dst=0 src0=1 src1=0 src2=0
	v_dual_mul_f32 v65, v40 /*v296*/, v177 :: v_dual_mul_f32 v67, v42 /*v298*/, v179
	v_dual_mul_f32 v23, v41 /*v297*/, v177 :: v_dual_mul_f32 v11, v43 /*v299*/, v179
	s_set_vgpr_msb 0                        ;  msbs: dst=0 src0=0 src1=0 src2=0
	v_add_f32_e32 v7, v7, v61
	v_add_f32_e32 v9, v9, v13
	s_set_vgpr_msb 1                        ;  msbs: dst=0 src0=1 src1=0 src2=0
	v_dual_fmac_f32 v65, v41 /*v297*/, v176 :: v_dual_fma_f32 v23, v40 /*v296*/, v176, -v23
	v_dual_mul_f32 v69, v44 /*v300*/, v181 :: v_dual_mul_f32 v71, v46 /*v302*/, v183
	s_set_vgpr_msb 0                        ;  msbs: dst=0 src0=0 src1=0 src2=0
	v_add_f32_e32 v7, v7, v63
	v_add_f32_e32 v9, v9, v15
	s_set_vgpr_msb 1                        ;  msbs: dst=0 src0=1 src1=0 src2=0
	v_dual_fmac_f32 v67, v43 /*v299*/, v178 :: v_dual_fmac_f32 v69, v45 /*v301*/, v180
	v_dual_mul_f32 v73, v48 /*v304*/, v185 :: v_dual_mul_f32 v75, v50 /*v306*/, v187
	s_set_vgpr_msb 0                        ;  msbs: dst=0 src0=0 src1=0 src2=0
	v_add_f32_e32 v7, v7, v65
	v_add_f32_e32 v9, v9, v17
	s_set_vgpr_msb 1                        ;  msbs: dst=0 src0=1 src1=0 src2=0
	v_dual_mul_f32 v77, v52 /*v308*/, v189 :: v_dual_mul_f32 v79, v54 /*v310*/, v191
	v_dual_fmac_f32 v71, v47 /*v303*/, v182 :: v_dual_fmac_f32 v73, v49 /*v305*/, v184
	s_set_vgpr_msb 0                        ;  msbs: dst=0 src0=0 src1=0 src2=0
	v_add_f32_e32 v7, v7, v67
	v_add_f32_e32 v9, v9, v19
	s_set_vgpr_msb 1                        ;  msbs: dst=0 src0=1 src1=0 src2=0
	v_fma_f32 v11, v42 /*v298*/, v178, -v11
	v_dual_fmac_f32 v79, v55 /*v311*/, v190 :: v_dual_mul_f32 v13, v45 /*v301*/, v181
	v_mul_f32_e32 v15, v47 /*v303*/, v183
	s_set_vgpr_msb 0                        ;  msbs: dst=0 src0=0 src1=0 src2=0
	v_add_f32_e32 v7, v7, v69
	v_add_f32_e32 v9, v9, v21
	s_set_vgpr_msb 1                        ;  msbs: dst=0 src0=1 src1=0 src2=0
	v_dual_mul_f32 v21, v53 /*v309*/, v189 :: v_dual_fmac_f32 v75, v51 /*v307*/, v186
	v_fmac_f32_e32 v77, v53 /*v309*/, v188
	v_fma_f32 v13, v44 /*v300*/, v180, -v13
	v_dual_mul_f32 v81, v56 /*v312*/, v193 :: v_dual_mul_f32 v83, v58 /*v314*/, v195
	s_delay_alu instid0(VALU_DEP_4)
	v_fma_f32 v21, v52 /*v308*/, v188, -v21
	s_set_vgpr_msb 0                        ;  msbs: dst=0 src0=0 src1=0 src2=0
	v_add_f32_e32 v7, v7, v71
	v_add_f32_e32 v9, v9, v23
	s_set_vgpr_msb 1                        ;  msbs: dst=0 src0=1 src1=0 src2=0
	v_dual_mul_f32 v23, v55 /*v311*/, v191 :: v_dual_mul_f32 v17, v49 /*v305*/, v185
	v_mul_f32_e32 v19, v51 /*v307*/, v187
	s_set_vgpr_msb 0                        ;  msbs: dst=0 src0=0 src1=0 src2=0
	v_add_f32_e32 v7, v7, v73
	s_set_vgpr_msb 1                        ;  msbs: dst=0 src0=1 src1=0 src2=0
	v_fma_f32 v15, v46 /*v302*/, v182, -v15
	s_wait_loadcnt 0x4
	s_set_vgpr_msb 0                        ;  msbs: dst=0 src0=0 src1=0 src2=0
	v_mov_b32_e32 v120, v209
	s_set_vgpr_msb 1                        ;  msbs: dst=0 src0=1 src1=0 src2=0
	v_fma_f32 v17, v48 /*v304*/, v184, -v17
	v_dual_mul_f32 v85, v60 /*v316*/, v197 :: v_dual_mul_f32 v87, v62 /*v318*/, v199
	s_set_vgpr_msb 0                        ;  msbs: dst=0 src0=0 src1=0 src2=0
	v_add_f32_e32 v7, v7, v75
	v_add_f32_e32 v9, v9, v11
	s_set_vgpr_msb 1                        ;  msbs: dst=0 src0=1 src1=0 src2=0
	v_dual_mul_f32 v11, v57 /*v313*/, v193 :: v_dual_fmac_f32 v81, v57 /*v313*/, v192
	v_fma_f32 v19, v50 /*v306*/, v186, -v19
	s_set_vgpr_msb 0                        ;  msbs: dst=0 src0=0 src1=0 src2=0
	v_add_f32_e32 v7, v7, v77
	v_add_f32_e32 v9, v9, v13
	s_set_vgpr_msb 1                        ;  msbs: dst=0 src0=1 src1=0 src2=0
	v_dual_mul_f32 v13, v59 /*v315*/, v195 :: v_dual_fma_f32 v11, v56 /*v312*/, v192, -v11
	v_dual_fmac_f32 v83, v59 /*v315*/, v194 :: v_dual_fmac_f32 v85, v61 /*v317*/, v196
	s_set_vgpr_msb 0                        ;  msbs: dst=0 src0=0 src1=0 src2=0
	v_add_f32_e32 v7, v7, v79
	v_add_f32_e32 v9, v9, v15
	s_set_vgpr_msb 1                        ;  msbs: dst=0 src0=1 src1=0 src2=0
	v_dual_mul_f32 v15, v61 /*v317*/, v197 :: v_dual_fma_f32 v23, v54 /*v310*/, v190, -v23
	v_dual_fmac_f32 v87, v63 /*v319*/, v198 :: v_dual_fmac_f32 v89, v65 /*v321*/, v200
	s_set_vgpr_msb 0                        ;  msbs: dst=0 src0=0 src1=0 src2=0
	v_add_f32_e32 v7, v7, v81
	v_add_f32_e32 v9, v9, v17
	s_wait_loadcnt 0x3
	v_mov_b32_e32 v124, v213
	s_set_vgpr_msb 1                        ;  msbs: dst=0 src0=1 src1=0 src2=0
	v_dual_fma_f32 v13, v58 /*v314*/, v194, -v13 :: v_dual_mul_f32 v17, v63 /*v319*/, v199
	s_set_vgpr_msb 0                        ;  msbs: dst=0 src0=0 src1=0 src2=0
	v_add_f32_e32 v7, v7, v83
	v_add_f32_e32 v9, v9, v19
	s_set_vgpr_msb 1                        ;  msbs: dst=0 src0=1 src1=0 src2=0
	v_mul_f32_e32 v19, v65 /*v321*/, v201
	s_wait_dscnt 0x0
	s_set_vgpr_msb 0x41                     ;  msbs: dst=1 src0=1 src1=0 src2=0
	v_dual_mul_f32 v81 /*v337*/, v66 /*v322*/, v203 :: v_dual_mul_f32 v83 /*v339*/, v68 /*v324*/, v205
	s_set_vgpr_msb 0                        ;  msbs: dst=0 src0=0 src1=0 src2=0
	v_add_f32_e32 v7, v7, v85
	v_add_f32_e32 v9, v9, v21
	s_set_vgpr_msb 1                        ;  msbs: dst=0 src0=1 src1=0 src2=0
	v_mul_f32_e32 v21, v67 /*v323*/, v203
	s_set_vgpr_msb 0                        ;  msbs: dst=0 src0=0 src1=0 src2=0
	v_pk_mul_f32 v[118:119], v[246:247], v[206:207] op_sel:[1,1] op_sel_hi:[0,1]
	s_set_vgpr_msb 0x41                     ;  msbs: dst=1 src0=1 src1=0 src2=0
	v_dual_fmac_f32 v81 /*v337*/, v67 /*v323*/, v202 :: v_dual_fmac_f32 v83 /*v339*/, v69 /*v325*/, v204
	s_set_vgpr_msb 0                        ;  msbs: dst=0 src0=0 src1=0 src2=0
	v_add_f32_e32 v7, v7, v87
	v_add_f32_e32 v9, v9, v23
	s_set_vgpr_msb 1                        ;  msbs: dst=0 src0=1 src1=0 src2=0
	v_mul_f32_e32 v23, v69 /*v325*/, v205
	s_set_vgpr_msb 0x41                     ;  msbs: dst=1 src0=1 src1=0 src2=0
	v_fma_f32 v80 /*v336*/, v66 /*v322*/, v202, -v21
	s_set_vgpr_msb 0                        ;  msbs: dst=0 src0=0 src1=0 src2=0
	v_pk_fma_f32 v[128:129], v[246:247], v[206:207], v[118:119] op_sel_hi:[1,0,1]
	v_dual_add_f32 v127, v7, v89 :: v_dual_add_f32 v9, v9, v11
	s_set_vgpr_msb 1                        ;  msbs: dst=0 src0=1 src1=0 src2=0
	v_fma_f32 v11, v60 /*v316*/, v196, -v15
	s_set_vgpr_msb 0x41                     ;  msbs: dst=1 src0=1 src1=0 src2=0
	v_fma_f32 v82 /*v338*/, v68 /*v324*/, v204, -v23
	s_set_vgpr_msb 1                        ;  msbs: dst=0 src0=1 src1=0 src2=0
	v_pk_mul_f32 v[120:121], v[72:73] /*v[328:329]*/, v[120:121] op_sel_hi:[1,0]
	s_set_vgpr_msb 0                        ;  msbs: dst=0 src0=0 src1=0 src2=0
	v_pk_fma_f32 v[118:119], v[246:247], v[206:207], v[118:119] neg_lo:[0,0,1] neg_hi:[0,0,1]
	v_add_f32_e32 v9, v9, v13
	s_set_vgpr_msb 1                        ;  msbs: dst=0 src0=1 src1=0 src2=0
	v_fma_f32 v13, v62 /*v318*/, v198, -v17
	v_pk_mul_f32 v[122:123], v[2:3] /*v[258:259]*/, v[210:211] op_sel:[1,1] op_sel_hi:[0,1]
	s_set_vgpr_msb 0                        ;  msbs: dst=0 src0=0 src1=0 src2=0
	v_mov_b32_e32 v119, v129
	v_pk_fma_f32 v[128:129], v[248:249], v[208:209], v[120:121] op_sel_hi:[1,0,1]
	v_add_f32_e32 v9, v9, v11
	s_set_vgpr_msb 1                        ;  msbs: dst=0 src0=1 src1=0 src2=0
	v_fma_f32 v11, v64 /*v320*/, v200, -v19
	s_set_vgpr_msb 0                        ;  msbs: dst=0 src0=0 src1=0 src2=0
	v_pk_fma_f32 v[120:121], v[248:249], v[208:209], v[120:121] neg_lo:[0,0,1] neg_hi:[0,0,1]
	s_set_vgpr_msb 1                        ;  msbs: dst=0 src0=1 src1=0 src2=0
	v_pk_fma_f32 v[132:133], v[2:3] /*v[258:259]*/, v[210:211], v[122:123] op_sel_hi:[1,0,1]
	v_pk_mul_f32 v[124:125], v[74:75] /*v[330:331]*/, v[124:125] op_sel_hi:[1,0]
	s_set_vgpr_msb 0                        ;  msbs: dst=0 src0=0 src1=0 src2=0
	v_add_f32_e32 v9, v9, v13
	v_mov_b32_e32 v121, v129
	s_wait_loadcnt 0x2
	s_set_vgpr_msb 1                        ;  msbs: dst=0 src0=1 src1=0 src2=0
	v_pk_mul_f32 v[130:131], v[6:7] /*v[262:263]*/, v[214:215] op_sel:[1,1] op_sel_hi:[0,1]
	v_pk_fma_f32 v[122:123], v[2:3] /*v[258:259]*/, v[210:211], v[122:123] neg_lo:[0,0,1] neg_hi:[0,0,1]
	s_set_vgpr_msb 0                        ;  msbs: dst=0 src0=0 src1=0 src2=0
	v_mov_b32_e32 v123, v133
	v_add_f32_e32 v126, v9, v11
	s_set_vgpr_msb 1                        ;  msbs: dst=0 src0=1 src1=0 src2=0
	v_pk_fma_f32 v[128:129], v[4:5] /*v[260:261]*/, v[212:213], v[124:125] op_sel_hi:[1,0,1]
	v_pk_fma_f32 v[124:125], v[4:5] /*v[260:261]*/, v[212:213], v[124:125] neg_lo:[0,0,1] neg_hi:[0,0,1]
	s_set_vgpr_msb 4                        ;  msbs: dst=0 src0=0 src1=1 src2=0
	v_pk_add_f32 v[126:127], v[126:127], v[80:81] /*v[336:337]*/
	s_delay_alu instid0(VALU_DEP_1) | instskip(SKIP_1) | instid1(VALU_DEP_1)
	v_pk_add_f32 v[126:127], v[126:127], v[82:83] /*v[338:339]*/
	s_set_vgpr_msb 0                        ;  msbs: dst=0 src0=0 src1=0 src2=0
	v_pk_add_f32 v[118:119], v[126:127], v[118:119]
	v_mov_b32_e32 v126, v217
	s_delay_alu instid0(VALU_DEP_2) | instskip(SKIP_2) | instid1(VALU_DEP_3)
	v_pk_add_f32 v[118:119], v[118:119], v[120:121]
	s_set_vgpr_msb 1                        ;  msbs: dst=0 src0=1 src1=0 src2=0
	v_pk_fma_f32 v[120:121], v[6:7] /*v[262:263]*/, v[214:215], v[130:131] op_sel_hi:[1,0,1]
	v_pk_mul_f32 v[126:127], v[76:77] /*v[332:333]*/, v[126:127] op_sel_hi:[1,0]
	s_set_vgpr_msb 0                        ;  msbs: dst=0 src0=0 src1=0 src2=0
	v_mov_b32_e32 v125, v129
	s_set_vgpr_msb 1                        ;  msbs: dst=0 src0=1 src1=0 src2=0
	v_pk_fma_f32 v[128:129], v[6:7] /*v[262:263]*/, v[214:215], v[130:131] neg_lo:[0,0,1] neg_hi:[0,0,1]
	s_set_vgpr_msb 0                        ;  msbs: dst=0 src0=0 src1=0 src2=0
	v_pk_add_f32 v[118:119], v[118:119], v[122:123]
	v_mov_b32_e32 v129, v121
	s_set_vgpr_msb 1                        ;  msbs: dst=0 src0=1 src1=0 src2=0
	v_pk_fma_f32 v[120:121], v[8:9] /*v[264:265]*/, v[216:217], v[126:127] op_sel_hi:[1,0,1]
	s_wait_loadcnt 0x1
	v_pk_mul_f32 v[122:123], v[18:19] /*v[274:275]*/, v[226:227] op_sel:[1,1] op_sel_hi:[0,1]
	s_set_vgpr_msb 0                        ;  msbs: dst=0 src0=0 src1=0 src2=0
	v_mov_b32_e32 v120, v229
	v_pk_add_f32 v[118:119], v[118:119], v[124:125]
	s_set_vgpr_msb 1                        ;  msbs: dst=0 src0=1 src1=0 src2=0
	v_pk_fma_f32 v[126:127], v[8:9] /*v[264:265]*/, v[216:217], v[126:127] neg_lo:[0,0,1] neg_hi:[0,0,1]
	s_set_vgpr_msb 0                        ;  msbs: dst=0 src0=0 src1=0 src2=0
	v_mov_b32_e32 v127, v121
	s_set_vgpr_msb 1                        ;  msbs: dst=0 src0=1 src1=0 src2=0
	v_pk_fma_f32 v[124:125], v[18:19] /*v[274:275]*/, v[226:227], v[122:123] op_sel_hi:[1,0,1]
	v_pk_mul_f32 v[120:121], v[78:79] /*v[334:335]*/, v[120:121] op_sel_hi:[1,0]
	s_set_vgpr_msb 0                        ;  msbs: dst=0 src0=0 src1=0 src2=0
	v_pk_add_f32 v[118:119], v[118:119], v[128:129]
	s_set_vgpr_msb 1                        ;  msbs: dst=0 src0=1 src1=0 src2=0
	v_pk_fma_f32 v[122:123], v[18:19] /*v[274:275]*/, v[226:227], v[122:123] neg_lo:[0,0,1] neg_hi:[0,0,1]
	s_set_vgpr_msb 0                        ;  msbs: dst=0 src0=0 src1=0 src2=0
	v_mov_b32_e32 v123, v125
	s_set_vgpr_msb 1                        ;  msbs: dst=0 src0=1 src1=0 src2=0
	v_pk_fma_f32 v[124:125], v[20:21] /*v[276:277]*/, v[228:229], v[120:121] op_sel_hi:[1,0,1]
	s_set_vgpr_msb 0                        ;  msbs: dst=0 src0=0 src1=0 src2=0
	v_pk_add_f32 v[118:119], v[118:119], v[126:127]
	s_set_vgpr_msb 1                        ;  msbs: dst=0 src0=1 src1=0 src2=0
	v_pk_fma_f32 v[120:121], v[20:21] /*v[276:277]*/, v[228:229], v[120:121] neg_lo:[0,0,1] neg_hi:[0,0,1]
	s_set_vgpr_msb 0                        ;  msbs: dst=0 src0=0 src1=0 src2=0
	v_mov_b32_e32 v121, v125
	v_pk_add_f32 v[118:119], v[118:119], v[122:123]
	s_delay_alu instid0(VALU_DEP_1) | instskip(SKIP_2) | instid1(VALU_DEP_1)
	v_pk_add_f32 v[118:119], v[118:119], v[120:121]
	s_wait_loadcnt 0x0
	s_set_vgpr_msb 1                        ;  msbs: dst=0 src0=1 src1=0 src2=0
	v_pk_add_f32 v[118:119], v[70:71] /*v[326:327]*/, v[118:119] neg_lo:[0,1] neg_hi:[0,1]
	scratch_store_b64 off, v[118:119], off offset:40
	s_wait_xcnt 0x0
	v_cmpx_lt_u32_e32 4, v0
	s_set_vgpr_msb 0                        ;  msbs: dst=0 src0=0 src1=0 src2=0
	s_cbranch_execz .LBB57_353
; %bb.352:
	scratch_load_b64 v[118:119], off, off offset:32
	v_mov_b64_e32 v[120:121], 0
	scratch_store_b64 off, v[120:121], off offset:32
	s_wait_loadcnt 0x0
	ds_store_b64 v1, v[118:119]
.LBB57_353:
	s_wait_xcnt 0x0
	s_or_b32 exec_lo, exec_lo, s0
	s_wait_storecnt_dscnt 0x0
	s_barrier_signal -1
	s_barrier_wait -1
	s_clause 0x1c
	scratch_load_b128 v[118:121], off, off offset:40
	scratch_load_b128 v[122:125], off, off offset:56
	;; [unrolled: 1-line block ×26, first 2 shown]
	s_set_vgpr_msb 64                       ;  msbs: dst=1 src0=0 src1=0 src2=0
	scratch_load_b64 v[70:71] /*v[326:327]*/, off, off offset:456
	scratch_load_b64 v[72:73] /*v[328:329]*/, off, off offset:32
	s_set_vgpr_msb 0                        ;  msbs: dst=0 src0=0 src1=0 src2=0
	v_mov_b32_e32 v7, 0
	ds_load_2addr_b64 v[222:225], v7 offset0:63 offset1:64
	ds_load_2addr_b64 v[226:229], v7 offset0:65 offset1:66
	;; [unrolled: 1-line block ×9, first 2 shown]
	s_set_vgpr_msb 64                       ;  msbs: dst=1 src0=0 src1=0 src2=0
	ds_load_2addr_b64 v[2:5] /*v[258:261]*/, v7 offset0:109 offset1:110
	ds_load_2addr_b64 v[6:9] /*v[262:265]*/, v7 offset0:111 offset1:112
	;; [unrolled: 1-line block ×17, first 2 shown]
	ds_load_b64 v[74:75] /*v[330:331]*/, v7 offset:920
	s_wait_dscnt 0x14
	v_dual_mov_b32 v76 /*v332*/, v249 :: v_dual_mov_b32 v77 /*v333*/, v248
	s_wait_dscnt 0x11
	s_set_vgpr_msb 0x41                     ;  msbs: dst=1 src0=1 src1=0 src2=0
	v_dual_mov_b32 v78 /*v334*/, v5 /*v261*/ :: v_dual_mov_b32 v79 /*v335*/, v4 /*v260*/
	s_wait_dscnt 0x10
	v_dual_mov_b32 v80 /*v336*/, v9 /*v265*/ :: v_dual_mov_b32 v81 /*v337*/, v8 /*v264*/
	s_wait_dscnt 0xd
	v_dual_mov_b32 v82 /*v338*/, v21 /*v277*/ :: v_dual_mov_b32 v83 /*v339*/, v20 /*v276*/
	s_mov_b32 s0, exec_lo
	s_wait_loadcnt 0x1b
	s_set_vgpr_msb 0                        ;  msbs: dst=0 src0=0 src1=0 src2=0
	v_dual_mul_f32 v9, v222, v119 :: v_dual_mul_f32 v95, v223, v119
	v_dual_mul_f32 v97, v225, v121 :: v_dual_mul_f32 v11, v224, v121
	s_wait_loadcnt 0x1a
	v_mul_f32_e32 v13, v226, v123
	s_wait_loadcnt 0x18
	v_dual_mul_f32 v107, v235, v131 :: v_dual_fma_f32 v95, v222, v118, -v95
	v_dual_fmac_f32 v9, v223, v118 :: v_dual_mul_f32 v109, v237, v133
	v_dual_mul_f32 v99, v227, v123 :: v_dual_mul_f32 v101, v229, v125
	v_dual_fmac_f32 v11, v225, v120 :: v_dual_fma_f32 v97, v224, v120, -v97
	s_delay_alu instid0(VALU_DEP_3) | instskip(SKIP_3) | instid1(VALU_DEP_3)
	v_dual_add_f32 v9, 0, v9 :: v_dual_add_f32 v95, 0, v95
	v_dual_mul_f32 v15, v228, v125 :: v_dual_mul_f32 v17, v230, v127
	s_wait_loadcnt 0x17
	v_dual_mul_f32 v111, v239, v135 :: v_dual_fma_f32 v99, v226, v122, -v99
	v_dual_fmac_f32 v13, v227, v122 :: v_dual_add_f32 v9, v9, v11
	s_delay_alu instid0(VALU_DEP_3) | instskip(SKIP_2) | instid1(VALU_DEP_3)
	v_dual_add_f32 v11, v95, v97 :: v_dual_fmac_f32 v15, v229, v124
	v_dual_mul_f32 v103, v231, v127 :: v_dual_mul_f32 v105, v233, v129
	v_dual_mul_f32 v95, v241, v137 :: v_dual_fma_f32 v97, v228, v124, -v101
	v_dual_add_f32 v9, v9, v13 :: v_dual_add_f32 v11, v11, v99
	v_dual_mul_f32 v19, v232, v129 :: v_dual_mul_f32 v21, v234, v131
	s_wait_loadcnt 0x16
	v_dual_mul_f32 v13, v243, v139 :: v_dual_fma_f32 v99, v230, v126, -v103
	s_delay_alu instid0(VALU_DEP_3) | instskip(NEXT) | instid1(VALU_DEP_3)
	v_dual_fmac_f32 v17, v231, v126 :: v_dual_add_f32 v9, v9, v15
	v_dual_add_f32 v11, v11, v97 :: v_dual_fmac_f32 v19, v233, v128
	v_dual_mul_f32 v15, v245, v141 :: v_dual_fma_f32 v97, v232, v128, -v105
	s_delay_alu instid0(VALU_DEP_2) | instskip(SKIP_3) | instid1(VALU_DEP_3)
	v_dual_add_f32 v9, v9, v17 :: v_dual_add_f32 v11, v11, v99
	v_dual_mul_f32 v23, v236, v133 :: v_dual_mul_f32 v25, v238, v135
	s_wait_loadcnt 0x15
	v_dual_mul_f32 v17, v251, v143 :: v_dual_fma_f32 v99, v234, v130, -v107
	v_dual_fmac_f32 v21, v235, v130 :: v_dual_add_f32 v9, v9, v19
	s_delay_alu instid0(VALU_DEP_3) | instskip(SKIP_1) | instid1(VALU_DEP_2)
	v_dual_add_f32 v11, v11, v97 :: v_dual_fmac_f32 v23, v237, v132
	v_dual_mul_f32 v19, v253, v145 :: v_dual_fma_f32 v97, v236, v132, -v109
	v_dual_add_f32 v9, v9, v21 :: v_dual_add_f32 v11, v11, v99
	v_dual_mul_f32 v27, v240, v137 :: v_dual_mul_f32 v29, v242, v139
	s_wait_loadcnt 0x14
	v_dual_mul_f32 v21, v255, v147 :: v_dual_fma_f32 v99, v238, v134, -v111
	s_delay_alu instid0(VALU_DEP_3) | instskip(NEXT) | instid1(VALU_DEP_3)
	v_dual_fmac_f32 v25, v239, v134 :: v_dual_add_f32 v9, v9, v23
	v_dual_add_f32 v11, v11, v97 :: v_dual_fmac_f32 v27, v241, v136
	v_fma_f32 v95, v240, v136, -v95
	v_dual_mul_f32 v31, v244, v141 :: v_dual_mul_f32 v33, v250, v143
	s_delay_alu instid0(VALU_DEP_3) | instskip(SKIP_1) | instid1(VALU_DEP_3)
	v_dual_add_f32 v9, v9, v25 :: v_dual_add_f32 v11, v11, v99
	v_fma_f32 v13, v242, v138, -v13
	v_dual_fmac_f32 v29, v243, v138 :: v_dual_fmac_f32 v31, v245, v140
	s_delay_alu instid0(VALU_DEP_3) | instskip(NEXT) | instid1(VALU_DEP_4)
	v_add_f32_e32 v9, v9, v27
	v_dual_add_f32 v11, v11, v95 :: v_dual_fma_f32 v15, v244, v140, -v15
	v_dual_mul_f32 v35, v252, v145 :: v_dual_mul_f32 v37, v254, v147
	s_delay_alu instid0(VALU_DEP_3) | instskip(NEXT) | instid1(VALU_DEP_3)
	v_add_f32_e32 v9, v9, v29
	v_dual_add_f32 v11, v11, v13 :: v_dual_fma_f32 v17, v250, v142, -v17
	s_delay_alu instid0(VALU_DEP_3) | instskip(NEXT) | instid1(VALU_DEP_3)
	v_dual_fmac_f32 v33, v251, v142 :: v_dual_fmac_f32 v35, v253, v144
	v_add_f32_e32 v9, v9, v31
	s_delay_alu instid0(VALU_DEP_3)
	v_dual_add_f32 v11, v11, v15 :: v_dual_fma_f32 v19, v252, v144, -v19
	s_wait_loadcnt 0x13
	s_set_vgpr_msb 1                        ;  msbs: dst=0 src0=1 src1=0 src2=0
	v_dual_mul_f32 v39, v0 /*v256*/, v149 :: v_dual_mul_f32 v41, v10 /*v266*/, v151
	s_set_vgpr_msb 0                        ;  msbs: dst=0 src0=0 src1=0 src2=0
	v_add_f32_e32 v9, v9, v33
	v_dual_add_f32 v11, v11, v17 :: v_dual_fma_f32 v21, v254, v146, -v21
	s_set_vgpr_msb 1                        ;  msbs: dst=0 src0=1 src1=0 src2=0
	v_dual_mul_f32 v23, v1 /*v257*/, v149 :: v_dual_mul_f32 v25, v11 /*v267*/, v151
	s_set_vgpr_msb 0                        ;  msbs: dst=0 src0=0 src1=0 src2=0
	v_dual_fmac_f32 v37, v255, v146 :: v_dual_add_f32 v9, v9, v35
	v_add_f32_e32 v11, v11, v19
	s_wait_loadcnt_dscnt 0x110c
	s_set_vgpr_msb 1                        ;  msbs: dst=0 src0=1 src1=0 src2=0
	v_dual_mul_f32 v19, v25 /*v281*/, v161 :: v_dual_fma_f32 v23, v0 /*v256*/, v148, -v23
	v_fmac_f32_e32 v39, v1 /*v257*/, v148
	s_set_vgpr_msb 0                        ;  msbs: dst=0 src0=0 src1=0 src2=0
	v_add_f32_e32 v9, v9, v37
	v_add_f32_e32 v11, v11, v21
	s_set_vgpr_msb 1                        ;  msbs: dst=0 src0=1 src1=0 src2=0
	v_dual_mul_f32 v43, v12 /*v268*/, v153 :: v_dual_mul_f32 v45, v14 /*v270*/, v155
	v_dual_mul_f32 v27, v13 /*v269*/, v153 :: v_dual_mul_f32 v13, v15 /*v271*/, v155
	s_wait_loadcnt_dscnt 0x100b
	v_mul_f32_e32 v21, v27 /*v283*/, v163
	v_fmac_f32_e32 v41, v11 /*v267*/, v150
	v_dual_fma_f32 v25, v10 /*v266*/, v150, -v25 :: v_dual_fmac_f32 v43, v13 /*v269*/, v152
	s_set_vgpr_msb 0                        ;  msbs: dst=0 src0=0 src1=0 src2=0
	v_add_f32_e32 v9, v9, v39
	v_add_f32_e32 v11, v11, v23
	s_set_vgpr_msb 1                        ;  msbs: dst=0 src0=1 src1=0 src2=0
	v_dual_mul_f32 v23, v29 /*v285*/, v165 :: v_dual_fma_f32 v27, v12 /*v268*/, v152, -v27
	v_dual_mul_f32 v47, v16 /*v272*/, v157 :: v_dual_mul_f32 v49, v22 /*v278*/, v159
	s_set_vgpr_msb 0                        ;  msbs: dst=0 src0=0 src1=0 src2=0
	v_add_f32_e32 v9, v9, v41
	v_add_f32_e32 v11, v11, v25
	s_set_vgpr_msb 1                        ;  msbs: dst=0 src0=1 src1=0 src2=0
	v_dual_mul_f32 v15, v17 /*v273*/, v157 :: v_dual_mul_f32 v17, v23 /*v279*/, v159
	s_wait_loadcnt_dscnt 0xf0a
	v_mul_f32_e32 v25, v31 /*v287*/, v167
	v_fmac_f32_e32 v45, v15 /*v271*/, v154
	v_dual_fma_f32 v13, v14 /*v270*/, v154, -v13 :: v_dual_fmac_f32 v47, v17 /*v273*/, v156
	s_set_vgpr_msb 0                        ;  msbs: dst=0 src0=0 src1=0 src2=0
	v_add_f32_e32 v9, v9, v43
	v_add_f32_e32 v11, v11, v27
	s_set_vgpr_msb 1                        ;  msbs: dst=0 src0=1 src1=0 src2=0
	v_dual_mul_f32 v27, v33 /*v289*/, v169 :: v_dual_fma_f32 v15, v16 /*v272*/, v156, -v15
	v_dual_mul_f32 v51, v24 /*v280*/, v161 :: v_dual_mul_f32 v53, v26 /*v282*/, v163
	s_set_vgpr_msb 0                        ;  msbs: dst=0 src0=0 src1=0 src2=0
	v_add_f32_e32 v9, v9, v45
	v_add_f32_e32 v11, v11, v13
	s_wait_loadcnt_dscnt 0xe09
	s_set_vgpr_msb 1                        ;  msbs: dst=0 src0=1 src1=0 src2=0
	v_mul_f32_e32 v13, v35 /*v291*/, v171
	v_fmac_f32_e32 v49, v23 /*v279*/, v158
	v_dual_fma_f32 v17, v22 /*v278*/, v158, -v17 :: v_dual_fmac_f32 v51, v25 /*v281*/, v160
	s_set_vgpr_msb 0                        ;  msbs: dst=0 src0=0 src1=0 src2=0
	v_add_f32_e32 v9, v9, v47
	v_add_f32_e32 v11, v11, v15
	s_set_vgpr_msb 1                        ;  msbs: dst=0 src0=1 src1=0 src2=0
	v_dual_mul_f32 v15, v37 /*v293*/, v173 :: v_dual_fma_f32 v19, v24 /*v280*/, v160, -v19
	v_dual_mul_f32 v55, v28 /*v284*/, v165 :: v_dual_mul_f32 v57, v30 /*v286*/, v167
	s_set_vgpr_msb 0                        ;  msbs: dst=0 src0=0 src1=0 src2=0
	v_add_f32_e32 v9, v9, v49
	v_add_f32_e32 v11, v11, v17
	s_wait_loadcnt_dscnt 0xd08
	s_set_vgpr_msb 1                        ;  msbs: dst=0 src0=1 src1=0 src2=0
	;; [unrolled: 14-line block ×9, first 2 shown]
	v_mul_f32_e32 v13, v67 /*v323*/, v203
	v_fmac_f32_e32 v81, v55 /*v311*/, v190
	v_dual_fma_f32 v17, v54 /*v310*/, v190, -v17 :: v_dual_fmac_f32 v83, v57 /*v313*/, v192
	s_set_vgpr_msb 0                        ;  msbs: dst=0 src0=0 src1=0 src2=0
	v_add_f32_e32 v9, v9, v79
	v_add_f32_e32 v11, v11, v15
	s_set_vgpr_msb 1                        ;  msbs: dst=0 src0=1 src1=0 src2=0
	v_dual_mul_f32 v15, v69 /*v325*/, v205 :: v_dual_fma_f32 v19, v56 /*v312*/, v192, -v19
	v_fmac_f32_e32 v85, v59 /*v315*/, v194
	s_set_vgpr_msb 0                        ;  msbs: dst=0 src0=0 src1=0 src2=0
	v_add_f32_e32 v9, v9, v81
	v_add_f32_e32 v11, v11, v17
	s_set_vgpr_msb 1                        ;  msbs: dst=0 src0=1 src1=0 src2=0
	v_dual_mul_f32 v87, v60 /*v316*/, v197 :: v_dual_mul_f32 v89, v62 /*v318*/, v199
	v_fma_f32 v21, v58 /*v314*/, v194, -v21
	s_set_vgpr_msb 0                        ;  msbs: dst=0 src0=0 src1=0 src2=0
	v_add_f32_e32 v9, v9, v83
	v_add_f32_e32 v11, v11, v19
	s_set_vgpr_msb 1                        ;  msbs: dst=0 src0=1 src1=0 src2=0
	v_fmac_f32_e32 v87, v61 /*v317*/, v196
	v_dual_fma_f32 v19, v60 /*v316*/, v196, -v23 :: v_dual_fmac_f32 v89, v63 /*v319*/, v198
	s_set_vgpr_msb 0                        ;  msbs: dst=0 src0=0 src1=0 src2=0
	v_add_f32_e32 v9, v9, v85
	v_add_f32_e32 v11, v11, v21
	s_set_vgpr_msb 1                        ;  msbs: dst=0 src0=1 src1=0 src2=0
	v_dual_mul_f32 v91, v64 /*v320*/, v201 :: v_dual_mul_f32 v93, v66 /*v322*/, v203
	v_fma_f32 v21, v62 /*v318*/, v198, -v25
	s_set_vgpr_msb 0                        ;  msbs: dst=0 src0=0 src1=0 src2=0
	v_add_f32_e32 v9, v9, v87
	s_wait_loadcnt 0x4
	v_dual_add_f32 v11, v11, v19 :: v_dual_mov_b32 v122, v213
	v_dual_mul_f32 v17, v247, v207 :: v_dual_mov_b32 v118, v209
	s_set_vgpr_msb 1                        ;  msbs: dst=0 src0=1 src1=0 src2=0
	v_fmac_f32_e32 v91, v65 /*v321*/, v200
	v_dual_fma_f32 v19, v64 /*v320*/, v200, -v27 :: v_dual_fmac_f32 v93, v67 /*v323*/, v202
	s_set_vgpr_msb 0                        ;  msbs: dst=0 src0=0 src1=0 src2=0
	v_add_f32_e32 v11, v11, v21
	v_add_f32_e32 v9, v9, v89
	s_set_vgpr_msb 0x41                     ;  msbs: dst=1 src0=1 src1=0 src2=0
	v_dual_mul_f32 v85 /*v341*/, v68 /*v324*/, v205 :: v_dual_fma_f32 v84 /*v340*/, v68 /*v324*/, v204, -v15
	s_set_vgpr_msb 1                        ;  msbs: dst=0 src0=1 src1=0 src2=0
	v_fma_f32 v13, v66 /*v322*/, v202, -v13
	s_set_vgpr_msb 0                        ;  msbs: dst=0 src0=0 src1=0 src2=0
	v_add_f32_e32 v11, v11, v19
	v_add_f32_e32 v9, v9, v91
	s_set_vgpr_msb 1                        ;  msbs: dst=0 src0=1 src1=0 src2=0
	v_pk_mul_f32 v[118:119], v[76:77] /*v[332:333]*/, v[118:119] op_sel_hi:[1,0]
	s_set_vgpr_msb 64                       ;  msbs: dst=1 src0=0 src1=0 src2=0
	v_dual_mul_f32 v87 /*v343*/, v246, v207 :: v_dual_fma_f32 v86 /*v342*/, v246, v206, -v17
	s_set_vgpr_msb 0x41                     ;  msbs: dst=1 src0=1 src1=0 src2=0
	v_fmac_f32_e32 v85 /*v341*/, v69 /*v325*/, v204
	s_wait_loadcnt 0x3
	s_set_vgpr_msb 0                        ;  msbs: dst=0 src0=0 src1=0 src2=0
	v_dual_add_f32 v126, v11, v13 :: v_dual_mov_b32 v128, v217
	v_pk_fma_f32 v[130:131], v[248:249], v[208:209], v[118:119] op_sel_hi:[1,0,1]
	v_add_f32_e32 v127, v9, v93
	v_pk_fma_f32 v[118:119], v[248:249], v[208:209], v[118:119] neg_lo:[0,0,1] neg_hi:[0,0,1]
	s_set_vgpr_msb 1                        ;  msbs: dst=0 src0=1 src1=0 src2=0
	v_pk_mul_f32 v[120:121], v[2:3] /*v[258:259]*/, v[210:211] op_sel:[1,1] op_sel_hi:[0,1]
	s_set_vgpr_msb 64                       ;  msbs: dst=1 src0=0 src1=0 src2=0
	v_fmac_f32_e32 v87 /*v343*/, v247, v206
	s_set_vgpr_msb 4                        ;  msbs: dst=0 src0=0 src1=1 src2=0
	v_mov_b32_e32 v119, v131
	v_pk_add_f32 v[126:127], v[126:127], v[84:85] /*v[340:341]*/
	s_set_vgpr_msb 1                        ;  msbs: dst=0 src0=1 src1=0 src2=0
	v_pk_mul_f32 v[122:123], v[78:79] /*v[334:335]*/, v[122:123] op_sel_hi:[1,0]
	v_pk_fma_f32 v[132:133], v[2:3] /*v[258:259]*/, v[210:211], v[120:121] op_sel_hi:[1,0,1]
	v_pk_fma_f32 v[120:121], v[2:3] /*v[258:259]*/, v[210:211], v[120:121] neg_lo:[0,0,1] neg_hi:[0,0,1]
	v_pk_mul_f32 v[124:125], v[6:7] /*v[262:263]*/, v[214:215] op_sel:[1,1] op_sel_hi:[0,1]
	s_set_vgpr_msb 4                        ;  msbs: dst=0 src0=0 src1=1 src2=0
	v_pk_add_f32 v[126:127], v[126:127], v[86:87] /*v[342:343]*/
	s_set_vgpr_msb 1                        ;  msbs: dst=0 src0=1 src1=0 src2=0
	v_pk_mul_f32 v[128:129], v[80:81] /*v[336:337]*/, v[128:129] op_sel_hi:[1,0]
	s_set_vgpr_msb 0                        ;  msbs: dst=0 src0=0 src1=0 src2=0
	v_mov_b32_e32 v121, v133
	s_set_vgpr_msb 1                        ;  msbs: dst=0 src0=1 src1=0 src2=0
	v_pk_fma_f32 v[132:133], v[4:5] /*v[260:261]*/, v[212:213], v[122:123] op_sel_hi:[1,0,1]
	v_pk_fma_f32 v[122:123], v[4:5] /*v[260:261]*/, v[212:213], v[122:123] neg_lo:[0,0,1] neg_hi:[0,0,1]
	s_set_vgpr_msb 0                        ;  msbs: dst=0 src0=0 src1=0 src2=0
	v_pk_add_f32 v[118:119], v[126:127], v[118:119]
	s_set_vgpr_msb 1                        ;  msbs: dst=0 src0=1 src1=0 src2=0
	v_pk_fma_f32 v[126:127], v[6:7] /*v[262:263]*/, v[214:215], v[124:125] op_sel_hi:[1,0,1]
	v_pk_fma_f32 v[124:125], v[6:7] /*v[262:263]*/, v[214:215], v[124:125] neg_lo:[0,0,1] neg_hi:[0,0,1]
	s_set_vgpr_msb 0                        ;  msbs: dst=0 src0=0 src1=0 src2=0
	v_mov_b32_e32 v123, v133
	s_wait_loadcnt 0x2
	s_set_vgpr_msb 1                        ;  msbs: dst=0 src0=1 src1=0 src2=0
	v_pk_mul_f32 v[130:131], v[18:19] /*v[274:275]*/, v[218:219] op_sel:[1,1] op_sel_hi:[0,1]
	s_set_vgpr_msb 0                        ;  msbs: dst=0 src0=0 src1=0 src2=0
	v_pk_add_f32 v[118:119], v[118:119], v[120:121]
	v_dual_mov_b32 v120, v221 :: v_dual_mov_b32 v125, v127
	s_set_vgpr_msb 1                        ;  msbs: dst=0 src0=1 src1=0 src2=0
	v_pk_fma_f32 v[126:127], v[8:9] /*v[264:265]*/, v[216:217], v[128:129] op_sel_hi:[1,0,1]
	v_pk_fma_f32 v[128:129], v[8:9] /*v[264:265]*/, v[216:217], v[128:129] neg_lo:[0,0,1] neg_hi:[0,0,1]
	s_set_vgpr_msb 0                        ;  msbs: dst=0 src0=0 src1=0 src2=0
	v_pk_add_f32 v[118:119], v[118:119], v[122:123]
	s_set_vgpr_msb 1                        ;  msbs: dst=0 src0=1 src1=0 src2=0
	v_pk_fma_f32 v[122:123], v[18:19] /*v[274:275]*/, v[218:219], v[130:131] op_sel_hi:[1,0,1]
	v_pk_mul_f32 v[120:121], v[82:83] /*v[338:339]*/, v[120:121] op_sel_hi:[1,0]
	s_set_vgpr_msb 0                        ;  msbs: dst=0 src0=0 src1=0 src2=0
	v_mov_b32_e32 v129, v127
	s_wait_loadcnt_dscnt 0x100
	s_set_vgpr_msb 5                        ;  msbs: dst=0 src0=1 src1=1 src2=0
	v_pk_mul_f32 v[126:127], v[74:75] /*v[330:331]*/, v[70:71] /*v[326:327]*/ op_sel:[1,1] op_sel_hi:[0,1]
	s_set_vgpr_msb 0                        ;  msbs: dst=0 src0=0 src1=0 src2=0
	v_pk_add_f32 v[118:119], v[118:119], v[124:125]
	s_set_vgpr_msb 1                        ;  msbs: dst=0 src0=1 src1=0 src2=0
	v_pk_fma_f32 v[124:125], v[18:19] /*v[274:275]*/, v[218:219], v[130:131] neg_lo:[0,0,1] neg_hi:[0,0,1]
	s_set_vgpr_msb 0                        ;  msbs: dst=0 src0=0 src1=0 src2=0
	v_mov_b32_e32 v125, v123
	s_set_vgpr_msb 1                        ;  msbs: dst=0 src0=1 src1=0 src2=0
	v_pk_fma_f32 v[122:123], v[20:21] /*v[276:277]*/, v[220:221], v[120:121] op_sel_hi:[1,0,1]
	v_pk_fma_f32 v[120:121], v[20:21] /*v[276:277]*/, v[220:221], v[120:121] neg_lo:[0,0,1] neg_hi:[0,0,1]
	s_set_vgpr_msb 0                        ;  msbs: dst=0 src0=0 src1=0 src2=0
	v_pk_add_f32 v[118:119], v[118:119], v[128:129]
	s_delay_alu instid0(VALU_DEP_3)
	v_mov_b32_e32 v121, v123
	s_set_vgpr_msb 5                        ;  msbs: dst=0 src0=1 src1=1 src2=0
	v_pk_fma_f32 v[122:123], v[74:75] /*v[330:331]*/, v[70:71] /*v[326:327]*/, v[126:127] op_sel_hi:[1,0,1]
	s_set_vgpr_msb 0                        ;  msbs: dst=0 src0=0 src1=0 src2=0
	v_pk_add_f32 v[118:119], v[118:119], v[124:125]
	s_set_vgpr_msb 5                        ;  msbs: dst=0 src0=1 src1=1 src2=0
	v_pk_fma_f32 v[124:125], v[74:75] /*v[330:331]*/, v[70:71] /*v[326:327]*/, v[126:127] neg_lo:[0,0,1] neg_hi:[0,0,1]
	s_set_vgpr_msb 0                        ;  msbs: dst=0 src0=0 src1=0 src2=0
	v_mov_b32_e32 v125, v123
	v_pk_add_f32 v[118:119], v[118:119], v[120:121]
	s_delay_alu instid0(VALU_DEP_1) | instskip(SKIP_2) | instid1(VALU_DEP_1)
	v_pk_add_f32 v[118:119], v[118:119], v[124:125]
	s_wait_loadcnt 0x0
	s_set_vgpr_msb 1                        ;  msbs: dst=0 src0=1 src1=0 src2=0
	v_pk_add_f32 v[118:119], v[72:73] /*v[328:329]*/, v[118:119] neg_lo:[0,1] neg_hi:[0,1]
	scratch_store_b64 off, v[118:119], off offset:32
	s_wait_xcnt 0x0
	v_cmpx_lt_u32_e32 3, v0
	s_set_vgpr_msb 0                        ;  msbs: dst=0 src0=0 src1=0 src2=0
	s_cbranch_execz .LBB57_355
; %bb.354:
	scratch_load_b64 v[118:119], off, off offset:24
	v_mov_b64_e32 v[120:121], 0
	scratch_store_b64 off, v[120:121], off offset:24
	s_wait_loadcnt 0x0
	ds_store_b64 v1, v[118:119]
.LBB57_355:
	s_wait_xcnt 0x0
	s_or_b32 exec_lo, exec_lo, s0
	s_wait_storecnt_dscnt 0x0
	s_barrier_signal -1
	s_barrier_wait -1
	s_clause 0x19
	scratch_load_b128 v[118:121], off, off offset:32
	scratch_load_b128 v[122:125], off, off offset:48
	;; [unrolled: 1-line block ×26, first 2 shown]
	ds_load_b128 v[222:225], v7 offset:496
	ds_load_b128 v[226:229], v7 offset:512
	;; [unrolled: 1-line block ×9, first 2 shown]
	s_set_vgpr_msb 64                       ;  msbs: dst=1 src0=0 src1=0 src2=0
	ds_load_b128 v[2:5] /*v[258:261]*/, v7 offset:864
	ds_load_b128 v[6:9] /*v[262:265]*/, v7 offset:880
	;; [unrolled: 1-line block ×5, first 2 shown]
	scratch_load_b128 v[22:25] /*v[278:281]*/, off, off offset:448
	ds_load_b128 v[26:29] /*v[282:285]*/, v7 offset:912
	ds_load_b128 v[30:33] /*v[286:289]*/, v7 offset:656
	;; [unrolled: 1-line block ×13, first 2 shown]
	scratch_load_b64 v[78:79] /*v[334:335]*/, off, off offset:24
	s_mov_b32 s0, exec_lo
	s_wait_dscnt 0xc
	s_set_vgpr_msb 0x41                     ;  msbs: dst=1 src0=1 src1=0 src2=0
	v_dual_mov_b32 v86 /*v342*/, v29 /*v285*/ :: v_dual_mov_b32 v87 /*v343*/, v28 /*v284*/
	v_dual_mov_b32 v80 /*v336*/, v5 /*v261*/ :: v_dual_mov_b32 v81 /*v337*/, v4 /*v260*/
	;; [unrolled: 1-line block ×4, first 2 shown]
	s_wait_loadcnt 0x1b
	s_set_vgpr_msb 0                        ;  msbs: dst=0 src0=0 src1=0 src2=0
	v_dual_mul_f32 v7, v222, v119 :: v_dual_mul_f32 v9, v224, v121
	v_dual_mul_f32 v95, v223, v119 :: v_dual_mul_f32 v97, v225, v121
	s_wait_loadcnt 0x1a
	v_dual_mul_f32 v11, v226, v123 :: v_dual_mul_f32 v13, v228, v125
	s_delay_alu instid0(VALU_DEP_3) | instskip(SKIP_3) | instid1(VALU_DEP_3)
	v_dual_fmac_f32 v7, v223, v118 :: v_dual_fmac_f32 v9, v225, v120
	s_wait_loadcnt 0x18
	v_dual_fma_f32 v95, v222, v118, -v95 :: v_dual_mul_f32 v107, v235, v131
	v_dual_mul_f32 v99, v227, v123 :: v_dual_mul_f32 v101, v229, v125
	v_dual_fma_f32 v97, v224, v120, -v97 :: v_dual_add_f32 v7, 0, v7
	s_delay_alu instid0(VALU_DEP_3) | instskip(SKIP_1) | instid1(VALU_DEP_3)
	v_dual_add_f32 v95, 0, v95 :: v_dual_mul_f32 v109, v237, v133
	v_dual_fmac_f32 v11, v227, v122 :: v_dual_fmac_f32 v13, v229, v124
	v_dual_fma_f32 v99, v226, v122, -v99 :: v_dual_add_f32 v7, v7, v9
	s_delay_alu instid0(VALU_DEP_3) | instskip(SKIP_2) | instid1(VALU_DEP_4)
	v_dual_add_f32 v9, v95, v97 :: v_dual_fma_f32 v97, v228, v124, -v101
	v_dual_mul_f32 v15, v230, v127 :: v_dual_mul_f32 v17, v232, v129
	v_dual_mul_f32 v103, v231, v127 :: v_dual_mul_f32 v105, v233, v129
	v_add_f32_e32 v7, v7, v11
	s_delay_alu instid0(VALU_DEP_3) | instskip(NEXT) | instid1(VALU_DEP_3)
	v_dual_add_f32 v9, v9, v99 :: v_dual_fmac_f32 v15, v231, v126
	v_fma_f32 v99, v230, v126, -v103
	v_dual_mul_f32 v19, v234, v131 :: v_dual_mul_f32 v21, v236, v133
	s_delay_alu instid0(VALU_DEP_4) | instskip(SKIP_2) | instid1(VALU_DEP_2)
	v_dual_add_f32 v7, v7, v13 :: v_dual_fmac_f32 v17, v233, v128
	s_wait_loadcnt 0x16
	v_dual_add_f32 v9, v9, v97 :: v_dual_mul_f32 v13, v243, v139
	v_dual_fma_f32 v97, v232, v128, -v105 :: v_dual_add_f32 v7, v7, v15
	v_mul_f32_e32 v15, v245, v141
	s_delay_alu instid0(VALU_DEP_3) | instskip(NEXT) | instid1(VALU_DEP_3)
	v_dual_add_f32 v9, v9, v99 :: v_dual_fmac_f32 v19, v235, v130
	v_dual_fma_f32 v99, v234, v130, -v107 :: v_dual_add_f32 v7, v7, v17
	v_fmac_f32_e32 v21, v237, v132
	s_wait_loadcnt 0x15
	s_delay_alu instid0(VALU_DEP_3) | instskip(SKIP_3) | instid1(VALU_DEP_3)
	v_dual_add_f32 v9, v9, v97 :: v_dual_mul_f32 v17, v247, v143
	v_dual_mul_f32 v23, v238, v135 :: v_dual_mul_f32 v25, v240, v137
	v_dual_mul_f32 v95, v239, v135 :: v_dual_mul_f32 v11, v241, v137
	v_dual_fma_f32 v97, v236, v132, -v109 :: v_dual_add_f32 v7, v7, v19
	v_dual_add_f32 v9, v9, v99 :: v_dual_fmac_f32 v23, v239, v134
	s_delay_alu instid0(VALU_DEP_3) | instskip(NEXT) | instid1(VALU_DEP_3)
	v_dual_mul_f32 v19, v249, v145 :: v_dual_fma_f32 v95, v238, v134, -v95
	v_dual_add_f32 v7, v7, v21 :: v_dual_fmac_f32 v25, v241, v136
	s_wait_loadcnt 0x14
	s_delay_alu instid0(VALU_DEP_3) | instskip(SKIP_1) | instid1(VALU_DEP_3)
	v_dual_add_f32 v9, v9, v97 :: v_dual_mul_f32 v21, v251, v147
	v_dual_mul_f32 v27, v242, v139 :: v_dual_mul_f32 v29, v244, v141
	v_dual_fma_f32 v11, v240, v136, -v11 :: v_dual_add_f32 v7, v7, v23
	s_delay_alu instid0(VALU_DEP_2) | instskip(SKIP_1) | instid1(VALU_DEP_2)
	v_dual_add_f32 v9, v9, v95 :: v_dual_fmac_f32 v27, v243, v138
	v_dual_mul_f32 v23, v253, v149 :: v_dual_fma_f32 v13, v242, v138, -v13
	v_dual_add_f32 v7, v7, v25 :: v_dual_add_f32 v9, v9, v11
	v_dual_mul_f32 v31, v246, v143 :: v_dual_mul_f32 v33, v248, v145
	v_dual_fmac_f32 v29, v245, v140 :: v_dual_fma_f32 v15, v244, v140, -v15
	s_delay_alu instid0(VALU_DEP_3) | instskip(NEXT) | instid1(VALU_DEP_3)
	v_dual_add_f32 v7, v7, v27 :: v_dual_add_f32 v9, v9, v13
	v_dual_fmac_f32 v31, v247, v142 :: v_dual_fma_f32 v17, v246, v142, -v17
	v_dual_mul_f32 v35, v250, v147 :: v_dual_mul_f32 v37, v252, v149
	s_delay_alu instid0(VALU_DEP_3) | instskip(SKIP_1) | instid1(VALU_DEP_3)
	v_dual_add_f32 v7, v7, v29 :: v_dual_add_f32 v9, v9, v15
	v_dual_fmac_f32 v33, v249, v144 :: v_dual_fma_f32 v19, v248, v144, -v19
	v_dual_fmac_f32 v35, v251, v146 :: v_dual_fma_f32 v21, v250, v146, -v21
	s_delay_alu instid0(VALU_DEP_3)
	v_dual_add_f32 v7, v7, v31 :: v_dual_add_f32 v9, v9, v17
	s_wait_loadcnt 0x13
	s_set_vgpr_msb 1                        ;  msbs: dst=0 src0=1 src1=0 src2=0
	v_dual_mul_f32 v11, v11 /*v267*/, v151 :: v_dual_mul_f32 v13, v13 /*v269*/, v153
	s_set_vgpr_msb 0                        ;  msbs: dst=0 src0=0 src1=0 src2=0
	v_dual_fmac_f32 v37, v253, v148 :: v_dual_fma_f32 v23, v252, v148, -v23
	v_dual_add_f32 v7, v7, v33 :: v_dual_add_f32 v9, v9, v19
	s_set_vgpr_msb 1                        ;  msbs: dst=0 src0=1 src1=0 src2=0
	v_dual_mul_f32 v39, v10 /*v266*/, v151 :: v_dual_mul_f32 v41, v12 /*v268*/, v153
	v_fma_f32 v11, v10 /*v266*/, v150, -v11
	s_set_vgpr_msb 0                        ;  msbs: dst=0 src0=0 src1=0 src2=0
	v_dual_add_f32 v7, v7, v35 :: v_dual_add_f32 v9, v9, v21
	s_wait_loadcnt 0x12
	s_set_vgpr_msb 1                        ;  msbs: dst=0 src0=1 src1=0 src2=0
	v_dual_mul_f32 v15, v15 /*v271*/, v155 :: v_dual_mul_f32 v17, v17 /*v273*/, v157
	v_dual_fmac_f32 v39, v11 /*v267*/, v150 :: v_dual_fmac_f32 v41, v13 /*v269*/, v152
	s_set_vgpr_msb 0                        ;  msbs: dst=0 src0=0 src1=0 src2=0
	v_dual_add_f32 v7, v7, v37 :: v_dual_add_f32 v9, v9, v23
	s_wait_loadcnt_dscnt 0x100a
	s_set_vgpr_msb 1                        ;  msbs: dst=0 src0=1 src1=0 src2=0
	v_dual_mul_f32 v23, v35 /*v291*/, v163 :: v_dual_fma_f32 v13, v12 /*v268*/, v152, -v13
	v_dual_mul_f32 v43, v14 /*v270*/, v155 :: v_dual_mul_f32 v45, v16 /*v272*/, v157
	s_set_vgpr_msb 0                        ;  msbs: dst=0 src0=0 src1=0 src2=0
	v_add_f32_e32 v9, v9, v11
	s_set_vgpr_msb 1                        ;  msbs: dst=0 src0=1 src1=0 src2=0
	v_mul_f32_e32 v11, v37 /*v293*/, v165
	s_set_vgpr_msb 0                        ;  msbs: dst=0 src0=0 src1=0 src2=0
	v_add_f32_e32 v7, v7, v39
	s_set_vgpr_msb 1                        ;  msbs: dst=0 src0=1 src1=0 src2=0
	v_dual_fma_f32 v15, v14 /*v270*/, v154, -v15 :: v_dual_mul_f32 v19, v31 /*v287*/, v159
	v_mul_f32_e32 v21, v33 /*v289*/, v161
	s_set_vgpr_msb 0                        ;  msbs: dst=0 src0=0 src1=0 src2=0
	v_add_f32_e32 v9, v9, v13
	s_set_vgpr_msb 1                        ;  msbs: dst=0 src0=1 src1=0 src2=0
	v_dual_fmac_f32 v43, v15 /*v271*/, v154 :: v_dual_fmac_f32 v45, v17 /*v273*/, v156
	s_set_vgpr_msb 0                        ;  msbs: dst=0 src0=0 src1=0 src2=0
	v_add_f32_e32 v7, v7, v41
	s_wait_loadcnt_dscnt 0xf09
	s_set_vgpr_msb 1                        ;  msbs: dst=0 src0=1 src1=0 src2=0
	v_dual_mul_f32 v13, v39 /*v295*/, v167 :: v_dual_fma_f32 v17, v16 /*v272*/, v156, -v17
	s_set_vgpr_msb 0                        ;  msbs: dst=0 src0=0 src1=0 src2=0
	v_add_f32_e32 v9, v9, v15
	s_set_vgpr_msb 1                        ;  msbs: dst=0 src0=1 src1=0 src2=0
	v_dual_mul_f32 v47, v30 /*v286*/, v159 :: v_dual_mul_f32 v49, v32 /*v288*/, v161
	v_mul_f32_e32 v15, v41 /*v297*/, v169
	s_set_vgpr_msb 0                        ;  msbs: dst=0 src0=0 src1=0 src2=0
	v_dual_add_f32 v7, v7, v43 :: v_dual_add_f32 v9, v9, v17
	s_wait_loadcnt_dscnt 0xe08
	s_set_vgpr_msb 1                        ;  msbs: dst=0 src0=1 src1=0 src2=0
	v_dual_fma_f32 v19, v30 /*v286*/, v158, -v19 :: v_dual_mul_f32 v17, v43 /*v299*/, v171
	v_dual_fmac_f32 v47, v31 /*v287*/, v158 :: v_dual_fmac_f32 v49, v33 /*v289*/, v160
	s_set_vgpr_msb 0                        ;  msbs: dst=0 src0=0 src1=0 src2=0
	v_add_f32_e32 v7, v7, v45
	s_set_vgpr_msb 1                        ;  msbs: dst=0 src0=1 src1=0 src2=0
	v_fma_f32 v21, v32 /*v288*/, v160, -v21
	s_set_vgpr_msb 0                        ;  msbs: dst=0 src0=0 src1=0 src2=0
	v_add_f32_e32 v9, v9, v19
	s_set_vgpr_msb 1                        ;  msbs: dst=0 src0=1 src1=0 src2=0
	v_dual_mul_f32 v51, v34 /*v290*/, v163 :: v_dual_mul_f32 v53, v36 /*v292*/, v165
	v_mul_f32_e32 v19, v45 /*v301*/, v173
	s_set_vgpr_msb 0                        ;  msbs: dst=0 src0=0 src1=0 src2=0
	v_dual_add_f32 v7, v7, v47 :: v_dual_add_f32 v9, v9, v21
	s_wait_loadcnt_dscnt 0xd07
	s_set_vgpr_msb 1                        ;  msbs: dst=0 src0=1 src1=0 src2=0
	v_dual_fma_f32 v23, v34 /*v290*/, v162, -v23 :: v_dual_mul_f32 v21, v47 /*v303*/, v175
	v_dual_mul_f32 v55, v38 /*v294*/, v167 :: v_dual_mul_f32 v57, v40 /*v296*/, v169
	v_dual_mul_f32 v59, v42 /*v298*/, v171 :: v_dual_mul_f32 v61, v44 /*v300*/, v173
	v_dual_fmac_f32 v51, v35 /*v291*/, v162 :: v_dual_fmac_f32 v53, v37 /*v293*/, v164
	v_fma_f32 v11, v36 /*v292*/, v164, -v11
	s_set_vgpr_msb 0                        ;  msbs: dst=0 src0=0 src1=0 src2=0
	v_dual_add_f32 v9, v9, v23 :: v_dual_add_f32 v7, v7, v49
	s_set_vgpr_msb 1                        ;  msbs: dst=0 src0=1 src1=0 src2=0
	v_dual_mul_f32 v23, v49 /*v305*/, v177 :: v_dual_fmac_f32 v55, v39 /*v295*/, v166
	v_fma_f32 v13, v38 /*v294*/, v166, -v13
	v_dual_fmac_f32 v57, v41 /*v297*/, v168 :: v_dual_fmac_f32 v59, v43 /*v299*/, v170
	s_set_vgpr_msb 0                        ;  msbs: dst=0 src0=0 src1=0 src2=0
	v_add_f32_e32 v9, v9, v11
	s_set_vgpr_msb 1                        ;  msbs: dst=0 src0=1 src1=0 src2=0
	v_dual_mul_f32 v63, v46 /*v302*/, v175 :: v_dual_mul_f32 v65, v48 /*v304*/, v177
	s_set_vgpr_msb 0                        ;  msbs: dst=0 src0=0 src1=0 src2=0
	v_add_f32_e32 v7, v7, v51
	s_wait_loadcnt_dscnt 0xc06
	s_set_vgpr_msb 1                        ;  msbs: dst=0 src0=1 src1=0 src2=0
	v_dual_mul_f32 v11, v51 /*v307*/, v179 :: v_dual_fma_f32 v15, v40 /*v296*/, v168, -v15
	s_set_vgpr_msb 0                        ;  msbs: dst=0 src0=0 src1=0 src2=0
	v_add_f32_e32 v9, v9, v13
	s_set_vgpr_msb 1                        ;  msbs: dst=0 src0=1 src1=0 src2=0
	v_dual_mul_f32 v13, v53 /*v309*/, v181 :: v_dual_fma_f32 v17, v42 /*v298*/, v170, -v17
	s_set_vgpr_msb 0                        ;  msbs: dst=0 src0=0 src1=0 src2=0
	v_add_f32_e32 v7, v7, v53
	s_set_vgpr_msb 1                        ;  msbs: dst=0 src0=1 src1=0 src2=0
	v_dual_fmac_f32 v61, v45 /*v301*/, v172 :: v_dual_fmac_f32 v63, v47 /*v303*/, v174
	s_set_vgpr_msb 0                        ;  msbs: dst=0 src0=0 src1=0 src2=0
	v_add_f32_e32 v9, v9, v15
	s_set_vgpr_msb 1                        ;  msbs: dst=0 src0=1 src1=0 src2=0
	v_dual_mul_f32 v67, v50 /*v306*/, v179 :: v_dual_mul_f32 v69, v52 /*v308*/, v181
	s_set_vgpr_msb 0                        ;  msbs: dst=0 src0=0 src1=0 src2=0
	v_add_f32_e32 v7, v7, v55
	s_wait_loadcnt_dscnt 0xb05
	s_set_vgpr_msb 1                        ;  msbs: dst=0 src0=1 src1=0 src2=0
	v_dual_mul_f32 v15, v55 /*v311*/, v183 :: v_dual_fma_f32 v19, v44 /*v300*/, v172, -v19
	s_set_vgpr_msb 0                        ;  msbs: dst=0 src0=0 src1=0 src2=0
	v_add_f32_e32 v9, v9, v17
	s_set_vgpr_msb 1                        ;  msbs: dst=0 src0=1 src1=0 src2=0
	v_dual_mul_f32 v17, v57 /*v313*/, v185 :: v_dual_fma_f32 v21, v46 /*v302*/, v174, -v21
	s_set_vgpr_msb 0                        ;  msbs: dst=0 src0=0 src1=0 src2=0
	v_add_f32_e32 v7, v7, v57
	s_set_vgpr_msb 1                        ;  msbs: dst=0 src0=1 src1=0 src2=0
	v_dual_fmac_f32 v65, v49 /*v305*/, v176 :: v_dual_fmac_f32 v67, v51 /*v307*/, v178
	s_set_vgpr_msb 0                        ;  msbs: dst=0 src0=0 src1=0 src2=0
	v_add_f32_e32 v9, v9, v19
	s_set_vgpr_msb 1                        ;  msbs: dst=0 src0=1 src1=0 src2=0
	v_dual_mul_f32 v71, v54 /*v310*/, v183 :: v_dual_mul_f32 v73, v56 /*v312*/, v185
	s_set_vgpr_msb 0                        ;  msbs: dst=0 src0=0 src1=0 src2=0
	v_add_f32_e32 v7, v7, v59
	s_wait_loadcnt_dscnt 0xa04
	s_set_vgpr_msb 1                        ;  msbs: dst=0 src0=1 src1=0 src2=0
	v_dual_mul_f32 v19, v59 /*v315*/, v187 :: v_dual_fma_f32 v23, v48 /*v304*/, v176, -v23
	s_set_vgpr_msb 0                        ;  msbs: dst=0 src0=0 src1=0 src2=0
	v_add_f32_e32 v9, v9, v21
	s_set_vgpr_msb 1                        ;  msbs: dst=0 src0=1 src1=0 src2=0
	v_dual_mul_f32 v75, v58 /*v314*/, v187 :: v_dual_mul_f32 v77, v60 /*v316*/, v189
	v_dual_mul_f32 v21, v61 /*v317*/, v189 :: v_dual_fma_f32 v11, v50 /*v306*/, v178, -v11
	v_dual_fmac_f32 v69, v53 /*v309*/, v180 :: v_dual_fmac_f32 v71, v55 /*v311*/, v182
	s_set_vgpr_msb 0                        ;  msbs: dst=0 src0=0 src1=0 src2=0
	v_dual_add_f32 v9, v9, v23 :: v_dual_add_f32 v7, v7, v61
	s_wait_loadcnt_dscnt 0x903
	s_set_vgpr_msb 1                        ;  msbs: dst=0 src0=1 src1=0 src2=0
	v_dual_mul_f32 v23, v63 /*v319*/, v191 :: v_dual_fma_f32 v13, v52 /*v308*/, v180, -v13
	v_dual_fmac_f32 v73, v57 /*v313*/, v184 :: v_dual_fmac_f32 v75, v59 /*v315*/, v186
	s_set_vgpr_msb 0                        ;  msbs: dst=0 src0=0 src1=0 src2=0
	v_add_f32_e32 v9, v9, v11
	s_set_vgpr_msb 1                        ;  msbs: dst=0 src0=1 src1=0 src2=0
	v_dual_mul_f32 v79, v62 /*v318*/, v191 :: v_dual_mul_f32 v81, v64 /*v320*/, v193
	s_set_vgpr_msb 0                        ;  msbs: dst=0 src0=0 src1=0 src2=0
	v_add_f32_e32 v7, v7, v63
	s_set_vgpr_msb 1                        ;  msbs: dst=0 src0=1 src1=0 src2=0
	v_dual_mul_f32 v11, v65 /*v321*/, v193 :: v_dual_fma_f32 v15, v54 /*v310*/, v182, -v15
	s_set_vgpr_msb 0                        ;  msbs: dst=0 src0=0 src1=0 src2=0
	v_add_f32_e32 v9, v9, v13
	s_wait_loadcnt_dscnt 0x802
	s_set_vgpr_msb 1                        ;  msbs: dst=0 src0=1 src1=0 src2=0
	v_dual_mul_f32 v13, v67 /*v323*/, v195 :: v_dual_fma_f32 v17, v56 /*v312*/, v184, -v17
	s_set_vgpr_msb 0                        ;  msbs: dst=0 src0=0 src1=0 src2=0
	v_add_f32_e32 v7, v7, v65
	s_set_vgpr_msb 1                        ;  msbs: dst=0 src0=1 src1=0 src2=0
	v_dual_fmac_f32 v77, v61 /*v317*/, v188 :: v_dual_fmac_f32 v79, v63 /*v319*/, v190
	s_set_vgpr_msb 0                        ;  msbs: dst=0 src0=0 src1=0 src2=0
	v_add_f32_e32 v9, v9, v15
	s_set_vgpr_msb 1                        ;  msbs: dst=0 src0=1 src1=0 src2=0
	v_dual_mul_f32 v83, v66 /*v322*/, v195 :: v_dual_mul_f32 v85, v68 /*v324*/, v197
	s_set_vgpr_msb 0                        ;  msbs: dst=0 src0=0 src1=0 src2=0
	v_add_f32_e32 v7, v7, v67
	s_set_vgpr_msb 1                        ;  msbs: dst=0 src0=1 src1=0 src2=0
	v_dual_mul_f32 v15, v69 /*v325*/, v197 :: v_dual_fma_f32 v19, v58 /*v314*/, v186, -v19
	s_set_vgpr_msb 0                        ;  msbs: dst=0 src0=0 src1=0 src2=0
	v_add_f32_e32 v9, v9, v17
	s_wait_loadcnt_dscnt 0x701
	s_set_vgpr_msb 1                        ;  msbs: dst=0 src0=1 src1=0 src2=0
	v_dual_mul_f32 v17, v71 /*v327*/, v199 :: v_dual_fma_f32 v21, v60 /*v316*/, v188, -v21
	s_set_vgpr_msb 0                        ;  msbs: dst=0 src0=0 src1=0 src2=0
	v_add_f32_e32 v7, v7, v69
	s_set_vgpr_msb 1                        ;  msbs: dst=0 src0=1 src1=0 src2=0
	v_dual_fmac_f32 v81, v65 /*v321*/, v192 :: v_dual_fmac_f32 v83, v67 /*v323*/, v194
	s_set_vgpr_msb 0                        ;  msbs: dst=0 src0=0 src1=0 src2=0
	v_add_f32_e32 v9, v9, v19
	s_set_vgpr_msb 1                        ;  msbs: dst=0 src0=1 src1=0 src2=0
	v_dual_mul_f32 v19, v73 /*v329*/, v201 :: v_dual_fma_f32 v23, v62 /*v318*/, v190, -v23
	s_set_vgpr_msb 0                        ;  msbs: dst=0 src0=0 src1=0 src2=0
	v_add_f32_e32 v7, v7, v71
	s_set_vgpr_msb 1                        ;  msbs: dst=0 src0=1 src1=0 src2=0
	v_dual_mul_f32 v87, v70 /*v326*/, v199 :: v_dual_mul_f32 v89, v72 /*v328*/, v201
	s_set_vgpr_msb 0                        ;  msbs: dst=0 src0=0 src1=0 src2=0
	v_add_f32_e32 v9, v9, v21
	s_wait_loadcnt_dscnt 0x600
	s_set_vgpr_msb 1                        ;  msbs: dst=0 src0=1 src1=0 src2=0
	v_dual_mul_f32 v91, v74 /*v330*/, v203 :: v_dual_mul_f32 v93, v76 /*v332*/, v205
	s_set_vgpr_msb 0                        ;  msbs: dst=0 src0=0 src1=0 src2=0
	v_add_f32_e32 v7, v7, v73
	s_set_vgpr_msb 1                        ;  msbs: dst=0 src0=1 src1=0 src2=0
	v_dual_mul_f32 v21, v75 /*v331*/, v203 :: v_dual_fma_f32 v11, v64 /*v320*/, v192, -v11
	v_dual_fmac_f32 v85, v69 /*v325*/, v196 :: v_dual_fma_f32 v15, v68 /*v324*/, v196, -v15
	s_set_vgpr_msb 0                        ;  msbs: dst=0 src0=0 src1=0 src2=0
	v_add_f32_e32 v9, v9, v23
	s_set_vgpr_msb 1                        ;  msbs: dst=0 src0=1 src1=0 src2=0
	v_dual_mul_f32 v23, v77 /*v333*/, v205 :: v_dual_fma_f32 v13, v66 /*v322*/, v194, -v13
	v_dual_fmac_f32 v89, v73 /*v329*/, v200 :: v_dual_fmac_f32 v91, v75 /*v331*/, v202
	s_set_vgpr_msb 0                        ;  msbs: dst=0 src0=0 src1=0 src2=0
	v_add_f32_e32 v9, v9, v11
	v_add_f32_e32 v7, v7, v75
	s_set_vgpr_msb 1                        ;  msbs: dst=0 src0=1 src1=0 src2=0
	v_fma_f32 v17, v70 /*v326*/, v198, -v17
	v_dual_fmac_f32 v93, v77 /*v333*/, v204 :: v_dual_fmac_f32 v87, v71 /*v327*/, v198
	s_set_vgpr_msb 0                        ;  msbs: dst=0 src0=0 src1=0 src2=0
	v_add_f32_e32 v9, v9, v13
	v_add_f32_e32 v7, v7, v77
	s_wait_loadcnt 0x5
	s_set_vgpr_msb 1                        ;  msbs: dst=0 src0=1 src1=0 src2=0
	v_mul_f32_e32 v13, v1 /*v257*/, v209
	s_wait_loadcnt 0x4
	v_pk_mul_f32 v[118:119], v[2:3] /*v[258:259]*/, v[210:211] op_sel:[1,1] op_sel_hi:[0,1]
	s_wait_loadcnt 0x3
	s_set_vgpr_msb 0                        ;  msbs: dst=0 src0=0 src1=0 src2=0
	v_mov_b32_e32 v124, v217
	v_add_f32_e32 v9, v9, v15
	s_set_vgpr_msb 1                        ;  msbs: dst=0 src0=1 src1=0 src2=0
	v_fma_f32 v15, v72 /*v328*/, v200, -v19
	s_set_vgpr_msb 0                        ;  msbs: dst=0 src0=0 src1=0 src2=0
	v_add_f32_e32 v7, v7, v79
	v_dual_mul_f32 v11, v255, v207 :: v_dual_mov_b32 v120, v213
	v_add_f32_e32 v9, v9, v17
	s_set_vgpr_msb 1                        ;  msbs: dst=0 src0=1 src1=0 src2=0
	v_fma_f32 v17, v74 /*v330*/, v202, -v21
	s_set_vgpr_msb 0                        ;  msbs: dst=0 src0=0 src1=0 src2=0
	v_add_f32_e32 v7, v7, v81
	s_set_vgpr_msb 64                       ;  msbs: dst=1 src0=0 src1=0 src2=0
	v_dual_mul_f32 v89 /*v345*/, v254, v207 :: v_dual_fma_f32 v88 /*v344*/, v254, v206, -v11
	s_set_vgpr_msb 0                        ;  msbs: dst=0 src0=0 src1=0 src2=0
	v_add_f32_e32 v9, v9, v15
	s_set_vgpr_msb 1                        ;  msbs: dst=0 src0=1 src1=0 src2=0
	v_fma_f32 v15, v76 /*v332*/, v204, -v23
	s_set_vgpr_msb 0                        ;  msbs: dst=0 src0=0 src1=0 src2=0
	v_add_f32_e32 v7, v7, v83
	s_set_vgpr_msb 1                        ;  msbs: dst=0 src0=1 src1=0 src2=0
	v_pk_fma_f32 v[128:129], v[2:3] /*v[258:259]*/, v[210:211], v[118:119] op_sel_hi:[1,0,1]
	v_pk_fma_f32 v[118:119], v[2:3] /*v[258:259]*/, v[210:211], v[118:119] neg_lo:[0,0,1] neg_hi:[0,0,1]
	s_set_vgpr_msb 0                        ;  msbs: dst=0 src0=0 src1=0 src2=0
	v_add_f32_e32 v9, v9, v17
	s_set_vgpr_msb 0x41                     ;  msbs: dst=1 src0=1 src1=0 src2=0
	v_dual_mul_f32 v91 /*v347*/, v0 /*v256*/, v209 :: v_dual_fma_f32 v90 /*v346*/, v0 /*v256*/, v208, -v13
	s_set_vgpr_msb 0                        ;  msbs: dst=0 src0=0 src1=0 src2=0
	v_add_f32_e32 v7, v7, v85
	s_set_vgpr_msb 64                       ;  msbs: dst=1 src0=0 src1=0 src2=0
	v_fmac_f32_e32 v89 /*v345*/, v255, v206
	s_set_vgpr_msb 0                        ;  msbs: dst=0 src0=0 src1=0 src2=0
	v_add_f32_e32 v126, v9, v15
	v_mov_b32_e32 v119, v129
	s_set_vgpr_msb 0x41                     ;  msbs: dst=1 src0=1 src1=0 src2=0
	v_fmac_f32_e32 v91 /*v347*/, v1 /*v257*/, v208
	s_set_vgpr_msb 0                        ;  msbs: dst=0 src0=0 src1=0 src2=0
	v_add_f32_e32 v7, v7, v87
	s_set_vgpr_msb 1                        ;  msbs: dst=0 src0=1 src1=0 src2=0
	v_pk_mul_f32 v[120:121], v[80:81] /*v[336:337]*/, v[120:121] op_sel_hi:[1,0]
	v_pk_mul_f32 v[122:123], v[6:7] /*v[262:263]*/, v[214:215] op_sel:[1,1] op_sel_hi:[0,1]
	v_pk_mul_f32 v[124:125], v[82:83] /*v[338:339]*/, v[124:125] op_sel_hi:[1,0]
	s_wait_loadcnt 0x2
	v_pk_mul_f32 v[130:131], v[18:19] /*v[274:275]*/, v[218:219] op_sel:[1,1] op_sel_hi:[0,1]
	s_set_vgpr_msb 0                        ;  msbs: dst=0 src0=0 src1=0 src2=0
	v_add_f32_e32 v7, v7, v89
	s_set_vgpr_msb 1                        ;  msbs: dst=0 src0=1 src1=0 src2=0
	v_pk_fma_f32 v[128:129], v[4:5] /*v[260:261]*/, v[212:213], v[120:121] op_sel_hi:[1,0,1]
	v_pk_fma_f32 v[120:121], v[4:5] /*v[260:261]*/, v[212:213], v[120:121] neg_lo:[0,0,1] neg_hi:[0,0,1]
	v_pk_fma_f32 v[132:133], v[6:7] /*v[262:263]*/, v[214:215], v[122:123] op_sel_hi:[1,0,1]
	v_pk_fma_f32 v[122:123], v[6:7] /*v[262:263]*/, v[214:215], v[122:123] neg_lo:[0,0,1] neg_hi:[0,0,1]
	s_set_vgpr_msb 0                        ;  msbs: dst=0 src0=0 src1=0 src2=0
	v_dual_add_f32 v7, v7, v91 :: v_dual_mov_b32 v121, v129
	s_set_vgpr_msb 1                        ;  msbs: dst=0 src0=1 src1=0 src2=0
	v_pk_fma_f32 v[128:129], v[8:9] /*v[264:265]*/, v[216:217], v[124:125] op_sel_hi:[1,0,1]
	s_set_vgpr_msb 0                        ;  msbs: dst=0 src0=0 src1=0 src2=0
	v_mov_b32_e32 v123, v133
	s_set_vgpr_msb 1                        ;  msbs: dst=0 src0=1 src1=0 src2=0
	v_pk_fma_f32 v[124:125], v[8:9] /*v[264:265]*/, v[216:217], v[124:125] neg_lo:[0,0,1] neg_hi:[0,0,1]
	s_set_vgpr_msb 0                        ;  msbs: dst=0 src0=0 src1=0 src2=0
	v_dual_add_f32 v127, v7, v93 :: v_dual_mov_b32 v125, v129
	s_set_vgpr_msb 1                        ;  msbs: dst=0 src0=1 src1=0 src2=0
	v_pk_fma_f32 v[128:129], v[18:19] /*v[274:275]*/, v[218:219], v[130:131] neg_lo:[0,0,1] neg_hi:[0,0,1]
	s_set_vgpr_msb 4                        ;  msbs: dst=0 src0=0 src1=1 src2=0
	s_delay_alu instid0(VALU_DEP_2) | instskip(NEXT) | instid1(VALU_DEP_1)
	v_pk_add_f32 v[126:127], v[126:127], v[88:89] /*v[344:345]*/
	v_pk_add_f32 v[126:127], v[126:127], v[90:91] /*v[346:347]*/
	s_set_vgpr_msb 0                        ;  msbs: dst=0 src0=0 src1=0 src2=0
	s_delay_alu instid0(VALU_DEP_1) | instskip(SKIP_1) | instid1(VALU_DEP_2)
	v_pk_add_f32 v[118:119], v[126:127], v[118:119]
	v_mov_b32_e32 v126, v221
	v_pk_add_f32 v[118:119], v[118:119], v[120:121]
	s_set_vgpr_msb 1                        ;  msbs: dst=0 src0=1 src1=0 src2=0
	v_pk_fma_f32 v[120:121], v[18:19] /*v[274:275]*/, v[218:219], v[130:131] op_sel_hi:[1,0,1]
	s_delay_alu instid0(VALU_DEP_3) | instskip(SKIP_2) | instid1(VALU_DEP_3)
	v_pk_mul_f32 v[126:127], v[84:85] /*v[340:341]*/, v[126:127] op_sel_hi:[1,0]
	s_set_vgpr_msb 0                        ;  msbs: dst=0 src0=0 src1=0 src2=0
	v_pk_add_f32 v[118:119], v[118:119], v[122:123]
	v_mov_b32_e32 v129, v121
	s_set_vgpr_msb 1                        ;  msbs: dst=0 src0=1 src1=0 src2=0
	v_pk_fma_f32 v[120:121], v[20:21] /*v[276:277]*/, v[220:221], v[126:127] op_sel_hi:[1,0,1]
	s_wait_loadcnt 0x1
	s_set_vgpr_msb 5                        ;  msbs: dst=0 src0=1 src1=1 src2=0
	v_pk_mul_f32 v[122:123], v[26:27] /*v[282:283]*/, v[22:23] /*v[278:279]*/ op_sel:[1,1] op_sel_hi:[0,1]
	v_mov_b32_e32 v120, v25 /*v281*/
	s_set_vgpr_msb 0                        ;  msbs: dst=0 src0=0 src1=0 src2=0
	v_pk_add_f32 v[118:119], v[118:119], v[124:125]
	s_set_vgpr_msb 1                        ;  msbs: dst=0 src0=1 src1=0 src2=0
	v_pk_fma_f32 v[126:127], v[20:21] /*v[276:277]*/, v[220:221], v[126:127] neg_lo:[0,0,1] neg_hi:[0,0,1]
	s_set_vgpr_msb 0                        ;  msbs: dst=0 src0=0 src1=0 src2=0
	v_mov_b32_e32 v127, v121
	s_set_vgpr_msb 5                        ;  msbs: dst=0 src0=1 src1=1 src2=0
	v_pk_fma_f32 v[124:125], v[26:27] /*v[282:283]*/, v[22:23] /*v[278:279]*/, v[122:123] op_sel_hi:[1,0,1]
	s_set_vgpr_msb 1                        ;  msbs: dst=0 src0=1 src1=0 src2=0
	v_pk_mul_f32 v[120:121], v[86:87] /*v[342:343]*/, v[120:121] op_sel_hi:[1,0]
	s_set_vgpr_msb 0                        ;  msbs: dst=0 src0=0 src1=0 src2=0
	v_pk_add_f32 v[118:119], v[118:119], v[128:129]
	s_set_vgpr_msb 5                        ;  msbs: dst=0 src0=1 src1=1 src2=0
	v_pk_fma_f32 v[122:123], v[26:27] /*v[282:283]*/, v[22:23] /*v[278:279]*/, v[122:123] neg_lo:[0,0,1] neg_hi:[0,0,1]
	s_set_vgpr_msb 0                        ;  msbs: dst=0 src0=0 src1=0 src2=0
	v_mov_b32_e32 v123, v125
	s_set_vgpr_msb 5                        ;  msbs: dst=0 src0=1 src1=1 src2=0
	v_pk_fma_f32 v[124:125], v[28:29] /*v[284:285]*/, v[24:25] /*v[280:281]*/, v[120:121] op_sel_hi:[1,0,1]
	s_set_vgpr_msb 0                        ;  msbs: dst=0 src0=0 src1=0 src2=0
	v_pk_add_f32 v[118:119], v[118:119], v[126:127]
	s_set_vgpr_msb 5                        ;  msbs: dst=0 src0=1 src1=1 src2=0
	v_pk_fma_f32 v[120:121], v[28:29] /*v[284:285]*/, v[24:25] /*v[280:281]*/, v[120:121] neg_lo:[0,0,1] neg_hi:[0,0,1]
	s_set_vgpr_msb 0                        ;  msbs: dst=0 src0=0 src1=0 src2=0
	v_mov_b32_e32 v121, v125
	v_pk_add_f32 v[118:119], v[118:119], v[122:123]
	s_delay_alu instid0(VALU_DEP_1) | instskip(SKIP_2) | instid1(VALU_DEP_1)
	v_pk_add_f32 v[118:119], v[118:119], v[120:121]
	s_wait_loadcnt 0x0
	s_set_vgpr_msb 1                        ;  msbs: dst=0 src0=1 src1=0 src2=0
	v_pk_add_f32 v[118:119], v[78:79] /*v[334:335]*/, v[118:119] neg_lo:[0,1] neg_hi:[0,1]
	scratch_store_b64 off, v[118:119], off offset:24
	s_wait_xcnt 0x0
	v_cmpx_lt_u32_e32 2, v0
	s_set_vgpr_msb 0                        ;  msbs: dst=0 src0=0 src1=0 src2=0
	s_cbranch_execz .LBB57_357
; %bb.356:
	scratch_load_b64 v[118:119], off, off offset:16
	v_mov_b64_e32 v[120:121], 0
	scratch_store_b64 off, v[120:121], off offset:16
	s_wait_loadcnt 0x0
	ds_store_b64 v1, v[118:119]
.LBB57_357:
	s_wait_xcnt 0x0
	s_or_b32 exec_lo, exec_lo, s0
	s_wait_storecnt_dscnt 0x0
	s_barrier_signal -1
	s_barrier_wait -1
	s_clause 0xf
	scratch_load_b128 v[122:125], off, off offset:24
	scratch_load_b128 v[130:133], off, off offset:40
	scratch_load_b128 v[138:141], off, off offset:56
	scratch_load_b128 v[146:149], off, off offset:72
	scratch_load_b128 v[154:157], off, off offset:88
	scratch_load_b128 v[162:165], off, off offset:104
	scratch_load_b128 v[170:173], off, off offset:120
	scratch_load_b128 v[178:181], off, off offset:136
	scratch_load_b128 v[186:189], off, off offset:152
	scratch_load_b128 v[194:197], off, off offset:168
	scratch_load_b128 v[202:205], off, off offset:184
	scratch_load_b128 v[210:213], off, off offset:200
	scratch_load_b128 v[218:221], off, off offset:216
	scratch_load_b128 v[226:229], off, off offset:232
	scratch_load_b128 v[234:237], off, off offset:248
	scratch_load_b128 v[242:245], off, off offset:264
	v_mov_b32_e32 v97, 0
	s_clause 0x4
	scratch_load_b128 v[250:253], off, off offset:280
	s_set_vgpr_msb 64                       ;  msbs: dst=1 src0=0 src1=0 src2=0
	scratch_load_b128 v[2:5] /*v[258:261]*/, off, off offset:296
	scratch_load_b128 v[10:13] /*v[266:269]*/, off, off offset:312
	;; [unrolled: 1-line block ×3, first 2 shown]
	s_set_vgpr_msb 0                        ;  msbs: dst=0 src0=0 src1=0 src2=0
	ds_load_2addr_b64 v[118:121], v97 offset0:61 offset1:62
	ds_load_2addr_b64 v[126:129], v97 offset0:63 offset1:64
	s_set_vgpr_msb 64                       ;  msbs: dst=1 src0=0 src1=0 src2=0
	s_clause 0x3
	scratch_load_b128 v[26:29] /*v[282:285]*/, off, off offset:344
	scratch_load_b128 v[34:37] /*v[290:293]*/, off, off offset:360
	;; [unrolled: 1-line block ×4, first 2 shown]
	s_mov_b32 s0, exec_lo
	s_wait_loadcnt_dscnt 0x1701
	s_set_vgpr_msb 0                        ;  msbs: dst=0 src0=0 src1=0 src2=0
	v_dual_mul_f32 v7, v118, v123 :: v_dual_mul_f32 v9, v120, v125
	ds_load_2addr_b64 v[134:137], v97 offset0:65 offset1:66
	ds_load_2addr_b64 v[142:145], v97 offset0:67 offset1:68
	;; [unrolled: 1-line block ×4, first 2 shown]
	v_dual_fmac_f32 v7, v119, v122 :: v_dual_fmac_f32 v9, v121, v124
	ds_load_2addr_b64 v[166:169], v97 offset0:73 offset1:74
	ds_load_2addr_b64 v[174:177], v97 offset0:75 offset1:76
	;; [unrolled: 1-line block ×4, first 2 shown]
	v_add_f32_e32 v7, 0, v7
	ds_load_2addr_b64 v[198:201], v97 offset0:81 offset1:82
	ds_load_2addr_b64 v[206:209], v97 offset0:83 offset1:84
	;; [unrolled: 1-line block ×4, first 2 shown]
	s_wait_loadcnt_dscnt 0x160c
	v_dual_add_f32 v7, v7, v9 :: v_dual_mul_f32 v9, v126, v131
	ds_load_2addr_b64 v[230:233], v97 offset0:89 offset1:90
	ds_load_2addr_b64 v[238:241], v97 offset0:91 offset1:92
	;; [unrolled: 1-line block ×4, first 2 shown]
	v_fmac_f32_e32 v9, v127, v130
	s_set_vgpr_msb 64                       ;  msbs: dst=1 src0=0 src1=0 src2=0
	ds_load_2addr_b64 v[6:9] /*v[262:265]*/, v97 offset0:97 offset1:98
	ds_load_2addr_b64 v[14:17] /*v[270:273]*/, v97 offset0:99 offset1:100
	;; [unrolled: 1-line block ×4, first 2 shown]
	s_set_vgpr_msb 0                        ;  msbs: dst=0 src0=0 src1=0 src2=0
	v_add_f32_e32 v7, v7, v9
	v_mul_f32_e32 v9, v128, v133
	s_set_vgpr_msb 64                       ;  msbs: dst=1 src0=0 src1=0 src2=0
	ds_load_2addr_b64 v[22:25] /*v[278:281]*/, v97 offset0:101 offset1:102
	ds_load_2addr_b64 v[30:33] /*v[286:289]*/, v97 offset0:103 offset1:104
	s_clause 0x3
	scratch_load_b128 v[54:57] /*v[310:313]*/, off, off offset:408
	scratch_load_b128 v[58:61] /*v[314:317]*/, off, off offset:424
	;; [unrolled: 1-line block ×3, first 2 shown]
	scratch_load_b64 v[72:73] /*v[328:329]*/, off, off offset:456
	s_set_vgpr_msb 0                        ;  msbs: dst=0 src0=0 src1=0 src2=0
	v_fmac_f32_e32 v9, v129, v132
	s_wait_loadcnt_dscnt 0x1915
	s_delay_alu instid0(VALU_DEP_1) | instskip(NEXT) | instid1(VALU_DEP_1)
	v_dual_add_f32 v7, v7, v9 :: v_dual_mul_f32 v9, v134, v139
	v_fmac_f32_e32 v9, v135, v138
	s_wait_loadcnt_dscnt 0x402
	s_set_vgpr_msb 0x45                     ;  msbs: dst=1 src0=1 src1=1 src2=0
	v_dual_mul_f32 v69 /*v325*/, v40 /*v296*/, v45 /*v301*/ :: v_dual_mul_f32 v71 /*v327*/, v46 /*v302*/, v51 /*v307*/
	s_set_vgpr_msb 0                        ;  msbs: dst=0 src0=0 src1=0 src2=0
	v_add_f32_e32 v7, v7, v9
	v_mul_f32_e32 v9, v136, v141
	s_set_vgpr_msb 0x45                     ;  msbs: dst=1 src0=1 src1=1 src2=0
	v_dual_fmac_f32 v69 /*v325*/, v41 /*v297*/, v44 /*v300*/ :: v_dual_fmac_f32 v71 /*v327*/, v47 /*v303*/, v50 /*v306*/
	s_set_vgpr_msb 0                        ;  msbs: dst=0 src0=0 src1=0 src2=0
	s_delay_alu instid0(VALU_DEP_2) | instskip(NEXT) | instid1(VALU_DEP_1)
	v_fmac_f32_e32 v9, v137, v140
	v_dual_add_f32 v7, v7, v9 :: v_dual_mul_f32 v9, v142, v147
	s_delay_alu instid0(VALU_DEP_1) | instskip(NEXT) | instid1(VALU_DEP_1)
	v_fmac_f32_e32 v9, v143, v146
	v_add_f32_e32 v7, v7, v9
	v_mul_f32_e32 v9, v144, v149
	s_delay_alu instid0(VALU_DEP_1) | instskip(NEXT) | instid1(VALU_DEP_1)
	v_fmac_f32_e32 v9, v145, v148
	v_dual_add_f32 v7, v7, v9 :: v_dual_mul_f32 v9, v150, v155
	s_delay_alu instid0(VALU_DEP_1) | instskip(NEXT) | instid1(VALU_DEP_1)
	v_fmac_f32_e32 v9, v151, v154
	v_add_f32_e32 v7, v7, v9
	v_mul_f32_e32 v9, v152, v157
	s_delay_alu instid0(VALU_DEP_1) | instskip(NEXT) | instid1(VALU_DEP_1)
	;; [unrolled: 7-line block ×14, first 2 shown]
	v_fmac_f32_e32 v9, v249, v252
	v_add_f32_e32 v7, v7, v9
	s_set_vgpr_msb 4                        ;  msbs: dst=0 src0=0 src1=1 src2=0
	v_mul_f32_e32 v9, v254, v3 /*v259*/
	s_delay_alu instid0(VALU_DEP_1) | instskip(SKIP_1) | instid1(VALU_DEP_1)
	v_fmac_f32_e32 v9, v255, v2 /*v258*/
	s_set_vgpr_msb 0                        ;  msbs: dst=0 src0=0 src1=0 src2=0
	v_add_f32_e32 v7, v7, v9
	s_set_vgpr_msb 5                        ;  msbs: dst=0 src0=1 src1=1 src2=0
	v_mul_f32_e32 v9, v0 /*v256*/, v5 /*v261*/
	s_delay_alu instid0(VALU_DEP_1) | instskip(SKIP_1) | instid1(VALU_DEP_1)
	v_fmac_f32_e32 v9, v1 /*v257*/, v4 /*v260*/
	s_set_vgpr_msb 0                        ;  msbs: dst=0 src0=0 src1=0 src2=0
	v_add_f32_e32 v7, v7, v9
	s_set_vgpr_msb 5                        ;  msbs: dst=0 src0=1 src1=1 src2=0
	v_mul_f32_e32 v9, v6 /*v262*/, v11 /*v267*/
	s_delay_alu instid0(VALU_DEP_1) | instskip(SKIP_1) | instid1(VALU_DEP_1)
	v_fmac_f32_e32 v9, v7 /*v263*/, v10 /*v266*/
	;; [unrolled: 6-line block ×5, first 2 shown]
	s_set_vgpr_msb 0                        ;  msbs: dst=0 src0=0 src1=0 src2=0
	v_add_f32_e32 v7, v7, v9
	s_wait_dscnt 0x1
	s_set_vgpr_msb 5                        ;  msbs: dst=0 src0=1 src1=1 src2=0
	v_mul_f32_e32 v9, v22 /*v278*/, v27 /*v283*/
	s_delay_alu instid0(VALU_DEP_1) | instskip(SKIP_1) | instid1(VALU_DEP_1)
	v_fmac_f32_e32 v9, v23 /*v279*/, v26 /*v282*/
	s_set_vgpr_msb 0                        ;  msbs: dst=0 src0=0 src1=0 src2=0
	v_add_f32_e32 v7, v7, v9
	s_set_vgpr_msb 5                        ;  msbs: dst=0 src0=1 src1=1 src2=0
	v_mul_f32_e32 v9, v24 /*v280*/, v29 /*v285*/
	s_delay_alu instid0(VALU_DEP_1) | instskip(SKIP_1) | instid1(VALU_DEP_1)
	v_fmac_f32_e32 v9, v25 /*v281*/, v28 /*v284*/
	s_set_vgpr_msb 0                        ;  msbs: dst=0 src0=0 src1=0 src2=0
	v_add_f32_e32 v7, v7, v9
	s_wait_dscnt 0x0
	s_set_vgpr_msb 5                        ;  msbs: dst=0 src0=1 src1=1 src2=0
	v_mul_f32_e32 v9, v30 /*v286*/, v35 /*v291*/
	s_delay_alu instid0(VALU_DEP_1) | instskip(SKIP_1) | instid1(VALU_DEP_1)
	v_fmac_f32_e32 v9, v31 /*v287*/, v34 /*v290*/
	s_set_vgpr_msb 0                        ;  msbs: dst=0 src0=0 src1=0 src2=0
	v_add_f32_e32 v7, v7, v9
	s_set_vgpr_msb 5                        ;  msbs: dst=0 src0=1 src1=1 src2=0
	v_mul_f32_e32 v9, v32 /*v288*/, v37 /*v293*/
	s_delay_alu instid0(VALU_DEP_1) | instskip(SKIP_1) | instid1(VALU_DEP_1)
	v_fmac_f32_e32 v9, v33 /*v289*/, v36 /*v292*/
	s_set_vgpr_msb 0                        ;  msbs: dst=0 src0=0 src1=0 src2=0
	v_add_f32_e32 v7, v7, v9
	s_set_vgpr_msb 5                        ;  msbs: dst=0 src0=1 src1=1 src2=0
	v_mul_f32_e32 v9, v38 /*v294*/, v43 /*v299*/
	s_delay_alu instid0(VALU_DEP_1) | instskip(SKIP_1) | instid1(VALU_DEP_1)
	v_fmac_f32_e32 v9, v39 /*v295*/, v42 /*v298*/
	s_set_vgpr_msb 64                       ;  msbs: dst=1 src0=0 src1=0 src2=0
	v_add_f32_e32 v67 /*v323*/, v7, v9
	s_set_vgpr_msb 0                        ;  msbs: dst=0 src0=0 src1=0 src2=0
	v_dual_mul_f32 v7, v119, v123 :: v_dual_mul_f32 v9, v121, v125
	s_delay_alu instid0(VALU_DEP_1) | instskip(NEXT) | instid1(VALU_DEP_1)
	v_dual_fma_f32 v7, v118, v122, -v7 :: v_dual_fma_f32 v9, v120, v124, -v9
	v_add_f32_e32 v7, 0, v7
	s_delay_alu instid0(VALU_DEP_1) | instskip(SKIP_1) | instid1(VALU_DEP_1)
	v_add_f32_e32 v7, v7, v9
	v_mul_f32_e32 v9, v127, v131
	v_fma_f32 v9, v126, v130, -v9
	s_delay_alu instid0(VALU_DEP_1) | instskip(SKIP_1) | instid1(VALU_DEP_1)
	v_add_f32_e32 v7, v7, v9
	v_mul_f32_e32 v9, v129, v133
	v_fma_f32 v9, v128, v132, -v9
	ds_load_2addr_b64 v[118:121], v97 offset0:109 offset1:110
	ds_load_2addr_b64 v[122:125], v97 offset0:111 offset1:112
	;; [unrolled: 1-line block ×3, first 2 shown]
	ds_load_b64 v[130:131], v97 offset:920
	v_add_f32_e32 v7, v7, v9
	v_mul_f32_e32 v9, v135, v139
	s_set_vgpr_msb 1                        ;  msbs: dst=0 src0=1 src1=0 src2=0
	v_mov_b32_e32 v135, v48 /*v304*/
	s_set_vgpr_msb 0                        ;  msbs: dst=0 src0=0 src1=0 src2=0
	s_delay_alu instid0(VALU_DEP_2) | instskip(SKIP_3) | instid1(VALU_DEP_2)
	v_fma_f32 v9, v134, v138, -v9
	s_set_vgpr_msb 1                        ;  msbs: dst=0 src0=1 src1=0 src2=0
	v_mov_b32_e32 v134, v49 /*v305*/
	s_set_vgpr_msb 0                        ;  msbs: dst=0 src0=0 src1=0 src2=0
	v_add_f32_e32 v7, v7, v9
	v_mul_f32_e32 v9, v137, v141
	s_delay_alu instid0(VALU_DEP_1) | instskip(SKIP_3) | instid1(VALU_DEP_2)
	v_fma_f32 v9, v136, v140, -v9
	s_set_vgpr_msb 1                        ;  msbs: dst=0 src0=1 src1=0 src2=0
	v_mov_b32_e32 v136, v53 /*v309*/
	s_set_vgpr_msb 0                        ;  msbs: dst=0 src0=0 src1=0 src2=0
	v_add_f32_e32 v7, v7, v9
	v_mul_f32_e32 v9, v143, v147
	s_delay_alu instid0(VALU_DEP_3) | instskip(NEXT) | instid1(VALU_DEP_2)
	v_pk_mul_f32 v[134:135], v[134:135], v[136:137] op_sel_hi:[1,0]
	v_fma_f32 v9, v142, v146, -v9
	s_set_vgpr_msb 5                        ;  msbs: dst=0 src0=1 src1=1 src2=0
	s_delay_alu instid0(VALU_DEP_2) | instskip(SKIP_3) | instid1(VALU_DEP_2)
	v_pk_fma_f32 v[136:137], v[48:49] /*v[304:305]*/, v[52:53] /*v[308:309]*/, v[134:135] neg_lo:[0,0,1] neg_hi:[0,0,1]
	v_pk_fma_f32 v[134:135], v[48:49] /*v[304:305]*/, v[52:53] /*v[308:309]*/, v[134:135] op_sel_hi:[1,0,1]
	s_set_vgpr_msb 0                        ;  msbs: dst=0 src0=0 src1=0 src2=0
	v_add_f32_e32 v7, v7, v9
	v_dual_mul_f32 v9, v145, v149 :: v_dual_mov_b32 v137, v135
	s_wait_loadcnt_dscnt 0x303
	s_set_vgpr_msb 4                        ;  msbs: dst=0 src0=0 src1=1 src2=0
	v_pk_mul_f32 v[134:135], v[118:119], v[54:55] /*v[310:311]*/ op_sel:[1,1] op_sel_hi:[0,1]
	s_set_vgpr_msb 0                        ;  msbs: dst=0 src0=0 src1=0 src2=0
	v_fma_f32 v9, v144, v148, -v9
	s_delay_alu instid0(VALU_DEP_1) | instskip(SKIP_1) | instid1(VALU_DEP_1)
	v_add_f32_e32 v7, v7, v9
	v_mul_f32_e32 v9, v151, v155
	v_fma_f32 v9, v150, v154, -v9
	s_delay_alu instid0(VALU_DEP_1) | instskip(SKIP_1) | instid1(VALU_DEP_1)
	v_add_f32_e32 v7, v7, v9
	v_mul_f32_e32 v9, v153, v157
	;; [unrolled: 4-line block ×26, first 2 shown]
	v_fma_f32 v9, v248, v252, -v9
	s_delay_alu instid0(VALU_DEP_1) | instskip(SKIP_2) | instid1(VALU_DEP_1)
	v_add_f32_e32 v7, v7, v9
	s_set_vgpr_msb 4                        ;  msbs: dst=0 src0=0 src1=1 src2=0
	v_mul_f32_e32 v9, v255, v3 /*v259*/
	v_fma_f32 v9, v254, v2 /*v258*/, -v9
	s_set_vgpr_msb 0                        ;  msbs: dst=0 src0=0 src1=0 src2=0
	s_delay_alu instid0(VALU_DEP_1) | instskip(SKIP_2) | instid1(VALU_DEP_1)
	v_add_f32_e32 v7, v7, v9
	s_set_vgpr_msb 5                        ;  msbs: dst=0 src0=1 src1=1 src2=0
	v_mul_f32_e32 v9, v1 /*v257*/, v5 /*v261*/
	v_fma_f32 v9, v0 /*v256*/, v4 /*v260*/, -v9
	s_set_vgpr_msb 0                        ;  msbs: dst=0 src0=0 src1=0 src2=0
	s_delay_alu instid0(VALU_DEP_1) | instskip(SKIP_2) | instid1(VALU_DEP_1)
	v_add_f32_e32 v7, v7, v9
	s_set_vgpr_msb 5                        ;  msbs: dst=0 src0=1 src1=1 src2=0
	v_mul_f32_e32 v9, v7 /*v263*/, v11 /*v267*/
	v_fma_f32 v9, v6 /*v262*/, v10 /*v266*/, -v9
	;; [unrolled: 6-line block ×10, first 2 shown]
	s_set_vgpr_msb 64                       ;  msbs: dst=1 src0=0 src1=0 src2=0
	s_delay_alu instid0(VALU_DEP_1) | instskip(SKIP_3) | instid1(VALU_DEP_1)
	v_add_f32_e32 v66 /*v322*/, v7, v9
	s_set_vgpr_msb 5                        ;  msbs: dst=0 src0=1 src1=1 src2=0
	v_mul_f32_e32 v7, v41 /*v297*/, v45 /*v301*/
	s_set_vgpr_msb 0x45                     ;  msbs: dst=1 src0=1 src1=1 src2=0
	v_fma_f32 v68 /*v324*/, v40 /*v296*/, v44 /*v300*/, -v7
	s_set_vgpr_msb 5                        ;  msbs: dst=0 src0=1 src1=1 src2=0
	v_mul_f32_e32 v7, v47 /*v303*/, v51 /*v307*/
	s_set_vgpr_msb 0x45                     ;  msbs: dst=1 src0=1 src1=1 src2=0
	s_delay_alu instid0(VALU_DEP_1) | instskip(SKIP_3) | instid1(VALU_DEP_1)
	v_fma_f32 v70 /*v326*/, v46 /*v302*/, v50 /*v306*/, -v7
	s_set_vgpr_msb 5                        ;  msbs: dst=0 src0=1 src1=1 src2=0
	v_pk_add_f32 v[132:133], v[66:67] /*v[322:323]*/, v[68:69] /*v[324:325]*/
	s_set_vgpr_msb 4                        ;  msbs: dst=0 src0=0 src1=1 src2=0
	v_pk_add_f32 v[132:133], v[132:133], v[70:71] /*v[326:327]*/
	s_set_vgpr_msb 0                        ;  msbs: dst=0 src0=0 src1=0 src2=0
	s_delay_alu instid0(VALU_DEP_1)
	v_pk_add_f32 v[132:133], v[132:133], v[136:137]
	s_set_vgpr_msb 4                        ;  msbs: dst=0 src0=0 src1=1 src2=0
	v_pk_fma_f32 v[136:137], v[118:119], v[54:55] /*v[310:311]*/, v[134:135] neg_lo:[0,0,1] neg_hi:[0,0,1]
	v_pk_fma_f32 v[118:119], v[118:119], v[54:55] /*v[310:311]*/, v[134:135] op_sel_hi:[1,0,1]
	s_set_vgpr_msb 1                        ;  msbs: dst=0 src0=1 src1=0 src2=0
	v_mov_b32_e32 v134, v57 /*v313*/
	s_set_vgpr_msb 0                        ;  msbs: dst=0 src0=0 src1=0 src2=0
	s_delay_alu instid0(VALU_DEP_2) | instskip(NEXT) | instid1(VALU_DEP_1)
	v_mov_b32_e32 v137, v119
	v_pk_add_f32 v[118:119], v[132:133], v[136:137]
	v_dual_mov_b32 v132, v121 :: v_dual_mov_b32 v133, v120
	s_delay_alu instid0(VALU_DEP_1) | instskip(SKIP_1) | instid1(VALU_DEP_1)
	v_pk_mul_f32 v[132:133], v[132:133], v[134:135] op_sel_hi:[1,0]
	s_set_vgpr_msb 4                        ;  msbs: dst=0 src0=0 src1=1 src2=0
	v_pk_fma_f32 v[134:135], v[120:121], v[56:57] /*v[312:313]*/, v[132:133] neg_lo:[0,0,1] neg_hi:[0,0,1]
	v_pk_fma_f32 v[120:121], v[120:121], v[56:57] /*v[312:313]*/, v[132:133] op_sel_hi:[1,0,1]
	s_delay_alu instid0(VALU_DEP_1) | instskip(SKIP_3) | instid1(VALU_DEP_2)
	v_mov_b32_e32 v135, v121
	s_wait_loadcnt_dscnt 0x202
	v_pk_mul_f32 v[120:121], v[122:123], v[58:59] /*v[314:315]*/ op_sel:[1,1] op_sel_hi:[0,1]
	s_set_vgpr_msb 0                        ;  msbs: dst=0 src0=0 src1=0 src2=0
	v_pk_add_f32 v[118:119], v[118:119], v[134:135]
	s_set_vgpr_msb 4                        ;  msbs: dst=0 src0=0 src1=1 src2=0
	s_delay_alu instid0(VALU_DEP_2)
	v_pk_fma_f32 v[132:133], v[122:123], v[58:59] /*v[314:315]*/, v[120:121] neg_lo:[0,0,1] neg_hi:[0,0,1]
	v_pk_fma_f32 v[120:121], v[122:123], v[58:59] /*v[314:315]*/, v[120:121] op_sel_hi:[1,0,1]
	v_mov_b32_e32 v120, v125
	s_set_vgpr_msb 1                        ;  msbs: dst=0 src0=1 src1=0 src2=0
	v_mov_b32_e32 v122, v61 /*v317*/
	s_set_vgpr_msb 0                        ;  msbs: dst=0 src0=0 src1=0 src2=0
	v_dual_mov_b32 v133, v121 :: v_dual_mov_b32 v121, v124
	s_delay_alu instid0(VALU_DEP_1) | instskip(NEXT) | instid1(VALU_DEP_2)
	v_pk_add_f32 v[118:119], v[118:119], v[132:133]
	v_pk_mul_f32 v[120:121], v[120:121], v[122:123] op_sel_hi:[1,0]
	s_set_vgpr_msb 4                        ;  msbs: dst=0 src0=0 src1=1 src2=0
	s_delay_alu instid0(VALU_DEP_1) | instskip(SKIP_1) | instid1(VALU_DEP_1)
	v_pk_fma_f32 v[122:123], v[124:125], v[60:61] /*v[316:317]*/, v[120:121] neg_lo:[0,0,1] neg_hi:[0,0,1]
	v_pk_fma_f32 v[120:121], v[124:125], v[60:61] /*v[316:317]*/, v[120:121] op_sel_hi:[1,0,1]
	v_mov_b32_e32 v123, v121
	s_wait_loadcnt_dscnt 0x101
	v_pk_mul_f32 v[120:121], v[126:127], v[62:63] /*v[318:319]*/ op_sel:[1,1] op_sel_hi:[0,1]
	s_set_vgpr_msb 0                        ;  msbs: dst=0 src0=0 src1=0 src2=0
	s_delay_alu instid0(VALU_DEP_2) | instskip(SKIP_1) | instid1(VALU_DEP_2)
	v_pk_add_f32 v[118:119], v[118:119], v[122:123]
	s_set_vgpr_msb 4                        ;  msbs: dst=0 src0=0 src1=1 src2=0
	v_pk_fma_f32 v[122:123], v[126:127], v[62:63] /*v[318:319]*/, v[120:121] neg_lo:[0,0,1] neg_hi:[0,0,1]
	v_pk_fma_f32 v[120:121], v[126:127], v[62:63] /*v[318:319]*/, v[120:121] op_sel_hi:[1,0,1]
	s_delay_alu instid0(VALU_DEP_1) | instskip(SKIP_2) | instid1(VALU_DEP_2)
	v_dual_mov_b32 v120, v129 :: v_dual_mov_b32 v123, v121
	v_mov_b32_e32 v121, v128
	s_set_vgpr_msb 0                        ;  msbs: dst=0 src0=0 src1=0 src2=0
	v_pk_add_f32 v[118:119], v[118:119], v[122:123]
	s_set_vgpr_msb 1                        ;  msbs: dst=0 src0=1 src1=0 src2=0
	v_mov_b32_e32 v122, v65 /*v321*/
	s_set_vgpr_msb 0                        ;  msbs: dst=0 src0=0 src1=0 src2=0
	s_delay_alu instid0(VALU_DEP_1) | instskip(SKIP_1) | instid1(VALU_DEP_1)
	v_pk_mul_f32 v[120:121], v[120:121], v[122:123] op_sel_hi:[1,0]
	s_set_vgpr_msb 4                        ;  msbs: dst=0 src0=0 src1=1 src2=0
	v_pk_fma_f32 v[122:123], v[128:129], v[64:65] /*v[320:321]*/, v[120:121] neg_lo:[0,0,1] neg_hi:[0,0,1]
	v_pk_fma_f32 v[120:121], v[128:129], v[64:65] /*v[320:321]*/, v[120:121] op_sel_hi:[1,0,1]
	s_delay_alu instid0(VALU_DEP_1) | instskip(SKIP_3) | instid1(VALU_DEP_2)
	v_mov_b32_e32 v123, v121
	s_wait_loadcnt_dscnt 0x0
	v_pk_mul_f32 v[120:121], v[130:131], v[72:73] /*v[328:329]*/ op_sel:[1,1] op_sel_hi:[0,1]
	s_set_vgpr_msb 0                        ;  msbs: dst=0 src0=0 src1=0 src2=0
	v_pk_add_f32 v[118:119], v[118:119], v[122:123]
	s_set_vgpr_msb 4                        ;  msbs: dst=0 src0=0 src1=1 src2=0
	s_delay_alu instid0(VALU_DEP_2) | instskip(SKIP_1) | instid1(VALU_DEP_1)
	v_pk_fma_f32 v[122:123], v[130:131], v[72:73] /*v[328:329]*/, v[120:121] neg_lo:[0,0,1] neg_hi:[0,0,1]
	v_pk_fma_f32 v[120:121], v[130:131], v[72:73] /*v[328:329]*/, v[120:121] op_sel_hi:[1,0,1]
	v_mov_b32_e32 v123, v121
	scratch_load_b64 v[120:121], off, off offset:16
	s_set_vgpr_msb 0                        ;  msbs: dst=0 src0=0 src1=0 src2=0
	v_pk_add_f32 v[118:119], v[118:119], v[122:123]
	s_wait_loadcnt 0x0
	s_delay_alu instid0(VALU_DEP_1)
	v_pk_add_f32 v[118:119], v[120:121], v[118:119] neg_lo:[0,1] neg_hi:[0,1]
	scratch_store_b64 off, v[118:119], off offset:16
	s_wait_xcnt 0x0
	v_cmpx_lt_u32_e32 1, v0
	s_cbranch_execz .LBB57_359
; %bb.358:
	scratch_load_b64 v[118:119], off, off offset:8
	v_mov_b64_e32 v[120:121], 0
	scratch_store_b64 off, v[120:121], off offset:8
	s_wait_loadcnt 0x0
	ds_store_b64 v1, v[118:119]
.LBB57_359:
	s_wait_xcnt 0x0
	s_or_b32 exec_lo, exec_lo, s0
	s_wait_storecnt_dscnt 0x0
	s_barrier_signal -1
	s_barrier_wait -1
	s_clause 0x19
	scratch_load_b128 v[118:121], off, off offset:16
	scratch_load_b128 v[122:125], off, off offset:32
	;; [unrolled: 1-line block ×26, first 2 shown]
	ds_load_b128 v[222:225], v97 offset:480
	ds_load_b128 v[226:229], v97 offset:496
	;; [unrolled: 1-line block ×9, first 2 shown]
	s_set_vgpr_msb 64                       ;  msbs: dst=1 src0=0 src1=0 src2=0
	ds_load_b128 v[2:5] /*v[258:261]*/, v97 offset:624
	scratch_load_b128 v[6:9] /*v[262:265]*/, off, off offset:432
	ds_load_b128 v[10:13] /*v[266:269]*/, v97 offset:640
	ds_load_b128 v[14:17] /*v[270:273]*/, v97 offset:656
	;; [unrolled: 1-line block ×12, first 2 shown]
	scratch_load_b128 v[58:61] /*v[314:317]*/, off, off offset:448
	s_set_vgpr_msb 0                        ;  msbs: dst=0 src0=0 src1=0 src2=0
	v_ashrrev_i32_e32 v95, 31, v94
	s_set_vgpr_msb 64                       ;  msbs: dst=1 src0=0 src1=0 src2=0
	ds_load_b128 v[62:65] /*v[318:321]*/, v97 offset:864
	ds_load_b128 v[66:69] /*v[322:325]*/, v97 offset:880
	scratch_load_b64 v[70:71] /*v[326:327]*/, off, off offset:8
	s_set_vgpr_msb 0                        ;  msbs: dst=0 src0=0 src1=0 src2=0
	v_dual_ashrrev_i32 v7, 31, v6 :: v_dual_ashrrev_i32 v9, 31, v8
	v_dual_ashrrev_i32 v11, 31, v10 :: v_dual_ashrrev_i32 v13, 31, v12
	;; [unrolled: 1-line block ×22, first 2 shown]
	s_mov_b32 s0, exec_lo
	s_wait_loadcnt_dscnt 0x1c17
	v_dual_mul_f32 v99, v222, v119 :: v_dual_mul_f32 v101, v224, v121
	s_wait_loadcnt_dscnt 0x1b16
	v_dual_mul_f32 v103, v226, v123 :: v_dual_mul_f32 v105, v228, v125
	v_dual_mul_f32 v107, v223, v119 :: v_dual_mul_f32 v109, v225, v121
	;; [unrolled: 1-line block ×3, first 2 shown]
	v_dual_fmac_f32 v99, v223, v118 :: v_dual_fmac_f32 v101, v225, v120
	s_delay_alu instid0(VALU_DEP_3)
	v_dual_fma_f32 v107, v222, v118, -v107 :: v_dual_fma_f32 v109, v224, v120, -v109
	v_fmac_f32_e32 v103, v227, v122
	ds_load_b128 v[118:121], v97 offset:896
	ds_load_b128 v[222:225], v97 offset:912
	v_dual_fmac_f32 v105, v229, v124 :: v_dual_fma_f32 v111, v226, v122, -v111
	s_wait_loadcnt_dscnt 0x1a17
	v_dual_fma_f32 v113, v228, v124, -v113 :: v_dual_mul_f32 v115, v230, v127
	s_wait_loadcnt_dscnt 0x1916
	v_dual_mul_f32 v117, v232, v129 :: v_dual_mul_f32 v226, v234, v131
	v_dual_mul_f32 v227, v236, v133 :: v_dual_mul_f32 v122, v231, v127
	;; [unrolled: 1-line block ×3, first 2 shown]
	v_dual_mul_f32 v133, v237, v133 :: v_dual_fmac_f32 v115, v231, v126
	s_delay_alu instid0(VALU_DEP_3) | instskip(NEXT) | instid1(VALU_DEP_3)
	v_dual_fmac_f32 v117, v233, v128 :: v_dual_fma_f32 v228, v230, v126, -v122
	v_dual_fma_f32 v229, v232, v128, -v123 :: v_dual_fmac_f32 v226, v235, v130
	ds_load_b128 v[122:125], v97 offset:832
	ds_load_b128 v[126:129], v97 offset:848
	s_wait_loadcnt_dscnt 0x1817
	v_dual_fma_f32 v97, v234, v130, -v131 :: v_dual_mul_f32 v232, v240, v137
	v_dual_mul_f32 v231, v238, v135 :: v_dual_mul_f32 v135, v239, v135
	v_mul_f32_e32 v137, v241, v137
	v_dual_fmac_f32 v227, v237, v132 :: v_dual_fma_f32 v230, v236, v132, -v133
	s_delay_alu instid0(VALU_DEP_3) | instskip(NEXT) | instid1(VALU_DEP_3)
	v_dual_fmac_f32 v231, v239, v134 :: v_dual_fmac_f32 v232, v241, v136
	v_dual_fma_f32 v233, v238, v134, -v135 :: v_dual_fma_f32 v234, v240, v136, -v137
	s_wait_dscnt 0x2
	v_dual_mov_b32 v134, v121 :: v_dual_mov_b32 v137, v224
	s_wait_loadcnt 0x17
	v_dual_mul_f32 v235, v242, v139 :: v_dual_mul_f32 v236, v244, v141
	v_dual_mul_f32 v139, v243, v139 :: v_dual_mul_f32 v141, v245, v141
	s_wait_loadcnt 0x16
	v_mul_f32_e32 v237, v246, v143
	s_wait_loadcnt 0x14
	s_set_vgpr_msb 1                        ;  msbs: dst=0 src0=1 src1=0 src2=0
	v_dual_mul_f32 v241, v0 /*v256*/, v153 :: v_dual_add_f32 v107, 0, v107
	s_set_vgpr_msb 0                        ;  msbs: dst=0 src0=0 src1=0 src2=0
	v_dual_fmac_f32 v235, v243, v138 :: v_dual_fmac_f32 v236, v245, v140
	v_dual_fma_f32 v138, v242, v138, -v139 :: v_dual_fma_f32 v139, v244, v140, -v141
	v_dual_mul_f32 v140, v248, v145 :: v_dual_mul_f32 v238, v250, v147
	v_add_f32_e32 v107, v107, v109
	v_dual_mul_f32 v141, v247, v143 :: v_dual_fmac_f32 v237, v247, v142
	s_delay_alu instid0(VALU_DEP_3) | instskip(SKIP_1) | instid1(VALU_DEP_3)
	v_dual_fmac_f32 v140, v249, v144 :: v_dual_mul_f32 v239, v252, v149
	v_add_f32_e32 v99, 0, v99
	v_dual_add_f32 v107, v107, v111 :: v_dual_fma_f32 v141, v246, v142, -v141
	v_dual_mul_f32 v240, v254, v151 :: v_dual_mul_f32 v111, v249, v145
	s_delay_alu instid0(VALU_DEP_3) | instskip(NEXT) | instid1(VALU_DEP_3)
	v_add_f32_e32 v99, v99, v101
	v_dual_add_f32 v107, v107, v113 :: v_dual_fmac_f32 v239, v253, v148
	s_wait_loadcnt_dscnt 0x601
	v_mul_f32_e32 v247, v124, v209
	s_delay_alu instid0(VALU_DEP_3) | instskip(NEXT) | instid1(VALU_DEP_3)
	v_dual_fma_f32 v111, v248, v144, -v111 :: v_dual_add_f32 v99, v99, v103
	v_add_f32_e32 v107, v107, v228
	v_fmac_f32_e32 v238, v251, v146
	s_set_vgpr_msb 1                        ;  msbs: dst=0 src0=1 src1=0 src2=0
	v_dual_mul_f32 v242, v2 /*v258*/, v155 :: v_dual_mul_f32 v101, v4 /*v260*/, v157
	s_set_vgpr_msb 0                        ;  msbs: dst=0 src0=0 src1=0 src2=0
	v_add_f32_e32 v99, v99, v105
	v_add_f32_e32 v107, v107, v229
	s_set_vgpr_msb 1                        ;  msbs: dst=0 src0=1 src1=0 src2=0
	v_dual_mul_f32 v243, v10 /*v266*/, v159 :: v_dual_mul_f32 v109, v12 /*v268*/, v161
	v_dual_mul_f32 v103, v14 /*v270*/, v163 :: v_dual_mul_f32 v105, v16 /*v272*/, v165
	s_set_vgpr_msb 0                        ;  msbs: dst=0 src0=0 src1=0 src2=0
	v_add_f32_e32 v97, v107, v97
	s_set_vgpr_msb 1                        ;  msbs: dst=0 src0=1 src1=0 src2=0
	v_dual_mul_f32 v142, v18 /*v274*/, v167 :: v_dual_mul_f32 v113, v20 /*v276*/, v169
	v_dual_mul_f32 v143, v24 /*v280*/, v173 :: v_dual_mul_f32 v144, v26 /*v282*/, v175
	s_set_vgpr_msb 0                        ;  msbs: dst=0 src0=0 src1=0 src2=0
	v_dual_add_f32 v97, v97, v230 :: v_dual_add_f32 v99, v99, v115
	s_set_vgpr_msb 1                        ;  msbs: dst=0 src0=1 src1=0 src2=0
	v_mul_f32_e32 v115, v22 /*v278*/, v171
	v_dual_mul_f32 v145, v30 /*v286*/, v179 :: v_dual_mul_f32 v228, v32 /*v288*/, v181
	s_set_vgpr_msb 0                        ;  msbs: dst=0 src0=0 src1=0 src2=0
	v_add_f32_e32 v97, v97, v233
	v_add_f32_e32 v99, v99, v117
	s_set_vgpr_msb 1                        ;  msbs: dst=0 src0=1 src1=0 src2=0
	v_mul_f32_e32 v117, v28 /*v284*/, v177
	v_dual_mul_f32 v229, v36 /*v292*/, v185 :: v_dual_mul_f32 v107, v38 /*v294*/, v187
	s_set_vgpr_msb 0                        ;  msbs: dst=0 src0=0 src1=0 src2=0
	v_add_f32_e32 v97, v97, v234
	v_add_f32_e32 v99, v99, v226
	s_set_vgpr_msb 1                        ;  msbs: dst=0 src0=1 src1=0 src2=0
	v_mul_f32_e32 v226, v34 /*v290*/, v183
	v_dual_mul_f32 v244, v42 /*v298*/, v191 :: v_dual_mul_f32 v230, v44 /*v300*/, v193
	s_set_vgpr_msb 0                        ;  msbs: dst=0 src0=0 src1=0 src2=0
	v_dual_add_f32 v97, v97, v138 :: v_dual_add_f32 v99, v99, v227
	v_dual_mul_f32 v138, v251, v147 :: v_dual_mul_f32 v147, v253, v149
	s_set_vgpr_msb 1                        ;  msbs: dst=0 src0=1 src1=0 src2=0
	v_mul_f32_e32 v149, v11 /*v267*/, v159
	s_set_vgpr_msb 0                        ;  msbs: dst=0 src0=0 src1=0 src2=0
	v_add_f32_e32 v97, v97, v139
	v_dual_add_f32 v99, v99, v231 :: v_dual_fma_f32 v138, v250, v146, -v138
	s_wait_loadcnt_dscnt 0x500
	v_dual_fma_f32 v146, v252, v148, -v147 :: v_dual_mul_f32 v139, v126, v211
	s_delay_alu instid0(VALU_DEP_3) | instskip(NEXT) | instid1(VALU_DEP_3)
	v_dual_add_f32 v97, v97, v141 :: v_dual_mul_f32 v147, v255, v151
	v_add_f32_e32 v99, v99, v232
	v_fmac_f32_e32 v240, v255, v150
	s_set_vgpr_msb 1                        ;  msbs: dst=0 src0=1 src1=0 src2=0
	v_mul_f32_e32 v148, v1 /*v257*/, v153
	s_set_vgpr_msb 0                        ;  msbs: dst=0 src0=0 src1=0 src2=0
	v_dual_add_f32 v97, v97, v111 :: v_dual_fma_f32 v147, v254, v150, -v147
	v_add_f32_e32 v99, v99, v235
	s_set_vgpr_msb 1                        ;  msbs: dst=0 src0=1 src1=0 src2=0
	v_dual_mul_f32 v111, v3 /*v259*/, v155 :: v_dual_fmac_f32 v241, v1 /*v257*/, v152
	v_fma_f32 v148, v0 /*v256*/, v152, -v148
	s_set_vgpr_msb 0                        ;  msbs: dst=0 src0=0 src1=0 src2=0
	v_dual_add_f32 v97, v97, v138 :: v_dual_add_f32 v99, v99, v236
	s_set_vgpr_msb 1                        ;  msbs: dst=0 src0=1 src1=0 src2=0
	v_dual_fmac_f32 v242, v3 /*v259*/, v154 :: v_dual_fma_f32 v111, v2 /*v258*/, v154, -v111
	v_mul_f32_e32 v138, v13 /*v269*/, v161
	s_set_vgpr_msb 0                        ;  msbs: dst=0 src0=0 src1=0 src2=0
	v_dual_add_f32 v97, v97, v146 :: v_dual_add_f32 v99, v99, v237
	v_mul_f32_e32 v141, v128, v213
	s_set_vgpr_msb 1                        ;  msbs: dst=0 src0=1 src1=0 src2=0
	v_dual_fmac_f32 v243, v11 /*v267*/, v158 :: v_dual_fma_f32 v149, v10 /*v266*/, v158, -v149
	s_set_vgpr_msb 0                        ;  msbs: dst=0 src0=0 src1=0 src2=0
	v_dual_add_f32 v97, v97, v147 :: v_dual_add_f32 v99, v99, v140
	s_set_vgpr_msb 1                        ;  msbs: dst=0 src0=1 src1=0 src2=0
	v_mul_f32_e32 v140, v5 /*v261*/, v157
	v_mul_f32_e32 v147, v17 /*v273*/, v165
	v_fmac_f32_e32 v101, v5 /*v261*/, v156
	s_set_vgpr_msb 0                        ;  msbs: dst=0 src0=0 src1=0 src2=0
	v_dual_add_f32 v97, v97, v148 :: v_dual_add_f32 v99, v99, v238
	s_set_vgpr_msb 1                        ;  msbs: dst=0 src0=1 src1=0 src2=0
	v_dual_mul_f32 v148, v19 /*v275*/, v167 :: v_dual_fma_f32 v140, v4 /*v260*/, v156, -v140
	v_mul_f32_e32 v146, v15 /*v271*/, v163
	s_set_vgpr_msb 0                        ;  msbs: dst=0 src0=0 src1=0 src2=0
	v_add_f32_e32 v97, v97, v111
	v_add_f32_e32 v99, v99, v239
	s_set_vgpr_msb 1                        ;  msbs: dst=0 src0=1 src1=0 src2=0
	v_mul_f32_e32 v111, v21 /*v277*/, v169
	v_dual_fmac_f32 v109, v13 /*v269*/, v160 :: v_dual_fma_f32 v138, v12 /*v268*/, v160, -v138
	s_set_vgpr_msb 0                        ;  msbs: dst=0 src0=0 src1=0 src2=0
	v_add_f32_e32 v97, v97, v140
	v_add_f32_e32 v99, v99, v240
	s_set_vgpr_msb 1                        ;  msbs: dst=0 src0=1 src1=0 src2=0
	v_dual_mul_f32 v140, v25 /*v281*/, v173 :: v_dual_fmac_f32 v103, v15 /*v271*/, v162
	v_dual_fma_f32 v146, v14 /*v270*/, v162, -v146 :: v_dual_fmac_f32 v105, v17 /*v273*/, v164
	s_set_vgpr_msb 0                        ;  msbs: dst=0 src0=0 src1=0 src2=0
	v_add_f32_e32 v99, v99, v241
	s_set_vgpr_msb 1                        ;  msbs: dst=0 src0=1 src1=0 src2=0
	v_dual_fmac_f32 v142, v19 /*v275*/, v166 :: v_dual_fmac_f32 v113, v21 /*v277*/, v168
	v_fma_f32 v111, v20 /*v276*/, v168, -v111
	v_fmac_f32_e32 v115, v23 /*v279*/, v170
	s_set_vgpr_msb 0                        ;  msbs: dst=0 src0=0 src1=0 src2=0
	v_add_f32_e32 v99, v99, v242
	s_set_vgpr_msb 1                        ;  msbs: dst=0 src0=1 src1=0 src2=0
	v_dual_fmac_f32 v143, v25 /*v281*/, v172 :: v_dual_mul_f32 v227, v40 /*v296*/, v189
	v_dual_fmac_f32 v229, v37 /*v293*/, v184 :: v_dual_fmac_f32 v107, v39 /*v295*/, v186
	s_set_vgpr_msb 0                        ;  msbs: dst=0 src0=0 src1=0 src2=0
	v_add_f32_e32 v99, v99, v101
	s_set_vgpr_msb 1                        ;  msbs: dst=0 src0=1 src1=0 src2=0
	v_mul_f32_e32 v101, v23 /*v279*/, v171
	s_set_vgpr_msb 0                        ;  msbs: dst=0 src0=0 src1=0 src2=0
	v_add_f32_e32 v97, v97, v149
	s_set_vgpr_msb 1                        ;  msbs: dst=0 src0=1 src1=0 src2=0
	v_dual_fmac_f32 v144, v27 /*v283*/, v174 :: v_dual_mul_f32 v231, v46 /*v302*/, v195
	v_mul_f32_e32 v245, v48 /*v304*/, v197
	s_set_vgpr_msb 0                        ;  msbs: dst=0 src0=0 src1=0 src2=0
	v_dual_add_f32 v99, v99, v243 :: v_dual_add_f32 v97, v97, v138
	s_set_vgpr_msb 1                        ;  msbs: dst=0 src0=1 src1=0 src2=0
	v_dual_fma_f32 v138, v16 /*v272*/, v164, -v147 :: v_dual_fma_f32 v101, v22 /*v278*/, v170, -v101
	v_dual_mul_f32 v233, v50 /*v306*/, v199 :: v_dual_mul_f32 v232, v52 /*v308*/, v201
	s_set_vgpr_msb 0                        ;  msbs: dst=0 src0=0 src1=0 src2=0
	v_add_f32_e32 v99, v99, v109
	s_set_vgpr_msb 1                        ;  msbs: dst=0 src0=1 src1=0 src2=0
	v_mul_f32_e32 v109, v27 /*v283*/, v175
	s_set_vgpr_msb 0                        ;  msbs: dst=0 src0=0 src1=0 src2=0
	v_add_f32_e32 v97, v97, v146
	s_set_vgpr_msb 1                        ;  msbs: dst=0 src0=1 src1=0 src2=0
	v_fma_f32 v146, v18 /*v274*/, v166, -v148
	v_fmac_f32_e32 v145, v31 /*v287*/, v178
	s_set_vgpr_msb 0                        ;  msbs: dst=0 src0=0 src1=0 src2=0
	v_add_f32_e32 v99, v99, v103
	s_set_vgpr_msb 1                        ;  msbs: dst=0 src0=1 src1=0 src2=0
	v_mul_f32_e32 v103, v29 /*v285*/, v177
	s_set_vgpr_msb 0                        ;  msbs: dst=0 src0=0 src1=0 src2=0
	v_add_f32_e32 v97, v97, v138
	s_set_vgpr_msb 1                        ;  msbs: dst=0 src0=1 src1=0 src2=0
	v_dual_mul_f32 v138, v33 /*v289*/, v181 :: v_dual_fma_f32 v109, v26 /*v282*/, v174, -v109
	s_set_vgpr_msb 0                        ;  msbs: dst=0 src0=0 src1=0 src2=0
	v_add_f32_e32 v99, v99, v105
	s_set_vgpr_msb 1                        ;  msbs: dst=0 src0=1 src1=0 src2=0
	v_mul_f32_e32 v105, v31 /*v287*/, v179
	s_set_vgpr_msb 0                        ;  msbs: dst=0 src0=0 src1=0 src2=0
	v_add_f32_e32 v97, v97, v146
	s_set_vgpr_msb 1                        ;  msbs: dst=0 src0=1 src1=0 src2=0
	v_dual_fmac_f32 v117, v29 /*v285*/, v176 :: v_dual_fma_f32 v103, v28 /*v284*/, v176, -v103
	s_set_vgpr_msb 0                        ;  msbs: dst=0 src0=0 src1=0 src2=0
	v_add_f32_e32 v99, v99, v142
	s_set_vgpr_msb 1                        ;  msbs: dst=0 src0=1 src1=0 src2=0
	v_fma_f32 v105, v30 /*v286*/, v178, -v105
	s_set_vgpr_msb 0                        ;  msbs: dst=0 src0=0 src1=0 src2=0
	v_add_f32_e32 v97, v97, v111
	s_set_vgpr_msb 1                        ;  msbs: dst=0 src0=1 src1=0 src2=0
	v_dual_mul_f32 v111, v35 /*v291*/, v183 :: v_dual_fmac_f32 v228, v33 /*v289*/, v180
	s_set_vgpr_msb 0                        ;  msbs: dst=0 src0=0 src1=0 src2=0
	v_add_f32_e32 v99, v99, v113
	s_set_vgpr_msb 1                        ;  msbs: dst=0 src0=1 src1=0 src2=0
	v_fma_f32 v113, v24 /*v280*/, v172, -v140
	s_set_vgpr_msb 0                        ;  msbs: dst=0 src0=0 src1=0 src2=0
	v_add_f32_e32 v97, v97, v101
	s_set_vgpr_msb 1                        ;  msbs: dst=0 src0=1 src1=0 src2=0
	v_dual_mul_f32 v101, v37 /*v293*/, v185 :: v_dual_fmac_f32 v226, v35 /*v291*/, v182
	s_set_vgpr_msb 0                        ;  msbs: dst=0 src0=0 src1=0 src2=0
	v_add_f32_e32 v99, v99, v115
	s_set_vgpr_msb 1                        ;  msbs: dst=0 src0=1 src1=0 src2=0
	v_fma_f32 v115, v32 /*v288*/, v180, -v138
	s_set_vgpr_msb 0                        ;  msbs: dst=0 src0=0 src1=0 src2=0
	v_add_f32_e32 v97, v97, v113
	s_set_vgpr_msb 1                        ;  msbs: dst=0 src0=1 src1=0 src2=0
	v_dual_mul_f32 v113, v39 /*v295*/, v187 :: v_dual_fma_f32 v111, v34 /*v290*/, v182, -v111
	s_set_vgpr_msb 0                        ;  msbs: dst=0 src0=0 src1=0 src2=0
	v_add_f32_e32 v99, v99, v143
	s_set_vgpr_msb 1                        ;  msbs: dst=0 src0=1 src1=0 src2=0
	v_fma_f32 v101, v36 /*v292*/, v184, -v101
	s_set_vgpr_msb 0                        ;  msbs: dst=0 src0=0 src1=0 src2=0
	v_add_f32_e32 v97, v97, v109
	s_set_vgpr_msb 1                        ;  msbs: dst=0 src0=1 src1=0 src2=0
	v_dual_mul_f32 v109, v41 /*v297*/, v189 :: v_dual_fma_f32 v113, v38 /*v294*/, v186, -v113
	s_set_vgpr_msb 0                        ;  msbs: dst=0 src0=0 src1=0 src2=0
	v_add_f32_e32 v99, v99, v144
	s_set_vgpr_msb 1                        ;  msbs: dst=0 src0=1 src1=0 src2=0
	v_fmac_f32_e32 v227, v41 /*v297*/, v188
	s_set_vgpr_msb 0                        ;  msbs: dst=0 src0=0 src1=0 src2=0
	v_add_f32_e32 v97, v97, v103
	s_set_vgpr_msb 1                        ;  msbs: dst=0 src0=1 src1=0 src2=0
	v_dual_mul_f32 v103, v43 /*v299*/, v191 :: v_dual_fma_f32 v109, v40 /*v296*/, v188, -v109
	s_set_vgpr_msb 0                        ;  msbs: dst=0 src0=0 src1=0 src2=0
	v_add_f32_e32 v99, v99, v117
	s_set_vgpr_msb 1                        ;  msbs: dst=0 src0=1 src1=0 src2=0
	v_fmac_f32_e32 v244, v43 /*v299*/, v190
	;; [unrolled: 8-line block ×4, first 2 shown]
	s_set_vgpr_msb 0                        ;  msbs: dst=0 src0=0 src1=0 src2=0
	v_add_f32_e32 v97, v97, v111
	s_set_vgpr_msb 1                        ;  msbs: dst=0 src0=1 src1=0 src2=0
	v_dual_mul_f32 v111, v49 /*v305*/, v197 :: v_dual_fmac_f32 v245, v49 /*v305*/, v196
	s_set_vgpr_msb 0                        ;  msbs: dst=0 src0=0 src1=0 src2=0
	v_add_f32_e32 v99, v99, v226
	s_set_vgpr_msb 1                        ;  msbs: dst=0 src0=1 src1=0 src2=0
	v_fmac_f32_e32 v233, v51 /*v307*/, v198
	s_set_vgpr_msb 0                        ;  msbs: dst=0 src0=0 src1=0 src2=0
	v_add_f32_e32 v97, v97, v101
	s_set_vgpr_msb 1                        ;  msbs: dst=0 src0=1 src1=0 src2=0
	v_dual_mul_f32 v101, v51 /*v307*/, v199 :: v_dual_fma_f32 v111, v48 /*v304*/, v196, -v111
	v_dual_mul_f32 v246, v54 /*v310*/, v203 :: v_dual_mul_f32 v234, v56 /*v312*/, v205
	s_set_vgpr_msb 0                        ;  msbs: dst=0 src0=0 src1=0 src2=0
	v_add_f32_e32 v97, v97, v113
	s_set_vgpr_msb 1                        ;  msbs: dst=0 src0=1 src1=0 src2=0
	v_fma_f32 v113, v46 /*v302*/, v194, -v115
	v_dual_fma_f32 v101, v50 /*v306*/, v198, -v101 :: v_dual_fmac_f32 v232, v53 /*v309*/, v200
	v_fmac_f32_e32 v246, v55 /*v311*/, v202
	s_set_vgpr_msb 0                        ;  msbs: dst=0 src0=0 src1=0 src2=0
	v_add_f32_e32 v97, v97, v109
	s_set_vgpr_msb 1                        ;  msbs: dst=0 src0=1 src1=0 src2=0
	v_mul_f32_e32 v109, v55 /*v311*/, v203
	s_set_vgpr_msb 0                        ;  msbs: dst=0 src0=0 src1=0 src2=0
	v_add_f32_e32 v99, v99, v229
	s_set_vgpr_msb 1                        ;  msbs: dst=0 src0=1 src1=0 src2=0
	v_dual_mov_b32 v130, v65 /*v321*/ :: v_dual_mov_b32 v131, v64 /*v320*/
	s_set_vgpr_msb 0                        ;  msbs: dst=0 src0=0 src1=0 src2=0
	v_add_f32_e32 v97, v97, v103
	s_set_vgpr_msb 1                        ;  msbs: dst=0 src0=1 src1=0 src2=0
	v_mul_f32_e32 v103, v57 /*v313*/, v205
	s_set_vgpr_msb 0                        ;  msbs: dst=0 src0=0 src1=0 src2=0
	v_add_f32_e32 v99, v99, v107
	s_set_vgpr_msb 1                        ;  msbs: dst=0 src0=1 src1=0 src2=0
	v_mul_f32_e32 v107, v53 /*v309*/, v201
	s_set_vgpr_msb 0                        ;  msbs: dst=0 src0=0 src1=0 src2=0
	v_dual_mul_f32 v235, v122, v207 :: v_dual_add_f32 v97, v97, v105
	v_mul_f32_e32 v105, v123, v207
	v_add_f32_e32 v99, v99, v227
	s_set_vgpr_msb 1                        ;  msbs: dst=0 src0=1 src1=0 src2=0
	v_fma_f32 v107, v52 /*v308*/, v200, -v107
	s_wait_loadcnt 0x4
	v_pk_mul_f32 v[142:143], v[62:63] /*v[318:319]*/, v[214:215] op_sel:[1,1] op_sel_hi:[0,1]
	s_set_vgpr_msb 0                        ;  msbs: dst=0 src0=0 src1=0 src2=0
	v_add_f32_e32 v97, v97, v113
	v_dual_mul_f32 v113, v125, v209 :: v_dual_add_f32 v99, v99, v244
	v_dual_mov_b32 v144, v217 :: v_dual_fmac_f32 v235, v123, v206
	s_delay_alu instid0(VALU_DEP_3) | instskip(SKIP_1) | instid1(VALU_DEP_4)
	v_add_f32_e32 v97, v97, v111
	v_mul_f32_e32 v111, v127, v211
	v_add_f32_e32 v99, v99, v230
	s_set_vgpr_msb 1                        ;  msbs: dst=0 src0=1 src1=0 src2=0
	v_dual_fma_f32 v109, v54 /*v310*/, v202, -v109 :: v_dual_fmac_f32 v234, v57 /*v313*/, v204
	s_set_vgpr_msb 0                        ;  msbs: dst=0 src0=0 src1=0 src2=0
	v_add_f32_e32 v97, v97, v101
	v_dual_fmac_f32 v141, v129, v212 :: v_dual_add_f32 v99, v99, v231
	v_pk_mul_f32 v[130:131], v[130:131], v[144:145] op_sel_hi:[1,0]
	s_set_vgpr_msb 1                        ;  msbs: dst=0 src0=1 src1=0 src2=0
	v_fma_f32 v103, v56 /*v312*/, v204, -v103
	s_set_vgpr_msb 0                        ;  msbs: dst=0 src0=0 src1=0 src2=0
	v_add_f32_e32 v97, v97, v107
	v_dual_fmac_f32 v247, v125, v208 :: v_dual_add_f32 v99, v99, v245
	v_fmac_f32_e32 v139, v127, v210
	s_delay_alu instid0(VALU_DEP_3)
	v_dual_fma_f32 v138, v126, v210, -v111 :: v_dual_add_f32 v97, v97, v109
	s_set_vgpr_msb 1                        ;  msbs: dst=0 src0=1 src1=0 src2=0
	v_dual_mov_b32 v132, v69 /*v325*/ :: v_dual_mov_b32 v133, v68 /*v324*/
	s_set_vgpr_msb 0                        ;  msbs: dst=0 src0=0 src1=0 src2=0
	v_add_f32_e32 v99, v99, v233
	v_dual_mul_f32 v101, v129, v213 :: v_dual_mov_b32 v135, v120
	v_dual_mov_b32 v136, v225 :: v_dual_ashrrev_i32 v107, 31, v106
	v_ashrrev_i32_e32 v109, 31, v108
	s_delay_alu instid0(VALU_DEP_4) | instskip(NEXT) | instid1(VALU_DEP_4)
	v_add_f32_e32 v99, v99, v232
	v_fma_f32 v140, v128, v212, -v101
	s_set_vgpr_msb 1                        ;  msbs: dst=0 src0=1 src1=0 src2=0
	v_pk_fma_f32 v[128:129], v[62:63] /*v[318:319]*/, v[214:215], v[142:143] op_sel_hi:[1,0,1]
	v_pk_fma_f32 v[142:143], v[62:63] /*v[318:319]*/, v[214:215], v[142:143] neg_lo:[0,0,1] neg_hi:[0,0,1]
	v_ashrrev_i32_e32 v111, 31, v110
	s_set_vgpr_msb 0                        ;  msbs: dst=0 src0=0 src1=0 src2=0
	v_add_f32_e32 v99, v99, v246
	v_dual_ashrrev_i32 v115, 31, v114 :: v_dual_ashrrev_i32 v117, 31, v116
	v_mov_b32_e32 v143, v129
	s_set_vgpr_msb 1                        ;  msbs: dst=0 src0=1 src1=0 src2=0
	v_pk_fma_f32 v[128:129], v[64:65] /*v[320:321]*/, v[216:217], v[130:131] op_sel_hi:[1,0,1]
	s_set_vgpr_msb 0                        ;  msbs: dst=0 src0=0 src1=0 src2=0
	v_add_f32_e32 v99, v99, v234
	s_wait_loadcnt 0x2
	s_set_vgpr_msb 1                        ;  msbs: dst=0 src0=1 src1=0 src2=0
	v_mov_b32_e32 v128, v9 /*v265*/
	s_set_vgpr_msb 0                        ;  msbs: dst=0 src0=0 src1=0 src2=0
	v_dual_fma_f32 v105, v122, v206, -v105 :: v_dual_add_f32 v97, v97, v103
	v_dual_fma_f32 v103, v124, v208, -v113 :: v_dual_add_f32 v99, v99, v235
	v_mov_b32_e32 v124, v221
	s_set_vgpr_msb 1                        ;  msbs: dst=0 src0=1 src1=0 src2=0
	v_pk_fma_f32 v[130:131], v[64:65] /*v[320:321]*/, v[216:217], v[130:131] neg_lo:[0,0,1] neg_hi:[0,0,1]
	s_set_vgpr_msb 0                        ;  msbs: dst=0 src0=0 src1=0 src2=0
	v_add_f32_e32 v97, v97, v105
	v_dual_mov_b32 v131, v129 :: v_dual_add_f32 v127, v99, v247
	s_set_vgpr_msb 1                        ;  msbs: dst=0 src0=1 src1=0 src2=0
	v_pk_mul_f32 v[122:123], v[66:67] /*v[322:323]*/, v[218:219] op_sel:[1,1] op_sel_hi:[0,1]
	s_set_vgpr_msb 0                        ;  msbs: dst=0 src0=0 src1=0 src2=0
	v_pk_mul_f32 v[124:125], v[132:133], v[124:125] op_sel_hi:[1,0]
	v_add_f32_e32 v126, v97, v103
	v_pk_mul_f32 v[128:129], v[134:135], v[128:129] op_sel_hi:[1,0]
	v_dual_ashrrev_i32 v97, 31, v96 :: v_dual_ashrrev_i32 v99, 31, v98
	s_set_vgpr_msb 1                        ;  msbs: dst=0 src0=1 src1=0 src2=0
	v_pk_fma_f32 v[132:133], v[68:69] /*v[324:325]*/, v[220:221], v[124:125] op_sel_hi:[1,0,1]
	s_set_vgpr_msb 0                        ;  msbs: dst=0 src0=0 src1=0 src2=0
	v_pk_add_f32 v[126:127], v[126:127], v[138:139]
	s_set_vgpr_msb 4                        ;  msbs: dst=0 src0=0 src1=1 src2=0
	v_pk_mul_f32 v[138:139], v[118:119], v[6:7] /*v[262:263]*/ op_sel:[1,1] op_sel_hi:[0,1]
	s_set_vgpr_msb 1                        ;  msbs: dst=0 src0=1 src1=0 src2=0
	v_pk_fma_f32 v[124:125], v[68:69] /*v[324:325]*/, v[220:221], v[124:125] neg_lo:[0,0,1] neg_hi:[0,0,1]
	v_dual_ashrrev_i32 v103, 31, v102 :: v_dual_ashrrev_i32 v105, 31, v104
	s_set_vgpr_msb 0                        ;  msbs: dst=0 src0=0 src1=0 src2=0
	v_pk_add_f32 v[126:127], v[126:127], v[140:141]
	s_set_vgpr_msb 1                        ;  msbs: dst=0 src0=1 src1=0 src2=0
	v_pk_fma_f32 v[140:141], v[66:67] /*v[322:323]*/, v[218:219], v[122:123] op_sel_hi:[1,0,1]
	v_pk_fma_f32 v[122:123], v[66:67] /*v[322:323]*/, v[218:219], v[122:123] neg_lo:[0,0,1] neg_hi:[0,0,1]
	v_ashrrev_i32_e32 v113, 31, v112
	s_set_vgpr_msb 0                        ;  msbs: dst=0 src0=0 src1=0 src2=0
	v_pk_add_f32 v[126:127], v[126:127], v[142:143]
	v_mov_b32_e32 v123, v141
	s_delay_alu instid0(VALU_DEP_2)
	v_pk_add_f32 v[126:127], v[126:127], v[130:131]
	s_set_vgpr_msb 4                        ;  msbs: dst=0 src0=0 src1=1 src2=0
	v_pk_fma_f32 v[130:131], v[118:119], v[6:7] /*v[262:263]*/, v[138:139] op_sel_hi:[1,0,1]
	v_pk_fma_f32 v[118:119], v[118:119], v[6:7] /*v[262:263]*/, v[138:139] neg_lo:[0,0,1] neg_hi:[0,0,1]
	s_set_vgpr_msb 0                        ;  msbs: dst=0 src0=0 src1=0 src2=0
	v_pk_add_f32 v[122:123], v[126:127], v[122:123]
	s_delay_alu instid0(VALU_DEP_3)
	v_mov_b32_e32 v119, v131
	s_set_vgpr_msb 4                        ;  msbs: dst=0 src0=0 src1=1 src2=0
	v_pk_fma_f32 v[130:131], v[120:121], v[8:9] /*v[264:265]*/, v[128:129] op_sel_hi:[1,0,1]
	v_mov_b32_e32 v125, v133
	v_pk_fma_f32 v[120:121], v[120:121], v[8:9] /*v[264:265]*/, v[128:129] neg_lo:[0,0,1] neg_hi:[0,0,1]
	s_wait_loadcnt 0x1
	v_pk_mul_f32 v[126:127], v[222:223], v[58:59] /*v[314:315]*/ op_sel:[1,1] op_sel_hi:[0,1]
	v_mov_b32_e32 v121, v131
	s_set_vgpr_msb 0                        ;  msbs: dst=0 src0=0 src1=0 src2=0
	v_pk_add_f32 v[122:123], v[122:123], v[124:125]
	s_set_vgpr_msb 1                        ;  msbs: dst=0 src0=1 src1=0 src2=0
	v_mov_b32_e32 v124, v61 /*v317*/
	s_set_vgpr_msb 4                        ;  msbs: dst=0 src0=0 src1=1 src2=0
	v_pk_fma_f32 v[132:133], v[222:223], v[58:59] /*v[314:315]*/, v[126:127] op_sel_hi:[1,0,1]
	s_set_vgpr_msb 0                        ;  msbs: dst=0 src0=0 src1=0 src2=0
	v_pk_add_f32 v[118:119], v[122:123], v[118:119]
	v_pk_mul_f32 v[122:123], v[136:137], v[124:125] op_sel_hi:[1,0]
	s_set_vgpr_msb 4                        ;  msbs: dst=0 src0=0 src1=1 src2=0
	v_pk_fma_f32 v[124:125], v[222:223], v[58:59] /*v[314:315]*/, v[126:127] neg_lo:[0,0,1] neg_hi:[0,0,1]
	v_mov_b32_e32 v125, v133
	s_set_vgpr_msb 0                        ;  msbs: dst=0 src0=0 src1=0 src2=0
	v_pk_add_f32 v[118:119], v[118:119], v[120:121]
	s_set_vgpr_msb 4                        ;  msbs: dst=0 src0=0 src1=1 src2=0
	v_pk_fma_f32 v[120:121], v[224:225], v[60:61] /*v[316:317]*/, v[122:123] op_sel_hi:[1,0,1]
	v_pk_fma_f32 v[122:123], v[224:225], v[60:61] /*v[316:317]*/, v[122:123] neg_lo:[0,0,1] neg_hi:[0,0,1]
	s_set_vgpr_msb 0                        ;  msbs: dst=0 src0=0 src1=0 src2=0
	v_ashrrev_i32_e32 v101, 31, v100
	v_pk_add_f32 v[118:119], v[118:119], v[124:125]
	v_mov_b32_e32 v123, v121
	s_delay_alu instid0(VALU_DEP_1) | instskip(SKIP_2) | instid1(VALU_DEP_1)
	v_pk_add_f32 v[118:119], v[118:119], v[122:123]
	s_wait_loadcnt 0x0
	s_set_vgpr_msb 1                        ;  msbs: dst=0 src0=1 src1=0 src2=0
	v_pk_add_f32 v[118:119], v[70:71] /*v[326:327]*/, v[118:119] neg_lo:[0,1] neg_hi:[0,1]
	scratch_store_b64 off, v[118:119], off offset:8
	s_wait_xcnt 0x0
	v_cmpx_ne_u32_e32 0, v0
	s_set_vgpr_msb 0                        ;  msbs: dst=0 src0=0 src1=0 src2=0
	s_cbranch_execz .LBB57_361
; %bb.360:
	scratch_load_b64 v[118:119], off, off
	v_mov_b64_e32 v[120:121], 0
	scratch_store_b64 off, v[120:121], off
	s_wait_loadcnt 0x0
	ds_store_b64 v1, v[118:119]
.LBB57_361:
	s_wait_xcnt 0x0
	s_or_b32 exec_lo, exec_lo, s0
	s_wait_storecnt_dscnt 0x0
	s_barrier_signal -1
	s_barrier_wait -1
	s_clause 0xf
	scratch_load_b128 v[124:127], off, off offset:8
	scratch_load_b128 v[132:135], off, off offset:24
	;; [unrolled: 1-line block ×16, first 2 shown]
	v_mov_b32_e32 v118, 0
	s_clause 0x4
	scratch_load_b128 v[252:255], off, off offset:264
	s_set_vgpr_msb 64                       ;  msbs: dst=1 src0=0 src1=0 src2=0
	scratch_load_b128 v[4:7] /*v[260:263]*/, off, off offset:280
	scratch_load_b128 v[12:15] /*v[268:271]*/, off, off offset:296
	;; [unrolled: 1-line block ×3, first 2 shown]
	s_set_vgpr_msb 0                        ;  msbs: dst=0 src0=0 src1=0 src2=0
	ds_load_2addr_b64 v[120:123], v118 offset0:59 offset1:60
	ds_load_2addr_b64 v[128:131], v118 offset0:61 offset1:62
	s_set_vgpr_msb 64                       ;  msbs: dst=1 src0=0 src1=0 src2=0
	s_clause 0x4
	scratch_load_b128 v[28:31] /*v[284:287]*/, off, off offset:328
	scratch_load_b128 v[36:39] /*v[292:295]*/, off, off offset:344
	;; [unrolled: 1-line block ×5, first 2 shown]
	s_and_b32 vcc_lo, exec_lo, s18
	s_wait_loadcnt_dscnt 0x1801
	s_set_vgpr_msb 0                        ;  msbs: dst=0 src0=0 src1=0 src2=0
	v_dual_mul_f32 v0, v120, v125 :: v_dual_mul_f32 v1, v122, v127
	ds_load_2addr_b64 v[136:139], v118 offset0:63 offset1:64
	ds_load_2addr_b64 v[144:147], v118 offset0:65 offset1:66
	ds_load_2addr_b64 v[152:155], v118 offset0:67 offset1:68
	ds_load_2addr_b64 v[160:163], v118 offset0:69 offset1:70
	v_dual_fmac_f32 v0, v121, v124 :: v_dual_fmac_f32 v1, v123, v126
	ds_load_2addr_b64 v[168:171], v118 offset0:71 offset1:72
	ds_load_2addr_b64 v[176:179], v118 offset0:73 offset1:74
	;; [unrolled: 1-line block ×4, first 2 shown]
	v_add_f32_e32 v0, 0, v0
	ds_load_2addr_b64 v[200:203], v118 offset0:79 offset1:80
	ds_load_2addr_b64 v[208:211], v118 offset0:81 offset1:82
	;; [unrolled: 1-line block ×4, first 2 shown]
	v_add_f32_e32 v0, v0, v1
	s_wait_loadcnt_dscnt 0x170c
	v_mul_f32_e32 v1, v128, v133
	ds_load_2addr_b64 v[232:235], v118 offset0:87 offset1:88
	ds_load_2addr_b64 v[240:243], v118 offset0:89 offset1:90
	;; [unrolled: 1-line block ×3, first 2 shown]
	s_set_vgpr_msb 64                       ;  msbs: dst=1 src0=0 src1=0 src2=0
	ds_load_2addr_b64 v[0:3] /*v[256:259]*/, v118 offset0:93 offset1:94
	s_set_vgpr_msb 0                        ;  msbs: dst=0 src0=0 src1=0 src2=0
	v_fmac_f32_e32 v1, v129, v132
	s_set_vgpr_msb 64                       ;  msbs: dst=1 src0=0 src1=0 src2=0
	ds_load_2addr_b64 v[8:11] /*v[264:267]*/, v118 offset0:95 offset1:96
	ds_load_2addr_b64 v[16:19] /*v[272:275]*/, v118 offset0:97 offset1:98
	;; [unrolled: 1-line block ×4, first 2 shown]
	s_set_vgpr_msb 0                        ;  msbs: dst=0 src0=0 src1=0 src2=0
	v_dual_add_f32 v0, v0, v1 :: v_dual_mul_f32 v1, v130, v135
	s_set_vgpr_msb 64                       ;  msbs: dst=1 src0=0 src1=0 src2=0
	ds_load_2addr_b64 v[40:43] /*v[296:299]*/, v118 offset0:103 offset1:104
	ds_load_2addr_b64 v[48:51] /*v[304:307]*/, v118 offset0:105 offset1:106
	s_set_vgpr_msb 0                        ;  msbs: dst=0 src0=0 src1=0 src2=0
	v_mul_f32_e32 v119, v123, v127
	s_set_vgpr_msb 64                       ;  msbs: dst=1 src0=0 src1=0 src2=0
	ds_load_2addr_b64 v[56:59] /*v[312:315]*/, v118 offset0:107 offset1:108
	s_set_vgpr_msb 0                        ;  msbs: dst=0 src0=0 src1=0 src2=0
	v_fmac_f32_e32 v1, v131, v134
	s_set_vgpr_msb 64                       ;  msbs: dst=1 src0=0 src1=0 src2=0
	s_clause 0x3
	scratch_load_b128 v[64:67] /*v[320:323]*/, off, off offset:408
	scratch_load_b128 v[68:71] /*v[324:327]*/, off, off offset:424
	;; [unrolled: 1-line block ×3, first 2 shown]
	scratch_load_b64 v[80:81] /*v[336:337]*/, off, off offset:456
	s_set_vgpr_msb 0                        ;  msbs: dst=0 src0=0 src1=0 src2=0
	v_dual_fma_f32 v119, v122, v126, -v119 :: v_dual_add_f32 v0, v0, v1
	s_wait_loadcnt_dscnt 0x1a16
	v_mul_f32_e32 v1, v136, v141
	s_delay_alu instid0(VALU_DEP_1) | instskip(NEXT) | instid1(VALU_DEP_1)
	v_fmac_f32_e32 v1, v137, v140
	v_dual_add_f32 v0, v0, v1 :: v_dual_mul_f32 v1, v138, v143
	s_wait_loadcnt_dscnt 0x400
	s_set_vgpr_msb 0x45                     ;  msbs: dst=1 src0=1 src1=1 src2=0
	v_dual_mul_f32 v77 /*v333*/, v50 /*v306*/, v55 /*v311*/ :: v_dual_mul_f32 v79 /*v335*/, v56 /*v312*/, v61 /*v317*/
	s_set_vgpr_msb 0                        ;  msbs: dst=0 src0=0 src1=0 src2=0
	v_fmac_f32_e32 v1, v139, v142
	s_set_vgpr_msb 0x45                     ;  msbs: dst=1 src0=1 src1=1 src2=0
	s_delay_alu instid0(VALU_DEP_2) | instskip(SKIP_1) | instid1(VALU_DEP_2)
	v_dual_fmac_f32 v77 /*v333*/, v51 /*v307*/, v54 /*v310*/ :: v_dual_fmac_f32 v79 /*v335*/, v57 /*v313*/, v60 /*v316*/
	s_set_vgpr_msb 0                        ;  msbs: dst=0 src0=0 src1=0 src2=0
	v_add_f32_e32 v0, v0, v1
	v_mul_f32_e32 v1, v144, v149
	s_delay_alu instid0(VALU_DEP_1) | instskip(NEXT) | instid1(VALU_DEP_1)
	v_fmac_f32_e32 v1, v145, v148
	v_dual_add_f32 v0, v0, v1 :: v_dual_mul_f32 v1, v146, v151
	s_delay_alu instid0(VALU_DEP_1) | instskip(NEXT) | instid1(VALU_DEP_1)
	v_fmac_f32_e32 v1, v147, v150
	v_add_f32_e32 v0, v0, v1
	v_mul_f32_e32 v1, v152, v157
	s_delay_alu instid0(VALU_DEP_1) | instskip(NEXT) | instid1(VALU_DEP_1)
	v_fmac_f32_e32 v1, v153, v156
	v_dual_add_f32 v0, v0, v1 :: v_dual_mul_f32 v1, v154, v159
	s_delay_alu instid0(VALU_DEP_1) | instskip(NEXT) | instid1(VALU_DEP_1)
	v_fmac_f32_e32 v1, v155, v158
	;; [unrolled: 7-line block ×14, first 2 shown]
	v_add_f32_e32 v0, v0, v1
	s_set_vgpr_msb 5                        ;  msbs: dst=0 src0=1 src1=1 src2=0
	v_mul_f32_e32 v1, v0 /*v256*/, v5 /*v261*/
	s_delay_alu instid0(VALU_DEP_1) | instskip(SKIP_1) | instid1(VALU_DEP_1)
	v_fmac_f32_e32 v1, v1 /*v257*/, v4 /*v260*/
	s_set_vgpr_msb 0                        ;  msbs: dst=0 src0=0 src1=0 src2=0
	v_add_f32_e32 v0, v0, v1
	s_set_vgpr_msb 5                        ;  msbs: dst=0 src0=1 src1=1 src2=0
	v_mul_f32_e32 v1, v2 /*v258*/, v7 /*v263*/
	s_delay_alu instid0(VALU_DEP_1) | instskip(SKIP_1) | instid1(VALU_DEP_1)
	v_fmac_f32_e32 v1, v3 /*v259*/, v6 /*v262*/
	s_set_vgpr_msb 0                        ;  msbs: dst=0 src0=0 src1=0 src2=0
	v_add_f32_e32 v0, v0, v1
	s_set_vgpr_msb 5                        ;  msbs: dst=0 src0=1 src1=1 src2=0
	v_mul_f32_e32 v1, v8 /*v264*/, v13 /*v269*/
	s_delay_alu instid0(VALU_DEP_1) | instskip(SKIP_1) | instid1(VALU_DEP_1)
	v_fmac_f32_e32 v1, v9 /*v265*/, v12 /*v268*/
	s_set_vgpr_msb 0                        ;  msbs: dst=0 src0=0 src1=0 src2=0
	v_add_f32_e32 v0, v0, v1
	s_set_vgpr_msb 5                        ;  msbs: dst=0 src0=1 src1=1 src2=0
	v_mul_f32_e32 v1, v10 /*v266*/, v15 /*v271*/
	s_delay_alu instid0(VALU_DEP_1) | instskip(SKIP_1) | instid1(VALU_DEP_1)
	v_fmac_f32_e32 v1, v11 /*v267*/, v14 /*v270*/
	s_set_vgpr_msb 0                        ;  msbs: dst=0 src0=0 src1=0 src2=0
	v_add_f32_e32 v0, v0, v1
	s_set_vgpr_msb 5                        ;  msbs: dst=0 src0=1 src1=1 src2=0
	v_mul_f32_e32 v1, v16 /*v272*/, v21 /*v277*/
	s_delay_alu instid0(VALU_DEP_1) | instskip(SKIP_1) | instid1(VALU_DEP_1)
	v_fmac_f32_e32 v1, v17 /*v273*/, v20 /*v276*/
	s_set_vgpr_msb 0                        ;  msbs: dst=0 src0=0 src1=0 src2=0
	v_add_f32_e32 v0, v0, v1
	s_set_vgpr_msb 5                        ;  msbs: dst=0 src0=1 src1=1 src2=0
	v_mul_f32_e32 v1, v18 /*v274*/, v23 /*v279*/
	s_delay_alu instid0(VALU_DEP_1) | instskip(SKIP_1) | instid1(VALU_DEP_1)
	v_fmac_f32_e32 v1, v19 /*v275*/, v22 /*v278*/
	s_set_vgpr_msb 0                        ;  msbs: dst=0 src0=0 src1=0 src2=0
	v_add_f32_e32 v0, v0, v1
	s_set_vgpr_msb 5                        ;  msbs: dst=0 src0=1 src1=1 src2=0
	v_mul_f32_e32 v1, v24 /*v280*/, v29 /*v285*/
	s_delay_alu instid0(VALU_DEP_1) | instskip(SKIP_1) | instid1(VALU_DEP_1)
	v_fmac_f32_e32 v1, v25 /*v281*/, v28 /*v284*/
	s_set_vgpr_msb 0                        ;  msbs: dst=0 src0=0 src1=0 src2=0
	v_add_f32_e32 v0, v0, v1
	s_set_vgpr_msb 5                        ;  msbs: dst=0 src0=1 src1=1 src2=0
	v_mul_f32_e32 v1, v26 /*v282*/, v31 /*v287*/
	s_delay_alu instid0(VALU_DEP_1) | instskip(SKIP_1) | instid1(VALU_DEP_1)
	v_fmac_f32_e32 v1, v27 /*v283*/, v30 /*v286*/
	s_set_vgpr_msb 0                        ;  msbs: dst=0 src0=0 src1=0 src2=0
	v_add_f32_e32 v0, v0, v1
	s_set_vgpr_msb 5                        ;  msbs: dst=0 src0=1 src1=1 src2=0
	v_mul_f32_e32 v1, v32 /*v288*/, v37 /*v293*/
	s_delay_alu instid0(VALU_DEP_1) | instskip(SKIP_1) | instid1(VALU_DEP_1)
	v_fmac_f32_e32 v1, v33 /*v289*/, v36 /*v292*/
	s_set_vgpr_msb 0                        ;  msbs: dst=0 src0=0 src1=0 src2=0
	v_add_f32_e32 v0, v0, v1
	s_set_vgpr_msb 5                        ;  msbs: dst=0 src0=1 src1=1 src2=0
	v_mul_f32_e32 v1, v34 /*v290*/, v39 /*v295*/
	s_delay_alu instid0(VALU_DEP_1) | instskip(SKIP_1) | instid1(VALU_DEP_1)
	v_fmac_f32_e32 v1, v35 /*v291*/, v38 /*v294*/
	s_set_vgpr_msb 0                        ;  msbs: dst=0 src0=0 src1=0 src2=0
	v_add_f32_e32 v0, v0, v1
	s_set_vgpr_msb 5                        ;  msbs: dst=0 src0=1 src1=1 src2=0
	v_mul_f32_e32 v1, v40 /*v296*/, v45 /*v301*/
	s_delay_alu instid0(VALU_DEP_1) | instskip(SKIP_1) | instid1(VALU_DEP_1)
	v_fmac_f32_e32 v1, v41 /*v297*/, v44 /*v300*/
	s_set_vgpr_msb 0                        ;  msbs: dst=0 src0=0 src1=0 src2=0
	v_add_f32_e32 v0, v0, v1
	s_set_vgpr_msb 5                        ;  msbs: dst=0 src0=1 src1=1 src2=0
	v_mul_f32_e32 v1, v42 /*v298*/, v47 /*v303*/
	s_delay_alu instid0(VALU_DEP_1) | instskip(SKIP_1) | instid1(VALU_DEP_1)
	v_fmac_f32_e32 v1, v43 /*v299*/, v46 /*v302*/
	s_set_vgpr_msb 0                        ;  msbs: dst=0 src0=0 src1=0 src2=0
	v_add_f32_e32 v0, v0, v1
	s_set_vgpr_msb 5                        ;  msbs: dst=0 src0=1 src1=1 src2=0
	v_mul_f32_e32 v1, v48 /*v304*/, v53 /*v309*/
	s_delay_alu instid0(VALU_DEP_1) | instskip(SKIP_1) | instid1(VALU_DEP_1)
	v_fmac_f32_e32 v1, v49 /*v305*/, v52 /*v308*/
	s_set_vgpr_msb 0                        ;  msbs: dst=0 src0=0 src1=0 src2=0
	v_add_f32_e32 v1, v0, v1
	v_mul_f32_e32 v0, v121, v125
	s_delay_alu instid0(VALU_DEP_1) | instskip(NEXT) | instid1(VALU_DEP_1)
	v_fma_f32 v0, v120, v124, -v0
	v_add_f32_e32 v0, 0, v0
	s_delay_alu instid0(VALU_DEP_1) | instskip(NEXT) | instid1(VALU_DEP_1)
	v_dual_add_f32 v0, v0, v119 :: v_dual_mul_f32 v119, v129, v133
	v_fma_f32 v119, v128, v132, -v119
	s_delay_alu instid0(VALU_DEP_1) | instskip(SKIP_4) | instid1(VALU_DEP_2)
	v_add_f32_e32 v0, v0, v119
	v_mul_f32_e32 v119, v131, v135
	s_set_vgpr_msb 1                        ;  msbs: dst=0 src0=1 src1=0 src2=0
	v_mov_b32_e32 v135, v58 /*v314*/
	s_set_vgpr_msb 0                        ;  msbs: dst=0 src0=0 src1=0 src2=0
	v_fma_f32 v119, v130, v134, -v119
	s_set_vgpr_msb 1                        ;  msbs: dst=0 src0=1 src1=0 src2=0
	v_mov_b32_e32 v134, v59 /*v315*/
	s_set_vgpr_msb 0                        ;  msbs: dst=0 src0=0 src1=0 src2=0
	ds_load_2addr_b64 v[120:123], v118 offset0:109 offset1:110
	ds_load_2addr_b64 v[124:127], v118 offset0:111 offset1:112
	;; [unrolled: 1-line block ×3, first 2 shown]
	ds_load_b64 v[132:133], v118 offset:920
	v_dual_add_f32 v0, v0, v119 :: v_dual_mul_f32 v119, v137, v141
	s_delay_alu instid0(VALU_DEP_1) | instskip(SKIP_3) | instid1(VALU_DEP_2)
	v_fma_f32 v119, v136, v140, -v119
	s_set_vgpr_msb 1                        ;  msbs: dst=0 src0=1 src1=0 src2=0
	v_mov_b32_e32 v136, v63 /*v319*/
	s_set_vgpr_msb 0                        ;  msbs: dst=0 src0=0 src1=0 src2=0
	v_add_f32_e32 v0, v0, v119
	v_mul_f32_e32 v119, v139, v143
	s_delay_alu instid0(VALU_DEP_3) | instskip(NEXT) | instid1(VALU_DEP_2)
	v_pk_mul_f32 v[134:135], v[134:135], v[136:137] op_sel_hi:[1,0]
	v_fma_f32 v119, v138, v142, -v119
	s_set_vgpr_msb 5                        ;  msbs: dst=0 src0=1 src1=1 src2=0
	s_delay_alu instid0(VALU_DEP_2) | instskip(SKIP_3) | instid1(VALU_DEP_2)
	v_pk_fma_f32 v[136:137], v[58:59] /*v[314:315]*/, v[62:63] /*v[318:319]*/, v[134:135] neg_lo:[0,0,1] neg_hi:[0,0,1]
	v_pk_fma_f32 v[134:135], v[58:59] /*v[314:315]*/, v[62:63] /*v[318:319]*/, v[134:135] op_sel_hi:[1,0,1]
	s_set_vgpr_msb 0                        ;  msbs: dst=0 src0=0 src1=0 src2=0
	v_dual_add_f32 v0, v0, v119 :: v_dual_mul_f32 v119, v145, v149
	v_mov_b32_e32 v137, v135
	s_wait_loadcnt_dscnt 0x303
	s_set_vgpr_msb 4                        ;  msbs: dst=0 src0=0 src1=1 src2=0
	v_pk_mul_f32 v[134:135], v[120:121], v[64:65] /*v[320:321]*/ op_sel:[1,1] op_sel_hi:[0,1]
	s_set_vgpr_msb 0                        ;  msbs: dst=0 src0=0 src1=0 src2=0
	v_fma_f32 v119, v144, v148, -v119
	s_delay_alu instid0(VALU_DEP_1) | instskip(SKIP_1) | instid1(VALU_DEP_1)
	v_add_f32_e32 v0, v0, v119
	v_mul_f32_e32 v119, v147, v151
	v_fma_f32 v119, v146, v150, -v119
	s_delay_alu instid0(VALU_DEP_1) | instskip(NEXT) | instid1(VALU_DEP_1)
	v_dual_add_f32 v0, v0, v119 :: v_dual_mul_f32 v119, v153, v157
	v_fma_f32 v119, v152, v156, -v119
	s_delay_alu instid0(VALU_DEP_1) | instskip(SKIP_1) | instid1(VALU_DEP_1)
	v_add_f32_e32 v0, v0, v119
	v_mul_f32_e32 v119, v155, v159
	v_fma_f32 v119, v154, v158, -v119
	s_delay_alu instid0(VALU_DEP_1) | instskip(NEXT) | instid1(VALU_DEP_1)
	v_dual_add_f32 v0, v0, v119 :: v_dual_mul_f32 v119, v161, v165
	;; [unrolled: 7-line block ×13, first 2 shown]
	v_fma_f32 v119, v248, v252, -v119
	s_delay_alu instid0(VALU_DEP_1) | instskip(SKIP_1) | instid1(VALU_DEP_1)
	v_add_f32_e32 v0, v0, v119
	v_mul_f32_e32 v119, v251, v255
	v_fma_f32 v119, v250, v254, -v119
	s_delay_alu instid0(VALU_DEP_1) | instskip(SKIP_2) | instid1(VALU_DEP_1)
	v_add_f32_e32 v0, v0, v119
	s_set_vgpr_msb 5                        ;  msbs: dst=0 src0=1 src1=1 src2=0
	v_mul_f32_e32 v119, v1 /*v257*/, v5 /*v261*/
	v_fma_f32 v119, v0 /*v256*/, v4 /*v260*/, -v119
	s_set_vgpr_msb 0                        ;  msbs: dst=0 src0=0 src1=0 src2=0
	s_delay_alu instid0(VALU_DEP_1) | instskip(SKIP_2) | instid1(VALU_DEP_1)
	v_add_f32_e32 v0, v0, v119
	s_set_vgpr_msb 5                        ;  msbs: dst=0 src0=1 src1=1 src2=0
	v_mul_f32_e32 v119, v3 /*v259*/, v7 /*v263*/
	v_fma_f32 v119, v2 /*v258*/, v6 /*v262*/, -v119
	s_set_vgpr_msb 0                        ;  msbs: dst=0 src0=0 src1=0 src2=0
	;; [unrolled: 6-line block ×13, first 2 shown]
	s_delay_alu instid0(VALU_DEP_1) | instskip(SKIP_3) | instid1(VALU_DEP_1)
	v_add_f32_e32 v0, v0, v119
	s_set_vgpr_msb 5                        ;  msbs: dst=0 src0=1 src1=1 src2=0
	v_mul_f32_e32 v119, v51 /*v307*/, v55 /*v311*/
	s_set_vgpr_msb 0x45                     ;  msbs: dst=1 src0=1 src1=1 src2=0
	v_fma_f32 v76 /*v332*/, v50 /*v306*/, v54 /*v310*/, -v119
	s_set_vgpr_msb 5                        ;  msbs: dst=0 src0=1 src1=1 src2=0
	v_mul_f32_e32 v119, v57 /*v313*/, v61 /*v317*/
	s_set_vgpr_msb 0x45                     ;  msbs: dst=1 src0=1 src1=1 src2=0
	s_delay_alu instid0(VALU_DEP_1) | instskip(SKIP_2) | instid1(VALU_DEP_1)
	v_fma_f32 v78 /*v334*/, v56 /*v312*/, v60 /*v316*/, -v119
	s_set_vgpr_msb 4                        ;  msbs: dst=0 src0=0 src1=1 src2=0
	v_pk_add_f32 v[0:1], v[0:1], v[76:77] /*v[332:333]*/
	v_pk_add_f32 v[0:1], v[0:1], v[78:79] /*v[334:335]*/
	s_set_vgpr_msb 0                        ;  msbs: dst=0 src0=0 src1=0 src2=0
	s_delay_alu instid0(VALU_DEP_1)
	v_pk_add_f32 v[0:1], v[0:1], v[136:137]
	s_set_vgpr_msb 4                        ;  msbs: dst=0 src0=0 src1=1 src2=0
	v_pk_fma_f32 v[136:137], v[120:121], v[64:65] /*v[320:321]*/, v[134:135] neg_lo:[0,0,1] neg_hi:[0,0,1]
	v_pk_fma_f32 v[120:121], v[120:121], v[64:65] /*v[320:321]*/, v[134:135] op_sel_hi:[1,0,1]
	v_mov_b32_e32 v120, v123
	s_set_vgpr_msb 1                        ;  msbs: dst=0 src0=1 src1=0 src2=0
	v_mov_b32_e32 v134, v67 /*v323*/
	s_set_vgpr_msb 0                        ;  msbs: dst=0 src0=0 src1=0 src2=0
	v_dual_mov_b32 v137, v121 :: v_dual_mov_b32 v121, v122
	s_delay_alu instid0(VALU_DEP_1) | instskip(NEXT) | instid1(VALU_DEP_2)
	v_pk_add_f32 v[0:1], v[0:1], v[136:137]
	v_pk_mul_f32 v[120:121], v[120:121], v[134:135] op_sel_hi:[1,0]
	s_set_vgpr_msb 4                        ;  msbs: dst=0 src0=0 src1=1 src2=0
	s_delay_alu instid0(VALU_DEP_1) | instskip(SKIP_1) | instid1(VALU_DEP_1)
	v_pk_fma_f32 v[134:135], v[122:123], v[66:67] /*v[322:323]*/, v[120:121] neg_lo:[0,0,1] neg_hi:[0,0,1]
	v_pk_fma_f32 v[120:121], v[122:123], v[66:67] /*v[322:323]*/, v[120:121] op_sel_hi:[1,0,1]
	v_mov_b32_e32 v135, v121
	s_wait_loadcnt_dscnt 0x202
	v_pk_mul_f32 v[120:121], v[124:125], v[68:69] /*v[324:325]*/ op_sel:[1,1] op_sel_hi:[0,1]
	s_set_vgpr_msb 0                        ;  msbs: dst=0 src0=0 src1=0 src2=0
	s_delay_alu instid0(VALU_DEP_2) | instskip(SKIP_1) | instid1(VALU_DEP_2)
	v_pk_add_f32 v[0:1], v[0:1], v[134:135]
	s_set_vgpr_msb 4                        ;  msbs: dst=0 src0=0 src1=1 src2=0
	v_pk_fma_f32 v[122:123], v[124:125], v[68:69] /*v[324:325]*/, v[120:121] neg_lo:[0,0,1] neg_hi:[0,0,1]
	v_pk_fma_f32 v[120:121], v[124:125], v[68:69] /*v[324:325]*/, v[120:121] op_sel_hi:[1,0,1]
	s_delay_alu instid0(VALU_DEP_1) | instskip(SKIP_2) | instid1(VALU_DEP_2)
	v_dual_mov_b32 v120, v127 :: v_dual_mov_b32 v123, v121
	v_mov_b32_e32 v121, v126
	s_set_vgpr_msb 0                        ;  msbs: dst=0 src0=0 src1=0 src2=0
	v_pk_add_f32 v[0:1], v[0:1], v[122:123]
	s_set_vgpr_msb 1                        ;  msbs: dst=0 src0=1 src1=0 src2=0
	v_mov_b32_e32 v122, v71 /*v327*/
	s_set_vgpr_msb 0                        ;  msbs: dst=0 src0=0 src1=0 src2=0
	s_delay_alu instid0(VALU_DEP_1) | instskip(SKIP_1) | instid1(VALU_DEP_1)
	v_pk_mul_f32 v[120:121], v[120:121], v[122:123] op_sel_hi:[1,0]
	s_set_vgpr_msb 4                        ;  msbs: dst=0 src0=0 src1=1 src2=0
	v_pk_fma_f32 v[122:123], v[126:127], v[70:71] /*v[326:327]*/, v[120:121] neg_lo:[0,0,1] neg_hi:[0,0,1]
	v_pk_fma_f32 v[120:121], v[126:127], v[70:71] /*v[326:327]*/, v[120:121] op_sel_hi:[1,0,1]
	s_delay_alu instid0(VALU_DEP_1) | instskip(SKIP_3) | instid1(VALU_DEP_2)
	v_mov_b32_e32 v123, v121
	s_wait_loadcnt_dscnt 0x101
	v_pk_mul_f32 v[120:121], v[128:129], v[72:73] /*v[328:329]*/ op_sel:[1,1] op_sel_hi:[0,1]
	s_set_vgpr_msb 0                        ;  msbs: dst=0 src0=0 src1=0 src2=0
	v_pk_add_f32 v[0:1], v[0:1], v[122:123]
	s_set_vgpr_msb 4                        ;  msbs: dst=0 src0=0 src1=1 src2=0
	s_delay_alu instid0(VALU_DEP_2) | instskip(SKIP_1) | instid1(VALU_DEP_1)
	v_pk_fma_f32 v[122:123], v[128:129], v[72:73] /*v[328:329]*/, v[120:121] neg_lo:[0,0,1] neg_hi:[0,0,1]
	v_pk_fma_f32 v[120:121], v[128:129], v[72:73] /*v[328:329]*/, v[120:121] op_sel_hi:[1,0,1]
	v_dual_mov_b32 v120, v131 :: v_dual_mov_b32 v123, v121
	v_mov_b32_e32 v121, v130
	s_set_vgpr_msb 0                        ;  msbs: dst=0 src0=0 src1=0 src2=0
	s_delay_alu instid0(VALU_DEP_2) | instskip(SKIP_3) | instid1(VALU_DEP_1)
	v_pk_add_f32 v[0:1], v[0:1], v[122:123]
	s_set_vgpr_msb 1                        ;  msbs: dst=0 src0=1 src1=0 src2=0
	v_mov_b32_e32 v122, v75 /*v331*/
	s_set_vgpr_msb 0                        ;  msbs: dst=0 src0=0 src1=0 src2=0
	v_pk_mul_f32 v[120:121], v[120:121], v[122:123] op_sel_hi:[1,0]
	s_set_vgpr_msb 4                        ;  msbs: dst=0 src0=0 src1=1 src2=0
	s_delay_alu instid0(VALU_DEP_1) | instskip(SKIP_1) | instid1(VALU_DEP_1)
	v_pk_fma_f32 v[122:123], v[130:131], v[74:75] /*v[330:331]*/, v[120:121] neg_lo:[0,0,1] neg_hi:[0,0,1]
	v_pk_fma_f32 v[120:121], v[130:131], v[74:75] /*v[330:331]*/, v[120:121] op_sel_hi:[1,0,1]
	v_mov_b32_e32 v123, v121
	s_wait_loadcnt_dscnt 0x0
	v_pk_mul_f32 v[120:121], v[132:133], v[80:81] /*v[336:337]*/ op_sel:[1,1] op_sel_hi:[0,1]
	s_set_vgpr_msb 0                        ;  msbs: dst=0 src0=0 src1=0 src2=0
	s_delay_alu instid0(VALU_DEP_2) | instskip(SKIP_1) | instid1(VALU_DEP_2)
	v_pk_add_f32 v[0:1], v[0:1], v[122:123]
	s_set_vgpr_msb 4                        ;  msbs: dst=0 src0=0 src1=1 src2=0
	v_pk_fma_f32 v[122:123], v[132:133], v[80:81] /*v[336:337]*/, v[120:121] neg_lo:[0,0,1] neg_hi:[0,0,1]
	v_pk_fma_f32 v[120:121], v[132:133], v[80:81] /*v[336:337]*/, v[120:121] op_sel_hi:[1,0,1]
	s_delay_alu instid0(VALU_DEP_1) | instskip(SKIP_4) | instid1(VALU_DEP_1)
	v_mov_b32_e32 v123, v121
	scratch_load_b64 v[120:121], off, off
	s_set_vgpr_msb 0                        ;  msbs: dst=0 src0=0 src1=0 src2=0
	v_pk_add_f32 v[0:1], v[0:1], v[122:123]
	s_wait_loadcnt 0x0
	v_pk_add_f32 v[0:1], v[120:121], v[0:1] neg_lo:[0,1] neg_hi:[0,1]
	scratch_store_b64 off, v[0:1], off
	s_cbranch_vccz .LBB57_476
; %bb.362:
	global_load_b32 v0, v118, s[2:3] offset:224
	s_wait_loadcnt 0x0
	v_cmp_ne_u32_e32 vcc_lo, 57, v0
	s_cbranch_vccz .LBB57_364
; %bb.363:
	v_lshlrev_b32_e32 v0, 3, v0
	s_delay_alu instid0(VALU_DEP_1)
	v_mov_b32_e32 v120, v0
	scratch_load_b64 v[0:1], v120, off offset:-8
	scratch_load_b64 v[118:119], off, off offset:448
	s_wait_loadcnt 0x1
	scratch_store_b64 off, v[0:1], off offset:448
	s_wait_loadcnt 0x0
	scratch_store_b64 v120, v[118:119], off offset:-8
.LBB57_364:
	s_wait_xcnt 0x1
	v_mov_b32_e32 v0, 0
	global_load_b32 v1, v0, s[2:3] offset:220
	s_wait_loadcnt 0x0
	v_cmp_eq_u32_e32 vcc_lo, 56, v1
	s_cbranch_vccnz .LBB57_366
; %bb.365:
	v_lshlrev_b32_e32 v1, 3, v1
	scratch_load_b64 v[118:119], v1, off offset:-8
	scratch_load_b64 v[120:121], off, off offset:440
	s_wait_loadcnt 0x1
	scratch_store_b64 off, v[118:119], off offset:440
	s_wait_loadcnt 0x0
	scratch_store_b64 v1, v[120:121], off offset:-8
.LBB57_366:
	global_load_b32 v0, v0, s[2:3] offset:216
	s_wait_loadcnt 0x0
	v_cmp_eq_u32_e32 vcc_lo, 55, v0
	s_cbranch_vccnz .LBB57_368
; %bb.367:
	s_wait_xcnt 0x0
	v_lshlrev_b32_e32 v0, 3, v0
	s_delay_alu instid0(VALU_DEP_1)
	v_mov_b32_e32 v120, v0
	scratch_load_b64 v[0:1], v120, off offset:-8
	scratch_load_b64 v[118:119], off, off offset:432
	s_wait_loadcnt 0x1
	scratch_store_b64 off, v[0:1], off offset:432
	s_wait_loadcnt 0x0
	scratch_store_b64 v120, v[118:119], off offset:-8
.LBB57_368:
	s_wait_xcnt 0x0
	v_mov_b32_e32 v0, 0
	global_load_b32 v1, v0, s[2:3] offset:212
	s_wait_loadcnt 0x0
	v_cmp_eq_u32_e32 vcc_lo, 54, v1
	s_cbranch_vccnz .LBB57_370
; %bb.369:
	v_lshlrev_b32_e32 v1, 3, v1
	scratch_load_b64 v[118:119], v1, off offset:-8
	scratch_load_b64 v[120:121], off, off offset:424
	s_wait_loadcnt 0x1
	scratch_store_b64 off, v[118:119], off offset:424
	s_wait_loadcnt 0x0
	scratch_store_b64 v1, v[120:121], off offset:-8
.LBB57_370:
	global_load_b32 v0, v0, s[2:3] offset:208
	s_wait_loadcnt 0x0
	v_cmp_eq_u32_e32 vcc_lo, 53, v0
	s_cbranch_vccnz .LBB57_372
; %bb.371:
	s_wait_xcnt 0x0
	v_lshlrev_b32_e32 v0, 3, v0
	s_delay_alu instid0(VALU_DEP_1)
	v_mov_b32_e32 v120, v0
	scratch_load_b64 v[0:1], v120, off offset:-8
	scratch_load_b64 v[118:119], off, off offset:416
	s_wait_loadcnt 0x1
	scratch_store_b64 off, v[0:1], off offset:416
	s_wait_loadcnt 0x0
	scratch_store_b64 v120, v[118:119], off offset:-8
.LBB57_372:
	;; [unrolled: 31-line block ×27, first 2 shown]
	s_wait_xcnt 0x0
	v_mov_b32_e32 v0, 0
	global_load_b32 v1, v0, s[2:3] offset:4
	s_wait_loadcnt 0x0
	v_cmp_eq_u32_e32 vcc_lo, 2, v1
	s_cbranch_vccnz .LBB57_474
; %bb.473:
	v_lshlrev_b32_e32 v1, 3, v1
	scratch_load_b64 v[118:119], v1, off offset:-8
	scratch_load_b64 v[120:121], off, off offset:8
	s_wait_loadcnt 0x1
	scratch_store_b64 off, v[118:119], off offset:8
	s_wait_loadcnt 0x0
	scratch_store_b64 v1, v[120:121], off offset:-8
.LBB57_474:
	global_load_b32 v118, v0, s[2:3]
	scratch_load_b64 v[0:1], off, off
	s_wait_loadcnt 0x1
	v_cmp_eq_u32_e32 vcc_lo, 1, v118
	s_cbranch_vccnz .LBB57_476
; %bb.475:
	v_lshlrev_b32_e32 v118, 3, v118
	s_delay_alu instid0(VALU_DEP_1)
	v_mov_b32_e32 v120, v118
	scratch_load_b64 v[118:119], v120, off offset:-8
	s_wait_loadcnt 0x0
	scratch_store_b64 off, v[118:119], off
	scratch_store_b64 v120, v[0:1], off offset:-8
	scratch_load_b64 v[0:1], off, off
.LBB57_476:
	s_clause 0x1c
	scratch_load_b128 v[118:121], off, off offset:8
	scratch_load_b128 v[122:125], off, off offset:24
	scratch_load_b128 v[126:129], off, off offset:40
	scratch_load_b128 v[130:133], off, off offset:56
	scratch_load_b128 v[134:137], off, off offset:72
	scratch_load_b128 v[138:141], off, off offset:88
	scratch_load_b128 v[142:145], off, off offset:104
	scratch_load_b128 v[146:149], off, off offset:120
	scratch_load_b128 v[150:153], off, off offset:136
	scratch_load_b128 v[154:157], off, off offset:152
	scratch_load_b128 v[158:161], off, off offset:168
	scratch_load_b128 v[162:165], off, off offset:184
	scratch_load_b128 v[166:169], off, off offset:200
	scratch_load_b128 v[170:173], off, off offset:216
	scratch_load_b128 v[174:177], off, off offset:232
	scratch_load_b128 v[178:181], off, off offset:248
	scratch_load_b128 v[182:185], off, off offset:264
	scratch_load_b128 v[186:189], off, off offset:280
	scratch_load_b128 v[190:193], off, off offset:296
	scratch_load_b128 v[194:197], off, off offset:312
	scratch_load_b128 v[198:201], off, off offset:328
	scratch_load_b128 v[202:205], off, off offset:344
	scratch_load_b128 v[206:209], off, off offset:360
	scratch_load_b128 v[210:213], off, off offset:376
	scratch_load_b128 v[214:217], off, off offset:392
	scratch_load_b128 v[218:221], off, off offset:408
	scratch_load_b128 v[222:225], off, off offset:424
	scratch_load_b128 v[226:229], off, off offset:440
	scratch_load_b64 v[230:231], off, off offset:456
	v_lshl_add_u64 v[6:7], v[6:7], 3, s[4:5]
	v_lshl_add_u64 v[8:9], v[8:9], 3, s[4:5]
	;; [unrolled: 1-line block ×56, first 2 shown]
	s_wait_loadcnt 0x1d
	global_store_b64 v[2:3], v[0:1], off
	s_wait_loadcnt 0x1c
	s_clause 0x1
	global_store_b64 v[4:5], v[118:119], off
	global_store_b64 v[6:7], v[120:121], off
	s_wait_loadcnt 0x1b
	s_clause 0x1
	global_store_b64 v[8:9], v[122:123], off
	;; [unrolled: 4-line block ×28, first 2 shown]
	global_store_b64 v[114:115], v[228:229], off
	s_wait_loadcnt 0x0
	global_store_b64 v[116:117], v[230:231], off
	s_sendmsg sendmsg(MSG_DEALLOC_VGPRS)
	s_endpgm
	.section	.rodata,"a",@progbits
	.p2align	6, 0x0
	.amdhsa_kernel _ZN9rocsolver6v33100L18getri_kernel_smallILi58E19rocblas_complex_numIfEPS3_EEvT1_iilPiilS6_bb
		.amdhsa_group_segment_fixed_size 932
		.amdhsa_private_segment_fixed_size 480
		.amdhsa_kernarg_size 60
		.amdhsa_user_sgpr_count 2
		.amdhsa_user_sgpr_dispatch_ptr 0
		.amdhsa_user_sgpr_queue_ptr 0
		.amdhsa_user_sgpr_kernarg_segment_ptr 1
		.amdhsa_user_sgpr_dispatch_id 0
		.amdhsa_user_sgpr_kernarg_preload_length 0
		.amdhsa_user_sgpr_kernarg_preload_offset 0
		.amdhsa_user_sgpr_private_segment_size 0
		.amdhsa_wavefront_size32 1
		.amdhsa_uses_dynamic_stack 0
		.amdhsa_enable_private_segment 1
		.amdhsa_system_sgpr_workgroup_id_x 1
		.amdhsa_system_sgpr_workgroup_id_y 0
		.amdhsa_system_sgpr_workgroup_id_z 0
		.amdhsa_system_sgpr_workgroup_info 0
		.amdhsa_system_vgpr_workitem_id 0
		.amdhsa_next_free_vgpr 348
		.amdhsa_next_free_sgpr 19
		.amdhsa_named_barrier_count 0
		.amdhsa_reserve_vcc 1
		.amdhsa_float_round_mode_32 0
		.amdhsa_float_round_mode_16_64 0
		.amdhsa_float_denorm_mode_32 3
		.amdhsa_float_denorm_mode_16_64 3
		.amdhsa_fp16_overflow 0
		.amdhsa_memory_ordered 1
		.amdhsa_forward_progress 1
		.amdhsa_inst_pref_size 255
		.amdhsa_round_robin_scheduling 0
		.amdhsa_exception_fp_ieee_invalid_op 0
		.amdhsa_exception_fp_denorm_src 0
		.amdhsa_exception_fp_ieee_div_zero 0
		.amdhsa_exception_fp_ieee_overflow 0
		.amdhsa_exception_fp_ieee_underflow 0
		.amdhsa_exception_fp_ieee_inexact 0
		.amdhsa_exception_int_div_zero 0
	.end_amdhsa_kernel
	.section	.text._ZN9rocsolver6v33100L18getri_kernel_smallILi58E19rocblas_complex_numIfEPS3_EEvT1_iilPiilS6_bb,"axG",@progbits,_ZN9rocsolver6v33100L18getri_kernel_smallILi58E19rocblas_complex_numIfEPS3_EEvT1_iilPiilS6_bb,comdat
.Lfunc_end57:
	.size	_ZN9rocsolver6v33100L18getri_kernel_smallILi58E19rocblas_complex_numIfEPS3_EEvT1_iilPiilS6_bb, .Lfunc_end57-_ZN9rocsolver6v33100L18getri_kernel_smallILi58E19rocblas_complex_numIfEPS3_EEvT1_iilPiilS6_bb
                                        ; -- End function
	.set _ZN9rocsolver6v33100L18getri_kernel_smallILi58E19rocblas_complex_numIfEPS3_EEvT1_iilPiilS6_bb.num_vgpr, 348
	.set _ZN9rocsolver6v33100L18getri_kernel_smallILi58E19rocblas_complex_numIfEPS3_EEvT1_iilPiilS6_bb.num_agpr, 0
	.set _ZN9rocsolver6v33100L18getri_kernel_smallILi58E19rocblas_complex_numIfEPS3_EEvT1_iilPiilS6_bb.numbered_sgpr, 19
	.set _ZN9rocsolver6v33100L18getri_kernel_smallILi58E19rocblas_complex_numIfEPS3_EEvT1_iilPiilS6_bb.num_named_barrier, 0
	.set _ZN9rocsolver6v33100L18getri_kernel_smallILi58E19rocblas_complex_numIfEPS3_EEvT1_iilPiilS6_bb.private_seg_size, 480
	.set _ZN9rocsolver6v33100L18getri_kernel_smallILi58E19rocblas_complex_numIfEPS3_EEvT1_iilPiilS6_bb.uses_vcc, 1
	.set _ZN9rocsolver6v33100L18getri_kernel_smallILi58E19rocblas_complex_numIfEPS3_EEvT1_iilPiilS6_bb.uses_flat_scratch, 1
	.set _ZN9rocsolver6v33100L18getri_kernel_smallILi58E19rocblas_complex_numIfEPS3_EEvT1_iilPiilS6_bb.has_dyn_sized_stack, 0
	.set _ZN9rocsolver6v33100L18getri_kernel_smallILi58E19rocblas_complex_numIfEPS3_EEvT1_iilPiilS6_bb.has_recursion, 0
	.set _ZN9rocsolver6v33100L18getri_kernel_smallILi58E19rocblas_complex_numIfEPS3_EEvT1_iilPiilS6_bb.has_indirect_call, 0
	.section	.AMDGPU.csdata,"",@progbits
; Kernel info:
; codeLenInByte = 122508
; TotalNumSgprs: 21
; NumVgprs: 348
; ScratchSize: 480
; MemoryBound: 0
; FloatMode: 240
; IeeeMode: 1
; LDSByteSize: 932 bytes/workgroup (compile time only)
; SGPRBlocks: 0
; VGPRBlocks: 21
; NumSGPRsForWavesPerEU: 21
; NumVGPRsForWavesPerEU: 348
; NamedBarCnt: 0
; Occupancy: 2
; WaveLimiterHint : 1
; COMPUTE_PGM_RSRC2:SCRATCH_EN: 1
; COMPUTE_PGM_RSRC2:USER_SGPR: 2
; COMPUTE_PGM_RSRC2:TRAP_HANDLER: 0
; COMPUTE_PGM_RSRC2:TGID_X_EN: 1
; COMPUTE_PGM_RSRC2:TGID_Y_EN: 0
; COMPUTE_PGM_RSRC2:TGID_Z_EN: 0
; COMPUTE_PGM_RSRC2:TIDIG_COMP_CNT: 0
	.section	.text._ZN9rocsolver6v33100L18getri_kernel_smallILi59E19rocblas_complex_numIfEPS3_EEvT1_iilPiilS6_bb,"axG",@progbits,_ZN9rocsolver6v33100L18getri_kernel_smallILi59E19rocblas_complex_numIfEPS3_EEvT1_iilPiilS6_bb,comdat
	.globl	_ZN9rocsolver6v33100L18getri_kernel_smallILi59E19rocblas_complex_numIfEPS3_EEvT1_iilPiilS6_bb ; -- Begin function _ZN9rocsolver6v33100L18getri_kernel_smallILi59E19rocblas_complex_numIfEPS3_EEvT1_iilPiilS6_bb
	.p2align	8
	.type	_ZN9rocsolver6v33100L18getri_kernel_smallILi59E19rocblas_complex_numIfEPS3_EEvT1_iilPiilS6_bb,@function
_ZN9rocsolver6v33100L18getri_kernel_smallILi59E19rocblas_complex_numIfEPS3_EEvT1_iilPiilS6_bb: ; @_ZN9rocsolver6v33100L18getri_kernel_smallILi59E19rocblas_complex_numIfEPS3_EEvT1_iilPiilS6_bb
; %bb.0:
	s_mov_b32 s2, exec_lo
	v_cmpx_gt_u32_e32 59, v0
	s_cbranch_execz .LBB58_250
; %bb.1:
	s_clause 0x2
	s_load_b32 s2, s[0:1], 0x38
	s_load_b128 s[12:15], s[0:1], 0x10
	s_load_b128 s[4:7], s[0:1], 0x28
	s_getreg_b32 s9, hwreg(HW_REG_IB_STS2, 6, 4)
	s_wait_kmcnt 0x0
	s_bitcmp1_b32 s2, 8
	s_cselect_b32 s18, -1, 0
	s_bfe_u32 s3, ttmp6, 0x4000c
	s_and_b32 s8, ttmp6, 15
	s_add_co_i32 s3, s3, 1
	s_delay_alu instid0(SALU_CYCLE_1) | instskip(NEXT) | instid1(SALU_CYCLE_1)
	s_mul_i32 s3, ttmp9, s3
	s_add_co_i32 s8, s8, s3
	s_cmp_eq_u32 s9, 0
	s_cselect_b32 s16, ttmp9, s8
	s_bfe_u32 s2, s2, 0x10008
	s_ashr_i32 s17, s16, 31
	s_cmp_eq_u32 s2, 0
                                        ; implicit-def: $sgpr2_sgpr3
	s_cbranch_scc1 .LBB58_3
; %bb.2:
	s_load_b32 s2, s[0:1], 0x20
	s_mul_u64 s[4:5], s[4:5], s[16:17]
	s_delay_alu instid0(SALU_CYCLE_1) | instskip(NEXT) | instid1(SALU_CYCLE_1)
	s_lshl_b64 s[4:5], s[4:5], 2
	s_add_nc_u64 s[4:5], s[14:15], s[4:5]
	s_wait_kmcnt 0x0
	s_ashr_i32 s3, s2, 31
	s_delay_alu instid0(SALU_CYCLE_1) | instskip(NEXT) | instid1(SALU_CYCLE_1)
	s_lshl_b64 s[2:3], s[2:3], 2
	s_add_nc_u64 s[2:3], s[4:5], s[2:3]
.LBB58_3:
	s_clause 0x1
	s_load_b128 s[8:11], s[0:1], 0x0
	s_load_b32 s14, s[0:1], 0x38
	s_wait_xcnt 0x0
	s_mul_u64 s[0:1], s[12:13], s[16:17]
	v_lshlrev_b32_e32 v120, 3, v0
	s_lshl_b64 s[0:1], s[0:1], 3
	v_mov_b32_e32 v121, 0
	s_wait_kmcnt 0x0
	v_add3_u32 v6, s11, s11, v0
	s_ashr_i32 s5, s10, 31
	s_mov_b32 s4, s10
	s_add_nc_u64 s[0:1], s[8:9], s[0:1]
	s_lshl_b64 s[4:5], s[4:5], 3
	v_add_nc_u32_e32 v8, s11, v6
	s_add_nc_u64 s[4:5], s[0:1], s[4:5]
	s_ashr_i32 s1, s11, 31
	s_mov_b32 s0, s11
	s_bitcmp0_b32 s14, 0
	v_add_nc_u32_e32 v10, s11, v8
	v_add_nc_u64_e32 v[2:3], s[4:5], v[120:121]
	s_delay_alu instid0(VALU_DEP_2) | instskip(NEXT) | instid1(VALU_DEP_2)
	v_add_nc_u32_e32 v12, s11, v10
	v_lshl_add_u64 v[4:5], s[0:1], 3, v[2:3]
	s_mov_b32 s1, -1
	s_delay_alu instid0(VALU_DEP_2) | instskip(SKIP_4) | instid1(VALU_DEP_1)
	v_add_nc_u32_e32 v14, s11, v12
	s_clause 0x1
	global_load_b64 v[122:123], v0, s[4:5] scale_offset
	global_load_b64 v[124:125], v[4:5], off
	v_add_nc_u32_e32 v16, s11, v14
	v_add_nc_u32_e32 v18, s11, v16
	s_clause 0x3
	global_load_b64 v[126:127], v6, s[4:5] scale_offset
	global_load_b64 v[128:129], v8, s[4:5] scale_offset
	global_load_b64 v[130:131], v10, s[4:5] scale_offset
	global_load_b64 v[132:133], v12, s[4:5] scale_offset
	v_add_nc_u32_e32 v20, s11, v18
	s_delay_alu instid0(VALU_DEP_1) | instskip(NEXT) | instid1(VALU_DEP_1)
	v_add_nc_u32_e32 v22, s11, v20
	v_add_nc_u32_e32 v24, s11, v22
	s_delay_alu instid0(VALU_DEP_1)
	v_add_nc_u32_e32 v26, s11, v24
	s_clause 0x3
	global_load_b64 v[134:135], v14, s[4:5] scale_offset
	global_load_b64 v[136:137], v16, s[4:5] scale_offset
	global_load_b64 v[138:139], v18, s[4:5] scale_offset
	global_load_b64 v[140:141], v20, s[4:5] scale_offset
	v_add_nc_u32_e32 v28, s11, v26
	s_delay_alu instid0(VALU_DEP_1)
	v_add_nc_u32_e32 v30, s11, v28
	s_clause 0x3
	global_load_b64 v[142:143], v22, s[4:5] scale_offset
	global_load_b64 v[144:145], v24, s[4:5] scale_offset
	global_load_b64 v[146:147], v26, s[4:5] scale_offset
	global_load_b64 v[148:149], v28, s[4:5] scale_offset
	v_add_nc_u32_e32 v32, s11, v30
	s_delay_alu instid0(VALU_DEP_1) | instskip(NEXT) | instid1(VALU_DEP_1)
	v_add_nc_u32_e32 v34, s11, v32
	v_add_nc_u32_e32 v36, s11, v34
	s_delay_alu instid0(VALU_DEP_1) | instskip(NEXT) | instid1(VALU_DEP_1)
	v_add_nc_u32_e32 v38, s11, v36
	v_add_nc_u32_e32 v40, s11, v38
	s_delay_alu instid0(VALU_DEP_1)
	v_add_nc_u32_e32 v42, s11, v40
	s_clause 0x3
	global_load_b64 v[150:151], v30, s[4:5] scale_offset
	global_load_b64 v[152:153], v32, s[4:5] scale_offset
	global_load_b64 v[154:155], v34, s[4:5] scale_offset
	global_load_b64 v[156:157], v36, s[4:5] scale_offset
	v_add_nc_u32_e32 v44, s11, v42
	s_delay_alu instid0(VALU_DEP_1) | instskip(NEXT) | instid1(VALU_DEP_1)
	v_add_nc_u32_e32 v46, s11, v44
	v_add_nc_u32_e32 v48, s11, v46
	s_delay_alu instid0(VALU_DEP_1)
	v_add_nc_u32_e32 v50, s11, v48
	s_clause 0x3
	global_load_b64 v[158:159], v38, s[4:5] scale_offset
	global_load_b64 v[160:161], v40, s[4:5] scale_offset
	global_load_b64 v[162:163], v42, s[4:5] scale_offset
	global_load_b64 v[164:165], v44, s[4:5] scale_offset
	v_add_nc_u32_e32 v52, s11, v50
	s_delay_alu instid0(VALU_DEP_1)
	v_add_nc_u32_e32 v54, s11, v52
	s_clause 0x3
	global_load_b64 v[166:167], v46, s[4:5] scale_offset
	global_load_b64 v[168:169], v48, s[4:5] scale_offset
	global_load_b64 v[170:171], v50, s[4:5] scale_offset
	global_load_b64 v[172:173], v52, s[4:5] scale_offset
	v_add_nc_u32_e32 v56, s11, v54
	s_delay_alu instid0(VALU_DEP_1) | instskip(NEXT) | instid1(VALU_DEP_1)
	v_add_nc_u32_e32 v58, s11, v56
	v_add_nc_u32_e32 v60, s11, v58
	s_delay_alu instid0(VALU_DEP_1) | instskip(NEXT) | instid1(VALU_DEP_1)
	v_add_nc_u32_e32 v62, s11, v60
	v_add_nc_u32_e32 v64, s11, v62
	s_delay_alu instid0(VALU_DEP_1)
	;; [unrolled: 33-line block ×3, first 2 shown]
	v_add_nc_u32_e32 v90, s11, v88
	s_clause 0x3
	global_load_b64 v[198:199], v78, s[4:5] scale_offset
	global_load_b64 v[200:201], v80, s[4:5] scale_offset
	;; [unrolled: 1-line block ×4, first 2 shown]
	v_add_nc_u32_e32 v92, s11, v90
	s_delay_alu instid0(VALU_DEP_1)
	v_add_nc_u32_e32 v94, s11, v92
	s_clause 0x3
	global_load_b64 v[206:207], v86, s[4:5] scale_offset
	global_load_b64 v[208:209], v88, s[4:5] scale_offset
	;; [unrolled: 1-line block ×4, first 2 shown]
	v_add_nc_u32_e32 v96, s11, v94
	s_delay_alu instid0(VALU_DEP_1) | instskip(NEXT) | instid1(VALU_DEP_1)
	v_add_nc_u32_e32 v98, s11, v96
	v_add_nc_u32_e32 v100, s11, v98
	s_delay_alu instid0(VALU_DEP_1) | instskip(NEXT) | instid1(VALU_DEP_1)
	v_add_nc_u32_e32 v102, s11, v100
	v_add_nc_u32_e32 v104, s11, v102
	s_delay_alu instid0(VALU_DEP_1)
	v_add_nc_u32_e32 v106, s11, v104
	s_clause 0x3
	global_load_b64 v[214:215], v94, s[4:5] scale_offset
	global_load_b64 v[216:217], v96, s[4:5] scale_offset
	;; [unrolled: 1-line block ×4, first 2 shown]
	v_add_nc_u32_e32 v108, s11, v106
	s_delay_alu instid0(VALU_DEP_1) | instskip(NEXT) | instid1(VALU_DEP_1)
	v_add_nc_u32_e32 v110, s11, v108
	v_add_nc_u32_e32 v112, s11, v110
	s_delay_alu instid0(VALU_DEP_1)
	v_add_nc_u32_e32 v114, s11, v112
	s_clause 0x3
	global_load_b64 v[222:223], v102, s[4:5] scale_offset
	global_load_b64 v[224:225], v104, s[4:5] scale_offset
	;; [unrolled: 1-line block ×4, first 2 shown]
	v_add_nc_u32_e32 v116, s11, v114
	s_delay_alu instid0(VALU_DEP_1)
	v_add_nc_u32_e32 v118, s11, v116
	s_clause 0x4
	global_load_b64 v[230:231], v110, s[4:5] scale_offset
	global_load_b64 v[232:233], v112, s[4:5] scale_offset
	;; [unrolled: 1-line block ×5, first 2 shown]
	s_wait_loadcnt 0x39
	scratch_store_b128 off, v[122:125], off
	s_wait_loadcnt 0x37
	scratch_store_b128 off, v[126:129], off offset:16
	s_wait_loadcnt 0x35
	scratch_store_b128 off, v[130:133], off offset:32
	;; [unrolled: 2-line block ×28, first 2 shown]
	s_wait_loadcnt 0x0
	scratch_store_b64 off, v[238:239], off offset:464
	s_cbranch_scc1 .LBB58_248
; %bb.4:
	v_cmp_eq_u32_e64 s0, 0, v0
	s_wait_xcnt 0x0
	s_and_saveexec_b32 s1, s0
; %bb.5:
	v_mov_b32_e32 v1, 0
	ds_store_b32 v1, v1 offset:472
; %bb.6:
	s_or_b32 exec_lo, exec_lo, s1
	s_wait_storecnt_dscnt 0x0
	s_barrier_signal -1
	s_barrier_wait -1
	scratch_load_b64 v[122:123], v0, off scale_offset
	s_wait_loadcnt 0x0
	v_cmp_eq_f32_e32 vcc_lo, 0, v122
	v_cmp_eq_f32_e64 s1, 0, v123
	s_and_b32 s1, vcc_lo, s1
	s_delay_alu instid0(SALU_CYCLE_1)
	s_and_saveexec_b32 s8, s1
	s_cbranch_execz .LBB58_10
; %bb.7:
	v_mov_b32_e32 v1, 0
	s_mov_b32 s9, 0
	ds_load_b32 v7, v1 offset:472
	s_wait_dscnt 0x0
	v_readfirstlane_b32 s1, v7
	v_add_nc_u32_e32 v7, 1, v0
	s_cmp_eq_u32 s1, 0
	s_delay_alu instid0(VALU_DEP_1) | instskip(SKIP_1) | instid1(SALU_CYCLE_1)
	v_cmp_gt_i32_e32 vcc_lo, s1, v7
	s_cselect_b32 s10, -1, 0
	s_or_b32 s10, s10, vcc_lo
	s_delay_alu instid0(SALU_CYCLE_1)
	s_and_b32 exec_lo, exec_lo, s10
	s_cbranch_execz .LBB58_10
; %bb.8:
	v_mov_b32_e32 v9, s1
.LBB58_9:                               ; =>This Inner Loop Header: Depth=1
	ds_cmpstore_rtn_b32 v9, v1, v7, v9 offset:472
	s_wait_dscnt 0x0
	v_cmp_ne_u32_e32 vcc_lo, 0, v9
	v_cmp_le_i32_e64 s1, v9, v7
	s_and_b32 s1, vcc_lo, s1
	s_delay_alu instid0(SALU_CYCLE_1) | instskip(NEXT) | instid1(SALU_CYCLE_1)
	s_and_b32 s1, exec_lo, s1
	s_or_b32 s9, s1, s9
	s_delay_alu instid0(SALU_CYCLE_1)
	s_and_not1_b32 exec_lo, exec_lo, s9
	s_cbranch_execnz .LBB58_9
.LBB58_10:
	s_or_b32 exec_lo, exec_lo, s8
	v_mov_b32_e32 v1, 0
	s_barrier_signal -1
	s_barrier_wait -1
	ds_load_b32 v7, v1 offset:472
	s_and_saveexec_b32 s1, s0
	s_cbranch_execz .LBB58_12
; %bb.11:
	s_lshl_b64 s[8:9], s[16:17], 2
	s_delay_alu instid0(SALU_CYCLE_1)
	s_add_nc_u64 s[8:9], s[6:7], s[8:9]
	s_wait_dscnt 0x0
	global_store_b32 v1, v7, s[8:9]
.LBB58_12:
	s_wait_xcnt 0x0
	s_or_b32 exec_lo, exec_lo, s1
	s_wait_dscnt 0x0
	v_cmp_ne_u32_e32 vcc_lo, 0, v7
	s_mov_b32 s1, 0
	s_cbranch_vccnz .LBB58_248
; %bb.13:
	v_lshl_add_u32 v7, v0, 3, 0
                                        ; implicit-def: $vgpr125
                                        ; implicit-def: $vgpr126
	scratch_load_b64 v[122:123], v7, off
	s_wait_loadcnt 0x0
	v_cmp_ngt_f32_e64 s1, |v122|, |v123|
	s_wait_xcnt 0x0
	s_and_saveexec_b32 s8, s1
	s_delay_alu instid0(SALU_CYCLE_1)
	s_xor_b32 s1, exec_lo, s8
	s_cbranch_execz .LBB58_15
; %bb.14:
	v_div_scale_f32 v1, null, v123, v123, v122
	v_div_scale_f32 v13, vcc_lo, v122, v123, v122
	s_delay_alu instid0(VALU_DEP_2) | instskip(SKIP_1) | instid1(TRANS32_DEP_1)
	v_rcp_f32_e32 v9, v1
	v_nop
	v_fma_f32 v11, -v1, v9, 1.0
	s_delay_alu instid0(VALU_DEP_1) | instskip(NEXT) | instid1(VALU_DEP_1)
	v_fmac_f32_e32 v9, v11, v9
	v_mul_f32_e32 v11, v13, v9
	s_delay_alu instid0(VALU_DEP_1) | instskip(NEXT) | instid1(VALU_DEP_1)
	v_fma_f32 v15, -v1, v11, v13
	v_fmac_f32_e32 v11, v15, v9
	s_delay_alu instid0(VALU_DEP_1) | instskip(NEXT) | instid1(VALU_DEP_1)
	v_fma_f32 v1, -v1, v11, v13
	v_div_fmas_f32 v1, v1, v9, v11
	s_delay_alu instid0(VALU_DEP_1) | instskip(NEXT) | instid1(VALU_DEP_1)
	v_div_fixup_f32 v1, v1, v123, v122
	v_fmac_f32_e32 v123, v122, v1
	s_delay_alu instid0(VALU_DEP_1) | instskip(NEXT) | instid1(VALU_DEP_1)
	v_div_scale_f32 v9, null, v123, v123, -1.0
	v_rcp_f32_e32 v11, v9
	v_nop
	s_delay_alu instid0(TRANS32_DEP_1) | instskip(NEXT) | instid1(VALU_DEP_1)
	v_fma_f32 v13, -v9, v11, 1.0
	v_fmac_f32_e32 v11, v13, v11
	v_div_scale_f32 v13, vcc_lo, -1.0, v123, -1.0
	s_delay_alu instid0(VALU_DEP_1) | instskip(NEXT) | instid1(VALU_DEP_1)
	v_mul_f32_e32 v15, v13, v11
	v_fma_f32 v17, -v9, v15, v13
	s_delay_alu instid0(VALU_DEP_1) | instskip(NEXT) | instid1(VALU_DEP_1)
	v_fmac_f32_e32 v15, v17, v11
	v_fma_f32 v9, -v9, v15, v13
	s_delay_alu instid0(VALU_DEP_1) | instskip(NEXT) | instid1(VALU_DEP_1)
	v_div_fmas_f32 v9, v9, v11, v15
	v_div_fixup_f32 v125, v9, v123, -1.0
                                        ; implicit-def: $vgpr122_vgpr123
	s_delay_alu instid0(VALU_DEP_1) | instskip(NEXT) | instid1(VALU_DEP_1)
	v_mul_f32_e32 v126, v1, v125
	v_xor_b32_e32 v124, 0x80000000, v126
.LBB58_15:
	s_and_not1_saveexec_b32 s1, s1
	s_cbranch_execz .LBB58_17
; %bb.16:
	v_div_scale_f32 v1, null, v122, v122, v123
	v_div_scale_f32 v13, vcc_lo, v123, v122, v123
	s_delay_alu instid0(VALU_DEP_2) | instskip(SKIP_1) | instid1(TRANS32_DEP_1)
	v_rcp_f32_e32 v9, v1
	v_nop
	v_fma_f32 v11, -v1, v9, 1.0
	s_delay_alu instid0(VALU_DEP_1) | instskip(NEXT) | instid1(VALU_DEP_1)
	v_fmac_f32_e32 v9, v11, v9
	v_mul_f32_e32 v11, v13, v9
	s_delay_alu instid0(VALU_DEP_1) | instskip(NEXT) | instid1(VALU_DEP_1)
	v_fma_f32 v15, -v1, v11, v13
	v_fmac_f32_e32 v11, v15, v9
	s_delay_alu instid0(VALU_DEP_1) | instskip(NEXT) | instid1(VALU_DEP_1)
	v_fma_f32 v1, -v1, v11, v13
	v_div_fmas_f32 v1, v1, v9, v11
	s_delay_alu instid0(VALU_DEP_1) | instskip(NEXT) | instid1(VALU_DEP_1)
	v_div_fixup_f32 v1, v1, v122, v123
	v_fmac_f32_e32 v122, v123, v1
	s_delay_alu instid0(VALU_DEP_1) | instskip(SKIP_1) | instid1(VALU_DEP_2)
	v_div_scale_f32 v9, null, v122, v122, 1.0
	v_div_scale_f32 v15, vcc_lo, 1.0, v122, 1.0
	v_rcp_f32_e32 v11, v9
	v_nop
	s_delay_alu instid0(TRANS32_DEP_1) | instskip(NEXT) | instid1(VALU_DEP_1)
	v_fma_f32 v13, -v9, v11, 1.0
	v_fmac_f32_e32 v11, v13, v11
	s_delay_alu instid0(VALU_DEP_1) | instskip(NEXT) | instid1(VALU_DEP_1)
	v_mul_f32_e32 v13, v15, v11
	v_fma_f32 v17, -v9, v13, v15
	s_delay_alu instid0(VALU_DEP_1) | instskip(NEXT) | instid1(VALU_DEP_1)
	v_fmac_f32_e32 v13, v17, v11
	v_fma_f32 v9, -v9, v13, v15
	s_delay_alu instid0(VALU_DEP_1) | instskip(NEXT) | instid1(VALU_DEP_1)
	v_div_fmas_f32 v9, v9, v11, v13
	v_div_fixup_f32 v124, v9, v122, 1.0
	s_delay_alu instid0(VALU_DEP_1)
	v_xor_b32_e32 v126, 0x80000000, v124
	v_mul_f32_e64 v125, v1, -v124
.LBB58_17:
	s_or_b32 exec_lo, exec_lo, s1
	scratch_store_b64 v7, v[124:125], off
	scratch_load_b64 v[122:123], off, off offset:8
	v_xor_b32_e32 v127, 0x80000000, v125
	v_add_nc_u32_e32 v1, 0x1e0, v120
	s_wait_loadcnt 0x0
	ds_store_2addr_b64 v120, v[126:127], v[122:123] offset1:60
	s_wait_storecnt_dscnt 0x0
	s_barrier_signal -1
	s_barrier_wait -1
	s_wait_xcnt 0x0
	s_and_saveexec_b32 s1, s0
	s_cbranch_execz .LBB58_19
; %bb.18:
	scratch_load_b64 v[122:123], v7, off
	ds_load_b64 v[124:125], v1
	s_wait_loadcnt_dscnt 0x0
	v_pk_mul_f32 v[128:129], v[124:125], v[122:123] op_sel:[1,1] op_sel_hi:[0,1]
	s_delay_alu instid0(VALU_DEP_1) | instskip(SKIP_2) | instid1(VALU_DEP_3)
	v_pk_fma_f32 v[130:131], v[124:125], v[122:123], v[128:129] op_sel_hi:[1,0,1]
	v_mov_b32_e32 v9, 0
	v_pk_fma_f32 v[122:123], v[124:125], v[122:123], v[128:129] neg_lo:[0,0,1] neg_hi:[0,0,1]
	v_mov_b32_e32 v123, v131
	ds_load_b64 v[126:127], v9 offset:8
	v_pk_add_f32 v[122:123], v[122:123], 0 op_sel_hi:[1,0]
	s_wait_dscnt 0x0
	s_delay_alu instid0(VALU_DEP_1) | instskip(NEXT) | instid1(VALU_DEP_1)
	v_pk_mul_f32 v[124:125], v[122:123], v[126:127] op_sel:[1,1] op_sel_hi:[0,1]
	v_pk_fma_f32 v[128:129], v[122:123], v[126:127], v[124:125] op_sel_hi:[1,0,1]
	v_pk_fma_f32 v[122:123], v[122:123], v[126:127], v[124:125] neg_lo:[0,0,1] neg_hi:[0,0,1]
	s_delay_alu instid0(VALU_DEP_2)
	v_mov_b32_e32 v123, v129
	scratch_store_b64 off, v[122:123], off offset:8
.LBB58_19:
	s_wait_xcnt 0x0
	s_or_b32 exec_lo, exec_lo, s1
	s_wait_storecnt 0x0
	s_barrier_signal -1
	s_barrier_wait -1
	scratch_load_b64 v[122:123], off, off offset:16
	s_mov_b32 s1, exec_lo
	s_wait_loadcnt 0x0
	ds_store_b64 v1, v[122:123]
	s_wait_dscnt 0x0
	s_barrier_signal -1
	s_barrier_wait -1
	v_cmpx_gt_u32_e32 2, v0
	s_cbranch_execz .LBB58_23
; %bb.20:
	scratch_load_b64 v[122:123], v7, off
	ds_load_b64 v[124:125], v1
	s_wait_loadcnt_dscnt 0x0
	v_pk_mul_f32 v[126:127], v[124:125], v[122:123] op_sel:[1,1] op_sel_hi:[0,1]
	s_delay_alu instid0(VALU_DEP_1) | instskip(SKIP_1) | instid1(VALU_DEP_2)
	v_pk_fma_f32 v[128:129], v[124:125], v[122:123], v[126:127] op_sel_hi:[1,0,1]
	v_pk_fma_f32 v[122:123], v[124:125], v[122:123], v[126:127] neg_lo:[0,0,1] neg_hi:[0,0,1]
	v_mov_b32_e32 v123, v129
	s_delay_alu instid0(VALU_DEP_1)
	v_pk_add_f32 v[122:123], v[122:123], 0 op_sel_hi:[1,0]
	s_and_saveexec_b32 s8, s0
	s_cbranch_execz .LBB58_22
; %bb.21:
	scratch_load_b64 v[124:125], off, off offset:8
	v_mov_b32_e32 v7, 0
	ds_load_b64 v[126:127], v7 offset:488
	s_wait_loadcnt_dscnt 0x0
	v_pk_mul_f32 v[128:129], v[126:127], v[124:125] op_sel:[1,1] op_sel_hi:[0,1]
	s_delay_alu instid0(VALU_DEP_1) | instskip(SKIP_1) | instid1(VALU_DEP_2)
	v_pk_fma_f32 v[130:131], v[126:127], v[124:125], v[128:129] op_sel_hi:[1,0,1]
	v_pk_fma_f32 v[124:125], v[126:127], v[124:125], v[128:129] neg_lo:[0,0,1] neg_hi:[0,0,1]
	v_mov_b32_e32 v125, v131
	s_delay_alu instid0(VALU_DEP_1)
	v_pk_add_f32 v[122:123], v[122:123], v[124:125]
.LBB58_22:
	s_or_b32 exec_lo, exec_lo, s8
	v_mov_b32_e32 v7, 0
	ds_load_b64 v[124:125], v7 offset:16
	s_wait_dscnt 0x0
	v_pk_mul_f32 v[126:127], v[122:123], v[124:125] op_sel:[1,1] op_sel_hi:[0,1]
	s_delay_alu instid0(VALU_DEP_1) | instskip(SKIP_1) | instid1(VALU_DEP_2)
	v_pk_fma_f32 v[128:129], v[122:123], v[124:125], v[126:127] op_sel_hi:[1,0,1]
	v_pk_fma_f32 v[122:123], v[122:123], v[124:125], v[126:127] neg_lo:[0,0,1] neg_hi:[0,0,1]
	v_mov_b32_e32 v123, v129
	scratch_store_b64 off, v[122:123], off offset:16
.LBB58_23:
	s_wait_xcnt 0x0
	s_or_b32 exec_lo, exec_lo, s1
	s_wait_storecnt 0x0
	s_barrier_signal -1
	s_barrier_wait -1
	scratch_load_b64 v[122:123], off, off offset:24
	v_add_nc_u32_e32 v7, -1, v0
	s_mov_b32 s0, exec_lo
	s_wait_loadcnt 0x0
	ds_store_b64 v1, v[122:123]
	s_wait_dscnt 0x0
	s_barrier_signal -1
	s_barrier_wait -1
	v_cmpx_gt_u32_e32 3, v0
	s_cbranch_execz .LBB58_27
; %bb.24:
	v_dual_mov_b32 v122, 0 :: v_dual_add_nc_u32 v9, -1, v0
	v_add_nc_u32_e32 v11, 0x1e0, v120
	v_mov_b32_e32 v13, v120
	s_mov_b32 s1, 0
	s_delay_alu instid0(VALU_DEP_3)
	v_mov_b32_e32 v123, v122
.LBB58_25:                              ; =>This Inner Loop Header: Depth=1
	scratch_load_b64 v[124:125], v13, off
	ds_load_b64 v[126:127], v11
	s_wait_xcnt 0x0
	v_dual_add_nc_u32 v11, 8, v11 :: v_dual_add_nc_u32 v13, 8, v13
	s_wait_loadcnt_dscnt 0x0
	v_pk_mul_f32 v[128:129], v[126:127], v[124:125] op_sel:[1,1] op_sel_hi:[0,1]
	s_delay_alu instid0(VALU_DEP_1) | instskip(SKIP_2) | instid1(VALU_DEP_3)
	v_pk_fma_f32 v[130:131], v[126:127], v[124:125], v[128:129] op_sel_hi:[1,0,1]
	v_add_nc_u32_e32 v9, 1, v9
	v_pk_fma_f32 v[124:125], v[126:127], v[124:125], v[128:129] neg_lo:[0,0,1] neg_hi:[0,0,1]
	v_mov_b32_e32 v125, v131
	s_delay_alu instid0(VALU_DEP_3) | instskip(NEXT) | instid1(VALU_DEP_2)
	v_cmp_lt_u32_e32 vcc_lo, 1, v9
	v_pk_add_f32 v[122:123], v[122:123], v[124:125]
	s_or_b32 s1, vcc_lo, s1
	s_delay_alu instid0(SALU_CYCLE_1)
	s_and_not1_b32 exec_lo, exec_lo, s1
	s_cbranch_execnz .LBB58_25
; %bb.26:
	s_or_b32 exec_lo, exec_lo, s1
	v_mov_b32_e32 v9, 0
	ds_load_b64 v[124:125], v9 offset:24
	s_wait_dscnt 0x0
	v_pk_mul_f32 v[126:127], v[122:123], v[124:125] op_sel:[1,1] op_sel_hi:[0,1]
	s_delay_alu instid0(VALU_DEP_1) | instskip(SKIP_1) | instid1(VALU_DEP_2)
	v_pk_fma_f32 v[128:129], v[122:123], v[124:125], v[126:127] op_sel_hi:[1,0,1]
	v_pk_fma_f32 v[122:123], v[122:123], v[124:125], v[126:127] neg_lo:[0,0,1] neg_hi:[0,0,1]
	v_mov_b32_e32 v123, v129
	scratch_store_b64 off, v[122:123], off offset:24
.LBB58_27:
	s_wait_xcnt 0x0
	s_or_b32 exec_lo, exec_lo, s0
	s_wait_storecnt 0x0
	s_barrier_signal -1
	s_barrier_wait -1
	scratch_load_b64 v[122:123], off, off offset:32
	s_mov_b32 s0, exec_lo
	s_wait_loadcnt 0x0
	ds_store_b64 v1, v[122:123]
	s_wait_dscnt 0x0
	s_barrier_signal -1
	s_barrier_wait -1
	v_cmpx_gt_u32_e32 4, v0
	s_cbranch_execz .LBB58_31
; %bb.28:
	v_dual_mov_b32 v122, 0 :: v_dual_add_nc_u32 v9, -1, v0
	v_add_nc_u32_e32 v11, 0x1e0, v120
	v_mov_b32_e32 v13, v120
	s_mov_b32 s1, 0
	s_delay_alu instid0(VALU_DEP_3)
	v_mov_b32_e32 v123, v122
.LBB58_29:                              ; =>This Inner Loop Header: Depth=1
	scratch_load_b64 v[124:125], v13, off
	ds_load_b64 v[126:127], v11
	s_wait_xcnt 0x0
	v_dual_add_nc_u32 v11, 8, v11 :: v_dual_add_nc_u32 v13, 8, v13
	s_wait_loadcnt_dscnt 0x0
	v_pk_mul_f32 v[128:129], v[126:127], v[124:125] op_sel:[1,1] op_sel_hi:[0,1]
	s_delay_alu instid0(VALU_DEP_1) | instskip(SKIP_2) | instid1(VALU_DEP_3)
	v_pk_fma_f32 v[130:131], v[126:127], v[124:125], v[128:129] op_sel_hi:[1,0,1]
	v_add_nc_u32_e32 v9, 1, v9
	v_pk_fma_f32 v[124:125], v[126:127], v[124:125], v[128:129] neg_lo:[0,0,1] neg_hi:[0,0,1]
	v_mov_b32_e32 v125, v131
	s_delay_alu instid0(VALU_DEP_3) | instskip(NEXT) | instid1(VALU_DEP_2)
	v_cmp_lt_u32_e32 vcc_lo, 2, v9
	v_pk_add_f32 v[122:123], v[122:123], v[124:125]
	s_or_b32 s1, vcc_lo, s1
	s_delay_alu instid0(SALU_CYCLE_1)
	s_and_not1_b32 exec_lo, exec_lo, s1
	s_cbranch_execnz .LBB58_29
; %bb.30:
	s_or_b32 exec_lo, exec_lo, s1
	v_mov_b32_e32 v9, 0
	ds_load_b64 v[124:125], v9 offset:32
	s_wait_dscnt 0x0
	v_pk_mul_f32 v[126:127], v[122:123], v[124:125] op_sel:[1,1] op_sel_hi:[0,1]
	s_delay_alu instid0(VALU_DEP_1) | instskip(SKIP_1) | instid1(VALU_DEP_2)
	v_pk_fma_f32 v[128:129], v[122:123], v[124:125], v[126:127] op_sel_hi:[1,0,1]
	v_pk_fma_f32 v[122:123], v[122:123], v[124:125], v[126:127] neg_lo:[0,0,1] neg_hi:[0,0,1]
	v_mov_b32_e32 v123, v129
	scratch_store_b64 off, v[122:123], off offset:32
.LBB58_31:
	s_wait_xcnt 0x0
	s_or_b32 exec_lo, exec_lo, s0
	s_wait_storecnt 0x0
	s_barrier_signal -1
	s_barrier_wait -1
	scratch_load_b64 v[122:123], off, off offset:40
	;; [unrolled: 52-line block ×19, first 2 shown]
	s_mov_b32 s0, exec_lo
	s_wait_loadcnt 0x0
	ds_store_b64 v1, v[122:123]
	s_wait_dscnt 0x0
	s_barrier_signal -1
	s_barrier_wait -1
	v_cmpx_gt_u32_e32 22, v0
	s_cbranch_execz .LBB58_103
; %bb.100:
	v_dual_mov_b32 v122, 0 :: v_dual_add_nc_u32 v9, -1, v0
	v_add_nc_u32_e32 v11, 0x1e0, v120
	v_mov_b32_e32 v13, v120
	s_mov_b32 s1, 0
	s_delay_alu instid0(VALU_DEP_3)
	v_mov_b32_e32 v123, v122
.LBB58_101:                             ; =>This Inner Loop Header: Depth=1
	scratch_load_b64 v[124:125], v13, off
	ds_load_b64 v[126:127], v11
	s_wait_xcnt 0x0
	v_dual_add_nc_u32 v11, 8, v11 :: v_dual_add_nc_u32 v13, 8, v13
	s_wait_loadcnt_dscnt 0x0
	v_pk_mul_f32 v[128:129], v[126:127], v[124:125] op_sel:[1,1] op_sel_hi:[0,1]
	s_delay_alu instid0(VALU_DEP_1) | instskip(SKIP_2) | instid1(VALU_DEP_3)
	v_pk_fma_f32 v[130:131], v[126:127], v[124:125], v[128:129] op_sel_hi:[1,0,1]
	v_add_nc_u32_e32 v9, 1, v9
	v_pk_fma_f32 v[124:125], v[126:127], v[124:125], v[128:129] neg_lo:[0,0,1] neg_hi:[0,0,1]
	v_mov_b32_e32 v125, v131
	s_delay_alu instid0(VALU_DEP_3) | instskip(NEXT) | instid1(VALU_DEP_2)
	v_cmp_lt_u32_e32 vcc_lo, 20, v9
	v_pk_add_f32 v[122:123], v[122:123], v[124:125]
	s_or_b32 s1, vcc_lo, s1
	s_delay_alu instid0(SALU_CYCLE_1)
	s_and_not1_b32 exec_lo, exec_lo, s1
	s_cbranch_execnz .LBB58_101
; %bb.102:
	s_or_b32 exec_lo, exec_lo, s1
	v_mov_b32_e32 v9, 0
	ds_load_b64 v[124:125], v9 offset:176
	s_wait_dscnt 0x0
	v_pk_mul_f32 v[126:127], v[122:123], v[124:125] op_sel:[1,1] op_sel_hi:[0,1]
	s_delay_alu instid0(VALU_DEP_1) | instskip(SKIP_1) | instid1(VALU_DEP_2)
	v_pk_fma_f32 v[128:129], v[122:123], v[124:125], v[126:127] op_sel_hi:[1,0,1]
	v_pk_fma_f32 v[122:123], v[122:123], v[124:125], v[126:127] neg_lo:[0,0,1] neg_hi:[0,0,1]
	v_mov_b32_e32 v123, v129
	scratch_store_b64 off, v[122:123], off offset:176
.LBB58_103:
	s_wait_xcnt 0x0
	s_or_b32 exec_lo, exec_lo, s0
	s_wait_storecnt 0x0
	s_barrier_signal -1
	s_barrier_wait -1
	scratch_load_b64 v[122:123], off, off offset:184
	s_mov_b32 s0, exec_lo
	s_wait_loadcnt 0x0
	ds_store_b64 v1, v[122:123]
	s_wait_dscnt 0x0
	s_barrier_signal -1
	s_barrier_wait -1
	v_cmpx_gt_u32_e32 23, v0
	s_cbranch_execz .LBB58_107
; %bb.104:
	v_dual_mov_b32 v122, 0 :: v_dual_add_nc_u32 v9, -1, v0
	v_add_nc_u32_e32 v11, 0x1e0, v120
	v_mov_b32_e32 v13, v120
	s_mov_b32 s1, 0
	s_delay_alu instid0(VALU_DEP_3)
	v_mov_b32_e32 v123, v122
.LBB58_105:                             ; =>This Inner Loop Header: Depth=1
	scratch_load_b64 v[124:125], v13, off
	ds_load_b64 v[126:127], v11
	s_wait_xcnt 0x0
	v_dual_add_nc_u32 v11, 8, v11 :: v_dual_add_nc_u32 v13, 8, v13
	s_wait_loadcnt_dscnt 0x0
	v_pk_mul_f32 v[128:129], v[126:127], v[124:125] op_sel:[1,1] op_sel_hi:[0,1]
	s_delay_alu instid0(VALU_DEP_1) | instskip(SKIP_2) | instid1(VALU_DEP_3)
	v_pk_fma_f32 v[130:131], v[126:127], v[124:125], v[128:129] op_sel_hi:[1,0,1]
	v_add_nc_u32_e32 v9, 1, v9
	v_pk_fma_f32 v[124:125], v[126:127], v[124:125], v[128:129] neg_lo:[0,0,1] neg_hi:[0,0,1]
	v_mov_b32_e32 v125, v131
	s_delay_alu instid0(VALU_DEP_3) | instskip(NEXT) | instid1(VALU_DEP_2)
	v_cmp_lt_u32_e32 vcc_lo, 21, v9
	v_pk_add_f32 v[122:123], v[122:123], v[124:125]
	s_or_b32 s1, vcc_lo, s1
	s_delay_alu instid0(SALU_CYCLE_1)
	s_and_not1_b32 exec_lo, exec_lo, s1
	s_cbranch_execnz .LBB58_105
; %bb.106:
	s_or_b32 exec_lo, exec_lo, s1
	v_mov_b32_e32 v9, 0
	ds_load_b64 v[124:125], v9 offset:184
	s_wait_dscnt 0x0
	v_pk_mul_f32 v[126:127], v[122:123], v[124:125] op_sel:[1,1] op_sel_hi:[0,1]
	s_delay_alu instid0(VALU_DEP_1) | instskip(SKIP_1) | instid1(VALU_DEP_2)
	v_pk_fma_f32 v[128:129], v[122:123], v[124:125], v[126:127] op_sel_hi:[1,0,1]
	v_pk_fma_f32 v[122:123], v[122:123], v[124:125], v[126:127] neg_lo:[0,0,1] neg_hi:[0,0,1]
	v_mov_b32_e32 v123, v129
	scratch_store_b64 off, v[122:123], off offset:184
.LBB58_107:
	s_wait_xcnt 0x0
	s_or_b32 exec_lo, exec_lo, s0
	s_wait_storecnt 0x0
	s_barrier_signal -1
	s_barrier_wait -1
	scratch_load_b64 v[122:123], off, off offset:192
	;; [unrolled: 52-line block ×36, first 2 shown]
	s_mov_b32 s0, exec_lo
	s_wait_loadcnt 0x0
	ds_store_b64 v1, v[122:123]
	s_wait_dscnt 0x0
	s_barrier_signal -1
	s_barrier_wait -1
	v_cmpx_ne_u32_e32 58, v0
	s_cbranch_execz .LBB58_247
; %bb.244:
	v_dual_mov_b32 v122, 0 :: v_dual_mov_b32 v9, v120
	s_mov_b32 s1, 0
	s_delay_alu instid0(VALU_DEP_1)
	v_mov_b32_e32 v123, v122
.LBB58_245:                             ; =>This Inner Loop Header: Depth=1
	scratch_load_b64 v[120:121], v9, off
	ds_load_b64 v[124:125], v1
	v_add_nc_u32_e32 v1, 8, v1
	s_wait_xcnt 0x0
	v_add_nc_u32_e32 v9, 8, v9
	s_wait_loadcnt_dscnt 0x0
	v_pk_mul_f32 v[126:127], v[124:125], v[120:121] op_sel:[1,1] op_sel_hi:[0,1]
	s_delay_alu instid0(VALU_DEP_1) | instskip(SKIP_2) | instid1(VALU_DEP_3)
	v_pk_fma_f32 v[128:129], v[124:125], v[120:121], v[126:127] op_sel_hi:[1,0,1]
	v_add_nc_u32_e32 v7, 1, v7
	v_pk_fma_f32 v[120:121], v[124:125], v[120:121], v[126:127] neg_lo:[0,0,1] neg_hi:[0,0,1]
	v_mov_b32_e32 v121, v129
	s_delay_alu instid0(VALU_DEP_3) | instskip(NEXT) | instid1(VALU_DEP_2)
	v_cmp_lt_u32_e32 vcc_lo, 56, v7
	v_pk_add_f32 v[122:123], v[122:123], v[120:121]
	s_or_b32 s1, vcc_lo, s1
	s_delay_alu instid0(SALU_CYCLE_1)
	s_and_not1_b32 exec_lo, exec_lo, s1
	s_cbranch_execnz .LBB58_245
; %bb.246:
	s_or_b32 exec_lo, exec_lo, s1
	v_mov_b32_e32 v1, 0
	ds_load_b64 v[120:121], v1 offset:464
	s_wait_dscnt 0x0
	v_pk_mul_f32 v[124:125], v[122:123], v[120:121] op_sel:[1,1] op_sel_hi:[0,1]
	s_delay_alu instid0(VALU_DEP_1) | instskip(SKIP_1) | instid1(VALU_DEP_2)
	v_pk_fma_f32 v[126:127], v[122:123], v[120:121], v[124:125] op_sel_hi:[1,0,1]
	v_pk_fma_f32 v[120:121], v[122:123], v[120:121], v[124:125] neg_lo:[0,0,1] neg_hi:[0,0,1]
	v_mov_b32_e32 v121, v127
	scratch_store_b64 off, v[120:121], off offset:464
.LBB58_247:
	s_wait_xcnt 0x0
	s_or_b32 exec_lo, exec_lo, s0
	s_mov_b32 s1, -1
	s_wait_storecnt 0x0
	s_barrier_signal -1
	s_barrier_wait -1
.LBB58_248:
	s_and_b32 vcc_lo, exec_lo, s1
	s_cbranch_vccz .LBB58_250
; %bb.249:
	v_mov_b32_e32 v1, 0
	s_lshl_b64 s[0:1], s[16:17], 2
	s_delay_alu instid0(SALU_CYCLE_1)
	s_add_nc_u64 s[0:1], s[6:7], s[0:1]
	global_load_b32 v1, v1, s[0:1]
	s_wait_loadcnt 0x0
	v_cmp_ne_u32_e32 vcc_lo, 0, v1
	s_cbranch_vccz .LBB58_251
.LBB58_250:
	s_sendmsg sendmsg(MSG_DEALLOC_VGPRS)
	s_endpgm
.LBB58_251:
	s_wait_xcnt 0x0
	v_lshl_add_u32 v1, v0, 3, 0x1e0
	s_mov_b32 s0, exec_lo
	v_cmpx_eq_u32_e32 58, v0
	s_cbranch_execz .LBB58_253
; %bb.252:
	scratch_load_b64 v[120:121], off, off offset:456
	v_mov_b64_e32 v[122:123], 0
	scratch_store_b64 off, v[122:123], off offset:456
	s_wait_loadcnt 0x0
	ds_store_b64 v1, v[120:121]
.LBB58_253:
	s_wait_xcnt 0x0
	s_or_b32 exec_lo, exec_lo, s0
	s_wait_storecnt_dscnt 0x0
	s_barrier_signal -1
	s_barrier_wait -1
	s_clause 0x1
	scratch_load_b64 v[120:121], off, off offset:464
	scratch_load_b64 v[122:123], off, off offset:456
	v_mov_b32_e32 v7, 0
	s_mov_b32 s0, exec_lo
	ds_load_b64 v[124:125], v7 offset:944
	s_wait_loadcnt_dscnt 0x100
	v_pk_mul_f32 v[126:127], v[124:125], v[120:121] op_sel:[1,1] op_sel_hi:[0,1]
	s_delay_alu instid0(VALU_DEP_1) | instskip(SKIP_1) | instid1(VALU_DEP_2)
	v_pk_fma_f32 v[128:129], v[124:125], v[120:121], v[126:127] op_sel_hi:[1,0,1]
	v_pk_fma_f32 v[120:121], v[124:125], v[120:121], v[126:127] neg_lo:[0,0,1] neg_hi:[0,0,1]
	v_mov_b32_e32 v121, v129
	s_delay_alu instid0(VALU_DEP_1) | instskip(SKIP_1) | instid1(VALU_DEP_1)
	v_pk_add_f32 v[120:121], v[120:121], 0 op_sel_hi:[1,0]
	s_wait_loadcnt 0x0
	v_pk_add_f32 v[120:121], v[122:123], v[120:121] neg_lo:[0,1] neg_hi:[0,1]
	scratch_store_b64 off, v[120:121], off offset:456
	s_wait_xcnt 0x0
	v_cmpx_lt_u32_e32 56, v0
	s_cbranch_execz .LBB58_255
; %bb.254:
	scratch_load_b64 v[120:121], off, off offset:448
	v_mov_b64_e32 v[122:123], 0
	scratch_store_b64 off, v[122:123], off offset:448
	s_wait_loadcnt 0x0
	ds_store_b64 v1, v[120:121]
.LBB58_255:
	s_wait_xcnt 0x0
	s_or_b32 exec_lo, exec_lo, s0
	s_wait_storecnt_dscnt 0x0
	s_barrier_signal -1
	s_barrier_wait -1
	s_clause 0x1
	scratch_load_b128 v[120:123], off, off offset:456
	scratch_load_b64 v[128:129], off, off offset:448
	ds_load_2addr_b64 v[124:127], v7 offset0:117 offset1:118
	s_mov_b32 s0, exec_lo
	s_wait_dscnt 0x0
	v_dual_mov_b32 v130, v127 :: v_dual_mov_b32 v131, v126
	s_wait_loadcnt 0x1
	v_pk_mul_f32 v[132:133], v[124:125], v[120:121] op_sel:[1,1] op_sel_hi:[0,1]
	s_delay_alu instid0(VALU_DEP_1) | instskip(SKIP_2) | instid1(VALU_DEP_3)
	v_pk_fma_f32 v[136:137], v[124:125], v[120:121], v[132:133] op_sel_hi:[1,0,1]
	v_mov_b32_e32 v134, v123
	v_pk_fma_f32 v[120:121], v[124:125], v[120:121], v[132:133] neg_lo:[0,0,1] neg_hi:[0,0,1]
	v_mov_b32_e32 v121, v137
	s_delay_alu instid0(VALU_DEP_3) | instskip(NEXT) | instid1(VALU_DEP_2)
	v_pk_mul_f32 v[130:131], v[130:131], v[134:135] op_sel_hi:[1,0]
	v_pk_add_f32 v[120:121], v[120:121], 0 op_sel_hi:[1,0]
	s_delay_alu instid0(VALU_DEP_2) | instskip(SKIP_1) | instid1(VALU_DEP_2)
	v_pk_fma_f32 v[124:125], v[126:127], v[122:123], v[130:131] op_sel_hi:[1,0,1]
	v_pk_fma_f32 v[122:123], v[126:127], v[122:123], v[130:131] neg_lo:[0,0,1] neg_hi:[0,0,1]
	v_mov_b32_e32 v123, v125
	s_delay_alu instid0(VALU_DEP_1) | instskip(SKIP_1) | instid1(VALU_DEP_1)
	v_pk_add_f32 v[120:121], v[120:121], v[122:123]
	s_wait_loadcnt 0x0
	v_pk_add_f32 v[120:121], v[128:129], v[120:121] neg_lo:[0,1] neg_hi:[0,1]
	scratch_store_b64 off, v[120:121], off offset:448
	s_wait_xcnt 0x0
	v_cmpx_lt_u32_e32 55, v0
	s_cbranch_execz .LBB58_257
; %bb.256:
	scratch_load_b64 v[120:121], off, off offset:440
	v_mov_b64_e32 v[122:123], 0
	scratch_store_b64 off, v[122:123], off offset:440
	s_wait_loadcnt 0x0
	ds_store_b64 v1, v[120:121]
.LBB58_257:
	s_wait_xcnt 0x0
	s_or_b32 exec_lo, exec_lo, s0
	s_wait_storecnt_dscnt 0x0
	s_barrier_signal -1
	s_barrier_wait -1
	s_clause 0x2
	scratch_load_b128 v[120:123], off, off offset:448
	scratch_load_b64 v[128:129], off, off offset:464
	scratch_load_b64 v[130:131], off, off offset:440
	v_mov_b32_e32 v7, 0
	ds_load_b128 v[124:127], v7 offset:928
	ds_load_b64 v[132:133], v7 offset:944
	s_mov_b32 s0, exec_lo
	s_wait_dscnt 0x1
	v_dual_mov_b32 v134, v127 :: v_dual_mov_b32 v135, v126
	s_wait_loadcnt 0x2
	v_mov_b32_e32 v138, v123
	v_pk_mul_f32 v[136:137], v[124:125], v[120:121] op_sel:[1,1] op_sel_hi:[0,1]
	s_delay_alu instid0(VALU_DEP_2) | instskip(NEXT) | instid1(VALU_DEP_2)
	v_pk_mul_f32 v[134:135], v[134:135], v[138:139] op_sel_hi:[1,0]
	v_pk_fma_f32 v[140:141], v[124:125], v[120:121], v[136:137] op_sel_hi:[1,0,1]
	v_pk_fma_f32 v[120:121], v[124:125], v[120:121], v[136:137] neg_lo:[0,0,1] neg_hi:[0,0,1]
	s_wait_loadcnt_dscnt 0x100
	v_pk_mul_f32 v[136:137], v[132:133], v[128:129] op_sel:[1,1] op_sel_hi:[0,1]
	v_pk_fma_f32 v[124:125], v[126:127], v[122:123], v[134:135] op_sel_hi:[1,0,1]
	v_mov_b32_e32 v121, v141
	v_pk_fma_f32 v[122:123], v[126:127], v[122:123], v[134:135] neg_lo:[0,0,1] neg_hi:[0,0,1]
	s_delay_alu instid0(VALU_DEP_4) | instskip(NEXT) | instid1(VALU_DEP_4)
	v_pk_fma_f32 v[126:127], v[132:133], v[128:129], v[136:137] neg_lo:[0,0,1] neg_hi:[0,0,1]
	v_mov_b32_e32 v123, v125
	s_delay_alu instid0(VALU_DEP_4) | instskip(SKIP_1) | instid1(VALU_DEP_2)
	v_pk_add_f32 v[120:121], v[120:121], 0 op_sel_hi:[1,0]
	v_pk_fma_f32 v[124:125], v[132:133], v[128:129], v[136:137] op_sel_hi:[1,0,1]
	v_pk_add_f32 v[120:121], v[120:121], v[122:123]
	s_delay_alu instid0(VALU_DEP_2) | instskip(NEXT) | instid1(VALU_DEP_1)
	v_mov_b32_e32 v127, v125
	v_pk_add_f32 v[120:121], v[120:121], v[126:127]
	s_wait_loadcnt 0x0
	s_delay_alu instid0(VALU_DEP_1)
	v_pk_add_f32 v[120:121], v[130:131], v[120:121] neg_lo:[0,1] neg_hi:[0,1]
	scratch_store_b64 off, v[120:121], off offset:440
	s_wait_xcnt 0x0
	v_cmpx_lt_u32_e32 54, v0
	s_cbranch_execz .LBB58_259
; %bb.258:
	scratch_load_b64 v[120:121], off, off offset:432
	v_mov_b64_e32 v[122:123], 0
	scratch_store_b64 off, v[122:123], off offset:432
	s_wait_loadcnt 0x0
	ds_store_b64 v1, v[120:121]
.LBB58_259:
	s_wait_xcnt 0x0
	s_or_b32 exec_lo, exec_lo, s0
	s_wait_storecnt_dscnt 0x0
	s_barrier_signal -1
	s_barrier_wait -1
	s_clause 0x2
	scratch_load_b128 v[120:123], off, off offset:440
	scratch_load_b128 v[124:127], off, off offset:456
	scratch_load_b64 v[136:137], off, off offset:432
	ds_load_2addr_b64 v[128:131], v7 offset0:115 offset1:116
	ds_load_2addr_b64 v[132:135], v7 offset0:117 offset1:118
	s_mov_b32 s0, exec_lo
	s_wait_dscnt 0x1
	v_dual_mov_b32 v138, v131 :: v_dual_mov_b32 v139, v130
	s_wait_loadcnt_dscnt 0x200
	v_dual_mov_b32 v144, v135 :: v_dual_mov_b32 v142, v123
	v_pk_mul_f32 v[140:141], v[128:129], v[120:121] op_sel:[1,1] op_sel_hi:[0,1]
	s_delay_alu instid0(VALU_DEP_2) | instskip(NEXT) | instid1(VALU_DEP_2)
	v_pk_mul_f32 v[138:139], v[138:139], v[142:143] op_sel_hi:[1,0]
	v_pk_fma_f32 v[146:147], v[128:129], v[120:121], v[140:141] op_sel_hi:[1,0,1]
	v_pk_fma_f32 v[120:121], v[128:129], v[120:121], v[140:141] neg_lo:[0,0,1] neg_hi:[0,0,1]
	v_mov_b32_e32 v145, v134
	s_wait_loadcnt 0x1
	v_pk_mul_f32 v[142:143], v[132:133], v[124:125] op_sel:[1,1] op_sel_hi:[0,1]
	v_pk_fma_f32 v[128:129], v[130:131], v[122:123], v[138:139] op_sel_hi:[1,0,1]
	v_dual_mov_b32 v121, v147 :: v_dual_mov_b32 v128, v127
	v_pk_fma_f32 v[122:123], v[130:131], v[122:123], v[138:139] neg_lo:[0,0,1] neg_hi:[0,0,1]
	s_delay_alu instid0(VALU_DEP_4) | instskip(NEXT) | instid1(VALU_DEP_4)
	v_pk_fma_f32 v[140:141], v[132:133], v[124:125], v[142:143] op_sel_hi:[1,0,1]
	v_mov_b32_e32 v123, v129
	s_delay_alu instid0(VALU_DEP_4) | instskip(SKIP_2) | instid1(VALU_DEP_3)
	v_pk_add_f32 v[120:121], v[120:121], 0 op_sel_hi:[1,0]
	v_pk_mul_f32 v[128:129], v[144:145], v[128:129] op_sel_hi:[1,0]
	v_pk_fma_f32 v[124:125], v[132:133], v[124:125], v[142:143] neg_lo:[0,0,1] neg_hi:[0,0,1]
	v_pk_add_f32 v[120:121], v[120:121], v[122:123]
	s_delay_alu instid0(VALU_DEP_3) | instskip(SKIP_2) | instid1(VALU_DEP_3)
	v_pk_fma_f32 v[122:123], v[134:135], v[126:127], v[128:129] op_sel_hi:[1,0,1]
	v_mov_b32_e32 v125, v141
	v_pk_fma_f32 v[126:127], v[134:135], v[126:127], v[128:129] neg_lo:[0,0,1] neg_hi:[0,0,1]
	v_mov_b32_e32 v127, v123
	s_delay_alu instid0(VALU_DEP_3) | instskip(NEXT) | instid1(VALU_DEP_1)
	v_pk_add_f32 v[120:121], v[120:121], v[124:125]
	v_pk_add_f32 v[120:121], v[120:121], v[126:127]
	s_wait_loadcnt 0x0
	s_delay_alu instid0(VALU_DEP_1)
	v_pk_add_f32 v[120:121], v[136:137], v[120:121] neg_lo:[0,1] neg_hi:[0,1]
	scratch_store_b64 off, v[120:121], off offset:432
	s_wait_xcnt 0x0
	v_cmpx_lt_u32_e32 53, v0
	s_cbranch_execz .LBB58_261
; %bb.260:
	scratch_load_b64 v[120:121], off, off offset:424
	v_mov_b64_e32 v[122:123], 0
	scratch_store_b64 off, v[122:123], off offset:424
	s_wait_loadcnt 0x0
	ds_store_b64 v1, v[120:121]
.LBB58_261:
	s_wait_xcnt 0x0
	s_or_b32 exec_lo, exec_lo, s0
	s_wait_storecnt_dscnt 0x0
	s_barrier_signal -1
	s_barrier_wait -1
	s_clause 0x3
	scratch_load_b128 v[120:123], off, off offset:432
	scratch_load_b128 v[124:127], off, off offset:448
	scratch_load_b64 v[136:137], off, off offset:464
	scratch_load_b64 v[138:139], off, off offset:424
	v_mov_b32_e32 v7, 0
	ds_load_b128 v[128:131], v7 offset:912
	ds_load_b128 v[132:135], v7 offset:928
	s_mov_b32 s0, exec_lo
	s_wait_dscnt 0x1
	v_dual_mov_b32 v140, v131 :: v_dual_mov_b32 v141, v130
	ds_load_b64 v[146:147], v7 offset:944
	s_wait_dscnt 0x1
	v_dual_mov_b32 v148, v135 :: v_dual_mov_b32 v149, v134
	s_wait_loadcnt 0x3
	v_pk_mul_f32 v[142:143], v[128:129], v[120:121] op_sel:[1,1] op_sel_hi:[0,1]
	v_mov_b32_e32 v144, v123
	s_delay_alu instid0(VALU_DEP_2) | instskip(NEXT) | instid1(VALU_DEP_2)
	v_pk_fma_f32 v[150:151], v[128:129], v[120:121], v[142:143] op_sel_hi:[1,0,1]
	v_pk_mul_f32 v[140:141], v[140:141], v[144:145] op_sel_hi:[1,0]
	v_pk_fma_f32 v[120:121], v[128:129], v[120:121], v[142:143] neg_lo:[0,0,1] neg_hi:[0,0,1]
	s_wait_loadcnt 0x2
	v_pk_mul_f32 v[144:145], v[132:133], v[124:125] op_sel:[1,1] op_sel_hi:[0,1]
	v_dual_mov_b32 v150, v127 :: v_dual_mov_b32 v121, v151
	v_pk_fma_f32 v[128:129], v[130:131], v[122:123], v[140:141] op_sel_hi:[1,0,1]
	v_pk_fma_f32 v[122:123], v[130:131], v[122:123], v[140:141] neg_lo:[0,0,1] neg_hi:[0,0,1]
	s_delay_alu instid0(VALU_DEP_4) | instskip(NEXT) | instid1(VALU_DEP_4)
	v_pk_fma_f32 v[142:143], v[132:133], v[124:125], v[144:145] op_sel_hi:[1,0,1]
	v_pk_mul_f32 v[148:149], v[148:149], v[150:151] op_sel_hi:[1,0]
	v_pk_add_f32 v[120:121], v[120:121], 0 op_sel_hi:[1,0]
	v_mov_b32_e32 v123, v129
	v_pk_fma_f32 v[124:125], v[132:133], v[124:125], v[144:145] neg_lo:[0,0,1] neg_hi:[0,0,1]
	v_mov_b32_e32 v125, v143
	v_pk_fma_f32 v[128:129], v[134:135], v[126:127], v[148:149] op_sel_hi:[1,0,1]
	v_pk_fma_f32 v[126:127], v[134:135], v[126:127], v[148:149] neg_lo:[0,0,1] neg_hi:[0,0,1]
	v_pk_add_f32 v[120:121], v[120:121], v[122:123]
	s_wait_loadcnt_dscnt 0x100
	v_pk_mul_f32 v[122:123], v[146:147], v[136:137] op_sel:[1,1] op_sel_hi:[0,1]
	s_delay_alu instid0(VALU_DEP_2) | instskip(NEXT) | instid1(VALU_DEP_2)
	v_pk_add_f32 v[120:121], v[120:121], v[124:125]
	v_pk_fma_f32 v[124:125], v[146:147], v[136:137], v[122:123] op_sel_hi:[1,0,1]
	v_mov_b32_e32 v127, v129
	v_pk_fma_f32 v[122:123], v[146:147], v[136:137], v[122:123] neg_lo:[0,0,1] neg_hi:[0,0,1]
	s_delay_alu instid0(VALU_DEP_3) | instskip(NEXT) | instid1(VALU_DEP_3)
	v_mov_b32_e32 v123, v125
	v_pk_add_f32 v[120:121], v[120:121], v[126:127]
	s_delay_alu instid0(VALU_DEP_1) | instskip(SKIP_1) | instid1(VALU_DEP_1)
	v_pk_add_f32 v[120:121], v[120:121], v[122:123]
	s_wait_loadcnt 0x0
	v_pk_add_f32 v[120:121], v[138:139], v[120:121] neg_lo:[0,1] neg_hi:[0,1]
	scratch_store_b64 off, v[120:121], off offset:424
	s_wait_xcnt 0x0
	v_cmpx_lt_u32_e32 52, v0
	s_cbranch_execz .LBB58_263
; %bb.262:
	scratch_load_b64 v[120:121], off, off offset:416
	v_mov_b64_e32 v[122:123], 0
	scratch_store_b64 off, v[122:123], off offset:416
	s_wait_loadcnt 0x0
	ds_store_b64 v1, v[120:121]
.LBB58_263:
	s_wait_xcnt 0x0
	s_or_b32 exec_lo, exec_lo, s0
	s_wait_storecnt_dscnt 0x0
	s_barrier_signal -1
	s_barrier_wait -1
	s_clause 0x3
	scratch_load_b128 v[120:123], off, off offset:424
	scratch_load_b128 v[124:127], off, off offset:440
	;; [unrolled: 1-line block ×3, first 2 shown]
	scratch_load_b64 v[144:145], off, off offset:416
	ds_load_2addr_b64 v[132:135], v7 offset0:113 offset1:114
	ds_load_2addr_b64 v[136:139], v7 offset0:115 offset1:116
	;; [unrolled: 1-line block ×3, first 2 shown]
	s_mov_b32 s0, exec_lo
	s_wait_dscnt 0x2
	v_dual_mov_b32 v146, v135 :: v_dual_mov_b32 v147, v134
	s_wait_dscnt 0x1
	v_dual_mov_b32 v148, v139 :: v_dual_mov_b32 v149, v138
	;; [unrolled: 2-line block ×3, first 2 shown]
	s_wait_loadcnt 0x3
	v_pk_mul_f32 v[150:151], v[132:133], v[120:121] op_sel:[1,1] op_sel_hi:[0,1]
	v_mov_b32_e32 v152, v123
	s_delay_alu instid0(VALU_DEP_2) | instskip(NEXT) | instid1(VALU_DEP_2)
	v_pk_fma_f32 v[156:157], v[132:133], v[120:121], v[150:151] op_sel_hi:[1,0,1]
	v_pk_mul_f32 v[146:147], v[146:147], v[152:153] op_sel_hi:[1,0]
	v_pk_fma_f32 v[120:121], v[132:133], v[120:121], v[150:151] neg_lo:[0,0,1] neg_hi:[0,0,1]
	s_wait_loadcnt 0x2
	v_pk_mul_f32 v[152:153], v[136:137], v[124:125] op_sel:[1,1] op_sel_hi:[0,1]
	v_mov_b32_e32 v156, v127
	v_pk_fma_f32 v[132:133], v[134:135], v[122:123], v[146:147] op_sel_hi:[1,0,1]
	v_mov_b32_e32 v121, v157
	v_pk_fma_f32 v[122:123], v[134:135], v[122:123], v[146:147] neg_lo:[0,0,1] neg_hi:[0,0,1]
	v_pk_fma_f32 v[150:151], v[136:137], v[124:125], v[152:153] op_sel_hi:[1,0,1]
	v_pk_mul_f32 v[148:149], v[148:149], v[156:157] op_sel_hi:[1,0]
	v_mov_b32_e32 v123, v133
	v_pk_add_f32 v[120:121], v[120:121], 0 op_sel_hi:[1,0]
	v_pk_fma_f32 v[124:125], v[136:137], v[124:125], v[152:153] neg_lo:[0,0,1] neg_hi:[0,0,1]
	s_wait_loadcnt 0x1
	v_pk_mul_f32 v[132:133], v[140:141], v[128:129] op_sel:[1,1] op_sel_hi:[0,1]
	v_mov_b32_e32 v125, v151
	v_pk_fma_f32 v[134:135], v[138:139], v[126:127], v[148:149] op_sel_hi:[1,0,1]
	v_pk_add_f32 v[120:121], v[120:121], v[122:123]
	v_mov_b32_e32 v122, v131
	v_pk_fma_f32 v[126:127], v[138:139], v[126:127], v[148:149] neg_lo:[0,0,1] neg_hi:[0,0,1]
	v_pk_fma_f32 v[136:137], v[140:141], v[128:129], v[132:133] op_sel_hi:[1,0,1]
	v_mov_b32_e32 v127, v135
	v_pk_add_f32 v[120:121], v[120:121], v[124:125]
	v_pk_mul_f32 v[122:123], v[154:155], v[122:123] op_sel_hi:[1,0]
	v_pk_fma_f32 v[124:125], v[140:141], v[128:129], v[132:133] neg_lo:[0,0,1] neg_hi:[0,0,1]
	v_mov_b32_e32 v125, v137
	s_delay_alu instid0(VALU_DEP_4) | instskip(NEXT) | instid1(VALU_DEP_4)
	v_pk_add_f32 v[120:121], v[120:121], v[126:127]
	v_pk_fma_f32 v[126:127], v[142:143], v[130:131], v[122:123] op_sel_hi:[1,0,1]
	v_pk_fma_f32 v[122:123], v[142:143], v[130:131], v[122:123] neg_lo:[0,0,1] neg_hi:[0,0,1]
	s_delay_alu instid0(VALU_DEP_3) | instskip(NEXT) | instid1(VALU_DEP_3)
	v_pk_add_f32 v[120:121], v[120:121], v[124:125]
	v_mov_b32_e32 v123, v127
	s_delay_alu instid0(VALU_DEP_1) | instskip(SKIP_1) | instid1(VALU_DEP_1)
	v_pk_add_f32 v[120:121], v[120:121], v[122:123]
	s_wait_loadcnt 0x0
	v_pk_add_f32 v[120:121], v[144:145], v[120:121] neg_lo:[0,1] neg_hi:[0,1]
	scratch_store_b64 off, v[120:121], off offset:416
	s_wait_xcnt 0x0
	v_cmpx_lt_u32_e32 51, v0
	s_cbranch_execz .LBB58_265
; %bb.264:
	scratch_load_b64 v[120:121], off, off offset:408
	v_mov_b64_e32 v[122:123], 0
	scratch_store_b64 off, v[122:123], off offset:408
	s_wait_loadcnt 0x0
	ds_store_b64 v1, v[120:121]
.LBB58_265:
	s_wait_xcnt 0x0
	s_or_b32 exec_lo, exec_lo, s0
	s_wait_storecnt_dscnt 0x0
	s_barrier_signal -1
	s_barrier_wait -1
	s_clause 0x4
	scratch_load_b128 v[120:123], off, off offset:416
	scratch_load_b128 v[124:127], off, off offset:432
	;; [unrolled: 1-line block ×3, first 2 shown]
	scratch_load_b64 v[144:145], off, off offset:464
	scratch_load_b64 v[146:147], off, off offset:408
	v_mov_b32_e32 v7, 0
	ds_load_b128 v[132:135], v7 offset:896
	ds_load_b128 v[136:139], v7 offset:912
	;; [unrolled: 1-line block ×3, first 2 shown]
	ds_load_b64 v[148:149], v7 offset:944
	s_mov_b32 s0, exec_lo
	s_wait_dscnt 0x3
	v_dual_mov_b32 v150, v135 :: v_dual_mov_b32 v151, v134
	s_wait_dscnt 0x2
	v_dual_mov_b32 v152, v139 :: v_dual_mov_b32 v153, v138
	;; [unrolled: 2-line block ×3, first 2 shown]
	s_wait_loadcnt 0x4
	v_pk_mul_f32 v[154:155], v[132:133], v[120:121] op_sel:[1,1] op_sel_hi:[0,1]
	v_mov_b32_e32 v156, v123
	s_wait_loadcnt 0x3
	v_pk_mul_f32 v[160:161], v[136:137], v[124:125] op_sel:[1,1] op_sel_hi:[0,1]
	s_wait_loadcnt 0x2
	v_pk_mul_f32 v[164:165], v[140:141], v[128:129] op_sel:[1,1] op_sel_hi:[0,1]
	v_pk_fma_f32 v[162:163], v[132:133], v[120:121], v[154:155] op_sel_hi:[1,0,1]
	v_pk_mul_f32 v[150:151], v[150:151], v[156:157] op_sel_hi:[1,0]
	v_pk_fma_f32 v[120:121], v[132:133], v[120:121], v[154:155] neg_lo:[0,0,1] neg_hi:[0,0,1]
	v_mov_b32_e32 v156, v127
	v_pk_fma_f32 v[154:155], v[136:137], v[124:125], v[160:161] op_sel_hi:[1,0,1]
	v_mov_b32_e32 v121, v163
	v_pk_fma_f32 v[132:133], v[134:135], v[122:123], v[150:151] op_sel_hi:[1,0,1]
	v_pk_fma_f32 v[122:123], v[134:135], v[122:123], v[150:151] neg_lo:[0,0,1] neg_hi:[0,0,1]
	v_pk_mul_f32 v[152:153], v[152:153], v[156:157] op_sel_hi:[1,0]
	v_pk_fma_f32 v[124:125], v[136:137], v[124:125], v[160:161] neg_lo:[0,0,1] neg_hi:[0,0,1]
	v_pk_add_f32 v[120:121], v[120:121], 0 op_sel_hi:[1,0]
	v_dual_mov_b32 v123, v133 :: v_dual_mov_b32 v132, v131
	s_delay_alu instid0(VALU_DEP_4) | instskip(SKIP_2) | instid1(VALU_DEP_4)
	v_pk_fma_f32 v[134:135], v[138:139], v[126:127], v[152:153] op_sel_hi:[1,0,1]
	v_mov_b32_e32 v125, v155
	v_pk_fma_f32 v[126:127], v[138:139], v[126:127], v[152:153] neg_lo:[0,0,1] neg_hi:[0,0,1]
	v_pk_add_f32 v[120:121], v[120:121], v[122:123]
	v_pk_fma_f32 v[122:123], v[140:141], v[128:129], v[164:165] op_sel_hi:[1,0,1]
	v_pk_mul_f32 v[132:133], v[158:159], v[132:133] op_sel_hi:[1,0]
	v_mov_b32_e32 v127, v135
	s_delay_alu instid0(VALU_DEP_4)
	v_pk_add_f32 v[120:121], v[120:121], v[124:125]
	v_pk_fma_f32 v[124:125], v[140:141], v[128:129], v[164:165] neg_lo:[0,0,1] neg_hi:[0,0,1]
	v_mov_b32_e32 v125, v123
	v_pk_fma_f32 v[122:123], v[142:143], v[130:131], v[132:133] op_sel_hi:[1,0,1]
	v_pk_fma_f32 v[128:129], v[142:143], v[130:131], v[132:133] neg_lo:[0,0,1] neg_hi:[0,0,1]
	v_pk_add_f32 v[120:121], v[120:121], v[126:127]
	s_wait_loadcnt_dscnt 0x100
	v_pk_mul_f32 v[126:127], v[148:149], v[144:145] op_sel:[1,1] op_sel_hi:[0,1]
	v_mov_b32_e32 v129, v123
	s_delay_alu instid0(VALU_DEP_3) | instskip(NEXT) | instid1(VALU_DEP_3)
	v_pk_add_f32 v[120:121], v[120:121], v[124:125]
	v_pk_fma_f32 v[122:123], v[148:149], v[144:145], v[126:127] op_sel_hi:[1,0,1]
	v_pk_fma_f32 v[124:125], v[148:149], v[144:145], v[126:127] neg_lo:[0,0,1] neg_hi:[0,0,1]
	s_delay_alu instid0(VALU_DEP_3) | instskip(NEXT) | instid1(VALU_DEP_3)
	v_pk_add_f32 v[120:121], v[120:121], v[128:129]
	v_mov_b32_e32 v125, v123
	s_delay_alu instid0(VALU_DEP_1) | instskip(SKIP_1) | instid1(VALU_DEP_1)
	v_pk_add_f32 v[120:121], v[120:121], v[124:125]
	s_wait_loadcnt 0x0
	v_pk_add_f32 v[120:121], v[146:147], v[120:121] neg_lo:[0,1] neg_hi:[0,1]
	scratch_store_b64 off, v[120:121], off offset:408
	s_wait_xcnt 0x0
	v_cmpx_lt_u32_e32 50, v0
	s_cbranch_execz .LBB58_267
; %bb.266:
	scratch_load_b64 v[120:121], off, off offset:400
	v_mov_b64_e32 v[122:123], 0
	scratch_store_b64 off, v[122:123], off offset:400
	s_wait_loadcnt 0x0
	ds_store_b64 v1, v[120:121]
.LBB58_267:
	s_wait_xcnt 0x0
	s_or_b32 exec_lo, exec_lo, s0
	s_wait_storecnt_dscnt 0x0
	s_barrier_signal -1
	s_barrier_wait -1
	s_clause 0x4
	scratch_load_b128 v[120:123], off, off offset:408
	scratch_load_b128 v[124:127], off, off offset:424
	;; [unrolled: 1-line block ×4, first 2 shown]
	scratch_load_b64 v[152:153], off, off offset:400
	ds_load_2addr_b64 v[136:139], v7 offset0:111 offset1:112
	ds_load_2addr_b64 v[140:143], v7 offset0:113 offset1:114
	;; [unrolled: 1-line block ×4, first 2 shown]
	s_mov_b32 s0, exec_lo
	s_wait_dscnt 0x3
	v_dual_mov_b32 v154, v139 :: v_dual_mov_b32 v155, v138
	s_wait_dscnt 0x2
	v_dual_mov_b32 v156, v143 :: v_dual_mov_b32 v157, v142
	;; [unrolled: 2-line block ×3, first 2 shown]
	v_dual_mov_b32 v159, v146 :: v_dual_mov_b32 v164, v151
	s_wait_loadcnt 0x4
	v_mov_b32_e32 v162, v123
	v_pk_mul_f32 v[160:161], v[136:137], v[120:121] op_sel:[1,1] op_sel_hi:[0,1]
	s_wait_loadcnt 0x3
	v_pk_mul_f32 v[166:167], v[140:141], v[124:125] op_sel:[1,1] op_sel_hi:[0,1]
	s_wait_loadcnt 0x2
	v_pk_mul_f32 v[170:171], v[144:145], v[128:129] op_sel:[1,1] op_sel_hi:[0,1]
	v_pk_mul_f32 v[154:155], v[154:155], v[162:163] op_sel_hi:[1,0]
	v_pk_fma_f32 v[168:169], v[136:137], v[120:121], v[160:161] op_sel_hi:[1,0,1]
	v_pk_fma_f32 v[120:121], v[136:137], v[120:121], v[160:161] neg_lo:[0,0,1] neg_hi:[0,0,1]
	v_mov_b32_e32 v162, v127
	v_pk_fma_f32 v[160:161], v[140:141], v[124:125], v[166:167] op_sel_hi:[1,0,1]
	v_pk_fma_f32 v[136:137], v[138:139], v[122:123], v[154:155] op_sel_hi:[1,0,1]
	v_mov_b32_e32 v121, v169
	v_pk_fma_f32 v[122:123], v[138:139], v[122:123], v[154:155] neg_lo:[0,0,1] neg_hi:[0,0,1]
	v_pk_mul_f32 v[156:157], v[156:157], v[162:163] op_sel_hi:[1,0]
	s_delay_alu instid0(VALU_DEP_4) | instskip(NEXT) | instid1(VALU_DEP_4)
	v_dual_mov_b32 v136, v131 :: v_dual_mov_b32 v123, v137
	v_pk_add_f32 v[120:121], v[120:121], 0 op_sel_hi:[1,0]
	v_pk_fma_f32 v[124:125], v[140:141], v[124:125], v[166:167] neg_lo:[0,0,1] neg_hi:[0,0,1]
	v_mov_b32_e32 v125, v161
	v_pk_fma_f32 v[138:139], v[142:143], v[126:127], v[156:157] op_sel_hi:[1,0,1]
	v_pk_mul_f32 v[136:137], v[158:159], v[136:137] op_sel_hi:[1,0]
	v_pk_add_f32 v[120:121], v[120:121], v[122:123]
	v_pk_fma_f32 v[122:123], v[144:145], v[128:129], v[170:171] op_sel_hi:[1,0,1]
	v_pk_fma_f32 v[126:127], v[142:143], v[126:127], v[156:157] neg_lo:[0,0,1] neg_hi:[0,0,1]
	v_mov_b32_e32 v127, v139
	v_pk_fma_f32 v[128:129], v[144:145], v[128:129], v[170:171] neg_lo:[0,0,1] neg_hi:[0,0,1]
	v_pk_add_f32 v[120:121], v[120:121], v[124:125]
	v_mov_b32_e32 v129, v123
	v_pk_fma_f32 v[122:123], v[146:147], v[130:131], v[136:137] op_sel_hi:[1,0,1]
	s_wait_loadcnt 0x1
	v_pk_mul_f32 v[124:125], v[148:149], v[132:133] op_sel:[1,1] op_sel_hi:[0,1]
	v_mov_b32_e32 v122, v135
	v_pk_add_f32 v[120:121], v[120:121], v[126:127]
	v_pk_fma_f32 v[130:131], v[146:147], v[130:131], v[136:137] neg_lo:[0,0,1] neg_hi:[0,0,1]
	v_mov_b32_e32 v131, v123
	v_pk_fma_f32 v[126:127], v[148:149], v[132:133], v[124:125] op_sel_hi:[1,0,1]
	v_pk_mul_f32 v[122:123], v[164:165], v[122:123] op_sel_hi:[1,0]
	v_pk_add_f32 v[120:121], v[120:121], v[128:129]
	v_pk_fma_f32 v[124:125], v[148:149], v[132:133], v[124:125] neg_lo:[0,0,1] neg_hi:[0,0,1]
	s_delay_alu instid0(VALU_DEP_4) | instskip(NEXT) | instid1(VALU_DEP_4)
	v_mov_b32_e32 v125, v127
	v_pk_fma_f32 v[126:127], v[150:151], v[134:135], v[122:123] op_sel_hi:[1,0,1]
	s_delay_alu instid0(VALU_DEP_4) | instskip(SKIP_1) | instid1(VALU_DEP_3)
	v_pk_add_f32 v[120:121], v[120:121], v[130:131]
	v_pk_fma_f32 v[122:123], v[150:151], v[134:135], v[122:123] neg_lo:[0,0,1] neg_hi:[0,0,1]
	v_mov_b32_e32 v123, v127
	s_delay_alu instid0(VALU_DEP_3) | instskip(NEXT) | instid1(VALU_DEP_1)
	v_pk_add_f32 v[120:121], v[120:121], v[124:125]
	v_pk_add_f32 v[120:121], v[120:121], v[122:123]
	s_wait_loadcnt 0x0
	s_delay_alu instid0(VALU_DEP_1)
	v_pk_add_f32 v[120:121], v[152:153], v[120:121] neg_lo:[0,1] neg_hi:[0,1]
	scratch_store_b64 off, v[120:121], off offset:400
	s_wait_xcnt 0x0
	v_cmpx_lt_u32_e32 49, v0
	s_cbranch_execz .LBB58_269
; %bb.268:
	scratch_load_b64 v[120:121], off, off offset:392
	v_mov_b64_e32 v[122:123], 0
	scratch_store_b64 off, v[122:123], off offset:392
	s_wait_loadcnt 0x0
	ds_store_b64 v1, v[120:121]
.LBB58_269:
	s_wait_xcnt 0x0
	s_or_b32 exec_lo, exec_lo, s0
	s_wait_storecnt_dscnt 0x0
	s_barrier_signal -1
	s_barrier_wait -1
	s_clause 0x5
	scratch_load_b128 v[120:123], off, off offset:400
	scratch_load_b128 v[124:127], off, off offset:416
	;; [unrolled: 1-line block ×4, first 2 shown]
	scratch_load_b64 v[152:153], off, off offset:464
	scratch_load_b64 v[154:155], off, off offset:392
	v_mov_b32_e32 v7, 0
	ds_load_b128 v[136:139], v7 offset:880
	ds_load_b128 v[140:143], v7 offset:896
	;; [unrolled: 1-line block ×4, first 2 shown]
	ds_load_b64 v[156:157], v7 offset:944
	s_mov_b32 s0, exec_lo
	s_wait_dscnt 0x4
	v_dual_mov_b32 v158, v139 :: v_dual_mov_b32 v159, v138
	s_wait_dscnt 0x1
	v_dual_mov_b32 v160, v143 :: v_dual_mov_b32 v165, v150
	v_dual_mov_b32 v161, v142 :: v_dual_mov_b32 v162, v147
	;; [unrolled: 1-line block ×3, first 2 shown]
	s_wait_loadcnt 0x5
	v_dual_mov_b32 v166, v123 :: v_dual_mul_f32 v167, v136, v121
	v_mul_f32_e32 v9, v137, v121
	s_wait_loadcnt 0x4
	v_pk_mul_f32 v[168:169], v[140:141], v[124:125] op_sel:[1,1] op_sel_hi:[0,1]
	v_mov_b32_e32 v170, v127
	s_wait_loadcnt 0x3
	v_pk_mul_f32 v[172:173], v[144:145], v[128:129] op_sel:[1,1] op_sel_hi:[0,1]
	v_pk_mul_f32 v[158:159], v[158:159], v[166:167] op_sel_hi:[1,0]
	v_dual_fmac_f32 v167, v137, v120 :: v_dual_fma_f32 v166, v136, v120, -v9
	v_mov_b32_e32 v120, v131
	v_pk_fma_f32 v[174:175], v[140:141], v[124:125], v[168:169] op_sel_hi:[1,0,1]
	s_delay_alu instid0(VALU_DEP_4)
	v_pk_fma_f32 v[136:137], v[138:139], v[122:123], v[158:159] op_sel_hi:[1,0,1]
	v_pk_fma_f32 v[122:123], v[138:139], v[122:123], v[158:159] neg_lo:[0,0,1] neg_hi:[0,0,1]
	v_pk_mul_f32 v[160:161], v[160:161], v[170:171] op_sel_hi:[1,0]
	v_pk_add_f32 v[166:167], v[166:167], 0 op_sel_hi:[1,0]
	v_pk_fma_f32 v[124:125], v[140:141], v[124:125], v[168:169] neg_lo:[0,0,1] neg_hi:[0,0,1]
	v_dual_mov_b32 v123, v137 :: v_dual_mov_b32 v125, v175
	s_delay_alu instid0(VALU_DEP_4) | instskip(SKIP_2) | instid1(VALU_DEP_4)
	v_pk_fma_f32 v[138:139], v[142:143], v[126:127], v[160:161] op_sel_hi:[1,0,1]
	v_pk_fma_f32 v[126:127], v[142:143], v[126:127], v[160:161] neg_lo:[0,0,1] neg_hi:[0,0,1]
	v_pk_fma_f32 v[140:141], v[144:145], v[128:129], v[172:173] op_sel_hi:[1,0,1]
	v_pk_add_f32 v[122:123], v[166:167], v[122:123]
	v_pk_mul_f32 v[120:121], v[162:163], v[120:121] op_sel_hi:[1,0]
	v_mov_b32_e32 v127, v139
	v_pk_fma_f32 v[128:129], v[144:145], v[128:129], v[172:173] neg_lo:[0,0,1] neg_hi:[0,0,1]
	s_wait_loadcnt 0x2
	v_pk_mul_f32 v[136:137], v[148:149], v[132:133] op_sel:[1,1] op_sel_hi:[0,1]
	v_pk_add_f32 v[122:123], v[122:123], v[124:125]
	v_mov_b32_e32 v124, v135
	v_pk_fma_f32 v[138:139], v[146:147], v[130:131], v[120:121] op_sel_hi:[1,0,1]
	v_mov_b32_e32 v129, v141
	v_pk_fma_f32 v[120:121], v[146:147], v[130:131], v[120:121] neg_lo:[0,0,1] neg_hi:[0,0,1]
	v_pk_add_f32 v[122:123], v[122:123], v[126:127]
	v_pk_fma_f32 v[126:127], v[148:149], v[132:133], v[136:137] op_sel_hi:[1,0,1]
	v_pk_mul_f32 v[124:125], v[164:165], v[124:125] op_sel_hi:[1,0]
	v_mov_b32_e32 v121, v139
	s_delay_alu instid0(VALU_DEP_4)
	v_pk_add_f32 v[122:123], v[122:123], v[128:129]
	v_pk_fma_f32 v[128:129], v[148:149], v[132:133], v[136:137] neg_lo:[0,0,1] neg_hi:[0,0,1]
	v_mov_b32_e32 v129, v127
	v_pk_fma_f32 v[126:127], v[150:151], v[134:135], v[124:125] op_sel_hi:[1,0,1]
	v_pk_fma_f32 v[124:125], v[150:151], v[134:135], v[124:125] neg_lo:[0,0,1] neg_hi:[0,0,1]
	v_pk_add_f32 v[120:121], v[122:123], v[120:121]
	s_wait_loadcnt_dscnt 0x100
	v_pk_mul_f32 v[122:123], v[156:157], v[152:153] op_sel:[1,1] op_sel_hi:[0,1]
	v_mov_b32_e32 v125, v127
	s_delay_alu instid0(VALU_DEP_3) | instskip(NEXT) | instid1(VALU_DEP_3)
	v_pk_add_f32 v[120:121], v[120:121], v[128:129]
	v_pk_fma_f32 v[126:127], v[156:157], v[152:153], v[122:123] op_sel_hi:[1,0,1]
	v_pk_fma_f32 v[122:123], v[156:157], v[152:153], v[122:123] neg_lo:[0,0,1] neg_hi:[0,0,1]
	s_delay_alu instid0(VALU_DEP_3) | instskip(NEXT) | instid1(VALU_DEP_3)
	v_pk_add_f32 v[120:121], v[120:121], v[124:125]
	v_mov_b32_e32 v123, v127
	s_delay_alu instid0(VALU_DEP_1) | instskip(SKIP_1) | instid1(VALU_DEP_1)
	v_pk_add_f32 v[120:121], v[120:121], v[122:123]
	s_wait_loadcnt 0x0
	v_pk_add_f32 v[120:121], v[154:155], v[120:121] neg_lo:[0,1] neg_hi:[0,1]
	scratch_store_b64 off, v[120:121], off offset:392
	s_wait_xcnt 0x0
	v_cmpx_lt_u32_e32 48, v0
	s_cbranch_execz .LBB58_271
; %bb.270:
	scratch_load_b64 v[120:121], off, off offset:384
	v_mov_b64_e32 v[122:123], 0
	scratch_store_b64 off, v[122:123], off offset:384
	s_wait_loadcnt 0x0
	ds_store_b64 v1, v[120:121]
.LBB58_271:
	s_wait_xcnt 0x0
	s_or_b32 exec_lo, exec_lo, s0
	s_wait_storecnt_dscnt 0x0
	s_barrier_signal -1
	s_barrier_wait -1
	s_clause 0x5
	scratch_load_b128 v[120:123], off, off offset:392
	scratch_load_b128 v[124:127], off, off offset:408
	;; [unrolled: 1-line block ×5, first 2 shown]
	scratch_load_b64 v[160:161], off, off offset:384
	ds_load_2addr_b64 v[140:143], v7 offset0:111 offset1:112
	ds_load_2addr_b64 v[144:147], v7 offset0:113 offset1:114
	;; [unrolled: 1-line block ×5, first 2 shown]
	s_mov_b32 s0, exec_lo
	s_wait_dscnt 0x4
	v_dual_mov_b32 v162, v143 :: v_dual_mov_b32 v163, v142
	s_wait_dscnt 0x3
	v_dual_mov_b32 v164, v147 :: v_dual_mov_b32 v165, v146
	;; [unrolled: 2-line block ×4, first 2 shown]
	s_wait_loadcnt_dscnt 0x500
	v_dual_mul_f32 v171, v156, v121 :: v_dual_mul_f32 v173, v158, v123
	v_dual_mul_f32 v7, v157, v121 :: v_dual_mul_f32 v9, v159, v123
	s_wait_loadcnt 0x4
	v_pk_mul_f32 v[174:175], v[140:141], v[124:125] op_sel:[1,1] op_sel_hi:[0,1]
	s_wait_loadcnt 0x3
	v_dual_mov_b32 v176, v127 :: v_dual_mov_b32 v180, v131
	v_dual_fmac_f32 v171, v157, v120 :: v_dual_fmac_f32 v173, v159, v122
	v_dual_fma_f32 v170, v156, v120, -v7 :: v_dual_fma_f32 v172, v158, v122, -v9
	v_pk_fma_f32 v[120:121], v[140:141], v[124:125], v[174:175] op_sel_hi:[1,0,1]
	s_delay_alu instid0(VALU_DEP_4) | instskip(SKIP_1) | instid1(VALU_DEP_4)
	v_pk_mul_f32 v[122:123], v[162:163], v[176:177] op_sel_hi:[1,0]
	v_pk_fma_f32 v[124:125], v[140:141], v[124:125], v[174:175] neg_lo:[0,0,1] neg_hi:[0,0,1]
	v_pk_add_f32 v[156:157], v[170:171], 0 op_sel_hi:[1,0]
	v_pk_mul_f32 v[178:179], v[144:145], v[128:129] op_sel:[1,1] op_sel_hi:[0,1]
	v_mov_b32_e32 v125, v121
	v_pk_fma_f32 v[120:121], v[142:143], v[126:127], v[122:123] op_sel_hi:[1,0,1]
	v_pk_fma_f32 v[122:123], v[142:143], v[126:127], v[122:123] neg_lo:[0,0,1] neg_hi:[0,0,1]
	v_pk_add_f32 v[140:141], v[156:157], v[172:173]
	v_pk_fma_f32 v[156:157], v[144:145], v[128:129], v[178:179] op_sel_hi:[1,0,1]
	v_pk_mul_f32 v[162:163], v[164:165], v[180:181] op_sel_hi:[1,0]
	v_mov_b32_e32 v123, v121
	s_wait_loadcnt 0x2
	v_pk_mul_f32 v[158:159], v[148:149], v[132:133] op_sel:[1,1] op_sel_hi:[0,1]
	v_pk_add_f32 v[120:121], v[140:141], v[124:125]
	v_mov_b32_e32 v124, v135
	v_pk_fma_f32 v[126:127], v[144:145], v[128:129], v[178:179] neg_lo:[0,0,1] neg_hi:[0,0,1]
	v_mov_b32_e32 v127, v157
	v_pk_fma_f32 v[128:129], v[146:147], v[130:131], v[162:163] op_sel_hi:[1,0,1]
	v_pk_add_f32 v[120:121], v[120:121], v[122:123]
	v_pk_fma_f32 v[122:123], v[148:149], v[132:133], v[158:159] op_sel_hi:[1,0,1]
	v_pk_mul_f32 v[124:125], v[166:167], v[124:125] op_sel_hi:[1,0]
	v_pk_fma_f32 v[130:131], v[146:147], v[130:131], v[162:163] neg_lo:[0,0,1] neg_hi:[0,0,1]
	v_mov_b32_e32 v131, v129
	v_pk_add_f32 v[120:121], v[120:121], v[126:127]
	v_pk_fma_f32 v[128:129], v[148:149], v[132:133], v[158:159] neg_lo:[0,0,1] neg_hi:[0,0,1]
	v_mov_b32_e32 v129, v123
	v_pk_fma_f32 v[122:123], v[150:151], v[134:135], v[124:125] op_sel_hi:[1,0,1]
	s_wait_loadcnt 0x1
	v_pk_mul_f32 v[126:127], v[152:153], v[136:137] op_sel:[1,1] op_sel_hi:[0,1]
	v_pk_add_f32 v[120:121], v[120:121], v[130:131]
	v_mov_b32_e32 v122, v139
	v_pk_fma_f32 v[124:125], v[150:151], v[134:135], v[124:125] neg_lo:[0,0,1] neg_hi:[0,0,1]
	v_mov_b32_e32 v125, v123
	v_pk_fma_f32 v[130:131], v[152:153], v[136:137], v[126:127] op_sel_hi:[1,0,1]
	v_pk_add_f32 v[120:121], v[120:121], v[128:129]
	v_pk_mul_f32 v[122:123], v[168:169], v[122:123] op_sel_hi:[1,0]
	v_pk_fma_f32 v[126:127], v[152:153], v[136:137], v[126:127] neg_lo:[0,0,1] neg_hi:[0,0,1]
	s_delay_alu instid0(VALU_DEP_3) | instskip(NEXT) | instid1(VALU_DEP_3)
	v_pk_add_f32 v[120:121], v[120:121], v[124:125]
	v_pk_fma_f32 v[124:125], v[154:155], v[138:139], v[122:123] op_sel_hi:[1,0,1]
	v_mov_b32_e32 v127, v131
	v_pk_fma_f32 v[122:123], v[154:155], v[138:139], v[122:123] neg_lo:[0,0,1] neg_hi:[0,0,1]
	s_delay_alu instid0(VALU_DEP_3) | instskip(NEXT) | instid1(VALU_DEP_3)
	v_mov_b32_e32 v123, v125
	v_pk_add_f32 v[120:121], v[120:121], v[126:127]
	s_delay_alu instid0(VALU_DEP_1) | instskip(SKIP_1) | instid1(VALU_DEP_1)
	v_pk_add_f32 v[120:121], v[120:121], v[122:123]
	s_wait_loadcnt 0x0
	v_pk_add_f32 v[120:121], v[160:161], v[120:121] neg_lo:[0,1] neg_hi:[0,1]
	scratch_store_b64 off, v[120:121], off offset:384
	s_wait_xcnt 0x0
	v_cmpx_lt_u32_e32 47, v0
	s_cbranch_execz .LBB58_273
; %bb.272:
	scratch_load_b64 v[120:121], off, off offset:376
	v_mov_b64_e32 v[122:123], 0
	scratch_store_b64 off, v[122:123], off offset:376
	s_wait_loadcnt 0x0
	ds_store_b64 v1, v[120:121]
.LBB58_273:
	s_wait_xcnt 0x0
	s_or_b32 exec_lo, exec_lo, s0
	s_wait_storecnt_dscnt 0x0
	s_barrier_signal -1
	s_barrier_wait -1
	s_clause 0x6
	scratch_load_b128 v[120:123], off, off offset:384
	scratch_load_b128 v[124:127], off, off offset:400
	;; [unrolled: 1-line block ×5, first 2 shown]
	scratch_load_b64 v[160:161], off, off offset:464
	scratch_load_b64 v[162:163], off, off offset:376
	v_mov_b32_e32 v7, 0
	ds_load_b128 v[140:143], v7 offset:880
	ds_load_b128 v[144:147], v7 offset:896
	ds_load_b128 v[148:151], v7 offset:912
	ds_load_b128 v[152:155], v7 offset:928
	ds_load_b128 v[156:159], v7 offset:864
	ds_load_b64 v[164:165], v7 offset:944
	s_mov_b32 s0, exec_lo
	s_wait_dscnt 0x5
	v_dual_mov_b32 v166, v143 :: v_dual_mov_b32 v167, v142
	s_wait_dscnt 0x2
	v_dual_mov_b32 v168, v147 :: v_dual_mov_b32 v173, v154
	v_dual_mov_b32 v169, v146 :: v_dual_mov_b32 v170, v151
	;; [unrolled: 1-line block ×3, first 2 shown]
	s_wait_loadcnt_dscnt 0x601
	v_dual_mul_f32 v9, v156, v121 :: v_dual_mul_f32 v11, v157, v121
	v_dual_mul_f32 v13, v159, v123 :: v_dual_mul_f32 v175, v158, v123
	s_wait_loadcnt 0x5
	v_dual_mul_f32 v177, v140, v125 :: v_dual_mul_f32 v15, v141, v125
	s_wait_loadcnt 0x4
	v_dual_mov_b32 v176, v127 :: v_dual_mov_b32 v180, v131
	v_dual_fmac_f32 v9, v157, v120 :: v_dual_fma_f32 v11, v156, v120, -v11
	v_dual_fma_f32 v174, v158, v122, -v13 :: v_dual_fmac_f32 v175, v159, v122
	s_delay_alu instid0(VALU_DEP_3) | instskip(NEXT) | instid1(VALU_DEP_3)
	v_pk_mul_f32 v[120:121], v[166:167], v[176:177] op_sel_hi:[1,0]
	v_dual_add_f32 v123, 0, v9 :: v_dual_add_f32 v122, 0, v11
	s_wait_loadcnt 0x3
	v_mov_b32_e32 v156, v135
	v_pk_mul_f32 v[178:179], v[144:145], v[128:129] op_sel:[1,1] op_sel_hi:[0,1]
	v_dual_fmac_f32 v177, v141, v124 :: v_dual_fma_f32 v176, v140, v124, -v15
	v_pk_fma_f32 v[124:125], v[142:143], v[126:127], v[120:121] op_sel_hi:[1,0,1]
	v_pk_add_f32 v[122:123], v[122:123], v[174:175]
	v_pk_fma_f32 v[120:121], v[142:143], v[126:127], v[120:121] neg_lo:[0,0,1] neg_hi:[0,0,1]
	v_pk_fma_f32 v[140:141], v[144:145], v[128:129], v[178:179] op_sel_hi:[1,0,1]
	v_pk_mul_f32 v[158:159], v[168:169], v[180:181] op_sel_hi:[1,0]
	v_mov_b32_e32 v121, v125
	v_pk_add_f32 v[122:123], v[122:123], v[176:177]
	v_pk_fma_f32 v[126:127], v[144:145], v[128:129], v[178:179] neg_lo:[0,0,1] neg_hi:[0,0,1]
	v_pk_mul_f32 v[182:183], v[148:149], v[132:133] op_sel:[1,1] op_sel_hi:[0,1]
	v_mov_b32_e32 v127, v141
	v_pk_fma_f32 v[128:129], v[146:147], v[130:131], v[158:159] op_sel_hi:[1,0,1]
	v_pk_add_f32 v[120:121], v[122:123], v[120:121]
	v_pk_fma_f32 v[130:131], v[146:147], v[130:131], v[158:159] neg_lo:[0,0,1] neg_hi:[0,0,1]
	v_pk_fma_f32 v[122:123], v[148:149], v[132:133], v[182:183] op_sel_hi:[1,0,1]
	v_pk_mul_f32 v[140:141], v[170:171], v[156:157] op_sel_hi:[1,0]
	s_wait_loadcnt 0x2
	v_dual_mov_b32 v131, v129 :: v_dual_mov_b32 v122, v139
	v_pk_add_f32 v[120:121], v[120:121], v[126:127]
	v_pk_fma_f32 v[126:127], v[148:149], v[132:133], v[182:183] neg_lo:[0,0,1] neg_hi:[0,0,1]
	v_pk_mul_f32 v[124:125], v[152:153], v[136:137] op_sel:[1,1] op_sel_hi:[0,1]
	v_pk_fma_f32 v[128:129], v[150:151], v[134:135], v[140:141] op_sel_hi:[1,0,1]
	v_mov_b32_e32 v127, v123
	v_pk_add_f32 v[120:121], v[120:121], v[130:131]
	v_pk_fma_f32 v[132:133], v[150:151], v[134:135], v[140:141] neg_lo:[0,0,1] neg_hi:[0,0,1]
	v_pk_fma_f32 v[130:131], v[152:153], v[136:137], v[124:125] op_sel_hi:[1,0,1]
	v_pk_mul_f32 v[122:123], v[172:173], v[122:123] op_sel_hi:[1,0]
	v_mov_b32_e32 v133, v129
	v_pk_add_f32 v[120:121], v[120:121], v[126:127]
	v_pk_fma_f32 v[124:125], v[152:153], v[136:137], v[124:125] neg_lo:[0,0,1] neg_hi:[0,0,1]
	s_wait_loadcnt_dscnt 0x100
	v_pk_mul_f32 v[128:129], v[164:165], v[160:161] op_sel:[1,1] op_sel_hi:[0,1]
	v_pk_fma_f32 v[126:127], v[154:155], v[138:139], v[122:123] op_sel_hi:[1,0,1]
	v_mov_b32_e32 v125, v131
	v_pk_add_f32 v[120:121], v[120:121], v[132:133]
	v_pk_fma_f32 v[122:123], v[154:155], v[138:139], v[122:123] neg_lo:[0,0,1] neg_hi:[0,0,1]
	s_delay_alu instid0(VALU_DEP_4) | instskip(SKIP_1) | instid1(VALU_DEP_4)
	v_mov_b32_e32 v123, v127
	v_pk_fma_f32 v[126:127], v[164:165], v[160:161], v[128:129] neg_lo:[0,0,1] neg_hi:[0,0,1]
	v_pk_add_f32 v[120:121], v[120:121], v[124:125]
	v_pk_fma_f32 v[124:125], v[164:165], v[160:161], v[128:129] op_sel_hi:[1,0,1]
	s_delay_alu instid0(VALU_DEP_2) | instskip(NEXT) | instid1(VALU_DEP_2)
	v_pk_add_f32 v[120:121], v[120:121], v[122:123]
	v_mov_b32_e32 v127, v125
	s_delay_alu instid0(VALU_DEP_1) | instskip(SKIP_1) | instid1(VALU_DEP_1)
	v_pk_add_f32 v[120:121], v[120:121], v[126:127]
	s_wait_loadcnt 0x0
	v_pk_add_f32 v[120:121], v[162:163], v[120:121] neg_lo:[0,1] neg_hi:[0,1]
	scratch_store_b64 off, v[120:121], off offset:376
	s_wait_xcnt 0x0
	v_cmpx_lt_u32_e32 46, v0
	s_cbranch_execz .LBB58_275
; %bb.274:
	scratch_load_b64 v[120:121], off, off offset:368
	v_mov_b64_e32 v[122:123], 0
	scratch_store_b64 off, v[122:123], off offset:368
	s_wait_loadcnt 0x0
	ds_store_b64 v1, v[120:121]
.LBB58_275:
	s_wait_xcnt 0x0
	s_or_b32 exec_lo, exec_lo, s0
	s_wait_storecnt_dscnt 0x0
	s_barrier_signal -1
	s_barrier_wait -1
	s_clause 0x6
	scratch_load_b128 v[120:123], off, off offset:376
	scratch_load_b128 v[124:127], off, off offset:392
	;; [unrolled: 1-line block ×6, first 2 shown]
	scratch_load_b64 v[168:169], off, off offset:368
	ds_load_2addr_b64 v[144:147], v7 offset0:111 offset1:112
	ds_load_2addr_b64 v[148:151], v7 offset0:113 offset1:114
	;; [unrolled: 1-line block ×6, first 2 shown]
	s_mov_b32 s0, exec_lo
	s_wait_dscnt 0x5
	v_dual_mov_b32 v170, v147 :: v_dual_mov_b32 v171, v146
	s_wait_dscnt 0x4
	v_dual_mov_b32 v172, v151 :: v_dual_mov_b32 v173, v150
	;; [unrolled: 2-line block ×4, first 2 shown]
	s_wait_loadcnt_dscnt 0x601
	v_dual_mul_f32 v7, v160, v121 :: v_dual_mul_f32 v9, v162, v123
	v_dual_mul_f32 v11, v161, v121 :: v_dual_mul_f32 v13, v163, v123
	s_wait_loadcnt 0x4
	s_delay_alu instid0(VALU_DEP_2)
	v_dual_mov_b32 v184, v131 :: v_dual_fmac_f32 v7, v161, v120
	s_wait_dscnt 0x0
	v_dual_mul_f32 v179, v164, v125 :: v_dual_mul_f32 v181, v166, v127
	v_dual_fma_f32 v11, v160, v120, -v11 :: v_dual_fmac_f32 v9, v163, v122
	v_dual_mul_f32 v15, v165, v125 :: v_dual_mul_f32 v17, v167, v127
	v_dual_fma_f32 v13, v162, v122, -v13 :: v_dual_add_f32 v7, 0, v7
	s_wait_loadcnt 0x3
	s_delay_alu instid0(VALU_DEP_3) | instskip(SKIP_3) | instid1(VALU_DEP_4)
	v_dual_add_f32 v11, 0, v11 :: v_dual_mov_b32 v122, v135
	v_pk_mul_f32 v[182:183], v[144:145], v[128:129] op_sel:[1,1] op_sel_hi:[0,1]
	v_pk_mul_f32 v[120:121], v[148:149], v[132:133] op_sel:[1,1] op_sel_hi:[0,1]
	v_dual_fmac_f32 v179, v165, v124 :: v_dual_add_f32 v125, v7, v9
	v_dual_fma_f32 v178, v164, v124, -v15 :: v_dual_add_f32 v124, v11, v13
	v_fmac_f32_e32 v181, v167, v126
	v_fma_f32 v180, v166, v126, -v17
	v_pk_fma_f32 v[126:127], v[144:145], v[128:129], v[182:183] op_sel_hi:[1,0,1]
	v_pk_mul_f32 v[160:161], v[170:171], v[184:185] op_sel_hi:[1,0]
	v_pk_add_f32 v[124:125], v[124:125], v[178:179]
	v_pk_fma_f32 v[128:129], v[144:145], v[128:129], v[182:183] neg_lo:[0,0,1] neg_hi:[0,0,1]
	v_pk_fma_f32 v[144:145], v[148:149], v[132:133], v[120:121] op_sel_hi:[1,0,1]
	v_pk_fma_f32 v[120:121], v[148:149], v[132:133], v[120:121] neg_lo:[0,0,1] neg_hi:[0,0,1]
	v_mov_b32_e32 v129, v127
	v_pk_fma_f32 v[126:127], v[146:147], v[130:131], v[160:161] op_sel_hi:[1,0,1]
	v_pk_fma_f32 v[130:131], v[146:147], v[130:131], v[160:161] neg_lo:[0,0,1] neg_hi:[0,0,1]
	v_mov_b32_e32 v121, v145
	v_pk_add_f32 v[124:125], v[124:125], v[180:181]
	v_pk_mul_f32 v[122:123], v[172:173], v[122:123] op_sel_hi:[1,0]
	s_wait_loadcnt 0x2
	v_dual_mov_b32 v131, v127 :: v_dual_mov_b32 v126, v139
	v_pk_mul_f32 v[162:163], v[152:153], v[136:137] op_sel:[1,1] op_sel_hi:[0,1]
	v_pk_add_f32 v[124:125], v[124:125], v[128:129]
	v_pk_fma_f32 v[128:129], v[150:151], v[134:135], v[122:123] op_sel_hi:[1,0,1]
	v_pk_fma_f32 v[122:123], v[150:151], v[134:135], v[122:123] neg_lo:[0,0,1] neg_hi:[0,0,1]
	v_pk_mul_f32 v[126:127], v[174:175], v[126:127] op_sel_hi:[1,0]
	s_delay_alu instid0(VALU_DEP_4) | instskip(SKIP_3) | instid1(VALU_DEP_4)
	v_pk_add_f32 v[124:125], v[124:125], v[130:131]
	v_pk_fma_f32 v[130:131], v[152:153], v[136:137], v[162:163] op_sel_hi:[1,0,1]
	v_mov_b32_e32 v123, v129
	v_pk_fma_f32 v[128:129], v[152:153], v[136:137], v[162:163] neg_lo:[0,0,1] neg_hi:[0,0,1]
	v_pk_add_f32 v[120:121], v[124:125], v[120:121]
	s_wait_loadcnt 0x1
	v_pk_mul_f32 v[124:125], v[156:157], v[140:141] op_sel:[1,1] op_sel_hi:[0,1]
	v_mov_b32_e32 v129, v131
	v_pk_fma_f32 v[130:131], v[154:155], v[138:139], v[126:127] op_sel_hi:[1,0,1]
	v_pk_fma_f32 v[126:127], v[154:155], v[138:139], v[126:127] neg_lo:[0,0,1] neg_hi:[0,0,1]
	v_pk_add_f32 v[120:121], v[120:121], v[122:123]
	v_mov_b32_e32 v122, v143
	v_pk_fma_f32 v[132:133], v[156:157], v[140:141], v[124:125] op_sel_hi:[1,0,1]
	v_mov_b32_e32 v127, v131
	v_pk_fma_f32 v[124:125], v[156:157], v[140:141], v[124:125] neg_lo:[0,0,1] neg_hi:[0,0,1]
	v_pk_add_f32 v[120:121], v[120:121], v[128:129]
	v_pk_mul_f32 v[122:123], v[176:177], v[122:123] op_sel_hi:[1,0]
	s_delay_alu instid0(VALU_DEP_2) | instskip(NEXT) | instid1(VALU_DEP_2)
	v_pk_add_f32 v[120:121], v[120:121], v[126:127]
	v_pk_fma_f32 v[126:127], v[158:159], v[142:143], v[122:123] op_sel_hi:[1,0,1]
	v_mov_b32_e32 v125, v133
	v_pk_fma_f32 v[122:123], v[158:159], v[142:143], v[122:123] neg_lo:[0,0,1] neg_hi:[0,0,1]
	s_delay_alu instid0(VALU_DEP_3) | instskip(NEXT) | instid1(VALU_DEP_3)
	v_mov_b32_e32 v123, v127
	v_pk_add_f32 v[120:121], v[120:121], v[124:125]
	s_delay_alu instid0(VALU_DEP_1) | instskip(SKIP_1) | instid1(VALU_DEP_1)
	v_pk_add_f32 v[120:121], v[120:121], v[122:123]
	s_wait_loadcnt 0x0
	v_pk_add_f32 v[120:121], v[168:169], v[120:121] neg_lo:[0,1] neg_hi:[0,1]
	scratch_store_b64 off, v[120:121], off offset:368
	s_wait_xcnt 0x0
	v_cmpx_lt_u32_e32 45, v0
	s_cbranch_execz .LBB58_277
; %bb.276:
	scratch_load_b64 v[120:121], off, off offset:360
	v_mov_b64_e32 v[122:123], 0
	scratch_store_b64 off, v[122:123], off offset:360
	s_wait_loadcnt 0x0
	ds_store_b64 v1, v[120:121]
.LBB58_277:
	s_wait_xcnt 0x0
	s_or_b32 exec_lo, exec_lo, s0
	s_wait_storecnt_dscnt 0x0
	s_barrier_signal -1
	s_barrier_wait -1
	s_clause 0x7
	scratch_load_b128 v[120:123], off, off offset:368
	scratch_load_b128 v[124:127], off, off offset:384
	;; [unrolled: 1-line block ×6, first 2 shown]
	scratch_load_b64 v[168:169], off, off offset:464
	scratch_load_b64 v[170:171], off, off offset:360
	v_mov_b32_e32 v7, 0
	ds_load_b128 v[144:147], v7 offset:880
	ds_load_b128 v[148:151], v7 offset:896
	;; [unrolled: 1-line block ×6, first 2 shown]
	ds_load_b64 v[172:173], v7 offset:944
	s_mov_b32 s0, exec_lo
	s_wait_dscnt 0x6
	v_dual_mov_b32 v174, v147 :: v_dual_mov_b32 v175, v146
	s_wait_dscnt 0x3
	v_dual_mov_b32 v176, v151 :: v_dual_mov_b32 v181, v158
	v_dual_mov_b32 v177, v150 :: v_dual_mov_b32 v178, v155
	;; [unrolled: 1-line block ×3, first 2 shown]
	s_wait_loadcnt_dscnt 0x702
	v_dual_mul_f32 v9, v160, v121 :: v_dual_mul_f32 v15, v161, v121
	v_dual_mul_f32 v17, v163, v123 :: v_dual_mul_f32 v11, v162, v123
	s_wait_loadcnt_dscnt 0x601
	s_delay_alu instid0(VALU_DEP_2) | instskip(NEXT) | instid1(VALU_DEP_3)
	v_dual_mul_f32 v13, v164, v125 :: v_dual_fmac_f32 v9, v161, v120
	v_dual_fma_f32 v15, v160, v120, -v15 :: v_dual_mul_f32 v19, v165, v125
	v_mul_f32_e32 v21, v167, v127
	s_wait_loadcnt 0x4
	v_dual_mov_b32 v120, v135 :: v_dual_fma_f32 v17, v162, v122, -v17
	v_dual_fmac_f32 v11, v163, v122 :: v_dual_add_f32 v9, 0, v9
	v_dual_add_f32 v15, 0, v15 :: v_dual_fmac_f32 v13, v165, v124
	v_dual_mul_f32 v183, v166, v127 :: v_dual_mul_f32 v185, v144, v129
	v_dual_mul_f32 v23, v145, v129 :: v_dual_mov_b32 v184, v131
	s_delay_alu instid0(VALU_DEP_4) | instskip(NEXT) | instid1(VALU_DEP_4)
	v_dual_fma_f32 v19, v164, v124, -v19 :: v_dual_add_f32 v9, v9, v11
	v_dual_add_f32 v11, v15, v17 :: v_dual_fma_f32 v182, v166, v126, -v21
	s_delay_alu instid0(VALU_DEP_4) | instskip(NEXT) | instid1(VALU_DEP_4)
	v_fmac_f32_e32 v183, v167, v126
	v_pk_mul_f32 v[124:125], v[174:175], v[184:185] op_sel_hi:[1,0]
	s_delay_alu instid0(VALU_DEP_3)
	v_dual_add_f32 v127, v9, v13 :: v_dual_add_f32 v126, v11, v19
	v_fmac_f32_e32 v185, v145, v128
	v_pk_mul_f32 v[186:187], v[148:149], v[132:133] op_sel:[1,1] op_sel_hi:[0,1]
	s_wait_loadcnt 0x3
	v_dual_mov_b32 v160, v139 :: v_dual_fma_f32 v184, v144, v128, -v23
	v_pk_fma_f32 v[128:129], v[146:147], v[130:131], v[124:125] op_sel_hi:[1,0,1]
	v_pk_add_f32 v[126:127], v[126:127], v[182:183]
	v_pk_fma_f32 v[124:125], v[146:147], v[130:131], v[124:125] neg_lo:[0,0,1] neg_hi:[0,0,1]
	v_pk_fma_f32 v[144:145], v[148:149], v[132:133], v[186:187] op_sel_hi:[1,0,1]
	v_pk_mul_f32 v[120:121], v[176:177], v[120:121] op_sel_hi:[1,0]
	v_mov_b32_e32 v125, v129
	v_pk_add_f32 v[126:127], v[126:127], v[184:185]
	v_pk_fma_f32 v[130:131], v[148:149], v[132:133], v[186:187] neg_lo:[0,0,1] neg_hi:[0,0,1]
	v_pk_mul_f32 v[122:123], v[152:153], v[136:137] op_sel:[1,1] op_sel_hi:[0,1]
	v_mov_b32_e32 v131, v145
	v_pk_fma_f32 v[132:133], v[150:151], v[134:135], v[120:121] op_sel_hi:[1,0,1]
	v_pk_add_f32 v[124:125], v[126:127], v[124:125]
	v_pk_fma_f32 v[120:121], v[150:151], v[134:135], v[120:121] neg_lo:[0,0,1] neg_hi:[0,0,1]
	v_pk_fma_f32 v[126:127], v[152:153], v[136:137], v[122:123] op_sel_hi:[1,0,1]
	v_pk_mul_f32 v[144:145], v[178:179], v[160:161] op_sel_hi:[1,0]
	s_wait_loadcnt 0x2
	v_dual_mov_b32 v121, v133 :: v_dual_mov_b32 v126, v143
	v_pk_add_f32 v[124:125], v[124:125], v[130:131]
	v_pk_fma_f32 v[122:123], v[152:153], v[136:137], v[122:123] neg_lo:[0,0,1] neg_hi:[0,0,1]
	v_pk_mul_f32 v[128:129], v[156:157], v[140:141] op_sel:[1,1] op_sel_hi:[0,1]
	v_pk_fma_f32 v[130:131], v[154:155], v[138:139], v[144:145] op_sel_hi:[1,0,1]
	v_mov_b32_e32 v123, v127
	v_pk_add_f32 v[120:121], v[124:125], v[120:121]
	v_pk_fma_f32 v[132:133], v[154:155], v[138:139], v[144:145] neg_lo:[0,0,1] neg_hi:[0,0,1]
	v_pk_fma_f32 v[124:125], v[156:157], v[140:141], v[128:129] op_sel_hi:[1,0,1]
	v_pk_mul_f32 v[126:127], v[180:181], v[126:127] op_sel_hi:[1,0]
	v_mov_b32_e32 v133, v131
	v_pk_add_f32 v[120:121], v[120:121], v[122:123]
	v_pk_fma_f32 v[122:123], v[156:157], v[140:141], v[128:129] neg_lo:[0,0,1] neg_hi:[0,0,1]
	v_mov_b32_e32 v123, v125
	v_pk_fma_f32 v[124:125], v[158:159], v[142:143], v[126:127] op_sel_hi:[1,0,1]
	s_wait_loadcnt_dscnt 0x100
	v_pk_mul_f32 v[128:129], v[172:173], v[168:169] op_sel:[1,1] op_sel_hi:[0,1]
	v_pk_add_f32 v[120:121], v[120:121], v[132:133]
	v_pk_fma_f32 v[126:127], v[158:159], v[142:143], v[126:127] neg_lo:[0,0,1] neg_hi:[0,0,1]
	v_mov_b32_e32 v127, v125
	s_delay_alu instid0(VALU_DEP_4) | instskip(NEXT) | instid1(VALU_DEP_4)
	v_pk_fma_f32 v[124:125], v[172:173], v[168:169], v[128:129] neg_lo:[0,0,1] neg_hi:[0,0,1]
	v_pk_add_f32 v[120:121], v[120:121], v[122:123]
	v_pk_fma_f32 v[122:123], v[172:173], v[168:169], v[128:129] op_sel_hi:[1,0,1]
	s_delay_alu instid0(VALU_DEP_2) | instskip(NEXT) | instid1(VALU_DEP_2)
	v_pk_add_f32 v[120:121], v[120:121], v[126:127]
	v_mov_b32_e32 v125, v123
	s_delay_alu instid0(VALU_DEP_1) | instskip(SKIP_1) | instid1(VALU_DEP_1)
	v_pk_add_f32 v[120:121], v[120:121], v[124:125]
	s_wait_loadcnt 0x0
	v_pk_add_f32 v[120:121], v[170:171], v[120:121] neg_lo:[0,1] neg_hi:[0,1]
	scratch_store_b64 off, v[120:121], off offset:360
	s_wait_xcnt 0x0
	v_cmpx_lt_u32_e32 44, v0
	s_cbranch_execz .LBB58_279
; %bb.278:
	scratch_load_b64 v[120:121], off, off offset:352
	v_mov_b64_e32 v[122:123], 0
	scratch_store_b64 off, v[122:123], off offset:352
	s_wait_loadcnt 0x0
	ds_store_b64 v1, v[120:121]
.LBB58_279:
	s_wait_xcnt 0x0
	s_or_b32 exec_lo, exec_lo, s0
	s_wait_storecnt_dscnt 0x0
	s_barrier_signal -1
	s_barrier_wait -1
	s_clause 0x7
	scratch_load_b128 v[120:123], off, off offset:360
	scratch_load_b128 v[124:127], off, off offset:376
	;; [unrolled: 1-line block ×7, first 2 shown]
	scratch_load_b64 v[176:177], off, off offset:352
	ds_load_2addr_b64 v[148:151], v7 offset0:111 offset1:112
	ds_load_2addr_b64 v[152:155], v7 offset0:113 offset1:114
	ds_load_2addr_b64 v[156:159], v7 offset0:115 offset1:116
	ds_load_2addr_b64 v[160:163], v7 offset0:117 offset1:118
	ds_load_2addr_b64 v[164:167], v7 offset0:105 offset1:106
	ds_load_2addr_b64 v[168:171], v7 offset0:107 offset1:108
	ds_load_2addr_b64 v[172:175], v7 offset0:109 offset1:110
	s_mov_b32 s0, exec_lo
	s_wait_dscnt 0x6
	v_dual_mov_b32 v178, v151 :: v_dual_mov_b32 v179, v150
	s_wait_dscnt 0x5
	v_dual_mov_b32 v180, v155 :: v_dual_mov_b32 v181, v154
	;; [unrolled: 2-line block ×4, first 2 shown]
	s_wait_loadcnt_dscnt 0x702
	v_dual_mul_f32 v7, v164, v121 :: v_dual_mul_f32 v9, v166, v123
	v_dual_mul_f32 v15, v165, v121 :: v_dual_mul_f32 v17, v167, v123
	s_wait_loadcnt_dscnt 0x601
	v_dual_mul_f32 v11, v168, v125 :: v_dual_mul_f32 v13, v170, v127
	s_delay_alu instid0(VALU_DEP_3) | instskip(NEXT) | instid1(VALU_DEP_3)
	v_dual_fmac_f32 v7, v165, v120 :: v_dual_fmac_f32 v9, v167, v122
	v_dual_fma_f32 v15, v164, v120, -v15 :: v_dual_fma_f32 v17, v166, v122, -v17
	v_dual_mul_f32 v19, v169, v125 :: v_dual_mul_f32 v21, v171, v127
	s_wait_loadcnt 0x4
	s_delay_alu instid0(VALU_DEP_3) | instskip(NEXT) | instid1(VALU_DEP_3)
	v_dual_add_f32 v7, 0, v7 :: v_dual_mov_b32 v122, v135
	v_dual_add_f32 v15, 0, v15 :: v_dual_fmac_f32 v11, v169, v124
	s_delay_alu instid0(VALU_DEP_2) | instskip(SKIP_2) | instid1(VALU_DEP_3)
	v_dual_fma_f32 v19, v168, v124, -v19 :: v_dual_add_f32 v7, v7, v9
	s_wait_dscnt 0x0
	v_dual_mul_f32 v187, v172, v129 :: v_dual_mul_f32 v189, v174, v131
	v_dual_add_f32 v9, v15, v17 :: v_dual_fma_f32 v15, v170, v126, -v21
	v_dual_mul_f32 v23, v173, v129 :: v_dual_mul_f32 v25, v175, v131
	s_delay_alu instid0(VALU_DEP_2) | instskip(NEXT) | instid1(VALU_DEP_4)
	v_dual_fmac_f32 v13, v171, v126 :: v_dual_add_f32 v9, v9, v19
	v_dual_add_f32 v7, v7, v11 :: v_dual_fmac_f32 v187, v173, v128
	v_pk_mul_f32 v[120:121], v[148:149], v[132:133] op_sel:[1,1] op_sel_hi:[0,1]
	s_wait_loadcnt 0x3
	v_pk_mul_f32 v[124:125], v[152:153], v[136:137] op_sel:[1,1] op_sel_hi:[0,1]
	v_dual_mov_b32 v126, v139 :: v_dual_fma_f32 v186, v172, v128, -v23
	v_dual_add_f32 v129, v7, v13 :: v_dual_add_f32 v128, v9, v15
	v_fmac_f32_e32 v189, v175, v130
	v_fma_f32 v188, v174, v130, -v25
	v_pk_fma_f32 v[130:131], v[148:149], v[132:133], v[120:121] op_sel_hi:[1,0,1]
	v_pk_mul_f32 v[122:123], v[178:179], v[122:123] op_sel_hi:[1,0]
	v_pk_add_f32 v[128:129], v[128:129], v[186:187]
	v_pk_fma_f32 v[120:121], v[148:149], v[132:133], v[120:121] neg_lo:[0,0,1] neg_hi:[0,0,1]
	v_pk_fma_f32 v[132:133], v[152:153], v[136:137], v[124:125] op_sel_hi:[1,0,1]
	v_pk_fma_f32 v[124:125], v[152:153], v[136:137], v[124:125] neg_lo:[0,0,1] neg_hi:[0,0,1]
	v_mov_b32_e32 v121, v131
	v_pk_fma_f32 v[130:131], v[150:151], v[134:135], v[122:123] op_sel_hi:[1,0,1]
	v_pk_fma_f32 v[122:123], v[150:151], v[134:135], v[122:123] neg_lo:[0,0,1] neg_hi:[0,0,1]
	v_mov_b32_e32 v125, v133
	v_pk_add_f32 v[128:129], v[128:129], v[188:189]
	v_pk_mul_f32 v[126:127], v[180:181], v[126:127] op_sel_hi:[1,0]
	v_mov_b32_e32 v123, v131
	s_wait_loadcnt 0x2
	v_pk_mul_f32 v[164:165], v[156:157], v[140:141] op_sel:[1,1] op_sel_hi:[0,1]
	v_pk_add_f32 v[120:121], v[128:129], v[120:121]
	v_mov_b32_e32 v128, v143
	v_pk_fma_f32 v[130:131], v[154:155], v[138:139], v[126:127] op_sel_hi:[1,0,1]
	v_pk_fma_f32 v[126:127], v[154:155], v[138:139], v[126:127] neg_lo:[0,0,1] neg_hi:[0,0,1]
	s_delay_alu instid0(VALU_DEP_4)
	v_pk_add_f32 v[120:121], v[120:121], v[122:123]
	v_pk_fma_f32 v[122:123], v[156:157], v[140:141], v[164:165] op_sel_hi:[1,0,1]
	v_pk_mul_f32 v[128:129], v[182:183], v[128:129] op_sel_hi:[1,0]
	v_mov_b32_e32 v127, v131
	v_pk_fma_f32 v[130:131], v[156:157], v[140:141], v[164:165] neg_lo:[0,0,1] neg_hi:[0,0,1]
	v_pk_add_f32 v[120:121], v[120:121], v[124:125]
	v_mov_b32_e32 v131, v123
	v_pk_fma_f32 v[122:123], v[158:159], v[142:143], v[128:129] op_sel_hi:[1,0,1]
	s_wait_loadcnt 0x1
	v_pk_mul_f32 v[124:125], v[160:161], v[144:145] op_sel:[1,1] op_sel_hi:[0,1]
	v_mov_b32_e32 v122, v147
	v_pk_add_f32 v[120:121], v[120:121], v[126:127]
	v_pk_fma_f32 v[128:129], v[158:159], v[142:143], v[128:129] neg_lo:[0,0,1] neg_hi:[0,0,1]
	v_mov_b32_e32 v129, v123
	v_pk_fma_f32 v[126:127], v[160:161], v[144:145], v[124:125] op_sel_hi:[1,0,1]
	v_pk_mul_f32 v[122:123], v[184:185], v[122:123] op_sel_hi:[1,0]
	v_pk_add_f32 v[120:121], v[120:121], v[130:131]
	v_pk_fma_f32 v[124:125], v[160:161], v[144:145], v[124:125] neg_lo:[0,0,1] neg_hi:[0,0,1]
	s_delay_alu instid0(VALU_DEP_4) | instskip(NEXT) | instid1(VALU_DEP_4)
	v_mov_b32_e32 v125, v127
	v_pk_fma_f32 v[126:127], v[162:163], v[146:147], v[122:123] op_sel_hi:[1,0,1]
	s_delay_alu instid0(VALU_DEP_4) | instskip(SKIP_1) | instid1(VALU_DEP_3)
	v_pk_add_f32 v[120:121], v[120:121], v[128:129]
	v_pk_fma_f32 v[122:123], v[162:163], v[146:147], v[122:123] neg_lo:[0,0,1] neg_hi:[0,0,1]
	v_mov_b32_e32 v123, v127
	s_delay_alu instid0(VALU_DEP_3) | instskip(NEXT) | instid1(VALU_DEP_1)
	v_pk_add_f32 v[120:121], v[120:121], v[124:125]
	v_pk_add_f32 v[120:121], v[120:121], v[122:123]
	s_wait_loadcnt 0x0
	s_delay_alu instid0(VALU_DEP_1)
	v_pk_add_f32 v[120:121], v[176:177], v[120:121] neg_lo:[0,1] neg_hi:[0,1]
	scratch_store_b64 off, v[120:121], off offset:352
	s_wait_xcnt 0x0
	v_cmpx_lt_u32_e32 43, v0
	s_cbranch_execz .LBB58_281
; %bb.280:
	scratch_load_b64 v[120:121], off, off offset:344
	v_mov_b64_e32 v[122:123], 0
	scratch_store_b64 off, v[122:123], off offset:344
	s_wait_loadcnt 0x0
	ds_store_b64 v1, v[120:121]
.LBB58_281:
	s_wait_xcnt 0x0
	s_or_b32 exec_lo, exec_lo, s0
	s_wait_storecnt_dscnt 0x0
	s_barrier_signal -1
	s_barrier_wait -1
	s_clause 0x8
	scratch_load_b128 v[120:123], off, off offset:352
	scratch_load_b128 v[124:127], off, off offset:368
	;; [unrolled: 1-line block ×7, first 2 shown]
	scratch_load_b64 v[176:177], off, off offset:464
	scratch_load_b64 v[178:179], off, off offset:344
	v_mov_b32_e32 v7, 0
	ds_load_b128 v[148:151], v7 offset:880
	ds_load_b128 v[152:155], v7 offset:896
	;; [unrolled: 1-line block ×7, first 2 shown]
	ds_load_b64 v[180:181], v7 offset:944
	s_mov_b32 s0, exec_lo
	s_wait_dscnt 0x7
	v_dual_mov_b32 v182, v151 :: v_dual_mov_b32 v183, v150
	s_wait_dscnt 0x4
	v_dual_mov_b32 v184, v155 :: v_dual_mov_b32 v189, v162
	v_dual_mov_b32 v185, v154 :: v_dual_mov_b32 v186, v159
	v_dual_mov_b32 v187, v158 :: v_dual_mov_b32 v188, v163
	s_wait_loadcnt_dscnt 0x803
	v_dual_mul_f32 v9, v164, v121 :: v_dual_mul_f32 v19, v165, v121
	v_dual_mul_f32 v21, v167, v123 :: v_dual_mul_f32 v11, v166, v123
	s_wait_loadcnt_dscnt 0x702
	v_mul_f32_e32 v13, v168, v125
	s_wait_loadcnt 0x5
	v_dual_mul_f32 v31, v149, v133 :: v_dual_fma_f32 v19, v164, v120, -v19
	v_dual_fmac_f32 v9, v165, v120 :: v_dual_mov_b32 v120, v135
	v_dual_mul_f32 v23, v169, v125 :: v_dual_mul_f32 v25, v171, v127
	v_dual_fmac_f32 v11, v167, v122 :: v_dual_fma_f32 v21, v166, v122, -v21
	s_delay_alu instid0(VALU_DEP_3) | instskip(SKIP_3) | instid1(VALU_DEP_3)
	v_dual_add_f32 v9, 0, v9 :: v_dual_add_f32 v19, 0, v19
	s_wait_dscnt 0x1
	v_dual_mul_f32 v15, v170, v127 :: v_dual_mul_f32 v17, v172, v129
	v_dual_fmac_f32 v13, v169, v124 :: v_dual_fma_f32 v23, v168, v124, -v23
	v_dual_add_f32 v9, v9, v11 :: v_dual_add_f32 v11, v19, v21
	v_dual_mul_f32 v27, v173, v129 :: v_dual_mul_f32 v29, v175, v131
	s_wait_loadcnt 0x4
	v_dual_mov_b32 v124, v139 :: v_dual_fma_f32 v19, v170, v126, -v25
	s_delay_alu instid0(VALU_DEP_3) | instskip(SKIP_2) | instid1(VALU_DEP_3)
	v_dual_fmac_f32 v15, v171, v126 :: v_dual_add_f32 v9, v9, v13
	v_dual_add_f32 v11, v11, v23 :: v_dual_fmac_f32 v17, v173, v128
	v_dual_mul_f32 v191, v174, v131 :: v_dual_mul_f32 v193, v148, v133
	v_dual_fma_f32 v13, v172, v128, -v27 :: v_dual_add_f32 v9, v9, v15
	s_delay_alu instid0(VALU_DEP_3) | instskip(NEXT) | instid1(VALU_DEP_3)
	v_dual_add_f32 v11, v11, v19 :: v_dual_fma_f32 v190, v174, v130, -v29
	v_fmac_f32_e32 v191, v175, v130
	v_pk_mul_f32 v[120:121], v[182:183], v[120:121] op_sel_hi:[1,0]
	s_delay_alu instid0(VALU_DEP_4) | instskip(NEXT) | instid1(VALU_DEP_4)
	v_add_f32_e32 v129, v9, v17
	v_dual_add_f32 v128, v11, v13 :: v_dual_fmac_f32 v193, v149, v132
	v_pk_mul_f32 v[122:123], v[152:153], v[136:137] op_sel:[1,1] op_sel_hi:[0,1]
	s_wait_loadcnt 0x3
	v_dual_mov_b32 v130, v143 :: v_dual_fma_f32 v192, v148, v132, -v31
	v_pk_fma_f32 v[132:133], v[150:151], v[134:135], v[120:121] op_sel_hi:[1,0,1]
	v_pk_add_f32 v[128:129], v[128:129], v[190:191]
	v_pk_fma_f32 v[120:121], v[150:151], v[134:135], v[120:121] neg_lo:[0,0,1] neg_hi:[0,0,1]
	v_pk_fma_f32 v[148:149], v[152:153], v[136:137], v[122:123] op_sel_hi:[1,0,1]
	v_pk_mul_f32 v[124:125], v[184:185], v[124:125] op_sel_hi:[1,0]
	v_mov_b32_e32 v121, v133
	v_pk_add_f32 v[128:129], v[128:129], v[192:193]
	v_pk_fma_f32 v[122:123], v[152:153], v[136:137], v[122:123] neg_lo:[0,0,1] neg_hi:[0,0,1]
	v_pk_mul_f32 v[126:127], v[156:157], v[140:141] op_sel:[1,1] op_sel_hi:[0,1]
	v_mov_b32_e32 v123, v149
	v_pk_fma_f32 v[134:135], v[154:155], v[138:139], v[124:125] op_sel_hi:[1,0,1]
	v_pk_add_f32 v[120:121], v[128:129], v[120:121]
	v_pk_fma_f32 v[124:125], v[154:155], v[138:139], v[124:125] neg_lo:[0,0,1] neg_hi:[0,0,1]
	v_pk_fma_f32 v[128:129], v[156:157], v[140:141], v[126:127] op_sel_hi:[1,0,1]
	v_pk_mul_f32 v[130:131], v[186:187], v[130:131] op_sel_hi:[1,0]
	v_mov_b32_e32 v125, v135
	v_pk_add_f32 v[120:121], v[120:121], v[122:123]
	v_pk_fma_f32 v[126:127], v[156:157], v[140:141], v[126:127] neg_lo:[0,0,1] neg_hi:[0,0,1]
	s_wait_loadcnt 0x2
	v_pk_mul_f32 v[132:133], v[160:161], v[144:145] op_sel:[1,1] op_sel_hi:[0,1]
	v_dual_mov_b32 v122, v147 :: v_dual_mov_b32 v127, v129
	v_pk_fma_f32 v[128:129], v[158:159], v[142:143], v[130:131] op_sel_hi:[1,0,1]
	v_pk_add_f32 v[120:121], v[120:121], v[124:125]
	v_pk_fma_f32 v[130:131], v[158:159], v[142:143], v[130:131] neg_lo:[0,0,1] neg_hi:[0,0,1]
	v_pk_fma_f32 v[124:125], v[160:161], v[144:145], v[132:133] op_sel_hi:[1,0,1]
	v_pk_mul_f32 v[122:123], v[188:189], v[122:123] op_sel_hi:[1,0]
	v_mov_b32_e32 v131, v129
	v_pk_add_f32 v[120:121], v[120:121], v[126:127]
	v_pk_fma_f32 v[126:127], v[160:161], v[144:145], v[132:133] neg_lo:[0,0,1] neg_hi:[0,0,1]
	v_mov_b32_e32 v127, v125
	v_pk_fma_f32 v[124:125], v[162:163], v[146:147], v[122:123] op_sel_hi:[1,0,1]
	s_wait_loadcnt_dscnt 0x100
	v_pk_mul_f32 v[128:129], v[180:181], v[176:177] op_sel:[1,1] op_sel_hi:[0,1]
	v_pk_add_f32 v[120:121], v[120:121], v[130:131]
	v_pk_fma_f32 v[122:123], v[162:163], v[146:147], v[122:123] neg_lo:[0,0,1] neg_hi:[0,0,1]
	v_mov_b32_e32 v123, v125
	s_delay_alu instid0(VALU_DEP_4) | instskip(NEXT) | instid1(VALU_DEP_4)
	v_pk_fma_f32 v[124:125], v[180:181], v[176:177], v[128:129] op_sel_hi:[1,0,1]
	v_pk_add_f32 v[120:121], v[120:121], v[126:127]
	v_pk_fma_f32 v[126:127], v[180:181], v[176:177], v[128:129] neg_lo:[0,0,1] neg_hi:[0,0,1]
	s_delay_alu instid0(VALU_DEP_3) | instskip(NEXT) | instid1(VALU_DEP_3)
	v_mov_b32_e32 v127, v125
	v_pk_add_f32 v[120:121], v[120:121], v[122:123]
	s_delay_alu instid0(VALU_DEP_1) | instskip(SKIP_1) | instid1(VALU_DEP_1)
	v_pk_add_f32 v[120:121], v[120:121], v[126:127]
	s_wait_loadcnt 0x0
	v_pk_add_f32 v[120:121], v[178:179], v[120:121] neg_lo:[0,1] neg_hi:[0,1]
	scratch_store_b64 off, v[120:121], off offset:344
	s_wait_xcnt 0x0
	v_cmpx_lt_u32_e32 42, v0
	s_cbranch_execz .LBB58_283
; %bb.282:
	scratch_load_b64 v[120:121], off, off offset:336
	v_mov_b64_e32 v[122:123], 0
	scratch_store_b64 off, v[122:123], off offset:336
	s_wait_loadcnt 0x0
	ds_store_b64 v1, v[120:121]
.LBB58_283:
	s_wait_xcnt 0x0
	s_or_b32 exec_lo, exec_lo, s0
	s_wait_storecnt_dscnt 0x0
	s_barrier_signal -1
	s_barrier_wait -1
	s_clause 0x8
	scratch_load_b128 v[120:123], off, off offset:344
	scratch_load_b128 v[124:127], off, off offset:360
	;; [unrolled: 1-line block ×8, first 2 shown]
	scratch_load_b64 v[184:185], off, off offset:336
	ds_load_2addr_b64 v[152:155], v7 offset0:111 offset1:112
	ds_load_2addr_b64 v[156:159], v7 offset0:113 offset1:114
	;; [unrolled: 1-line block ×8, first 2 shown]
	s_mov_b32 s0, exec_lo
	s_wait_dscnt 0x7
	v_dual_mov_b32 v186, v155 :: v_dual_mov_b32 v187, v154
	s_wait_dscnt 0x6
	v_dual_mov_b32 v188, v159 :: v_dual_mov_b32 v189, v158
	;; [unrolled: 2-line block ×4, first 2 shown]
	s_wait_loadcnt_dscnt 0x803
	v_dual_mul_f32 v7, v168, v121 :: v_dual_mul_f32 v9, v170, v123
	v_dual_mul_f32 v19, v169, v121 :: v_dual_mul_f32 v21, v171, v123
	s_wait_loadcnt_dscnt 0x702
	v_dual_mul_f32 v11, v172, v125 :: v_dual_mul_f32 v13, v174, v127
	s_delay_alu instid0(VALU_DEP_3) | instskip(SKIP_3) | instid1(VALU_DEP_3)
	v_dual_fmac_f32 v7, v169, v120 :: v_dual_fmac_f32 v9, v171, v122
	s_wait_loadcnt_dscnt 0x500
	v_dual_fma_f32 v19, v168, v120, -v19 :: v_dual_mul_f32 v31, v181, v133
	v_dual_mul_f32 v23, v173, v125 :: v_dual_mul_f32 v25, v175, v127
	v_dual_fma_f32 v21, v170, v122, -v21 :: v_dual_add_f32 v7, 0, v7
	s_delay_alu instid0(VALU_DEP_3) | instskip(SKIP_1) | instid1(VALU_DEP_4)
	v_dual_add_f32 v19, 0, v19 :: v_dual_fmac_f32 v11, v173, v124
	v_dual_mul_f32 v15, v176, v129 :: v_dual_mul_f32 v17, v178, v131
	v_dual_mul_f32 v33, v183, v135 :: v_dual_fma_f32 v23, v172, v124, -v23
	s_delay_alu instid0(VALU_DEP_4) | instskip(NEXT) | instid1(VALU_DEP_3)
	v_add_f32_e32 v7, v7, v9
	v_dual_add_f32 v9, v19, v21 :: v_dual_fmac_f32 v15, v177, v128
	v_dual_mul_f32 v27, v177, v129 :: v_dual_mul_f32 v29, v179, v131
	s_delay_alu instid0(VALU_DEP_2) | instskip(NEXT) | instid1(VALU_DEP_4)
	v_dual_fmac_f32 v13, v175, v126 :: v_dual_add_f32 v9, v9, v23
	v_dual_fma_f32 v19, v174, v126, -v25 :: v_dual_add_f32 v7, v7, v11
	s_wait_loadcnt 0x4
	s_delay_alu instid0(VALU_DEP_3) | instskip(SKIP_1) | instid1(VALU_DEP_3)
	v_dual_fma_f32 v11, v176, v128, -v27 :: v_dual_mov_b32 v122, v139
	v_dual_mul_f32 v195, v180, v133 :: v_dual_mul_f32 v197, v182, v135
	v_dual_add_f32 v7, v7, v13 :: v_dual_fma_f32 v13, v178, v130, -v29
	v_dual_add_f32 v9, v9, v19 :: v_dual_fmac_f32 v17, v179, v130
	v_pk_mul_f32 v[120:121], v[152:153], v[136:137] op_sel:[1,1] op_sel_hi:[0,1]
	s_delay_alu instid0(VALU_DEP_3) | instskip(SKIP_1) | instid1(VALU_DEP_3)
	v_dual_add_f32 v7, v7, v15 :: v_dual_fmac_f32 v195, v181, v132
	s_wait_loadcnt 0x3
	v_dual_add_f32 v9, v9, v11 :: v_dual_mov_b32 v126, v143
	s_delay_alu instid0(VALU_DEP_2) | instskip(NEXT) | instid1(VALU_DEP_2)
	v_dual_fma_f32 v194, v180, v132, -v31 :: v_dual_add_f32 v129, v7, v17
	v_dual_fma_f32 v196, v182, v134, -v33 :: v_dual_add_f32 v128, v9, v13
	v_fmac_f32_e32 v197, v183, v134
	v_pk_fma_f32 v[130:131], v[152:153], v[136:137], v[120:121] op_sel_hi:[1,0,1]
	v_pk_mul_f32 v[122:123], v[186:187], v[122:123] op_sel_hi:[1,0]
	v_pk_fma_f32 v[120:121], v[152:153], v[136:137], v[120:121] neg_lo:[0,0,1] neg_hi:[0,0,1]
	v_pk_add_f32 v[128:129], v[128:129], v[194:195]
	v_pk_mul_f32 v[124:125], v[156:157], v[140:141] op_sel:[1,1] op_sel_hi:[0,1]
	v_mov_b32_e32 v121, v131
	v_pk_fma_f32 v[130:131], v[154:155], v[138:139], v[122:123] op_sel_hi:[1,0,1]
	v_pk_fma_f32 v[122:123], v[154:155], v[138:139], v[122:123] neg_lo:[0,0,1] neg_hi:[0,0,1]
	v_pk_add_f32 v[128:129], v[128:129], v[196:197]
	v_pk_fma_f32 v[134:135], v[156:157], v[140:141], v[124:125] op_sel_hi:[1,0,1]
	v_pk_mul_f32 v[126:127], v[188:189], v[126:127] op_sel_hi:[1,0]
	v_mov_b32_e32 v123, v131
	s_wait_loadcnt 0x2
	v_pk_mul_f32 v[132:133], v[160:161], v[144:145] op_sel:[1,1] op_sel_hi:[0,1]
	v_pk_add_f32 v[120:121], v[128:129], v[120:121]
	v_mov_b32_e32 v128, v147
	v_pk_fma_f32 v[124:125], v[156:157], v[140:141], v[124:125] neg_lo:[0,0,1] neg_hi:[0,0,1]
	v_mov_b32_e32 v125, v135
	v_pk_fma_f32 v[130:131], v[158:159], v[142:143], v[126:127] op_sel_hi:[1,0,1]
	v_pk_add_f32 v[120:121], v[120:121], v[122:123]
	v_pk_fma_f32 v[122:123], v[160:161], v[144:145], v[132:133] op_sel_hi:[1,0,1]
	v_pk_mul_f32 v[128:129], v[190:191], v[128:129] op_sel_hi:[1,0]
	v_pk_fma_f32 v[126:127], v[158:159], v[142:143], v[126:127] neg_lo:[0,0,1] neg_hi:[0,0,1]
	v_mov_b32_e32 v127, v131
	v_pk_add_f32 v[120:121], v[120:121], v[124:125]
	v_pk_fma_f32 v[130:131], v[160:161], v[144:145], v[132:133] neg_lo:[0,0,1] neg_hi:[0,0,1]
	v_mov_b32_e32 v131, v123
	v_pk_fma_f32 v[122:123], v[162:163], v[146:147], v[128:129] op_sel_hi:[1,0,1]
	s_wait_loadcnt 0x1
	v_pk_mul_f32 v[124:125], v[164:165], v[148:149] op_sel:[1,1] op_sel_hi:[0,1]
	v_pk_add_f32 v[120:121], v[120:121], v[126:127]
	v_mov_b32_e32 v122, v151
	v_pk_fma_f32 v[128:129], v[162:163], v[146:147], v[128:129] neg_lo:[0,0,1] neg_hi:[0,0,1]
	v_mov_b32_e32 v129, v123
	v_pk_fma_f32 v[126:127], v[164:165], v[148:149], v[124:125] op_sel_hi:[1,0,1]
	v_pk_add_f32 v[120:121], v[120:121], v[130:131]
	v_pk_mul_f32 v[122:123], v[192:193], v[122:123] op_sel_hi:[1,0]
	v_pk_fma_f32 v[124:125], v[164:165], v[148:149], v[124:125] neg_lo:[0,0,1] neg_hi:[0,0,1]
	s_delay_alu instid0(VALU_DEP_4) | instskip(NEXT) | instid1(VALU_DEP_4)
	v_mov_b32_e32 v125, v127
	v_pk_add_f32 v[120:121], v[120:121], v[128:129]
	s_delay_alu instid0(VALU_DEP_4) | instskip(SKIP_1) | instid1(VALU_DEP_2)
	v_pk_fma_f32 v[126:127], v[166:167], v[150:151], v[122:123] op_sel_hi:[1,0,1]
	v_pk_fma_f32 v[122:123], v[166:167], v[150:151], v[122:123] neg_lo:[0,0,1] neg_hi:[0,0,1]
	v_mov_b32_e32 v123, v127
	s_delay_alu instid0(VALU_DEP_4) | instskip(NEXT) | instid1(VALU_DEP_1)
	v_pk_add_f32 v[120:121], v[120:121], v[124:125]
	v_pk_add_f32 v[120:121], v[120:121], v[122:123]
	s_wait_loadcnt 0x0
	s_delay_alu instid0(VALU_DEP_1)
	v_pk_add_f32 v[120:121], v[184:185], v[120:121] neg_lo:[0,1] neg_hi:[0,1]
	scratch_store_b64 off, v[120:121], off offset:336
	s_wait_xcnt 0x0
	v_cmpx_lt_u32_e32 41, v0
	s_cbranch_execz .LBB58_285
; %bb.284:
	scratch_load_b64 v[120:121], off, off offset:328
	v_mov_b64_e32 v[122:123], 0
	scratch_store_b64 off, v[122:123], off offset:328
	s_wait_loadcnt 0x0
	ds_store_b64 v1, v[120:121]
.LBB58_285:
	s_wait_xcnt 0x0
	s_or_b32 exec_lo, exec_lo, s0
	s_wait_storecnt_dscnt 0x0
	s_barrier_signal -1
	s_barrier_wait -1
	s_clause 0x9
	scratch_load_b128 v[120:123], off, off offset:336
	scratch_load_b128 v[124:127], off, off offset:352
	;; [unrolled: 1-line block ×8, first 2 shown]
	scratch_load_b64 v[184:185], off, off offset:464
	scratch_load_b64 v[186:187], off, off offset:328
	v_mov_b32_e32 v7, 0
	ds_load_b128 v[152:155], v7 offset:880
	ds_load_b128 v[156:159], v7 offset:896
	;; [unrolled: 1-line block ×8, first 2 shown]
	ds_load_b64 v[188:189], v7 offset:944
	s_mov_b32 s0, exec_lo
	s_wait_dscnt 0x8
	v_dual_mov_b32 v190, v155 :: v_dual_mov_b32 v191, v154
	s_wait_dscnt 0x5
	v_dual_mov_b32 v192, v159 :: v_dual_mov_b32 v197, v166
	v_dual_mov_b32 v193, v158 :: v_dual_mov_b32 v194, v163
	;; [unrolled: 1-line block ×3, first 2 shown]
	s_wait_loadcnt_dscnt 0x904
	v_dual_mul_f32 v9, v168, v121 :: v_dual_mul_f32 v23, v169, v121
	v_dual_mul_f32 v25, v171, v123 :: v_dual_mul_f32 v11, v170, v123
	s_wait_loadcnt_dscnt 0x803
	v_mul_f32_e32 v13, v172, v125
	s_wait_loadcnt_dscnt 0x601
	v_dual_mul_f32 v35, v181, v133 :: v_dual_fma_f32 v23, v168, v120, -v23
	v_dual_fmac_f32 v9, v169, v120 :: v_dual_mul_f32 v37, v183, v135
	v_dual_mul_f32 v27, v173, v125 :: v_dual_mul_f32 v29, v175, v127
	v_dual_fmac_f32 v11, v171, v122 :: v_dual_fma_f32 v25, v170, v122, -v25
	s_delay_alu instid0(VALU_DEP_3)
	v_dual_add_f32 v9, 0, v9 :: v_dual_add_f32 v23, 0, v23
	v_dual_mul_f32 v15, v174, v127 :: v_dual_mul_f32 v17, v176, v129
	s_wait_loadcnt 0x5
	v_dual_mul_f32 v39, v153, v137 :: v_dual_fma_f32 v27, v172, v124, -v27
	v_fmac_f32_e32 v13, v173, v124
	v_dual_add_f32 v9, v9, v11 :: v_dual_mov_b32 v120, v139
	v_add_f32_e32 v11, v23, v25
	v_dual_mul_f32 v31, v177, v129 :: v_dual_mul_f32 v33, v179, v131
	v_dual_fmac_f32 v15, v175, v126 :: v_dual_fma_f32 v23, v174, v126, -v29
	s_delay_alu instid0(VALU_DEP_3) | instskip(SKIP_1) | instid1(VALU_DEP_4)
	v_dual_add_f32 v9, v9, v13 :: v_dual_add_f32 v11, v11, v27
	v_dual_mul_f32 v19, v178, v131 :: v_dual_mul_f32 v21, v180, v133
	v_dual_fmac_f32 v17, v177, v128 :: v_dual_fma_f32 v13, v176, v128, -v31
	s_wait_loadcnt 0x4
	s_delay_alu instid0(VALU_DEP_3) | instskip(SKIP_1) | instid1(VALU_DEP_2)
	v_dual_add_f32 v9, v9, v15 :: v_dual_mov_b32 v124, v143
	v_dual_add_f32 v11, v11, v23 :: v_dual_fma_f32 v15, v178, v130, -v33
	v_dual_fmac_f32 v19, v179, v130 :: v_dual_add_f32 v9, v9, v17
	v_dual_mul_f32 v199, v182, v135 :: v_dual_mul_f32 v201, v152, v137
	s_delay_alu instid0(VALU_DEP_3) | instskip(NEXT) | instid1(VALU_DEP_3)
	v_dual_add_f32 v11, v11, v13 :: v_dual_fmac_f32 v21, v181, v132
	v_dual_fma_f32 v13, v180, v132, -v35 :: v_dual_add_f32 v9, v9, v19
	s_delay_alu instid0(VALU_DEP_3) | instskip(NEXT) | instid1(VALU_DEP_3)
	v_fmac_f32_e32 v199, v183, v134
	v_dual_add_f32 v11, v11, v15 :: v_dual_fma_f32 v198, v182, v134, -v37
	v_pk_mul_f32 v[120:121], v[190:191], v[120:121] op_sel_hi:[1,0]
	s_delay_alu instid0(VALU_DEP_4) | instskip(SKIP_1) | instid1(VALU_DEP_4)
	v_add_f32_e32 v129, v9, v21
	v_pk_mul_f32 v[122:123], v[156:157], v[140:141] op_sel:[1,1] op_sel_hi:[0,1]
	v_dual_add_f32 v128, v11, v13 :: v_dual_fmac_f32 v201, v153, v136
	s_wait_loadcnt 0x3
	v_dual_mov_b32 v130, v147 :: v_dual_fma_f32 v200, v152, v136, -v39
	v_pk_fma_f32 v[132:133], v[154:155], v[138:139], v[120:121] op_sel_hi:[1,0,1]
	s_delay_alu instid0(VALU_DEP_3)
	v_pk_add_f32 v[128:129], v[128:129], v[198:199]
	v_pk_fma_f32 v[120:121], v[154:155], v[138:139], v[120:121] neg_lo:[0,0,1] neg_hi:[0,0,1]
	v_pk_fma_f32 v[134:135], v[156:157], v[140:141], v[122:123] op_sel_hi:[1,0,1]
	v_pk_mul_f32 v[124:125], v[192:193], v[124:125] op_sel_hi:[1,0]
	v_mov_b32_e32 v121, v133
	v_pk_add_f32 v[128:129], v[128:129], v[200:201]
	v_pk_fma_f32 v[122:123], v[156:157], v[140:141], v[122:123] neg_lo:[0,0,1] neg_hi:[0,0,1]
	v_pk_mul_f32 v[126:127], v[160:161], v[144:145] op_sel:[1,1] op_sel_hi:[0,1]
	v_mov_b32_e32 v123, v135
	v_pk_fma_f32 v[134:135], v[158:159], v[142:143], v[124:125] op_sel_hi:[1,0,1]
	v_pk_add_f32 v[120:121], v[128:129], v[120:121]
	v_pk_fma_f32 v[124:125], v[158:159], v[142:143], v[124:125] neg_lo:[0,0,1] neg_hi:[0,0,1]
	v_pk_fma_f32 v[128:129], v[160:161], v[144:145], v[126:127] op_sel_hi:[1,0,1]
	v_pk_mul_f32 v[130:131], v[194:195], v[130:131] op_sel_hi:[1,0]
	v_mov_b32_e32 v125, v135
	v_pk_add_f32 v[120:121], v[120:121], v[122:123]
	v_pk_fma_f32 v[126:127], v[160:161], v[144:145], v[126:127] neg_lo:[0,0,1] neg_hi:[0,0,1]
	s_wait_loadcnt 0x2
	v_pk_mul_f32 v[132:133], v[164:165], v[148:149] op_sel:[1,1] op_sel_hi:[0,1]
	v_dual_mov_b32 v122, v151 :: v_dual_mov_b32 v127, v129
	v_pk_fma_f32 v[128:129], v[162:163], v[146:147], v[130:131] op_sel_hi:[1,0,1]
	v_pk_add_f32 v[120:121], v[120:121], v[124:125]
	v_pk_fma_f32 v[130:131], v[162:163], v[146:147], v[130:131] neg_lo:[0,0,1] neg_hi:[0,0,1]
	v_pk_fma_f32 v[124:125], v[164:165], v[148:149], v[132:133] op_sel_hi:[1,0,1]
	v_pk_mul_f32 v[122:123], v[196:197], v[122:123] op_sel_hi:[1,0]
	v_mov_b32_e32 v131, v129
	v_pk_add_f32 v[120:121], v[120:121], v[126:127]
	v_pk_fma_f32 v[126:127], v[164:165], v[148:149], v[132:133] neg_lo:[0,0,1] neg_hi:[0,0,1]
	v_mov_b32_e32 v127, v125
	v_pk_fma_f32 v[124:125], v[166:167], v[150:151], v[122:123] op_sel_hi:[1,0,1]
	s_wait_loadcnt_dscnt 0x100
	v_pk_mul_f32 v[128:129], v[188:189], v[184:185] op_sel:[1,1] op_sel_hi:[0,1]
	v_pk_add_f32 v[120:121], v[120:121], v[130:131]
	v_pk_fma_f32 v[122:123], v[166:167], v[150:151], v[122:123] neg_lo:[0,0,1] neg_hi:[0,0,1]
	v_mov_b32_e32 v123, v125
	s_delay_alu instid0(VALU_DEP_4) | instskip(NEXT) | instid1(VALU_DEP_4)
	v_pk_fma_f32 v[124:125], v[188:189], v[184:185], v[128:129] op_sel_hi:[1,0,1]
	v_pk_add_f32 v[120:121], v[120:121], v[126:127]
	v_pk_fma_f32 v[126:127], v[188:189], v[184:185], v[128:129] neg_lo:[0,0,1] neg_hi:[0,0,1]
	s_delay_alu instid0(VALU_DEP_3) | instskip(NEXT) | instid1(VALU_DEP_3)
	v_mov_b32_e32 v127, v125
	v_pk_add_f32 v[120:121], v[120:121], v[122:123]
	s_delay_alu instid0(VALU_DEP_1) | instskip(SKIP_1) | instid1(VALU_DEP_1)
	v_pk_add_f32 v[120:121], v[120:121], v[126:127]
	s_wait_loadcnt 0x0
	v_pk_add_f32 v[120:121], v[186:187], v[120:121] neg_lo:[0,1] neg_hi:[0,1]
	scratch_store_b64 off, v[120:121], off offset:328
	s_wait_xcnt 0x0
	v_cmpx_lt_u32_e32 40, v0
	s_cbranch_execz .LBB58_287
; %bb.286:
	scratch_load_b64 v[120:121], off, off offset:320
	v_mov_b64_e32 v[122:123], 0
	scratch_store_b64 off, v[122:123], off offset:320
	s_wait_loadcnt 0x0
	ds_store_b64 v1, v[120:121]
.LBB58_287:
	s_wait_xcnt 0x0
	s_or_b32 exec_lo, exec_lo, s0
	s_wait_storecnt_dscnt 0x0
	s_barrier_signal -1
	s_barrier_wait -1
	s_clause 0x9
	scratch_load_b128 v[120:123], off, off offset:328
	scratch_load_b128 v[124:127], off, off offset:344
	;; [unrolled: 1-line block ×9, first 2 shown]
	scratch_load_b64 v[192:193], off, off offset:320
	ds_load_2addr_b64 v[156:159], v7 offset0:111 offset1:112
	ds_load_2addr_b64 v[160:163], v7 offset0:113 offset1:114
	;; [unrolled: 1-line block ×9, first 2 shown]
	s_mov_b32 s0, exec_lo
	s_wait_dscnt 0x8
	v_dual_mov_b32 v194, v159 :: v_dual_mov_b32 v195, v158
	s_wait_dscnt 0x7
	v_dual_mov_b32 v196, v163 :: v_dual_mov_b32 v197, v162
	;; [unrolled: 2-line block ×4, first 2 shown]
	s_wait_loadcnt_dscnt 0x904
	v_dual_mul_f32 v7, v172, v121 :: v_dual_mul_f32 v9, v174, v123
	v_dual_mul_f32 v23, v173, v121 :: v_dual_mul_f32 v25, v175, v123
	s_wait_loadcnt_dscnt 0x803
	v_dual_mul_f32 v11, v176, v125 :: v_dual_mul_f32 v13, v178, v127
	s_delay_alu instid0(VALU_DEP_3) | instskip(SKIP_3) | instid1(VALU_DEP_3)
	v_dual_fmac_f32 v7, v173, v120 :: v_dual_fmac_f32 v9, v175, v122
	s_wait_loadcnt_dscnt 0x601
	v_dual_fma_f32 v23, v172, v120, -v23 :: v_dual_mul_f32 v35, v185, v133
	v_dual_mul_f32 v27, v177, v125 :: v_dual_mul_f32 v29, v179, v127
	v_dual_fma_f32 v25, v174, v122, -v25 :: v_dual_add_f32 v7, 0, v7
	s_delay_alu instid0(VALU_DEP_3) | instskip(SKIP_1) | instid1(VALU_DEP_4)
	v_dual_add_f32 v23, 0, v23 :: v_dual_fmac_f32 v11, v177, v124
	v_dual_mul_f32 v15, v180, v129 :: v_dual_mul_f32 v17, v182, v131
	v_dual_mul_f32 v37, v187, v135 :: v_dual_fma_f32 v27, v176, v124, -v27
	s_delay_alu instid0(VALU_DEP_4) | instskip(NEXT) | instid1(VALU_DEP_3)
	v_add_f32_e32 v7, v7, v9
	v_dual_add_f32 v9, v23, v25 :: v_dual_fmac_f32 v15, v181, v128
	v_dual_mul_f32 v31, v181, v129 :: v_dual_mul_f32 v33, v183, v131
	s_wait_loadcnt_dscnt 0x500
	v_dual_mul_f32 v23, v189, v137 :: v_dual_fmac_f32 v13, v179, v126
	v_dual_fma_f32 v25, v178, v126, -v29 :: v_dual_add_f32 v7, v7, v11
	s_delay_alu instid0(VALU_DEP_3) | instskip(SKIP_1) | instid1(VALU_DEP_3)
	v_dual_add_f32 v9, v9, v27 :: v_dual_fma_f32 v27, v180, v128, -v31
	v_dual_mul_f32 v19, v184, v133 :: v_dual_mul_f32 v21, v186, v135
	v_add_f32_e32 v7, v7, v13
	s_delay_alu instid0(VALU_DEP_3) | instskip(SKIP_1) | instid1(VALU_DEP_3)
	v_dual_mul_f32 v11, v191, v139 :: v_dual_add_f32 v9, v9, v25
	v_fmac_f32_e32 v17, v183, v130
	v_dual_fma_f32 v13, v182, v130, -v33 :: v_dual_add_f32 v7, v7, v15
	s_wait_loadcnt 0x4
	v_dual_mov_b32 v122, v143 :: v_dual_fmac_f32 v19, v185, v132
	v_dual_add_f32 v9, v9, v27 :: v_dual_fma_f32 v15, v184, v132, -v35
	s_delay_alu instid0(VALU_DEP_3) | instskip(SKIP_1) | instid1(VALU_DEP_3)
	v_add_f32_e32 v7, v7, v17
	v_dual_mul_f32 v203, v188, v137 :: v_dual_mul_f32 v205, v190, v139
	v_dual_add_f32 v9, v9, v13 :: v_dual_fmac_f32 v21, v187, v134
	s_delay_alu instid0(VALU_DEP_3) | instskip(SKIP_2) | instid1(VALU_DEP_3)
	v_dual_fma_f32 v13, v186, v134, -v37 :: v_dual_add_f32 v7, v7, v19
	v_pk_mul_f32 v[120:121], v[156:157], v[140:141] op_sel:[1,1] op_sel_hi:[0,1]
	s_wait_loadcnt 0x3
	v_dual_add_f32 v9, v9, v15 :: v_dual_mov_b32 v126, v147
	s_delay_alu instid0(VALU_DEP_3) | instskip(NEXT) | instid1(VALU_DEP_2)
	v_dual_fmac_f32 v203, v189, v136 :: v_dual_add_f32 v129, v7, v21
	v_dual_fma_f32 v202, v188, v136, -v23 :: v_dual_add_f32 v128, v9, v13
	v_dual_fmac_f32 v205, v191, v138 :: v_dual_fma_f32 v204, v190, v138, -v11
	v_pk_fma_f32 v[130:131], v[156:157], v[140:141], v[120:121] op_sel_hi:[1,0,1]
	v_pk_mul_f32 v[122:123], v[194:195], v[122:123] op_sel_hi:[1,0]
	s_delay_alu instid0(VALU_DEP_4)
	v_pk_add_f32 v[128:129], v[128:129], v[202:203]
	v_pk_fma_f32 v[120:121], v[156:157], v[140:141], v[120:121] neg_lo:[0,0,1] neg_hi:[0,0,1]
	v_pk_mul_f32 v[124:125], v[160:161], v[144:145] op_sel:[1,1] op_sel_hi:[0,1]
	v_mov_b32_e32 v121, v131
	v_pk_fma_f32 v[130:131], v[158:159], v[142:143], v[122:123] op_sel_hi:[1,0,1]
	v_pk_add_f32 v[128:129], v[128:129], v[204:205]
	v_pk_fma_f32 v[122:123], v[158:159], v[142:143], v[122:123] neg_lo:[0,0,1] neg_hi:[0,0,1]
	v_pk_fma_f32 v[134:135], v[160:161], v[144:145], v[124:125] op_sel_hi:[1,0,1]
	v_pk_mul_f32 v[126:127], v[196:197], v[126:127] op_sel_hi:[1,0]
	v_mov_b32_e32 v123, v131
	v_pk_add_f32 v[120:121], v[128:129], v[120:121]
	s_wait_loadcnt 0x2
	v_pk_mul_f32 v[132:133], v[164:165], v[148:149] op_sel:[1,1] op_sel_hi:[0,1]
	v_mov_b32_e32 v128, v151
	v_pk_fma_f32 v[124:125], v[160:161], v[144:145], v[124:125] neg_lo:[0,0,1] neg_hi:[0,0,1]
	v_mov_b32_e32 v125, v135
	v_pk_fma_f32 v[130:131], v[162:163], v[146:147], v[126:127] op_sel_hi:[1,0,1]
	v_pk_add_f32 v[120:121], v[120:121], v[122:123]
	v_pk_fma_f32 v[122:123], v[164:165], v[148:149], v[132:133] op_sel_hi:[1,0,1]
	v_pk_mul_f32 v[128:129], v[198:199], v[128:129] op_sel_hi:[1,0]
	v_pk_fma_f32 v[126:127], v[162:163], v[146:147], v[126:127] neg_lo:[0,0,1] neg_hi:[0,0,1]
	v_mov_b32_e32 v127, v131
	v_pk_add_f32 v[120:121], v[120:121], v[124:125]
	v_pk_fma_f32 v[130:131], v[164:165], v[148:149], v[132:133] neg_lo:[0,0,1] neg_hi:[0,0,1]
	v_mov_b32_e32 v131, v123
	v_pk_fma_f32 v[122:123], v[166:167], v[150:151], v[128:129] op_sel_hi:[1,0,1]
	s_wait_loadcnt 0x1
	v_pk_mul_f32 v[124:125], v[168:169], v[152:153] op_sel:[1,1] op_sel_hi:[0,1]
	v_pk_add_f32 v[120:121], v[120:121], v[126:127]
	v_mov_b32_e32 v122, v155
	v_pk_fma_f32 v[128:129], v[166:167], v[150:151], v[128:129] neg_lo:[0,0,1] neg_hi:[0,0,1]
	v_mov_b32_e32 v129, v123
	v_pk_fma_f32 v[126:127], v[168:169], v[152:153], v[124:125] op_sel_hi:[1,0,1]
	v_pk_add_f32 v[120:121], v[120:121], v[130:131]
	v_pk_mul_f32 v[122:123], v[200:201], v[122:123] op_sel_hi:[1,0]
	v_pk_fma_f32 v[124:125], v[168:169], v[152:153], v[124:125] neg_lo:[0,0,1] neg_hi:[0,0,1]
	s_delay_alu instid0(VALU_DEP_4) | instskip(NEXT) | instid1(VALU_DEP_4)
	v_mov_b32_e32 v125, v127
	v_pk_add_f32 v[120:121], v[120:121], v[128:129]
	s_delay_alu instid0(VALU_DEP_4) | instskip(SKIP_1) | instid1(VALU_DEP_2)
	v_pk_fma_f32 v[126:127], v[170:171], v[154:155], v[122:123] op_sel_hi:[1,0,1]
	v_pk_fma_f32 v[122:123], v[170:171], v[154:155], v[122:123] neg_lo:[0,0,1] neg_hi:[0,0,1]
	v_mov_b32_e32 v123, v127
	s_delay_alu instid0(VALU_DEP_4) | instskip(NEXT) | instid1(VALU_DEP_1)
	v_pk_add_f32 v[120:121], v[120:121], v[124:125]
	v_pk_add_f32 v[120:121], v[120:121], v[122:123]
	s_wait_loadcnt 0x0
	s_delay_alu instid0(VALU_DEP_1)
	v_pk_add_f32 v[120:121], v[192:193], v[120:121] neg_lo:[0,1] neg_hi:[0,1]
	scratch_store_b64 off, v[120:121], off offset:320
	s_wait_xcnt 0x0
	v_cmpx_lt_u32_e32 39, v0
	s_cbranch_execz .LBB58_289
; %bb.288:
	scratch_load_b64 v[120:121], off, off offset:312
	v_mov_b64_e32 v[122:123], 0
	scratch_store_b64 off, v[122:123], off offset:312
	s_wait_loadcnt 0x0
	ds_store_b64 v1, v[120:121]
.LBB58_289:
	s_wait_xcnt 0x0
	s_or_b32 exec_lo, exec_lo, s0
	s_wait_storecnt_dscnt 0x0
	s_barrier_signal -1
	s_barrier_wait -1
	s_clause 0xa
	scratch_load_b128 v[120:123], off, off offset:320
	scratch_load_b128 v[124:127], off, off offset:336
	;; [unrolled: 1-line block ×9, first 2 shown]
	scratch_load_b64 v[192:193], off, off offset:464
	scratch_load_b64 v[194:195], off, off offset:312
	v_mov_b32_e32 v7, 0
	ds_load_b128 v[156:159], v7 offset:880
	ds_load_b128 v[160:163], v7 offset:896
	;; [unrolled: 1-line block ×9, first 2 shown]
	ds_load_b64 v[196:197], v7 offset:944
	s_mov_b32 s0, exec_lo
	s_wait_dscnt 0x9
	v_dual_mov_b32 v198, v159 :: v_dual_mov_b32 v199, v158
	s_wait_dscnt 0x6
	v_dual_mov_b32 v200, v163 :: v_dual_mov_b32 v205, v170
	v_dual_mov_b32 v201, v162 :: v_dual_mov_b32 v202, v167
	;; [unrolled: 1-line block ×3, first 2 shown]
	s_wait_loadcnt_dscnt 0xa05
	v_dual_mul_f32 v9, v172, v121 :: v_dual_mul_f32 v27, v173, v121
	v_dual_mul_f32 v29, v175, v123 :: v_dual_mul_f32 v11, v174, v123
	s_wait_loadcnt_dscnt 0x904
	v_mul_f32_e32 v13, v176, v125
	s_wait_loadcnt_dscnt 0x702
	v_dual_mul_f32 v39, v185, v133 :: v_dual_fma_f32 v27, v172, v120, -v27
	v_dual_fmac_f32 v9, v173, v120 :: v_dual_mul_f32 v41, v187, v135
	v_dual_mul_f32 v31, v177, v125 :: v_dual_mul_f32 v33, v179, v127
	v_dual_fmac_f32 v11, v175, v122 :: v_dual_fma_f32 v29, v174, v122, -v29
	s_delay_alu instid0(VALU_DEP_3) | instskip(SKIP_4) | instid1(VALU_DEP_3)
	v_dual_add_f32 v9, 0, v9 :: v_dual_add_f32 v27, 0, v27
	v_dual_mul_f32 v15, v178, v127 :: v_dual_mul_f32 v17, v180, v129
	s_wait_loadcnt_dscnt 0x601
	v_dual_mul_f32 v43, v189, v137 :: v_dual_fma_f32 v31, v176, v124, -v31
	v_fmac_f32_e32 v13, v177, v124
	v_dual_add_f32 v9, v9, v11 :: v_dual_fmac_f32 v15, v179, v126
	v_add_f32_e32 v11, v27, v29
	v_dual_mul_f32 v35, v181, v129 :: v_dual_mul_f32 v37, v183, v131
	v_dual_mul_f32 v27, v191, v139 :: v_dual_fma_f32 v29, v178, v126, -v33
	s_delay_alu instid0(VALU_DEP_3) | instskip(SKIP_3) | instid1(VALU_DEP_3)
	v_dual_add_f32 v9, v9, v13 :: v_dual_add_f32 v11, v11, v31
	v_dual_mul_f32 v19, v182, v131 :: v_dual_mul_f32 v21, v184, v133
	s_wait_loadcnt 0x5
	v_dual_mul_f32 v13, v157, v141 :: v_dual_fma_f32 v31, v180, v128, -v35
	v_dual_fmac_f32 v17, v181, v128 :: v_dual_add_f32 v11, v11, v29
	v_dual_add_f32 v9, v9, v15 :: v_dual_mov_b32 v120, v143
	v_dual_fmac_f32 v19, v183, v130 :: v_dual_fma_f32 v15, v182, v130, -v37
	s_delay_alu instid0(VALU_DEP_2) | instskip(SKIP_3) | instid1(VALU_DEP_3)
	v_dual_add_f32 v11, v11, v31 :: v_dual_add_f32 v9, v9, v17
	v_dual_mul_f32 v23, v186, v135 :: v_dual_mul_f32 v25, v188, v137
	v_dual_fmac_f32 v21, v185, v132 :: v_dual_fma_f32 v17, v184, v132, -v39
	s_wait_loadcnt 0x4
	v_dual_add_f32 v9, v9, v19 :: v_dual_mov_b32 v124, v147
	v_dual_add_f32 v11, v11, v15 :: v_dual_fma_f32 v15, v186, v134, -v41
	s_delay_alu instid0(VALU_DEP_2) | instskip(SKIP_1) | instid1(VALU_DEP_3)
	v_dual_fmac_f32 v23, v187, v134 :: v_dual_add_f32 v9, v9, v21
	v_dual_mul_f32 v207, v190, v139 :: v_dual_mul_f32 v209, v156, v141
	v_dual_add_f32 v11, v11, v17 :: v_dual_fmac_f32 v25, v189, v136
	s_delay_alu instid0(VALU_DEP_3) | instskip(NEXT) | instid1(VALU_DEP_3)
	v_dual_fma_f32 v17, v188, v136, -v43 :: v_dual_add_f32 v9, v9, v23
	v_fmac_f32_e32 v207, v191, v138
	s_delay_alu instid0(VALU_DEP_3) | instskip(SKIP_1) | instid1(VALU_DEP_4)
	v_dual_add_f32 v11, v11, v15 :: v_dual_fma_f32 v206, v190, v138, -v27
	v_pk_mul_f32 v[120:121], v[198:199], v[120:121] op_sel_hi:[1,0]
	v_add_f32_e32 v129, v9, v25
	v_pk_mul_f32 v[122:123], v[160:161], v[144:145] op_sel:[1,1] op_sel_hi:[0,1]
	s_delay_alu instid0(VALU_DEP_4) | instskip(SKIP_3) | instid1(VALU_DEP_3)
	v_dual_add_f32 v128, v11, v17 :: v_dual_fmac_f32 v209, v157, v140
	s_wait_loadcnt 0x3
	v_dual_mov_b32 v130, v151 :: v_dual_fma_f32 v208, v156, v140, -v13
	v_pk_fma_f32 v[132:133], v[158:159], v[142:143], v[120:121] op_sel_hi:[1,0,1]
	v_pk_add_f32 v[128:129], v[128:129], v[206:207]
	v_pk_fma_f32 v[120:121], v[158:159], v[142:143], v[120:121] neg_lo:[0,0,1] neg_hi:[0,0,1]
	v_pk_fma_f32 v[134:135], v[160:161], v[144:145], v[122:123] op_sel_hi:[1,0,1]
	v_pk_mul_f32 v[124:125], v[200:201], v[124:125] op_sel_hi:[1,0]
	v_mov_b32_e32 v121, v133
	v_pk_add_f32 v[128:129], v[128:129], v[208:209]
	v_pk_fma_f32 v[122:123], v[160:161], v[144:145], v[122:123] neg_lo:[0,0,1] neg_hi:[0,0,1]
	v_pk_mul_f32 v[126:127], v[164:165], v[148:149] op_sel:[1,1] op_sel_hi:[0,1]
	v_mov_b32_e32 v123, v135
	v_pk_fma_f32 v[134:135], v[162:163], v[146:147], v[124:125] op_sel_hi:[1,0,1]
	v_pk_add_f32 v[120:121], v[128:129], v[120:121]
	v_pk_fma_f32 v[124:125], v[162:163], v[146:147], v[124:125] neg_lo:[0,0,1] neg_hi:[0,0,1]
	v_pk_fma_f32 v[128:129], v[164:165], v[148:149], v[126:127] op_sel_hi:[1,0,1]
	v_pk_mul_f32 v[130:131], v[202:203], v[130:131] op_sel_hi:[1,0]
	v_mov_b32_e32 v125, v135
	v_pk_add_f32 v[120:121], v[120:121], v[122:123]
	v_pk_fma_f32 v[126:127], v[164:165], v[148:149], v[126:127] neg_lo:[0,0,1] neg_hi:[0,0,1]
	s_wait_loadcnt 0x2
	v_pk_mul_f32 v[132:133], v[168:169], v[152:153] op_sel:[1,1] op_sel_hi:[0,1]
	v_dual_mov_b32 v122, v155 :: v_dual_mov_b32 v127, v129
	v_pk_fma_f32 v[128:129], v[166:167], v[150:151], v[130:131] op_sel_hi:[1,0,1]
	v_pk_add_f32 v[120:121], v[120:121], v[124:125]
	v_pk_fma_f32 v[130:131], v[166:167], v[150:151], v[130:131] neg_lo:[0,0,1] neg_hi:[0,0,1]
	v_pk_fma_f32 v[124:125], v[168:169], v[152:153], v[132:133] op_sel_hi:[1,0,1]
	v_pk_mul_f32 v[122:123], v[204:205], v[122:123] op_sel_hi:[1,0]
	v_mov_b32_e32 v131, v129
	v_pk_add_f32 v[120:121], v[120:121], v[126:127]
	v_pk_fma_f32 v[126:127], v[168:169], v[152:153], v[132:133] neg_lo:[0,0,1] neg_hi:[0,0,1]
	v_mov_b32_e32 v127, v125
	v_pk_fma_f32 v[124:125], v[170:171], v[154:155], v[122:123] op_sel_hi:[1,0,1]
	s_wait_loadcnt_dscnt 0x100
	v_pk_mul_f32 v[128:129], v[196:197], v[192:193] op_sel:[1,1] op_sel_hi:[0,1]
	v_pk_add_f32 v[120:121], v[120:121], v[130:131]
	v_pk_fma_f32 v[122:123], v[170:171], v[154:155], v[122:123] neg_lo:[0,0,1] neg_hi:[0,0,1]
	v_mov_b32_e32 v123, v125
	s_delay_alu instid0(VALU_DEP_4) | instskip(NEXT) | instid1(VALU_DEP_4)
	v_pk_fma_f32 v[124:125], v[196:197], v[192:193], v[128:129] op_sel_hi:[1,0,1]
	v_pk_add_f32 v[120:121], v[120:121], v[126:127]
	v_pk_fma_f32 v[126:127], v[196:197], v[192:193], v[128:129] neg_lo:[0,0,1] neg_hi:[0,0,1]
	s_delay_alu instid0(VALU_DEP_3) | instskip(NEXT) | instid1(VALU_DEP_3)
	v_mov_b32_e32 v127, v125
	v_pk_add_f32 v[120:121], v[120:121], v[122:123]
	s_delay_alu instid0(VALU_DEP_1) | instskip(SKIP_1) | instid1(VALU_DEP_1)
	v_pk_add_f32 v[120:121], v[120:121], v[126:127]
	s_wait_loadcnt 0x0
	v_pk_add_f32 v[120:121], v[194:195], v[120:121] neg_lo:[0,1] neg_hi:[0,1]
	scratch_store_b64 off, v[120:121], off offset:312
	s_wait_xcnt 0x0
	v_cmpx_lt_u32_e32 38, v0
	s_cbranch_execz .LBB58_291
; %bb.290:
	scratch_load_b64 v[120:121], off, off offset:304
	v_mov_b64_e32 v[122:123], 0
	scratch_store_b64 off, v[122:123], off offset:304
	s_wait_loadcnt 0x0
	ds_store_b64 v1, v[120:121]
.LBB58_291:
	s_wait_xcnt 0x0
	s_or_b32 exec_lo, exec_lo, s0
	s_wait_storecnt_dscnt 0x0
	s_barrier_signal -1
	s_barrier_wait -1
	s_clause 0xa
	scratch_load_b128 v[120:123], off, off offset:312
	scratch_load_b128 v[124:127], off, off offset:328
	;; [unrolled: 1-line block ×10, first 2 shown]
	scratch_load_b64 v[200:201], off, off offset:304
	ds_load_2addr_b64 v[160:163], v7 offset0:111 offset1:112
	ds_load_2addr_b64 v[164:167], v7 offset0:113 offset1:114
	ds_load_2addr_b64 v[168:171], v7 offset0:115 offset1:116
	ds_load_2addr_b64 v[172:175], v7 offset0:117 offset1:118
	ds_load_2addr_b64 v[176:179], v7 offset0:99 offset1:100
	ds_load_2addr_b64 v[180:183], v7 offset0:101 offset1:102
	ds_load_2addr_b64 v[184:187], v7 offset0:103 offset1:104
	ds_load_2addr_b64 v[188:191], v7 offset0:105 offset1:106
	ds_load_2addr_b64 v[192:195], v7 offset0:107 offset1:108
	ds_load_2addr_b64 v[196:199], v7 offset0:109 offset1:110
	s_mov_b32 s0, exec_lo
	s_wait_dscnt 0x9
	v_dual_mov_b32 v202, v163 :: v_dual_mov_b32 v203, v162
	s_wait_dscnt 0x8
	v_dual_mov_b32 v204, v167 :: v_dual_mov_b32 v205, v166
	s_wait_dscnt 0x7
	v_dual_mov_b32 v206, v171 :: v_dual_mov_b32 v207, v170
	s_wait_dscnt 0x6
	v_dual_mov_b32 v208, v175 :: v_dual_mov_b32 v209, v174
	s_wait_loadcnt_dscnt 0xa05
	v_dual_mul_f32 v7, v176, v121 :: v_dual_mul_f32 v9, v178, v123
	v_dual_mul_f32 v27, v177, v121 :: v_dual_mul_f32 v29, v179, v123
	s_wait_loadcnt_dscnt 0x904
	v_dual_mul_f32 v11, v180, v125 :: v_dual_mul_f32 v13, v182, v127
	s_delay_alu instid0(VALU_DEP_3) | instskip(SKIP_3) | instid1(VALU_DEP_3)
	v_dual_fmac_f32 v7, v177, v120 :: v_dual_fmac_f32 v9, v179, v122
	s_wait_loadcnt_dscnt 0x702
	v_dual_fma_f32 v27, v176, v120, -v27 :: v_dual_mul_f32 v39, v189, v133
	v_dual_mul_f32 v31, v181, v125 :: v_dual_mul_f32 v33, v183, v127
	v_dual_fma_f32 v29, v178, v122, -v29 :: v_dual_add_f32 v7, 0, v7
	s_delay_alu instid0(VALU_DEP_3) | instskip(SKIP_1) | instid1(VALU_DEP_4)
	v_dual_add_f32 v27, 0, v27 :: v_dual_fmac_f32 v11, v181, v124
	v_dual_mul_f32 v15, v184, v129 :: v_dual_mul_f32 v17, v186, v131
	v_dual_mul_f32 v41, v191, v135 :: v_dual_fma_f32 v31, v180, v124, -v31
	s_delay_alu instid0(VALU_DEP_4) | instskip(NEXT) | instid1(VALU_DEP_3)
	v_add_f32_e32 v7, v7, v9
	v_dual_add_f32 v9, v27, v29 :: v_dual_fmac_f32 v15, v185, v128
	v_dual_mul_f32 v35, v185, v129 :: v_dual_mul_f32 v37, v187, v131
	s_wait_loadcnt_dscnt 0x601
	v_dual_mul_f32 v27, v193, v137 :: v_dual_fmac_f32 v13, v183, v126
	v_dual_fma_f32 v29, v182, v126, -v33 :: v_dual_add_f32 v7, v7, v11
	s_delay_alu instid0(VALU_DEP_3) | instskip(SKIP_1) | instid1(VALU_DEP_3)
	v_dual_add_f32 v9, v9, v31 :: v_dual_fma_f32 v31, v184, v128, -v35
	v_dual_mul_f32 v19, v188, v133 :: v_dual_mul_f32 v21, v190, v135
	v_add_f32_e32 v7, v7, v13
	s_delay_alu instid0(VALU_DEP_3) | instskip(SKIP_2) | instid1(VALU_DEP_3)
	v_dual_mul_f32 v11, v195, v139 :: v_dual_add_f32 v9, v9, v29
	s_wait_loadcnt_dscnt 0x500
	v_dual_mul_f32 v13, v197, v141 :: v_dual_fmac_f32 v17, v187, v130
	v_dual_fma_f32 v29, v186, v130, -v37 :: v_dual_add_f32 v7, v7, v15
	s_delay_alu instid0(VALU_DEP_3) | instskip(SKIP_1) | instid1(VALU_DEP_3)
	v_dual_add_f32 v9, v9, v31 :: v_dual_fma_f32 v31, v188, v132, -v39
	v_dual_mul_f32 v15, v199, v143 :: v_dual_fmac_f32 v19, v189, v132
	v_dual_add_f32 v7, v7, v17 :: v_dual_fma_f32 v17, v190, v134, -v41
	s_delay_alu instid0(VALU_DEP_3) | instskip(SKIP_1) | instid1(VALU_DEP_3)
	v_dual_add_f32 v9, v9, v29 :: v_dual_fmac_f32 v21, v191, v134
	v_dual_mul_f32 v23, v192, v137 :: v_dual_mul_f32 v25, v194, v139
	v_add_f32_e32 v7, v7, v19
	s_wait_loadcnt 0x4
	s_delay_alu instid0(VALU_DEP_3) | instskip(NEXT) | instid1(VALU_DEP_3)
	v_dual_add_f32 v9, v9, v31 :: v_dual_mov_b32 v122, v147
	v_fmac_f32_e32 v23, v193, v136
	s_delay_alu instid0(VALU_DEP_3) | instskip(NEXT) | instid1(VALU_DEP_3)
	v_dual_fma_f32 v19, v192, v136, -v27 :: v_dual_add_f32 v7, v7, v21
	v_dual_add_f32 v9, v9, v17 :: v_dual_fmac_f32 v25, v195, v138
	v_dual_mul_f32 v211, v196, v141 :: v_dual_mul_f32 v213, v198, v143
	s_delay_alu instid0(VALU_DEP_3) | instskip(SKIP_1) | instid1(VALU_DEP_3)
	v_dual_fma_f32 v11, v194, v138, -v11 :: v_dual_add_f32 v7, v7, v23
	s_wait_loadcnt 0x3
	v_dual_add_f32 v9, v9, v19 :: v_dual_mov_b32 v126, v151
	v_pk_mul_f32 v[120:121], v[160:161], v[144:145] op_sel:[1,1] op_sel_hi:[0,1]
	v_dual_fmac_f32 v211, v197, v140 :: v_dual_fma_f32 v210, v196, v140, -v13
	s_delay_alu instid0(VALU_DEP_3) | instskip(SKIP_1) | instid1(VALU_DEP_4)
	v_dual_add_f32 v129, v7, v25 :: v_dual_add_f32 v128, v9, v11
	v_dual_fmac_f32 v213, v199, v142 :: v_dual_fma_f32 v212, v198, v142, -v15
	v_pk_fma_f32 v[130:131], v[160:161], v[144:145], v[120:121] op_sel_hi:[1,0,1]
	v_pk_mul_f32 v[122:123], v[202:203], v[122:123] op_sel_hi:[1,0]
	s_delay_alu instid0(VALU_DEP_4)
	v_pk_add_f32 v[128:129], v[128:129], v[210:211]
	v_pk_fma_f32 v[120:121], v[160:161], v[144:145], v[120:121] neg_lo:[0,0,1] neg_hi:[0,0,1]
	v_pk_mul_f32 v[124:125], v[164:165], v[148:149] op_sel:[1,1] op_sel_hi:[0,1]
	v_mov_b32_e32 v121, v131
	v_pk_fma_f32 v[130:131], v[162:163], v[146:147], v[122:123] op_sel_hi:[1,0,1]
	v_pk_add_f32 v[128:129], v[128:129], v[212:213]
	v_pk_fma_f32 v[122:123], v[162:163], v[146:147], v[122:123] neg_lo:[0,0,1] neg_hi:[0,0,1]
	v_pk_fma_f32 v[134:135], v[164:165], v[148:149], v[124:125] op_sel_hi:[1,0,1]
	v_pk_mul_f32 v[126:127], v[204:205], v[126:127] op_sel_hi:[1,0]
	v_mov_b32_e32 v123, v131
	v_pk_add_f32 v[120:121], v[128:129], v[120:121]
	s_wait_loadcnt 0x2
	v_pk_mul_f32 v[132:133], v[168:169], v[152:153] op_sel:[1,1] op_sel_hi:[0,1]
	v_mov_b32_e32 v128, v155
	v_pk_fma_f32 v[124:125], v[164:165], v[148:149], v[124:125] neg_lo:[0,0,1] neg_hi:[0,0,1]
	v_mov_b32_e32 v125, v135
	v_pk_fma_f32 v[130:131], v[166:167], v[150:151], v[126:127] op_sel_hi:[1,0,1]
	v_pk_add_f32 v[120:121], v[120:121], v[122:123]
	v_pk_fma_f32 v[122:123], v[168:169], v[152:153], v[132:133] op_sel_hi:[1,0,1]
	v_pk_mul_f32 v[128:129], v[206:207], v[128:129] op_sel_hi:[1,0]
	v_pk_fma_f32 v[126:127], v[166:167], v[150:151], v[126:127] neg_lo:[0,0,1] neg_hi:[0,0,1]
	v_mov_b32_e32 v127, v131
	v_pk_add_f32 v[120:121], v[120:121], v[124:125]
	v_pk_fma_f32 v[130:131], v[168:169], v[152:153], v[132:133] neg_lo:[0,0,1] neg_hi:[0,0,1]
	v_mov_b32_e32 v131, v123
	v_pk_fma_f32 v[122:123], v[170:171], v[154:155], v[128:129] op_sel_hi:[1,0,1]
	s_wait_loadcnt 0x1
	v_pk_mul_f32 v[124:125], v[172:173], v[156:157] op_sel:[1,1] op_sel_hi:[0,1]
	v_pk_add_f32 v[120:121], v[120:121], v[126:127]
	v_mov_b32_e32 v122, v159
	v_pk_fma_f32 v[128:129], v[170:171], v[154:155], v[128:129] neg_lo:[0,0,1] neg_hi:[0,0,1]
	v_mov_b32_e32 v129, v123
	v_pk_fma_f32 v[126:127], v[172:173], v[156:157], v[124:125] op_sel_hi:[1,0,1]
	v_pk_add_f32 v[120:121], v[120:121], v[130:131]
	v_pk_mul_f32 v[122:123], v[208:209], v[122:123] op_sel_hi:[1,0]
	v_pk_fma_f32 v[124:125], v[172:173], v[156:157], v[124:125] neg_lo:[0,0,1] neg_hi:[0,0,1]
	s_delay_alu instid0(VALU_DEP_4) | instskip(NEXT) | instid1(VALU_DEP_4)
	v_mov_b32_e32 v125, v127
	v_pk_add_f32 v[120:121], v[120:121], v[128:129]
	s_delay_alu instid0(VALU_DEP_4) | instskip(SKIP_1) | instid1(VALU_DEP_2)
	v_pk_fma_f32 v[126:127], v[174:175], v[158:159], v[122:123] op_sel_hi:[1,0,1]
	v_pk_fma_f32 v[122:123], v[174:175], v[158:159], v[122:123] neg_lo:[0,0,1] neg_hi:[0,0,1]
	v_mov_b32_e32 v123, v127
	s_delay_alu instid0(VALU_DEP_4) | instskip(NEXT) | instid1(VALU_DEP_1)
	v_pk_add_f32 v[120:121], v[120:121], v[124:125]
	v_pk_add_f32 v[120:121], v[120:121], v[122:123]
	s_wait_loadcnt 0x0
	s_delay_alu instid0(VALU_DEP_1)
	v_pk_add_f32 v[120:121], v[200:201], v[120:121] neg_lo:[0,1] neg_hi:[0,1]
	scratch_store_b64 off, v[120:121], off offset:304
	s_wait_xcnt 0x0
	v_cmpx_lt_u32_e32 37, v0
	s_cbranch_execz .LBB58_293
; %bb.292:
	scratch_load_b64 v[120:121], off, off offset:296
	v_mov_b64_e32 v[122:123], 0
	scratch_store_b64 off, v[122:123], off offset:296
	s_wait_loadcnt 0x0
	ds_store_b64 v1, v[120:121]
.LBB58_293:
	s_wait_xcnt 0x0
	s_or_b32 exec_lo, exec_lo, s0
	s_wait_storecnt_dscnt 0x0
	s_barrier_signal -1
	s_barrier_wait -1
	s_clause 0xb
	scratch_load_b128 v[120:123], off, off offset:304
	scratch_load_b128 v[124:127], off, off offset:320
	;; [unrolled: 1-line block ×10, first 2 shown]
	scratch_load_b64 v[200:201], off, off offset:464
	scratch_load_b64 v[202:203], off, off offset:296
	v_mov_b32_e32 v7, 0
	ds_load_b128 v[160:163], v7 offset:880
	ds_load_b128 v[164:167], v7 offset:896
	;; [unrolled: 1-line block ×10, first 2 shown]
	ds_load_b64 v[204:205], v7 offset:944
	s_mov_b32 s0, exec_lo
	s_wait_dscnt 0xa
	v_dual_mov_b32 v206, v163 :: v_dual_mov_b32 v207, v162
	s_wait_dscnt 0x7
	v_dual_mov_b32 v208, v167 :: v_dual_mov_b32 v213, v174
	v_dual_mov_b32 v209, v166 :: v_dual_mov_b32 v210, v171
	;; [unrolled: 1-line block ×3, first 2 shown]
	s_wait_loadcnt_dscnt 0xb06
	v_dual_mul_f32 v9, v176, v121 :: v_dual_mul_f32 v31, v177, v121
	v_dual_mul_f32 v33, v179, v123 :: v_dual_mul_f32 v11, v178, v123
	s_wait_loadcnt_dscnt 0xa05
	v_mul_f32_e32 v13, v180, v125
	s_wait_loadcnt_dscnt 0x803
	v_dual_mul_f32 v43, v189, v133 :: v_dual_fma_f32 v31, v176, v120, -v31
	v_dual_fmac_f32 v9, v177, v120 :: v_dual_mul_f32 v45, v191, v135
	v_dual_mul_f32 v35, v181, v125 :: v_dual_mul_f32 v37, v183, v127
	v_dual_fmac_f32 v11, v179, v122 :: v_dual_fma_f32 v33, v178, v122, -v33
	s_delay_alu instid0(VALU_DEP_3) | instskip(SKIP_4) | instid1(VALU_DEP_3)
	v_dual_add_f32 v9, 0, v9 :: v_dual_add_f32 v31, 0, v31
	v_dual_mul_f32 v15, v182, v127 :: v_dual_mul_f32 v17, v184, v129
	s_wait_loadcnt_dscnt 0x702
	v_dual_mul_f32 v47, v193, v137 :: v_dual_fma_f32 v35, v180, v124, -v35
	v_fmac_f32_e32 v13, v181, v124
	v_dual_add_f32 v9, v9, v11 :: v_dual_fmac_f32 v15, v183, v126
	v_add_f32_e32 v11, v31, v33
	v_dual_mul_f32 v39, v185, v129 :: v_dual_mul_f32 v41, v187, v131
	v_dual_mul_f32 v31, v195, v139 :: v_dual_fma_f32 v33, v182, v126, -v37
	s_delay_alu instid0(VALU_DEP_3) | instskip(SKIP_3) | instid1(VALU_DEP_3)
	v_dual_add_f32 v9, v9, v13 :: v_dual_add_f32 v11, v11, v35
	v_dual_mul_f32 v19, v186, v131 :: v_dual_mul_f32 v21, v188, v133
	s_wait_loadcnt_dscnt 0x601
	v_dual_mul_f32 v13, v197, v141 :: v_dual_fma_f32 v35, v184, v128, -v39
	v_dual_fmac_f32 v17, v185, v128 :: v_dual_add_f32 v11, v11, v33
	s_delay_alu instid0(VALU_DEP_3) | instskip(SKIP_1) | instid1(VALU_DEP_2)
	v_dual_add_f32 v9, v9, v15 :: v_dual_fmac_f32 v19, v187, v130
	v_dual_mul_f32 v15, v199, v143 :: v_dual_fma_f32 v33, v186, v130, -v41
	v_dual_add_f32 v11, v11, v35 :: v_dual_add_f32 v9, v9, v17
	v_dual_mul_f32 v23, v190, v135 :: v_dual_mul_f32 v25, v192, v137
	s_wait_loadcnt 0x5
	v_dual_mul_f32 v17, v161, v145 :: v_dual_fma_f32 v35, v188, v132, -v43
	s_delay_alu instid0(VALU_DEP_3) | instskip(SKIP_2) | instid1(VALU_DEP_2)
	v_dual_fmac_f32 v21, v189, v132 :: v_dual_add_f32 v11, v11, v33
	v_dual_add_f32 v9, v9, v19 :: v_dual_mov_b32 v120, v147
	v_dual_fmac_f32 v23, v191, v134 :: v_dual_fma_f32 v19, v190, v134, -v45
	v_dual_add_f32 v11, v11, v35 :: v_dual_add_f32 v9, v9, v21
	v_dual_mul_f32 v27, v194, v139 :: v_dual_mul_f32 v29, v196, v141
	v_dual_fmac_f32 v25, v193, v136 :: v_dual_fma_f32 v21, v192, v136, -v47
	s_wait_loadcnt 0x4
	s_delay_alu instid0(VALU_DEP_3) | instskip(SKIP_1) | instid1(VALU_DEP_2)
	v_dual_add_f32 v9, v9, v23 :: v_dual_mov_b32 v124, v151
	v_dual_add_f32 v11, v11, v19 :: v_dual_fma_f32 v19, v194, v138, -v31
	v_dual_fmac_f32 v27, v195, v138 :: v_dual_add_f32 v9, v9, v25
	v_dual_mul_f32 v215, v198, v143 :: v_dual_mul_f32 v217, v160, v145
	s_delay_alu instid0(VALU_DEP_3) | instskip(NEXT) | instid1(VALU_DEP_3)
	v_dual_add_f32 v11, v11, v21 :: v_dual_fmac_f32 v29, v197, v140
	v_dual_fma_f32 v13, v196, v140, -v13 :: v_dual_add_f32 v9, v9, v27
	s_delay_alu instid0(VALU_DEP_3) | instskip(NEXT) | instid1(VALU_DEP_3)
	v_fmac_f32_e32 v215, v199, v142
	v_dual_add_f32 v11, v11, v19 :: v_dual_fma_f32 v214, v198, v142, -v15
	v_pk_mul_f32 v[120:121], v[206:207], v[120:121] op_sel_hi:[1,0]
	s_delay_alu instid0(VALU_DEP_4) | instskip(SKIP_1) | instid1(VALU_DEP_4)
	v_add_f32_e32 v129, v9, v29
	v_pk_mul_f32 v[122:123], v[164:165], v[148:149] op_sel:[1,1] op_sel_hi:[0,1]
	v_dual_add_f32 v128, v11, v13 :: v_dual_fmac_f32 v217, v161, v144
	s_wait_loadcnt 0x3
	v_dual_mov_b32 v130, v155 :: v_dual_fma_f32 v216, v160, v144, -v17
	v_pk_fma_f32 v[132:133], v[162:163], v[146:147], v[120:121] op_sel_hi:[1,0,1]
	s_delay_alu instid0(VALU_DEP_3)
	v_pk_add_f32 v[128:129], v[128:129], v[214:215]
	v_pk_fma_f32 v[120:121], v[162:163], v[146:147], v[120:121] neg_lo:[0,0,1] neg_hi:[0,0,1]
	v_pk_fma_f32 v[134:135], v[164:165], v[148:149], v[122:123] op_sel_hi:[1,0,1]
	v_pk_mul_f32 v[124:125], v[208:209], v[124:125] op_sel_hi:[1,0]
	v_mov_b32_e32 v121, v133
	v_pk_add_f32 v[128:129], v[128:129], v[216:217]
	v_pk_fma_f32 v[122:123], v[164:165], v[148:149], v[122:123] neg_lo:[0,0,1] neg_hi:[0,0,1]
	v_pk_mul_f32 v[126:127], v[168:169], v[152:153] op_sel:[1,1] op_sel_hi:[0,1]
	v_mov_b32_e32 v123, v135
	v_pk_fma_f32 v[134:135], v[166:167], v[150:151], v[124:125] op_sel_hi:[1,0,1]
	v_pk_add_f32 v[120:121], v[128:129], v[120:121]
	v_pk_fma_f32 v[124:125], v[166:167], v[150:151], v[124:125] neg_lo:[0,0,1] neg_hi:[0,0,1]
	v_pk_fma_f32 v[128:129], v[168:169], v[152:153], v[126:127] op_sel_hi:[1,0,1]
	v_pk_mul_f32 v[130:131], v[210:211], v[130:131] op_sel_hi:[1,0]
	v_mov_b32_e32 v125, v135
	v_pk_add_f32 v[120:121], v[120:121], v[122:123]
	v_pk_fma_f32 v[126:127], v[168:169], v[152:153], v[126:127] neg_lo:[0,0,1] neg_hi:[0,0,1]
	s_wait_loadcnt 0x2
	v_pk_mul_f32 v[132:133], v[172:173], v[156:157] op_sel:[1,1] op_sel_hi:[0,1]
	v_dual_mov_b32 v122, v159 :: v_dual_mov_b32 v127, v129
	v_pk_fma_f32 v[128:129], v[170:171], v[154:155], v[130:131] op_sel_hi:[1,0,1]
	v_pk_add_f32 v[120:121], v[120:121], v[124:125]
	v_pk_fma_f32 v[130:131], v[170:171], v[154:155], v[130:131] neg_lo:[0,0,1] neg_hi:[0,0,1]
	v_pk_fma_f32 v[124:125], v[172:173], v[156:157], v[132:133] op_sel_hi:[1,0,1]
	v_pk_mul_f32 v[122:123], v[212:213], v[122:123] op_sel_hi:[1,0]
	v_mov_b32_e32 v131, v129
	v_pk_add_f32 v[120:121], v[120:121], v[126:127]
	v_pk_fma_f32 v[126:127], v[172:173], v[156:157], v[132:133] neg_lo:[0,0,1] neg_hi:[0,0,1]
	v_mov_b32_e32 v127, v125
	v_pk_fma_f32 v[124:125], v[174:175], v[158:159], v[122:123] op_sel_hi:[1,0,1]
	s_wait_loadcnt_dscnt 0x100
	v_pk_mul_f32 v[128:129], v[204:205], v[200:201] op_sel:[1,1] op_sel_hi:[0,1]
	v_pk_add_f32 v[120:121], v[120:121], v[130:131]
	v_pk_fma_f32 v[122:123], v[174:175], v[158:159], v[122:123] neg_lo:[0,0,1] neg_hi:[0,0,1]
	v_mov_b32_e32 v123, v125
	s_delay_alu instid0(VALU_DEP_4) | instskip(NEXT) | instid1(VALU_DEP_4)
	v_pk_fma_f32 v[124:125], v[204:205], v[200:201], v[128:129] op_sel_hi:[1,0,1]
	v_pk_add_f32 v[120:121], v[120:121], v[126:127]
	v_pk_fma_f32 v[126:127], v[204:205], v[200:201], v[128:129] neg_lo:[0,0,1] neg_hi:[0,0,1]
	s_delay_alu instid0(VALU_DEP_3) | instskip(NEXT) | instid1(VALU_DEP_3)
	v_mov_b32_e32 v127, v125
	v_pk_add_f32 v[120:121], v[120:121], v[122:123]
	s_delay_alu instid0(VALU_DEP_1) | instskip(SKIP_1) | instid1(VALU_DEP_1)
	v_pk_add_f32 v[120:121], v[120:121], v[126:127]
	s_wait_loadcnt 0x0
	v_pk_add_f32 v[120:121], v[202:203], v[120:121] neg_lo:[0,1] neg_hi:[0,1]
	scratch_store_b64 off, v[120:121], off offset:296
	s_wait_xcnt 0x0
	v_cmpx_lt_u32_e32 36, v0
	s_cbranch_execz .LBB58_295
; %bb.294:
	scratch_load_b64 v[120:121], off, off offset:288
	v_mov_b64_e32 v[122:123], 0
	scratch_store_b64 off, v[122:123], off offset:288
	s_wait_loadcnt 0x0
	ds_store_b64 v1, v[120:121]
.LBB58_295:
	s_wait_xcnt 0x0
	s_or_b32 exec_lo, exec_lo, s0
	s_wait_storecnt_dscnt 0x0
	s_barrier_signal -1
	s_barrier_wait -1
	s_clause 0xb
	scratch_load_b128 v[120:123], off, off offset:296
	scratch_load_b128 v[124:127], off, off offset:312
	;; [unrolled: 1-line block ×11, first 2 shown]
	scratch_load_b64 v[208:209], off, off offset:288
	ds_load_2addr_b64 v[164:167], v7 offset0:111 offset1:112
	ds_load_2addr_b64 v[168:171], v7 offset0:113 offset1:114
	;; [unrolled: 1-line block ×11, first 2 shown]
	s_mov_b32 s0, exec_lo
	s_wait_dscnt 0xa
	v_dual_mov_b32 v210, v167 :: v_dual_mov_b32 v211, v166
	s_wait_dscnt 0x9
	v_dual_mov_b32 v212, v171 :: v_dual_mov_b32 v213, v170
	;; [unrolled: 2-line block ×4, first 2 shown]
	s_wait_loadcnt_dscnt 0xb06
	v_dual_mul_f32 v7, v180, v121 :: v_dual_mul_f32 v9, v182, v123
	v_dual_mul_f32 v31, v181, v121 :: v_dual_mul_f32 v33, v183, v123
	s_wait_loadcnt_dscnt 0xa05
	v_dual_mul_f32 v11, v184, v125 :: v_dual_mul_f32 v13, v186, v127
	s_delay_alu instid0(VALU_DEP_3) | instskip(SKIP_3) | instid1(VALU_DEP_3)
	v_dual_fmac_f32 v7, v181, v120 :: v_dual_fmac_f32 v9, v183, v122
	s_wait_loadcnt_dscnt 0x803
	v_dual_fma_f32 v31, v180, v120, -v31 :: v_dual_mul_f32 v43, v193, v133
	v_dual_mul_f32 v35, v185, v125 :: v_dual_mul_f32 v37, v187, v127
	v_dual_fma_f32 v33, v182, v122, -v33 :: v_dual_add_f32 v7, 0, v7
	s_delay_alu instid0(VALU_DEP_3) | instskip(SKIP_1) | instid1(VALU_DEP_4)
	v_dual_add_f32 v31, 0, v31 :: v_dual_fmac_f32 v11, v185, v124
	v_dual_mul_f32 v15, v188, v129 :: v_dual_mul_f32 v17, v190, v131
	v_dual_mul_f32 v45, v195, v135 :: v_dual_fma_f32 v35, v184, v124, -v35
	s_delay_alu instid0(VALU_DEP_4) | instskip(NEXT) | instid1(VALU_DEP_3)
	v_add_f32_e32 v7, v7, v9
	v_dual_add_f32 v9, v31, v33 :: v_dual_fmac_f32 v15, v189, v128
	v_dual_mul_f32 v39, v189, v129 :: v_dual_mul_f32 v41, v191, v131
	s_wait_loadcnt_dscnt 0x702
	v_dual_mul_f32 v31, v197, v137 :: v_dual_fmac_f32 v13, v187, v126
	v_dual_fma_f32 v33, v186, v126, -v37 :: v_dual_add_f32 v7, v7, v11
	s_delay_alu instid0(VALU_DEP_3) | instskip(SKIP_1) | instid1(VALU_DEP_3)
	v_dual_add_f32 v9, v9, v35 :: v_dual_fma_f32 v35, v188, v128, -v39
	v_dual_mul_f32 v19, v192, v133 :: v_dual_mul_f32 v21, v194, v135
	v_add_f32_e32 v7, v7, v13
	s_delay_alu instid0(VALU_DEP_3) | instskip(SKIP_2) | instid1(VALU_DEP_3)
	v_dual_mul_f32 v11, v199, v139 :: v_dual_add_f32 v9, v9, v33
	s_wait_loadcnt_dscnt 0x601
	v_dual_mul_f32 v13, v201, v141 :: v_dual_fmac_f32 v17, v191, v130
	v_dual_fma_f32 v33, v190, v130, -v41 :: v_dual_add_f32 v7, v7, v15
	s_delay_alu instid0(VALU_DEP_3) | instskip(SKIP_1) | instid1(VALU_DEP_3)
	v_dual_add_f32 v9, v9, v35 :: v_dual_fma_f32 v35, v192, v132, -v43
	v_dual_mul_f32 v15, v203, v143 :: v_dual_fmac_f32 v19, v193, v132
	v_add_f32_e32 v7, v7, v17
	s_delay_alu instid0(VALU_DEP_3)
	v_dual_add_f32 v9, v9, v33 :: v_dual_fmac_f32 v21, v195, v134
	v_dual_mul_f32 v23, v196, v137 :: v_dual_mul_f32 v25, v198, v139
	s_wait_loadcnt_dscnt 0x500
	v_dual_fma_f32 v33, v194, v134, -v45 :: v_dual_mul_f32 v17, v205, v145
	v_add_f32_e32 v7, v7, v19
	v_dual_add_f32 v9, v9, v35 :: v_dual_fma_f32 v31, v196, v136, -v31
	v_dual_mul_f32 v19, v207, v147 :: v_dual_fmac_f32 v23, v197, v136
	s_delay_alu instid0(VALU_DEP_3) | instskip(NEXT) | instid1(VALU_DEP_3)
	v_dual_add_f32 v7, v7, v21 :: v_dual_fma_f32 v11, v198, v138, -v11
	v_dual_add_f32 v9, v9, v33 :: v_dual_fmac_f32 v25, v199, v138
	v_dual_mul_f32 v27, v200, v141 :: v_dual_mul_f32 v29, v202, v143
	s_delay_alu instid0(VALU_DEP_3) | instskip(SKIP_1) | instid1(VALU_DEP_3)
	v_add_f32_e32 v7, v7, v23
	s_wait_loadcnt 0x4
	v_dual_add_f32 v9, v9, v31 :: v_dual_mov_b32 v122, v151
	s_delay_alu instid0(VALU_DEP_3) | instskip(NEXT) | instid1(VALU_DEP_2)
	v_dual_fmac_f32 v27, v201, v140 :: v_dual_fma_f32 v13, v200, v140, -v13
	v_dual_add_f32 v7, v7, v25 :: v_dual_add_f32 v9, v9, v11
	v_dual_fmac_f32 v29, v203, v142 :: v_dual_mul_f32 v219, v204, v145
	v_mul_f32_e32 v221, v206, v147
	s_delay_alu instid0(VALU_DEP_3) | instskip(SKIP_4) | instid1(VALU_DEP_3)
	v_dual_fma_f32 v11, v202, v142, -v15 :: v_dual_add_f32 v7, v7, v27
	s_wait_loadcnt 0x3
	v_dual_add_f32 v9, v9, v13 :: v_dual_mov_b32 v126, v155
	v_pk_mul_f32 v[120:121], v[164:165], v[148:149] op_sel:[1,1] op_sel_hi:[0,1]
	v_dual_fmac_f32 v219, v205, v144 :: v_dual_fma_f32 v218, v204, v144, -v17
	v_dual_add_f32 v129, v7, v29 :: v_dual_add_f32 v128, v9, v11
	v_dual_fmac_f32 v221, v207, v146 :: v_dual_fma_f32 v220, v206, v146, -v19
	s_delay_alu instid0(VALU_DEP_4) | instskip(SKIP_1) | instid1(VALU_DEP_4)
	v_pk_fma_f32 v[130:131], v[164:165], v[148:149], v[120:121] op_sel_hi:[1,0,1]
	v_pk_mul_f32 v[122:123], v[210:211], v[122:123] op_sel_hi:[1,0]
	v_pk_add_f32 v[128:129], v[128:129], v[218:219]
	v_pk_fma_f32 v[120:121], v[164:165], v[148:149], v[120:121] neg_lo:[0,0,1] neg_hi:[0,0,1]
	v_pk_mul_f32 v[124:125], v[168:169], v[152:153] op_sel:[1,1] op_sel_hi:[0,1]
	v_mov_b32_e32 v121, v131
	v_pk_fma_f32 v[130:131], v[166:167], v[150:151], v[122:123] op_sel_hi:[1,0,1]
	v_pk_add_f32 v[128:129], v[128:129], v[220:221]
	v_pk_fma_f32 v[122:123], v[166:167], v[150:151], v[122:123] neg_lo:[0,0,1] neg_hi:[0,0,1]
	v_pk_fma_f32 v[134:135], v[168:169], v[152:153], v[124:125] op_sel_hi:[1,0,1]
	v_pk_mul_f32 v[126:127], v[212:213], v[126:127] op_sel_hi:[1,0]
	v_mov_b32_e32 v123, v131
	v_pk_add_f32 v[120:121], v[128:129], v[120:121]
	s_wait_loadcnt 0x2
	v_pk_mul_f32 v[132:133], v[172:173], v[156:157] op_sel:[1,1] op_sel_hi:[0,1]
	v_mov_b32_e32 v128, v159
	v_pk_fma_f32 v[124:125], v[168:169], v[152:153], v[124:125] neg_lo:[0,0,1] neg_hi:[0,0,1]
	v_mov_b32_e32 v125, v135
	v_pk_fma_f32 v[130:131], v[170:171], v[154:155], v[126:127] op_sel_hi:[1,0,1]
	v_pk_add_f32 v[120:121], v[120:121], v[122:123]
	v_pk_fma_f32 v[122:123], v[172:173], v[156:157], v[132:133] op_sel_hi:[1,0,1]
	v_pk_mul_f32 v[128:129], v[214:215], v[128:129] op_sel_hi:[1,0]
	v_pk_fma_f32 v[126:127], v[170:171], v[154:155], v[126:127] neg_lo:[0,0,1] neg_hi:[0,0,1]
	v_mov_b32_e32 v127, v131
	v_pk_add_f32 v[120:121], v[120:121], v[124:125]
	v_pk_fma_f32 v[130:131], v[172:173], v[156:157], v[132:133] neg_lo:[0,0,1] neg_hi:[0,0,1]
	v_mov_b32_e32 v131, v123
	v_pk_fma_f32 v[122:123], v[174:175], v[158:159], v[128:129] op_sel_hi:[1,0,1]
	s_wait_loadcnt 0x1
	v_pk_mul_f32 v[124:125], v[176:177], v[160:161] op_sel:[1,1] op_sel_hi:[0,1]
	v_pk_add_f32 v[120:121], v[120:121], v[126:127]
	v_mov_b32_e32 v122, v163
	v_pk_fma_f32 v[128:129], v[174:175], v[158:159], v[128:129] neg_lo:[0,0,1] neg_hi:[0,0,1]
	v_mov_b32_e32 v129, v123
	v_pk_fma_f32 v[126:127], v[176:177], v[160:161], v[124:125] op_sel_hi:[1,0,1]
	v_pk_add_f32 v[120:121], v[120:121], v[130:131]
	v_pk_mul_f32 v[122:123], v[216:217], v[122:123] op_sel_hi:[1,0]
	v_pk_fma_f32 v[124:125], v[176:177], v[160:161], v[124:125] neg_lo:[0,0,1] neg_hi:[0,0,1]
	s_delay_alu instid0(VALU_DEP_4) | instskip(NEXT) | instid1(VALU_DEP_4)
	v_mov_b32_e32 v125, v127
	v_pk_add_f32 v[120:121], v[120:121], v[128:129]
	s_delay_alu instid0(VALU_DEP_4) | instskip(SKIP_1) | instid1(VALU_DEP_2)
	v_pk_fma_f32 v[126:127], v[178:179], v[162:163], v[122:123] op_sel_hi:[1,0,1]
	v_pk_fma_f32 v[122:123], v[178:179], v[162:163], v[122:123] neg_lo:[0,0,1] neg_hi:[0,0,1]
	v_mov_b32_e32 v123, v127
	s_delay_alu instid0(VALU_DEP_4) | instskip(NEXT) | instid1(VALU_DEP_1)
	v_pk_add_f32 v[120:121], v[120:121], v[124:125]
	v_pk_add_f32 v[120:121], v[120:121], v[122:123]
	s_wait_loadcnt 0x0
	s_delay_alu instid0(VALU_DEP_1)
	v_pk_add_f32 v[120:121], v[208:209], v[120:121] neg_lo:[0,1] neg_hi:[0,1]
	scratch_store_b64 off, v[120:121], off offset:288
	s_wait_xcnt 0x0
	v_cmpx_lt_u32_e32 35, v0
	s_cbranch_execz .LBB58_297
; %bb.296:
	scratch_load_b64 v[120:121], off, off offset:280
	v_mov_b64_e32 v[122:123], 0
	scratch_store_b64 off, v[122:123], off offset:280
	s_wait_loadcnt 0x0
	ds_store_b64 v1, v[120:121]
.LBB58_297:
	s_wait_xcnt 0x0
	s_or_b32 exec_lo, exec_lo, s0
	s_wait_storecnt_dscnt 0x0
	s_barrier_signal -1
	s_barrier_wait -1
	s_clause 0xc
	scratch_load_b128 v[120:123], off, off offset:288
	scratch_load_b128 v[124:127], off, off offset:304
	;; [unrolled: 1-line block ×11, first 2 shown]
	scratch_load_b64 v[208:209], off, off offset:464
	scratch_load_b64 v[210:211], off, off offset:280
	v_mov_b32_e32 v7, 0
	ds_load_b128 v[164:167], v7 offset:880
	ds_load_b128 v[168:171], v7 offset:896
	;; [unrolled: 1-line block ×11, first 2 shown]
	ds_load_b64 v[212:213], v7 offset:944
	s_mov_b32 s0, exec_lo
	s_wait_dscnt 0xb
	v_dual_mov_b32 v214, v167 :: v_dual_mov_b32 v215, v166
	s_wait_dscnt 0x8
	v_dual_mov_b32 v216, v171 :: v_dual_mov_b32 v221, v178
	v_dual_mov_b32 v217, v170 :: v_dual_mov_b32 v218, v175
	;; [unrolled: 1-line block ×3, first 2 shown]
	s_wait_loadcnt_dscnt 0xc07
	v_dual_mul_f32 v9, v180, v121 :: v_dual_mul_f32 v35, v181, v121
	v_dual_mul_f32 v37, v183, v123 :: v_dual_mul_f32 v11, v182, v123
	s_wait_loadcnt_dscnt 0xb06
	v_mul_f32_e32 v13, v184, v125
	s_wait_loadcnt_dscnt 0x904
	v_dual_mul_f32 v47, v193, v133 :: v_dual_fma_f32 v35, v180, v120, -v35
	v_dual_fmac_f32 v9, v181, v120 :: v_dual_mul_f32 v49, v195, v135
	v_dual_mul_f32 v39, v185, v125 :: v_dual_mul_f32 v41, v187, v127
	v_dual_fmac_f32 v11, v183, v122 :: v_dual_fma_f32 v37, v182, v122, -v37
	s_delay_alu instid0(VALU_DEP_3) | instskip(SKIP_4) | instid1(VALU_DEP_3)
	v_dual_add_f32 v9, 0, v9 :: v_dual_add_f32 v35, 0, v35
	v_dual_mul_f32 v15, v186, v127 :: v_dual_mul_f32 v17, v188, v129
	s_wait_loadcnt_dscnt 0x803
	v_dual_mul_f32 v51, v197, v137 :: v_dual_fma_f32 v39, v184, v124, -v39
	v_fmac_f32_e32 v13, v185, v124
	v_dual_add_f32 v9, v9, v11 :: v_dual_fmac_f32 v15, v187, v126
	v_add_f32_e32 v11, v35, v37
	v_dual_mul_f32 v43, v189, v129 :: v_dual_mul_f32 v45, v191, v131
	v_dual_mul_f32 v35, v199, v139 :: v_dual_fma_f32 v37, v186, v126, -v41
	s_delay_alu instid0(VALU_DEP_3) | instskip(SKIP_3) | instid1(VALU_DEP_3)
	v_dual_add_f32 v9, v9, v13 :: v_dual_add_f32 v11, v11, v39
	v_dual_mul_f32 v19, v190, v131 :: v_dual_mul_f32 v21, v192, v133
	s_wait_loadcnt_dscnt 0x701
	v_dual_mul_f32 v13, v205, v141 :: v_dual_fma_f32 v39, v188, v128, -v43
	v_dual_fmac_f32 v17, v189, v128 :: v_dual_add_f32 v11, v11, v37
	s_delay_alu instid0(VALU_DEP_3) | instskip(SKIP_1) | instid1(VALU_DEP_2)
	v_dual_add_f32 v9, v9, v15 :: v_dual_fmac_f32 v19, v191, v130
	v_dual_mul_f32 v15, v207, v143 :: v_dual_fma_f32 v37, v190, v130, -v45
	v_dual_add_f32 v11, v11, v39 :: v_dual_add_f32 v9, v9, v17
	v_dual_mul_f32 v23, v194, v135 :: v_dual_mul_f32 v25, v196, v137
	s_wait_loadcnt 0x6
	v_dual_mul_f32 v17, v201, v145 :: v_dual_fma_f32 v39, v192, v132, -v47
	s_delay_alu instid0(VALU_DEP_3) | instskip(NEXT) | instid1(VALU_DEP_3)
	v_dual_fmac_f32 v21, v193, v132 :: v_dual_add_f32 v11, v11, v37
	v_dual_add_f32 v9, v9, v19 :: v_dual_fmac_f32 v23, v195, v134
	v_dual_mul_f32 v19, v203, v147 :: v_dual_fma_f32 v37, v194, v134, -v49
	s_delay_alu instid0(VALU_DEP_2) | instskip(SKIP_3) | instid1(VALU_DEP_3)
	v_dual_add_f32 v11, v11, v39 :: v_dual_add_f32 v9, v9, v21
	v_dual_mul_f32 v27, v198, v139 :: v_dual_mul_f32 v29, v204, v141
	s_wait_loadcnt 0x5
	v_dual_mul_f32 v21, v165, v149 :: v_dual_fma_f32 v39, v196, v136, -v51
	v_dual_fmac_f32 v25, v197, v136 :: v_dual_add_f32 v11, v11, v37
	v_dual_add_f32 v9, v9, v23 :: v_dual_mov_b32 v120, v151
	v_fmac_f32_e32 v27, v199, v138
	s_delay_alu instid0(VALU_DEP_3) | instskip(NEXT) | instid1(VALU_DEP_3)
	v_dual_fma_f32 v23, v198, v138, -v35 :: v_dual_add_f32 v11, v11, v39
	v_dual_add_f32 v9, v9, v25 :: v_dual_mul_f32 v31, v206, v143
	v_dual_mul_f32 v33, v200, v145 :: v_dual_fmac_f32 v29, v205, v140
	s_delay_alu instid0(VALU_DEP_3) | instskip(SKIP_1) | instid1(VALU_DEP_3)
	v_dual_add_f32 v11, v11, v23 :: v_dual_fma_f32 v13, v204, v140, -v13
	s_wait_loadcnt 0x4
	v_dual_add_f32 v9, v9, v27 :: v_dual_mov_b32 v124, v155
	v_fma_f32 v15, v206, v142, -v15
	v_fmac_f32_e32 v31, v207, v142
	v_dual_add_f32 v11, v11, v13 :: v_dual_fmac_f32 v33, v201, v144
	s_delay_alu instid0(VALU_DEP_4) | instskip(SKIP_1) | instid1(VALU_DEP_3)
	v_dual_add_f32 v9, v9, v29 :: v_dual_mul_f32 v223, v202, v147
	v_mul_f32_e32 v225, v164, v149
	v_dual_fma_f32 v13, v200, v144, -v17 :: v_dual_add_f32 v11, v11, v15
	s_delay_alu instid0(VALU_DEP_3) | instskip(NEXT) | instid1(VALU_DEP_4)
	v_dual_fma_f32 v222, v202, v146, -v19 :: v_dual_add_f32 v9, v9, v31
	v_fmac_f32_e32 v223, v203, v146
	v_pk_mul_f32 v[120:121], v[214:215], v[120:121] op_sel_hi:[1,0]
	s_delay_alu instid0(VALU_DEP_4) | instskip(NEXT) | instid1(VALU_DEP_4)
	v_dual_add_f32 v128, v11, v13 :: v_dual_fmac_f32 v225, v165, v148
	v_add_f32_e32 v129, v9, v33
	v_pk_mul_f32 v[122:123], v[168:169], v[152:153] op_sel:[1,1] op_sel_hi:[0,1]
	s_wait_loadcnt 0x3
	v_dual_mov_b32 v130, v159 :: v_dual_fma_f32 v224, v164, v148, -v21
	v_pk_fma_f32 v[132:133], v[166:167], v[150:151], v[120:121] op_sel_hi:[1,0,1]
	v_pk_add_f32 v[128:129], v[128:129], v[222:223]
	v_pk_fma_f32 v[120:121], v[166:167], v[150:151], v[120:121] neg_lo:[0,0,1] neg_hi:[0,0,1]
	v_pk_fma_f32 v[134:135], v[168:169], v[152:153], v[122:123] op_sel_hi:[1,0,1]
	v_pk_mul_f32 v[124:125], v[216:217], v[124:125] op_sel_hi:[1,0]
	v_mov_b32_e32 v121, v133
	v_pk_add_f32 v[128:129], v[128:129], v[224:225]
	v_pk_fma_f32 v[122:123], v[168:169], v[152:153], v[122:123] neg_lo:[0,0,1] neg_hi:[0,0,1]
	v_pk_mul_f32 v[126:127], v[172:173], v[156:157] op_sel:[1,1] op_sel_hi:[0,1]
	v_mov_b32_e32 v123, v135
	v_pk_fma_f32 v[134:135], v[170:171], v[154:155], v[124:125] op_sel_hi:[1,0,1]
	v_pk_add_f32 v[120:121], v[128:129], v[120:121]
	v_pk_fma_f32 v[124:125], v[170:171], v[154:155], v[124:125] neg_lo:[0,0,1] neg_hi:[0,0,1]
	v_pk_fma_f32 v[128:129], v[172:173], v[156:157], v[126:127] op_sel_hi:[1,0,1]
	v_pk_mul_f32 v[130:131], v[218:219], v[130:131] op_sel_hi:[1,0]
	v_mov_b32_e32 v125, v135
	v_pk_add_f32 v[120:121], v[120:121], v[122:123]
	v_pk_fma_f32 v[126:127], v[172:173], v[156:157], v[126:127] neg_lo:[0,0,1] neg_hi:[0,0,1]
	s_wait_loadcnt 0x2
	v_pk_mul_f32 v[132:133], v[176:177], v[160:161] op_sel:[1,1] op_sel_hi:[0,1]
	v_dual_mov_b32 v122, v163 :: v_dual_mov_b32 v127, v129
	v_pk_fma_f32 v[128:129], v[174:175], v[158:159], v[130:131] op_sel_hi:[1,0,1]
	v_pk_add_f32 v[120:121], v[120:121], v[124:125]
	v_pk_fma_f32 v[130:131], v[174:175], v[158:159], v[130:131] neg_lo:[0,0,1] neg_hi:[0,0,1]
	v_pk_fma_f32 v[124:125], v[176:177], v[160:161], v[132:133] op_sel_hi:[1,0,1]
	v_pk_mul_f32 v[122:123], v[220:221], v[122:123] op_sel_hi:[1,0]
	v_mov_b32_e32 v131, v129
	v_pk_add_f32 v[120:121], v[120:121], v[126:127]
	v_pk_fma_f32 v[126:127], v[176:177], v[160:161], v[132:133] neg_lo:[0,0,1] neg_hi:[0,0,1]
	v_mov_b32_e32 v127, v125
	v_pk_fma_f32 v[124:125], v[178:179], v[162:163], v[122:123] op_sel_hi:[1,0,1]
	s_wait_loadcnt_dscnt 0x100
	v_pk_mul_f32 v[128:129], v[212:213], v[208:209] op_sel:[1,1] op_sel_hi:[0,1]
	v_pk_add_f32 v[120:121], v[120:121], v[130:131]
	v_pk_fma_f32 v[122:123], v[178:179], v[162:163], v[122:123] neg_lo:[0,0,1] neg_hi:[0,0,1]
	v_mov_b32_e32 v123, v125
	s_delay_alu instid0(VALU_DEP_4) | instskip(NEXT) | instid1(VALU_DEP_4)
	v_pk_fma_f32 v[124:125], v[212:213], v[208:209], v[128:129] op_sel_hi:[1,0,1]
	v_pk_add_f32 v[120:121], v[120:121], v[126:127]
	v_pk_fma_f32 v[126:127], v[212:213], v[208:209], v[128:129] neg_lo:[0,0,1] neg_hi:[0,0,1]
	s_delay_alu instid0(VALU_DEP_3) | instskip(NEXT) | instid1(VALU_DEP_3)
	v_mov_b32_e32 v127, v125
	v_pk_add_f32 v[120:121], v[120:121], v[122:123]
	s_delay_alu instid0(VALU_DEP_1) | instskip(SKIP_1) | instid1(VALU_DEP_1)
	v_pk_add_f32 v[120:121], v[120:121], v[126:127]
	s_wait_loadcnt 0x0
	v_pk_add_f32 v[120:121], v[210:211], v[120:121] neg_lo:[0,1] neg_hi:[0,1]
	scratch_store_b64 off, v[120:121], off offset:280
	s_wait_xcnt 0x0
	v_cmpx_lt_u32_e32 34, v0
	s_cbranch_execz .LBB58_299
; %bb.298:
	scratch_load_b64 v[120:121], off, off offset:272
	v_mov_b64_e32 v[122:123], 0
	scratch_store_b64 off, v[122:123], off offset:272
	s_wait_loadcnt 0x0
	ds_store_b64 v1, v[120:121]
.LBB58_299:
	s_wait_xcnt 0x0
	s_or_b32 exec_lo, exec_lo, s0
	s_wait_storecnt_dscnt 0x0
	s_barrier_signal -1
	s_barrier_wait -1
	s_clause 0xc
	scratch_load_b128 v[120:123], off, off offset:280
	scratch_load_b128 v[124:127], off, off offset:296
	;; [unrolled: 1-line block ×12, first 2 shown]
	scratch_load_b64 v[216:217], off, off offset:272
	ds_load_2addr_b64 v[168:171], v7 offset0:111 offset1:112
	ds_load_2addr_b64 v[172:175], v7 offset0:113 offset1:114
	;; [unrolled: 1-line block ×12, first 2 shown]
	s_mov_b32 s0, exec_lo
	s_wait_dscnt 0xb
	v_dual_mov_b32 v218, v171 :: v_dual_mov_b32 v219, v170
	s_wait_dscnt 0xa
	v_dual_mov_b32 v220, v175 :: v_dual_mov_b32 v221, v174
	;; [unrolled: 2-line block ×4, first 2 shown]
	s_wait_loadcnt_dscnt 0xc07
	v_dual_mul_f32 v7, v184, v121 :: v_dual_mul_f32 v9, v186, v123
	v_dual_mul_f32 v35, v185, v121 :: v_dual_mul_f32 v37, v187, v123
	s_wait_loadcnt_dscnt 0xb06
	v_dual_mul_f32 v11, v188, v125 :: v_dual_mul_f32 v13, v190, v127
	s_delay_alu instid0(VALU_DEP_3) | instskip(SKIP_3) | instid1(VALU_DEP_3)
	v_dual_fmac_f32 v7, v185, v120 :: v_dual_fmac_f32 v9, v187, v122
	s_wait_loadcnt_dscnt 0x904
	v_dual_fma_f32 v35, v184, v120, -v35 :: v_dual_mul_f32 v47, v197, v133
	v_dual_mul_f32 v39, v189, v125 :: v_dual_mul_f32 v41, v191, v127
	v_dual_fma_f32 v37, v186, v122, -v37 :: v_dual_add_f32 v7, 0, v7
	s_delay_alu instid0(VALU_DEP_3) | instskip(SKIP_1) | instid1(VALU_DEP_4)
	v_dual_add_f32 v35, 0, v35 :: v_dual_fmac_f32 v11, v189, v124
	v_dual_mul_f32 v15, v192, v129 :: v_dual_mul_f32 v17, v194, v131
	v_dual_mul_f32 v49, v199, v135 :: v_dual_fma_f32 v39, v188, v124, -v39
	s_delay_alu instid0(VALU_DEP_4) | instskip(NEXT) | instid1(VALU_DEP_3)
	v_add_f32_e32 v7, v7, v9
	v_dual_add_f32 v9, v35, v37 :: v_dual_fmac_f32 v15, v193, v128
	v_dual_mul_f32 v43, v193, v129 :: v_dual_mul_f32 v45, v195, v131
	s_wait_loadcnt_dscnt 0x803
	v_dual_mul_f32 v35, v201, v137 :: v_dual_fmac_f32 v13, v191, v126
	v_dual_fma_f32 v37, v190, v126, -v41 :: v_dual_add_f32 v7, v7, v11
	s_delay_alu instid0(VALU_DEP_3) | instskip(SKIP_1) | instid1(VALU_DEP_3)
	v_dual_add_f32 v9, v9, v39 :: v_dual_fma_f32 v39, v192, v128, -v43
	v_dual_mul_f32 v19, v196, v133 :: v_dual_mul_f32 v21, v198, v135
	v_add_f32_e32 v7, v7, v13
	s_delay_alu instid0(VALU_DEP_3) | instskip(SKIP_2) | instid1(VALU_DEP_3)
	v_dual_mul_f32 v11, v203, v139 :: v_dual_add_f32 v9, v9, v37
	s_wait_loadcnt_dscnt 0x702
	v_dual_mul_f32 v13, v205, v141 :: v_dual_fmac_f32 v17, v195, v130
	v_dual_fma_f32 v37, v194, v130, -v45 :: v_dual_add_f32 v7, v7, v15
	s_delay_alu instid0(VALU_DEP_3) | instskip(SKIP_1) | instid1(VALU_DEP_3)
	v_dual_add_f32 v9, v9, v39 :: v_dual_fma_f32 v39, v196, v132, -v47
	v_dual_mul_f32 v15, v207, v143 :: v_dual_fmac_f32 v19, v197, v132
	v_add_f32_e32 v7, v7, v17
	s_delay_alu instid0(VALU_DEP_3)
	v_dual_add_f32 v9, v9, v37 :: v_dual_fmac_f32 v21, v199, v134
	v_dual_mul_f32 v23, v200, v137 :: v_dual_mul_f32 v25, v202, v139
	s_wait_loadcnt_dscnt 0x601
	v_dual_fma_f32 v37, v198, v134, -v49 :: v_dual_mul_f32 v17, v209, v145
	v_add_f32_e32 v7, v7, v19
	v_dual_add_f32 v9, v9, v39 :: v_dual_fma_f32 v35, v200, v136, -v35
	v_dual_mul_f32 v19, v211, v147 :: v_dual_fmac_f32 v23, v201, v136
	s_delay_alu instid0(VALU_DEP_3) | instskip(NEXT) | instid1(VALU_DEP_3)
	v_dual_add_f32 v7, v7, v21 :: v_dual_fma_f32 v11, v202, v138, -v11
	v_dual_add_f32 v9, v9, v37 :: v_dual_fmac_f32 v25, v203, v138
	v_dual_mul_f32 v27, v204, v141 :: v_dual_mul_f32 v29, v206, v143
	s_wait_loadcnt_dscnt 0x500
	s_delay_alu instid0(VALU_DEP_3) | instskip(NEXT) | instid1(VALU_DEP_3)
	v_dual_mul_f32 v21, v213, v149 :: v_dual_add_f32 v7, v7, v23
	v_dual_add_f32 v9, v9, v35 :: v_dual_fma_f32 v13, v204, v140, -v13
	s_delay_alu instid0(VALU_DEP_3) | instskip(NEXT) | instid1(VALU_DEP_2)
	v_dual_mul_f32 v23, v215, v151 :: v_dual_fmac_f32 v27, v205, v140
	v_dual_add_f32 v7, v7, v25 :: v_dual_add_f32 v9, v9, v11
	v_dual_mul_f32 v31, v208, v145 :: v_dual_mul_f32 v33, v210, v147
	v_dual_fmac_f32 v29, v207, v142 :: v_dual_fma_f32 v11, v206, v142, -v15
	s_delay_alu instid0(VALU_DEP_3) | instskip(SKIP_1) | instid1(VALU_DEP_3)
	v_dual_add_f32 v7, v7, v27 :: v_dual_add_f32 v9, v9, v13
	s_wait_loadcnt 0x4
	v_dual_mov_b32 v122, v155 :: v_dual_fmac_f32 v31, v209, v144
	s_delay_alu instid0(VALU_DEP_2) | instskip(NEXT) | instid1(VALU_DEP_3)
	v_dual_fma_f32 v13, v208, v144, -v17 :: v_dual_add_f32 v7, v7, v29
	v_dual_add_f32 v9, v9, v11 :: v_dual_fmac_f32 v33, v211, v146
	v_dual_mul_f32 v227, v212, v149 :: v_dual_mul_f32 v229, v214, v151
	s_delay_alu instid0(VALU_DEP_3) | instskip(SKIP_1) | instid1(VALU_DEP_3)
	v_dual_fma_f32 v11, v210, v146, -v19 :: v_dual_add_f32 v7, v7, v31
	s_wait_loadcnt 0x3
	v_dual_add_f32 v9, v9, v13 :: v_dual_mov_b32 v126, v159
	v_pk_mul_f32 v[120:121], v[168:169], v[152:153] op_sel:[1,1] op_sel_hi:[0,1]
	v_dual_fmac_f32 v227, v213, v148 :: v_dual_fma_f32 v226, v212, v148, -v21
	s_delay_alu instid0(VALU_DEP_3) | instskip(SKIP_1) | instid1(VALU_DEP_4)
	v_dual_add_f32 v129, v7, v33 :: v_dual_add_f32 v128, v9, v11
	v_dual_fmac_f32 v229, v215, v150 :: v_dual_fma_f32 v228, v214, v150, -v23
	v_pk_fma_f32 v[130:131], v[168:169], v[152:153], v[120:121] op_sel_hi:[1,0,1]
	v_pk_mul_f32 v[122:123], v[218:219], v[122:123] op_sel_hi:[1,0]
	s_delay_alu instid0(VALU_DEP_4)
	v_pk_add_f32 v[128:129], v[128:129], v[226:227]
	v_pk_fma_f32 v[120:121], v[168:169], v[152:153], v[120:121] neg_lo:[0,0,1] neg_hi:[0,0,1]
	v_pk_mul_f32 v[124:125], v[172:173], v[156:157] op_sel:[1,1] op_sel_hi:[0,1]
	v_mov_b32_e32 v121, v131
	v_pk_fma_f32 v[130:131], v[170:171], v[154:155], v[122:123] op_sel_hi:[1,0,1]
	v_pk_add_f32 v[128:129], v[128:129], v[228:229]
	v_pk_fma_f32 v[122:123], v[170:171], v[154:155], v[122:123] neg_lo:[0,0,1] neg_hi:[0,0,1]
	v_pk_fma_f32 v[134:135], v[172:173], v[156:157], v[124:125] op_sel_hi:[1,0,1]
	v_pk_mul_f32 v[126:127], v[220:221], v[126:127] op_sel_hi:[1,0]
	v_mov_b32_e32 v123, v131
	v_pk_add_f32 v[120:121], v[128:129], v[120:121]
	s_wait_loadcnt 0x2
	v_pk_mul_f32 v[132:133], v[176:177], v[160:161] op_sel:[1,1] op_sel_hi:[0,1]
	v_mov_b32_e32 v128, v163
	v_pk_fma_f32 v[124:125], v[172:173], v[156:157], v[124:125] neg_lo:[0,0,1] neg_hi:[0,0,1]
	v_mov_b32_e32 v125, v135
	v_pk_fma_f32 v[130:131], v[174:175], v[158:159], v[126:127] op_sel_hi:[1,0,1]
	v_pk_add_f32 v[120:121], v[120:121], v[122:123]
	v_pk_fma_f32 v[122:123], v[176:177], v[160:161], v[132:133] op_sel_hi:[1,0,1]
	v_pk_mul_f32 v[128:129], v[222:223], v[128:129] op_sel_hi:[1,0]
	v_pk_fma_f32 v[126:127], v[174:175], v[158:159], v[126:127] neg_lo:[0,0,1] neg_hi:[0,0,1]
	v_mov_b32_e32 v127, v131
	v_pk_add_f32 v[120:121], v[120:121], v[124:125]
	v_pk_fma_f32 v[130:131], v[176:177], v[160:161], v[132:133] neg_lo:[0,0,1] neg_hi:[0,0,1]
	v_mov_b32_e32 v131, v123
	v_pk_fma_f32 v[122:123], v[178:179], v[162:163], v[128:129] op_sel_hi:[1,0,1]
	s_wait_loadcnt 0x1
	v_pk_mul_f32 v[124:125], v[180:181], v[164:165] op_sel:[1,1] op_sel_hi:[0,1]
	v_pk_add_f32 v[120:121], v[120:121], v[126:127]
	v_mov_b32_e32 v122, v167
	v_pk_fma_f32 v[128:129], v[178:179], v[162:163], v[128:129] neg_lo:[0,0,1] neg_hi:[0,0,1]
	v_mov_b32_e32 v129, v123
	v_pk_fma_f32 v[126:127], v[180:181], v[164:165], v[124:125] op_sel_hi:[1,0,1]
	v_pk_add_f32 v[120:121], v[120:121], v[130:131]
	v_pk_mul_f32 v[122:123], v[224:225], v[122:123] op_sel_hi:[1,0]
	v_pk_fma_f32 v[124:125], v[180:181], v[164:165], v[124:125] neg_lo:[0,0,1] neg_hi:[0,0,1]
	s_delay_alu instid0(VALU_DEP_4) | instskip(NEXT) | instid1(VALU_DEP_4)
	v_mov_b32_e32 v125, v127
	v_pk_add_f32 v[120:121], v[120:121], v[128:129]
	s_delay_alu instid0(VALU_DEP_4) | instskip(SKIP_1) | instid1(VALU_DEP_2)
	v_pk_fma_f32 v[126:127], v[182:183], v[166:167], v[122:123] op_sel_hi:[1,0,1]
	v_pk_fma_f32 v[122:123], v[182:183], v[166:167], v[122:123] neg_lo:[0,0,1] neg_hi:[0,0,1]
	v_mov_b32_e32 v123, v127
	s_delay_alu instid0(VALU_DEP_4) | instskip(NEXT) | instid1(VALU_DEP_1)
	v_pk_add_f32 v[120:121], v[120:121], v[124:125]
	v_pk_add_f32 v[120:121], v[120:121], v[122:123]
	s_wait_loadcnt 0x0
	s_delay_alu instid0(VALU_DEP_1)
	v_pk_add_f32 v[120:121], v[216:217], v[120:121] neg_lo:[0,1] neg_hi:[0,1]
	scratch_store_b64 off, v[120:121], off offset:272
	s_wait_xcnt 0x0
	v_cmpx_lt_u32_e32 33, v0
	s_cbranch_execz .LBB58_301
; %bb.300:
	scratch_load_b64 v[120:121], off, off offset:264
	v_mov_b64_e32 v[122:123], 0
	scratch_store_b64 off, v[122:123], off offset:264
	s_wait_loadcnt 0x0
	ds_store_b64 v1, v[120:121]
.LBB58_301:
	s_wait_xcnt 0x0
	s_or_b32 exec_lo, exec_lo, s0
	s_wait_storecnt_dscnt 0x0
	s_barrier_signal -1
	s_barrier_wait -1
	s_clause 0xd
	scratch_load_b128 v[120:123], off, off offset:272
	scratch_load_b128 v[124:127], off, off offset:288
	;; [unrolled: 1-line block ×12, first 2 shown]
	scratch_load_b64 v[216:217], off, off offset:464
	scratch_load_b64 v[218:219], off, off offset:264
	v_mov_b32_e32 v7, 0
	ds_load_b128 v[168:171], v7 offset:880
	ds_load_b128 v[172:175], v7 offset:896
	;; [unrolled: 1-line block ×12, first 2 shown]
	ds_load_b64 v[220:221], v7 offset:944
	s_mov_b32 s0, exec_lo
	s_wait_dscnt 0xc
	v_dual_mov_b32 v222, v171 :: v_dual_mov_b32 v223, v170
	s_wait_dscnt 0x9
	v_dual_mov_b32 v224, v175 :: v_dual_mov_b32 v229, v182
	v_dual_mov_b32 v225, v174 :: v_dual_mov_b32 v226, v179
	;; [unrolled: 1-line block ×3, first 2 shown]
	s_wait_loadcnt_dscnt 0xd08
	v_dual_mul_f32 v9, v184, v121 :: v_dual_mul_f32 v39, v185, v121
	v_dual_mul_f32 v41, v187, v123 :: v_dual_mul_f32 v11, v186, v123
	s_wait_loadcnt_dscnt 0xc07
	v_mul_f32_e32 v13, v188, v125
	s_wait_loadcnt_dscnt 0xa05
	v_dual_mul_f32 v51, v197, v133 :: v_dual_fma_f32 v39, v184, v120, -v39
	v_dual_fmac_f32 v9, v185, v120 :: v_dual_mul_f32 v53, v199, v135
	v_dual_mul_f32 v43, v189, v125 :: v_dual_mul_f32 v45, v191, v127
	v_dual_fmac_f32 v11, v187, v122 :: v_dual_fma_f32 v41, v186, v122, -v41
	s_delay_alu instid0(VALU_DEP_3) | instskip(SKIP_4) | instid1(VALU_DEP_3)
	v_dual_add_f32 v9, 0, v9 :: v_dual_add_f32 v39, 0, v39
	v_dual_mul_f32 v15, v190, v127 :: v_dual_mul_f32 v17, v192, v129
	s_wait_loadcnt_dscnt 0x904
	v_dual_mul_f32 v55, v201, v137 :: v_dual_fma_f32 v43, v188, v124, -v43
	v_fmac_f32_e32 v13, v189, v124
	v_dual_add_f32 v9, v9, v11 :: v_dual_fmac_f32 v15, v191, v126
	v_add_f32_e32 v11, v39, v41
	v_dual_mul_f32 v47, v193, v129 :: v_dual_mul_f32 v49, v195, v131
	v_dual_mul_f32 v39, v203, v139 :: v_dual_fma_f32 v41, v190, v126, -v45
	s_delay_alu instid0(VALU_DEP_3) | instskip(SKIP_3) | instid1(VALU_DEP_3)
	v_dual_add_f32 v9, v9, v13 :: v_dual_add_f32 v11, v11, v43
	v_dual_mul_f32 v19, v194, v131 :: v_dual_mul_f32 v21, v196, v133
	s_wait_loadcnt_dscnt 0x803
	v_dual_mul_f32 v13, v205, v141 :: v_dual_fma_f32 v43, v192, v128, -v47
	v_dual_fmac_f32 v17, v193, v128 :: v_dual_add_f32 v11, v11, v41
	s_delay_alu instid0(VALU_DEP_3) | instskip(SKIP_1) | instid1(VALU_DEP_2)
	v_dual_add_f32 v9, v9, v15 :: v_dual_fmac_f32 v19, v195, v130
	v_dual_mul_f32 v15, v207, v143 :: v_dual_fma_f32 v41, v194, v130, -v49
	v_dual_add_f32 v11, v11, v43 :: v_dual_add_f32 v9, v9, v17
	v_dual_mul_f32 v23, v198, v135 :: v_dual_mul_f32 v25, v200, v137
	s_wait_loadcnt_dscnt 0x702
	v_dual_mul_f32 v17, v209, v145 :: v_dual_fma_f32 v43, v196, v132, -v51
	s_delay_alu instid0(VALU_DEP_3) | instskip(NEXT) | instid1(VALU_DEP_3)
	v_dual_fmac_f32 v21, v197, v132 :: v_dual_add_f32 v11, v11, v41
	v_dual_add_f32 v9, v9, v19 :: v_dual_fmac_f32 v23, v199, v134
	v_dual_mul_f32 v19, v211, v147 :: v_dual_fma_f32 v41, v198, v134, -v53
	s_delay_alu instid0(VALU_DEP_2) | instskip(SKIP_3) | instid1(VALU_DEP_3)
	v_dual_add_f32 v11, v11, v43 :: v_dual_add_f32 v9, v9, v21
	v_dual_mul_f32 v27, v202, v139 :: v_dual_mul_f32 v29, v204, v141
	s_wait_loadcnt_dscnt 0x601
	v_dual_mul_f32 v21, v213, v149 :: v_dual_fma_f32 v43, v200, v136, -v55
	v_dual_fmac_f32 v25, v201, v136 :: v_dual_add_f32 v11, v11, v41
	s_delay_alu instid0(VALU_DEP_3) | instskip(SKIP_1) | instid1(VALU_DEP_2)
	v_dual_add_f32 v9, v9, v23 :: v_dual_fmac_f32 v27, v203, v138
	v_dual_mul_f32 v23, v215, v151 :: v_dual_fma_f32 v39, v202, v138, -v39
	v_dual_add_f32 v11, v11, v43 :: v_dual_add_f32 v9, v9, v25
	v_dual_mul_f32 v31, v206, v143 :: v_dual_mul_f32 v33, v208, v145
	s_wait_loadcnt 0x5
	v_dual_mul_f32 v25, v169, v153 :: v_dual_fma_f32 v13, v204, v140, -v13
	s_delay_alu instid0(VALU_DEP_3) | instskip(SKIP_2) | instid1(VALU_DEP_3)
	v_dual_fmac_f32 v29, v205, v140 :: v_dual_add_f32 v11, v11, v39
	v_dual_add_f32 v9, v9, v27 :: v_dual_mov_b32 v120, v155
	v_fmac_f32_e32 v31, v207, v142
	v_dual_fma_f32 v15, v206, v142, -v15 :: v_dual_add_f32 v11, v11, v13
	s_delay_alu instid0(VALU_DEP_3) | instskip(SKIP_1) | instid1(VALU_DEP_3)
	v_dual_add_f32 v9, v9, v29 :: v_dual_mul_f32 v35, v210, v147
	v_dual_mul_f32 v37, v212, v149 :: v_dual_fmac_f32 v33, v209, v144
	v_dual_add_f32 v11, v11, v15 :: v_dual_fma_f32 v13, v208, v144, -v17
	s_wait_loadcnt 0x4
	s_delay_alu instid0(VALU_DEP_3) | instskip(SKIP_3) | instid1(VALU_DEP_4)
	v_dual_add_f32 v9, v9, v31 :: v_dual_mov_b32 v124, v159
	v_fma_f32 v15, v210, v146, -v19
	v_fmac_f32_e32 v35, v211, v146
	v_dual_add_f32 v11, v11, v13 :: v_dual_fmac_f32 v37, v213, v148
	v_dual_add_f32 v9, v9, v33 :: v_dual_mul_f32 v231, v214, v151
	v_mul_f32_e32 v233, v168, v153
	s_delay_alu instid0(VALU_DEP_3) | instskip(NEXT) | instid1(VALU_DEP_3)
	v_dual_fma_f32 v13, v212, v148, -v21 :: v_dual_add_f32 v11, v11, v15
	v_dual_fma_f32 v230, v214, v150, -v23 :: v_dual_add_f32 v9, v9, v35
	s_delay_alu instid0(VALU_DEP_4) | instskip(SKIP_1) | instid1(VALU_DEP_4)
	v_fmac_f32_e32 v231, v215, v150
	v_pk_mul_f32 v[120:121], v[222:223], v[120:121] op_sel_hi:[1,0]
	v_dual_add_f32 v128, v11, v13 :: v_dual_fmac_f32 v233, v169, v152
	s_delay_alu instid0(VALU_DEP_4)
	v_add_f32_e32 v129, v9, v37
	v_pk_mul_f32 v[122:123], v[172:173], v[156:157] op_sel:[1,1] op_sel_hi:[0,1]
	s_wait_loadcnt 0x3
	v_dual_mov_b32 v130, v163 :: v_dual_fma_f32 v232, v168, v152, -v25
	v_pk_fma_f32 v[132:133], v[170:171], v[154:155], v[120:121] op_sel_hi:[1,0,1]
	v_pk_add_f32 v[128:129], v[128:129], v[230:231]
	v_pk_fma_f32 v[120:121], v[170:171], v[154:155], v[120:121] neg_lo:[0,0,1] neg_hi:[0,0,1]
	v_pk_fma_f32 v[134:135], v[172:173], v[156:157], v[122:123] op_sel_hi:[1,0,1]
	v_pk_mul_f32 v[124:125], v[224:225], v[124:125] op_sel_hi:[1,0]
	v_mov_b32_e32 v121, v133
	v_pk_add_f32 v[128:129], v[128:129], v[232:233]
	v_pk_fma_f32 v[122:123], v[172:173], v[156:157], v[122:123] neg_lo:[0,0,1] neg_hi:[0,0,1]
	v_pk_mul_f32 v[126:127], v[176:177], v[160:161] op_sel:[1,1] op_sel_hi:[0,1]
	v_mov_b32_e32 v123, v135
	v_pk_fma_f32 v[134:135], v[174:175], v[158:159], v[124:125] op_sel_hi:[1,0,1]
	v_pk_add_f32 v[120:121], v[128:129], v[120:121]
	v_pk_fma_f32 v[124:125], v[174:175], v[158:159], v[124:125] neg_lo:[0,0,1] neg_hi:[0,0,1]
	v_pk_fma_f32 v[128:129], v[176:177], v[160:161], v[126:127] op_sel_hi:[1,0,1]
	v_pk_mul_f32 v[130:131], v[226:227], v[130:131] op_sel_hi:[1,0]
	v_mov_b32_e32 v125, v135
	v_pk_add_f32 v[120:121], v[120:121], v[122:123]
	v_pk_fma_f32 v[126:127], v[176:177], v[160:161], v[126:127] neg_lo:[0,0,1] neg_hi:[0,0,1]
	s_wait_loadcnt 0x2
	v_pk_mul_f32 v[132:133], v[180:181], v[164:165] op_sel:[1,1] op_sel_hi:[0,1]
	v_dual_mov_b32 v122, v167 :: v_dual_mov_b32 v127, v129
	v_pk_fma_f32 v[128:129], v[178:179], v[162:163], v[130:131] op_sel_hi:[1,0,1]
	v_pk_add_f32 v[120:121], v[120:121], v[124:125]
	v_pk_fma_f32 v[130:131], v[178:179], v[162:163], v[130:131] neg_lo:[0,0,1] neg_hi:[0,0,1]
	v_pk_fma_f32 v[124:125], v[180:181], v[164:165], v[132:133] op_sel_hi:[1,0,1]
	v_pk_mul_f32 v[122:123], v[228:229], v[122:123] op_sel_hi:[1,0]
	v_mov_b32_e32 v131, v129
	v_pk_add_f32 v[120:121], v[120:121], v[126:127]
	v_pk_fma_f32 v[126:127], v[180:181], v[164:165], v[132:133] neg_lo:[0,0,1] neg_hi:[0,0,1]
	v_mov_b32_e32 v127, v125
	v_pk_fma_f32 v[124:125], v[182:183], v[166:167], v[122:123] op_sel_hi:[1,0,1]
	s_wait_loadcnt_dscnt 0x100
	v_pk_mul_f32 v[128:129], v[220:221], v[216:217] op_sel:[1,1] op_sel_hi:[0,1]
	v_pk_add_f32 v[120:121], v[120:121], v[130:131]
	v_pk_fma_f32 v[122:123], v[182:183], v[166:167], v[122:123] neg_lo:[0,0,1] neg_hi:[0,0,1]
	v_mov_b32_e32 v123, v125
	s_delay_alu instid0(VALU_DEP_4) | instskip(NEXT) | instid1(VALU_DEP_4)
	v_pk_fma_f32 v[124:125], v[220:221], v[216:217], v[128:129] op_sel_hi:[1,0,1]
	v_pk_add_f32 v[120:121], v[120:121], v[126:127]
	v_pk_fma_f32 v[126:127], v[220:221], v[216:217], v[128:129] neg_lo:[0,0,1] neg_hi:[0,0,1]
	s_delay_alu instid0(VALU_DEP_3) | instskip(NEXT) | instid1(VALU_DEP_3)
	v_mov_b32_e32 v127, v125
	v_pk_add_f32 v[120:121], v[120:121], v[122:123]
	s_delay_alu instid0(VALU_DEP_1) | instskip(SKIP_1) | instid1(VALU_DEP_1)
	v_pk_add_f32 v[120:121], v[120:121], v[126:127]
	s_wait_loadcnt 0x0
	v_pk_add_f32 v[120:121], v[218:219], v[120:121] neg_lo:[0,1] neg_hi:[0,1]
	scratch_store_b64 off, v[120:121], off offset:264
	s_wait_xcnt 0x0
	v_cmpx_lt_u32_e32 32, v0
	s_cbranch_execz .LBB58_303
; %bb.302:
	scratch_load_b64 v[120:121], off, off offset:256
	v_mov_b64_e32 v[122:123], 0
	scratch_store_b64 off, v[122:123], off offset:256
	s_wait_loadcnt 0x0
	ds_store_b64 v1, v[120:121]
.LBB58_303:
	s_wait_xcnt 0x0
	s_or_b32 exec_lo, exec_lo, s0
	s_wait_storecnt_dscnt 0x0
	s_barrier_signal -1
	s_barrier_wait -1
	s_clause 0xd
	scratch_load_b128 v[120:123], off, off offset:264
	scratch_load_b128 v[124:127], off, off offset:280
	;; [unrolled: 1-line block ×13, first 2 shown]
	scratch_load_b64 v[224:225], off, off offset:256
	ds_load_2addr_b64 v[172:175], v7 offset0:111 offset1:112
	ds_load_2addr_b64 v[176:179], v7 offset0:113 offset1:114
	;; [unrolled: 1-line block ×13, first 2 shown]
	s_mov_b32 s0, exec_lo
	s_wait_dscnt 0xc
	v_dual_mov_b32 v226, v175 :: v_dual_mov_b32 v227, v174
	s_wait_dscnt 0xb
	v_dual_mov_b32 v228, v179 :: v_dual_mov_b32 v229, v178
	;; [unrolled: 2-line block ×4, first 2 shown]
	s_wait_loadcnt_dscnt 0xd08
	v_dual_mul_f32 v7, v188, v121 :: v_dual_mul_f32 v9, v190, v123
	v_dual_mul_f32 v39, v189, v121 :: v_dual_mul_f32 v41, v191, v123
	s_wait_loadcnt_dscnt 0xc07
	v_dual_mul_f32 v11, v192, v125 :: v_dual_mul_f32 v13, v194, v127
	s_delay_alu instid0(VALU_DEP_3) | instskip(SKIP_3) | instid1(VALU_DEP_3)
	v_dual_fmac_f32 v7, v189, v120 :: v_dual_fmac_f32 v9, v191, v122
	s_wait_loadcnt_dscnt 0xa05
	v_dual_fma_f32 v39, v188, v120, -v39 :: v_dual_mul_f32 v51, v201, v133
	v_dual_mul_f32 v43, v193, v125 :: v_dual_mul_f32 v45, v195, v127
	v_dual_fma_f32 v41, v190, v122, -v41 :: v_dual_add_f32 v7, 0, v7
	s_delay_alu instid0(VALU_DEP_3) | instskip(SKIP_1) | instid1(VALU_DEP_4)
	v_dual_add_f32 v39, 0, v39 :: v_dual_fmac_f32 v11, v193, v124
	v_dual_mul_f32 v15, v196, v129 :: v_dual_mul_f32 v17, v198, v131
	v_dual_mul_f32 v53, v203, v135 :: v_dual_fma_f32 v43, v192, v124, -v43
	s_delay_alu instid0(VALU_DEP_4) | instskip(NEXT) | instid1(VALU_DEP_3)
	v_add_f32_e32 v7, v7, v9
	v_dual_add_f32 v9, v39, v41 :: v_dual_fmac_f32 v15, v197, v128
	v_dual_mul_f32 v47, v197, v129 :: v_dual_mul_f32 v49, v199, v131
	s_wait_loadcnt_dscnt 0x903
	v_dual_mul_f32 v39, v209, v137 :: v_dual_fmac_f32 v13, v195, v126
	v_dual_fma_f32 v41, v194, v126, -v45 :: v_dual_add_f32 v7, v7, v11
	s_delay_alu instid0(VALU_DEP_3) | instskip(SKIP_1) | instid1(VALU_DEP_3)
	v_dual_add_f32 v9, v9, v43 :: v_dual_fma_f32 v43, v196, v128, -v47
	v_dual_mul_f32 v19, v200, v133 :: v_dual_mul_f32 v21, v202, v135
	v_add_f32_e32 v7, v7, v13
	s_delay_alu instid0(VALU_DEP_3) | instskip(SKIP_2) | instid1(VALU_DEP_3)
	v_dual_mul_f32 v11, v211, v139 :: v_dual_add_f32 v9, v9, v41
	s_wait_loadcnt_dscnt 0x802
	v_dual_mul_f32 v13, v213, v141 :: v_dual_fmac_f32 v17, v199, v130
	v_dual_fma_f32 v41, v198, v130, -v49 :: v_dual_add_f32 v7, v7, v15
	s_delay_alu instid0(VALU_DEP_3) | instskip(SKIP_1) | instid1(VALU_DEP_3)
	v_dual_add_f32 v9, v9, v43 :: v_dual_fma_f32 v43, v200, v132, -v51
	v_dual_mul_f32 v15, v215, v143 :: v_dual_fmac_f32 v19, v201, v132
	v_add_f32_e32 v7, v7, v17
	s_delay_alu instid0(VALU_DEP_3)
	v_dual_add_f32 v9, v9, v41 :: v_dual_fmac_f32 v21, v203, v134
	v_dual_mul_f32 v23, v208, v137 :: v_dual_mul_f32 v25, v210, v139
	s_wait_loadcnt_dscnt 0x701
	v_dual_fma_f32 v41, v202, v134, -v53 :: v_dual_mul_f32 v17, v217, v145
	v_add_f32_e32 v7, v7, v19
	v_dual_add_f32 v9, v9, v43 :: v_dual_fma_f32 v39, v208, v136, -v39
	v_dual_mul_f32 v19, v219, v147 :: v_dual_fmac_f32 v23, v209, v136
	s_delay_alu instid0(VALU_DEP_3) | instskip(NEXT) | instid1(VALU_DEP_3)
	v_dual_add_f32 v7, v7, v21 :: v_dual_fma_f32 v11, v210, v138, -v11
	v_dual_add_f32 v9, v9, v41 :: v_dual_fmac_f32 v25, v211, v138
	v_dual_mul_f32 v27, v212, v141 :: v_dual_mul_f32 v29, v214, v143
	s_wait_loadcnt_dscnt 0x600
	s_delay_alu instid0(VALU_DEP_3) | instskip(NEXT) | instid1(VALU_DEP_3)
	v_dual_mul_f32 v21, v221, v149 :: v_dual_add_f32 v7, v7, v23
	v_dual_add_f32 v9, v9, v39 :: v_dual_fma_f32 v13, v212, v140, -v13
	s_delay_alu instid0(VALU_DEP_3) | instskip(NEXT) | instid1(VALU_DEP_2)
	v_dual_mul_f32 v23, v223, v151 :: v_dual_fmac_f32 v27, v213, v140
	v_dual_add_f32 v7, v7, v25 :: v_dual_add_f32 v9, v9, v11
	v_dual_mul_f32 v31, v216, v145 :: v_dual_mul_f32 v33, v218, v147
	s_wait_loadcnt 0x5
	v_dual_mul_f32 v11, v205, v153 :: v_dual_fmac_f32 v29, v215, v142
	s_delay_alu instid0(VALU_DEP_3) | instskip(SKIP_2) | instid1(VALU_DEP_2)
	v_dual_fma_f32 v15, v214, v142, -v15 :: v_dual_add_f32 v7, v7, v27
	v_dual_add_f32 v9, v9, v13 :: v_dual_mul_f32 v13, v207, v155
	v_dual_fmac_f32 v31, v217, v144 :: v_dual_fma_f32 v17, v216, v144, -v17
	v_dual_add_f32 v7, v7, v29 :: v_dual_add_f32 v9, v9, v15
	v_dual_mul_f32 v35, v220, v149 :: v_dual_mul_f32 v37, v222, v151
	v_dual_fmac_f32 v33, v219, v146 :: v_dual_fma_f32 v15, v218, v146, -v19
	s_delay_alu instid0(VALU_DEP_3) | instskip(SKIP_1) | instid1(VALU_DEP_3)
	v_dual_add_f32 v7, v7, v31 :: v_dual_add_f32 v9, v9, v17
	s_wait_loadcnt 0x4
	v_dual_mov_b32 v122, v159 :: v_dual_fmac_f32 v35, v221, v148
	s_delay_alu instid0(VALU_DEP_2) | instskip(NEXT) | instid1(VALU_DEP_3)
	v_dual_fma_f32 v17, v220, v148, -v21 :: v_dual_add_f32 v7, v7, v33
	v_dual_add_f32 v9, v9, v15 :: v_dual_fmac_f32 v37, v223, v150
	v_dual_mul_f32 v235, v204, v153 :: v_dual_mul_f32 v237, v206, v155
	s_delay_alu instid0(VALU_DEP_3) | instskip(SKIP_1) | instid1(VALU_DEP_3)
	v_dual_fma_f32 v15, v222, v150, -v23 :: v_dual_add_f32 v7, v7, v35
	s_wait_loadcnt 0x3
	v_dual_add_f32 v9, v9, v17 :: v_dual_mov_b32 v126, v163
	v_pk_mul_f32 v[120:121], v[172:173], v[156:157] op_sel:[1,1] op_sel_hi:[0,1]
	s_delay_alu instid0(VALU_DEP_3) | instskip(NEXT) | instid1(VALU_DEP_3)
	v_dual_fmac_f32 v235, v205, v152 :: v_dual_add_f32 v129, v7, v37
	v_dual_fma_f32 v234, v204, v152, -v11 :: v_dual_add_f32 v128, v9, v15
	v_fmac_f32_e32 v237, v207, v154
	s_delay_alu instid0(VALU_DEP_4)
	v_pk_fma_f32 v[130:131], v[172:173], v[156:157], v[120:121] op_sel_hi:[1,0,1]
	v_fma_f32 v236, v206, v154, -v13
	v_pk_mul_f32 v[122:123], v[226:227], v[122:123] op_sel_hi:[1,0]
	v_pk_add_f32 v[128:129], v[128:129], v[234:235]
	v_pk_fma_f32 v[120:121], v[172:173], v[156:157], v[120:121] neg_lo:[0,0,1] neg_hi:[0,0,1]
	v_pk_mul_f32 v[124:125], v[176:177], v[160:161] op_sel:[1,1] op_sel_hi:[0,1]
	v_mov_b32_e32 v121, v131
	v_pk_fma_f32 v[130:131], v[174:175], v[158:159], v[122:123] op_sel_hi:[1,0,1]
	v_pk_add_f32 v[128:129], v[128:129], v[236:237]
	v_pk_fma_f32 v[122:123], v[174:175], v[158:159], v[122:123] neg_lo:[0,0,1] neg_hi:[0,0,1]
	v_pk_fma_f32 v[134:135], v[176:177], v[160:161], v[124:125] op_sel_hi:[1,0,1]
	v_pk_mul_f32 v[126:127], v[228:229], v[126:127] op_sel_hi:[1,0]
	v_mov_b32_e32 v123, v131
	v_pk_add_f32 v[120:121], v[128:129], v[120:121]
	s_wait_loadcnt 0x2
	v_pk_mul_f32 v[132:133], v[180:181], v[164:165] op_sel:[1,1] op_sel_hi:[0,1]
	v_mov_b32_e32 v128, v167
	v_pk_fma_f32 v[124:125], v[176:177], v[160:161], v[124:125] neg_lo:[0,0,1] neg_hi:[0,0,1]
	v_pk_fma_f32 v[130:131], v[178:179], v[162:163], v[126:127] op_sel_hi:[1,0,1]
	v_mov_b32_e32 v125, v135
	v_pk_add_f32 v[120:121], v[120:121], v[122:123]
	v_pk_fma_f32 v[122:123], v[180:181], v[164:165], v[132:133] op_sel_hi:[1,0,1]
	v_pk_mul_f32 v[128:129], v[230:231], v[128:129] op_sel_hi:[1,0]
	v_pk_fma_f32 v[126:127], v[178:179], v[162:163], v[126:127] neg_lo:[0,0,1] neg_hi:[0,0,1]
	v_mov_b32_e32 v127, v131
	v_pk_add_f32 v[120:121], v[120:121], v[124:125]
	v_pk_fma_f32 v[130:131], v[180:181], v[164:165], v[132:133] neg_lo:[0,0,1] neg_hi:[0,0,1]
	v_mov_b32_e32 v131, v123
	v_pk_fma_f32 v[122:123], v[182:183], v[166:167], v[128:129] op_sel_hi:[1,0,1]
	s_wait_loadcnt 0x1
	v_pk_mul_f32 v[124:125], v[184:185], v[168:169] op_sel:[1,1] op_sel_hi:[0,1]
	v_pk_add_f32 v[120:121], v[120:121], v[126:127]
	v_mov_b32_e32 v122, v171
	v_pk_fma_f32 v[128:129], v[182:183], v[166:167], v[128:129] neg_lo:[0,0,1] neg_hi:[0,0,1]
	s_delay_alu instid0(VALU_DEP_4)
	v_pk_fma_f32 v[126:127], v[184:185], v[168:169], v[124:125] op_sel_hi:[1,0,1]
	v_mov_b32_e32 v129, v123
	v_pk_add_f32 v[120:121], v[120:121], v[130:131]
	v_pk_mul_f32 v[122:123], v[232:233], v[122:123] op_sel_hi:[1,0]
	v_pk_fma_f32 v[124:125], v[184:185], v[168:169], v[124:125] neg_lo:[0,0,1] neg_hi:[0,0,1]
	v_mov_b32_e32 v125, v127
	s_delay_alu instid0(VALU_DEP_4) | instskip(NEXT) | instid1(VALU_DEP_4)
	v_pk_add_f32 v[120:121], v[120:121], v[128:129]
	v_pk_fma_f32 v[126:127], v[186:187], v[170:171], v[122:123] op_sel_hi:[1,0,1]
	v_pk_fma_f32 v[122:123], v[186:187], v[170:171], v[122:123] neg_lo:[0,0,1] neg_hi:[0,0,1]
	s_delay_alu instid0(VALU_DEP_3) | instskip(NEXT) | instid1(VALU_DEP_3)
	v_pk_add_f32 v[120:121], v[120:121], v[124:125]
	v_mov_b32_e32 v123, v127
	s_delay_alu instid0(VALU_DEP_1) | instskip(SKIP_1) | instid1(VALU_DEP_1)
	v_pk_add_f32 v[120:121], v[120:121], v[122:123]
	s_wait_loadcnt 0x0
	v_pk_add_f32 v[120:121], v[224:225], v[120:121] neg_lo:[0,1] neg_hi:[0,1]
	scratch_store_b64 off, v[120:121], off offset:256
	s_wait_xcnt 0x0
	v_cmpx_lt_u32_e32 31, v0
	s_cbranch_execz .LBB58_305
; %bb.304:
	scratch_load_b64 v[120:121], off, off offset:248
	v_mov_b64_e32 v[122:123], 0
	scratch_store_b64 off, v[122:123], off offset:248
	s_wait_loadcnt 0x0
	ds_store_b64 v1, v[120:121]
.LBB58_305:
	s_wait_xcnt 0x0
	s_or_b32 exec_lo, exec_lo, s0
	s_wait_storecnt_dscnt 0x0
	s_barrier_signal -1
	s_barrier_wait -1
	s_clause 0xe
	scratch_load_b128 v[120:123], off, off offset:256
	scratch_load_b128 v[124:127], off, off offset:272
	;; [unrolled: 1-line block ×13, first 2 shown]
	scratch_load_b64 v[224:225], off, off offset:464
	scratch_load_b64 v[226:227], off, off offset:248
	v_mov_b32_e32 v7, 0
	ds_load_b128 v[172:175], v7 offset:880
	ds_load_b128 v[176:179], v7 offset:896
	;; [unrolled: 1-line block ×13, first 2 shown]
	ds_load_b64 v[228:229], v7 offset:944
	s_mov_b32 s0, exec_lo
	s_wait_dscnt 0xd
	v_dual_mov_b32 v230, v175 :: v_dual_mov_b32 v231, v174
	s_wait_dscnt 0xa
	v_dual_mov_b32 v232, v179 :: v_dual_mov_b32 v237, v186
	v_dual_mov_b32 v233, v178 :: v_dual_mov_b32 v234, v183
	;; [unrolled: 1-line block ×3, first 2 shown]
	s_wait_loadcnt_dscnt 0xe09
	v_dual_mul_f32 v9, v188, v121 :: v_dual_mul_f32 v43, v189, v121
	v_dual_mul_f32 v45, v191, v123 :: v_dual_mul_f32 v11, v190, v123
	s_wait_loadcnt_dscnt 0xd08
	v_mul_f32_e32 v13, v192, v125
	s_wait_loadcnt_dscnt 0xb05
	v_dual_mul_f32 v55, v205, v133 :: v_dual_fma_f32 v43, v188, v120, -v43
	v_dual_fmac_f32 v9, v189, v120 :: v_dual_mul_f32 v57, v207, v135
	v_dual_mul_f32 v47, v193, v125 :: v_dual_mul_f32 v49, v195, v127
	v_dual_fmac_f32 v11, v191, v122 :: v_dual_fma_f32 v45, v190, v122, -v45
	s_delay_alu instid0(VALU_DEP_3) | instskip(SKIP_4) | instid1(VALU_DEP_3)
	v_dual_add_f32 v9, 0, v9 :: v_dual_add_f32 v43, 0, v43
	v_dual_mul_f32 v15, v194, v127 :: v_dual_mul_f32 v17, v196, v129
	s_wait_loadcnt_dscnt 0xa04
	v_dual_mul_f32 v59, v209, v137 :: v_dual_fma_f32 v47, v192, v124, -v47
	v_fmac_f32_e32 v13, v193, v124
	v_dual_add_f32 v9, v9, v11 :: v_dual_fmac_f32 v15, v195, v126
	v_add_f32_e32 v11, v43, v45
	v_dual_mul_f32 v51, v197, v129 :: v_dual_mul_f32 v53, v199, v131
	v_dual_mul_f32 v43, v211, v139 :: v_dual_fma_f32 v45, v194, v126, -v49
	s_delay_alu instid0(VALU_DEP_3) | instskip(SKIP_3) | instid1(VALU_DEP_3)
	v_dual_add_f32 v9, v9, v13 :: v_dual_add_f32 v11, v11, v47
	v_dual_mul_f32 v19, v198, v131 :: v_dual_mul_f32 v21, v204, v133
	s_wait_loadcnt_dscnt 0x903
	v_dual_mul_f32 v13, v213, v141 :: v_dual_fma_f32 v47, v196, v128, -v51
	v_dual_fmac_f32 v17, v197, v128 :: v_dual_add_f32 v11, v11, v45
	s_delay_alu instid0(VALU_DEP_3) | instskip(SKIP_1) | instid1(VALU_DEP_2)
	v_dual_add_f32 v9, v9, v15 :: v_dual_fmac_f32 v19, v199, v130
	v_dual_mul_f32 v15, v215, v143 :: v_dual_fma_f32 v45, v198, v130, -v53
	v_dual_add_f32 v11, v11, v47 :: v_dual_add_f32 v9, v9, v17
	v_dual_mul_f32 v23, v206, v135 :: v_dual_mul_f32 v25, v208, v137
	s_wait_loadcnt_dscnt 0x802
	v_dual_mul_f32 v17, v217, v145 :: v_dual_fma_f32 v47, v204, v132, -v55
	s_delay_alu instid0(VALU_DEP_3) | instskip(NEXT) | instid1(VALU_DEP_3)
	v_dual_fmac_f32 v21, v205, v132 :: v_dual_add_f32 v11, v11, v45
	v_dual_add_f32 v9, v9, v19 :: v_dual_fmac_f32 v23, v207, v134
	v_dual_mul_f32 v19, v219, v147 :: v_dual_fma_f32 v45, v206, v134, -v57
	s_delay_alu instid0(VALU_DEP_2) | instskip(SKIP_3) | instid1(VALU_DEP_3)
	v_dual_add_f32 v11, v11, v47 :: v_dual_add_f32 v9, v9, v21
	v_dual_mul_f32 v27, v210, v139 :: v_dual_mul_f32 v29, v212, v141
	s_wait_loadcnt_dscnt 0x701
	v_dual_mul_f32 v21, v221, v149 :: v_dual_fma_f32 v47, v208, v136, -v59
	v_dual_fmac_f32 v25, v209, v136 :: v_dual_add_f32 v11, v11, v45
	s_delay_alu instid0(VALU_DEP_3) | instskip(SKIP_1) | instid1(VALU_DEP_2)
	v_dual_add_f32 v9, v9, v23 :: v_dual_fmac_f32 v27, v211, v138
	v_dual_mul_f32 v23, v223, v151 :: v_dual_fma_f32 v43, v210, v138, -v43
	v_dual_add_f32 v11, v11, v47 :: v_dual_add_f32 v9, v9, v25
	v_dual_mul_f32 v31, v214, v143 :: v_dual_mul_f32 v33, v216, v145
	s_wait_loadcnt 0x6
	v_dual_mul_f32 v25, v201, v153 :: v_dual_fma_f32 v13, v212, v140, -v13
	s_delay_alu instid0(VALU_DEP_3) | instskip(NEXT) | instid1(VALU_DEP_3)
	v_dual_fmac_f32 v29, v213, v140 :: v_dual_add_f32 v11, v11, v43
	v_dual_add_f32 v9, v9, v27 :: v_dual_fmac_f32 v31, v215, v142
	v_dual_mul_f32 v27, v203, v155 :: v_dual_fma_f32 v15, v214, v142, -v15
	s_delay_alu instid0(VALU_DEP_3) | instskip(NEXT) | instid1(VALU_DEP_3)
	v_dual_add_f32 v11, v11, v13 :: v_dual_fmac_f32 v33, v217, v144
	v_dual_add_f32 v9, v9, v29 :: v_dual_fma_f32 v17, v216, v144, -v17
	v_dual_mul_f32 v35, v218, v147 :: v_dual_mul_f32 v37, v220, v149
	s_wait_loadcnt 0x5
	s_delay_alu instid0(VALU_DEP_3) | instskip(NEXT) | instid1(VALU_DEP_3)
	v_dual_mul_f32 v13, v173, v157 :: v_dual_add_f32 v11, v11, v15
	v_dual_add_f32 v9, v9, v31 :: v_dual_mov_b32 v120, v159
	s_delay_alu instid0(VALU_DEP_3) | instskip(NEXT) | instid1(VALU_DEP_3)
	v_fmac_f32_e32 v35, v219, v146
	v_dual_fma_f32 v15, v218, v146, -v19 :: v_dual_add_f32 v11, v11, v17
	s_delay_alu instid0(VALU_DEP_3) | instskip(SKIP_1) | instid1(VALU_DEP_3)
	v_dual_add_f32 v9, v9, v33 :: v_dual_mul_f32 v39, v222, v151
	v_dual_mul_f32 v41, v200, v153 :: v_dual_fmac_f32 v37, v221, v148
	v_dual_add_f32 v11, v11, v15 :: v_dual_fma_f32 v17, v220, v148, -v21
	s_wait_loadcnt 0x4
	s_delay_alu instid0(VALU_DEP_3) | instskip(SKIP_3) | instid1(VALU_DEP_4)
	v_dual_add_f32 v9, v9, v35 :: v_dual_mov_b32 v124, v163
	v_fma_f32 v15, v222, v150, -v23
	v_fmac_f32_e32 v39, v223, v150
	v_dual_add_f32 v11, v11, v17 :: v_dual_fmac_f32 v41, v201, v152
	v_dual_add_f32 v9, v9, v37 :: v_dual_mul_f32 v239, v202, v155
	v_mul_f32_e32 v241, v172, v157
	s_delay_alu instid0(VALU_DEP_3) | instskip(NEXT) | instid1(VALU_DEP_3)
	v_dual_fma_f32 v17, v200, v152, -v25 :: v_dual_add_f32 v11, v11, v15
	v_dual_fma_f32 v238, v202, v154, -v27 :: v_dual_add_f32 v9, v9, v39
	s_delay_alu instid0(VALU_DEP_4) | instskip(SKIP_1) | instid1(VALU_DEP_4)
	v_fmac_f32_e32 v239, v203, v154
	v_pk_mul_f32 v[120:121], v[230:231], v[120:121] op_sel_hi:[1,0]
	v_dual_add_f32 v128, v11, v17 :: v_dual_fmac_f32 v241, v173, v156
	s_delay_alu instid0(VALU_DEP_4)
	v_add_f32_e32 v129, v9, v41
	v_pk_mul_f32 v[122:123], v[176:177], v[160:161] op_sel:[1,1] op_sel_hi:[0,1]
	s_wait_loadcnt 0x3
	v_dual_mov_b32 v130, v167 :: v_dual_fma_f32 v240, v172, v156, -v13
	v_pk_fma_f32 v[132:133], v[174:175], v[158:159], v[120:121] op_sel_hi:[1,0,1]
	v_pk_add_f32 v[128:129], v[128:129], v[238:239]
	v_pk_fma_f32 v[120:121], v[174:175], v[158:159], v[120:121] neg_lo:[0,0,1] neg_hi:[0,0,1]
	v_pk_fma_f32 v[134:135], v[176:177], v[160:161], v[122:123] op_sel_hi:[1,0,1]
	v_pk_mul_f32 v[124:125], v[232:233], v[124:125] op_sel_hi:[1,0]
	v_mov_b32_e32 v121, v133
	v_pk_add_f32 v[128:129], v[128:129], v[240:241]
	v_pk_fma_f32 v[122:123], v[176:177], v[160:161], v[122:123] neg_lo:[0,0,1] neg_hi:[0,0,1]
	v_pk_mul_f32 v[126:127], v[180:181], v[164:165] op_sel:[1,1] op_sel_hi:[0,1]
	v_mov_b32_e32 v123, v135
	v_pk_fma_f32 v[134:135], v[178:179], v[162:163], v[124:125] op_sel_hi:[1,0,1]
	v_pk_add_f32 v[120:121], v[128:129], v[120:121]
	v_pk_fma_f32 v[124:125], v[178:179], v[162:163], v[124:125] neg_lo:[0,0,1] neg_hi:[0,0,1]
	v_pk_fma_f32 v[128:129], v[180:181], v[164:165], v[126:127] op_sel_hi:[1,0,1]
	v_pk_mul_f32 v[130:131], v[234:235], v[130:131] op_sel_hi:[1,0]
	v_mov_b32_e32 v125, v135
	v_pk_add_f32 v[120:121], v[120:121], v[122:123]
	v_pk_fma_f32 v[126:127], v[180:181], v[164:165], v[126:127] neg_lo:[0,0,1] neg_hi:[0,0,1]
	s_wait_loadcnt 0x2
	v_pk_mul_f32 v[132:133], v[184:185], v[168:169] op_sel:[1,1] op_sel_hi:[0,1]
	v_dual_mov_b32 v122, v171 :: v_dual_mov_b32 v127, v129
	v_pk_fma_f32 v[128:129], v[182:183], v[166:167], v[130:131] op_sel_hi:[1,0,1]
	v_pk_add_f32 v[120:121], v[120:121], v[124:125]
	v_pk_fma_f32 v[130:131], v[182:183], v[166:167], v[130:131] neg_lo:[0,0,1] neg_hi:[0,0,1]
	v_pk_fma_f32 v[124:125], v[184:185], v[168:169], v[132:133] op_sel_hi:[1,0,1]
	v_pk_mul_f32 v[122:123], v[236:237], v[122:123] op_sel_hi:[1,0]
	v_mov_b32_e32 v131, v129
	v_pk_add_f32 v[120:121], v[120:121], v[126:127]
	v_pk_fma_f32 v[126:127], v[184:185], v[168:169], v[132:133] neg_lo:[0,0,1] neg_hi:[0,0,1]
	v_mov_b32_e32 v127, v125
	v_pk_fma_f32 v[124:125], v[186:187], v[170:171], v[122:123] op_sel_hi:[1,0,1]
	s_wait_loadcnt_dscnt 0x100
	v_pk_mul_f32 v[128:129], v[228:229], v[224:225] op_sel:[1,1] op_sel_hi:[0,1]
	v_pk_add_f32 v[120:121], v[120:121], v[130:131]
	v_pk_fma_f32 v[122:123], v[186:187], v[170:171], v[122:123] neg_lo:[0,0,1] neg_hi:[0,0,1]
	v_mov_b32_e32 v123, v125
	s_delay_alu instid0(VALU_DEP_4) | instskip(NEXT) | instid1(VALU_DEP_4)
	v_pk_fma_f32 v[124:125], v[228:229], v[224:225], v[128:129] op_sel_hi:[1,0,1]
	v_pk_add_f32 v[120:121], v[120:121], v[126:127]
	v_pk_fma_f32 v[126:127], v[228:229], v[224:225], v[128:129] neg_lo:[0,0,1] neg_hi:[0,0,1]
	s_delay_alu instid0(VALU_DEP_3) | instskip(NEXT) | instid1(VALU_DEP_3)
	v_mov_b32_e32 v127, v125
	v_pk_add_f32 v[120:121], v[120:121], v[122:123]
	s_delay_alu instid0(VALU_DEP_1) | instskip(SKIP_1) | instid1(VALU_DEP_1)
	v_pk_add_f32 v[120:121], v[120:121], v[126:127]
	s_wait_loadcnt 0x0
	v_pk_add_f32 v[120:121], v[226:227], v[120:121] neg_lo:[0,1] neg_hi:[0,1]
	scratch_store_b64 off, v[120:121], off offset:248
	s_wait_xcnt 0x0
	v_cmpx_lt_u32_e32 30, v0
	s_cbranch_execz .LBB58_307
; %bb.306:
	scratch_load_b64 v[120:121], off, off offset:240
	v_mov_b64_e32 v[122:123], 0
	scratch_store_b64 off, v[122:123], off offset:240
	s_wait_loadcnt 0x0
	ds_store_b64 v1, v[120:121]
.LBB58_307:
	s_wait_xcnt 0x0
	s_or_b32 exec_lo, exec_lo, s0
	s_wait_storecnt_dscnt 0x0
	s_barrier_signal -1
	s_barrier_wait -1
	s_clause 0xe
	scratch_load_b128 v[120:123], off, off offset:248
	scratch_load_b128 v[124:127], off, off offset:264
	;; [unrolled: 1-line block ×14, first 2 shown]
	scratch_load_b64 v[232:233], off, off offset:240
	ds_load_2addr_b64 v[176:179], v7 offset0:111 offset1:112
	ds_load_2addr_b64 v[180:183], v7 offset0:113 offset1:114
	;; [unrolled: 1-line block ×14, first 2 shown]
	s_mov_b32 s0, exec_lo
	s_wait_dscnt 0xd
	v_dual_mov_b32 v234, v179 :: v_dual_mov_b32 v235, v178
	s_wait_dscnt 0xc
	v_dual_mov_b32 v236, v183 :: v_dual_mov_b32 v237, v182
	;; [unrolled: 2-line block ×4, first 2 shown]
	s_wait_loadcnt_dscnt 0xe09
	v_dual_mul_f32 v7, v192, v121 :: v_dual_mul_f32 v9, v194, v123
	v_dual_mul_f32 v43, v193, v121 :: v_dual_mul_f32 v45, v195, v123
	s_wait_loadcnt_dscnt 0xd08
	v_dual_mul_f32 v11, v196, v125 :: v_dual_mul_f32 v13, v198, v127
	s_delay_alu instid0(VALU_DEP_3) | instskip(SKIP_3) | instid1(VALU_DEP_3)
	v_dual_fmac_f32 v7, v193, v120 :: v_dual_fmac_f32 v9, v195, v122
	s_wait_loadcnt_dscnt 0xb06
	v_dual_fma_f32 v43, v192, v120, -v43 :: v_dual_mul_f32 v55, v205, v133
	v_dual_mul_f32 v47, v197, v125 :: v_dual_mul_f32 v49, v199, v127
	v_dual_fma_f32 v45, v194, v122, -v45 :: v_dual_add_f32 v7, 0, v7
	s_delay_alu instid0(VALU_DEP_3) | instskip(SKIP_1) | instid1(VALU_DEP_4)
	v_dual_add_f32 v43, 0, v43 :: v_dual_fmac_f32 v11, v197, v124
	v_dual_mul_f32 v15, v200, v129 :: v_dual_mul_f32 v17, v202, v131
	v_dual_mul_f32 v57, v207, v135 :: v_dual_fma_f32 v47, v196, v124, -v47
	s_delay_alu instid0(VALU_DEP_4) | instskip(NEXT) | instid1(VALU_DEP_3)
	v_add_f32_e32 v7, v7, v9
	v_dual_add_f32 v9, v43, v45 :: v_dual_fmac_f32 v15, v201, v128
	v_dual_mul_f32 v51, v201, v129 :: v_dual_mul_f32 v53, v203, v131
	s_wait_loadcnt_dscnt 0xa05
	v_dual_mul_f32 v43, v209, v137 :: v_dual_fmac_f32 v13, v199, v126
	v_dual_fma_f32 v45, v198, v126, -v49 :: v_dual_add_f32 v7, v7, v11
	s_delay_alu instid0(VALU_DEP_3) | instskip(SKIP_1) | instid1(VALU_DEP_3)
	v_dual_add_f32 v9, v9, v47 :: v_dual_fma_f32 v47, v200, v128, -v51
	v_dual_mul_f32 v19, v204, v133 :: v_dual_mul_f32 v21, v206, v135
	v_add_f32_e32 v7, v7, v13
	s_delay_alu instid0(VALU_DEP_3) | instskip(SKIP_2) | instid1(VALU_DEP_3)
	v_dual_mul_f32 v11, v211, v139 :: v_dual_add_f32 v9, v9, v45
	s_wait_loadcnt_dscnt 0x904
	v_dual_mul_f32 v13, v213, v141 :: v_dual_fmac_f32 v17, v203, v130
	v_dual_fma_f32 v45, v202, v130, -v53 :: v_dual_add_f32 v7, v7, v15
	s_delay_alu instid0(VALU_DEP_3) | instskip(SKIP_1) | instid1(VALU_DEP_3)
	v_dual_add_f32 v9, v9, v47 :: v_dual_fma_f32 v47, v204, v132, -v55
	v_dual_mul_f32 v15, v215, v143 :: v_dual_fmac_f32 v19, v205, v132
	v_add_f32_e32 v7, v7, v17
	s_delay_alu instid0(VALU_DEP_3)
	v_dual_add_f32 v9, v9, v45 :: v_dual_fmac_f32 v21, v207, v134
	v_dual_mul_f32 v23, v208, v137 :: v_dual_mul_f32 v25, v210, v139
	s_wait_loadcnt_dscnt 0x803
	v_dual_fma_f32 v45, v206, v134, -v57 :: v_dual_mul_f32 v17, v217, v145
	v_add_f32_e32 v7, v7, v19
	v_dual_add_f32 v9, v9, v47 :: v_dual_fma_f32 v43, v208, v136, -v43
	v_dual_mul_f32 v19, v219, v147 :: v_dual_fmac_f32 v23, v209, v136
	s_delay_alu instid0(VALU_DEP_3) | instskip(NEXT) | instid1(VALU_DEP_3)
	v_dual_add_f32 v7, v7, v21 :: v_dual_fma_f32 v11, v210, v138, -v11
	v_dual_add_f32 v9, v9, v45 :: v_dual_fmac_f32 v25, v211, v138
	v_dual_mul_f32 v27, v212, v141 :: v_dual_mul_f32 v29, v214, v143
	s_wait_loadcnt_dscnt 0x702
	s_delay_alu instid0(VALU_DEP_3) | instskip(NEXT) | instid1(VALU_DEP_3)
	v_dual_mul_f32 v21, v221, v149 :: v_dual_add_f32 v7, v7, v23
	v_dual_add_f32 v9, v9, v43 :: v_dual_fma_f32 v13, v212, v140, -v13
	s_delay_alu instid0(VALU_DEP_3) | instskip(NEXT) | instid1(VALU_DEP_2)
	v_dual_mul_f32 v23, v223, v151 :: v_dual_fmac_f32 v27, v213, v140
	v_dual_add_f32 v7, v7, v25 :: v_dual_add_f32 v9, v9, v11
	v_dual_mul_f32 v31, v216, v145 :: v_dual_mul_f32 v33, v218, v147
	s_wait_loadcnt_dscnt 0x601
	v_dual_mul_f32 v11, v225, v153 :: v_dual_fmac_f32 v29, v215, v142
	s_delay_alu instid0(VALU_DEP_3) | instskip(SKIP_2) | instid1(VALU_DEP_2)
	v_dual_fma_f32 v15, v214, v142, -v15 :: v_dual_add_f32 v7, v7, v27
	v_dual_add_f32 v9, v9, v13 :: v_dual_mul_f32 v13, v227, v155
	v_dual_fmac_f32 v31, v217, v144 :: v_dual_fma_f32 v17, v216, v144, -v17
	v_dual_add_f32 v7, v7, v29 :: v_dual_add_f32 v9, v9, v15
	v_dual_mul_f32 v35, v220, v149 :: v_dual_mul_f32 v37, v222, v151
	s_wait_loadcnt_dscnt 0x500
	v_dual_mul_f32 v15, v229, v157 :: v_dual_fmac_f32 v33, v219, v146
	s_delay_alu instid0(VALU_DEP_3) | instskip(SKIP_2) | instid1(VALU_DEP_2)
	v_dual_fma_f32 v19, v218, v146, -v19 :: v_dual_add_f32 v7, v7, v31
	v_dual_add_f32 v9, v9, v17 :: v_dual_mul_f32 v17, v231, v159
	v_dual_fmac_f32 v35, v221, v148 :: v_dual_fma_f32 v21, v220, v148, -v21
	v_dual_add_f32 v7, v7, v33 :: v_dual_add_f32 v9, v9, v19
	v_dual_mul_f32 v39, v224, v153 :: v_dual_mul_f32 v41, v226, v155
	v_dual_fmac_f32 v37, v223, v150 :: v_dual_fma_f32 v19, v222, v150, -v23
	s_delay_alu instid0(VALU_DEP_3) | instskip(SKIP_1) | instid1(VALU_DEP_3)
	v_dual_add_f32 v7, v7, v35 :: v_dual_add_f32 v9, v9, v21
	s_wait_loadcnt 0x4
	v_dual_mov_b32 v122, v163 :: v_dual_fmac_f32 v39, v225, v152
	s_delay_alu instid0(VALU_DEP_2) | instskip(NEXT) | instid1(VALU_DEP_3)
	v_dual_fma_f32 v11, v224, v152, -v11 :: v_dual_add_f32 v7, v7, v37
	v_dual_add_f32 v9, v9, v19 :: v_dual_fmac_f32 v41, v227, v154
	v_dual_mul_f32 v243, v228, v157 :: v_dual_mul_f32 v245, v230, v159
	s_delay_alu instid0(VALU_DEP_3) | instskip(SKIP_1) | instid1(VALU_DEP_3)
	v_dual_fma_f32 v13, v226, v154, -v13 :: v_dual_add_f32 v7, v7, v39
	s_wait_loadcnt 0x3
	v_dual_add_f32 v9, v9, v11 :: v_dual_mov_b32 v126, v167
	v_pk_mul_f32 v[120:121], v[176:177], v[160:161] op_sel:[1,1] op_sel_hi:[0,1]
	s_delay_alu instid0(VALU_DEP_3) | instskip(NEXT) | instid1(VALU_DEP_3)
	v_dual_fmac_f32 v243, v229, v156 :: v_dual_add_f32 v129, v7, v41
	v_dual_fma_f32 v242, v228, v156, -v15 :: v_dual_add_f32 v128, v9, v13
	v_fmac_f32_e32 v245, v231, v158
	s_delay_alu instid0(VALU_DEP_4)
	v_pk_fma_f32 v[130:131], v[176:177], v[160:161], v[120:121] op_sel_hi:[1,0,1]
	v_fma_f32 v244, v230, v158, -v17
	v_pk_mul_f32 v[122:123], v[234:235], v[122:123] op_sel_hi:[1,0]
	v_pk_add_f32 v[128:129], v[128:129], v[242:243]
	v_pk_fma_f32 v[120:121], v[176:177], v[160:161], v[120:121] neg_lo:[0,0,1] neg_hi:[0,0,1]
	v_pk_mul_f32 v[124:125], v[180:181], v[164:165] op_sel:[1,1] op_sel_hi:[0,1]
	v_mov_b32_e32 v121, v131
	v_pk_fma_f32 v[130:131], v[178:179], v[162:163], v[122:123] op_sel_hi:[1,0,1]
	v_pk_add_f32 v[128:129], v[128:129], v[244:245]
	v_pk_fma_f32 v[122:123], v[178:179], v[162:163], v[122:123] neg_lo:[0,0,1] neg_hi:[0,0,1]
	v_pk_fma_f32 v[134:135], v[180:181], v[164:165], v[124:125] op_sel_hi:[1,0,1]
	v_pk_mul_f32 v[126:127], v[236:237], v[126:127] op_sel_hi:[1,0]
	v_mov_b32_e32 v123, v131
	v_pk_add_f32 v[120:121], v[128:129], v[120:121]
	s_wait_loadcnt 0x2
	v_pk_mul_f32 v[132:133], v[184:185], v[168:169] op_sel:[1,1] op_sel_hi:[0,1]
	v_mov_b32_e32 v128, v171
	v_pk_fma_f32 v[124:125], v[180:181], v[164:165], v[124:125] neg_lo:[0,0,1] neg_hi:[0,0,1]
	v_pk_fma_f32 v[130:131], v[182:183], v[166:167], v[126:127] op_sel_hi:[1,0,1]
	v_mov_b32_e32 v125, v135
	v_pk_add_f32 v[120:121], v[120:121], v[122:123]
	v_pk_fma_f32 v[122:123], v[184:185], v[168:169], v[132:133] op_sel_hi:[1,0,1]
	v_pk_mul_f32 v[128:129], v[238:239], v[128:129] op_sel_hi:[1,0]
	v_pk_fma_f32 v[126:127], v[182:183], v[166:167], v[126:127] neg_lo:[0,0,1] neg_hi:[0,0,1]
	v_mov_b32_e32 v127, v131
	v_pk_add_f32 v[120:121], v[120:121], v[124:125]
	v_pk_fma_f32 v[130:131], v[184:185], v[168:169], v[132:133] neg_lo:[0,0,1] neg_hi:[0,0,1]
	v_mov_b32_e32 v131, v123
	v_pk_fma_f32 v[122:123], v[186:187], v[170:171], v[128:129] op_sel_hi:[1,0,1]
	s_wait_loadcnt 0x1
	v_pk_mul_f32 v[124:125], v[188:189], v[172:173] op_sel:[1,1] op_sel_hi:[0,1]
	v_pk_add_f32 v[120:121], v[120:121], v[126:127]
	v_mov_b32_e32 v122, v175
	v_pk_fma_f32 v[128:129], v[186:187], v[170:171], v[128:129] neg_lo:[0,0,1] neg_hi:[0,0,1]
	s_delay_alu instid0(VALU_DEP_4)
	v_pk_fma_f32 v[126:127], v[188:189], v[172:173], v[124:125] op_sel_hi:[1,0,1]
	v_mov_b32_e32 v129, v123
	v_pk_add_f32 v[120:121], v[120:121], v[130:131]
	v_pk_mul_f32 v[122:123], v[240:241], v[122:123] op_sel_hi:[1,0]
	v_pk_fma_f32 v[124:125], v[188:189], v[172:173], v[124:125] neg_lo:[0,0,1] neg_hi:[0,0,1]
	v_mov_b32_e32 v125, v127
	s_delay_alu instid0(VALU_DEP_4) | instskip(NEXT) | instid1(VALU_DEP_4)
	v_pk_add_f32 v[120:121], v[120:121], v[128:129]
	v_pk_fma_f32 v[126:127], v[190:191], v[174:175], v[122:123] op_sel_hi:[1,0,1]
	v_pk_fma_f32 v[122:123], v[190:191], v[174:175], v[122:123] neg_lo:[0,0,1] neg_hi:[0,0,1]
	s_delay_alu instid0(VALU_DEP_3) | instskip(NEXT) | instid1(VALU_DEP_3)
	v_pk_add_f32 v[120:121], v[120:121], v[124:125]
	v_mov_b32_e32 v123, v127
	s_delay_alu instid0(VALU_DEP_1) | instskip(SKIP_1) | instid1(VALU_DEP_1)
	v_pk_add_f32 v[120:121], v[120:121], v[122:123]
	s_wait_loadcnt 0x0
	v_pk_add_f32 v[120:121], v[232:233], v[120:121] neg_lo:[0,1] neg_hi:[0,1]
	scratch_store_b64 off, v[120:121], off offset:240
	s_wait_xcnt 0x0
	v_cmpx_lt_u32_e32 29, v0
	s_cbranch_execz .LBB58_309
; %bb.308:
	scratch_load_b64 v[120:121], off, off offset:232
	v_mov_b64_e32 v[122:123], 0
	scratch_store_b64 off, v[122:123], off offset:232
	s_wait_loadcnt 0x0
	ds_store_b64 v1, v[120:121]
.LBB58_309:
	s_wait_xcnt 0x0
	s_or_b32 exec_lo, exec_lo, s0
	s_wait_storecnt_dscnt 0x0
	s_barrier_signal -1
	s_barrier_wait -1
	s_clause 0xf
	scratch_load_b128 v[120:123], off, off offset:240
	scratch_load_b128 v[124:127], off, off offset:256
	scratch_load_b128 v[128:131], off, off offset:272
	scratch_load_b128 v[132:135], off, off offset:288
	scratch_load_b128 v[136:139], off, off offset:304
	scratch_load_b128 v[140:143], off, off offset:320
	scratch_load_b128 v[144:147], off, off offset:336
	scratch_load_b128 v[148:151], off, off offset:352
	scratch_load_b128 v[152:155], off, off offset:368
	scratch_load_b128 v[156:159], off, off offset:384
	scratch_load_b128 v[160:163], off, off offset:400
	scratch_load_b128 v[164:167], off, off offset:416
	scratch_load_b128 v[168:171], off, off offset:432
	scratch_load_b128 v[172:175], off, off offset:448
	scratch_load_b64 v[232:233], off, off offset:464
	scratch_load_b64 v[234:235], off, off offset:232
	v_mov_b32_e32 v7, 0
	ds_load_b128 v[176:179], v7 offset:880
	ds_load_b128 v[180:183], v7 offset:896
	;; [unrolled: 1-line block ×14, first 2 shown]
	ds_load_b64 v[236:237], v7 offset:944
	s_mov_b32 s0, exec_lo
	s_wait_dscnt 0xe
	v_dual_mov_b32 v238, v179 :: v_dual_mov_b32 v239, v178
	s_wait_dscnt 0xb
	v_dual_mov_b32 v240, v183 :: v_dual_mov_b32 v245, v190
	v_dual_mov_b32 v241, v182 :: v_dual_mov_b32 v242, v187
	;; [unrolled: 1-line block ×3, first 2 shown]
	s_wait_loadcnt_dscnt 0xf0a
	v_dual_mul_f32 v9, v192, v121 :: v_dual_mul_f32 v47, v193, v121
	v_dual_mul_f32 v49, v195, v123 :: v_dual_mul_f32 v11, v194, v123
	s_wait_loadcnt_dscnt 0xe09
	v_mul_f32_e32 v13, v196, v125
	s_wait_loadcnt_dscnt 0xc07
	v_dual_mul_f32 v59, v205, v133 :: v_dual_fma_f32 v47, v192, v120, -v47
	v_dual_fmac_f32 v9, v193, v120 :: v_dual_mul_f32 v61, v207, v135
	v_dual_mul_f32 v51, v197, v125 :: v_dual_mul_f32 v53, v199, v127
	v_dual_fmac_f32 v11, v195, v122 :: v_dual_fma_f32 v49, v194, v122, -v49
	s_delay_alu instid0(VALU_DEP_3) | instskip(SKIP_4) | instid1(VALU_DEP_3)
	v_dual_add_f32 v9, 0, v9 :: v_dual_add_f32 v47, 0, v47
	v_dual_mul_f32 v15, v198, v127 :: v_dual_mul_f32 v17, v200, v129
	s_wait_loadcnt_dscnt 0xb06
	v_dual_mul_f32 v63, v209, v137 :: v_dual_fma_f32 v51, v196, v124, -v51
	v_fmac_f32_e32 v13, v197, v124
	v_dual_add_f32 v9, v9, v11 :: v_dual_fmac_f32 v15, v199, v126
	v_add_f32_e32 v11, v47, v49
	v_dual_mul_f32 v55, v201, v129 :: v_dual_mul_f32 v57, v203, v131
	v_dual_mul_f32 v47, v211, v139 :: v_dual_fma_f32 v49, v198, v126, -v53
	s_delay_alu instid0(VALU_DEP_3) | instskip(SKIP_3) | instid1(VALU_DEP_3)
	v_dual_add_f32 v9, v9, v13 :: v_dual_add_f32 v11, v11, v51
	v_dual_mul_f32 v19, v202, v131 :: v_dual_mul_f32 v21, v204, v133
	s_wait_loadcnt_dscnt 0xa05
	v_dual_mul_f32 v13, v213, v141 :: v_dual_fma_f32 v51, v200, v128, -v55
	v_dual_fmac_f32 v17, v201, v128 :: v_dual_add_f32 v11, v11, v49
	s_delay_alu instid0(VALU_DEP_3) | instskip(SKIP_1) | instid1(VALU_DEP_2)
	v_dual_add_f32 v9, v9, v15 :: v_dual_fmac_f32 v19, v203, v130
	v_dual_mul_f32 v15, v215, v143 :: v_dual_fma_f32 v49, v202, v130, -v57
	v_dual_add_f32 v11, v11, v51 :: v_dual_add_f32 v9, v9, v17
	v_dual_mul_f32 v23, v206, v135 :: v_dual_mul_f32 v25, v208, v137
	s_wait_loadcnt_dscnt 0x904
	v_dual_mul_f32 v17, v217, v145 :: v_dual_fma_f32 v51, v204, v132, -v59
	s_delay_alu instid0(VALU_DEP_3) | instskip(NEXT) | instid1(VALU_DEP_3)
	v_dual_fmac_f32 v21, v205, v132 :: v_dual_add_f32 v11, v11, v49
	v_dual_add_f32 v9, v9, v19 :: v_dual_fmac_f32 v23, v207, v134
	v_dual_mul_f32 v19, v219, v147 :: v_dual_fma_f32 v49, v206, v134, -v61
	s_delay_alu instid0(VALU_DEP_2) | instskip(SKIP_3) | instid1(VALU_DEP_3)
	v_dual_add_f32 v11, v11, v51 :: v_dual_add_f32 v9, v9, v21
	v_dual_mul_f32 v27, v210, v139 :: v_dual_mul_f32 v29, v212, v141
	s_wait_loadcnt_dscnt 0x803
	v_dual_mul_f32 v21, v221, v149 :: v_dual_fma_f32 v51, v208, v136, -v63
	v_dual_fmac_f32 v25, v209, v136 :: v_dual_add_f32 v11, v11, v49
	s_delay_alu instid0(VALU_DEP_3) | instskip(SKIP_1) | instid1(VALU_DEP_2)
	v_dual_add_f32 v9, v9, v23 :: v_dual_fmac_f32 v27, v211, v138
	v_dual_mul_f32 v23, v223, v151 :: v_dual_fma_f32 v47, v210, v138, -v47
	v_dual_add_f32 v11, v11, v51 :: v_dual_add_f32 v9, v9, v25
	v_dual_mul_f32 v31, v214, v143 :: v_dual_mul_f32 v33, v216, v145
	s_wait_loadcnt_dscnt 0x702
	v_dual_mul_f32 v25, v225, v153 :: v_dual_fma_f32 v13, v212, v140, -v13
	s_delay_alu instid0(VALU_DEP_3) | instskip(NEXT) | instid1(VALU_DEP_3)
	v_dual_fmac_f32 v29, v213, v140 :: v_dual_add_f32 v11, v11, v47
	v_dual_add_f32 v9, v9, v27 :: v_dual_fmac_f32 v31, v215, v142
	v_dual_mul_f32 v27, v227, v155 :: v_dual_fma_f32 v15, v214, v142, -v15
	s_delay_alu instid0(VALU_DEP_3) | instskip(NEXT) | instid1(VALU_DEP_3)
	v_dual_add_f32 v11, v11, v13 :: v_dual_fmac_f32 v33, v217, v144
	v_dual_add_f32 v9, v9, v29 :: v_dual_fma_f32 v17, v216, v144, -v17
	v_dual_mul_f32 v35, v218, v147 :: v_dual_mul_f32 v37, v220, v149
	s_wait_loadcnt_dscnt 0x601
	s_delay_alu instid0(VALU_DEP_3) | instskip(NEXT) | instid1(VALU_DEP_2)
	v_dual_mul_f32 v13, v229, v157 :: v_dual_add_f32 v11, v11, v15
	v_dual_add_f32 v9, v9, v31 :: v_dual_fmac_f32 v35, v219, v146
	v_dual_mul_f32 v15, v231, v159 :: v_dual_fma_f32 v19, v218, v146, -v19
	s_delay_alu instid0(VALU_DEP_3) | instskip(NEXT) | instid1(VALU_DEP_3)
	v_dual_add_f32 v11, v11, v17 :: v_dual_fmac_f32 v37, v221, v148
	v_dual_add_f32 v9, v9, v33 :: v_dual_fma_f32 v21, v220, v148, -v21
	v_dual_mul_f32 v39, v222, v151 :: v_dual_mul_f32 v41, v224, v153
	s_wait_loadcnt 0x5
	s_delay_alu instid0(VALU_DEP_3) | instskip(NEXT) | instid1(VALU_DEP_3)
	v_dual_mul_f32 v17, v177, v161 :: v_dual_add_f32 v11, v11, v19
	v_dual_add_f32 v9, v9, v35 :: v_dual_mov_b32 v120, v163
	s_delay_alu instid0(VALU_DEP_3) | instskip(NEXT) | instid1(VALU_DEP_3)
	v_fmac_f32_e32 v39, v223, v150
	v_dual_fma_f32 v19, v222, v150, -v23 :: v_dual_add_f32 v11, v11, v21
	s_delay_alu instid0(VALU_DEP_3) | instskip(SKIP_1) | instid1(VALU_DEP_3)
	v_dual_add_f32 v9, v9, v37 :: v_dual_mul_f32 v43, v226, v155
	v_dual_mul_f32 v45, v228, v157 :: v_dual_fmac_f32 v41, v225, v152
	v_dual_add_f32 v11, v11, v19 :: v_dual_fma_f32 v21, v224, v152, -v25
	s_wait_loadcnt 0x4
	s_delay_alu instid0(VALU_DEP_3) | instskip(SKIP_3) | instid1(VALU_DEP_4)
	v_dual_add_f32 v9, v9, v39 :: v_dual_mov_b32 v124, v167
	v_fma_f32 v19, v226, v154, -v27
	v_fmac_f32_e32 v43, v227, v154
	v_dual_add_f32 v11, v11, v21 :: v_dual_fmac_f32 v45, v229, v156
	v_dual_add_f32 v9, v9, v41 :: v_dual_mul_f32 v247, v230, v159
	v_mul_f32_e32 v249, v176, v161
	s_delay_alu instid0(VALU_DEP_3) | instskip(NEXT) | instid1(VALU_DEP_3)
	v_dual_fma_f32 v13, v228, v156, -v13 :: v_dual_add_f32 v11, v11, v19
	v_dual_fma_f32 v246, v230, v158, -v15 :: v_dual_add_f32 v9, v9, v43
	s_delay_alu instid0(VALU_DEP_4) | instskip(SKIP_1) | instid1(VALU_DEP_4)
	v_fmac_f32_e32 v247, v231, v158
	v_pk_mul_f32 v[120:121], v[238:239], v[120:121] op_sel_hi:[1,0]
	v_dual_add_f32 v128, v11, v13 :: v_dual_fmac_f32 v249, v177, v160
	s_delay_alu instid0(VALU_DEP_4)
	v_add_f32_e32 v129, v9, v45
	v_pk_mul_f32 v[122:123], v[180:181], v[164:165] op_sel:[1,1] op_sel_hi:[0,1]
	s_wait_loadcnt 0x3
	v_dual_mov_b32 v130, v171 :: v_dual_fma_f32 v248, v176, v160, -v17
	v_pk_fma_f32 v[132:133], v[178:179], v[162:163], v[120:121] op_sel_hi:[1,0,1]
	v_pk_add_f32 v[128:129], v[128:129], v[246:247]
	v_pk_fma_f32 v[120:121], v[178:179], v[162:163], v[120:121] neg_lo:[0,0,1] neg_hi:[0,0,1]
	v_pk_fma_f32 v[134:135], v[180:181], v[164:165], v[122:123] op_sel_hi:[1,0,1]
	v_pk_mul_f32 v[124:125], v[240:241], v[124:125] op_sel_hi:[1,0]
	v_mov_b32_e32 v121, v133
	v_pk_add_f32 v[128:129], v[128:129], v[248:249]
	v_pk_fma_f32 v[122:123], v[180:181], v[164:165], v[122:123] neg_lo:[0,0,1] neg_hi:[0,0,1]
	v_pk_mul_f32 v[126:127], v[184:185], v[168:169] op_sel:[1,1] op_sel_hi:[0,1]
	v_mov_b32_e32 v123, v135
	v_pk_fma_f32 v[134:135], v[182:183], v[166:167], v[124:125] op_sel_hi:[1,0,1]
	v_pk_add_f32 v[120:121], v[128:129], v[120:121]
	v_pk_fma_f32 v[124:125], v[182:183], v[166:167], v[124:125] neg_lo:[0,0,1] neg_hi:[0,0,1]
	v_pk_fma_f32 v[128:129], v[184:185], v[168:169], v[126:127] op_sel_hi:[1,0,1]
	v_pk_mul_f32 v[130:131], v[242:243], v[130:131] op_sel_hi:[1,0]
	v_mov_b32_e32 v125, v135
	v_pk_add_f32 v[120:121], v[120:121], v[122:123]
	v_pk_fma_f32 v[126:127], v[184:185], v[168:169], v[126:127] neg_lo:[0,0,1] neg_hi:[0,0,1]
	s_wait_loadcnt 0x2
	v_pk_mul_f32 v[132:133], v[188:189], v[172:173] op_sel:[1,1] op_sel_hi:[0,1]
	v_dual_mov_b32 v122, v175 :: v_dual_mov_b32 v127, v129
	v_pk_fma_f32 v[128:129], v[186:187], v[170:171], v[130:131] op_sel_hi:[1,0,1]
	v_pk_add_f32 v[120:121], v[120:121], v[124:125]
	v_pk_fma_f32 v[130:131], v[186:187], v[170:171], v[130:131] neg_lo:[0,0,1] neg_hi:[0,0,1]
	v_pk_fma_f32 v[124:125], v[188:189], v[172:173], v[132:133] op_sel_hi:[1,0,1]
	v_pk_mul_f32 v[122:123], v[244:245], v[122:123] op_sel_hi:[1,0]
	v_mov_b32_e32 v131, v129
	v_pk_add_f32 v[120:121], v[120:121], v[126:127]
	v_pk_fma_f32 v[126:127], v[188:189], v[172:173], v[132:133] neg_lo:[0,0,1] neg_hi:[0,0,1]
	v_mov_b32_e32 v127, v125
	v_pk_fma_f32 v[124:125], v[190:191], v[174:175], v[122:123] op_sel_hi:[1,0,1]
	s_wait_loadcnt_dscnt 0x100
	v_pk_mul_f32 v[128:129], v[236:237], v[232:233] op_sel:[1,1] op_sel_hi:[0,1]
	v_pk_add_f32 v[120:121], v[120:121], v[130:131]
	v_pk_fma_f32 v[122:123], v[190:191], v[174:175], v[122:123] neg_lo:[0,0,1] neg_hi:[0,0,1]
	v_mov_b32_e32 v123, v125
	s_delay_alu instid0(VALU_DEP_4) | instskip(NEXT) | instid1(VALU_DEP_4)
	v_pk_fma_f32 v[124:125], v[236:237], v[232:233], v[128:129] op_sel_hi:[1,0,1]
	v_pk_add_f32 v[120:121], v[120:121], v[126:127]
	v_pk_fma_f32 v[126:127], v[236:237], v[232:233], v[128:129] neg_lo:[0,0,1] neg_hi:[0,0,1]
	s_delay_alu instid0(VALU_DEP_3) | instskip(NEXT) | instid1(VALU_DEP_3)
	v_mov_b32_e32 v127, v125
	v_pk_add_f32 v[120:121], v[120:121], v[122:123]
	s_delay_alu instid0(VALU_DEP_1) | instskip(SKIP_1) | instid1(VALU_DEP_1)
	v_pk_add_f32 v[120:121], v[120:121], v[126:127]
	s_wait_loadcnt 0x0
	v_pk_add_f32 v[120:121], v[234:235], v[120:121] neg_lo:[0,1] neg_hi:[0,1]
	scratch_store_b64 off, v[120:121], off offset:232
	s_wait_xcnt 0x0
	v_cmpx_lt_u32_e32 28, v0
	s_cbranch_execz .LBB58_311
; %bb.310:
	scratch_load_b64 v[120:121], off, off offset:224
	v_mov_b64_e32 v[122:123], 0
	scratch_store_b64 off, v[122:123], off offset:224
	s_wait_loadcnt 0x0
	ds_store_b64 v1, v[120:121]
.LBB58_311:
	s_wait_xcnt 0x0
	s_or_b32 exec_lo, exec_lo, s0
	s_wait_storecnt_dscnt 0x0
	s_barrier_signal -1
	s_barrier_wait -1
	s_clause 0xf
	scratch_load_b128 v[120:123], off, off offset:232
	scratch_load_b128 v[124:127], off, off offset:248
	;; [unrolled: 1-line block ×15, first 2 shown]
	scratch_load_b64 v[240:241], off, off offset:224
	ds_load_2addr_b64 v[180:183], v7 offset0:111 offset1:112
	ds_load_2addr_b64 v[184:187], v7 offset0:113 offset1:114
	;; [unrolled: 1-line block ×15, first 2 shown]
	s_mov_b32 s0, exec_lo
	s_wait_dscnt 0xe
	v_dual_mov_b32 v242, v183 :: v_dual_mov_b32 v243, v182
	s_wait_dscnt 0xd
	v_dual_mov_b32 v244, v187 :: v_dual_mov_b32 v245, v186
	;; [unrolled: 2-line block ×4, first 2 shown]
	s_wait_loadcnt_dscnt 0xf0a
	v_dual_mul_f32 v7, v196, v121 :: v_dual_mul_f32 v9, v198, v123
	v_dual_mul_f32 v47, v197, v121 :: v_dual_mul_f32 v49, v199, v123
	s_wait_loadcnt_dscnt 0xe09
	v_dual_mul_f32 v11, v200, v125 :: v_dual_mul_f32 v13, v202, v127
	s_delay_alu instid0(VALU_DEP_3) | instskip(SKIP_3) | instid1(VALU_DEP_3)
	v_dual_fmac_f32 v7, v197, v120 :: v_dual_fmac_f32 v9, v199, v122
	s_wait_loadcnt_dscnt 0xc06
	v_dual_fma_f32 v47, v196, v120, -v47 :: v_dual_mul_f32 v59, v213, v133
	v_dual_mul_f32 v51, v201, v125 :: v_dual_mul_f32 v53, v203, v127
	v_dual_fma_f32 v49, v198, v122, -v49 :: v_dual_add_f32 v7, 0, v7
	s_delay_alu instid0(VALU_DEP_3) | instskip(SKIP_1) | instid1(VALU_DEP_4)
	v_dual_add_f32 v47, 0, v47 :: v_dual_fmac_f32 v11, v201, v124
	v_dual_mul_f32 v15, v208, v129 :: v_dual_mul_f32 v17, v210, v131
	v_dual_mul_f32 v61, v215, v135 :: v_dual_fma_f32 v51, v200, v124, -v51
	s_delay_alu instid0(VALU_DEP_4) | instskip(NEXT) | instid1(VALU_DEP_3)
	v_add_f32_e32 v7, v7, v9
	v_dual_add_f32 v9, v47, v49 :: v_dual_fmac_f32 v15, v209, v128
	v_dual_mul_f32 v55, v209, v129 :: v_dual_mul_f32 v57, v211, v131
	s_wait_loadcnt_dscnt 0xb05
	v_dual_mul_f32 v47, v217, v137 :: v_dual_fmac_f32 v13, v203, v126
	v_dual_fma_f32 v49, v202, v126, -v53 :: v_dual_add_f32 v7, v7, v11
	s_delay_alu instid0(VALU_DEP_3) | instskip(SKIP_1) | instid1(VALU_DEP_3)
	v_dual_add_f32 v9, v9, v51 :: v_dual_fma_f32 v51, v208, v128, -v55
	v_dual_mul_f32 v19, v212, v133 :: v_dual_mul_f32 v21, v214, v135
	v_add_f32_e32 v7, v7, v13
	s_delay_alu instid0(VALU_DEP_3) | instskip(SKIP_2) | instid1(VALU_DEP_3)
	v_dual_mul_f32 v11, v219, v139 :: v_dual_add_f32 v9, v9, v49
	s_wait_loadcnt_dscnt 0xa04
	v_dual_mul_f32 v13, v221, v141 :: v_dual_fmac_f32 v17, v211, v130
	v_dual_fma_f32 v49, v210, v130, -v57 :: v_dual_add_f32 v7, v7, v15
	s_delay_alu instid0(VALU_DEP_3) | instskip(SKIP_1) | instid1(VALU_DEP_3)
	v_dual_add_f32 v9, v9, v51 :: v_dual_fma_f32 v51, v212, v132, -v59
	v_dual_mul_f32 v15, v223, v143 :: v_dual_fmac_f32 v19, v213, v132
	v_add_f32_e32 v7, v7, v17
	s_delay_alu instid0(VALU_DEP_3)
	v_dual_add_f32 v9, v9, v49 :: v_dual_fmac_f32 v21, v215, v134
	v_dual_mul_f32 v23, v216, v137 :: v_dual_mul_f32 v25, v218, v139
	s_wait_loadcnt_dscnt 0x903
	v_dual_fma_f32 v49, v214, v134, -v61 :: v_dual_mul_f32 v17, v225, v145
	v_add_f32_e32 v7, v7, v19
	v_dual_add_f32 v9, v9, v51 :: v_dual_fma_f32 v47, v216, v136, -v47
	v_dual_mul_f32 v19, v227, v147 :: v_dual_fmac_f32 v23, v217, v136
	s_delay_alu instid0(VALU_DEP_3) | instskip(NEXT) | instid1(VALU_DEP_3)
	v_dual_add_f32 v7, v7, v21 :: v_dual_fma_f32 v11, v218, v138, -v11
	v_dual_add_f32 v9, v9, v49 :: v_dual_fmac_f32 v25, v219, v138
	v_dual_mul_f32 v27, v220, v141 :: v_dual_mul_f32 v29, v222, v143
	s_wait_loadcnt_dscnt 0x802
	s_delay_alu instid0(VALU_DEP_3) | instskip(NEXT) | instid1(VALU_DEP_3)
	v_dual_mul_f32 v21, v229, v149 :: v_dual_add_f32 v7, v7, v23
	v_dual_add_f32 v9, v9, v47 :: v_dual_fma_f32 v13, v220, v140, -v13
	s_delay_alu instid0(VALU_DEP_3) | instskip(NEXT) | instid1(VALU_DEP_2)
	v_dual_mul_f32 v23, v231, v151 :: v_dual_fmac_f32 v27, v221, v140
	v_dual_add_f32 v7, v7, v25 :: v_dual_add_f32 v9, v9, v11
	v_dual_mul_f32 v31, v224, v145 :: v_dual_mul_f32 v33, v226, v147
	s_wait_loadcnt_dscnt 0x701
	v_dual_mul_f32 v11, v233, v153 :: v_dual_fmac_f32 v29, v223, v142
	s_delay_alu instid0(VALU_DEP_3) | instskip(SKIP_2) | instid1(VALU_DEP_2)
	v_dual_fma_f32 v15, v222, v142, -v15 :: v_dual_add_f32 v7, v7, v27
	v_dual_add_f32 v9, v9, v13 :: v_dual_mul_f32 v13, v235, v155
	v_dual_fmac_f32 v31, v225, v144 :: v_dual_fma_f32 v17, v224, v144, -v17
	v_dual_add_f32 v7, v7, v29 :: v_dual_add_f32 v9, v9, v15
	v_dual_mul_f32 v35, v228, v149 :: v_dual_mul_f32 v37, v230, v151
	s_wait_loadcnt_dscnt 0x600
	v_dual_mul_f32 v15, v237, v157 :: v_dual_fmac_f32 v33, v227, v146
	s_delay_alu instid0(VALU_DEP_3) | instskip(SKIP_2) | instid1(VALU_DEP_2)
	v_dual_fma_f32 v19, v226, v146, -v19 :: v_dual_add_f32 v7, v7, v31
	v_dual_add_f32 v9, v9, v17 :: v_dual_mul_f32 v17, v239, v159
	v_dual_fmac_f32 v35, v229, v148 :: v_dual_fma_f32 v21, v228, v148, -v21
	v_dual_add_f32 v7, v7, v33 :: v_dual_add_f32 v9, v9, v19
	v_dual_mul_f32 v39, v232, v153 :: v_dual_mul_f32 v41, v234, v155
	s_wait_loadcnt 0x5
	v_dual_mul_f32 v19, v205, v161 :: v_dual_fmac_f32 v37, v231, v150
	s_delay_alu instid0(VALU_DEP_3) | instskip(SKIP_2) | instid1(VALU_DEP_3)
	v_dual_fma_f32 v23, v230, v150, -v23 :: v_dual_add_f32 v7, v7, v35
	v_dual_add_f32 v9, v9, v21 :: v_dual_mul_f32 v21, v207, v163
	v_fmac_f32_e32 v39, v233, v152
	v_dual_fma_f32 v11, v232, v152, -v11 :: v_dual_add_f32 v7, v7, v37
	s_delay_alu instid0(VALU_DEP_3) | instskip(SKIP_1) | instid1(VALU_DEP_3)
	v_dual_add_f32 v9, v9, v23 :: v_dual_mul_f32 v43, v236, v157
	v_dual_mul_f32 v45, v238, v159 :: v_dual_fmac_f32 v41, v235, v154
	v_dual_fma_f32 v13, v234, v154, -v13 :: v_dual_add_f32 v7, v7, v39
	s_wait_loadcnt 0x4
	s_delay_alu instid0(VALU_DEP_3) | instskip(SKIP_1) | instid1(VALU_DEP_3)
	v_dual_add_f32 v9, v9, v11 :: v_dual_mov_b32 v122, v167
	v_fmac_f32_e32 v43, v237, v156
	v_dual_fma_f32 v11, v236, v156, -v15 :: v_dual_add_f32 v7, v7, v41
	s_delay_alu instid0(VALU_DEP_3) | instskip(SKIP_1) | instid1(VALU_DEP_3)
	v_dual_add_f32 v9, v9, v13 :: v_dual_fmac_f32 v45, v239, v158
	v_dual_mul_f32 v251, v204, v161 :: v_dual_mul_f32 v253, v206, v163
	v_dual_fma_f32 v13, v238, v158, -v17 :: v_dual_add_f32 v7, v7, v43
	s_wait_loadcnt 0x3
	s_delay_alu instid0(VALU_DEP_3) | instskip(SKIP_1) | instid1(VALU_DEP_3)
	v_dual_add_f32 v9, v9, v11 :: v_dual_mov_b32 v126, v171
	v_pk_mul_f32 v[120:121], v[180:181], v[164:165] op_sel:[1,1] op_sel_hi:[0,1]
	v_dual_fmac_f32 v251, v205, v160 :: v_dual_add_f32 v129, v7, v45
	s_delay_alu instid0(VALU_DEP_3) | instskip(SKIP_1) | instid1(VALU_DEP_4)
	v_dual_fma_f32 v250, v204, v160, -v19 :: v_dual_add_f32 v128, v9, v13
	v_fmac_f32_e32 v253, v207, v162
	v_pk_fma_f32 v[130:131], v[180:181], v[164:165], v[120:121] op_sel_hi:[1,0,1]
	v_fma_f32 v252, v206, v162, -v21
	v_pk_mul_f32 v[122:123], v[242:243], v[122:123] op_sel_hi:[1,0]
	v_pk_add_f32 v[128:129], v[128:129], v[250:251]
	v_pk_fma_f32 v[120:121], v[180:181], v[164:165], v[120:121] neg_lo:[0,0,1] neg_hi:[0,0,1]
	v_pk_mul_f32 v[124:125], v[184:185], v[168:169] op_sel:[1,1] op_sel_hi:[0,1]
	v_mov_b32_e32 v121, v131
	v_pk_fma_f32 v[130:131], v[182:183], v[166:167], v[122:123] op_sel_hi:[1,0,1]
	v_pk_add_f32 v[128:129], v[128:129], v[252:253]
	v_pk_fma_f32 v[122:123], v[182:183], v[166:167], v[122:123] neg_lo:[0,0,1] neg_hi:[0,0,1]
	v_pk_fma_f32 v[134:135], v[184:185], v[168:169], v[124:125] op_sel_hi:[1,0,1]
	v_pk_mul_f32 v[126:127], v[244:245], v[126:127] op_sel_hi:[1,0]
	v_mov_b32_e32 v123, v131
	v_pk_add_f32 v[120:121], v[128:129], v[120:121]
	s_wait_loadcnt 0x2
	v_pk_mul_f32 v[132:133], v[188:189], v[172:173] op_sel:[1,1] op_sel_hi:[0,1]
	v_mov_b32_e32 v128, v175
	v_pk_fma_f32 v[124:125], v[184:185], v[168:169], v[124:125] neg_lo:[0,0,1] neg_hi:[0,0,1]
	v_pk_fma_f32 v[130:131], v[186:187], v[170:171], v[126:127] op_sel_hi:[1,0,1]
	v_mov_b32_e32 v125, v135
	v_pk_add_f32 v[120:121], v[120:121], v[122:123]
	v_pk_fma_f32 v[122:123], v[188:189], v[172:173], v[132:133] op_sel_hi:[1,0,1]
	v_pk_mul_f32 v[128:129], v[246:247], v[128:129] op_sel_hi:[1,0]
	v_pk_fma_f32 v[126:127], v[186:187], v[170:171], v[126:127] neg_lo:[0,0,1] neg_hi:[0,0,1]
	v_mov_b32_e32 v127, v131
	v_pk_add_f32 v[120:121], v[120:121], v[124:125]
	v_pk_fma_f32 v[130:131], v[188:189], v[172:173], v[132:133] neg_lo:[0,0,1] neg_hi:[0,0,1]
	v_mov_b32_e32 v131, v123
	v_pk_fma_f32 v[122:123], v[190:191], v[174:175], v[128:129] op_sel_hi:[1,0,1]
	s_wait_loadcnt 0x1
	v_pk_mul_f32 v[124:125], v[192:193], v[176:177] op_sel:[1,1] op_sel_hi:[0,1]
	v_pk_add_f32 v[120:121], v[120:121], v[126:127]
	v_mov_b32_e32 v122, v179
	v_pk_fma_f32 v[128:129], v[190:191], v[174:175], v[128:129] neg_lo:[0,0,1] neg_hi:[0,0,1]
	s_delay_alu instid0(VALU_DEP_4)
	v_pk_fma_f32 v[126:127], v[192:193], v[176:177], v[124:125] op_sel_hi:[1,0,1]
	v_mov_b32_e32 v129, v123
	v_pk_add_f32 v[120:121], v[120:121], v[130:131]
	v_pk_mul_f32 v[122:123], v[248:249], v[122:123] op_sel_hi:[1,0]
	v_pk_fma_f32 v[124:125], v[192:193], v[176:177], v[124:125] neg_lo:[0,0,1] neg_hi:[0,0,1]
	v_mov_b32_e32 v125, v127
	s_delay_alu instid0(VALU_DEP_4) | instskip(NEXT) | instid1(VALU_DEP_4)
	v_pk_add_f32 v[120:121], v[120:121], v[128:129]
	v_pk_fma_f32 v[126:127], v[194:195], v[178:179], v[122:123] op_sel_hi:[1,0,1]
	v_pk_fma_f32 v[122:123], v[194:195], v[178:179], v[122:123] neg_lo:[0,0,1] neg_hi:[0,0,1]
	s_delay_alu instid0(VALU_DEP_3) | instskip(NEXT) | instid1(VALU_DEP_3)
	v_pk_add_f32 v[120:121], v[120:121], v[124:125]
	v_mov_b32_e32 v123, v127
	s_delay_alu instid0(VALU_DEP_1) | instskip(SKIP_1) | instid1(VALU_DEP_1)
	v_pk_add_f32 v[120:121], v[120:121], v[122:123]
	s_wait_loadcnt 0x0
	v_pk_add_f32 v[120:121], v[240:241], v[120:121] neg_lo:[0,1] neg_hi:[0,1]
	scratch_store_b64 off, v[120:121], off offset:224
	s_wait_xcnt 0x0
	v_cmpx_lt_u32_e32 27, v0
	s_cbranch_execz .LBB58_313
; %bb.312:
	scratch_load_b64 v[120:121], off, off offset:216
	v_mov_b64_e32 v[122:123], 0
	scratch_store_b64 off, v[122:123], off offset:216
	s_wait_loadcnt 0x0
	ds_store_b64 v1, v[120:121]
.LBB58_313:
	s_wait_xcnt 0x0
	s_or_b32 exec_lo, exec_lo, s0
	s_wait_storecnt_dscnt 0x0
	s_barrier_signal -1
	s_barrier_wait -1
	s_clause 0x10
	scratch_load_b128 v[120:123], off, off offset:224
	scratch_load_b128 v[124:127], off, off offset:240
	;; [unrolled: 1-line block ×15, first 2 shown]
	scratch_load_b64 v[240:241], off, off offset:464
	scratch_load_b64 v[242:243], off, off offset:216
	v_mov_b32_e32 v7, 0
	ds_load_b128 v[180:183], v7 offset:880
	ds_load_b128 v[184:187], v7 offset:896
	;; [unrolled: 1-line block ×15, first 2 shown]
	ds_load_b64 v[244:245], v7 offset:944
	s_mov_b32 s0, exec_lo
	s_wait_dscnt 0xf
	v_dual_mov_b32 v246, v183 :: v_dual_mov_b32 v247, v182
	s_wait_dscnt 0xc
	v_dual_mov_b32 v248, v187 :: v_dual_mov_b32 v253, v194
	v_dual_mov_b32 v249, v186 :: v_dual_mov_b32 v250, v191
	;; [unrolled: 1-line block ×3, first 2 shown]
	s_wait_loadcnt_dscnt 0x100b
	v_dual_mul_f32 v9, v196, v121 :: v_dual_mul_f32 v11, v198, v123
	s_wait_loadcnt_dscnt 0xf09
	v_dual_mul_f32 v13, v204, v125 :: v_dual_mul_f32 v53, v199, v123
	;; [unrolled: 2-line block ×3, first 2 shown]
	v_dual_mul_f32 v51, v197, v121 :: v_dual_fmac_f32 v9, v197, v120
	s_delay_alu instid0(VALU_DEP_3) | instskip(SKIP_2) | instid1(VALU_DEP_3)
	v_fma_f32 v53, v198, v122, -v53
	v_dual_mul_f32 v15, v206, v127 :: v_dual_mul_f32 v17, v208, v129
	s_wait_loadcnt 0x6
	v_dual_mul_f32 v255, v202, v163 :: v_dual_fma_f32 v51, v196, v120, -v51
	v_dual_fmac_f32 v11, v199, v122 :: v_dual_add_f32 v9, 0, v9
	v_dual_mul_f32 v57, v207, v127 :: v_dual_mul_f32 v59, v209, v129
	s_wait_dscnt 0x6
	s_delay_alu instid0(VALU_DEP_3) | instskip(SKIP_1) | instid1(VALU_DEP_2)
	v_dual_add_f32 v51, 0, v51 :: v_dual_mul_f32 v67, v217, v137
	v_dual_fmac_f32 v13, v205, v124 :: v_dual_fma_f32 v55, v204, v124, -v55
	v_dual_add_f32 v9, v9, v11 :: v_dual_add_f32 v11, v51, v53
	v_dual_mul_f32 v51, v219, v139 :: v_dual_fma_f32 v53, v206, v126, -v57
	s_delay_alu instid0(VALU_DEP_2) | instskip(SKIP_1) | instid1(VALU_DEP_3)
	v_dual_fmac_f32 v15, v207, v126 :: v_dual_add_f32 v9, v9, v13
	s_wait_dscnt 0x5
	v_dual_add_f32 v11, v11, v55 :: v_dual_mul_f32 v13, v221, v141
	v_dual_mul_f32 v19, v210, v131 :: v_dual_mul_f32 v21, v212, v133
	v_dual_mul_f32 v61, v211, v131 :: v_dual_mul_f32 v63, v213, v133
	v_dual_fmac_f32 v17, v209, v128 :: v_dual_fma_f32 v55, v208, v128, -v59
	s_delay_alu instid0(VALU_DEP_4) | instskip(NEXT) | instid1(VALU_DEP_3)
	v_dual_add_f32 v9, v9, v15 :: v_dual_add_f32 v11, v11, v53
	v_dual_mul_f32 v15, v223, v143 :: v_dual_fma_f32 v53, v210, v130, -v61
	s_delay_alu instid0(VALU_DEP_2) | instskip(SKIP_1) | instid1(VALU_DEP_3)
	v_dual_fmac_f32 v19, v211, v130 :: v_dual_add_f32 v9, v9, v17
	s_wait_dscnt 0x4
	v_dual_add_f32 v11, v11, v55 :: v_dual_mul_f32 v17, v225, v145
	v_dual_mul_f32 v23, v214, v135 :: v_dual_mul_f32 v25, v216, v137
	v_dual_fmac_f32 v21, v213, v132 :: v_dual_fma_f32 v55, v212, v132, -v63
	s_delay_alu instid0(VALU_DEP_3) | instskip(SKIP_1) | instid1(VALU_DEP_2)
	v_dual_add_f32 v9, v9, v19 :: v_dual_add_f32 v11, v11, v53
	v_dual_mul_f32 v19, v227, v147 :: v_dual_fma_f32 v53, v214, v134, -v65
	v_dual_fmac_f32 v23, v215, v134 :: v_dual_add_f32 v9, v9, v21
	s_wait_dscnt 0x3
	s_delay_alu instid0(VALU_DEP_3) | instskip(SKIP_2) | instid1(VALU_DEP_3)
	v_dual_add_f32 v11, v11, v55 :: v_dual_mul_f32 v21, v229, v149
	v_dual_mul_f32 v27, v218, v139 :: v_dual_mul_f32 v29, v220, v141
	v_dual_fmac_f32 v25, v217, v136 :: v_dual_fma_f32 v55, v216, v136, -v67
	v_dual_add_f32 v9, v9, v23 :: v_dual_add_f32 v11, v11, v53
	v_dual_mul_f32 v23, v231, v151 :: v_dual_fma_f32 v51, v218, v138, -v51
	s_delay_alu instid0(VALU_DEP_2) | instskip(SKIP_1) | instid1(VALU_DEP_3)
	v_dual_fmac_f32 v27, v219, v138 :: v_dual_add_f32 v9, v9, v25
	s_wait_dscnt 0x2
	v_dual_add_f32 v11, v11, v55 :: v_dual_mul_f32 v25, v233, v153
	v_dual_mul_f32 v31, v222, v143 :: v_dual_mul_f32 v33, v224, v145
	s_delay_alu instid0(VALU_DEP_2) | instskip(SKIP_2) | instid1(VALU_DEP_4)
	v_dual_fmac_f32 v29, v221, v140 :: v_dual_add_f32 v11, v11, v51
	v_dual_fma_f32 v13, v220, v140, -v13 :: v_dual_add_f32 v9, v9, v27
	v_dual_mul_f32 v27, v235, v155 :: v_dual_fma_f32 v15, v222, v142, -v15
	v_fmac_f32_e32 v31, v223, v142
	s_delay_alu instid0(VALU_DEP_3) | instskip(NEXT) | instid1(VALU_DEP_4)
	v_dual_add_f32 v11, v11, v13 :: v_dual_fmac_f32 v33, v225, v144
	v_dual_add_f32 v9, v9, v29 :: v_dual_mul_f32 v35, v226, v147
	v_mul_f32_e32 v37, v228, v149
	s_wait_dscnt 0x1
	v_dual_mul_f32 v13, v237, v157 :: v_dual_fma_f32 v17, v224, v144, -v17
	s_delay_alu instid0(VALU_DEP_3) | instskip(SKIP_1) | instid1(VALU_DEP_2)
	v_dual_add_f32 v9, v9, v31 :: v_dual_fmac_f32 v35, v227, v146
	v_dual_add_f32 v11, v11, v15 :: v_dual_fma_f32 v19, v226, v146, -v19
	v_dual_mul_f32 v15, v239, v159 :: v_dual_add_f32 v9, v9, v33
	v_dual_mul_f32 v39, v230, v151 :: v_dual_mul_f32 v41, v232, v153
	s_delay_alu instid0(VALU_DEP_3) | instskip(SKIP_1) | instid1(VALU_DEP_3)
	v_dual_add_f32 v11, v11, v17 :: v_dual_fmac_f32 v37, v229, v148
	v_dual_mul_f32 v17, v201, v161 :: v_dual_fma_f32 v21, v228, v148, -v21
	v_dual_add_f32 v9, v9, v35 :: v_dual_fmac_f32 v39, v231, v150
	s_delay_alu instid0(VALU_DEP_3) | instskip(NEXT) | instid1(VALU_DEP_2)
	v_dual_add_f32 v11, v11, v19 :: v_dual_fma_f32 v23, v230, v150, -v23
	v_dual_mul_f32 v19, v203, v163 :: v_dual_add_f32 v9, v9, v37
	v_dual_mul_f32 v43, v234, v155 :: v_dual_mul_f32 v45, v236, v157
	s_delay_alu instid0(VALU_DEP_3) | instskip(SKIP_3) | instid1(VALU_DEP_3)
	v_dual_add_f32 v11, v11, v21 :: v_dual_fmac_f32 v41, v233, v152
	s_wait_loadcnt 0x5
	v_dual_mul_f32 v21, v181, v165 :: v_dual_fma_f32 v25, v232, v152, -v25
	v_dual_add_f32 v9, v9, v39 :: v_dual_mov_b32 v120, v167
	v_dual_add_f32 v11, v11, v23 :: v_dual_fma_f32 v23, v234, v154, -v27
	s_delay_alu instid0(VALU_DEP_2) | instskip(SKIP_1) | instid1(VALU_DEP_3)
	v_dual_fmac_f32 v43, v235, v154 :: v_dual_add_f32 v9, v9, v41
	v_dual_mul_f32 v47, v238, v159 :: v_dual_mul_f32 v49, v200, v161
	v_dual_add_f32 v11, v11, v25 :: v_dual_fmac_f32 v45, v237, v156
	s_delay_alu instid0(VALU_DEP_3) | instskip(SKIP_2) | instid1(VALU_DEP_3)
	v_dual_fma_f32 v13, v236, v156, -v13 :: v_dual_add_f32 v9, v9, v43
	s_wait_loadcnt 0x4
	v_mov_b32_e32 v124, v171
	v_dual_add_f32 v11, v11, v23 :: v_dual_fma_f32 v15, v238, v158, -v15
	v_dual_fmac_f32 v47, v239, v158 :: v_dual_fmac_f32 v49, v201, v160
	v_add_f32_e32 v9, v9, v45
	s_delay_alu instid0(VALU_DEP_3)
	v_dual_add_f32 v11, v11, v13 :: v_dual_fma_f32 v13, v200, v160, -v17
	v_pk_mul_f32 v[120:121], v[246:247], v[120:121] op_sel_hi:[1,0]
	s_set_vgpr_msb 64                       ;  msbs: dst=1 src0=0 src1=0 src2=0
	v_dual_mul_f32 v1 /*v257*/, v180, v165 :: v_dual_fma_f32 v0 /*v256*/, v180, v164, -v21
	s_set_vgpr_msb 0                        ;  msbs: dst=0 src0=0 src1=0 src2=0
	v_dual_add_f32 v9, v9, v47 :: v_dual_fmac_f32 v255, v203, v162
	v_dual_add_f32 v11, v11, v15 :: v_dual_fma_f32 v254, v202, v162, -v19
	v_pk_fma_f32 v[132:133], v[182:183], v[166:167], v[120:121] op_sel_hi:[1,0,1]
	s_wait_loadcnt 0x3
	s_delay_alu instid0(VALU_DEP_3) | instskip(NEXT) | instid1(VALU_DEP_3)
	v_dual_add_f32 v129, v9, v49 :: v_dual_mov_b32 v130, v175
	v_add_f32_e32 v128, v11, v13
	v_pk_fma_f32 v[120:121], v[182:183], v[166:167], v[120:121] neg_lo:[0,0,1] neg_hi:[0,0,1]
	v_pk_mul_f32 v[122:123], v[184:185], v[168:169] op_sel:[1,1] op_sel_hi:[0,1]
	s_set_vgpr_msb 64                       ;  msbs: dst=1 src0=0 src1=0 src2=0
	v_fmac_f32_e32 v1 /*v257*/, v181, v164
	s_set_vgpr_msb 0                        ;  msbs: dst=0 src0=0 src1=0 src2=0
	v_mov_b32_e32 v121, v133
	v_pk_add_f32 v[128:129], v[128:129], v[254:255]
	v_pk_mul_f32 v[124:125], v[248:249], v[124:125] op_sel_hi:[1,0]
	v_pk_fma_f32 v[134:135], v[184:185], v[168:169], v[122:123] op_sel_hi:[1,0,1]
	v_pk_fma_f32 v[122:123], v[184:185], v[168:169], v[122:123] neg_lo:[0,0,1] neg_hi:[0,0,1]
	v_pk_mul_f32 v[126:127], v[188:189], v[172:173] op_sel:[1,1] op_sel_hi:[0,1]
	s_set_vgpr_msb 4                        ;  msbs: dst=0 src0=0 src1=1 src2=0
	v_pk_add_f32 v[128:129], v[128:129], v[0:1] /*v[256:257]*/
	s_set_vgpr_msb 0                        ;  msbs: dst=0 src0=0 src1=0 src2=0
	v_pk_mul_f32 v[130:131], v[250:251], v[130:131] op_sel_hi:[1,0]
	v_mov_b32_e32 v123, v135
	v_pk_fma_f32 v[134:135], v[186:187], v[170:171], v[124:125] op_sel_hi:[1,0,1]
	v_pk_fma_f32 v[124:125], v[186:187], v[170:171], v[124:125] neg_lo:[0,0,1] neg_hi:[0,0,1]
	v_pk_add_f32 v[120:121], v[128:129], v[120:121]
	v_pk_fma_f32 v[128:129], v[188:189], v[172:173], v[126:127] op_sel_hi:[1,0,1]
	v_pk_fma_f32 v[126:127], v[188:189], v[172:173], v[126:127] neg_lo:[0,0,1] neg_hi:[0,0,1]
	v_mov_b32_e32 v125, v135
	s_wait_loadcnt 0x2
	v_pk_mul_f32 v[132:133], v[192:193], v[176:177] op_sel:[1,1] op_sel_hi:[0,1]
	v_pk_add_f32 v[120:121], v[120:121], v[122:123]
	v_dual_mov_b32 v122, v179 :: v_dual_mov_b32 v127, v129
	v_pk_fma_f32 v[128:129], v[190:191], v[174:175], v[130:131] op_sel_hi:[1,0,1]
	v_pk_fma_f32 v[130:131], v[190:191], v[174:175], v[130:131] neg_lo:[0,0,1] neg_hi:[0,0,1]
	s_delay_alu instid0(VALU_DEP_4)
	v_pk_add_f32 v[120:121], v[120:121], v[124:125]
	v_pk_fma_f32 v[124:125], v[192:193], v[176:177], v[132:133] op_sel_hi:[1,0,1]
	v_pk_mul_f32 v[122:123], v[252:253], v[122:123] op_sel_hi:[1,0]
	v_mov_b32_e32 v131, v129
	s_wait_loadcnt_dscnt 0x100
	v_pk_mul_f32 v[128:129], v[244:245], v[240:241] op_sel:[1,1] op_sel_hi:[0,1]
	v_pk_add_f32 v[120:121], v[120:121], v[126:127]
	v_pk_fma_f32 v[126:127], v[192:193], v[176:177], v[132:133] neg_lo:[0,0,1] neg_hi:[0,0,1]
	v_mov_b32_e32 v127, v125
	v_pk_fma_f32 v[124:125], v[194:195], v[178:179], v[122:123] op_sel_hi:[1,0,1]
	v_pk_fma_f32 v[122:123], v[194:195], v[178:179], v[122:123] neg_lo:[0,0,1] neg_hi:[0,0,1]
	v_pk_add_f32 v[120:121], v[120:121], v[130:131]
	s_delay_alu instid0(VALU_DEP_3) | instskip(SKIP_1) | instid1(VALU_DEP_3)
	v_mov_b32_e32 v123, v125
	v_pk_fma_f32 v[124:125], v[244:245], v[240:241], v[128:129] op_sel_hi:[1,0,1]
	v_pk_add_f32 v[120:121], v[120:121], v[126:127]
	v_pk_fma_f32 v[126:127], v[244:245], v[240:241], v[128:129] neg_lo:[0,0,1] neg_hi:[0,0,1]
	s_delay_alu instid0(VALU_DEP_3) | instskip(NEXT) | instid1(VALU_DEP_3)
	v_mov_b32_e32 v127, v125
	v_pk_add_f32 v[120:121], v[120:121], v[122:123]
	s_delay_alu instid0(VALU_DEP_1) | instskip(SKIP_1) | instid1(VALU_DEP_1)
	v_pk_add_f32 v[120:121], v[120:121], v[126:127]
	s_wait_loadcnt 0x0
	v_pk_add_f32 v[120:121], v[242:243], v[120:121] neg_lo:[0,1] neg_hi:[0,1]
	scratch_store_b64 off, v[120:121], off offset:216
	s_wait_xcnt 0x0
	v_cmpx_lt_u32_e32 26, v0
	s_cbranch_execz .LBB58_315
; %bb.314:
	scratch_load_b64 v[120:121], off, off offset:208
	v_mov_b64_e32 v[122:123], 0
	scratch_store_b64 off, v[122:123], off offset:208
	s_wait_loadcnt 0x0
	ds_store_b64 v1, v[120:121]
.LBB58_315:
	s_wait_xcnt 0x0
	s_or_b32 exec_lo, exec_lo, s0
	s_wait_storecnt_dscnt 0x0
	s_barrier_signal -1
	s_barrier_wait -1
	s_clause 0x10
	scratch_load_b128 v[120:123], off, off offset:216
	scratch_load_b128 v[124:127], off, off offset:232
	;; [unrolled: 1-line block ×16, first 2 shown]
	scratch_load_b64 v[248:249], off, off offset:208
	ds_load_2addr_b64 v[184:187], v7 offset0:111 offset1:112
	ds_load_2addr_b64 v[188:191], v7 offset0:113 offset1:114
	;; [unrolled: 1-line block ×16, first 2 shown]
	s_mov_b32 s0, exec_lo
	s_wait_dscnt 0xf
	v_dual_mov_b32 v250, v187 :: v_dual_mov_b32 v251, v186
	s_wait_dscnt 0xe
	v_dual_mov_b32 v252, v191 :: v_dual_mov_b32 v253, v190
	;; [unrolled: 2-line block ×3, first 2 shown]
	s_wait_dscnt 0xc
	s_set_vgpr_msb 64                       ;  msbs: dst=1 src0=0 src1=0 src2=0
	v_dual_mov_b32 v0 /*v256*/, v199 :: v_dual_mov_b32 v1 /*v257*/, v198
	s_wait_loadcnt_dscnt 0x100b
	s_set_vgpr_msb 0                        ;  msbs: dst=0 src0=0 src1=0 src2=0
	v_dual_mul_f32 v7, v200, v121 :: v_dual_mul_f32 v9, v202, v123
	v_dual_mul_f32 v51, v201, v121 :: v_dual_mul_f32 v53, v203, v123
	s_wait_loadcnt_dscnt 0xf0a
	v_dual_mul_f32 v11, v204, v125 :: v_dual_mul_f32 v13, v206, v127
	s_delay_alu instid0(VALU_DEP_3) | instskip(SKIP_3) | instid1(VALU_DEP_3)
	v_dual_fmac_f32 v7, v201, v120 :: v_dual_fmac_f32 v9, v203, v122
	s_wait_loadcnt_dscnt 0xd08
	v_dual_fma_f32 v51, v200, v120, -v51 :: v_dual_mul_f32 v63, v213, v133
	v_dual_mul_f32 v55, v205, v125 :: v_dual_mul_f32 v57, v207, v127
	v_dual_fma_f32 v53, v202, v122, -v53 :: v_dual_add_f32 v7, 0, v7
	s_delay_alu instid0(VALU_DEP_3) | instskip(SKIP_1) | instid1(VALU_DEP_4)
	v_dual_add_f32 v51, 0, v51 :: v_dual_fmac_f32 v11, v205, v124
	v_dual_mul_f32 v15, v208, v129 :: v_dual_mul_f32 v17, v210, v131
	v_dual_mul_f32 v65, v215, v135 :: v_dual_fma_f32 v55, v204, v124, -v55
	s_delay_alu instid0(VALU_DEP_4) | instskip(NEXT) | instid1(VALU_DEP_3)
	v_add_f32_e32 v7, v7, v9
	v_dual_add_f32 v9, v51, v53 :: v_dual_fmac_f32 v15, v209, v128
	v_dual_mul_f32 v59, v209, v129 :: v_dual_mul_f32 v61, v211, v131
	s_wait_loadcnt_dscnt 0xc07
	v_dual_mul_f32 v51, v217, v137 :: v_dual_fmac_f32 v13, v207, v126
	v_dual_fma_f32 v53, v206, v126, -v57 :: v_dual_add_f32 v7, v7, v11
	s_delay_alu instid0(VALU_DEP_3) | instskip(SKIP_1) | instid1(VALU_DEP_3)
	v_dual_add_f32 v9, v9, v55 :: v_dual_fma_f32 v55, v208, v128, -v59
	v_dual_mul_f32 v19, v212, v133 :: v_dual_mul_f32 v21, v214, v135
	v_add_f32_e32 v7, v7, v13
	s_delay_alu instid0(VALU_DEP_3) | instskip(SKIP_2) | instid1(VALU_DEP_3)
	v_dual_mul_f32 v11, v219, v139 :: v_dual_add_f32 v9, v9, v53
	s_wait_loadcnt_dscnt 0xb06
	v_dual_mul_f32 v13, v221, v141 :: v_dual_fmac_f32 v17, v211, v130
	v_dual_fma_f32 v53, v210, v130, -v61 :: v_dual_add_f32 v7, v7, v15
	s_delay_alu instid0(VALU_DEP_3) | instskip(SKIP_1) | instid1(VALU_DEP_3)
	v_dual_add_f32 v9, v9, v55 :: v_dual_fma_f32 v55, v212, v132, -v63
	v_dual_mul_f32 v15, v223, v143 :: v_dual_fmac_f32 v19, v213, v132
	v_add_f32_e32 v7, v7, v17
	s_delay_alu instid0(VALU_DEP_3)
	v_dual_add_f32 v9, v9, v53 :: v_dual_fmac_f32 v21, v215, v134
	v_dual_mul_f32 v23, v216, v137 :: v_dual_mul_f32 v25, v218, v139
	s_wait_loadcnt_dscnt 0xa05
	v_dual_fma_f32 v53, v214, v134, -v65 :: v_dual_mul_f32 v17, v225, v145
	v_add_f32_e32 v7, v7, v19
	v_dual_add_f32 v9, v9, v55 :: v_dual_fma_f32 v51, v216, v136, -v51
	v_dual_mul_f32 v19, v227, v147 :: v_dual_fmac_f32 v23, v217, v136
	s_delay_alu instid0(VALU_DEP_3) | instskip(NEXT) | instid1(VALU_DEP_3)
	v_dual_add_f32 v7, v7, v21 :: v_dual_fma_f32 v11, v218, v138, -v11
	v_dual_add_f32 v9, v9, v53 :: v_dual_fmac_f32 v25, v219, v138
	v_dual_mul_f32 v27, v220, v141 :: v_dual_mul_f32 v29, v222, v143
	s_wait_loadcnt_dscnt 0x904
	s_delay_alu instid0(VALU_DEP_3) | instskip(NEXT) | instid1(VALU_DEP_3)
	v_dual_mul_f32 v21, v229, v149 :: v_dual_add_f32 v7, v7, v23
	v_dual_add_f32 v9, v9, v51 :: v_dual_fma_f32 v13, v220, v140, -v13
	s_delay_alu instid0(VALU_DEP_3) | instskip(NEXT) | instid1(VALU_DEP_2)
	v_dual_mul_f32 v23, v231, v151 :: v_dual_fmac_f32 v27, v221, v140
	v_dual_add_f32 v7, v7, v25 :: v_dual_add_f32 v9, v9, v11
	v_dual_mul_f32 v31, v224, v145 :: v_dual_mul_f32 v33, v226, v147
	s_wait_loadcnt_dscnt 0x803
	v_dual_mul_f32 v11, v233, v153 :: v_dual_fmac_f32 v29, v223, v142
	s_delay_alu instid0(VALU_DEP_3) | instskip(SKIP_2) | instid1(VALU_DEP_2)
	v_dual_fma_f32 v15, v222, v142, -v15 :: v_dual_add_f32 v7, v7, v27
	v_dual_add_f32 v9, v9, v13 :: v_dual_mul_f32 v13, v235, v155
	v_dual_fmac_f32 v31, v225, v144 :: v_dual_fma_f32 v17, v224, v144, -v17
	v_dual_add_f32 v7, v7, v29 :: v_dual_add_f32 v9, v9, v15
	v_dual_mul_f32 v35, v228, v149 :: v_dual_mul_f32 v37, v230, v151
	s_wait_loadcnt_dscnt 0x702
	v_dual_mul_f32 v15, v237, v157 :: v_dual_fmac_f32 v33, v227, v146
	s_delay_alu instid0(VALU_DEP_3) | instskip(SKIP_2) | instid1(VALU_DEP_2)
	v_dual_fma_f32 v19, v226, v146, -v19 :: v_dual_add_f32 v7, v7, v31
	v_dual_add_f32 v9, v9, v17 :: v_dual_mul_f32 v17, v239, v159
	v_dual_fmac_f32 v35, v229, v148 :: v_dual_fma_f32 v21, v228, v148, -v21
	v_dual_add_f32 v7, v7, v33 :: v_dual_add_f32 v9, v9, v19
	v_dual_mul_f32 v39, v232, v153 :: v_dual_mul_f32 v41, v234, v155
	s_wait_loadcnt_dscnt 0x601
	v_dual_mul_f32 v19, v241, v161 :: v_dual_fmac_f32 v37, v231, v150
	s_delay_alu instid0(VALU_DEP_3) | instskip(SKIP_2) | instid1(VALU_DEP_3)
	v_dual_fma_f32 v23, v230, v150, -v23 :: v_dual_add_f32 v7, v7, v35
	v_dual_add_f32 v9, v9, v21 :: v_dual_mul_f32 v21, v243, v163
	v_fmac_f32_e32 v39, v233, v152
	v_dual_fma_f32 v11, v232, v152, -v11 :: v_dual_add_f32 v7, v7, v37
	s_delay_alu instid0(VALU_DEP_3)
	v_dual_add_f32 v9, v9, v23 :: v_dual_mul_f32 v43, v236, v157
	s_wait_loadcnt_dscnt 0x500
	v_dual_mul_f32 v45, v238, v159 :: v_dual_mul_f32 v23, v245, v165
	v_fmac_f32_e32 v41, v235, v154
	v_dual_fma_f32 v13, v234, v154, -v13 :: v_dual_add_f32 v7, v7, v39
	v_dual_add_f32 v9, v9, v11 :: v_dual_fma_f32 v15, v236, v156, -v15
	v_dual_mul_f32 v11, v247, v167 :: v_dual_fmac_f32 v43, v237, v156
	s_delay_alu instid0(VALU_DEP_3) | instskip(NEXT) | instid1(VALU_DEP_3)
	v_add_f32_e32 v7, v7, v41
	v_dual_add_f32 v9, v9, v13 :: v_dual_fmac_f32 v45, v239, v158
	v_dual_mul_f32 v47, v240, v161 :: v_dual_mul_f32 v49, v242, v163
	s_delay_alu instid0(VALU_DEP_3) | instskip(SKIP_1) | instid1(VALU_DEP_3)
	v_dual_fma_f32 v13, v238, v158, -v17 :: v_dual_add_f32 v7, v7, v43
	s_wait_loadcnt 0x4
	v_dual_add_f32 v9, v9, v15 :: v_dual_mov_b32 v122, v171
	s_delay_alu instid0(VALU_DEP_3) | instskip(NEXT) | instid1(VALU_DEP_3)
	v_fmac_f32_e32 v47, v241, v160
	v_dual_fma_f32 v15, v240, v160, -v19 :: v_dual_add_f32 v7, v7, v45
	s_delay_alu instid0(VALU_DEP_3)
	v_dual_add_f32 v9, v9, v13 :: v_dual_fmac_f32 v49, v243, v162
	s_set_vgpr_msb 64                       ;  msbs: dst=1 src0=0 src1=0 src2=0
	v_dual_mul_f32 v3 /*v259*/, v244, v165 :: v_dual_mul_f32 v5 /*v261*/, v246, v167
	s_set_vgpr_msb 0                        ;  msbs: dst=0 src0=0 src1=0 src2=0
	v_pk_mul_f32 v[120:121], v[184:185], v[168:169] op_sel:[1,1] op_sel_hi:[0,1]
	v_dual_fma_f32 v13, v242, v162, -v21 :: v_dual_add_f32 v7, v7, v47
	s_wait_loadcnt 0x3
	v_dual_add_f32 v9, v9, v15 :: v_dual_mov_b32 v126, v175
	s_set_vgpr_msb 64                       ;  msbs: dst=1 src0=0 src1=0 src2=0
	v_dual_fmac_f32 v3 /*v259*/, v245, v164 :: v_dual_fmac_f32 v5 /*v261*/, v247, v166
	v_fma_f32 v2 /*v258*/, v244, v164, -v23
	s_set_vgpr_msb 0                        ;  msbs: dst=0 src0=0 src1=0 src2=0
	v_add_f32_e32 v129, v7, v49
	v_pk_fma_f32 v[130:131], v[184:185], v[168:169], v[120:121] op_sel_hi:[1,0,1]
	v_add_f32_e32 v128, v9, v13
	v_pk_fma_f32 v[120:121], v[184:185], v[168:169], v[120:121] neg_lo:[0,0,1] neg_hi:[0,0,1]
	s_set_vgpr_msb 64                       ;  msbs: dst=1 src0=0 src1=0 src2=0
	v_fma_f32 v4 /*v260*/, v246, v166, -v11
	s_set_vgpr_msb 0                        ;  msbs: dst=0 src0=0 src1=0 src2=0
	v_pk_mul_f32 v[122:123], v[250:251], v[122:123] op_sel_hi:[1,0]
	v_mov_b32_e32 v121, v131
	s_set_vgpr_msb 4                        ;  msbs: dst=0 src0=0 src1=1 src2=0
	v_pk_add_f32 v[128:129], v[128:129], v[2:3] /*v[258:259]*/
	s_set_vgpr_msb 0                        ;  msbs: dst=0 src0=0 src1=0 src2=0
	v_pk_mul_f32 v[124:125], v[188:189], v[172:173] op_sel:[1,1] op_sel_hi:[0,1]
	v_pk_mul_f32 v[126:127], v[252:253], v[126:127] op_sel_hi:[1,0]
	v_pk_fma_f32 v[130:131], v[186:187], v[170:171], v[122:123] op_sel_hi:[1,0,1]
	v_pk_fma_f32 v[122:123], v[186:187], v[170:171], v[122:123] neg_lo:[0,0,1] neg_hi:[0,0,1]
	s_set_vgpr_msb 4                        ;  msbs: dst=0 src0=0 src1=1 src2=0
	v_pk_add_f32 v[128:129], v[128:129], v[4:5] /*v[260:261]*/
	s_set_vgpr_msb 0                        ;  msbs: dst=0 src0=0 src1=0 src2=0
	v_pk_fma_f32 v[134:135], v[188:189], v[172:173], v[124:125] op_sel_hi:[1,0,1]
	s_wait_loadcnt 0x2
	v_pk_mul_f32 v[132:133], v[192:193], v[176:177] op_sel:[1,1] op_sel_hi:[0,1]
	v_mov_b32_e32 v123, v131
	v_pk_fma_f32 v[124:125], v[188:189], v[172:173], v[124:125] neg_lo:[0,0,1] neg_hi:[0,0,1]
	v_pk_add_f32 v[120:121], v[128:129], v[120:121]
	v_mov_b32_e32 v128, v179
	v_pk_fma_f32 v[130:131], v[190:191], v[174:175], v[126:127] op_sel_hi:[1,0,1]
	v_mov_b32_e32 v125, v135
	v_pk_fma_f32 v[126:127], v[190:191], v[174:175], v[126:127] neg_lo:[0,0,1] neg_hi:[0,0,1]
	v_pk_add_f32 v[120:121], v[120:121], v[122:123]
	v_pk_fma_f32 v[122:123], v[192:193], v[176:177], v[132:133] op_sel_hi:[1,0,1]
	v_pk_mul_f32 v[128:129], v[254:255], v[128:129] op_sel_hi:[1,0]
	v_mov_b32_e32 v127, v131
	v_pk_fma_f32 v[130:131], v[192:193], v[176:177], v[132:133] neg_lo:[0,0,1] neg_hi:[0,0,1]
	v_pk_add_f32 v[120:121], v[120:121], v[124:125]
	v_mov_b32_e32 v131, v123
	v_pk_fma_f32 v[122:123], v[194:195], v[178:179], v[128:129] op_sel_hi:[1,0,1]
	s_wait_loadcnt 0x1
	v_pk_mul_f32 v[124:125], v[196:197], v[180:181] op_sel:[1,1] op_sel_hi:[0,1]
	v_mov_b32_e32 v122, v183
	v_pk_add_f32 v[120:121], v[120:121], v[126:127]
	v_pk_fma_f32 v[128:129], v[194:195], v[178:179], v[128:129] neg_lo:[0,0,1] neg_hi:[0,0,1]
	s_delay_alu instid0(VALU_DEP_4) | instskip(SKIP_1) | instid1(VALU_DEP_4)
	v_pk_fma_f32 v[126:127], v[196:197], v[180:181], v[124:125] op_sel_hi:[1,0,1]
	v_mov_b32_e32 v129, v123
	v_pk_add_f32 v[120:121], v[120:121], v[130:131]
	s_set_vgpr_msb 1                        ;  msbs: dst=0 src0=1 src1=0 src2=0
	v_pk_mul_f32 v[122:123], v[0:1] /*v[256:257]*/, v[122:123] op_sel_hi:[1,0]
	s_set_vgpr_msb 0                        ;  msbs: dst=0 src0=0 src1=0 src2=0
	v_pk_fma_f32 v[124:125], v[196:197], v[180:181], v[124:125] neg_lo:[0,0,1] neg_hi:[0,0,1]
	v_mov_b32_e32 v125, v127
	v_pk_add_f32 v[120:121], v[120:121], v[128:129]
	v_pk_fma_f32 v[126:127], v[198:199], v[182:183], v[122:123] op_sel_hi:[1,0,1]
	v_pk_fma_f32 v[122:123], v[198:199], v[182:183], v[122:123] neg_lo:[0,0,1] neg_hi:[0,0,1]
	s_delay_alu instid0(VALU_DEP_3) | instskip(NEXT) | instid1(VALU_DEP_3)
	v_pk_add_f32 v[120:121], v[120:121], v[124:125]
	v_mov_b32_e32 v123, v127
	s_delay_alu instid0(VALU_DEP_1) | instskip(SKIP_1) | instid1(VALU_DEP_1)
	v_pk_add_f32 v[120:121], v[120:121], v[122:123]
	s_wait_loadcnt 0x0
	v_pk_add_f32 v[120:121], v[248:249], v[120:121] neg_lo:[0,1] neg_hi:[0,1]
	scratch_store_b64 off, v[120:121], off offset:208
	s_wait_xcnt 0x0
	v_cmpx_lt_u32_e32 25, v0
	s_cbranch_execz .LBB58_317
; %bb.316:
	scratch_load_b64 v[120:121], off, off offset:200
	v_mov_b64_e32 v[122:123], 0
	scratch_store_b64 off, v[122:123], off offset:200
	s_wait_loadcnt 0x0
	ds_store_b64 v1, v[120:121]
.LBB58_317:
	s_wait_xcnt 0x0
	s_or_b32 exec_lo, exec_lo, s0
	s_wait_storecnt_dscnt 0x0
	s_barrier_signal -1
	s_barrier_wait -1
	s_clause 0x11
	scratch_load_b128 v[120:123], off, off offset:208
	scratch_load_b128 v[124:127], off, off offset:224
	;; [unrolled: 1-line block ×16, first 2 shown]
	scratch_load_b64 v[248:249], off, off offset:464
	scratch_load_b64 v[250:251], off, off offset:200
	v_mov_b32_e32 v7, 0
	ds_load_b128 v[184:187], v7 offset:880
	ds_load_b128 v[188:191], v7 offset:896
	;; [unrolled: 1-line block ×16, first 2 shown]
	ds_load_b64 v[252:253], v7 offset:944
	s_mov_b32 s0, exec_lo
	s_wait_dscnt 0x10
	v_dual_mov_b32 v255, v186 :: v_dual_mov_b32 v254, v187
	s_wait_dscnt 0xf
	s_set_vgpr_msb 64                       ;  msbs: dst=1 src0=0 src1=0 src2=0
	v_dual_mov_b32 v0 /*v256*/, v191 :: v_dual_mov_b32 v1 /*v257*/, v190
	s_wait_dscnt 0xe
	v_dual_mov_b32 v2 /*v258*/, v195 :: v_dual_mov_b32 v3 /*v259*/, v194
	s_wait_dscnt 0xd
	v_dual_mov_b32 v4 /*v260*/, v199 :: v_dual_mov_b32 v5 /*v261*/, v198
	s_wait_loadcnt_dscnt 0x110c
	s_set_vgpr_msb 0                        ;  msbs: dst=0 src0=0 src1=0 src2=0
	v_dual_mul_f32 v9, v200, v121 :: v_dual_mul_f32 v55, v201, v121
	v_dual_mul_f32 v57, v203, v123 :: v_dual_mul_f32 v11, v202, v123
	s_wait_loadcnt_dscnt 0x100b
	v_mul_f32_e32 v13, v204, v125
	s_wait_loadcnt_dscnt 0xe09
	v_dual_mul_f32 v67, v213, v133 :: v_dual_fma_f32 v55, v200, v120, -v55
	v_dual_fmac_f32 v9, v201, v120 :: v_dual_mul_f32 v69, v215, v135
	v_dual_mul_f32 v59, v205, v125 :: v_dual_mul_f32 v61, v207, v127
	v_dual_fmac_f32 v11, v203, v122 :: v_dual_fma_f32 v57, v202, v122, -v57
	s_delay_alu instid0(VALU_DEP_3) | instskip(SKIP_4) | instid1(VALU_DEP_3)
	v_dual_add_f32 v9, 0, v9 :: v_dual_add_f32 v55, 0, v55
	v_dual_mul_f32 v15, v206, v127 :: v_dual_mul_f32 v17, v208, v129
	s_wait_loadcnt_dscnt 0xd08
	v_dual_mul_f32 v71, v217, v137 :: v_dual_fma_f32 v59, v204, v124, -v59
	v_fmac_f32_e32 v13, v205, v124
	v_dual_add_f32 v9, v9, v11 :: v_dual_fmac_f32 v15, v207, v126
	v_add_f32_e32 v11, v55, v57
	v_dual_mul_f32 v63, v209, v129 :: v_dual_mul_f32 v65, v211, v131
	v_dual_mul_f32 v55, v219, v139 :: v_dual_fma_f32 v57, v206, v126, -v61
	s_delay_alu instid0(VALU_DEP_3) | instskip(SKIP_3) | instid1(VALU_DEP_3)
	v_dual_add_f32 v9, v9, v13 :: v_dual_add_f32 v11, v11, v59
	v_dual_mul_f32 v19, v210, v131 :: v_dual_mul_f32 v21, v212, v133
	s_wait_loadcnt_dscnt 0xc07
	v_dual_mul_f32 v13, v221, v141 :: v_dual_fma_f32 v59, v208, v128, -v63
	v_dual_fmac_f32 v17, v209, v128 :: v_dual_add_f32 v11, v11, v57
	s_delay_alu instid0(VALU_DEP_3) | instskip(SKIP_1) | instid1(VALU_DEP_2)
	v_dual_add_f32 v9, v9, v15 :: v_dual_fmac_f32 v19, v211, v130
	v_dual_mul_f32 v15, v223, v143 :: v_dual_fma_f32 v57, v210, v130, -v65
	v_dual_add_f32 v11, v11, v59 :: v_dual_add_f32 v9, v9, v17
	v_dual_mul_f32 v23, v214, v135 :: v_dual_mul_f32 v25, v216, v137
	s_wait_loadcnt_dscnt 0xb06
	v_dual_mul_f32 v17, v225, v145 :: v_dual_fma_f32 v59, v212, v132, -v67
	s_delay_alu instid0(VALU_DEP_3) | instskip(NEXT) | instid1(VALU_DEP_3)
	v_dual_fmac_f32 v21, v213, v132 :: v_dual_add_f32 v11, v11, v57
	v_dual_add_f32 v9, v9, v19 :: v_dual_fmac_f32 v23, v215, v134
	v_dual_mul_f32 v19, v227, v147 :: v_dual_fma_f32 v57, v214, v134, -v69
	s_delay_alu instid0(VALU_DEP_2) | instskip(SKIP_3) | instid1(VALU_DEP_3)
	v_dual_add_f32 v11, v11, v59 :: v_dual_add_f32 v9, v9, v21
	v_dual_mul_f32 v27, v218, v139 :: v_dual_mul_f32 v29, v220, v141
	s_wait_loadcnt_dscnt 0xa05
	v_dual_mul_f32 v21, v229, v149 :: v_dual_fma_f32 v59, v216, v136, -v71
	v_dual_fmac_f32 v25, v217, v136 :: v_dual_add_f32 v11, v11, v57
	s_delay_alu instid0(VALU_DEP_3) | instskip(SKIP_1) | instid1(VALU_DEP_2)
	v_dual_add_f32 v9, v9, v23 :: v_dual_fmac_f32 v27, v219, v138
	v_dual_mul_f32 v23, v231, v151 :: v_dual_fma_f32 v55, v218, v138, -v55
	v_dual_add_f32 v11, v11, v59 :: v_dual_add_f32 v9, v9, v25
	v_dual_mul_f32 v31, v222, v143 :: v_dual_mul_f32 v33, v224, v145
	s_wait_loadcnt_dscnt 0x904
	v_dual_mul_f32 v25, v233, v153 :: v_dual_fma_f32 v13, v220, v140, -v13
	s_delay_alu instid0(VALU_DEP_3) | instskip(NEXT) | instid1(VALU_DEP_3)
	v_dual_fmac_f32 v29, v221, v140 :: v_dual_add_f32 v11, v11, v55
	v_dual_add_f32 v9, v9, v27 :: v_dual_fmac_f32 v31, v223, v142
	v_dual_mul_f32 v27, v235, v155 :: v_dual_fma_f32 v15, v222, v142, -v15
	s_delay_alu instid0(VALU_DEP_3) | instskip(NEXT) | instid1(VALU_DEP_3)
	v_dual_add_f32 v11, v11, v13 :: v_dual_fmac_f32 v33, v225, v144
	v_dual_add_f32 v9, v9, v29 :: v_dual_fma_f32 v17, v224, v144, -v17
	v_dual_mul_f32 v35, v226, v147 :: v_dual_mul_f32 v37, v228, v149
	s_wait_loadcnt_dscnt 0x803
	s_delay_alu instid0(VALU_DEP_3) | instskip(NEXT) | instid1(VALU_DEP_2)
	v_dual_mul_f32 v13, v237, v157 :: v_dual_add_f32 v11, v11, v15
	v_dual_add_f32 v9, v9, v31 :: v_dual_fmac_f32 v35, v227, v146
	v_dual_mul_f32 v15, v239, v159 :: v_dual_fma_f32 v19, v226, v146, -v19
	s_delay_alu instid0(VALU_DEP_3) | instskip(NEXT) | instid1(VALU_DEP_3)
	v_dual_add_f32 v11, v11, v17 :: v_dual_fmac_f32 v37, v229, v148
	v_dual_add_f32 v9, v9, v33 :: v_dual_fma_f32 v21, v228, v148, -v21
	v_dual_mul_f32 v39, v230, v151 :: v_dual_mul_f32 v41, v232, v153
	s_wait_loadcnt_dscnt 0x702
	s_delay_alu instid0(VALU_DEP_3) | instskip(NEXT) | instid1(VALU_DEP_2)
	v_dual_mul_f32 v17, v241, v161 :: v_dual_add_f32 v11, v11, v19
	;; [unrolled: 9-line block ×3, first 2 shown]
	v_dual_add_f32 v9, v9, v39 :: v_dual_fmac_f32 v43, v235, v154
	v_dual_mul_f32 v23, v247, v167 :: v_dual_fma_f32 v27, v234, v154, -v27
	s_delay_alu instid0(VALU_DEP_3) | instskip(NEXT) | instid1(VALU_DEP_3)
	v_dual_add_f32 v11, v11, v25 :: v_dual_fmac_f32 v45, v237, v156
	v_dual_add_f32 v9, v9, v41 :: v_dual_fma_f32 v13, v236, v156, -v13
	v_dual_mul_f32 v47, v238, v159 :: v_dual_mul_f32 v49, v240, v161
	s_wait_loadcnt 0x5
	s_delay_alu instid0(VALU_DEP_3) | instskip(NEXT) | instid1(VALU_DEP_3)
	v_dual_mul_f32 v25, v185, v169 :: v_dual_add_f32 v11, v11, v27
	v_dual_add_f32 v9, v9, v43 :: v_dual_mov_b32 v120, v171
	s_delay_alu instid0(VALU_DEP_3) | instskip(NEXT) | instid1(VALU_DEP_3)
	v_fmac_f32_e32 v47, v239, v158
	v_dual_fma_f32 v15, v238, v158, -v15 :: v_dual_add_f32 v11, v11, v13
	s_delay_alu instid0(VALU_DEP_3) | instskip(SKIP_1) | instid1(VALU_DEP_3)
	v_dual_add_f32 v9, v9, v45 :: v_dual_mul_f32 v51, v242, v163
	v_dual_mul_f32 v53, v244, v165 :: v_dual_fmac_f32 v49, v241, v160
	v_dual_add_f32 v11, v11, v15 :: v_dual_fma_f32 v13, v240, v160, -v17
	s_wait_loadcnt 0x4
	s_delay_alu instid0(VALU_DEP_3) | instskip(SKIP_3) | instid1(VALU_DEP_4)
	v_dual_add_f32 v9, v9, v47 :: v_dual_mov_b32 v124, v175
	v_fma_f32 v15, v242, v162, -v19
	v_fmac_f32_e32 v51, v243, v162
	v_dual_add_f32 v11, v11, v13 :: v_dual_fmac_f32 v53, v245, v164
	v_add_f32_e32 v9, v9, v49
	s_set_vgpr_msb 64                       ;  msbs: dst=1 src0=0 src1=0 src2=0
	v_dual_mul_f32 v7 /*v263*/, v246, v167 :: v_dual_mul_f32 v9 /*v265*/, v184, v169
	s_set_vgpr_msb 0                        ;  msbs: dst=0 src0=0 src1=0 src2=0
	v_fma_f32 v13, v244, v164, -v21
	v_pk_mul_f32 v[120:121], v[254:255], v[120:121] op_sel_hi:[1,0]
	v_add_f32_e32 v9, v9, v51
	v_add_f32_e32 v11, v11, v15
	s_set_vgpr_msb 64                       ;  msbs: dst=1 src0=0 src1=0 src2=0
	v_dual_fmac_f32 v7 /*v263*/, v247, v166 :: v_dual_fmac_f32 v9 /*v265*/, v185, v168
	v_dual_fma_f32 v6 /*v262*/, v246, v166, -v23 :: v_dual_fma_f32 v8 /*v264*/, v184, v168, -v25
	s_set_vgpr_msb 0                        ;  msbs: dst=0 src0=0 src1=0 src2=0
	v_add_f32_e32 v129, v9, v53
	v_pk_fma_f32 v[132:133], v[186:187], v[170:171], v[120:121] op_sel_hi:[1,0,1]
	v_add_f32_e32 v128, v11, v13
	v_pk_fma_f32 v[120:121], v[186:187], v[170:171], v[120:121] neg_lo:[0,0,1] neg_hi:[0,0,1]
	v_pk_mul_f32 v[122:123], v[188:189], v[172:173] op_sel:[1,1] op_sel_hi:[0,1]
	s_set_vgpr_msb 1                        ;  msbs: dst=0 src0=1 src1=0 src2=0
	v_pk_mul_f32 v[124:125], v[0:1] /*v[256:257]*/, v[124:125] op_sel_hi:[1,0]
	s_set_vgpr_msb 4                        ;  msbs: dst=0 src0=0 src1=1 src2=0
	v_mov_b32_e32 v121, v133
	v_pk_add_f32 v[128:129], v[128:129], v[6:7] /*v[262:263]*/
	s_wait_loadcnt 0x3
	s_set_vgpr_msb 0                        ;  msbs: dst=0 src0=0 src1=0 src2=0
	v_pk_mul_f32 v[126:127], v[192:193], v[176:177] op_sel:[1,1] op_sel_hi:[0,1]
	v_pk_fma_f32 v[134:135], v[188:189], v[172:173], v[122:123] op_sel_hi:[1,0,1]
	v_pk_fma_f32 v[122:123], v[188:189], v[172:173], v[122:123] neg_lo:[0,0,1] neg_hi:[0,0,1]
	v_mov_b32_e32 v130, v179
	s_set_vgpr_msb 4                        ;  msbs: dst=0 src0=0 src1=1 src2=0
	v_pk_add_f32 v[128:129], v[128:129], v[8:9] /*v[264:265]*/
	s_wait_loadcnt 0x2
	s_set_vgpr_msb 0                        ;  msbs: dst=0 src0=0 src1=0 src2=0
	v_pk_mul_f32 v[132:133], v[196:197], v[180:181] op_sel:[1,1] op_sel_hi:[0,1]
	v_mov_b32_e32 v123, v135
	v_pk_fma_f32 v[134:135], v[190:191], v[174:175], v[124:125] op_sel_hi:[1,0,1]
	v_pk_fma_f32 v[124:125], v[190:191], v[174:175], v[124:125] neg_lo:[0,0,1] neg_hi:[0,0,1]
	v_pk_add_f32 v[120:121], v[128:129], v[120:121]
	v_pk_fma_f32 v[128:129], v[192:193], v[176:177], v[126:127] op_sel_hi:[1,0,1]
	s_set_vgpr_msb 1                        ;  msbs: dst=0 src0=1 src1=0 src2=0
	v_pk_mul_f32 v[130:131], v[2:3] /*v[258:259]*/, v[130:131] op_sel_hi:[1,0]
	s_set_vgpr_msb 0                        ;  msbs: dst=0 src0=0 src1=0 src2=0
	v_mov_b32_e32 v125, v135
	v_pk_fma_f32 v[126:127], v[192:193], v[176:177], v[126:127] neg_lo:[0,0,1] neg_hi:[0,0,1]
	v_pk_add_f32 v[120:121], v[120:121], v[122:123]
	v_dual_mov_b32 v122, v183 :: v_dual_mov_b32 v127, v129
	v_pk_fma_f32 v[128:129], v[194:195], v[178:179], v[130:131] op_sel_hi:[1,0,1]
	v_pk_fma_f32 v[130:131], v[194:195], v[178:179], v[130:131] neg_lo:[0,0,1] neg_hi:[0,0,1]
	s_delay_alu instid0(VALU_DEP_4)
	v_pk_add_f32 v[120:121], v[120:121], v[124:125]
	v_pk_fma_f32 v[124:125], v[196:197], v[180:181], v[132:133] op_sel_hi:[1,0,1]
	s_set_vgpr_msb 1                        ;  msbs: dst=0 src0=1 src1=0 src2=0
	v_pk_mul_f32 v[122:123], v[4:5] /*v[260:261]*/, v[122:123] op_sel_hi:[1,0]
	s_set_vgpr_msb 0                        ;  msbs: dst=0 src0=0 src1=0 src2=0
	v_mov_b32_e32 v131, v129
	s_wait_loadcnt_dscnt 0x100
	v_pk_mul_f32 v[128:129], v[252:253], v[248:249] op_sel:[1,1] op_sel_hi:[0,1]
	v_pk_add_f32 v[120:121], v[120:121], v[126:127]
	v_pk_fma_f32 v[126:127], v[196:197], v[180:181], v[132:133] neg_lo:[0,0,1] neg_hi:[0,0,1]
	v_mov_b32_e32 v127, v125
	v_pk_fma_f32 v[124:125], v[198:199], v[182:183], v[122:123] op_sel_hi:[1,0,1]
	v_pk_fma_f32 v[122:123], v[198:199], v[182:183], v[122:123] neg_lo:[0,0,1] neg_hi:[0,0,1]
	v_pk_add_f32 v[120:121], v[120:121], v[130:131]
	s_delay_alu instid0(VALU_DEP_3) | instskip(SKIP_1) | instid1(VALU_DEP_3)
	v_mov_b32_e32 v123, v125
	v_pk_fma_f32 v[124:125], v[252:253], v[248:249], v[128:129] op_sel_hi:[1,0,1]
	v_pk_add_f32 v[120:121], v[120:121], v[126:127]
	v_pk_fma_f32 v[126:127], v[252:253], v[248:249], v[128:129] neg_lo:[0,0,1] neg_hi:[0,0,1]
	s_delay_alu instid0(VALU_DEP_3) | instskip(NEXT) | instid1(VALU_DEP_3)
	v_mov_b32_e32 v127, v125
	v_pk_add_f32 v[120:121], v[120:121], v[122:123]
	s_delay_alu instid0(VALU_DEP_1) | instskip(SKIP_1) | instid1(VALU_DEP_1)
	v_pk_add_f32 v[120:121], v[120:121], v[126:127]
	s_wait_loadcnt 0x0
	v_pk_add_f32 v[120:121], v[250:251], v[120:121] neg_lo:[0,1] neg_hi:[0,1]
	scratch_store_b64 off, v[120:121], off offset:200
	s_wait_xcnt 0x0
	v_cmpx_lt_u32_e32 24, v0
	s_cbranch_execz .LBB58_319
; %bb.318:
	scratch_load_b64 v[120:121], off, off offset:192
	v_mov_b64_e32 v[122:123], 0
	scratch_store_b64 off, v[122:123], off offset:192
	s_wait_loadcnt 0x0
	ds_store_b64 v1, v[120:121]
.LBB58_319:
	s_wait_xcnt 0x0
	s_or_b32 exec_lo, exec_lo, s0
	s_wait_storecnt_dscnt 0x0
	s_barrier_signal -1
	s_barrier_wait -1
	s_clause 0x12
	scratch_load_b128 v[120:123], off, off offset:200
	scratch_load_b128 v[124:127], off, off offset:216
	;; [unrolled: 1-line block ×17, first 2 shown]
	s_set_vgpr_msb 64                       ;  msbs: dst=1 src0=0 src1=0 src2=0
	scratch_load_b64 v[0:1] /*v[256:257]*/, off, off offset:192
	s_set_vgpr_msb 0                        ;  msbs: dst=0 src0=0 src1=0 src2=0
	ds_load_2addr_b64 v[188:191], v7 offset0:111 offset1:112
	ds_load_2addr_b64 v[192:195], v7 offset0:113 offset1:114
	;; [unrolled: 1-line block ×17, first 2 shown]
	s_mov_b32 s0, exec_lo
	s_wait_dscnt 0x10
	s_set_vgpr_msb 64                       ;  msbs: dst=1 src0=0 src1=0 src2=0
	v_dual_mov_b32 v2 /*v258*/, v191 :: v_dual_mov_b32 v3 /*v259*/, v190
	s_wait_dscnt 0xf
	v_dual_mov_b32 v4 /*v260*/, v195 :: v_dual_mov_b32 v5 /*v261*/, v194
	s_wait_dscnt 0xe
	;; [unrolled: 2-line block ×3, first 2 shown]
	v_dual_mov_b32 v8 /*v264*/, v203 :: v_dual_mov_b32 v9 /*v265*/, v202
	s_wait_loadcnt_dscnt 0x110b
	s_set_vgpr_msb 0                        ;  msbs: dst=0 src0=0 src1=0 src2=0
	v_dual_mul_f32 v7, v208, v121 :: v_dual_mul_f32 v9, v210, v123
	v_dual_mul_f32 v55, v209, v121 :: v_dual_mul_f32 v57, v211, v123
	s_wait_loadcnt_dscnt 0x100a
	v_dual_mul_f32 v11, v212, v125 :: v_dual_mul_f32 v13, v214, v127
	s_delay_alu instid0(VALU_DEP_3) | instskip(SKIP_3) | instid1(VALU_DEP_3)
	v_dual_fmac_f32 v7, v209, v120 :: v_dual_fmac_f32 v9, v211, v122
	s_wait_loadcnt_dscnt 0xe08
	v_dual_fma_f32 v55, v208, v120, -v55 :: v_dual_mul_f32 v67, v221, v133
	v_dual_mul_f32 v59, v213, v125 :: v_dual_mul_f32 v61, v215, v127
	v_dual_fma_f32 v57, v210, v122, -v57 :: v_dual_add_f32 v7, 0, v7
	s_delay_alu instid0(VALU_DEP_3) | instskip(SKIP_1) | instid1(VALU_DEP_4)
	v_dual_add_f32 v55, 0, v55 :: v_dual_fmac_f32 v11, v213, v124
	v_dual_mul_f32 v15, v216, v129 :: v_dual_mul_f32 v17, v218, v131
	v_dual_mul_f32 v69, v223, v135 :: v_dual_fma_f32 v59, v212, v124, -v59
	s_delay_alu instid0(VALU_DEP_4) | instskip(NEXT) | instid1(VALU_DEP_3)
	v_add_f32_e32 v7, v7, v9
	v_dual_add_f32 v9, v55, v57 :: v_dual_fmac_f32 v15, v217, v128
	v_dual_mul_f32 v63, v217, v129 :: v_dual_mul_f32 v65, v219, v131
	s_wait_loadcnt_dscnt 0xd07
	v_dual_mul_f32 v55, v225, v137 :: v_dual_fmac_f32 v13, v215, v126
	v_dual_fma_f32 v57, v214, v126, -v61 :: v_dual_add_f32 v7, v7, v11
	s_delay_alu instid0(VALU_DEP_3) | instskip(SKIP_1) | instid1(VALU_DEP_3)
	v_dual_add_f32 v9, v9, v59 :: v_dual_fma_f32 v59, v216, v128, -v63
	v_dual_mul_f32 v19, v220, v133 :: v_dual_mul_f32 v21, v222, v135
	v_add_f32_e32 v7, v7, v13
	s_delay_alu instid0(VALU_DEP_3) | instskip(SKIP_2) | instid1(VALU_DEP_3)
	v_dual_mul_f32 v11, v227, v139 :: v_dual_add_f32 v9, v9, v57
	s_wait_loadcnt_dscnt 0xc06
	v_dual_mul_f32 v13, v229, v141 :: v_dual_fmac_f32 v17, v219, v130
	v_dual_fma_f32 v57, v218, v130, -v65 :: v_dual_add_f32 v7, v7, v15
	s_delay_alu instid0(VALU_DEP_3) | instskip(SKIP_1) | instid1(VALU_DEP_3)
	v_dual_add_f32 v9, v9, v59 :: v_dual_fma_f32 v59, v220, v132, -v67
	v_dual_mul_f32 v15, v231, v143 :: v_dual_fmac_f32 v19, v221, v132
	v_add_f32_e32 v7, v7, v17
	s_delay_alu instid0(VALU_DEP_3)
	v_dual_add_f32 v9, v9, v57 :: v_dual_fmac_f32 v21, v223, v134
	v_dual_mul_f32 v23, v224, v137 :: v_dual_mul_f32 v25, v226, v139
	s_wait_loadcnt_dscnt 0xb05
	v_dual_fma_f32 v57, v222, v134, -v69 :: v_dual_mul_f32 v17, v233, v145
	v_add_f32_e32 v7, v7, v19
	v_dual_add_f32 v9, v9, v59 :: v_dual_fma_f32 v55, v224, v136, -v55
	v_dual_mul_f32 v19, v235, v147 :: v_dual_fmac_f32 v23, v225, v136
	s_delay_alu instid0(VALU_DEP_3) | instskip(NEXT) | instid1(VALU_DEP_3)
	v_dual_add_f32 v7, v7, v21 :: v_dual_fma_f32 v11, v226, v138, -v11
	v_dual_add_f32 v9, v9, v57 :: v_dual_fmac_f32 v25, v227, v138
	v_dual_mul_f32 v27, v228, v141 :: v_dual_mul_f32 v29, v230, v143
	s_wait_loadcnt_dscnt 0xa04
	s_delay_alu instid0(VALU_DEP_3) | instskip(NEXT) | instid1(VALU_DEP_3)
	v_dual_mul_f32 v21, v237, v149 :: v_dual_add_f32 v7, v7, v23
	v_dual_add_f32 v9, v9, v55 :: v_dual_fma_f32 v13, v228, v140, -v13
	s_delay_alu instid0(VALU_DEP_3) | instskip(NEXT) | instid1(VALU_DEP_2)
	v_dual_mul_f32 v23, v239, v151 :: v_dual_fmac_f32 v27, v229, v140
	v_dual_add_f32 v7, v7, v25 :: v_dual_add_f32 v9, v9, v11
	v_dual_mul_f32 v31, v232, v145 :: v_dual_mul_f32 v33, v234, v147
	s_wait_loadcnt_dscnt 0x903
	v_dual_mul_f32 v11, v241, v153 :: v_dual_fmac_f32 v29, v231, v142
	s_delay_alu instid0(VALU_DEP_3) | instskip(SKIP_2) | instid1(VALU_DEP_2)
	v_dual_fma_f32 v15, v230, v142, -v15 :: v_dual_add_f32 v7, v7, v27
	v_dual_add_f32 v9, v9, v13 :: v_dual_mul_f32 v13, v243, v155
	v_dual_fmac_f32 v31, v233, v144 :: v_dual_fma_f32 v17, v232, v144, -v17
	v_dual_add_f32 v7, v7, v29 :: v_dual_add_f32 v9, v9, v15
	v_dual_mul_f32 v35, v236, v149 :: v_dual_mul_f32 v37, v238, v151
	s_wait_loadcnt_dscnt 0x802
	v_dual_mul_f32 v15, v245, v157 :: v_dual_fmac_f32 v33, v235, v146
	s_delay_alu instid0(VALU_DEP_3) | instskip(SKIP_2) | instid1(VALU_DEP_2)
	v_dual_fma_f32 v19, v234, v146, -v19 :: v_dual_add_f32 v7, v7, v31
	v_dual_add_f32 v9, v9, v17 :: v_dual_mul_f32 v17, v247, v159
	v_dual_fmac_f32 v35, v237, v148 :: v_dual_fma_f32 v21, v236, v148, -v21
	v_dual_add_f32 v7, v7, v33 :: v_dual_add_f32 v9, v9, v19
	v_dual_mul_f32 v39, v240, v153 :: v_dual_mul_f32 v41, v242, v155
	s_wait_loadcnt_dscnt 0x701
	v_dual_mul_f32 v19, v249, v161 :: v_dual_fmac_f32 v37, v239, v150
	s_delay_alu instid0(VALU_DEP_3) | instskip(SKIP_2) | instid1(VALU_DEP_3)
	v_dual_fma_f32 v23, v238, v150, -v23 :: v_dual_add_f32 v7, v7, v35
	v_dual_add_f32 v9, v9, v21 :: v_dual_mul_f32 v21, v251, v163
	v_fmac_f32_e32 v39, v241, v152
	v_dual_fma_f32 v11, v240, v152, -v11 :: v_dual_add_f32 v7, v7, v37
	s_delay_alu instid0(VALU_DEP_3)
	v_dual_add_f32 v9, v9, v23 :: v_dual_mul_f32 v43, v244, v157
	s_wait_loadcnt_dscnt 0x600
	v_dual_mul_f32 v45, v246, v159 :: v_dual_mul_f32 v23, v253, v165
	v_fmac_f32_e32 v41, v243, v154
	v_dual_fma_f32 v13, v242, v154, -v13 :: v_dual_add_f32 v7, v7, v39
	v_dual_add_f32 v9, v9, v11 :: v_dual_fma_f32 v15, v244, v156, -v15
	v_dual_mul_f32 v11, v255, v167 :: v_dual_fmac_f32 v43, v245, v156
	s_delay_alu instid0(VALU_DEP_3) | instskip(NEXT) | instid1(VALU_DEP_3)
	v_dual_add_f32 v7, v7, v41 :: v_dual_fma_f32 v17, v246, v158, -v17
	v_dual_add_f32 v9, v9, v13 :: v_dual_fmac_f32 v45, v247, v158
	v_dual_mul_f32 v47, v248, v161 :: v_dual_mul_f32 v49, v250, v163
	s_wait_loadcnt 0x5
	s_delay_alu instid0(VALU_DEP_3) | instskip(NEXT) | instid1(VALU_DEP_3)
	v_dual_mul_f32 v13, v205, v169 :: v_dual_add_f32 v7, v7, v43
	v_dual_add_f32 v9, v9, v15 :: v_dual_fma_f32 v19, v248, v160, -v19
	s_delay_alu instid0(VALU_DEP_3) | instskip(NEXT) | instid1(VALU_DEP_3)
	v_dual_mul_f32 v15, v207, v171 :: v_dual_fmac_f32 v47, v249, v160
	v_add_f32_e32 v7, v7, v45
	s_delay_alu instid0(VALU_DEP_3) | instskip(SKIP_1) | instid1(VALU_DEP_3)
	v_dual_add_f32 v9, v9, v17 :: v_dual_fmac_f32 v49, v251, v162
	v_dual_mul_f32 v51, v252, v165 :: v_dual_mul_f32 v53, v254, v167
	v_dual_fma_f32 v17, v250, v162, -v21 :: v_dual_add_f32 v7, v7, v47
	s_wait_loadcnt 0x4
	s_delay_alu instid0(VALU_DEP_3) | instskip(NEXT) | instid1(VALU_DEP_3)
	v_dual_add_f32 v9, v9, v19 :: v_dual_mov_b32 v122, v175
	v_fmac_f32_e32 v51, v253, v164
	s_delay_alu instid0(VALU_DEP_3) | instskip(NEXT) | instid1(VALU_DEP_3)
	v_dual_fma_f32 v19, v252, v164, -v23 :: v_dual_add_f32 v7, v7, v49
	v_dual_add_f32 v9, v9, v17 :: v_dual_fmac_f32 v53, v255, v166
	s_set_vgpr_msb 64                       ;  msbs: dst=1 src0=0 src1=0 src2=0
	v_dual_mul_f32 v11 /*v267*/, v204, v169 :: v_dual_mul_f32 v13 /*v269*/, v206, v171
	s_set_vgpr_msb 0                        ;  msbs: dst=0 src0=0 src1=0 src2=0
	v_dual_fma_f32 v11, v254, v166, -v11 :: v_dual_add_f32 v7, v7, v51
	s_wait_loadcnt 0x3
	v_dual_add_f32 v9, v9, v19 :: v_dual_mov_b32 v126, v179
	v_pk_mul_f32 v[120:121], v[188:189], v[172:173] op_sel:[1,1] op_sel_hi:[0,1]
	s_set_vgpr_msb 64                       ;  msbs: dst=1 src0=0 src1=0 src2=0
	v_dual_fmac_f32 v11 /*v267*/, v205, v168 :: v_dual_fmac_f32 v13 /*v269*/, v207, v170
	v_dual_fma_f32 v10 /*v266*/, v204, v168, -v13 :: v_dual_fma_f32 v12 /*v268*/, v206, v170, -v15
	s_set_vgpr_msb 0                        ;  msbs: dst=0 src0=0 src1=0 src2=0
	v_dual_add_f32 v129, v7, v53 :: v_dual_add_f32 v128, v9, v11
	v_pk_fma_f32 v[130:131], v[188:189], v[172:173], v[120:121] op_sel_hi:[1,0,1]
	s_set_vgpr_msb 1                        ;  msbs: dst=0 src0=1 src1=0 src2=0
	v_pk_mul_f32 v[122:123], v[2:3] /*v[258:259]*/, v[122:123] op_sel_hi:[1,0]
	s_set_vgpr_msb 0                        ;  msbs: dst=0 src0=0 src1=0 src2=0
	v_pk_fma_f32 v[120:121], v[188:189], v[172:173], v[120:121] neg_lo:[0,0,1] neg_hi:[0,0,1]
	v_pk_mul_f32 v[124:125], v[192:193], v[176:177] op_sel:[1,1] op_sel_hi:[0,1]
	s_set_vgpr_msb 4                        ;  msbs: dst=0 src0=0 src1=1 src2=0
	v_pk_add_f32 v[128:129], v[128:129], v[10:11] /*v[266:267]*/
	v_mov_b32_e32 v121, v131
	s_set_vgpr_msb 0                        ;  msbs: dst=0 src0=0 src1=0 src2=0
	v_pk_fma_f32 v[130:131], v[190:191], v[174:175], v[122:123] op_sel_hi:[1,0,1]
	v_pk_fma_f32 v[122:123], v[190:191], v[174:175], v[122:123] neg_lo:[0,0,1] neg_hi:[0,0,1]
	v_pk_fma_f32 v[134:135], v[192:193], v[176:177], v[124:125] op_sel_hi:[1,0,1]
	s_set_vgpr_msb 4                        ;  msbs: dst=0 src0=0 src1=1 src2=0
	v_pk_add_f32 v[128:129], v[128:129], v[12:13] /*v[268:269]*/
	s_set_vgpr_msb 1                        ;  msbs: dst=0 src0=1 src1=0 src2=0
	v_pk_mul_f32 v[126:127], v[4:5] /*v[260:261]*/, v[126:127] op_sel_hi:[1,0]
	s_set_vgpr_msb 0                        ;  msbs: dst=0 src0=0 src1=0 src2=0
	v_mov_b32_e32 v123, v131
	s_wait_loadcnt 0x2
	v_pk_mul_f32 v[132:133], v[196:197], v[180:181] op_sel:[1,1] op_sel_hi:[0,1]
	v_pk_fma_f32 v[124:125], v[192:193], v[176:177], v[124:125] neg_lo:[0,0,1] neg_hi:[0,0,1]
	v_pk_add_f32 v[120:121], v[128:129], v[120:121]
	v_dual_mov_b32 v128, v183 :: v_dual_mov_b32 v125, v135
	v_pk_fma_f32 v[130:131], v[194:195], v[178:179], v[126:127] op_sel_hi:[1,0,1]
	v_pk_fma_f32 v[126:127], v[194:195], v[178:179], v[126:127] neg_lo:[0,0,1] neg_hi:[0,0,1]
	s_delay_alu instid0(VALU_DEP_4)
	v_pk_add_f32 v[120:121], v[120:121], v[122:123]
	v_pk_fma_f32 v[122:123], v[196:197], v[180:181], v[132:133] op_sel_hi:[1,0,1]
	s_set_vgpr_msb 1                        ;  msbs: dst=0 src0=1 src1=0 src2=0
	v_pk_mul_f32 v[128:129], v[6:7] /*v[262:263]*/, v[128:129] op_sel_hi:[1,0]
	s_set_vgpr_msb 0                        ;  msbs: dst=0 src0=0 src1=0 src2=0
	v_mov_b32_e32 v127, v131
	v_pk_fma_f32 v[130:131], v[196:197], v[180:181], v[132:133] neg_lo:[0,0,1] neg_hi:[0,0,1]
	v_pk_add_f32 v[120:121], v[120:121], v[124:125]
	v_mov_b32_e32 v131, v123
	v_pk_fma_f32 v[122:123], v[198:199], v[182:183], v[128:129] op_sel_hi:[1,0,1]
	s_wait_loadcnt 0x1
	v_pk_mul_f32 v[124:125], v[200:201], v[184:185] op_sel:[1,1] op_sel_hi:[0,1]
	v_mov_b32_e32 v122, v187
	v_pk_add_f32 v[120:121], v[120:121], v[126:127]
	v_pk_fma_f32 v[128:129], v[198:199], v[182:183], v[128:129] neg_lo:[0,0,1] neg_hi:[0,0,1]
	v_mov_b32_e32 v129, v123
	v_pk_fma_f32 v[126:127], v[200:201], v[184:185], v[124:125] op_sel_hi:[1,0,1]
	s_set_vgpr_msb 1                        ;  msbs: dst=0 src0=1 src1=0 src2=0
	v_pk_mul_f32 v[122:123], v[8:9] /*v[264:265]*/, v[122:123] op_sel_hi:[1,0]
	s_set_vgpr_msb 0                        ;  msbs: dst=0 src0=0 src1=0 src2=0
	v_pk_add_f32 v[120:121], v[120:121], v[130:131]
	v_pk_fma_f32 v[124:125], v[200:201], v[184:185], v[124:125] neg_lo:[0,0,1] neg_hi:[0,0,1]
	v_mov_b32_e32 v125, v127
	v_pk_fma_f32 v[126:127], v[202:203], v[186:187], v[122:123] op_sel_hi:[1,0,1]
	s_delay_alu instid0(VALU_DEP_4) | instskip(SKIP_1) | instid1(VALU_DEP_3)
	v_pk_add_f32 v[120:121], v[120:121], v[128:129]
	v_pk_fma_f32 v[122:123], v[202:203], v[186:187], v[122:123] neg_lo:[0,0,1] neg_hi:[0,0,1]
	v_mov_b32_e32 v123, v127
	s_delay_alu instid0(VALU_DEP_3) | instskip(NEXT) | instid1(VALU_DEP_1)
	v_pk_add_f32 v[120:121], v[120:121], v[124:125]
	v_pk_add_f32 v[120:121], v[120:121], v[122:123]
	s_wait_loadcnt 0x0
	s_set_vgpr_msb 1                        ;  msbs: dst=0 src0=1 src1=0 src2=0
	s_delay_alu instid0(VALU_DEP_1)
	v_pk_add_f32 v[120:121], v[0:1] /*v[256:257]*/, v[120:121] neg_lo:[0,1] neg_hi:[0,1]
	scratch_store_b64 off, v[120:121], off offset:192
	s_wait_xcnt 0x0
	v_cmpx_lt_u32_e32 23, v0
	s_set_vgpr_msb 0                        ;  msbs: dst=0 src0=0 src1=0 src2=0
	s_cbranch_execz .LBB58_321
; %bb.320:
	scratch_load_b64 v[120:121], off, off offset:184
	v_mov_b64_e32 v[122:123], 0
	scratch_store_b64 off, v[122:123], off offset:184
	s_wait_loadcnt 0x0
	ds_store_b64 v1, v[120:121]
.LBB58_321:
	s_wait_xcnt 0x0
	s_or_b32 exec_lo, exec_lo, s0
	s_wait_storecnt_dscnt 0x0
	s_barrier_signal -1
	s_barrier_wait -1
	s_clause 0x13
	scratch_load_b128 v[120:123], off, off offset:192
	scratch_load_b128 v[124:127], off, off offset:208
	;; [unrolled: 1-line block ×17, first 2 shown]
	s_set_vgpr_msb 64                       ;  msbs: dst=1 src0=0 src1=0 src2=0
	scratch_load_b64 v[0:1] /*v[256:257]*/, off, off offset:464
	scratch_load_b64 v[2:3] /*v[258:259]*/, off, off offset:184
	s_set_vgpr_msb 0                        ;  msbs: dst=0 src0=0 src1=0 src2=0
	v_mov_b32_e32 v7, 0
	ds_load_b128 v[188:191], v7 offset:880
	ds_load_b128 v[192:195], v7 offset:896
	;; [unrolled: 1-line block ×17, first 2 shown]
	s_set_vgpr_msb 64                       ;  msbs: dst=1 src0=0 src1=0 src2=0
	ds_load_b64 v[4:5] /*v[260:261]*/, v7 offset:944
	s_mov_b32 s0, exec_lo
	s_wait_dscnt 0x11
	v_dual_mov_b32 v6 /*v262*/, v191 :: v_dual_mov_b32 v7 /*v263*/, v190
	s_wait_dscnt 0x10
	v_dual_mov_b32 v8 /*v264*/, v195 :: v_dual_mov_b32 v9 /*v265*/, v194
	;; [unrolled: 2-line block ×4, first 2 shown]
	s_wait_loadcnt_dscnt 0x120c
	s_set_vgpr_msb 0                        ;  msbs: dst=0 src0=0 src1=0 src2=0
	v_dual_mul_f32 v9, v208, v121 :: v_dual_mul_f32 v59, v209, v121
	v_dual_mul_f32 v61, v211, v123 :: v_dual_mul_f32 v11, v210, v123
	s_wait_loadcnt_dscnt 0x110b
	v_mul_f32_e32 v13, v212, v125
	s_wait_loadcnt_dscnt 0xf09
	v_dual_mul_f32 v71, v221, v133 :: v_dual_fma_f32 v59, v208, v120, -v59
	v_dual_fmac_f32 v9, v209, v120 :: v_dual_mul_f32 v73, v223, v135
	v_dual_mul_f32 v63, v213, v125 :: v_dual_mul_f32 v65, v215, v127
	v_dual_fmac_f32 v11, v211, v122 :: v_dual_fma_f32 v61, v210, v122, -v61
	s_delay_alu instid0(VALU_DEP_3) | instskip(SKIP_4) | instid1(VALU_DEP_3)
	v_dual_add_f32 v9, 0, v9 :: v_dual_add_f32 v59, 0, v59
	v_dual_mul_f32 v15, v214, v127 :: v_dual_mul_f32 v17, v216, v129
	s_wait_loadcnt_dscnt 0xe08
	v_dual_mul_f32 v75, v225, v137 :: v_dual_fma_f32 v63, v212, v124, -v63
	v_fmac_f32_e32 v13, v213, v124
	v_dual_add_f32 v9, v9, v11 :: v_dual_fmac_f32 v15, v215, v126
	v_add_f32_e32 v11, v59, v61
	v_dual_mul_f32 v67, v217, v129 :: v_dual_mul_f32 v69, v219, v131
	v_dual_mul_f32 v59, v227, v139 :: v_dual_fma_f32 v61, v214, v126, -v65
	s_delay_alu instid0(VALU_DEP_3) | instskip(SKIP_3) | instid1(VALU_DEP_3)
	v_dual_add_f32 v9, v9, v13 :: v_dual_add_f32 v11, v11, v63
	v_dual_mul_f32 v19, v218, v131 :: v_dual_mul_f32 v21, v220, v133
	s_wait_loadcnt_dscnt 0xd07
	v_dual_mul_f32 v13, v229, v141 :: v_dual_fma_f32 v63, v216, v128, -v67
	v_dual_fmac_f32 v17, v217, v128 :: v_dual_add_f32 v11, v11, v61
	s_delay_alu instid0(VALU_DEP_3) | instskip(SKIP_1) | instid1(VALU_DEP_2)
	v_dual_add_f32 v9, v9, v15 :: v_dual_fmac_f32 v19, v219, v130
	v_dual_mul_f32 v15, v231, v143 :: v_dual_fma_f32 v61, v218, v130, -v69
	v_dual_add_f32 v11, v11, v63 :: v_dual_add_f32 v9, v9, v17
	v_dual_mul_f32 v23, v222, v135 :: v_dual_mul_f32 v25, v224, v137
	s_wait_loadcnt_dscnt 0xc06
	v_dual_mul_f32 v17, v233, v145 :: v_dual_fma_f32 v63, v220, v132, -v71
	s_delay_alu instid0(VALU_DEP_3) | instskip(NEXT) | instid1(VALU_DEP_3)
	v_dual_fmac_f32 v21, v221, v132 :: v_dual_add_f32 v11, v11, v61
	v_dual_add_f32 v9, v9, v19 :: v_dual_fmac_f32 v23, v223, v134
	v_dual_mul_f32 v19, v235, v147 :: v_dual_fma_f32 v61, v222, v134, -v73
	s_delay_alu instid0(VALU_DEP_2) | instskip(SKIP_3) | instid1(VALU_DEP_3)
	v_dual_add_f32 v11, v11, v63 :: v_dual_add_f32 v9, v9, v21
	v_dual_mul_f32 v27, v226, v139 :: v_dual_mul_f32 v29, v228, v141
	s_wait_loadcnt_dscnt 0xb05
	v_dual_mul_f32 v21, v237, v149 :: v_dual_fma_f32 v63, v224, v136, -v75
	v_dual_fmac_f32 v25, v225, v136 :: v_dual_add_f32 v11, v11, v61
	s_delay_alu instid0(VALU_DEP_3) | instskip(SKIP_1) | instid1(VALU_DEP_2)
	v_dual_add_f32 v9, v9, v23 :: v_dual_fmac_f32 v27, v227, v138
	v_dual_mul_f32 v23, v239, v151 :: v_dual_fma_f32 v59, v226, v138, -v59
	v_dual_add_f32 v11, v11, v63 :: v_dual_add_f32 v9, v9, v25
	v_dual_mul_f32 v31, v230, v143 :: v_dual_mul_f32 v33, v232, v145
	s_wait_loadcnt_dscnt 0xa04
	v_dual_mul_f32 v25, v241, v153 :: v_dual_fma_f32 v13, v228, v140, -v13
	s_delay_alu instid0(VALU_DEP_3) | instskip(NEXT) | instid1(VALU_DEP_3)
	v_dual_fmac_f32 v29, v229, v140 :: v_dual_add_f32 v11, v11, v59
	v_dual_add_f32 v9, v9, v27 :: v_dual_fmac_f32 v31, v231, v142
	v_dual_mul_f32 v27, v243, v155 :: v_dual_fma_f32 v15, v230, v142, -v15
	s_delay_alu instid0(VALU_DEP_3) | instskip(NEXT) | instid1(VALU_DEP_3)
	v_dual_add_f32 v11, v11, v13 :: v_dual_fmac_f32 v33, v233, v144
	v_dual_add_f32 v9, v9, v29 :: v_dual_fma_f32 v17, v232, v144, -v17
	v_dual_mul_f32 v35, v234, v147 :: v_dual_mul_f32 v37, v236, v149
	s_wait_loadcnt_dscnt 0x903
	s_delay_alu instid0(VALU_DEP_3) | instskip(NEXT) | instid1(VALU_DEP_2)
	v_dual_mul_f32 v13, v245, v157 :: v_dual_add_f32 v11, v11, v15
	v_dual_add_f32 v9, v9, v31 :: v_dual_fmac_f32 v35, v235, v146
	v_dual_mul_f32 v15, v247, v159 :: v_dual_fma_f32 v19, v234, v146, -v19
	s_delay_alu instid0(VALU_DEP_3) | instskip(NEXT) | instid1(VALU_DEP_3)
	v_dual_add_f32 v11, v11, v17 :: v_dual_fmac_f32 v37, v237, v148
	v_dual_add_f32 v9, v9, v33 :: v_dual_fma_f32 v21, v236, v148, -v21
	v_dual_mul_f32 v39, v238, v151 :: v_dual_mul_f32 v41, v240, v153
	s_wait_loadcnt_dscnt 0x802
	s_delay_alu instid0(VALU_DEP_3) | instskip(NEXT) | instid1(VALU_DEP_2)
	v_dual_mul_f32 v17, v249, v161 :: v_dual_add_f32 v11, v11, v19
	;; [unrolled: 9-line block ×3, first 2 shown]
	v_dual_add_f32 v9, v9, v39 :: v_dual_fmac_f32 v43, v243, v154
	v_dual_mul_f32 v23, v255, v167 :: v_dual_fma_f32 v27, v242, v154, -v27
	s_delay_alu instid0(VALU_DEP_3) | instskip(NEXT) | instid1(VALU_DEP_3)
	v_dual_add_f32 v11, v11, v25 :: v_dual_fmac_f32 v45, v245, v156
	v_dual_add_f32 v9, v9, v41 :: v_dual_fma_f32 v13, v244, v156, -v13
	v_dual_mul_f32 v47, v246, v159 :: v_dual_mul_f32 v49, v248, v161
	s_wait_loadcnt 0x6
	s_delay_alu instid0(VALU_DEP_3) | instskip(NEXT) | instid1(VALU_DEP_2)
	v_dual_mul_f32 v25, v201, v169 :: v_dual_add_f32 v11, v11, v27
	v_dual_add_f32 v9, v9, v43 :: v_dual_fmac_f32 v47, v247, v158
	v_dual_mul_f32 v27, v203, v171 :: v_dual_fma_f32 v15, v246, v158, -v15
	s_delay_alu instid0(VALU_DEP_3) | instskip(NEXT) | instid1(VALU_DEP_3)
	v_dual_add_f32 v11, v11, v13 :: v_dual_fmac_f32 v49, v249, v160
	v_dual_add_f32 v9, v9, v45 :: v_dual_fma_f32 v17, v248, v160, -v17
	v_dual_mul_f32 v51, v250, v163 :: v_dual_mul_f32 v53, v252, v165
	s_wait_loadcnt 0x5
	s_delay_alu instid0(VALU_DEP_3) | instskip(NEXT) | instid1(VALU_DEP_3)
	v_dual_mul_f32 v13, v189, v173 :: v_dual_add_f32 v11, v11, v15
	v_dual_add_f32 v9, v9, v47 :: v_dual_mov_b32 v120, v175
	s_delay_alu instid0(VALU_DEP_3) | instskip(NEXT) | instid1(VALU_DEP_3)
	v_fmac_f32_e32 v51, v251, v162
	v_dual_fma_f32 v15, v250, v162, -v19 :: v_dual_add_f32 v11, v11, v17
	s_delay_alu instid0(VALU_DEP_3) | instskip(SKIP_1) | instid1(VALU_DEP_3)
	v_dual_add_f32 v9, v9, v49 :: v_dual_mul_f32 v55, v254, v167
	v_dual_mul_f32 v57, v200, v169 :: v_dual_fmac_f32 v53, v253, v164
	v_dual_add_f32 v11, v11, v15 :: v_dual_fma_f32 v17, v252, v164, -v21
	s_wait_loadcnt 0x4
	s_delay_alu instid0(VALU_DEP_3) | instskip(SKIP_3) | instid1(VALU_DEP_4)
	v_dual_add_f32 v9, v9, v51 :: v_dual_mov_b32 v124, v179
	v_fma_f32 v15, v254, v166, -v23
	v_fmac_f32_e32 v55, v255, v166
	v_dual_add_f32 v11, v11, v17 :: v_dual_fmac_f32 v57, v201, v168
	v_add_f32_e32 v9, v9, v53
	s_set_vgpr_msb 64                       ;  msbs: dst=1 src0=0 src1=0 src2=0
	v_dual_mul_f32 v15 /*v271*/, v202, v171 :: v_dual_mul_f32 v17 /*v273*/, v188, v173
	s_set_vgpr_msb 0                        ;  msbs: dst=0 src0=0 src1=0 src2=0
	v_fma_f32 v17, v200, v168, -v25
	s_set_vgpr_msb 1                        ;  msbs: dst=0 src0=1 src1=0 src2=0
	v_pk_mul_f32 v[120:121], v[6:7] /*v[262:263]*/, v[120:121] op_sel_hi:[1,0]
	s_set_vgpr_msb 0                        ;  msbs: dst=0 src0=0 src1=0 src2=0
	v_add_f32_e32 v9, v9, v55
	v_add_f32_e32 v11, v11, v15
	s_set_vgpr_msb 64                       ;  msbs: dst=1 src0=0 src1=0 src2=0
	v_dual_fmac_f32 v15 /*v271*/, v203, v170 :: v_dual_fmac_f32 v17 /*v273*/, v189, v172
	v_dual_fma_f32 v14 /*v270*/, v202, v170, -v27 :: v_dual_fma_f32 v16 /*v272*/, v188, v172, -v13
	s_set_vgpr_msb 0                        ;  msbs: dst=0 src0=0 src1=0 src2=0
	v_add_f32_e32 v129, v9, v57
	v_pk_fma_f32 v[132:133], v[190:191], v[174:175], v[120:121] op_sel_hi:[1,0,1]
	v_add_f32_e32 v128, v11, v17
	v_pk_fma_f32 v[120:121], v[190:191], v[174:175], v[120:121] neg_lo:[0,0,1] neg_hi:[0,0,1]
	v_pk_mul_f32 v[122:123], v[192:193], v[176:177] op_sel:[1,1] op_sel_hi:[0,1]
	s_set_vgpr_msb 1                        ;  msbs: dst=0 src0=1 src1=0 src2=0
	v_pk_mul_f32 v[124:125], v[8:9] /*v[264:265]*/, v[124:125] op_sel_hi:[1,0]
	s_set_vgpr_msb 4                        ;  msbs: dst=0 src0=0 src1=1 src2=0
	v_mov_b32_e32 v121, v133
	v_pk_add_f32 v[128:129], v[128:129], v[14:15] /*v[270:271]*/
	s_wait_loadcnt 0x3
	s_set_vgpr_msb 0                        ;  msbs: dst=0 src0=0 src1=0 src2=0
	v_pk_mul_f32 v[126:127], v[196:197], v[180:181] op_sel:[1,1] op_sel_hi:[0,1]
	v_pk_fma_f32 v[134:135], v[192:193], v[176:177], v[122:123] op_sel_hi:[1,0,1]
	v_pk_fma_f32 v[122:123], v[192:193], v[176:177], v[122:123] neg_lo:[0,0,1] neg_hi:[0,0,1]
	v_mov_b32_e32 v130, v183
	s_set_vgpr_msb 4                        ;  msbs: dst=0 src0=0 src1=1 src2=0
	v_pk_add_f32 v[128:129], v[128:129], v[16:17] /*v[272:273]*/
	s_wait_loadcnt 0x2
	s_set_vgpr_msb 0                        ;  msbs: dst=0 src0=0 src1=0 src2=0
	v_pk_mul_f32 v[132:133], v[204:205], v[184:185] op_sel:[1,1] op_sel_hi:[0,1]
	v_mov_b32_e32 v123, v135
	v_pk_fma_f32 v[134:135], v[194:195], v[178:179], v[124:125] op_sel_hi:[1,0,1]
	v_pk_fma_f32 v[124:125], v[194:195], v[178:179], v[124:125] neg_lo:[0,0,1] neg_hi:[0,0,1]
	v_pk_add_f32 v[120:121], v[128:129], v[120:121]
	v_pk_fma_f32 v[128:129], v[196:197], v[180:181], v[126:127] op_sel_hi:[1,0,1]
	s_set_vgpr_msb 1                        ;  msbs: dst=0 src0=1 src1=0 src2=0
	v_pk_mul_f32 v[130:131], v[10:11] /*v[266:267]*/, v[130:131] op_sel_hi:[1,0]
	s_set_vgpr_msb 0                        ;  msbs: dst=0 src0=0 src1=0 src2=0
	v_mov_b32_e32 v125, v135
	v_pk_fma_f32 v[126:127], v[196:197], v[180:181], v[126:127] neg_lo:[0,0,1] neg_hi:[0,0,1]
	v_pk_add_f32 v[120:121], v[120:121], v[122:123]
	v_dual_mov_b32 v122, v187 :: v_dual_mov_b32 v127, v129
	v_pk_fma_f32 v[128:129], v[198:199], v[182:183], v[130:131] op_sel_hi:[1,0,1]
	v_pk_fma_f32 v[130:131], v[198:199], v[182:183], v[130:131] neg_lo:[0,0,1] neg_hi:[0,0,1]
	s_delay_alu instid0(VALU_DEP_4)
	v_pk_add_f32 v[120:121], v[120:121], v[124:125]
	v_pk_fma_f32 v[124:125], v[204:205], v[184:185], v[132:133] op_sel_hi:[1,0,1]
	s_set_vgpr_msb 1                        ;  msbs: dst=0 src0=1 src1=0 src2=0
	v_pk_mul_f32 v[122:123], v[12:13] /*v[268:269]*/, v[122:123] op_sel_hi:[1,0]
	s_set_vgpr_msb 0                        ;  msbs: dst=0 src0=0 src1=0 src2=0
	v_mov_b32_e32 v131, v129
	s_wait_loadcnt_dscnt 0x100
	s_set_vgpr_msb 5                        ;  msbs: dst=0 src0=1 src1=1 src2=0
	v_pk_mul_f32 v[128:129], v[4:5] /*v[260:261]*/, v[0:1] /*v[256:257]*/ op_sel:[1,1] op_sel_hi:[0,1]
	s_set_vgpr_msb 0                        ;  msbs: dst=0 src0=0 src1=0 src2=0
	v_pk_add_f32 v[120:121], v[120:121], v[126:127]
	v_pk_fma_f32 v[126:127], v[204:205], v[184:185], v[132:133] neg_lo:[0,0,1] neg_hi:[0,0,1]
	v_mov_b32_e32 v127, v125
	v_pk_fma_f32 v[124:125], v[206:207], v[186:187], v[122:123] op_sel_hi:[1,0,1]
	v_pk_fma_f32 v[122:123], v[206:207], v[186:187], v[122:123] neg_lo:[0,0,1] neg_hi:[0,0,1]
	v_pk_add_f32 v[120:121], v[120:121], v[130:131]
	s_delay_alu instid0(VALU_DEP_3)
	v_mov_b32_e32 v123, v125
	s_set_vgpr_msb 5                        ;  msbs: dst=0 src0=1 src1=1 src2=0
	v_pk_fma_f32 v[124:125], v[4:5] /*v[260:261]*/, v[0:1] /*v[256:257]*/, v[128:129] op_sel_hi:[1,0,1]
	s_set_vgpr_msb 0                        ;  msbs: dst=0 src0=0 src1=0 src2=0
	v_pk_add_f32 v[120:121], v[120:121], v[126:127]
	s_set_vgpr_msb 5                        ;  msbs: dst=0 src0=1 src1=1 src2=0
	v_pk_fma_f32 v[126:127], v[4:5] /*v[260:261]*/, v[0:1] /*v[256:257]*/, v[128:129] neg_lo:[0,0,1] neg_hi:[0,0,1]
	s_set_vgpr_msb 0                        ;  msbs: dst=0 src0=0 src1=0 src2=0
	v_mov_b32_e32 v127, v125
	v_pk_add_f32 v[120:121], v[120:121], v[122:123]
	s_delay_alu instid0(VALU_DEP_1) | instskip(SKIP_2) | instid1(VALU_DEP_1)
	v_pk_add_f32 v[120:121], v[120:121], v[126:127]
	s_wait_loadcnt 0x0
	s_set_vgpr_msb 1                        ;  msbs: dst=0 src0=1 src1=0 src2=0
	v_pk_add_f32 v[120:121], v[2:3] /*v[258:259]*/, v[120:121] neg_lo:[0,1] neg_hi:[0,1]
	scratch_store_b64 off, v[120:121], off offset:184
	s_wait_xcnt 0x0
	v_cmpx_lt_u32_e32 22, v0
	s_set_vgpr_msb 0                        ;  msbs: dst=0 src0=0 src1=0 src2=0
	s_cbranch_execz .LBB58_323
; %bb.322:
	scratch_load_b64 v[120:121], off, off offset:176
	v_mov_b64_e32 v[122:123], 0
	scratch_store_b64 off, v[122:123], off offset:176
	s_wait_loadcnt 0x0
	ds_store_b64 v1, v[120:121]
.LBB58_323:
	s_wait_xcnt 0x0
	s_or_b32 exec_lo, exec_lo, s0
	s_wait_storecnt_dscnt 0x0
	s_barrier_signal -1
	s_barrier_wait -1
	s_clause 0x13
	scratch_load_b128 v[120:123], off, off offset:184
	scratch_load_b128 v[124:127], off, off offset:200
	;; [unrolled: 1-line block ×18, first 2 shown]
	s_set_vgpr_msb 64                       ;  msbs: dst=1 src0=0 src1=0 src2=0
	scratch_load_b64 v[8:9] /*v[264:265]*/, off, off offset:176
	s_set_vgpr_msb 0                        ;  msbs: dst=0 src0=0 src1=0 src2=0
	ds_load_2addr_b64 v[192:195], v7 offset0:111 offset1:112
	ds_load_2addr_b64 v[196:199], v7 offset0:113 offset1:114
	;; [unrolled: 1-line block ×16, first 2 shown]
	s_set_vgpr_msb 64                       ;  msbs: dst=1 src0=0 src1=0 src2=0
	ds_load_2addr_b64 v[0:3] /*v[256:259]*/, v7 offset0:107 offset1:108
	ds_load_2addr_b64 v[4:7] /*v[260:263]*/, v7 offset0:109 offset1:110
	s_mov_b32 s0, exec_lo
	s_wait_dscnt 0x11
	v_dual_mov_b32 v10 /*v266*/, v195 :: v_dual_mov_b32 v11 /*v267*/, v194
	s_wait_dscnt 0x10
	v_dual_mov_b32 v12 /*v268*/, v199 :: v_dual_mov_b32 v13 /*v269*/, v198
	;; [unrolled: 2-line block ×4, first 2 shown]
	s_wait_loadcnt_dscnt 0x120d
	s_set_vgpr_msb 0                        ;  msbs: dst=0 src0=0 src1=0 src2=0
	v_dual_mul_f32 v7, v208, v121 :: v_dual_mul_f32 v9, v210, v123
	v_dual_mul_f32 v59, v209, v121 :: v_dual_mul_f32 v61, v211, v123
	s_wait_loadcnt_dscnt 0x110c
	v_dual_mul_f32 v11, v212, v125 :: v_dual_mul_f32 v13, v214, v127
	s_delay_alu instid0(VALU_DEP_3) | instskip(SKIP_3) | instid1(VALU_DEP_3)
	v_dual_fmac_f32 v7, v209, v120 :: v_dual_fmac_f32 v9, v211, v122
	s_wait_loadcnt_dscnt 0xf0a
	v_dual_fma_f32 v59, v208, v120, -v59 :: v_dual_mul_f32 v71, v221, v133
	v_dual_mul_f32 v63, v213, v125 :: v_dual_mul_f32 v65, v215, v127
	v_dual_fma_f32 v61, v210, v122, -v61 :: v_dual_add_f32 v7, 0, v7
	s_delay_alu instid0(VALU_DEP_3) | instskip(SKIP_1) | instid1(VALU_DEP_4)
	v_dual_add_f32 v59, 0, v59 :: v_dual_fmac_f32 v11, v213, v124
	v_dual_mul_f32 v15, v216, v129 :: v_dual_mul_f32 v17, v218, v131
	v_dual_mul_f32 v73, v223, v135 :: v_dual_fma_f32 v63, v212, v124, -v63
	s_delay_alu instid0(VALU_DEP_4) | instskip(NEXT) | instid1(VALU_DEP_3)
	v_add_f32_e32 v7, v7, v9
	v_dual_add_f32 v9, v59, v61 :: v_dual_fmac_f32 v15, v217, v128
	v_dual_mul_f32 v67, v217, v129 :: v_dual_mul_f32 v69, v219, v131
	s_wait_loadcnt_dscnt 0xe09
	v_dual_mul_f32 v59, v225, v137 :: v_dual_fmac_f32 v13, v215, v126
	v_dual_fma_f32 v61, v214, v126, -v65 :: v_dual_add_f32 v7, v7, v11
	s_delay_alu instid0(VALU_DEP_3) | instskip(SKIP_1) | instid1(VALU_DEP_3)
	v_dual_add_f32 v9, v9, v63 :: v_dual_fma_f32 v63, v216, v128, -v67
	v_dual_mul_f32 v19, v220, v133 :: v_dual_mul_f32 v21, v222, v135
	v_add_f32_e32 v7, v7, v13
	s_delay_alu instid0(VALU_DEP_3) | instskip(SKIP_2) | instid1(VALU_DEP_3)
	v_dual_mul_f32 v11, v227, v139 :: v_dual_add_f32 v9, v9, v61
	s_wait_loadcnt_dscnt 0xd08
	v_dual_mul_f32 v13, v229, v141 :: v_dual_fmac_f32 v17, v219, v130
	v_dual_fma_f32 v61, v218, v130, -v69 :: v_dual_add_f32 v7, v7, v15
	s_delay_alu instid0(VALU_DEP_3) | instskip(SKIP_1) | instid1(VALU_DEP_3)
	v_dual_add_f32 v9, v9, v63 :: v_dual_fma_f32 v63, v220, v132, -v71
	v_dual_mul_f32 v15, v231, v143 :: v_dual_fmac_f32 v19, v221, v132
	v_add_f32_e32 v7, v7, v17
	s_delay_alu instid0(VALU_DEP_3)
	v_dual_add_f32 v9, v9, v61 :: v_dual_fmac_f32 v21, v223, v134
	v_dual_mul_f32 v23, v224, v137 :: v_dual_mul_f32 v25, v226, v139
	s_wait_loadcnt_dscnt 0xc07
	v_dual_fma_f32 v61, v222, v134, -v73 :: v_dual_mul_f32 v17, v233, v145
	v_add_f32_e32 v7, v7, v19
	v_dual_add_f32 v9, v9, v63 :: v_dual_fma_f32 v59, v224, v136, -v59
	v_dual_mul_f32 v19, v235, v147 :: v_dual_fmac_f32 v23, v225, v136
	s_delay_alu instid0(VALU_DEP_3) | instskip(NEXT) | instid1(VALU_DEP_3)
	v_dual_add_f32 v7, v7, v21 :: v_dual_fma_f32 v11, v226, v138, -v11
	v_dual_add_f32 v9, v9, v61 :: v_dual_fmac_f32 v25, v227, v138
	v_dual_mul_f32 v27, v228, v141 :: v_dual_mul_f32 v29, v230, v143
	s_wait_loadcnt_dscnt 0xb06
	s_delay_alu instid0(VALU_DEP_3) | instskip(NEXT) | instid1(VALU_DEP_3)
	v_dual_mul_f32 v21, v237, v149 :: v_dual_add_f32 v7, v7, v23
	v_dual_add_f32 v9, v9, v59 :: v_dual_fma_f32 v13, v228, v140, -v13
	s_delay_alu instid0(VALU_DEP_3) | instskip(NEXT) | instid1(VALU_DEP_2)
	v_dual_mul_f32 v23, v239, v151 :: v_dual_fmac_f32 v27, v229, v140
	v_dual_add_f32 v7, v7, v25 :: v_dual_add_f32 v9, v9, v11
	v_dual_mul_f32 v31, v232, v145 :: v_dual_mul_f32 v33, v234, v147
	s_wait_loadcnt_dscnt 0xa05
	v_dual_mul_f32 v11, v241, v153 :: v_dual_fmac_f32 v29, v231, v142
	s_delay_alu instid0(VALU_DEP_3) | instskip(SKIP_2) | instid1(VALU_DEP_2)
	v_dual_fma_f32 v15, v230, v142, -v15 :: v_dual_add_f32 v7, v7, v27
	v_dual_add_f32 v9, v9, v13 :: v_dual_mul_f32 v13, v243, v155
	v_dual_fmac_f32 v31, v233, v144 :: v_dual_fma_f32 v17, v232, v144, -v17
	v_dual_add_f32 v7, v7, v29 :: v_dual_add_f32 v9, v9, v15
	v_dual_mul_f32 v35, v236, v149 :: v_dual_mul_f32 v37, v238, v151
	s_wait_loadcnt_dscnt 0x904
	v_dual_mul_f32 v15, v245, v157 :: v_dual_fmac_f32 v33, v235, v146
	s_delay_alu instid0(VALU_DEP_3) | instskip(SKIP_2) | instid1(VALU_DEP_2)
	v_dual_fma_f32 v19, v234, v146, -v19 :: v_dual_add_f32 v7, v7, v31
	v_dual_add_f32 v9, v9, v17 :: v_dual_mul_f32 v17, v247, v159
	v_dual_fmac_f32 v35, v237, v148 :: v_dual_fma_f32 v21, v236, v148, -v21
	v_dual_add_f32 v7, v7, v33 :: v_dual_add_f32 v9, v9, v19
	v_dual_fma_f32 v23, v238, v150, -v23 :: v_dual_mul_f32 v39, v240, v153
	s_wait_loadcnt_dscnt 0x803
	v_dual_mul_f32 v41, v242, v155 :: v_dual_mul_f32 v19, v249, v161
	s_delay_alu instid0(VALU_DEP_3) | instskip(SKIP_3) | instid1(VALU_DEP_4)
	v_dual_fmac_f32 v37, v239, v150 :: v_dual_add_f32 v9, v9, v21
	v_mul_f32_e32 v21, v251, v163
	v_dual_add_f32 v7, v7, v35 :: v_dual_fma_f32 v11, v240, v152, -v11
	v_fmac_f32_e32 v39, v241, v152
	v_dual_add_f32 v9, v9, v23 :: v_dual_mul_f32 v43, v244, v157
	s_delay_alu instid0(VALU_DEP_3) | instskip(NEXT) | instid1(VALU_DEP_2)
	v_dual_mul_f32 v45, v246, v159 :: v_dual_add_f32 v7, v7, v37
	v_dual_fma_f32 v13, v242, v154, -v13 :: v_dual_add_f32 v9, v9, v11
	s_wait_loadcnt_dscnt 0x702
	v_dual_fma_f32 v15, v244, v156, -v15 :: v_dual_mul_f32 v23, v253, v165
	v_fmac_f32_e32 v41, v243, v154
	s_delay_alu instid0(VALU_DEP_3) | instskip(SKIP_2) | instid1(VALU_DEP_3)
	v_dual_add_f32 v7, v7, v39 :: v_dual_add_f32 v9, v9, v13
	v_fmac_f32_e32 v45, v247, v158
	v_dual_mul_f32 v11, v255, v167 :: v_dual_fmac_f32 v43, v245, v156
	v_dual_add_f32 v7, v7, v41 :: v_dual_fma_f32 v17, v246, v158, -v17
	s_delay_alu instid0(VALU_DEP_4) | instskip(SKIP_1) | instid1(VALU_DEP_2)
	v_dual_add_f32 v9, v9, v15 :: v_dual_fma_f32 v19, v248, v160, -v19
	v_dual_mul_f32 v47, v248, v161 :: v_dual_mul_f32 v49, v250, v163
	v_dual_add_f32 v7, v7, v43 :: v_dual_add_f32 v9, v9, v17
	s_delay_alu instid0(VALU_DEP_2) | instskip(NEXT) | instid1(VALU_DEP_3)
	v_dual_fma_f32 v21, v250, v162, -v21 :: v_dual_fmac_f32 v47, v249, v160
	v_fmac_f32_e32 v49, v251, v162
	s_delay_alu instid0(VALU_DEP_3) | instskip(SKIP_2) | instid1(VALU_DEP_3)
	v_dual_add_f32 v7, v7, v45 :: v_dual_add_f32 v9, v9, v19
	v_dual_fma_f32 v23, v252, v164, -v23 :: v_dual_mul_f32 v51, v252, v165
	v_mul_f32_e32 v53, v254, v167
	v_dual_add_f32 v7, v7, v47 :: v_dual_add_f32 v9, v9, v21
	s_wait_loadcnt_dscnt 0x601
	s_set_vgpr_msb 1                        ;  msbs: dst=0 src0=1 src1=0 src2=0
	v_dual_mul_f32 v55, v0 /*v256*/, v169 :: v_dual_mul_f32 v57, v2 /*v258*/, v171
	v_dual_mul_f32 v13, v1 /*v257*/, v169 :: v_dual_mul_f32 v15, v3 /*v259*/, v171
	s_set_vgpr_msb 0                        ;  msbs: dst=0 src0=0 src1=0 src2=0
	v_dual_fmac_f32 v51, v253, v164 :: v_dual_add_f32 v7, v7, v49
	v_dual_fma_f32 v11, v254, v166, -v11 :: v_dual_fmac_f32 v53, v255, v166
	s_wait_loadcnt 0x4
	v_dual_add_f32 v9, v9, v23 :: v_dual_mov_b32 v122, v179
	s_set_vgpr_msb 1                        ;  msbs: dst=0 src0=1 src1=0 src2=0
	v_dual_fmac_f32 v55, v1 /*v257*/, v168 :: v_dual_fma_f32 v13, v0 /*v256*/, v168, -v13
	s_wait_loadcnt 0x3
	s_set_vgpr_msb 0                        ;  msbs: dst=0 src0=0 src1=0 src2=0
	v_dual_mov_b32 v126, v183 :: v_dual_add_f32 v9, v9, v11
	v_add_f32_e32 v7, v7, v51
	s_set_vgpr_msb 1                        ;  msbs: dst=0 src0=1 src1=0 src2=0
	v_dual_fmac_f32 v57, v3 /*v259*/, v170 :: v_dual_fma_f32 v11, v2 /*v258*/, v170, -v15
	s_wait_dscnt 0x0
	s_set_vgpr_msb 0x41                     ;  msbs: dst=1 src0=1 src1=0 src2=0
	v_dual_mul_f32 v19 /*v275*/, v4 /*v260*/, v173 :: v_dual_mul_f32 v21 /*v277*/, v6 /*v262*/, v175
	s_set_vgpr_msb 0                        ;  msbs: dst=0 src0=0 src1=0 src2=0
	v_add_f32_e32 v9, v9, v13
	v_add_f32_e32 v7, v7, v53
	s_set_vgpr_msb 1                        ;  msbs: dst=0 src0=1 src1=0 src2=0
	v_dual_mul_f32 v17, v5 /*v261*/, v173 :: v_dual_mul_f32 v19, v7 /*v263*/, v175
	s_set_vgpr_msb 0                        ;  msbs: dst=0 src0=0 src1=0 src2=0
	v_pk_mul_f32 v[120:121], v[192:193], v[176:177] op_sel:[1,1] op_sel_hi:[0,1]
	v_add_f32_e32 v128, v9, v11
	v_add_f32_e32 v7, v7, v55
	s_set_vgpr_msb 0x41                     ;  msbs: dst=1 src0=1 src1=0 src2=0
	v_dual_fmac_f32 v19 /*v275*/, v5 /*v261*/, v172 :: v_dual_fmac_f32 v21 /*v277*/, v7 /*v263*/, v174
	v_dual_fma_f32 v18 /*v274*/, v4 /*v260*/, v172, -v17 :: v_dual_fma_f32 v20 /*v276*/, v6 /*v262*/, v174, -v19
	s_set_vgpr_msb 0                        ;  msbs: dst=0 src0=0 src1=0 src2=0
	v_add_f32_e32 v129, v7, v57
	v_pk_fma_f32 v[130:131], v[192:193], v[176:177], v[120:121] op_sel_hi:[1,0,1]
	s_set_vgpr_msb 1                        ;  msbs: dst=0 src0=1 src1=0 src2=0
	v_pk_mul_f32 v[122:123], v[10:11] /*v[266:267]*/, v[122:123] op_sel_hi:[1,0]
	s_set_vgpr_msb 0                        ;  msbs: dst=0 src0=0 src1=0 src2=0
	v_pk_fma_f32 v[120:121], v[192:193], v[176:177], v[120:121] neg_lo:[0,0,1] neg_hi:[0,0,1]
	v_pk_mul_f32 v[124:125], v[196:197], v[180:181] op_sel:[1,1] op_sel_hi:[0,1]
	s_set_vgpr_msb 4                        ;  msbs: dst=0 src0=0 src1=1 src2=0
	v_pk_add_f32 v[128:129], v[128:129], v[18:19] /*v[274:275]*/
	v_mov_b32_e32 v121, v131
	s_set_vgpr_msb 0                        ;  msbs: dst=0 src0=0 src1=0 src2=0
	v_pk_fma_f32 v[130:131], v[194:195], v[178:179], v[122:123] op_sel_hi:[1,0,1]
	v_pk_fma_f32 v[122:123], v[194:195], v[178:179], v[122:123] neg_lo:[0,0,1] neg_hi:[0,0,1]
	v_pk_fma_f32 v[134:135], v[196:197], v[180:181], v[124:125] op_sel_hi:[1,0,1]
	s_set_vgpr_msb 4                        ;  msbs: dst=0 src0=0 src1=1 src2=0
	v_pk_add_f32 v[128:129], v[128:129], v[20:21] /*v[276:277]*/
	s_set_vgpr_msb 1                        ;  msbs: dst=0 src0=1 src1=0 src2=0
	v_pk_mul_f32 v[126:127], v[12:13] /*v[268:269]*/, v[126:127] op_sel_hi:[1,0]
	s_set_vgpr_msb 0                        ;  msbs: dst=0 src0=0 src1=0 src2=0
	v_mov_b32_e32 v123, v131
	s_wait_loadcnt 0x2
	v_pk_mul_f32 v[132:133], v[200:201], v[184:185] op_sel:[1,1] op_sel_hi:[0,1]
	v_pk_fma_f32 v[124:125], v[196:197], v[180:181], v[124:125] neg_lo:[0,0,1] neg_hi:[0,0,1]
	v_pk_add_f32 v[120:121], v[128:129], v[120:121]
	v_dual_mov_b32 v128, v187 :: v_dual_mov_b32 v125, v135
	v_pk_fma_f32 v[130:131], v[198:199], v[182:183], v[126:127] op_sel_hi:[1,0,1]
	v_pk_fma_f32 v[126:127], v[198:199], v[182:183], v[126:127] neg_lo:[0,0,1] neg_hi:[0,0,1]
	s_delay_alu instid0(VALU_DEP_4)
	v_pk_add_f32 v[120:121], v[120:121], v[122:123]
	v_pk_fma_f32 v[122:123], v[200:201], v[184:185], v[132:133] op_sel_hi:[1,0,1]
	s_set_vgpr_msb 1                        ;  msbs: dst=0 src0=1 src1=0 src2=0
	v_pk_mul_f32 v[128:129], v[14:15] /*v[270:271]*/, v[128:129] op_sel_hi:[1,0]
	s_set_vgpr_msb 0                        ;  msbs: dst=0 src0=0 src1=0 src2=0
	v_mov_b32_e32 v127, v131
	v_pk_fma_f32 v[130:131], v[200:201], v[184:185], v[132:133] neg_lo:[0,0,1] neg_hi:[0,0,1]
	v_pk_add_f32 v[120:121], v[120:121], v[124:125]
	v_mov_b32_e32 v131, v123
	v_pk_fma_f32 v[122:123], v[202:203], v[186:187], v[128:129] op_sel_hi:[1,0,1]
	s_wait_loadcnt 0x1
	v_pk_mul_f32 v[124:125], v[204:205], v[188:189] op_sel:[1,1] op_sel_hi:[0,1]
	v_mov_b32_e32 v122, v191
	v_pk_add_f32 v[120:121], v[120:121], v[126:127]
	v_pk_fma_f32 v[128:129], v[202:203], v[186:187], v[128:129] neg_lo:[0,0,1] neg_hi:[0,0,1]
	v_mov_b32_e32 v129, v123
	v_pk_fma_f32 v[126:127], v[204:205], v[188:189], v[124:125] op_sel_hi:[1,0,1]
	s_set_vgpr_msb 1                        ;  msbs: dst=0 src0=1 src1=0 src2=0
	v_pk_mul_f32 v[122:123], v[16:17] /*v[272:273]*/, v[122:123] op_sel_hi:[1,0]
	s_set_vgpr_msb 0                        ;  msbs: dst=0 src0=0 src1=0 src2=0
	v_pk_add_f32 v[120:121], v[120:121], v[130:131]
	v_pk_fma_f32 v[124:125], v[204:205], v[188:189], v[124:125] neg_lo:[0,0,1] neg_hi:[0,0,1]
	v_mov_b32_e32 v125, v127
	v_pk_fma_f32 v[126:127], v[206:207], v[190:191], v[122:123] op_sel_hi:[1,0,1]
	s_delay_alu instid0(VALU_DEP_4) | instskip(SKIP_1) | instid1(VALU_DEP_3)
	v_pk_add_f32 v[120:121], v[120:121], v[128:129]
	v_pk_fma_f32 v[122:123], v[206:207], v[190:191], v[122:123] neg_lo:[0,0,1] neg_hi:[0,0,1]
	v_mov_b32_e32 v123, v127
	s_delay_alu instid0(VALU_DEP_3) | instskip(NEXT) | instid1(VALU_DEP_1)
	v_pk_add_f32 v[120:121], v[120:121], v[124:125]
	v_pk_add_f32 v[120:121], v[120:121], v[122:123]
	s_wait_loadcnt 0x0
	s_set_vgpr_msb 1                        ;  msbs: dst=0 src0=1 src1=0 src2=0
	s_delay_alu instid0(VALU_DEP_1)
	v_pk_add_f32 v[120:121], v[8:9] /*v[264:265]*/, v[120:121] neg_lo:[0,1] neg_hi:[0,1]
	scratch_store_b64 off, v[120:121], off offset:176
	s_wait_xcnt 0x0
	v_cmpx_lt_u32_e32 21, v0
	s_set_vgpr_msb 0                        ;  msbs: dst=0 src0=0 src1=0 src2=0
	s_cbranch_execz .LBB58_325
; %bb.324:
	scratch_load_b64 v[120:121], off, off offset:168
	v_mov_b64_e32 v[122:123], 0
	scratch_store_b64 off, v[122:123], off offset:168
	s_wait_loadcnt 0x0
	ds_store_b64 v1, v[120:121]
.LBB58_325:
	s_wait_xcnt 0x0
	s_or_b32 exec_lo, exec_lo, s0
	s_wait_storecnt_dscnt 0x0
	s_barrier_signal -1
	s_barrier_wait -1
	s_clause 0x14
	scratch_load_b128 v[120:123], off, off offset:176
	scratch_load_b128 v[124:127], off, off offset:192
	;; [unrolled: 1-line block ×18, first 2 shown]
	s_set_vgpr_msb 64                       ;  msbs: dst=1 src0=0 src1=0 src2=0
	scratch_load_b64 v[8:9] /*v[264:265]*/, off, off offset:464
	scratch_load_b64 v[10:11] /*v[266:267]*/, off, off offset:168
	s_set_vgpr_msb 0                        ;  msbs: dst=0 src0=0 src1=0 src2=0
	v_mov_b32_e32 v7, 0
	ds_load_b128 v[192:195], v7 offset:880
	ds_load_b128 v[196:199], v7 offset:896
	;; [unrolled: 1-line block ×16, first 2 shown]
	s_set_vgpr_msb 64                       ;  msbs: dst=1 src0=0 src1=0 src2=0
	ds_load_b128 v[0:3] /*v[256:259]*/, v7 offset:848
	ds_load_b128 v[4:7] /*v[260:263]*/, v7 offset:864
	ds_load_b64 v[12:13] /*v[268:269]*/, v7 offset:944
	s_mov_b32 s0, exec_lo
	s_wait_dscnt 0x12
	v_dual_mov_b32 v14 /*v270*/, v195 :: v_dual_mov_b32 v15 /*v271*/, v194
	s_wait_dscnt 0x11
	v_dual_mov_b32 v16 /*v272*/, v199 :: v_dual_mov_b32 v17 /*v273*/, v198
	;; [unrolled: 2-line block ×4, first 2 shown]
	s_wait_loadcnt 0x13
	s_set_vgpr_msb 0                        ;  msbs: dst=0 src0=0 src1=0 src2=0
	v_dual_mul_f32 v9, v204, v121 :: v_dual_mul_f32 v11, v206, v123
	s_wait_loadcnt 0x12
	v_dual_mul_f32 v13, v208, v125 :: v_dual_mul_f32 v65, v207, v123
	s_wait_loadcnt_dscnt 0x100b
	v_dual_mul_f32 v67, v209, v125 :: v_dual_mul_f32 v77, v223, v135
	v_dual_mul_f32 v15, v210, v127 :: v_dual_mul_f32 v17, v216, v129
	v_dual_mul_f32 v63, v205, v121 :: v_dual_fmac_f32 v9, v205, v120
	v_fma_f32 v65, v206, v122, -v65
	s_wait_loadcnt_dscnt 0x803
	v_mul_f32_e32 v55, v254, v167
	v_dual_mul_f32 v69, v211, v127 :: v_dual_mul_f32 v71, v217, v129
	v_fma_f32 v63, v204, v120, -v63
	s_wait_loadcnt_dscnt 0x601
	s_set_vgpr_msb 1                        ;  msbs: dst=0 src0=1 src1=0 src2=0
	v_mul_f32_e32 v61, v4 /*v260*/, v173
	s_set_vgpr_msb 0                        ;  msbs: dst=0 src0=0 src1=0 src2=0
	v_dual_fmac_f32 v11, v207, v122 :: v_dual_add_f32 v9, 0, v9
	v_dual_mul_f32 v79, v225, v137 :: v_dual_fma_f32 v67, v208, v124, -v67
	v_dual_add_f32 v63, 0, v63 :: v_dual_fmac_f32 v13, v209, v124
	s_delay_alu instid0(VALU_DEP_3) | instskip(SKIP_1) | instid1(VALU_DEP_3)
	v_dual_add_f32 v9, v9, v11 :: v_dual_fmac_f32 v15, v211, v126
	v_dual_mul_f32 v19, v218, v131 :: v_dual_mul_f32 v21, v220, v133
	v_add_f32_e32 v11, v63, v65
	v_dual_mul_f32 v63, v227, v139 :: v_dual_fma_f32 v65, v210, v126, -v69
	s_delay_alu instid0(VALU_DEP_4) | instskip(NEXT) | instid1(VALU_DEP_3)
	v_dual_add_f32 v9, v9, v13 :: v_dual_mul_f32 v73, v219, v131
	v_dual_mul_f32 v75, v221, v133 :: v_dual_add_f32 v11, v11, v67
	v_dual_mul_f32 v13, v229, v141 :: v_dual_fma_f32 v67, v216, v128, -v71
	v_fmac_f32_e32 v17, v217, v128
	s_delay_alu instid0(VALU_DEP_4) | instskip(NEXT) | instid1(VALU_DEP_4)
	v_dual_add_f32 v9, v9, v15 :: v_dual_fmac_f32 v19, v219, v130
	v_add_f32_e32 v11, v11, v65
	v_dual_mul_f32 v15, v231, v143 :: v_dual_fma_f32 v65, v218, v130, -v73
	s_delay_alu instid0(VALU_DEP_3) | instskip(NEXT) | instid1(VALU_DEP_3)
	v_dual_add_f32 v9, v9, v17 :: v_dual_mul_f32 v23, v222, v135
	v_dual_mul_f32 v25, v224, v137 :: v_dual_add_f32 v11, v11, v67
	v_dual_mul_f32 v17, v233, v145 :: v_dual_fma_f32 v67, v220, v132, -v75
	v_fmac_f32_e32 v21, v221, v132
	s_delay_alu instid0(VALU_DEP_4) | instskip(NEXT) | instid1(VALU_DEP_4)
	v_dual_add_f32 v9, v9, v19 :: v_dual_fmac_f32 v23, v223, v134
	v_add_f32_e32 v11, v11, v65
	v_dual_mul_f32 v19, v235, v147 :: v_dual_fma_f32 v65, v222, v134, -v77
	s_delay_alu instid0(VALU_DEP_3) | instskip(NEXT) | instid1(VALU_DEP_3)
	;; [unrolled: 9-line block ×4, first 2 shown]
	v_dual_add_f32 v9, v9, v29 :: v_dual_fma_f32 v17, v232, v144, -v17
	v_dual_add_f32 v11, v11, v13 :: v_dual_fmac_f32 v33, v233, v144
	v_dual_mul_f32 v35, v234, v147 :: v_dual_mul_f32 v37, v236, v149
	s_delay_alu instid0(VALU_DEP_2) | instskip(NEXT) | instid1(VALU_DEP_2)
	v_dual_mul_f32 v13, v245, v157 :: v_dual_add_f32 v11, v11, v15
	v_dual_add_f32 v9, v9, v31 :: v_dual_fmac_f32 v35, v235, v146
	v_dual_mul_f32 v15, v247, v159 :: v_dual_fma_f32 v19, v234, v146, -v19
	s_delay_alu instid0(VALU_DEP_3) | instskip(NEXT) | instid1(VALU_DEP_3)
	v_dual_add_f32 v11, v11, v17 :: v_dual_fmac_f32 v37, v237, v148
	v_dual_add_f32 v9, v9, v33 :: v_dual_fma_f32 v21, v236, v148, -v21
	v_dual_mul_f32 v39, v238, v151 :: v_dual_mul_f32 v41, v240, v153
	s_delay_alu instid0(VALU_DEP_3) | instskip(NEXT) | instid1(VALU_DEP_2)
	v_dual_mul_f32 v17, v249, v161 :: v_dual_add_f32 v11, v11, v19
	v_dual_add_f32 v9, v9, v35 :: v_dual_fmac_f32 v39, v239, v150
	v_dual_mul_f32 v19, v251, v163 :: v_dual_fma_f32 v23, v238, v150, -v23
	s_delay_alu instid0(VALU_DEP_3) | instskip(NEXT) | instid1(VALU_DEP_3)
	v_dual_add_f32 v11, v11, v21 :: v_dual_fmac_f32 v41, v241, v152
	v_dual_add_f32 v9, v9, v37 :: v_dual_fma_f32 v25, v240, v152, -v25
	v_dual_mul_f32 v43, v242, v155 :: v_dual_mul_f32 v45, v244, v157
	s_delay_alu instid0(VALU_DEP_3) | instskip(NEXT) | instid1(VALU_DEP_2)
	;; [unrolled: 8-line block ×3, first 2 shown]
	v_dual_add_f32 v11, v11, v27 :: v_dual_fma_f32 v15, v246, v158, -v15
	v_dual_add_f32 v9, v9, v43 :: v_dual_fmac_f32 v47, v247, v158
	v_dual_mul_f32 v51, v250, v163 :: v_dual_mul_f32 v53, v252, v165
	s_delay_alu instid0(VALU_DEP_3) | instskip(NEXT) | instid1(VALU_DEP_3)
	v_dual_add_f32 v11, v11, v13 :: v_dual_fmac_f32 v49, v249, v160
	v_dual_add_f32 v9, v9, v45 :: v_dual_fma_f32 v17, v248, v160, -v17
	s_delay_alu instid0(VALU_DEP_3) | instskip(NEXT) | instid1(VALU_DEP_3)
	v_fmac_f32_e32 v51, v251, v162
	v_dual_add_f32 v11, v11, v15 :: v_dual_fma_f32 v19, v250, v162, -v19
	s_delay_alu instid0(VALU_DEP_3) | instskip(SKIP_1) | instid1(VALU_DEP_3)
	v_add_f32_e32 v9, v9, v47
	v_fmac_f32_e32 v53, v253, v164
	v_dual_fma_f32 v21, v252, v164, -v21 :: v_dual_add_f32 v11, v11, v17
	s_wait_loadcnt 0x5
	v_mul_f32_e32 v17, v193, v177
	v_add_f32_e32 v9, v9, v49
	s_set_vgpr_msb 1                        ;  msbs: dst=0 src0=1 src1=0 src2=0
	v_dual_mul_f32 v57, v0 /*v256*/, v169 :: v_dual_mul_f32 v59, v2 /*v258*/, v171
	s_set_vgpr_msb 0                        ;  msbs: dst=0 src0=0 src1=0 src2=0
	v_add_f32_e32 v11, v11, v19
	s_set_vgpr_msb 1                        ;  msbs: dst=0 src0=1 src1=0 src2=0
	v_dual_mul_f32 v25, v1 /*v257*/, v169 :: v_dual_mul_f32 v27, v3 /*v259*/, v171
	s_set_vgpr_msb 0                        ;  msbs: dst=0 src0=0 src1=0 src2=0
	v_dual_add_f32 v9, v9, v51 :: v_dual_mov_b32 v120, v179
	v_fmac_f32_e32 v55, v255, v166
	v_dual_fma_f32 v19, v254, v166, -v23 :: v_dual_add_f32 v11, v11, v21
	s_delay_alu instid0(VALU_DEP_3)
	v_add_f32_e32 v9, v9, v53
	s_set_vgpr_msb 1                        ;  msbs: dst=0 src0=1 src1=0 src2=0
	v_dual_fmac_f32 v57, v1 /*v257*/, v168 :: v_dual_fmac_f32 v59, v3 /*v259*/, v170
	v_fma_f32 v21, v0 /*v256*/, v168, -v25
	s_wait_loadcnt 0x4
	s_set_vgpr_msb 0                        ;  msbs: dst=0 src0=0 src1=0 src2=0
	v_dual_mov_b32 v124, v183 :: v_dual_add_f32 v9, v9, v55
	v_add_f32_e32 v11, v11, v19
	s_set_vgpr_msb 1                        ;  msbs: dst=0 src0=1 src1=0 src2=0
	v_dual_mul_f32 v13, v5 /*v261*/, v173 :: v_dual_mul_f32 v15, v7 /*v263*/, v175
	v_fma_f32 v19, v2 /*v258*/, v170, -v27
	s_set_vgpr_msb 0                        ;  msbs: dst=0 src0=0 src1=0 src2=0
	v_add_f32_e32 v9, v9, v57
	v_add_f32_e32 v11, v11, v21
	s_set_vgpr_msb 0x41                     ;  msbs: dst=1 src0=1 src1=0 src2=0
	v_dual_mul_f32 v23 /*v279*/, v6 /*v262*/, v175 :: v_dual_fma_f32 v22 /*v278*/, v6 /*v262*/, v174, -v15
	s_set_vgpr_msb 1                        ;  msbs: dst=0 src0=1 src1=0 src2=0
	v_fmac_f32_e32 v61, v5 /*v261*/, v172
	v_fma_f32 v13, v4 /*v260*/, v172, -v13
	s_set_vgpr_msb 0                        ;  msbs: dst=0 src0=0 src1=0 src2=0
	v_add_f32_e32 v9, v9, v59
	v_add_f32_e32 v11, v11, v19
	s_set_vgpr_msb 1                        ;  msbs: dst=0 src0=1 src1=0 src2=0
	v_pk_mul_f32 v[120:121], v[14:15] /*v[270:271]*/, v[120:121] op_sel_hi:[1,0]
	s_set_vgpr_msb 64                       ;  msbs: dst=1 src0=0 src1=0 src2=0
	v_dual_mul_f32 v25 /*v281*/, v192, v177 :: v_dual_fma_f32 v24 /*v280*/, v192, v176, -v17
	s_set_vgpr_msb 0x41                     ;  msbs: dst=1 src0=1 src1=0 src2=0
	v_fmac_f32_e32 v23 /*v279*/, v7 /*v263*/, v174
	s_set_vgpr_msb 0                        ;  msbs: dst=0 src0=0 src1=0 src2=0
	v_add_f32_e32 v129, v9, v61
	v_pk_fma_f32 v[132:133], v[194:195], v[178:179], v[120:121] op_sel_hi:[1,0,1]
	v_add_f32_e32 v128, v11, v13
	v_pk_fma_f32 v[120:121], v[194:195], v[178:179], v[120:121] neg_lo:[0,0,1] neg_hi:[0,0,1]
	v_pk_mul_f32 v[122:123], v[196:197], v[180:181] op_sel:[1,1] op_sel_hi:[0,1]
	s_set_vgpr_msb 64                       ;  msbs: dst=1 src0=0 src1=0 src2=0
	v_fmac_f32_e32 v25 /*v281*/, v193, v176
	s_set_vgpr_msb 4                        ;  msbs: dst=0 src0=0 src1=1 src2=0
	v_mov_b32_e32 v121, v133
	v_pk_add_f32 v[128:129], v[128:129], v[22:23] /*v[278:279]*/
	s_set_vgpr_msb 1                        ;  msbs: dst=0 src0=1 src1=0 src2=0
	v_pk_mul_f32 v[124:125], v[16:17] /*v[272:273]*/, v[124:125] op_sel_hi:[1,0]
	s_set_vgpr_msb 0                        ;  msbs: dst=0 src0=0 src1=0 src2=0
	v_pk_fma_f32 v[134:135], v[196:197], v[180:181], v[122:123] op_sel_hi:[1,0,1]
	v_pk_fma_f32 v[122:123], v[196:197], v[180:181], v[122:123] neg_lo:[0,0,1] neg_hi:[0,0,1]
	s_wait_loadcnt 0x3
	v_pk_mul_f32 v[126:127], v[200:201], v[184:185] op_sel:[1,1] op_sel_hi:[0,1]
	s_set_vgpr_msb 4                        ;  msbs: dst=0 src0=0 src1=1 src2=0
	v_pk_add_f32 v[128:129], v[128:129], v[24:25] /*v[280:281]*/
	v_dual_mov_b32 v130, v187 :: v_dual_mov_b32 v123, v135
	s_set_vgpr_msb 0                        ;  msbs: dst=0 src0=0 src1=0 src2=0
	v_pk_fma_f32 v[134:135], v[198:199], v[182:183], v[124:125] op_sel_hi:[1,0,1]
	v_pk_fma_f32 v[124:125], v[198:199], v[182:183], v[124:125] neg_lo:[0,0,1] neg_hi:[0,0,1]
	v_pk_add_f32 v[120:121], v[128:129], v[120:121]
	v_pk_fma_f32 v[128:129], v[200:201], v[184:185], v[126:127] op_sel_hi:[1,0,1]
	s_set_vgpr_msb 1                        ;  msbs: dst=0 src0=1 src1=0 src2=0
	v_pk_mul_f32 v[130:131], v[18:19] /*v[274:275]*/, v[130:131] op_sel_hi:[1,0]
	s_set_vgpr_msb 0                        ;  msbs: dst=0 src0=0 src1=0 src2=0
	v_mov_b32_e32 v125, v135
	v_pk_fma_f32 v[126:127], v[200:201], v[184:185], v[126:127] neg_lo:[0,0,1] neg_hi:[0,0,1]
	v_pk_add_f32 v[120:121], v[120:121], v[122:123]
	s_wait_loadcnt 0x2
	v_pk_mul_f32 v[132:133], v[212:213], v[188:189] op_sel:[1,1] op_sel_hi:[0,1]
	v_dual_mov_b32 v122, v191 :: v_dual_mov_b32 v127, v129
	v_pk_fma_f32 v[128:129], v[202:203], v[186:187], v[130:131] op_sel_hi:[1,0,1]
	v_pk_add_f32 v[120:121], v[120:121], v[124:125]
	v_pk_fma_f32 v[130:131], v[202:203], v[186:187], v[130:131] neg_lo:[0,0,1] neg_hi:[0,0,1]
	v_pk_fma_f32 v[124:125], v[212:213], v[188:189], v[132:133] op_sel_hi:[1,0,1]
	s_set_vgpr_msb 1                        ;  msbs: dst=0 src0=1 src1=0 src2=0
	v_pk_mul_f32 v[122:123], v[20:21] /*v[276:277]*/, v[122:123] op_sel_hi:[1,0]
	s_set_vgpr_msb 0                        ;  msbs: dst=0 src0=0 src1=0 src2=0
	v_mov_b32_e32 v131, v129
	v_pk_add_f32 v[120:121], v[120:121], v[126:127]
	v_pk_fma_f32 v[126:127], v[212:213], v[188:189], v[132:133] neg_lo:[0,0,1] neg_hi:[0,0,1]
	v_mov_b32_e32 v127, v125
	v_pk_fma_f32 v[124:125], v[214:215], v[190:191], v[122:123] op_sel_hi:[1,0,1]
	s_wait_loadcnt_dscnt 0x100
	s_set_vgpr_msb 5                        ;  msbs: dst=0 src0=1 src1=1 src2=0
	v_pk_mul_f32 v[128:129], v[12:13] /*v[268:269]*/, v[8:9] /*v[264:265]*/ op_sel:[1,1] op_sel_hi:[0,1]
	s_set_vgpr_msb 0                        ;  msbs: dst=0 src0=0 src1=0 src2=0
	v_pk_add_f32 v[120:121], v[120:121], v[130:131]
	v_pk_fma_f32 v[122:123], v[214:215], v[190:191], v[122:123] neg_lo:[0,0,1] neg_hi:[0,0,1]
	v_mov_b32_e32 v123, v125
	s_set_vgpr_msb 5                        ;  msbs: dst=0 src0=1 src1=1 src2=0
	v_pk_fma_f32 v[124:125], v[12:13] /*v[268:269]*/, v[8:9] /*v[264:265]*/, v[128:129] op_sel_hi:[1,0,1]
	s_set_vgpr_msb 0                        ;  msbs: dst=0 src0=0 src1=0 src2=0
	v_pk_add_f32 v[120:121], v[120:121], v[126:127]
	s_set_vgpr_msb 5                        ;  msbs: dst=0 src0=1 src1=1 src2=0
	v_pk_fma_f32 v[126:127], v[12:13] /*v[268:269]*/, v[8:9] /*v[264:265]*/, v[128:129] neg_lo:[0,0,1] neg_hi:[0,0,1]
	s_set_vgpr_msb 0                        ;  msbs: dst=0 src0=0 src1=0 src2=0
	v_mov_b32_e32 v127, v125
	v_pk_add_f32 v[120:121], v[120:121], v[122:123]
	s_delay_alu instid0(VALU_DEP_1) | instskip(SKIP_2) | instid1(VALU_DEP_1)
	v_pk_add_f32 v[120:121], v[120:121], v[126:127]
	s_wait_loadcnt 0x0
	s_set_vgpr_msb 1                        ;  msbs: dst=0 src0=1 src1=0 src2=0
	v_pk_add_f32 v[120:121], v[10:11] /*v[266:267]*/, v[120:121] neg_lo:[0,1] neg_hi:[0,1]
	scratch_store_b64 off, v[120:121], off offset:168
	s_wait_xcnt 0x0
	v_cmpx_lt_u32_e32 20, v0
	s_set_vgpr_msb 0                        ;  msbs: dst=0 src0=0 src1=0 src2=0
	s_cbranch_execz .LBB58_327
; %bb.326:
	scratch_load_b64 v[120:121], off, off offset:160
	v_mov_b64_e32 v[122:123], 0
	scratch_store_b64 off, v[122:123], off offset:160
	s_wait_loadcnt 0x0
	ds_store_b64 v1, v[120:121]
.LBB58_327:
	s_wait_xcnt 0x0
	s_or_b32 exec_lo, exec_lo, s0
	s_wait_storecnt_dscnt 0x0
	s_barrier_signal -1
	s_barrier_wait -1
	s_clause 0x14
	scratch_load_b128 v[120:123], off, off offset:168
	scratch_load_b128 v[124:127], off, off offset:184
	;; [unrolled: 1-line block ×19, first 2 shown]
	s_set_vgpr_msb 64                       ;  msbs: dst=1 src0=0 src1=0 src2=0
	scratch_load_b64 v[16:17] /*v[272:273]*/, off, off offset:160
	s_set_vgpr_msb 0                        ;  msbs: dst=0 src0=0 src1=0 src2=0
	ds_load_2addr_b64 v[196:199], v7 offset0:111 offset1:112
	ds_load_2addr_b64 v[200:203], v7 offset0:113 offset1:114
	;; [unrolled: 1-line block ×15, first 2 shown]
	s_set_vgpr_msb 64                       ;  msbs: dst=1 src0=0 src1=0 src2=0
	ds_load_2addr_b64 v[0:3] /*v[256:259]*/, v7 offset0:101 offset1:102
	ds_load_2addr_b64 v[4:7] /*v[260:263]*/, v7 offset0:103 offset1:104
	;; [unrolled: 1-line block ×4, first 2 shown]
	s_mov_b32 s0, exec_lo
	s_wait_dscnt 0x12
	v_dual_mov_b32 v18 /*v274*/, v199 :: v_dual_mov_b32 v19 /*v275*/, v198
	s_wait_dscnt 0x11
	v_dual_mov_b32 v20 /*v276*/, v203 :: v_dual_mov_b32 v21 /*v277*/, v202
	s_wait_dscnt 0xf
	v_dual_mov_b32 v22 /*v278*/, v211 :: v_dual_mov_b32 v23 /*v279*/, v210
	s_wait_dscnt 0xe
	v_dual_mov_b32 v24 /*v280*/, v215 :: v_dual_mov_b32 v25 /*v281*/, v214
	s_wait_loadcnt_dscnt 0x130d
	s_set_vgpr_msb 0                        ;  msbs: dst=0 src0=0 src1=0 src2=0
	v_dual_mul_f32 v7, v216, v121 :: v_dual_mul_f32 v9, v218, v123
	v_dual_mul_f32 v63, v217, v121 :: v_dual_mul_f32 v65, v219, v123
	s_wait_loadcnt_dscnt 0x120c
	v_dual_mul_f32 v11, v220, v125 :: v_dual_mul_f32 v13, v222, v127
	s_delay_alu instid0(VALU_DEP_3) | instskip(SKIP_3) | instid1(VALU_DEP_3)
	v_dual_fmac_f32 v7, v217, v120 :: v_dual_fmac_f32 v9, v219, v122
	s_wait_loadcnt_dscnt 0x100a
	v_dual_fma_f32 v63, v216, v120, -v63 :: v_dual_mul_f32 v75, v229, v133
	v_dual_mul_f32 v67, v221, v125 :: v_dual_mul_f32 v69, v223, v127
	v_dual_fma_f32 v65, v218, v122, -v65 :: v_dual_add_f32 v7, 0, v7
	s_delay_alu instid0(VALU_DEP_3) | instskip(SKIP_1) | instid1(VALU_DEP_4)
	v_dual_add_f32 v63, 0, v63 :: v_dual_fmac_f32 v11, v221, v124
	v_dual_mul_f32 v15, v224, v129 :: v_dual_mul_f32 v17, v226, v131
	v_dual_mul_f32 v77, v231, v135 :: v_dual_fma_f32 v67, v220, v124, -v67
	s_delay_alu instid0(VALU_DEP_4) | instskip(NEXT) | instid1(VALU_DEP_3)
	v_add_f32_e32 v7, v7, v9
	v_dual_add_f32 v9, v63, v65 :: v_dual_fmac_f32 v15, v225, v128
	v_dual_mul_f32 v71, v225, v129 :: v_dual_mul_f32 v73, v227, v131
	s_wait_loadcnt_dscnt 0xf09
	v_dual_mul_f32 v63, v233, v137 :: v_dual_fmac_f32 v13, v223, v126
	v_dual_fma_f32 v65, v222, v126, -v69 :: v_dual_add_f32 v7, v7, v11
	s_delay_alu instid0(VALU_DEP_3) | instskip(SKIP_1) | instid1(VALU_DEP_3)
	v_dual_add_f32 v9, v9, v67 :: v_dual_fma_f32 v67, v224, v128, -v71
	v_dual_mul_f32 v19, v228, v133 :: v_dual_mul_f32 v21, v230, v135
	v_add_f32_e32 v7, v7, v13
	s_delay_alu instid0(VALU_DEP_3) | instskip(SKIP_2) | instid1(VALU_DEP_3)
	v_dual_mul_f32 v11, v235, v139 :: v_dual_add_f32 v9, v9, v65
	s_wait_loadcnt_dscnt 0xe08
	v_dual_mul_f32 v13, v237, v141 :: v_dual_fmac_f32 v17, v227, v130
	v_dual_fma_f32 v65, v226, v130, -v73 :: v_dual_add_f32 v7, v7, v15
	s_delay_alu instid0(VALU_DEP_3) | instskip(SKIP_1) | instid1(VALU_DEP_3)
	v_dual_add_f32 v9, v9, v67 :: v_dual_fma_f32 v67, v228, v132, -v75
	v_dual_mul_f32 v15, v239, v143 :: v_dual_fmac_f32 v19, v229, v132
	v_add_f32_e32 v7, v7, v17
	s_delay_alu instid0(VALU_DEP_3)
	v_dual_add_f32 v9, v9, v65 :: v_dual_fmac_f32 v21, v231, v134
	v_dual_mul_f32 v23, v232, v137 :: v_dual_mul_f32 v25, v234, v139
	s_wait_loadcnt_dscnt 0xd07
	v_dual_fma_f32 v65, v230, v134, -v77 :: v_dual_mul_f32 v17, v241, v145
	v_add_f32_e32 v7, v7, v19
	v_dual_add_f32 v9, v9, v67 :: v_dual_fma_f32 v63, v232, v136, -v63
	v_dual_mul_f32 v19, v243, v147 :: v_dual_fmac_f32 v23, v233, v136
	s_delay_alu instid0(VALU_DEP_3) | instskip(NEXT) | instid1(VALU_DEP_3)
	v_dual_add_f32 v7, v7, v21 :: v_dual_fma_f32 v11, v234, v138, -v11
	v_dual_add_f32 v9, v9, v65 :: v_dual_fmac_f32 v25, v235, v138
	v_dual_mul_f32 v27, v236, v141 :: v_dual_mul_f32 v29, v238, v143
	s_wait_loadcnt_dscnt 0xc06
	s_delay_alu instid0(VALU_DEP_3) | instskip(NEXT) | instid1(VALU_DEP_3)
	v_dual_mul_f32 v21, v245, v149 :: v_dual_add_f32 v7, v7, v23
	v_dual_add_f32 v9, v9, v63 :: v_dual_fma_f32 v13, v236, v140, -v13
	s_delay_alu instid0(VALU_DEP_3) | instskip(NEXT) | instid1(VALU_DEP_2)
	v_dual_mul_f32 v23, v247, v151 :: v_dual_fmac_f32 v27, v237, v140
	v_dual_add_f32 v7, v7, v25 :: v_dual_add_f32 v9, v9, v11
	v_dual_mul_f32 v31, v240, v145 :: v_dual_mul_f32 v33, v242, v147
	s_wait_loadcnt_dscnt 0xb05
	v_dual_mul_f32 v11, v249, v153 :: v_dual_fmac_f32 v29, v239, v142
	s_delay_alu instid0(VALU_DEP_3) | instskip(SKIP_2) | instid1(VALU_DEP_2)
	v_dual_fma_f32 v15, v238, v142, -v15 :: v_dual_add_f32 v7, v7, v27
	v_dual_add_f32 v9, v9, v13 :: v_dual_mul_f32 v13, v251, v155
	v_dual_fmac_f32 v31, v241, v144 :: v_dual_fma_f32 v17, v240, v144, -v17
	v_dual_add_f32 v7, v7, v29 :: v_dual_add_f32 v9, v9, v15
	v_dual_mul_f32 v35, v244, v149 :: v_dual_mul_f32 v37, v246, v151
	s_wait_loadcnt_dscnt 0xa04
	v_dual_mul_f32 v15, v253, v157 :: v_dual_fmac_f32 v33, v243, v146
	s_delay_alu instid0(VALU_DEP_3) | instskip(SKIP_2) | instid1(VALU_DEP_2)
	v_dual_fma_f32 v19, v242, v146, -v19 :: v_dual_add_f32 v7, v7, v31
	v_dual_add_f32 v9, v9, v17 :: v_dual_mul_f32 v17, v255, v159
	v_dual_fmac_f32 v35, v245, v148 :: v_dual_fma_f32 v21, v244, v148, -v21
	v_dual_add_f32 v7, v7, v33 :: v_dual_add_f32 v9, v9, v19
	v_dual_mul_f32 v39, v248, v153 :: v_dual_mul_f32 v41, v250, v155
	v_dual_fmac_f32 v37, v247, v150 :: v_dual_fma_f32 v23, v246, v150, -v23
	s_delay_alu instid0(VALU_DEP_3) | instskip(NEXT) | instid1(VALU_DEP_3)
	v_dual_add_f32 v7, v7, v35 :: v_dual_add_f32 v9, v9, v21
	v_fmac_f32_e32 v39, v249, v152
	v_fma_f32 v11, v248, v152, -v11
	v_dual_mul_f32 v43, v252, v157 :: v_dual_mul_f32 v45, v254, v159
	s_delay_alu instid0(VALU_DEP_4)
	v_dual_add_f32 v7, v7, v37 :: v_dual_add_f32 v9, v9, v23
	v_fmac_f32_e32 v41, v251, v154
	v_fma_f32 v13, v250, v154, -v13
	s_wait_loadcnt_dscnt 0x903
	s_set_vgpr_msb 1                        ;  msbs: dst=0 src0=1 src1=0 src2=0
	v_dual_mul_f32 v47, v0 /*v256*/, v161 :: v_dual_mul_f32 v49, v2 /*v258*/, v163
	s_set_vgpr_msb 0                        ;  msbs: dst=0 src0=0 src1=0 src2=0
	v_add_f32_e32 v7, v7, v39
	v_add_f32_e32 v9, v9, v11
	v_fmac_f32_e32 v43, v253, v156
	v_fma_f32 v15, v252, v156, -v15
	s_set_vgpr_msb 1                        ;  msbs: dst=0 src0=1 src1=0 src2=0
	v_dual_mul_f32 v19, v1 /*v257*/, v161 :: v_dual_mul_f32 v21, v3 /*v259*/, v163
	s_set_vgpr_msb 0                        ;  msbs: dst=0 src0=0 src1=0 src2=0
	v_add_f32_e32 v7, v7, v41
	v_dual_add_f32 v9, v9, v13 :: v_dual_fmac_f32 v45, v255, v158
	v_fma_f32 v17, v254, v158, -v17
	s_set_vgpr_msb 1                        ;  msbs: dst=0 src0=1 src1=0 src2=0
	v_dual_fmac_f32 v47, v1 /*v257*/, v160 :: v_dual_fmac_f32 v49, v3 /*v259*/, v162
	s_set_vgpr_msb 0                        ;  msbs: dst=0 src0=0 src1=0 src2=0
	v_add_f32_e32 v7, v7, v43
	v_add_f32_e32 v9, v9, v15
	s_set_vgpr_msb 1                        ;  msbs: dst=0 src0=1 src1=0 src2=0
	v_fma_f32 v19, v0 /*v256*/, v160, -v19
	s_wait_loadcnt_dscnt 0x802
	v_dual_mul_f32 v51, v4 /*v260*/, v165 :: v_dual_mul_f32 v53, v6 /*v262*/, v167
	s_wait_loadcnt_dscnt 0x701
	v_dual_mul_f32 v55, v8 /*v264*/, v169 :: v_dual_mul_f32 v57, v10 /*v266*/, v171
	s_set_vgpr_msb 0                        ;  msbs: dst=0 src0=0 src1=0 src2=0
	v_add_f32_e32 v9, v9, v17
	s_wait_loadcnt_dscnt 0x600
	s_set_vgpr_msb 1                        ;  msbs: dst=0 src0=1 src1=0 src2=0
	v_mul_f32_e32 v17, v13 /*v269*/, v173
	s_set_vgpr_msb 0                        ;  msbs: dst=0 src0=0 src1=0 src2=0
	v_add_f32_e32 v7, v7, v45
	s_set_vgpr_msb 1                        ;  msbs: dst=0 src0=1 src1=0 src2=0
	v_dual_mul_f32 v23, v5 /*v261*/, v165 :: v_dual_mul_f32 v11, v7 /*v263*/, v167
	v_fma_f32 v21, v2 /*v258*/, v162, -v21
	s_set_vgpr_msb 0                        ;  msbs: dst=0 src0=0 src1=0 src2=0
	v_add_f32_e32 v9, v9, v19
	v_add_f32_e32 v7, v7, v47
	s_set_vgpr_msb 1                        ;  msbs: dst=0 src0=1 src1=0 src2=0
	v_dual_mul_f32 v19, v15 /*v271*/, v175 :: v_dual_fmac_f32 v51, v5 /*v261*/, v164
	v_dual_fmac_f32 v53, v7 /*v263*/, v166 :: v_dual_fma_f32 v23, v4 /*v260*/, v164, -v23
	v_fmac_f32_e32 v57, v11 /*v267*/, v170
	s_set_vgpr_msb 0                        ;  msbs: dst=0 src0=0 src1=0 src2=0
	v_add_f32_e32 v9, v9, v21
	v_add_f32_e32 v7, v7, v49
	s_set_vgpr_msb 1                        ;  msbs: dst=0 src0=1 src1=0 src2=0
	v_dual_mul_f32 v13, v9 /*v265*/, v169 :: v_dual_mul_f32 v15, v11 /*v267*/, v171
	v_fma_f32 v11, v6 /*v262*/, v166, -v11
	s_set_vgpr_msb 0                        ;  msbs: dst=0 src0=0 src1=0 src2=0
	v_add_f32_e32 v9, v9, v23
	v_add_f32_e32 v7, v7, v51
	s_set_vgpr_msb 1                        ;  msbs: dst=0 src0=1 src1=0 src2=0
	v_dual_mul_f32 v59, v12 /*v268*/, v173 :: v_dual_mul_f32 v61, v14 /*v270*/, v175
	v_dual_fmac_f32 v55, v9 /*v265*/, v168 :: v_dual_fma_f32 v13, v8 /*v264*/, v168, -v13
	s_set_vgpr_msb 0                        ;  msbs: dst=0 src0=0 src1=0 src2=0
	v_dual_add_f32 v7, v7, v53 :: v_dual_add_f32 v9, v9, v11
	s_set_vgpr_msb 1                        ;  msbs: dst=0 src0=1 src1=0 src2=0
	v_fma_f32 v11, v10 /*v266*/, v170, -v15
	v_dual_fmac_f32 v61, v15 /*v271*/, v174 :: v_dual_fmac_f32 v59, v13 /*v269*/, v172
	s_set_vgpr_msb 0                        ;  msbs: dst=0 src0=0 src1=0 src2=0
	v_dual_add_f32 v7, v7, v55 :: v_dual_add_f32 v9, v9, v13
	s_set_vgpr_msb 1                        ;  msbs: dst=0 src0=1 src1=0 src2=0
	v_fma_f32 v13, v12 /*v268*/, v172, -v17
	s_wait_loadcnt 0x3
	s_set_vgpr_msb 0                        ;  msbs: dst=0 src0=0 src1=0 src2=0
	v_dual_mov_b32 v122, v183 :: v_dual_mov_b32 v126, v187
	s_set_vgpr_msb 64                       ;  msbs: dst=1 src0=0 src1=0 src2=0
	v_dual_mul_f32 v27 /*v283*/, v204, v177 :: v_dual_mul_f32 v29 /*v285*/, v206, v179
	s_set_vgpr_msb 0                        ;  msbs: dst=0 src0=0 src1=0 src2=0
	v_add_f32_e32 v9, v9, v11
	s_set_vgpr_msb 1                        ;  msbs: dst=0 src0=1 src1=0 src2=0
	v_fma_f32 v11, v14 /*v270*/, v174, -v19
	s_set_vgpr_msb 0                        ;  msbs: dst=0 src0=0 src1=0 src2=0
	v_dual_mul_f32 v21, v205, v177 :: v_dual_mul_f32 v23, v207, v179
	v_pk_mul_f32 v[120:121], v[196:197], v[180:181] op_sel:[1,1] op_sel_hi:[0,1]
	v_add_f32_e32 v9, v9, v13
	v_add_f32_e32 v7, v7, v57
	s_set_vgpr_msb 64                       ;  msbs: dst=1 src0=0 src1=0 src2=0
	v_dual_fmac_f32 v27 /*v283*/, v205, v176 :: v_dual_fmac_f32 v29 /*v285*/, v207, v178
	v_dual_fma_f32 v26 /*v282*/, v204, v176, -v21 :: v_dual_fma_f32 v28 /*v284*/, v206, v178, -v23
	s_set_vgpr_msb 0                        ;  msbs: dst=0 src0=0 src1=0 src2=0
	v_add_f32_e32 v128, v9, v11
	v_add_f32_e32 v7, v7, v59
	v_pk_fma_f32 v[130:131], v[196:197], v[180:181], v[120:121] op_sel_hi:[1,0,1]
	s_set_vgpr_msb 1                        ;  msbs: dst=0 src0=1 src1=0 src2=0
	v_pk_mul_f32 v[122:123], v[18:19] /*v[274:275]*/, v[122:123] op_sel_hi:[1,0]
	s_set_vgpr_msb 0                        ;  msbs: dst=0 src0=0 src1=0 src2=0
	v_pk_fma_f32 v[120:121], v[196:197], v[180:181], v[120:121] neg_lo:[0,0,1] neg_hi:[0,0,1]
	v_pk_mul_f32 v[124:125], v[200:201], v[184:185] op_sel:[1,1] op_sel_hi:[0,1]
	v_add_f32_e32 v129, v7, v61
	v_mov_b32_e32 v121, v131
	v_pk_fma_f32 v[130:131], v[198:199], v[182:183], v[122:123] op_sel_hi:[1,0,1]
	v_pk_fma_f32 v[122:123], v[198:199], v[182:183], v[122:123] neg_lo:[0,0,1] neg_hi:[0,0,1]
	v_pk_fma_f32 v[134:135], v[200:201], v[184:185], v[124:125] op_sel_hi:[1,0,1]
	s_set_vgpr_msb 4                        ;  msbs: dst=0 src0=0 src1=1 src2=0
	v_pk_add_f32 v[128:129], v[128:129], v[26:27] /*v[282:283]*/
	s_set_vgpr_msb 1                        ;  msbs: dst=0 src0=1 src1=0 src2=0
	v_pk_mul_f32 v[126:127], v[20:21] /*v[276:277]*/, v[126:127] op_sel_hi:[1,0]
	s_set_vgpr_msb 0                        ;  msbs: dst=0 src0=0 src1=0 src2=0
	v_mov_b32_e32 v123, v131
	s_wait_loadcnt 0x2
	v_pk_mul_f32 v[132:133], v[208:209], v[188:189] op_sel:[1,1] op_sel_hi:[0,1]
	v_pk_fma_f32 v[124:125], v[200:201], v[184:185], v[124:125] neg_lo:[0,0,1] neg_hi:[0,0,1]
	s_set_vgpr_msb 4                        ;  msbs: dst=0 src0=0 src1=1 src2=0
	v_pk_add_f32 v[128:129], v[128:129], v[28:29] /*v[284:285]*/
	v_mov_b32_e32 v125, v135
	s_set_vgpr_msb 0                        ;  msbs: dst=0 src0=0 src1=0 src2=0
	v_pk_fma_f32 v[130:131], v[202:203], v[186:187], v[126:127] op_sel_hi:[1,0,1]
	v_pk_fma_f32 v[126:127], v[202:203], v[186:187], v[126:127] neg_lo:[0,0,1] neg_hi:[0,0,1]
	v_pk_add_f32 v[120:121], v[128:129], v[120:121]
	v_mov_b32_e32 v128, v191
	s_delay_alu instid0(VALU_DEP_2) | instskip(SKIP_2) | instid1(VALU_DEP_3)
	v_pk_add_f32 v[120:121], v[120:121], v[122:123]
	v_pk_fma_f32 v[122:123], v[208:209], v[188:189], v[132:133] op_sel_hi:[1,0,1]
	s_set_vgpr_msb 1                        ;  msbs: dst=0 src0=1 src1=0 src2=0
	v_pk_mul_f32 v[128:129], v[22:23] /*v[278:279]*/, v[128:129] op_sel_hi:[1,0]
	s_set_vgpr_msb 0                        ;  msbs: dst=0 src0=0 src1=0 src2=0
	v_mov_b32_e32 v127, v131
	v_pk_fma_f32 v[130:131], v[208:209], v[188:189], v[132:133] neg_lo:[0,0,1] neg_hi:[0,0,1]
	v_pk_add_f32 v[120:121], v[120:121], v[124:125]
	v_mov_b32_e32 v131, v123
	v_pk_fma_f32 v[122:123], v[210:211], v[190:191], v[128:129] op_sel_hi:[1,0,1]
	s_wait_loadcnt 0x1
	v_pk_mul_f32 v[124:125], v[212:213], v[192:193] op_sel:[1,1] op_sel_hi:[0,1]
	v_mov_b32_e32 v122, v195
	v_pk_add_f32 v[120:121], v[120:121], v[126:127]
	v_pk_fma_f32 v[128:129], v[210:211], v[190:191], v[128:129] neg_lo:[0,0,1] neg_hi:[0,0,1]
	v_mov_b32_e32 v129, v123
	v_pk_fma_f32 v[126:127], v[212:213], v[192:193], v[124:125] op_sel_hi:[1,0,1]
	s_set_vgpr_msb 1                        ;  msbs: dst=0 src0=1 src1=0 src2=0
	v_pk_mul_f32 v[122:123], v[24:25] /*v[280:281]*/, v[122:123] op_sel_hi:[1,0]
	s_set_vgpr_msb 0                        ;  msbs: dst=0 src0=0 src1=0 src2=0
	v_pk_add_f32 v[120:121], v[120:121], v[130:131]
	v_pk_fma_f32 v[124:125], v[212:213], v[192:193], v[124:125] neg_lo:[0,0,1] neg_hi:[0,0,1]
	v_mov_b32_e32 v125, v127
	v_pk_fma_f32 v[126:127], v[214:215], v[194:195], v[122:123] op_sel_hi:[1,0,1]
	s_delay_alu instid0(VALU_DEP_4) | instskip(SKIP_1) | instid1(VALU_DEP_3)
	v_pk_add_f32 v[120:121], v[120:121], v[128:129]
	v_pk_fma_f32 v[122:123], v[214:215], v[194:195], v[122:123] neg_lo:[0,0,1] neg_hi:[0,0,1]
	v_mov_b32_e32 v123, v127
	s_delay_alu instid0(VALU_DEP_3) | instskip(NEXT) | instid1(VALU_DEP_1)
	v_pk_add_f32 v[120:121], v[120:121], v[124:125]
	v_pk_add_f32 v[120:121], v[120:121], v[122:123]
	s_wait_loadcnt 0x0
	s_set_vgpr_msb 1                        ;  msbs: dst=0 src0=1 src1=0 src2=0
	s_delay_alu instid0(VALU_DEP_1)
	v_pk_add_f32 v[120:121], v[16:17] /*v[272:273]*/, v[120:121] neg_lo:[0,1] neg_hi:[0,1]
	scratch_store_b64 off, v[120:121], off offset:160
	s_wait_xcnt 0x0
	v_cmpx_lt_u32_e32 19, v0
	s_set_vgpr_msb 0                        ;  msbs: dst=0 src0=0 src1=0 src2=0
	s_cbranch_execz .LBB58_329
; %bb.328:
	scratch_load_b64 v[120:121], off, off offset:152
	v_mov_b64_e32 v[122:123], 0
	scratch_store_b64 off, v[122:123], off offset:152
	s_wait_loadcnt 0x0
	ds_store_b64 v1, v[120:121]
.LBB58_329:
	s_wait_xcnt 0x0
	s_or_b32 exec_lo, exec_lo, s0
	v_mov_b32_e32 v7, 0
	s_wait_storecnt_dscnt 0x0
	s_barrier_signal -1
	s_barrier_wait -1
	ds_load_b128 v[120:123], v7 offset:640
	ds_load_b128 v[124:127], v7 offset:656
	;; [unrolled: 1-line block ×4, first 2 shown]
	s_clause 0xf
	scratch_load_b128 v[136:139], off, off offset:160
	scratch_load_b128 v[140:143], off, off offset:176
	;; [unrolled: 1-line block ×16, first 2 shown]
	s_mov_b32 s0, exec_lo
	s_wait_loadcnt_dscnt 0xf03
	v_mul_f32_e32 v9, v120, v137
	ds_load_b128 v[232:235], v7 offset:864
	ds_load_b128 v[240:243], v7 offset:880
	;; [unrolled: 1-line block ×4, first 2 shown]
	v_dual_fmac_f32 v9, v121, v136 :: v_dual_mul_f32 v11, v122, v139
	ds_load_b128 v[168:171], v7 offset:736
	ds_load_b128 v[176:179], v7 offset:752
	ds_load_b128 v[184:187], v7 offset:768
	ds_load_b128 v[192:195], v7 offset:784
	v_dual_add_f32 v9, 0, v9 :: v_dual_fmac_f32 v11, v123, v138
	ds_load_b128 v[200:203], v7 offset:800
	ds_load_b128 v[208:211], v7 offset:816
	;; [unrolled: 1-line block ×4, first 2 shown]
	s_wait_loadcnt_dscnt 0xe0e
	v_dual_add_f32 v9, v9, v11 :: v_dual_mul_f32 v11, v124, v141
	s_clause 0x4
	scratch_load_b128 v[248:251], off, off offset:416
	scratch_load_b128 v[252:255], off, off offset:432
	s_set_vgpr_msb 64                       ;  msbs: dst=1 src0=0 src1=0 src2=0
	scratch_load_b128 v[0:3] /*v[256:259]*/, off, off offset:448
	scratch_load_b64 v[10:11] /*v[266:267]*/, off, off offset:464
	s_wait_loadcnt_dscnt 0x40a
	v_dual_mul_f32 v7 /*v263*/, v234, v239 :: v_dual_mul_f32 v9 /*v265*/, v240, v245
	s_set_vgpr_msb 0                        ;  msbs: dst=0 src0=0 src1=0 src2=0
	v_fmac_f32_e32 v11, v125, v140
	s_set_vgpr_msb 64                       ;  msbs: dst=1 src0=0 src1=0 src2=0
	s_delay_alu instid0(VALU_DEP_2) | instskip(SKIP_1) | instid1(VALU_DEP_2)
	v_dual_fmac_f32 v7 /*v263*/, v235, v238 :: v_dual_fmac_f32 v9 /*v265*/, v241, v244
	s_set_vgpr_msb 0                        ;  msbs: dst=0 src0=0 src1=0 src2=0
	v_add_f32_e32 v9, v9, v11
	v_mul_f32_e32 v11, v126, v143
	s_delay_alu instid0(VALU_DEP_1) | instskip(NEXT) | instid1(VALU_DEP_1)
	v_fmac_f32_e32 v11, v127, v142
	v_dual_add_f32 v9, v9, v11 :: v_dual_mul_f32 v11, v128, v145
	s_delay_alu instid0(VALU_DEP_1) | instskip(NEXT) | instid1(VALU_DEP_1)
	v_fmac_f32_e32 v11, v129, v144
	v_add_f32_e32 v9, v9, v11
	v_mul_f32_e32 v11, v130, v147
	s_delay_alu instid0(VALU_DEP_1) | instskip(NEXT) | instid1(VALU_DEP_1)
	v_fmac_f32_e32 v11, v131, v146
	v_dual_add_f32 v9, v9, v11 :: v_dual_mul_f32 v11, v132, v149
	s_delay_alu instid0(VALU_DEP_1) | instskip(NEXT) | instid1(VALU_DEP_1)
	v_fmac_f32_e32 v11, v133, v148
	v_add_f32_e32 v9, v9, v11
	v_mul_f32_e32 v11, v134, v151
	s_delay_alu instid0(VALU_DEP_1) | instskip(SKIP_1) | instid1(VALU_DEP_1)
	v_fmac_f32_e32 v11, v135, v150
	s_wait_dscnt 0x9
	v_dual_add_f32 v9, v9, v11 :: v_dual_mul_f32 v11, v152, v157
	s_delay_alu instid0(VALU_DEP_1) | instskip(NEXT) | instid1(VALU_DEP_1)
	v_fmac_f32_e32 v11, v153, v156
	v_add_f32_e32 v9, v9, v11
	v_mul_f32_e32 v11, v154, v159
	s_delay_alu instid0(VALU_DEP_1) | instskip(SKIP_1) | instid1(VALU_DEP_1)
	v_fmac_f32_e32 v11, v155, v158
	s_wait_dscnt 0x8
	;; [unrolled: 8-line block ×10, first 2 shown]
	v_dual_add_f32 v9, v9, v11 :: v_dual_mul_f32 v11, v224, v229
	s_delay_alu instid0(VALU_DEP_1) | instskip(NEXT) | instid1(VALU_DEP_1)
	v_fmac_f32_e32 v11, v225, v228
	v_add_f32_e32 v9, v9, v11
	v_mul_f32_e32 v11, v226, v231
	s_delay_alu instid0(VALU_DEP_1) | instskip(NEXT) | instid1(VALU_DEP_1)
	v_fmac_f32_e32 v11, v227, v230
	v_dual_add_f32 v9, v9, v11 :: v_dual_mul_f32 v11, v232, v237
	s_delay_alu instid0(VALU_DEP_1) | instskip(SKIP_1) | instid1(VALU_DEP_1)
	v_fmac_f32_e32 v11, v233, v236
	s_set_vgpr_msb 64                       ;  msbs: dst=1 src0=0 src1=0 src2=0
	v_add_f32_e32 v5 /*v261*/, v9, v11
	s_set_vgpr_msb 0                        ;  msbs: dst=0 src0=0 src1=0 src2=0
	v_dual_mul_f32 v9, v121, v137 :: v_dual_mul_f32 v11, v123, v139
	s_delay_alu instid0(VALU_DEP_1) | instskip(NEXT) | instid1(VALU_DEP_2)
	v_dual_mov_b32 v137, v242 :: v_dual_fma_f32 v9, v120, v136, -v9
	v_dual_fma_f32 v11, v122, v138, -v11 :: v_dual_mov_b32 v136, v243
	s_delay_alu instid0(VALU_DEP_2) | instskip(NEXT) | instid1(VALU_DEP_1)
	v_dual_mov_b32 v138, v247 :: v_dual_add_f32 v9, 0, v9
	v_pk_mul_f32 v[136:137], v[136:137], v[138:139] op_sel_hi:[1,0]
	s_delay_alu instid0(VALU_DEP_2) | instskip(SKIP_1) | instid1(VALU_DEP_3)
	v_add_f32_e32 v9, v9, v11
	v_mul_f32_e32 v11, v125, v141
	v_pk_fma_f32 v[138:139], v[242:243], v[246:247], v[136:137] neg_lo:[0,0,1] neg_hi:[0,0,1]
	v_pk_fma_f32 v[136:137], v[242:243], v[246:247], v[136:137] op_sel_hi:[1,0,1]
	s_delay_alu instid0(VALU_DEP_1) | instskip(NEXT) | instid1(VALU_DEP_1)
	v_dual_fma_f32 v11, v124, v140, -v11 :: v_dual_mov_b32 v139, v137
	v_add_f32_e32 v9, v9, v11
	v_mul_f32_e32 v11, v127, v143
	s_delay_alu instid0(VALU_DEP_1) | instskip(NEXT) | instid1(VALU_DEP_1)
	v_fma_f32 v11, v126, v142, -v11
	v_add_f32_e32 v9, v9, v11
	v_mul_f32_e32 v11, v129, v145
	s_delay_alu instid0(VALU_DEP_1) | instskip(NEXT) | instid1(VALU_DEP_1)
	v_fma_f32 v11, v128, v144, -v11
	;; [unrolled: 4-line block ×3, first 2 shown]
	v_add_f32_e32 v9, v9, v11
	v_mul_f32_e32 v11, v133, v149
	s_delay_alu instid0(VALU_DEP_1)
	v_fma_f32 v11, v132, v148, -v11
	ds_load_b128 v[120:123], v7 offset:896
	ds_load_b128 v[124:127], v7 offset:912
	;; [unrolled: 1-line block ×3, first 2 shown]
	ds_load_b64 v[132:133], v7 offset:944
	v_add_f32_e32 v9, v9, v11
	v_mul_f32_e32 v11, v135, v151
	s_delay_alu instid0(VALU_DEP_1) | instskip(NEXT) | instid1(VALU_DEP_1)
	v_fma_f32 v11, v134, v150, -v11
	v_add_f32_e32 v9, v9, v11
	v_mul_f32_e32 v11, v153, v157
	s_wait_loadcnt_dscnt 0x303
	v_pk_mul_f32 v[136:137], v[120:121], v[248:249] op_sel:[1,1] op_sel_hi:[0,1]
	s_delay_alu instid0(VALU_DEP_2) | instskip(NEXT) | instid1(VALU_DEP_1)
	v_fma_f32 v11, v152, v156, -v11
	v_add_f32_e32 v9, v9, v11
	v_mul_f32_e32 v11, v155, v159
	s_delay_alu instid0(VALU_DEP_1) | instskip(NEXT) | instid1(VALU_DEP_1)
	v_fma_f32 v11, v154, v158, -v11
	v_add_f32_e32 v9, v9, v11
	v_mul_f32_e32 v11, v161, v165
	s_delay_alu instid0(VALU_DEP_1) | instskip(NEXT) | instid1(VALU_DEP_1)
	;; [unrolled: 4-line block ×19, first 2 shown]
	v_fma_f32 v11, v226, v230, -v11
	v_add_f32_e32 v9, v9, v11
	v_mul_f32_e32 v11, v233, v237
	s_delay_alu instid0(VALU_DEP_1) | instskip(SKIP_1) | instid1(VALU_DEP_1)
	v_fma_f32 v11, v232, v236, -v11
	s_set_vgpr_msb 64                       ;  msbs: dst=1 src0=0 src1=0 src2=0
	v_add_f32_e32 v4 /*v260*/, v9, v11
	s_set_vgpr_msb 0                        ;  msbs: dst=0 src0=0 src1=0 src2=0
	v_mul_f32_e32 v9, v235, v239
	s_set_vgpr_msb 64                       ;  msbs: dst=1 src0=0 src1=0 src2=0
	s_delay_alu instid0(VALU_DEP_1) | instskip(SKIP_3) | instid1(VALU_DEP_2)
	v_fma_f32 v6 /*v262*/, v234, v238, -v9
	s_set_vgpr_msb 0                        ;  msbs: dst=0 src0=0 src1=0 src2=0
	v_mul_f32_e32 v9, v241, v245
	s_set_vgpr_msb 5                        ;  msbs: dst=0 src0=1 src1=1 src2=0
	v_pk_add_f32 v[134:135], v[4:5] /*v[260:261]*/, v[6:7] /*v[262:263]*/
	s_set_vgpr_msb 64                       ;  msbs: dst=1 src0=0 src1=0 src2=0
	s_delay_alu instid0(VALU_DEP_2) | instskip(SKIP_1) | instid1(VALU_DEP_1)
	v_fma_f32 v8 /*v264*/, v240, v244, -v9
	s_set_vgpr_msb 4                        ;  msbs: dst=0 src0=0 src1=1 src2=0
	v_pk_add_f32 v[134:135], v[134:135], v[8:9] /*v[264:265]*/
	s_set_vgpr_msb 0                        ;  msbs: dst=0 src0=0 src1=0 src2=0
	s_delay_alu instid0(VALU_DEP_1) | instskip(SKIP_2) | instid1(VALU_DEP_1)
	v_pk_add_f32 v[134:135], v[134:135], v[138:139]
	v_pk_fma_f32 v[138:139], v[120:121], v[248:249], v[136:137] neg_lo:[0,0,1] neg_hi:[0,0,1]
	v_pk_fma_f32 v[120:121], v[120:121], v[248:249], v[136:137] op_sel_hi:[1,0,1]
	v_dual_mov_b32 v136, v251 :: v_dual_mov_b32 v139, v121
	s_delay_alu instid0(VALU_DEP_1) | instskip(SKIP_1) | instid1(VALU_DEP_1)
	v_pk_add_f32 v[120:121], v[134:135], v[138:139]
	v_dual_mov_b32 v134, v123 :: v_dual_mov_b32 v135, v122
	v_pk_mul_f32 v[134:135], v[134:135], v[136:137] op_sel_hi:[1,0]
	s_delay_alu instid0(VALU_DEP_1) | instskip(SKIP_1) | instid1(VALU_DEP_1)
	v_pk_fma_f32 v[136:137], v[122:123], v[250:251], v[134:135] neg_lo:[0,0,1] neg_hi:[0,0,1]
	v_pk_fma_f32 v[122:123], v[122:123], v[250:251], v[134:135] op_sel_hi:[1,0,1]
	v_mov_b32_e32 v137, v123
	s_wait_loadcnt_dscnt 0x202
	v_pk_mul_f32 v[122:123], v[124:125], v[252:253] op_sel:[1,1] op_sel_hi:[0,1]
	s_delay_alu instid0(VALU_DEP_2) | instskip(NEXT) | instid1(VALU_DEP_2)
	v_pk_add_f32 v[120:121], v[120:121], v[136:137]
	v_pk_fma_f32 v[134:135], v[124:125], v[252:253], v[122:123] neg_lo:[0,0,1] neg_hi:[0,0,1]
	v_pk_fma_f32 v[122:123], v[124:125], v[252:253], v[122:123] op_sel_hi:[1,0,1]
	v_dual_mov_b32 v122, v127 :: v_dual_mov_b32 v124, v255
	s_delay_alu instid0(VALU_DEP_2) | instskip(NEXT) | instid1(VALU_DEP_1)
	v_dual_mov_b32 v135, v123 :: v_dual_mov_b32 v123, v126
	v_pk_add_f32 v[120:121], v[120:121], v[134:135]
	s_delay_alu instid0(VALU_DEP_2) | instskip(NEXT) | instid1(VALU_DEP_1)
	v_pk_mul_f32 v[122:123], v[122:123], v[124:125] op_sel_hi:[1,0]
	v_pk_fma_f32 v[124:125], v[126:127], v[254:255], v[122:123] neg_lo:[0,0,1] neg_hi:[0,0,1]
	v_pk_fma_f32 v[122:123], v[126:127], v[254:255], v[122:123] op_sel_hi:[1,0,1]
	s_delay_alu instid0(VALU_DEP_1)
	v_mov_b32_e32 v125, v123
	s_wait_loadcnt_dscnt 0x101
	s_set_vgpr_msb 4                        ;  msbs: dst=0 src0=0 src1=1 src2=0
	v_pk_mul_f32 v[122:123], v[128:129], v[0:1] /*v[256:257]*/ op_sel:[1,1] op_sel_hi:[0,1]
	s_set_vgpr_msb 0                        ;  msbs: dst=0 src0=0 src1=0 src2=0
	v_pk_add_f32 v[120:121], v[120:121], v[124:125]
	s_set_vgpr_msb 4                        ;  msbs: dst=0 src0=0 src1=1 src2=0
	s_delay_alu instid0(VALU_DEP_2) | instskip(SKIP_1) | instid1(VALU_DEP_1)
	v_pk_fma_f32 v[124:125], v[128:129], v[0:1] /*v[256:257]*/, v[122:123] neg_lo:[0,0,1] neg_hi:[0,0,1]
	v_pk_fma_f32 v[122:123], v[128:129], v[0:1] /*v[256:257]*/, v[122:123] op_sel_hi:[1,0,1]
	v_dual_mov_b32 v122, v131 :: v_dual_mov_b32 v125, v123
	v_mov_b32_e32 v123, v130
	s_set_vgpr_msb 0                        ;  msbs: dst=0 src0=0 src1=0 src2=0
	s_delay_alu instid0(VALU_DEP_2) | instskip(SKIP_3) | instid1(VALU_DEP_1)
	v_pk_add_f32 v[120:121], v[120:121], v[124:125]
	s_set_vgpr_msb 1                        ;  msbs: dst=0 src0=1 src1=0 src2=0
	v_mov_b32_e32 v124, v3 /*v259*/
	s_set_vgpr_msb 0                        ;  msbs: dst=0 src0=0 src1=0 src2=0
	v_pk_mul_f32 v[122:123], v[122:123], v[124:125] op_sel_hi:[1,0]
	s_set_vgpr_msb 4                        ;  msbs: dst=0 src0=0 src1=1 src2=0
	s_delay_alu instid0(VALU_DEP_1) | instskip(SKIP_1) | instid1(VALU_DEP_1)
	v_pk_fma_f32 v[124:125], v[130:131], v[2:3] /*v[258:259]*/, v[122:123] neg_lo:[0,0,1] neg_hi:[0,0,1]
	v_pk_fma_f32 v[122:123], v[130:131], v[2:3] /*v[258:259]*/, v[122:123] op_sel_hi:[1,0,1]
	v_mov_b32_e32 v125, v123
	s_wait_loadcnt_dscnt 0x0
	v_pk_mul_f32 v[122:123], v[132:133], v[10:11] /*v[266:267]*/ op_sel:[1,1] op_sel_hi:[0,1]
	s_set_vgpr_msb 0                        ;  msbs: dst=0 src0=0 src1=0 src2=0
	s_delay_alu instid0(VALU_DEP_2) | instskip(SKIP_1) | instid1(VALU_DEP_2)
	v_pk_add_f32 v[120:121], v[120:121], v[124:125]
	s_set_vgpr_msb 4                        ;  msbs: dst=0 src0=0 src1=1 src2=0
	v_pk_fma_f32 v[124:125], v[132:133], v[10:11] /*v[266:267]*/, v[122:123] neg_lo:[0,0,1] neg_hi:[0,0,1]
	v_pk_fma_f32 v[122:123], v[132:133], v[10:11] /*v[266:267]*/, v[122:123] op_sel_hi:[1,0,1]
	s_delay_alu instid0(VALU_DEP_1) | instskip(SKIP_4) | instid1(VALU_DEP_1)
	v_mov_b32_e32 v125, v123
	scratch_load_b64 v[122:123], off, off offset:152
	s_set_vgpr_msb 0                        ;  msbs: dst=0 src0=0 src1=0 src2=0
	v_pk_add_f32 v[120:121], v[120:121], v[124:125]
	s_wait_loadcnt 0x0
	v_pk_add_f32 v[120:121], v[122:123], v[120:121] neg_lo:[0,1] neg_hi:[0,1]
	scratch_store_b64 off, v[120:121], off offset:152
	s_wait_xcnt 0x0
	v_cmpx_lt_u32_e32 18, v0
	s_cbranch_execz .LBB58_331
; %bb.330:
	scratch_load_b64 v[120:121], off, off offset:144
	v_mov_b64_e32 v[122:123], 0
	scratch_store_b64 off, v[122:123], off offset:144
	s_wait_loadcnt 0x0
	ds_store_b64 v1, v[120:121]
.LBB58_331:
	s_wait_xcnt 0x0
	s_or_b32 exec_lo, exec_lo, s0
	s_wait_storecnt_dscnt 0x0
	s_barrier_signal -1
	s_barrier_wait -1
	s_clause 0xf
	scratch_load_b128 v[124:127], off, off offset:152
	scratch_load_b128 v[132:135], off, off offset:168
	;; [unrolled: 1-line block ×16, first 2 shown]
	ds_load_2addr_b64 v[120:123], v7 offset0:79 offset1:80
	ds_load_2addr_b64 v[128:131], v7 offset0:81 offset1:82
	;; [unrolled: 1-line block ×16, first 2 shown]
	s_clause 0x4
	scratch_load_b128 v[248:251], off, off offset:408
	scratch_load_b128 v[252:255], off, off offset:424
	s_set_vgpr_msb 64                       ;  msbs: dst=1 src0=0 src1=0 src2=0
	scratch_load_b128 v[0:3] /*v[256:259]*/, off, off offset:440
	scratch_load_b128 v[4:7] /*v[260:263]*/, off, off offset:456
	s_mov_b32 s0, exec_lo
	s_wait_loadcnt_dscnt 0x130f
	s_set_vgpr_msb 0                        ;  msbs: dst=0 src0=0 src1=0 src2=0
	v_dual_mul_f32 v9, v120, v125 :: v_dual_mul_f32 v11, v122, v127
	s_delay_alu instid0(VALU_DEP_1) | instskip(NEXT) | instid1(VALU_DEP_1)
	v_dual_fmac_f32 v9, v121, v124 :: v_dual_fmac_f32 v11, v123, v126
	v_add_f32_e32 v9, 0, v9
	s_wait_loadcnt_dscnt 0x120e
	s_delay_alu instid0(VALU_DEP_1)
	v_dual_add_f32 v9, v9, v11 :: v_dual_mul_f32 v11, v128, v133
	s_wait_loadcnt_dscnt 0x408
	s_set_vgpr_msb 64                       ;  msbs: dst=1 src0=0 src1=0 src2=0
	v_dual_mul_f32 v11 /*v267*/, v240, v245 :: v_dual_mul_f32 v13 /*v269*/, v242, v247
	s_set_vgpr_msb 0                        ;  msbs: dst=0 src0=0 src1=0 src2=0
	v_fmac_f32_e32 v11, v129, v132
	s_set_vgpr_msb 64                       ;  msbs: dst=1 src0=0 src1=0 src2=0
	s_delay_alu instid0(VALU_DEP_2) | instskip(SKIP_1) | instid1(VALU_DEP_2)
	v_fmac_f32_e32 v11 /*v267*/, v241, v244
	s_set_vgpr_msb 0                        ;  msbs: dst=0 src0=0 src1=0 src2=0
	v_add_f32_e32 v9, v9, v11
	v_mul_f32_e32 v11, v130, v135
	s_delay_alu instid0(VALU_DEP_1) | instskip(NEXT) | instid1(VALU_DEP_1)
	v_fmac_f32_e32 v11, v131, v134
	v_dual_add_f32 v9, v9, v11 :: v_dual_mul_f32 v11, v136, v141
	s_delay_alu instid0(VALU_DEP_1) | instskip(NEXT) | instid1(VALU_DEP_1)
	v_fmac_f32_e32 v11, v137, v140
	v_add_f32_e32 v9, v9, v11
	v_mul_f32_e32 v11, v138, v143
	s_delay_alu instid0(VALU_DEP_1) | instskip(NEXT) | instid1(VALU_DEP_1)
	v_fmac_f32_e32 v11, v139, v142
	v_dual_add_f32 v9, v9, v11 :: v_dual_mul_f32 v11, v144, v149
	s_delay_alu instid0(VALU_DEP_1) | instskip(NEXT) | instid1(VALU_DEP_1)
	v_fmac_f32_e32 v11, v145, v148
	v_add_f32_e32 v9, v9, v11
	v_mul_f32_e32 v11, v146, v151
	s_delay_alu instid0(VALU_DEP_1) | instskip(NEXT) | instid1(VALU_DEP_1)
	v_fmac_f32_e32 v11, v147, v150
	v_dual_add_f32 v9, v9, v11 :: v_dual_mul_f32 v11, v152, v157
	s_delay_alu instid0(VALU_DEP_1) | instskip(NEXT) | instid1(VALU_DEP_1)
	v_fmac_f32_e32 v11, v153, v156
	v_add_f32_e32 v9, v9, v11
	v_mul_f32_e32 v11, v154, v159
	s_delay_alu instid0(VALU_DEP_1) | instskip(NEXT) | instid1(VALU_DEP_1)
	v_fmac_f32_e32 v11, v155, v158
	v_dual_add_f32 v9, v9, v11 :: v_dual_mul_f32 v11, v160, v165
	s_delay_alu instid0(VALU_DEP_1) | instskip(NEXT) | instid1(VALU_DEP_1)
	v_fmac_f32_e32 v11, v161, v164
	v_add_f32_e32 v9, v9, v11
	v_mul_f32_e32 v11, v162, v167
	s_delay_alu instid0(VALU_DEP_1) | instskip(SKIP_1) | instid1(VALU_DEP_1)
	v_fmac_f32_e32 v11, v163, v166
	s_wait_dscnt 0x7
	v_dual_add_f32 v9, v9, v11 :: v_dual_mul_f32 v11, v168, v173
	s_delay_alu instid0(VALU_DEP_1) | instskip(NEXT) | instid1(VALU_DEP_1)
	v_fmac_f32_e32 v11, v169, v172
	v_add_f32_e32 v9, v9, v11
	v_mul_f32_e32 v11, v170, v175
	s_delay_alu instid0(VALU_DEP_1) | instskip(SKIP_1) | instid1(VALU_DEP_1)
	v_fmac_f32_e32 v11, v171, v174
	s_wait_dscnt 0x6
	v_dual_add_f32 v9, v9, v11 :: v_dual_mul_f32 v11, v176, v181
	s_delay_alu instid0(VALU_DEP_1) | instskip(NEXT) | instid1(VALU_DEP_1)
	v_fmac_f32_e32 v11, v177, v180
	;; [unrolled: 8-line block ×8, first 2 shown]
	v_add_f32_e32 v9, v9, v11
	v_mul_f32_e32 v11, v226, v231
	s_delay_alu instid0(VALU_DEP_1) | instskip(NEXT) | instid1(VALU_DEP_1)
	v_fmac_f32_e32 v11, v227, v230
	v_dual_add_f32 v9, v9, v11 :: v_dual_mul_f32 v11, v232, v237
	s_delay_alu instid0(VALU_DEP_1) | instskip(NEXT) | instid1(VALU_DEP_1)
	v_fmac_f32_e32 v11, v233, v236
	v_add_f32_e32 v9, v9, v11
	v_mul_f32_e32 v11, v234, v239
	s_delay_alu instid0(VALU_DEP_1) | instskip(SKIP_1) | instid1(VALU_DEP_1)
	v_fmac_f32_e32 v11, v235, v238
	s_set_vgpr_msb 64                       ;  msbs: dst=1 src0=0 src1=0 src2=0
	v_add_f32_e32 v9 /*v265*/, v9, v11
	s_set_vgpr_msb 0                        ;  msbs: dst=0 src0=0 src1=0 src2=0
	v_dual_mul_f32 v9, v121, v125 :: v_dual_mul_f32 v11, v123, v127
	s_delay_alu instid0(VALU_DEP_1) | instskip(NEXT) | instid1(VALU_DEP_1)
	v_dual_fma_f32 v9, v120, v124, -v9 :: v_dual_fma_f32 v11, v122, v126, -v11
	v_add_f32_e32 v9, 0, v9
	s_delay_alu instid0(VALU_DEP_1) | instskip(SKIP_1) | instid1(VALU_DEP_1)
	v_add_f32_e32 v9, v9, v11
	v_mul_f32_e32 v11, v129, v133
	v_fma_f32 v11, v128, v132, -v11
	s_delay_alu instid0(VALU_DEP_1) | instskip(SKIP_1) | instid1(VALU_DEP_1)
	v_add_f32_e32 v9, v9, v11
	v_mul_f32_e32 v11, v131, v135
	v_fma_f32 v11, v130, v134, -v11
	ds_load_2addr_b64 v[120:123], v7 offset0:111 offset1:112
	ds_load_2addr_b64 v[124:127], v7 offset0:113 offset1:114
	;; [unrolled: 1-line block ×4, first 2 shown]
	v_add_f32_e32 v9, v9, v11
	v_mul_f32_e32 v11, v137, v141
	s_delay_alu instid0(VALU_DEP_1) | instskip(NEXT) | instid1(VALU_DEP_1)
	v_fma_f32 v11, v136, v140, -v11
	v_add_f32_e32 v9, v9, v11
	v_mul_f32_e32 v11, v139, v143
	s_delay_alu instid0(VALU_DEP_1) | instskip(SKIP_2) | instid1(VALU_DEP_2)
	v_fma_f32 v11, v138, v142, -v11
	s_wait_loadcnt_dscnt 0x303
	v_pk_mul_f32 v[138:139], v[120:121], v[248:249] op_sel:[1,1] op_sel_hi:[0,1]
	v_add_f32_e32 v9, v9, v11
	v_mul_f32_e32 v11, v145, v149
	s_delay_alu instid0(VALU_DEP_3) | instskip(SKIP_1) | instid1(VALU_DEP_3)
	v_pk_fma_f32 v[140:141], v[120:121], v[248:249], v[138:139] neg_lo:[0,0,1] neg_hi:[0,0,1]
	v_pk_fma_f32 v[120:121], v[120:121], v[248:249], v[138:139] op_sel_hi:[1,0,1]
	v_dual_mov_b32 v138, v251 :: v_dual_fma_f32 v11, v144, v148, -v11
	s_delay_alu instid0(VALU_DEP_2) | instskip(NEXT) | instid1(VALU_DEP_2)
	v_mov_b32_e32 v141, v121
	v_add_f32_e32 v9, v9, v11
	v_mul_f32_e32 v11, v147, v151
	s_delay_alu instid0(VALU_DEP_1) | instskip(NEXT) | instid1(VALU_DEP_1)
	v_fma_f32 v11, v146, v150, -v11
	v_add_f32_e32 v9, v9, v11
	v_mul_f32_e32 v11, v153, v157
	s_delay_alu instid0(VALU_DEP_1) | instskip(NEXT) | instid1(VALU_DEP_1)
	v_fma_f32 v11, v152, v156, -v11
	;; [unrolled: 4-line block ×22, first 2 shown]
	v_add_f32_e32 v9, v9, v11
	v_mul_f32_e32 v11, v235, v239
	s_delay_alu instid0(VALU_DEP_1) | instskip(SKIP_1) | instid1(VALU_DEP_1)
	v_fma_f32 v11, v234, v238, -v11
	s_set_vgpr_msb 64                       ;  msbs: dst=1 src0=0 src1=0 src2=0
	v_dual_fmac_f32 v13 /*v269*/, v243, v246 :: v_dual_add_f32 v8 /*v264*/, v9, v11
	s_set_vgpr_msb 0                        ;  msbs: dst=0 src0=0 src1=0 src2=0
	v_mul_f32_e32 v9, v241, v245
	s_set_vgpr_msb 64                       ;  msbs: dst=1 src0=0 src1=0 src2=0
	s_delay_alu instid0(VALU_DEP_1) | instskip(SKIP_3) | instid1(VALU_DEP_1)
	v_fma_f32 v10 /*v266*/, v240, v244, -v9
	s_set_vgpr_msb 0                        ;  msbs: dst=0 src0=0 src1=0 src2=0
	v_mul_f32_e32 v9, v243, v247
	s_set_vgpr_msb 64                       ;  msbs: dst=1 src0=0 src1=0 src2=0
	v_fma_f32 v12 /*v268*/, v242, v246, -v9
	s_set_vgpr_msb 5                        ;  msbs: dst=0 src0=1 src1=1 src2=0
	v_pk_add_f32 v[136:137], v[8:9] /*v[264:265]*/, v[10:11] /*v[266:267]*/
	s_set_vgpr_msb 4                        ;  msbs: dst=0 src0=0 src1=1 src2=0
	s_delay_alu instid0(VALU_DEP_1) | instskip(SKIP_1) | instid1(VALU_DEP_1)
	v_pk_add_f32 v[136:137], v[136:137], v[12:13] /*v[268:269]*/
	s_set_vgpr_msb 0                        ;  msbs: dst=0 src0=0 src1=0 src2=0
	v_pk_add_f32 v[120:121], v[136:137], v[140:141]
	v_dual_mov_b32 v136, v123 :: v_dual_mov_b32 v137, v122
	s_delay_alu instid0(VALU_DEP_1) | instskip(NEXT) | instid1(VALU_DEP_1)
	v_pk_mul_f32 v[136:137], v[136:137], v[138:139] op_sel_hi:[1,0]
	v_pk_fma_f32 v[138:139], v[122:123], v[250:251], v[136:137] neg_lo:[0,0,1] neg_hi:[0,0,1]
	v_pk_fma_f32 v[122:123], v[122:123], v[250:251], v[136:137] op_sel_hi:[1,0,1]
	s_delay_alu instid0(VALU_DEP_1) | instskip(SKIP_2) | instid1(VALU_DEP_2)
	v_mov_b32_e32 v139, v123
	s_wait_loadcnt_dscnt 0x202
	v_pk_mul_f32 v[122:123], v[124:125], v[252:253] op_sel:[1,1] op_sel_hi:[0,1]
	v_pk_add_f32 v[120:121], v[120:121], v[138:139]
	s_delay_alu instid0(VALU_DEP_2) | instskip(SKIP_2) | instid1(VALU_DEP_2)
	v_pk_fma_f32 v[136:137], v[124:125], v[252:253], v[122:123] neg_lo:[0,0,1] neg_hi:[0,0,1]
	v_pk_fma_f32 v[122:123], v[124:125], v[252:253], v[122:123] op_sel_hi:[1,0,1]
	v_dual_mov_b32 v122, v127 :: v_dual_mov_b32 v124, v255
	v_dual_mov_b32 v137, v123 :: v_dual_mov_b32 v123, v126
	s_delay_alu instid0(VALU_DEP_1) | instskip(NEXT) | instid1(VALU_DEP_2)
	v_pk_add_f32 v[120:121], v[120:121], v[136:137]
	v_pk_mul_f32 v[122:123], v[122:123], v[124:125] op_sel_hi:[1,0]
	s_delay_alu instid0(VALU_DEP_1) | instskip(SKIP_1) | instid1(VALU_DEP_1)
	v_pk_fma_f32 v[124:125], v[126:127], v[254:255], v[122:123] neg_lo:[0,0,1] neg_hi:[0,0,1]
	v_pk_fma_f32 v[122:123], v[126:127], v[254:255], v[122:123] op_sel_hi:[1,0,1]
	v_mov_b32_e32 v125, v123
	s_wait_loadcnt_dscnt 0x101
	s_set_vgpr_msb 4                        ;  msbs: dst=0 src0=0 src1=1 src2=0
	v_pk_mul_f32 v[122:123], v[128:129], v[0:1] /*v[256:257]*/ op_sel:[1,1] op_sel_hi:[0,1]
	s_set_vgpr_msb 0                        ;  msbs: dst=0 src0=0 src1=0 src2=0
	v_pk_add_f32 v[120:121], v[120:121], v[124:125]
	s_set_vgpr_msb 4                        ;  msbs: dst=0 src0=0 src1=1 src2=0
	s_delay_alu instid0(VALU_DEP_2) | instskip(SKIP_1) | instid1(VALU_DEP_1)
	v_pk_fma_f32 v[124:125], v[128:129], v[0:1] /*v[256:257]*/, v[122:123] neg_lo:[0,0,1] neg_hi:[0,0,1]
	v_pk_fma_f32 v[122:123], v[128:129], v[0:1] /*v[256:257]*/, v[122:123] op_sel_hi:[1,0,1]
	v_dual_mov_b32 v122, v131 :: v_dual_mov_b32 v125, v123
	v_mov_b32_e32 v123, v130
	s_set_vgpr_msb 0                        ;  msbs: dst=0 src0=0 src1=0 src2=0
	s_delay_alu instid0(VALU_DEP_2) | instskip(SKIP_3) | instid1(VALU_DEP_1)
	v_pk_add_f32 v[120:121], v[120:121], v[124:125]
	s_set_vgpr_msb 1                        ;  msbs: dst=0 src0=1 src1=0 src2=0
	v_mov_b32_e32 v124, v3 /*v259*/
	s_set_vgpr_msb 0                        ;  msbs: dst=0 src0=0 src1=0 src2=0
	v_pk_mul_f32 v[122:123], v[122:123], v[124:125] op_sel_hi:[1,0]
	s_set_vgpr_msb 4                        ;  msbs: dst=0 src0=0 src1=1 src2=0
	s_delay_alu instid0(VALU_DEP_1) | instskip(SKIP_1) | instid1(VALU_DEP_1)
	v_pk_fma_f32 v[124:125], v[130:131], v[2:3] /*v[258:259]*/, v[122:123] neg_lo:[0,0,1] neg_hi:[0,0,1]
	v_pk_fma_f32 v[122:123], v[130:131], v[2:3] /*v[258:259]*/, v[122:123] op_sel_hi:[1,0,1]
	v_mov_b32_e32 v125, v123
	s_wait_loadcnt_dscnt 0x0
	v_pk_mul_f32 v[122:123], v[132:133], v[4:5] /*v[260:261]*/ op_sel:[1,1] op_sel_hi:[0,1]
	s_set_vgpr_msb 0                        ;  msbs: dst=0 src0=0 src1=0 src2=0
	s_delay_alu instid0(VALU_DEP_2) | instskip(SKIP_1) | instid1(VALU_DEP_2)
	v_pk_add_f32 v[120:121], v[120:121], v[124:125]
	s_set_vgpr_msb 4                        ;  msbs: dst=0 src0=0 src1=1 src2=0
	v_pk_fma_f32 v[124:125], v[132:133], v[4:5] /*v[260:261]*/, v[122:123] neg_lo:[0,0,1] neg_hi:[0,0,1]
	v_pk_fma_f32 v[122:123], v[132:133], v[4:5] /*v[260:261]*/, v[122:123] op_sel_hi:[1,0,1]
	s_delay_alu instid0(VALU_DEP_1) | instskip(SKIP_2) | instid1(VALU_DEP_2)
	v_dual_mov_b32 v122, v135 :: v_dual_mov_b32 v125, v123
	v_mov_b32_e32 v123, v134
	s_set_vgpr_msb 0                        ;  msbs: dst=0 src0=0 src1=0 src2=0
	v_pk_add_f32 v[120:121], v[120:121], v[124:125]
	s_set_vgpr_msb 1                        ;  msbs: dst=0 src0=1 src1=0 src2=0
	v_mov_b32_e32 v124, v7 /*v263*/
	s_set_vgpr_msb 0                        ;  msbs: dst=0 src0=0 src1=0 src2=0
	s_delay_alu instid0(VALU_DEP_1) | instskip(SKIP_1) | instid1(VALU_DEP_1)
	v_pk_mul_f32 v[122:123], v[122:123], v[124:125] op_sel_hi:[1,0]
	s_set_vgpr_msb 4                        ;  msbs: dst=0 src0=0 src1=1 src2=0
	v_pk_fma_f32 v[124:125], v[134:135], v[6:7] /*v[262:263]*/, v[122:123] neg_lo:[0,0,1] neg_hi:[0,0,1]
	v_pk_fma_f32 v[122:123], v[134:135], v[6:7] /*v[262:263]*/, v[122:123] op_sel_hi:[1,0,1]
	s_delay_alu instid0(VALU_DEP_1) | instskip(SKIP_4) | instid1(VALU_DEP_1)
	v_mov_b32_e32 v125, v123
	scratch_load_b64 v[122:123], off, off offset:144
	s_set_vgpr_msb 0                        ;  msbs: dst=0 src0=0 src1=0 src2=0
	v_pk_add_f32 v[120:121], v[120:121], v[124:125]
	s_wait_loadcnt 0x0
	v_pk_add_f32 v[120:121], v[122:123], v[120:121] neg_lo:[0,1] neg_hi:[0,1]
	scratch_store_b64 off, v[120:121], off offset:144
	s_wait_xcnt 0x0
	v_cmpx_lt_u32_e32 17, v0
	s_cbranch_execz .LBB58_333
; %bb.332:
	scratch_load_b64 v[120:121], off, off offset:136
	v_mov_b64_e32 v[122:123], 0
	scratch_store_b64 off, v[122:123], off offset:136
	s_wait_loadcnt 0x0
	ds_store_b64 v1, v[120:121]
.LBB58_333:
	s_wait_xcnt 0x0
	s_or_b32 exec_lo, exec_lo, s0
	v_mov_b32_e32 v7, 0
	s_wait_storecnt_dscnt 0x0
	s_barrier_signal -1
	s_barrier_wait -1
	ds_load_b128 v[120:123], v7 offset:624
	ds_load_b128 v[124:127], v7 offset:640
	;; [unrolled: 1-line block ×4, first 2 shown]
	s_clause 0x10
	scratch_load_b128 v[136:139], off, off offset:144
	scratch_load_b128 v[140:143], off, off offset:160
	;; [unrolled: 1-line block ×17, first 2 shown]
	s_mov_b32 s0, exec_lo
	s_wait_loadcnt_dscnt 0x1003
	v_mul_f32_e32 v9, v120, v137
	ds_load_b128 v[232:235], v7 offset:848
	ds_load_b128 v[240:243], v7 offset:864
	;; [unrolled: 1-line block ×4, first 2 shown]
	v_dual_fmac_f32 v9, v121, v136 :: v_dual_mul_f32 v11, v122, v139
	ds_load_b128 v[248:251], v7 offset:880
	ds_load_b128 v[168:171], v7 offset:720
	;; [unrolled: 1-line block ×3, first 2 shown]
	v_dual_add_f32 v9, 0, v9 :: v_dual_fmac_f32 v11, v123, v138
	ds_load_b128 v[184:187], v7 offset:752
	ds_load_b128 v[192:195], v7 offset:768
	;; [unrolled: 1-line block ×4, first 2 shown]
	s_wait_loadcnt_dscnt 0xf0d
	v_dual_add_f32 v9, v9, v11 :: v_dual_mul_f32 v11, v124, v141
	ds_load_b128 v[216:219], v7 offset:816
	ds_load_b128 v[224:227], v7 offset:832
	s_set_vgpr_msb 64                       ;  msbs: dst=1 src0=0 src1=0 src2=0
	s_clause 0x3
	scratch_load_b128 v[0:3] /*v[256:259]*/, off, off offset:416
	scratch_load_b128 v[4:7] /*v[260:263]*/, off, off offset:432
	;; [unrolled: 1-line block ×3, first 2 shown]
	scratch_load_b64 v[18:19] /*v[274:275]*/, off, off offset:464
	s_set_vgpr_msb 0                        ;  msbs: dst=0 src0=0 src1=0 src2=0
	v_fmac_f32_e32 v11, v125, v140
	s_wait_loadcnt_dscnt 0x408
	s_set_vgpr_msb 64                       ;  msbs: dst=1 src0=0 src1=0 src2=0
	v_dual_mul_f32 v15 /*v271*/, v242, v247 :: v_dual_mul_f32 v17 /*v273*/, v248, v253
	s_set_vgpr_msb 0                        ;  msbs: dst=0 src0=0 src1=0 src2=0
	v_add_f32_e32 v9, v9, v11
	v_mul_f32_e32 v11, v126, v143
	s_set_vgpr_msb 64                       ;  msbs: dst=1 src0=0 src1=0 src2=0
	v_dual_fmac_f32 v15 /*v271*/, v243, v246 :: v_dual_fmac_f32 v17 /*v273*/, v249, v252
	s_set_vgpr_msb 0                        ;  msbs: dst=0 src0=0 src1=0 src2=0
	s_delay_alu instid0(VALU_DEP_2) | instskip(NEXT) | instid1(VALU_DEP_1)
	v_fmac_f32_e32 v11, v127, v142
	v_dual_add_f32 v9, v9, v11 :: v_dual_mul_f32 v11, v128, v145
	s_delay_alu instid0(VALU_DEP_1) | instskip(NEXT) | instid1(VALU_DEP_1)
	v_fmac_f32_e32 v11, v129, v144
	v_add_f32_e32 v9, v9, v11
	v_mul_f32_e32 v11, v130, v147
	s_delay_alu instid0(VALU_DEP_1) | instskip(NEXT) | instid1(VALU_DEP_1)
	v_fmac_f32_e32 v11, v131, v146
	v_dual_add_f32 v9, v9, v11 :: v_dual_mul_f32 v11, v132, v149
	s_delay_alu instid0(VALU_DEP_1) | instskip(NEXT) | instid1(VALU_DEP_1)
	v_fmac_f32_e32 v11, v133, v148
	v_add_f32_e32 v9, v9, v11
	v_mul_f32_e32 v11, v134, v151
	s_delay_alu instid0(VALU_DEP_1) | instskip(NEXT) | instid1(VALU_DEP_1)
	;; [unrolled: 7-line block ×3, first 2 shown]
	v_fmac_f32_e32 v11, v155, v158
	v_dual_add_f32 v9, v9, v11 :: v_dual_mul_f32 v11, v160, v165
	s_delay_alu instid0(VALU_DEP_1) | instskip(NEXT) | instid1(VALU_DEP_1)
	v_fmac_f32_e32 v11, v161, v164
	v_add_f32_e32 v9, v9, v11
	v_mul_f32_e32 v11, v162, v167
	s_delay_alu instid0(VALU_DEP_1) | instskip(SKIP_1) | instid1(VALU_DEP_1)
	v_fmac_f32_e32 v11, v163, v166
	s_wait_dscnt 0x7
	v_dual_add_f32 v9, v9, v11 :: v_dual_mul_f32 v11, v168, v173
	s_delay_alu instid0(VALU_DEP_1) | instskip(NEXT) | instid1(VALU_DEP_1)
	v_fmac_f32_e32 v11, v169, v172
	v_add_f32_e32 v9, v9, v11
	v_mul_f32_e32 v11, v170, v175
	s_delay_alu instid0(VALU_DEP_1) | instskip(SKIP_1) | instid1(VALU_DEP_1)
	v_fmac_f32_e32 v11, v171, v174
	s_wait_dscnt 0x6
	;; [unrolled: 8-line block ×8, first 2 shown]
	v_dual_add_f32 v9, v9, v11 :: v_dual_mul_f32 v11, v224, v229
	s_delay_alu instid0(VALU_DEP_1) | instskip(NEXT) | instid1(VALU_DEP_1)
	v_fmac_f32_e32 v11, v225, v228
	v_add_f32_e32 v9, v9, v11
	v_mul_f32_e32 v11, v226, v231
	s_delay_alu instid0(VALU_DEP_1) | instskip(NEXT) | instid1(VALU_DEP_1)
	v_fmac_f32_e32 v11, v227, v230
	v_dual_add_f32 v9, v9, v11 :: v_dual_mul_f32 v11, v232, v237
	s_delay_alu instid0(VALU_DEP_1) | instskip(NEXT) | instid1(VALU_DEP_1)
	v_fmac_f32_e32 v11, v233, v236
	v_add_f32_e32 v9, v9, v11
	v_mul_f32_e32 v11, v234, v239
	s_delay_alu instid0(VALU_DEP_1) | instskip(NEXT) | instid1(VALU_DEP_1)
	v_fmac_f32_e32 v11, v235, v238
	v_dual_add_f32 v9, v9, v11 :: v_dual_mul_f32 v11, v240, v245
	s_delay_alu instid0(VALU_DEP_1) | instskip(SKIP_1) | instid1(VALU_DEP_1)
	v_fmac_f32_e32 v11, v241, v244
	s_set_vgpr_msb 64                       ;  msbs: dst=1 src0=0 src1=0 src2=0
	v_add_f32_e32 v13 /*v269*/, v9, v11
	s_set_vgpr_msb 0                        ;  msbs: dst=0 src0=0 src1=0 src2=0
	v_dual_mul_f32 v9, v121, v137 :: v_dual_mul_f32 v11, v123, v139
	s_delay_alu instid0(VALU_DEP_1) | instskip(NEXT) | instid1(VALU_DEP_2)
	v_dual_mov_b32 v137, v250 :: v_dual_fma_f32 v9, v120, v136, -v9
	v_dual_fma_f32 v11, v122, v138, -v11 :: v_dual_mov_b32 v136, v251
	s_delay_alu instid0(VALU_DEP_2) | instskip(NEXT) | instid1(VALU_DEP_1)
	v_dual_mov_b32 v138, v255 :: v_dual_add_f32 v9, 0, v9
	v_pk_mul_f32 v[136:137], v[136:137], v[138:139] op_sel_hi:[1,0]
	s_delay_alu instid0(VALU_DEP_2) | instskip(SKIP_1) | instid1(VALU_DEP_3)
	v_add_f32_e32 v9, v9, v11
	v_mul_f32_e32 v11, v125, v141
	v_pk_fma_f32 v[138:139], v[250:251], v[254:255], v[136:137] neg_lo:[0,0,1] neg_hi:[0,0,1]
	v_pk_fma_f32 v[136:137], v[250:251], v[254:255], v[136:137] op_sel_hi:[1,0,1]
	s_delay_alu instid0(VALU_DEP_1) | instskip(NEXT) | instid1(VALU_DEP_1)
	v_dual_fma_f32 v11, v124, v140, -v11 :: v_dual_mov_b32 v139, v137
	v_add_f32_e32 v9, v9, v11
	v_mul_f32_e32 v11, v127, v143
	s_delay_alu instid0(VALU_DEP_1) | instskip(NEXT) | instid1(VALU_DEP_1)
	v_fma_f32 v11, v126, v142, -v11
	v_add_f32_e32 v9, v9, v11
	v_mul_f32_e32 v11, v129, v145
	s_delay_alu instid0(VALU_DEP_1) | instskip(NEXT) | instid1(VALU_DEP_1)
	v_fma_f32 v11, v128, v144, -v11
	;; [unrolled: 4-line block ×3, first 2 shown]
	v_add_f32_e32 v9, v9, v11
	v_mul_f32_e32 v11, v133, v149
	s_delay_alu instid0(VALU_DEP_1)
	v_fma_f32 v11, v132, v148, -v11
	ds_load_b128 v[120:123], v7 offset:896
	ds_load_b128 v[124:127], v7 offset:912
	;; [unrolled: 1-line block ×3, first 2 shown]
	ds_load_b64 v[132:133], v7 offset:944
	v_add_f32_e32 v9, v9, v11
	v_mul_f32_e32 v11, v135, v151
	s_delay_alu instid0(VALU_DEP_1) | instskip(NEXT) | instid1(VALU_DEP_1)
	v_fma_f32 v11, v134, v150, -v11
	v_add_f32_e32 v9, v9, v11
	v_mul_f32_e32 v11, v153, v157
	s_wait_loadcnt_dscnt 0x303
	s_set_vgpr_msb 4                        ;  msbs: dst=0 src0=0 src1=1 src2=0
	v_pk_mul_f32 v[136:137], v[120:121], v[0:1] /*v[256:257]*/ op_sel:[1,1] op_sel_hi:[0,1]
	s_set_vgpr_msb 0                        ;  msbs: dst=0 src0=0 src1=0 src2=0
	v_fma_f32 v11, v152, v156, -v11
	s_delay_alu instid0(VALU_DEP_1) | instskip(SKIP_1) | instid1(VALU_DEP_1)
	v_add_f32_e32 v9, v9, v11
	v_mul_f32_e32 v11, v155, v159
	v_fma_f32 v11, v154, v158, -v11
	s_delay_alu instid0(VALU_DEP_1) | instskip(SKIP_1) | instid1(VALU_DEP_1)
	v_add_f32_e32 v9, v9, v11
	v_mul_f32_e32 v11, v161, v165
	;; [unrolled: 4-line block ×22, first 2 shown]
	v_fma_f32 v11, v240, v244, -v11
	s_set_vgpr_msb 64                       ;  msbs: dst=1 src0=0 src1=0 src2=0
	s_delay_alu instid0(VALU_DEP_1) | instskip(SKIP_3) | instid1(VALU_DEP_1)
	v_add_f32_e32 v12 /*v268*/, v9, v11
	s_set_vgpr_msb 0                        ;  msbs: dst=0 src0=0 src1=0 src2=0
	v_mul_f32_e32 v9, v243, v247
	s_set_vgpr_msb 64                       ;  msbs: dst=1 src0=0 src1=0 src2=0
	v_fma_f32 v14 /*v270*/, v242, v246, -v9
	s_set_vgpr_msb 0                        ;  msbs: dst=0 src0=0 src1=0 src2=0
	v_mul_f32_e32 v9, v249, v253
	s_set_vgpr_msb 5                        ;  msbs: dst=0 src0=1 src1=1 src2=0
	s_delay_alu instid0(VALU_DEP_2) | instskip(SKIP_1) | instid1(VALU_DEP_2)
	v_pk_add_f32 v[134:135], v[12:13] /*v[268:269]*/, v[14:15] /*v[270:271]*/
	s_set_vgpr_msb 64                       ;  msbs: dst=1 src0=0 src1=0 src2=0
	v_fma_f32 v16 /*v272*/, v248, v252, -v9
	s_set_vgpr_msb 4                        ;  msbs: dst=0 src0=0 src1=1 src2=0
	s_delay_alu instid0(VALU_DEP_1) | instskip(SKIP_1) | instid1(VALU_DEP_1)
	v_pk_add_f32 v[134:135], v[134:135], v[16:17] /*v[272:273]*/
	s_set_vgpr_msb 0                        ;  msbs: dst=0 src0=0 src1=0 src2=0
	v_pk_add_f32 v[134:135], v[134:135], v[138:139]
	s_set_vgpr_msb 4                        ;  msbs: dst=0 src0=0 src1=1 src2=0
	v_pk_fma_f32 v[138:139], v[120:121], v[0:1] /*v[256:257]*/, v[136:137] neg_lo:[0,0,1] neg_hi:[0,0,1]
	v_pk_fma_f32 v[120:121], v[120:121], v[0:1] /*v[256:257]*/, v[136:137] op_sel_hi:[1,0,1]
	s_set_vgpr_msb 1                        ;  msbs: dst=0 src0=1 src1=0 src2=0
	v_mov_b32_e32 v136, v3 /*v259*/
	s_set_vgpr_msb 0                        ;  msbs: dst=0 src0=0 src1=0 src2=0
	s_delay_alu instid0(VALU_DEP_2) | instskip(NEXT) | instid1(VALU_DEP_1)
	v_mov_b32_e32 v139, v121
	v_pk_add_f32 v[120:121], v[134:135], v[138:139]
	v_dual_mov_b32 v134, v123 :: v_dual_mov_b32 v135, v122
	s_delay_alu instid0(VALU_DEP_1) | instskip(SKIP_1) | instid1(VALU_DEP_1)
	v_pk_mul_f32 v[134:135], v[134:135], v[136:137] op_sel_hi:[1,0]
	s_set_vgpr_msb 4                        ;  msbs: dst=0 src0=0 src1=1 src2=0
	v_pk_fma_f32 v[136:137], v[122:123], v[2:3] /*v[258:259]*/, v[134:135] neg_lo:[0,0,1] neg_hi:[0,0,1]
	v_pk_fma_f32 v[122:123], v[122:123], v[2:3] /*v[258:259]*/, v[134:135] op_sel_hi:[1,0,1]
	s_delay_alu instid0(VALU_DEP_1) | instskip(SKIP_3) | instid1(VALU_DEP_2)
	v_mov_b32_e32 v137, v123
	s_wait_loadcnt_dscnt 0x202
	v_pk_mul_f32 v[122:123], v[124:125], v[4:5] /*v[260:261]*/ op_sel:[1,1] op_sel_hi:[0,1]
	s_set_vgpr_msb 0                        ;  msbs: dst=0 src0=0 src1=0 src2=0
	v_pk_add_f32 v[120:121], v[120:121], v[136:137]
	s_set_vgpr_msb 4                        ;  msbs: dst=0 src0=0 src1=1 src2=0
	s_delay_alu instid0(VALU_DEP_2)
	v_pk_fma_f32 v[134:135], v[124:125], v[4:5] /*v[260:261]*/, v[122:123] neg_lo:[0,0,1] neg_hi:[0,0,1]
	v_pk_fma_f32 v[122:123], v[124:125], v[4:5] /*v[260:261]*/, v[122:123] op_sel_hi:[1,0,1]
	v_mov_b32_e32 v122, v127
	s_set_vgpr_msb 1                        ;  msbs: dst=0 src0=1 src1=0 src2=0
	v_mov_b32_e32 v124, v7 /*v263*/
	s_set_vgpr_msb 0                        ;  msbs: dst=0 src0=0 src1=0 src2=0
	v_dual_mov_b32 v135, v123 :: v_dual_mov_b32 v123, v126
	s_delay_alu instid0(VALU_DEP_1) | instskip(NEXT) | instid1(VALU_DEP_2)
	v_pk_add_f32 v[120:121], v[120:121], v[134:135]
	v_pk_mul_f32 v[122:123], v[122:123], v[124:125] op_sel_hi:[1,0]
	s_set_vgpr_msb 4                        ;  msbs: dst=0 src0=0 src1=1 src2=0
	s_delay_alu instid0(VALU_DEP_1) | instskip(SKIP_1) | instid1(VALU_DEP_1)
	v_pk_fma_f32 v[124:125], v[126:127], v[6:7] /*v[262:263]*/, v[122:123] neg_lo:[0,0,1] neg_hi:[0,0,1]
	v_pk_fma_f32 v[122:123], v[126:127], v[6:7] /*v[262:263]*/, v[122:123] op_sel_hi:[1,0,1]
	v_mov_b32_e32 v125, v123
	s_wait_loadcnt_dscnt 0x101
	v_pk_mul_f32 v[122:123], v[128:129], v[8:9] /*v[264:265]*/ op_sel:[1,1] op_sel_hi:[0,1]
	s_set_vgpr_msb 0                        ;  msbs: dst=0 src0=0 src1=0 src2=0
	s_delay_alu instid0(VALU_DEP_2) | instskip(SKIP_1) | instid1(VALU_DEP_2)
	v_pk_add_f32 v[120:121], v[120:121], v[124:125]
	s_set_vgpr_msb 4                        ;  msbs: dst=0 src0=0 src1=1 src2=0
	v_pk_fma_f32 v[124:125], v[128:129], v[8:9] /*v[264:265]*/, v[122:123] neg_lo:[0,0,1] neg_hi:[0,0,1]
	v_pk_fma_f32 v[122:123], v[128:129], v[8:9] /*v[264:265]*/, v[122:123] op_sel_hi:[1,0,1]
	s_delay_alu instid0(VALU_DEP_1) | instskip(SKIP_2) | instid1(VALU_DEP_2)
	v_dual_mov_b32 v122, v131 :: v_dual_mov_b32 v125, v123
	v_mov_b32_e32 v123, v130
	s_set_vgpr_msb 0                        ;  msbs: dst=0 src0=0 src1=0 src2=0
	v_pk_add_f32 v[120:121], v[120:121], v[124:125]
	s_set_vgpr_msb 1                        ;  msbs: dst=0 src0=1 src1=0 src2=0
	v_mov_b32_e32 v124, v11 /*v267*/
	s_set_vgpr_msb 0                        ;  msbs: dst=0 src0=0 src1=0 src2=0
	s_delay_alu instid0(VALU_DEP_1) | instskip(SKIP_1) | instid1(VALU_DEP_1)
	v_pk_mul_f32 v[122:123], v[122:123], v[124:125] op_sel_hi:[1,0]
	s_set_vgpr_msb 4                        ;  msbs: dst=0 src0=0 src1=1 src2=0
	v_pk_fma_f32 v[124:125], v[130:131], v[10:11] /*v[266:267]*/, v[122:123] neg_lo:[0,0,1] neg_hi:[0,0,1]
	v_pk_fma_f32 v[122:123], v[130:131], v[10:11] /*v[266:267]*/, v[122:123] op_sel_hi:[1,0,1]
	s_delay_alu instid0(VALU_DEP_1) | instskip(SKIP_3) | instid1(VALU_DEP_2)
	v_mov_b32_e32 v125, v123
	s_wait_loadcnt_dscnt 0x0
	v_pk_mul_f32 v[122:123], v[132:133], v[18:19] /*v[274:275]*/ op_sel:[1,1] op_sel_hi:[0,1]
	s_set_vgpr_msb 0                        ;  msbs: dst=0 src0=0 src1=0 src2=0
	v_pk_add_f32 v[120:121], v[120:121], v[124:125]
	s_set_vgpr_msb 4                        ;  msbs: dst=0 src0=0 src1=1 src2=0
	s_delay_alu instid0(VALU_DEP_2) | instskip(SKIP_1) | instid1(VALU_DEP_1)
	v_pk_fma_f32 v[124:125], v[132:133], v[18:19] /*v[274:275]*/, v[122:123] neg_lo:[0,0,1] neg_hi:[0,0,1]
	v_pk_fma_f32 v[122:123], v[132:133], v[18:19] /*v[274:275]*/, v[122:123] op_sel_hi:[1,0,1]
	v_mov_b32_e32 v125, v123
	scratch_load_b64 v[122:123], off, off offset:136
	s_set_vgpr_msb 0                        ;  msbs: dst=0 src0=0 src1=0 src2=0
	v_pk_add_f32 v[120:121], v[120:121], v[124:125]
	s_wait_loadcnt 0x0
	s_delay_alu instid0(VALU_DEP_1)
	v_pk_add_f32 v[120:121], v[122:123], v[120:121] neg_lo:[0,1] neg_hi:[0,1]
	scratch_store_b64 off, v[120:121], off offset:136
	s_wait_xcnt 0x0
	v_cmpx_lt_u32_e32 16, v0
	s_cbranch_execz .LBB58_335
; %bb.334:
	scratch_load_b64 v[120:121], off, off offset:128
	v_mov_b64_e32 v[122:123], 0
	scratch_store_b64 off, v[122:123], off offset:128
	s_wait_loadcnt 0x0
	ds_store_b64 v1, v[120:121]
.LBB58_335:
	s_wait_xcnt 0x0
	s_or_b32 exec_lo, exec_lo, s0
	s_wait_storecnt_dscnt 0x0
	s_barrier_signal -1
	s_barrier_wait -1
	s_clause 0xf
	scratch_load_b128 v[124:127], off, off offset:136
	scratch_load_b128 v[132:135], off, off offset:152
	;; [unrolled: 1-line block ×16, first 2 shown]
	ds_load_2addr_b64 v[120:123], v7 offset0:77 offset1:78
	ds_load_2addr_b64 v[128:131], v7 offset0:79 offset1:80
	;; [unrolled: 1-line block ×7, first 2 shown]
	scratch_load_b128 v[252:255], off, off offset:392
	ds_load_2addr_b64 v[168:171], v7 offset0:89 offset1:90
	ds_load_2addr_b64 v[176:179], v7 offset0:91 offset1:92
	;; [unrolled: 1-line block ×10, first 2 shown]
	s_set_vgpr_msb 64                       ;  msbs: dst=1 src0=0 src1=0 src2=0
	s_clause 0x3
	scratch_load_b128 v[0:3] /*v[256:259]*/, off, off offset:408
	scratch_load_b128 v[4:7] /*v[260:263]*/, off, off offset:424
	;; [unrolled: 1-line block ×4, first 2 shown]
	s_mov_b32 s0, exec_lo
	s_wait_loadcnt_dscnt 0x1410
	s_set_vgpr_msb 0                        ;  msbs: dst=0 src0=0 src1=0 src2=0
	v_dual_mul_f32 v9, v120, v125 :: v_dual_mul_f32 v11, v122, v127
	s_delay_alu instid0(VALU_DEP_1) | instskip(NEXT) | instid1(VALU_DEP_1)
	v_dual_fmac_f32 v9, v121, v124 :: v_dual_fmac_f32 v11, v123, v126
	v_add_f32_e32 v9, 0, v9
	s_wait_loadcnt_dscnt 0x130f
	s_delay_alu instid0(VALU_DEP_1) | instskip(NEXT) | instid1(VALU_DEP_1)
	v_dual_add_f32 v9, v9, v11 :: v_dual_mul_f32 v11, v128, v133
	v_fmac_f32_e32 v11, v129, v132
	s_wait_loadcnt_dscnt 0x40a
	s_set_vgpr_msb 64                       ;  msbs: dst=1 src0=0 src1=0 src2=0
	v_dual_mul_f32 v19 /*v275*/, v248, v253 :: v_dual_mul_f32 v21 /*v277*/, v250, v255
	s_set_vgpr_msb 0                        ;  msbs: dst=0 src0=0 src1=0 src2=0
	v_add_f32_e32 v9, v9, v11
	v_mul_f32_e32 v11, v130, v135
	s_set_vgpr_msb 64                       ;  msbs: dst=1 src0=0 src1=0 src2=0
	v_fmac_f32_e32 v19 /*v275*/, v249, v252
	s_set_vgpr_msb 0                        ;  msbs: dst=0 src0=0 src1=0 src2=0
	s_delay_alu instid0(VALU_DEP_2) | instskip(NEXT) | instid1(VALU_DEP_1)
	v_fmac_f32_e32 v11, v131, v134
	v_dual_add_f32 v9, v9, v11 :: v_dual_mul_f32 v11, v136, v141
	s_delay_alu instid0(VALU_DEP_1) | instskip(NEXT) | instid1(VALU_DEP_1)
	v_fmac_f32_e32 v11, v137, v140
	v_add_f32_e32 v9, v9, v11
	v_mul_f32_e32 v11, v138, v143
	s_delay_alu instid0(VALU_DEP_1) | instskip(NEXT) | instid1(VALU_DEP_1)
	v_fmac_f32_e32 v11, v139, v142
	v_dual_add_f32 v9, v9, v11 :: v_dual_mul_f32 v11, v144, v149
	s_delay_alu instid0(VALU_DEP_1) | instskip(NEXT) | instid1(VALU_DEP_1)
	v_fmac_f32_e32 v11, v145, v148
	v_add_f32_e32 v9, v9, v11
	v_mul_f32_e32 v11, v146, v151
	s_delay_alu instid0(VALU_DEP_1) | instskip(NEXT) | instid1(VALU_DEP_1)
	;; [unrolled: 7-line block ×3, first 2 shown]
	v_fmac_f32_e32 v11, v155, v158
	v_dual_add_f32 v9, v9, v11 :: v_dual_mul_f32 v11, v160, v165
	s_delay_alu instid0(VALU_DEP_1) | instskip(NEXT) | instid1(VALU_DEP_1)
	v_fmac_f32_e32 v11, v161, v164
	v_add_f32_e32 v9, v9, v11
	v_mul_f32_e32 v11, v162, v167
	s_delay_alu instid0(VALU_DEP_1) | instskip(SKIP_1) | instid1(VALU_DEP_1)
	v_fmac_f32_e32 v11, v163, v166
	s_wait_dscnt 0x9
	v_dual_add_f32 v9, v9, v11 :: v_dual_mul_f32 v11, v168, v173
	s_delay_alu instid0(VALU_DEP_1) | instskip(NEXT) | instid1(VALU_DEP_1)
	v_fmac_f32_e32 v11, v169, v172
	v_add_f32_e32 v9, v9, v11
	v_mul_f32_e32 v11, v170, v175
	s_delay_alu instid0(VALU_DEP_1) | instskip(SKIP_1) | instid1(VALU_DEP_1)
	v_fmac_f32_e32 v11, v171, v174
	s_wait_dscnt 0x8
	;; [unrolled: 8-line block ×10, first 2 shown]
	v_dual_add_f32 v9, v9, v11 :: v_dual_mul_f32 v11, v240, v245
	s_delay_alu instid0(VALU_DEP_1) | instskip(NEXT) | instid1(VALU_DEP_1)
	v_fmac_f32_e32 v11, v241, v244
	v_add_f32_e32 v9, v9, v11
	v_mul_f32_e32 v11, v242, v247
	s_delay_alu instid0(VALU_DEP_1) | instskip(SKIP_1) | instid1(VALU_DEP_1)
	v_fmac_f32_e32 v11, v243, v246
	s_set_vgpr_msb 64                       ;  msbs: dst=1 src0=0 src1=0 src2=0
	v_add_f32_e32 v17 /*v273*/, v9, v11
	s_set_vgpr_msb 0                        ;  msbs: dst=0 src0=0 src1=0 src2=0
	v_dual_mul_f32 v9, v121, v125 :: v_dual_mul_f32 v11, v123, v127
	s_delay_alu instid0(VALU_DEP_1) | instskip(NEXT) | instid1(VALU_DEP_1)
	v_dual_fma_f32 v9, v120, v124, -v9 :: v_dual_fma_f32 v11, v122, v126, -v11
	v_add_f32_e32 v9, 0, v9
	s_delay_alu instid0(VALU_DEP_1) | instskip(SKIP_1) | instid1(VALU_DEP_1)
	v_add_f32_e32 v9, v9, v11
	v_mul_f32_e32 v11, v129, v133
	v_fma_f32 v11, v128, v132, -v11
	s_delay_alu instid0(VALU_DEP_1) | instskip(SKIP_1) | instid1(VALU_DEP_1)
	v_add_f32_e32 v9, v9, v11
	v_mul_f32_e32 v11, v131, v135
	v_fma_f32 v11, v130, v134, -v11
	ds_load_2addr_b64 v[120:123], v7 offset0:111 offset1:112
	ds_load_2addr_b64 v[124:127], v7 offset0:113 offset1:114
	;; [unrolled: 1-line block ×4, first 2 shown]
	v_add_f32_e32 v9, v9, v11
	v_mul_f32_e32 v11, v137, v141
	s_delay_alu instid0(VALU_DEP_1) | instskip(NEXT) | instid1(VALU_DEP_1)
	v_fma_f32 v11, v136, v140, -v11
	v_add_f32_e32 v9, v9, v11
	v_mul_f32_e32 v11, v139, v143
	s_delay_alu instid0(VALU_DEP_1)
	v_fma_f32 v11, v138, v142, -v11
	s_wait_loadcnt_dscnt 0x303
	s_set_vgpr_msb 4                        ;  msbs: dst=0 src0=0 src1=1 src2=0
	v_pk_mul_f32 v[138:139], v[120:121], v[0:1] /*v[256:257]*/ op_sel:[1,1] op_sel_hi:[0,1]
	s_set_vgpr_msb 0                        ;  msbs: dst=0 src0=0 src1=0 src2=0
	v_add_f32_e32 v9, v9, v11
	v_mul_f32_e32 v11, v145, v149
	s_set_vgpr_msb 4                        ;  msbs: dst=0 src0=0 src1=1 src2=0
	v_pk_fma_f32 v[140:141], v[120:121], v[0:1] /*v[256:257]*/, v[138:139] neg_lo:[0,0,1] neg_hi:[0,0,1]
	v_pk_fma_f32 v[120:121], v[120:121], v[0:1] /*v[256:257]*/, v[138:139] op_sel_hi:[1,0,1]
	s_set_vgpr_msb 1                        ;  msbs: dst=0 src0=1 src1=0 src2=0
	v_mov_b32_e32 v138, v3 /*v259*/
	s_set_vgpr_msb 0                        ;  msbs: dst=0 src0=0 src1=0 src2=0
	s_delay_alu instid0(VALU_DEP_2) | instskip(NEXT) | instid1(VALU_DEP_1)
	v_dual_fma_f32 v11, v144, v148, -v11 :: v_dual_mov_b32 v141, v121
	v_add_f32_e32 v9, v9, v11
	v_mul_f32_e32 v11, v147, v151
	s_delay_alu instid0(VALU_DEP_1) | instskip(NEXT) | instid1(VALU_DEP_1)
	v_fma_f32 v11, v146, v150, -v11
	v_add_f32_e32 v9, v9, v11
	v_mul_f32_e32 v11, v153, v157
	s_delay_alu instid0(VALU_DEP_1) | instskip(NEXT) | instid1(VALU_DEP_1)
	v_fma_f32 v11, v152, v156, -v11
	;; [unrolled: 4-line block ×24, first 2 shown]
	v_add_f32_e32 v9, v9, v11
	v_mul_f32_e32 v11, v243, v247
	s_delay_alu instid0(VALU_DEP_1) | instskip(SKIP_1) | instid1(VALU_DEP_1)
	v_fma_f32 v11, v242, v246, -v11
	s_set_vgpr_msb 64                       ;  msbs: dst=1 src0=0 src1=0 src2=0
	v_dual_fmac_f32 v21 /*v277*/, v251, v254 :: v_dual_add_f32 v16 /*v272*/, v9, v11
	s_set_vgpr_msb 0                        ;  msbs: dst=0 src0=0 src1=0 src2=0
	v_mul_f32_e32 v9, v249, v253
	s_set_vgpr_msb 64                       ;  msbs: dst=1 src0=0 src1=0 src2=0
	s_delay_alu instid0(VALU_DEP_1) | instskip(SKIP_3) | instid1(VALU_DEP_1)
	v_fma_f32 v18 /*v274*/, v248, v252, -v9
	s_set_vgpr_msb 0                        ;  msbs: dst=0 src0=0 src1=0 src2=0
	v_mul_f32_e32 v9, v251, v255
	s_set_vgpr_msb 64                       ;  msbs: dst=1 src0=0 src1=0 src2=0
	v_fma_f32 v20 /*v276*/, v250, v254, -v9
	s_set_vgpr_msb 5                        ;  msbs: dst=0 src0=1 src1=1 src2=0
	v_pk_add_f32 v[136:137], v[16:17] /*v[272:273]*/, v[18:19] /*v[274:275]*/
	s_set_vgpr_msb 4                        ;  msbs: dst=0 src0=0 src1=1 src2=0
	s_delay_alu instid0(VALU_DEP_1) | instskip(SKIP_1) | instid1(VALU_DEP_1)
	v_pk_add_f32 v[136:137], v[136:137], v[20:21] /*v[276:277]*/
	s_set_vgpr_msb 0                        ;  msbs: dst=0 src0=0 src1=0 src2=0
	v_pk_add_f32 v[120:121], v[136:137], v[140:141]
	v_dual_mov_b32 v136, v123 :: v_dual_mov_b32 v137, v122
	s_delay_alu instid0(VALU_DEP_1) | instskip(SKIP_1) | instid1(VALU_DEP_1)
	v_pk_mul_f32 v[136:137], v[136:137], v[138:139] op_sel_hi:[1,0]
	s_set_vgpr_msb 4                        ;  msbs: dst=0 src0=0 src1=1 src2=0
	v_pk_fma_f32 v[138:139], v[122:123], v[2:3] /*v[258:259]*/, v[136:137] neg_lo:[0,0,1] neg_hi:[0,0,1]
	v_pk_fma_f32 v[122:123], v[122:123], v[2:3] /*v[258:259]*/, v[136:137] op_sel_hi:[1,0,1]
	s_delay_alu instid0(VALU_DEP_1) | instskip(SKIP_3) | instid1(VALU_DEP_2)
	v_mov_b32_e32 v139, v123
	s_wait_loadcnt_dscnt 0x202
	v_pk_mul_f32 v[122:123], v[124:125], v[4:5] /*v[260:261]*/ op_sel:[1,1] op_sel_hi:[0,1]
	s_set_vgpr_msb 0                        ;  msbs: dst=0 src0=0 src1=0 src2=0
	v_pk_add_f32 v[120:121], v[120:121], v[138:139]
	s_set_vgpr_msb 4                        ;  msbs: dst=0 src0=0 src1=1 src2=0
	s_delay_alu instid0(VALU_DEP_2)
	v_pk_fma_f32 v[136:137], v[124:125], v[4:5] /*v[260:261]*/, v[122:123] neg_lo:[0,0,1] neg_hi:[0,0,1]
	v_pk_fma_f32 v[122:123], v[124:125], v[4:5] /*v[260:261]*/, v[122:123] op_sel_hi:[1,0,1]
	v_mov_b32_e32 v122, v127
	s_set_vgpr_msb 1                        ;  msbs: dst=0 src0=1 src1=0 src2=0
	v_mov_b32_e32 v124, v7 /*v263*/
	s_set_vgpr_msb 0                        ;  msbs: dst=0 src0=0 src1=0 src2=0
	v_dual_mov_b32 v137, v123 :: v_dual_mov_b32 v123, v126
	s_delay_alu instid0(VALU_DEP_1) | instskip(NEXT) | instid1(VALU_DEP_2)
	v_pk_add_f32 v[120:121], v[120:121], v[136:137]
	v_pk_mul_f32 v[122:123], v[122:123], v[124:125] op_sel_hi:[1,0]
	s_set_vgpr_msb 4                        ;  msbs: dst=0 src0=0 src1=1 src2=0
	s_delay_alu instid0(VALU_DEP_1) | instskip(SKIP_1) | instid1(VALU_DEP_1)
	v_pk_fma_f32 v[124:125], v[126:127], v[6:7] /*v[262:263]*/, v[122:123] neg_lo:[0,0,1] neg_hi:[0,0,1]
	v_pk_fma_f32 v[122:123], v[126:127], v[6:7] /*v[262:263]*/, v[122:123] op_sel_hi:[1,0,1]
	v_mov_b32_e32 v125, v123
	s_wait_loadcnt_dscnt 0x101
	v_pk_mul_f32 v[122:123], v[128:129], v[8:9] /*v[264:265]*/ op_sel:[1,1] op_sel_hi:[0,1]
	s_set_vgpr_msb 0                        ;  msbs: dst=0 src0=0 src1=0 src2=0
	s_delay_alu instid0(VALU_DEP_2) | instskip(SKIP_1) | instid1(VALU_DEP_2)
	v_pk_add_f32 v[120:121], v[120:121], v[124:125]
	s_set_vgpr_msb 4                        ;  msbs: dst=0 src0=0 src1=1 src2=0
	v_pk_fma_f32 v[124:125], v[128:129], v[8:9] /*v[264:265]*/, v[122:123] neg_lo:[0,0,1] neg_hi:[0,0,1]
	v_pk_fma_f32 v[122:123], v[128:129], v[8:9] /*v[264:265]*/, v[122:123] op_sel_hi:[1,0,1]
	s_delay_alu instid0(VALU_DEP_1) | instskip(SKIP_2) | instid1(VALU_DEP_2)
	v_dual_mov_b32 v122, v131 :: v_dual_mov_b32 v125, v123
	v_mov_b32_e32 v123, v130
	s_set_vgpr_msb 0                        ;  msbs: dst=0 src0=0 src1=0 src2=0
	v_pk_add_f32 v[120:121], v[120:121], v[124:125]
	s_set_vgpr_msb 1                        ;  msbs: dst=0 src0=1 src1=0 src2=0
	v_mov_b32_e32 v124, v11 /*v267*/
	s_set_vgpr_msb 0                        ;  msbs: dst=0 src0=0 src1=0 src2=0
	s_delay_alu instid0(VALU_DEP_1) | instskip(SKIP_1) | instid1(VALU_DEP_1)
	v_pk_mul_f32 v[122:123], v[122:123], v[124:125] op_sel_hi:[1,0]
	s_set_vgpr_msb 4                        ;  msbs: dst=0 src0=0 src1=1 src2=0
	v_pk_fma_f32 v[124:125], v[130:131], v[10:11] /*v[266:267]*/, v[122:123] neg_lo:[0,0,1] neg_hi:[0,0,1]
	v_pk_fma_f32 v[122:123], v[130:131], v[10:11] /*v[266:267]*/, v[122:123] op_sel_hi:[1,0,1]
	s_delay_alu instid0(VALU_DEP_1) | instskip(SKIP_3) | instid1(VALU_DEP_2)
	v_mov_b32_e32 v125, v123
	s_wait_loadcnt_dscnt 0x0
	v_pk_mul_f32 v[122:123], v[132:133], v[12:13] /*v[268:269]*/ op_sel:[1,1] op_sel_hi:[0,1]
	s_set_vgpr_msb 0                        ;  msbs: dst=0 src0=0 src1=0 src2=0
	v_pk_add_f32 v[120:121], v[120:121], v[124:125]
	s_set_vgpr_msb 4                        ;  msbs: dst=0 src0=0 src1=1 src2=0
	s_delay_alu instid0(VALU_DEP_2) | instskip(SKIP_1) | instid1(VALU_DEP_1)
	v_pk_fma_f32 v[124:125], v[132:133], v[12:13] /*v[268:269]*/, v[122:123] neg_lo:[0,0,1] neg_hi:[0,0,1]
	v_pk_fma_f32 v[122:123], v[132:133], v[12:13] /*v[268:269]*/, v[122:123] op_sel_hi:[1,0,1]
	v_dual_mov_b32 v122, v135 :: v_dual_mov_b32 v125, v123
	v_mov_b32_e32 v123, v134
	s_set_vgpr_msb 0                        ;  msbs: dst=0 src0=0 src1=0 src2=0
	s_delay_alu instid0(VALU_DEP_2) | instskip(SKIP_3) | instid1(VALU_DEP_1)
	v_pk_add_f32 v[120:121], v[120:121], v[124:125]
	s_set_vgpr_msb 1                        ;  msbs: dst=0 src0=1 src1=0 src2=0
	v_mov_b32_e32 v124, v15 /*v271*/
	s_set_vgpr_msb 0                        ;  msbs: dst=0 src0=0 src1=0 src2=0
	v_pk_mul_f32 v[122:123], v[122:123], v[124:125] op_sel_hi:[1,0]
	s_set_vgpr_msb 4                        ;  msbs: dst=0 src0=0 src1=1 src2=0
	s_delay_alu instid0(VALU_DEP_1) | instskip(SKIP_1) | instid1(VALU_DEP_1)
	v_pk_fma_f32 v[124:125], v[134:135], v[14:15] /*v[270:271]*/, v[122:123] neg_lo:[0,0,1] neg_hi:[0,0,1]
	v_pk_fma_f32 v[122:123], v[134:135], v[14:15] /*v[270:271]*/, v[122:123] op_sel_hi:[1,0,1]
	v_mov_b32_e32 v125, v123
	scratch_load_b64 v[122:123], off, off offset:128
	s_set_vgpr_msb 0                        ;  msbs: dst=0 src0=0 src1=0 src2=0
	v_pk_add_f32 v[120:121], v[120:121], v[124:125]
	s_wait_loadcnt 0x0
	s_delay_alu instid0(VALU_DEP_1)
	v_pk_add_f32 v[120:121], v[122:123], v[120:121] neg_lo:[0,1] neg_hi:[0,1]
	scratch_store_b64 off, v[120:121], off offset:128
	s_wait_xcnt 0x0
	v_cmpx_lt_u32_e32 15, v0
	s_cbranch_execz .LBB58_337
; %bb.336:
	scratch_load_b64 v[120:121], off, off offset:120
	v_mov_b64_e32 v[122:123], 0
	scratch_store_b64 off, v[122:123], off offset:120
	s_wait_loadcnt 0x0
	ds_store_b64 v1, v[120:121]
.LBB58_337:
	s_wait_xcnt 0x0
	s_or_b32 exec_lo, exec_lo, s0
	v_mov_b32_e32 v7, 0
	s_wait_storecnt_dscnt 0x0
	s_barrier_signal -1
	s_barrier_wait -1
	ds_load_b128 v[120:123], v7 offset:608
	ds_load_b128 v[124:127], v7 offset:624
	;; [unrolled: 1-line block ×4, first 2 shown]
	s_clause 0x12
	scratch_load_b128 v[136:139], off, off offset:128
	scratch_load_b128 v[140:143], off, off offset:144
	;; [unrolled: 1-line block ×17, first 2 shown]
	s_set_vgpr_msb 64                       ;  msbs: dst=1 src0=0 src1=0 src2=0
	scratch_load_b128 v[4:7] /*v[260:263]*/, off, off offset:400
	s_mov_b32 s0, exec_lo
	s_wait_loadcnt_dscnt 0x1103
	s_set_vgpr_msb 0                        ;  msbs: dst=0 src0=0 src1=0 src2=0
	v_mul_f32_e32 v9, v120, v137
	ds_load_b128 v[248:251], v7 offset:864
	s_set_vgpr_msb 64                       ;  msbs: dst=1 src0=0 src1=0 src2=0
	ds_load_b128 v[0:3] /*v[256:259]*/, v7 offset:880
	s_set_vgpr_msb 0                        ;  msbs: dst=0 src0=0 src1=0 src2=0
	ds_load_b128 v[152:155], v7 offset:672
	ds_load_b128 v[160:163], v7 offset:688
	v_dual_fmac_f32 v9, v121, v136 :: v_dual_mul_f32 v11, v122, v139
	ds_load_b128 v[168:171], v7 offset:704
	ds_load_b128 v[176:179], v7 offset:720
	;; [unrolled: 1-line block ×4, first 2 shown]
	v_dual_add_f32 v9, 0, v9 :: v_dual_fmac_f32 v11, v123, v138
	ds_load_b128 v[200:203], v7 offset:768
	ds_load_b128 v[208:211], v7 offset:784
	;; [unrolled: 1-line block ×4, first 2 shown]
	s_wait_loadcnt_dscnt 0x100e
	v_dual_add_f32 v9, v9, v11 :: v_dual_mul_f32 v11, v124, v141
	ds_load_b128 v[232:235], v7 offset:832
	ds_load_b128 v[240:243], v7 offset:848
	s_wait_loadcnt_dscnt 0x10d
	s_set_vgpr_msb 64                       ;  msbs: dst=1 src0=0 src1=0 src2=0
	v_mul_f32_e32 v23 /*v279*/, v250, v255
	s_clause 0x3
	scratch_load_b128 v[8:11] /*v[264:267]*/, off, off offset:416
	scratch_load_b128 v[12:15] /*v[268:271]*/, off, off offset:432
	;; [unrolled: 1-line block ×3, first 2 shown]
	scratch_load_b64 v[26:27] /*v[282:283]*/, off, off offset:464
	s_set_vgpr_msb 0                        ;  msbs: dst=0 src0=0 src1=0 src2=0
	v_fmac_f32_e32 v11, v125, v140
	s_delay_alu instid0(VALU_DEP_1) | instskip(SKIP_1) | instid1(VALU_DEP_1)
	v_add_f32_e32 v9, v9, v11
	v_mul_f32_e32 v11, v126, v143
	v_fmac_f32_e32 v11, v127, v142
	s_delay_alu instid0(VALU_DEP_1) | instskip(NEXT) | instid1(VALU_DEP_1)
	v_dual_add_f32 v9, v9, v11 :: v_dual_mul_f32 v11, v128, v145
	v_fmac_f32_e32 v11, v129, v144
	s_delay_alu instid0(VALU_DEP_1) | instskip(SKIP_1) | instid1(VALU_DEP_1)
	v_add_f32_e32 v9, v9, v11
	v_mul_f32_e32 v11, v130, v147
	v_fmac_f32_e32 v11, v131, v146
	s_delay_alu instid0(VALU_DEP_1) | instskip(NEXT) | instid1(VALU_DEP_1)
	v_dual_add_f32 v9, v9, v11 :: v_dual_mul_f32 v11, v132, v149
	v_fmac_f32_e32 v11, v133, v148
	s_delay_alu instid0(VALU_DEP_1) | instskip(SKIP_1) | instid1(VALU_DEP_1)
	v_add_f32_e32 v9, v9, v11
	v_mul_f32_e32 v11, v134, v151
	v_fmac_f32_e32 v11, v135, v150
	s_wait_dscnt 0xb
	s_delay_alu instid0(VALU_DEP_1) | instskip(NEXT) | instid1(VALU_DEP_1)
	v_dual_add_f32 v9, v9, v11 :: v_dual_mul_f32 v11, v152, v157
	v_fmac_f32_e32 v11, v153, v156
	s_delay_alu instid0(VALU_DEP_1) | instskip(SKIP_1) | instid1(VALU_DEP_1)
	v_add_f32_e32 v9, v9, v11
	v_mul_f32_e32 v11, v154, v159
	v_fmac_f32_e32 v11, v155, v158
	s_wait_dscnt 0xa
	;; [unrolled: 8-line block ×12, first 2 shown]
	s_delay_alu instid0(VALU_DEP_1) | instskip(NEXT) | instid1(VALU_DEP_1)
	v_dual_add_f32 v9, v9, v11 :: v_dual_mul_f32 v11, v240, v245
	v_fmac_f32_e32 v11, v241, v244
	s_delay_alu instid0(VALU_DEP_1) | instskip(SKIP_1) | instid1(VALU_DEP_1)
	v_add_f32_e32 v9, v9, v11
	v_mul_f32_e32 v11, v242, v247
	v_fmac_f32_e32 v11, v243, v246
	s_delay_alu instid0(VALU_DEP_1) | instskip(NEXT) | instid1(VALU_DEP_1)
	v_dual_add_f32 v9, v9, v11 :: v_dual_mul_f32 v11, v248, v253
	v_fmac_f32_e32 v11, v249, v252
	s_set_vgpr_msb 64                       ;  msbs: dst=1 src0=0 src1=0 src2=0
	s_delay_alu instid0(VALU_DEP_1)
	v_add_f32_e32 v21 /*v277*/, v9, v11
	s_set_vgpr_msb 0                        ;  msbs: dst=0 src0=0 src1=0 src2=0
	v_dual_mul_f32 v9, v121, v137 :: v_dual_mul_f32 v11, v123, v139
	s_set_vgpr_msb 1                        ;  msbs: dst=0 src0=1 src1=0 src2=0
	v_mov_b32_e32 v137, v2 /*v258*/
	s_set_vgpr_msb 0                        ;  msbs: dst=0 src0=0 src1=0 src2=0
	s_delay_alu instid0(VALU_DEP_2) | instskip(SKIP_3) | instid1(VALU_DEP_2)
	v_dual_fma_f32 v9, v120, v136, -v9 :: v_dual_fma_f32 v11, v122, v138, -v11
	s_wait_loadcnt 0x4
	s_set_vgpr_msb 1                        ;  msbs: dst=0 src0=1 src1=0 src2=0
	v_dual_mov_b32 v138, v7 /*v263*/ :: v_dual_mov_b32 v136, v3 /*v259*/
	v_add_f32_e32 v9, 0, v9
	s_set_vgpr_msb 0                        ;  msbs: dst=0 src0=0 src1=0 src2=0
	s_delay_alu instid0(VALU_DEP_2) | instskip(NEXT) | instid1(VALU_DEP_2)
	v_pk_mul_f32 v[136:137], v[136:137], v[138:139] op_sel_hi:[1,0]
	v_add_f32_e32 v9, v9, v11
	v_mul_f32_e32 v11, v125, v141
	s_set_vgpr_msb 5                        ;  msbs: dst=0 src0=1 src1=1 src2=0
	s_delay_alu instid0(VALU_DEP_3) | instskip(SKIP_2) | instid1(VALU_DEP_1)
	v_pk_fma_f32 v[138:139], v[2:3] /*v[258:259]*/, v[6:7] /*v[262:263]*/, v[136:137] neg_lo:[0,0,1] neg_hi:[0,0,1]
	v_pk_fma_f32 v[136:137], v[2:3] /*v[258:259]*/, v[6:7] /*v[262:263]*/, v[136:137] op_sel_hi:[1,0,1]
	s_set_vgpr_msb 0                        ;  msbs: dst=0 src0=0 src1=0 src2=0
	v_dual_fma_f32 v11, v124, v140, -v11 :: v_dual_mov_b32 v139, v137
	s_delay_alu instid0(VALU_DEP_1) | instskip(SKIP_1) | instid1(VALU_DEP_1)
	v_add_f32_e32 v9, v9, v11
	v_mul_f32_e32 v11, v127, v143
	v_fma_f32 v11, v126, v142, -v11
	s_delay_alu instid0(VALU_DEP_1) | instskip(SKIP_1) | instid1(VALU_DEP_1)
	v_add_f32_e32 v9, v9, v11
	v_mul_f32_e32 v11, v129, v145
	v_fma_f32 v11, v128, v144, -v11
	;; [unrolled: 4-line block ×4, first 2 shown]
	ds_load_b128 v[120:123], v7 offset:896
	ds_load_b128 v[124:127], v7 offset:912
	;; [unrolled: 1-line block ×3, first 2 shown]
	ds_load_b64 v[132:133], v7 offset:944
	v_add_f32_e32 v9, v9, v11
	v_mul_f32_e32 v11, v135, v151
	s_delay_alu instid0(VALU_DEP_1) | instskip(NEXT) | instid1(VALU_DEP_1)
	v_fma_f32 v11, v134, v150, -v11
	v_add_f32_e32 v9, v9, v11
	v_mul_f32_e32 v11, v153, v157
	s_wait_loadcnt_dscnt 0x303
	s_set_vgpr_msb 4                        ;  msbs: dst=0 src0=0 src1=1 src2=0
	v_pk_mul_f32 v[136:137], v[120:121], v[8:9] /*v[264:265]*/ op_sel:[1,1] op_sel_hi:[0,1]
	s_set_vgpr_msb 0                        ;  msbs: dst=0 src0=0 src1=0 src2=0
	v_fma_f32 v11, v152, v156, -v11
	s_delay_alu instid0(VALU_DEP_1) | instskip(SKIP_1) | instid1(VALU_DEP_1)
	v_add_f32_e32 v9, v9, v11
	v_mul_f32_e32 v11, v155, v159
	v_fma_f32 v11, v154, v158, -v11
	s_delay_alu instid0(VALU_DEP_1) | instskip(SKIP_1) | instid1(VALU_DEP_1)
	v_add_f32_e32 v9, v9, v11
	v_mul_f32_e32 v11, v161, v165
	;; [unrolled: 4-line block ×24, first 2 shown]
	v_fma_f32 v11, v248, v252, -v11
	s_set_vgpr_msb 64                       ;  msbs: dst=1 src0=0 src1=0 src2=0
	s_delay_alu instid0(VALU_DEP_1) | instskip(SKIP_3) | instid1(VALU_DEP_1)
	v_add_f32_e32 v20 /*v276*/, v9, v11
	s_set_vgpr_msb 0                        ;  msbs: dst=0 src0=0 src1=0 src2=0
	v_mul_f32_e32 v9, v251, v255
	s_set_vgpr_msb 64                       ;  msbs: dst=1 src0=0 src1=0 src2=0
	v_fma_f32 v22 /*v278*/, v250, v254, -v9
	s_set_vgpr_msb 5                        ;  msbs: dst=0 src0=1 src1=1 src2=0
	v_mul_f32_e32 v9, v1 /*v257*/, v5 /*v261*/
	s_set_vgpr_msb 64                       ;  msbs: dst=1 src0=0 src1=0 src2=0
	v_fmac_f32_e32 v23 /*v279*/, v251, v254
	s_set_vgpr_msb 0x45                     ;  msbs: dst=1 src0=1 src1=1 src2=0
	s_delay_alu instid0(VALU_DEP_2) | instskip(SKIP_1) | instid1(VALU_DEP_2)
	v_dual_mul_f32 v25 /*v281*/, v0 /*v256*/, v5 /*v261*/ :: v_dual_fma_f32 v24 /*v280*/, v0 /*v256*/, v4 /*v260*/, -v9
	s_set_vgpr_msb 5                        ;  msbs: dst=0 src0=1 src1=1 src2=0
	v_pk_add_f32 v[134:135], v[20:21] /*v[276:277]*/, v[22:23] /*v[278:279]*/
	s_set_vgpr_msb 0x45                     ;  msbs: dst=1 src0=1 src1=1 src2=0
	s_delay_alu instid0(VALU_DEP_2) | instskip(SKIP_1) | instid1(VALU_DEP_1)
	v_fmac_f32_e32 v25 /*v281*/, v1 /*v257*/, v4 /*v260*/
	s_set_vgpr_msb 4                        ;  msbs: dst=0 src0=0 src1=1 src2=0
	v_pk_add_f32 v[134:135], v[134:135], v[24:25] /*v[280:281]*/
	s_set_vgpr_msb 0                        ;  msbs: dst=0 src0=0 src1=0 src2=0
	s_delay_alu instid0(VALU_DEP_1)
	v_pk_add_f32 v[134:135], v[134:135], v[138:139]
	s_set_vgpr_msb 4                        ;  msbs: dst=0 src0=0 src1=1 src2=0
	v_pk_fma_f32 v[138:139], v[120:121], v[8:9] /*v[264:265]*/, v[136:137] neg_lo:[0,0,1] neg_hi:[0,0,1]
	v_pk_fma_f32 v[120:121], v[120:121], v[8:9] /*v[264:265]*/, v[136:137] op_sel_hi:[1,0,1]
	s_set_vgpr_msb 1                        ;  msbs: dst=0 src0=1 src1=0 src2=0
	v_mov_b32_e32 v136, v11 /*v267*/
	s_set_vgpr_msb 0                        ;  msbs: dst=0 src0=0 src1=0 src2=0
	s_delay_alu instid0(VALU_DEP_2) | instskip(NEXT) | instid1(VALU_DEP_1)
	v_mov_b32_e32 v139, v121
	v_pk_add_f32 v[120:121], v[134:135], v[138:139]
	v_dual_mov_b32 v134, v123 :: v_dual_mov_b32 v135, v122
	s_delay_alu instid0(VALU_DEP_1) | instskip(SKIP_1) | instid1(VALU_DEP_1)
	v_pk_mul_f32 v[134:135], v[134:135], v[136:137] op_sel_hi:[1,0]
	s_set_vgpr_msb 4                        ;  msbs: dst=0 src0=0 src1=1 src2=0
	v_pk_fma_f32 v[136:137], v[122:123], v[10:11] /*v[266:267]*/, v[134:135] neg_lo:[0,0,1] neg_hi:[0,0,1]
	v_pk_fma_f32 v[122:123], v[122:123], v[10:11] /*v[266:267]*/, v[134:135] op_sel_hi:[1,0,1]
	s_delay_alu instid0(VALU_DEP_1) | instskip(SKIP_3) | instid1(VALU_DEP_2)
	v_mov_b32_e32 v137, v123
	s_wait_loadcnt_dscnt 0x202
	v_pk_mul_f32 v[122:123], v[124:125], v[12:13] /*v[268:269]*/ op_sel:[1,1] op_sel_hi:[0,1]
	s_set_vgpr_msb 0                        ;  msbs: dst=0 src0=0 src1=0 src2=0
	v_pk_add_f32 v[120:121], v[120:121], v[136:137]
	s_set_vgpr_msb 4                        ;  msbs: dst=0 src0=0 src1=1 src2=0
	s_delay_alu instid0(VALU_DEP_2)
	v_pk_fma_f32 v[134:135], v[124:125], v[12:13] /*v[268:269]*/, v[122:123] neg_lo:[0,0,1] neg_hi:[0,0,1]
	v_pk_fma_f32 v[122:123], v[124:125], v[12:13] /*v[268:269]*/, v[122:123] op_sel_hi:[1,0,1]
	v_mov_b32_e32 v122, v127
	s_set_vgpr_msb 1                        ;  msbs: dst=0 src0=1 src1=0 src2=0
	v_mov_b32_e32 v124, v15 /*v271*/
	s_set_vgpr_msb 0                        ;  msbs: dst=0 src0=0 src1=0 src2=0
	v_dual_mov_b32 v135, v123 :: v_dual_mov_b32 v123, v126
	s_delay_alu instid0(VALU_DEP_1) | instskip(NEXT) | instid1(VALU_DEP_2)
	v_pk_add_f32 v[120:121], v[120:121], v[134:135]
	v_pk_mul_f32 v[122:123], v[122:123], v[124:125] op_sel_hi:[1,0]
	s_set_vgpr_msb 4                        ;  msbs: dst=0 src0=0 src1=1 src2=0
	s_delay_alu instid0(VALU_DEP_1) | instskip(SKIP_1) | instid1(VALU_DEP_1)
	v_pk_fma_f32 v[124:125], v[126:127], v[14:15] /*v[270:271]*/, v[122:123] neg_lo:[0,0,1] neg_hi:[0,0,1]
	v_pk_fma_f32 v[122:123], v[126:127], v[14:15] /*v[270:271]*/, v[122:123] op_sel_hi:[1,0,1]
	v_mov_b32_e32 v125, v123
	s_wait_loadcnt_dscnt 0x101
	v_pk_mul_f32 v[122:123], v[128:129], v[16:17] /*v[272:273]*/ op_sel:[1,1] op_sel_hi:[0,1]
	s_set_vgpr_msb 0                        ;  msbs: dst=0 src0=0 src1=0 src2=0
	s_delay_alu instid0(VALU_DEP_2) | instskip(SKIP_1) | instid1(VALU_DEP_2)
	v_pk_add_f32 v[120:121], v[120:121], v[124:125]
	s_set_vgpr_msb 4                        ;  msbs: dst=0 src0=0 src1=1 src2=0
	v_pk_fma_f32 v[124:125], v[128:129], v[16:17] /*v[272:273]*/, v[122:123] neg_lo:[0,0,1] neg_hi:[0,0,1]
	v_pk_fma_f32 v[122:123], v[128:129], v[16:17] /*v[272:273]*/, v[122:123] op_sel_hi:[1,0,1]
	s_delay_alu instid0(VALU_DEP_1) | instskip(SKIP_2) | instid1(VALU_DEP_2)
	v_dual_mov_b32 v122, v131 :: v_dual_mov_b32 v125, v123
	v_mov_b32_e32 v123, v130
	s_set_vgpr_msb 0                        ;  msbs: dst=0 src0=0 src1=0 src2=0
	v_pk_add_f32 v[120:121], v[120:121], v[124:125]
	s_set_vgpr_msb 1                        ;  msbs: dst=0 src0=1 src1=0 src2=0
	v_mov_b32_e32 v124, v19 /*v275*/
	s_set_vgpr_msb 0                        ;  msbs: dst=0 src0=0 src1=0 src2=0
	s_delay_alu instid0(VALU_DEP_1) | instskip(SKIP_1) | instid1(VALU_DEP_1)
	v_pk_mul_f32 v[122:123], v[122:123], v[124:125] op_sel_hi:[1,0]
	s_set_vgpr_msb 4                        ;  msbs: dst=0 src0=0 src1=1 src2=0
	v_pk_fma_f32 v[124:125], v[130:131], v[18:19] /*v[274:275]*/, v[122:123] neg_lo:[0,0,1] neg_hi:[0,0,1]
	v_pk_fma_f32 v[122:123], v[130:131], v[18:19] /*v[274:275]*/, v[122:123] op_sel_hi:[1,0,1]
	s_delay_alu instid0(VALU_DEP_1) | instskip(SKIP_3) | instid1(VALU_DEP_2)
	v_mov_b32_e32 v125, v123
	s_wait_loadcnt_dscnt 0x0
	v_pk_mul_f32 v[122:123], v[132:133], v[26:27] /*v[282:283]*/ op_sel:[1,1] op_sel_hi:[0,1]
	s_set_vgpr_msb 0                        ;  msbs: dst=0 src0=0 src1=0 src2=0
	v_pk_add_f32 v[120:121], v[120:121], v[124:125]
	s_set_vgpr_msb 4                        ;  msbs: dst=0 src0=0 src1=1 src2=0
	s_delay_alu instid0(VALU_DEP_2) | instskip(SKIP_1) | instid1(VALU_DEP_1)
	v_pk_fma_f32 v[124:125], v[132:133], v[26:27] /*v[282:283]*/, v[122:123] neg_lo:[0,0,1] neg_hi:[0,0,1]
	v_pk_fma_f32 v[122:123], v[132:133], v[26:27] /*v[282:283]*/, v[122:123] op_sel_hi:[1,0,1]
	v_mov_b32_e32 v125, v123
	scratch_load_b64 v[122:123], off, off offset:120
	s_set_vgpr_msb 0                        ;  msbs: dst=0 src0=0 src1=0 src2=0
	v_pk_add_f32 v[120:121], v[120:121], v[124:125]
	s_wait_loadcnt 0x0
	s_delay_alu instid0(VALU_DEP_1)
	v_pk_add_f32 v[120:121], v[122:123], v[120:121] neg_lo:[0,1] neg_hi:[0,1]
	scratch_store_b64 off, v[120:121], off offset:120
	s_wait_xcnt 0x0
	v_cmpx_lt_u32_e32 14, v0
	s_cbranch_execz .LBB58_339
; %bb.338:
	scratch_load_b64 v[120:121], off, off offset:112
	v_mov_b64_e32 v[122:123], 0
	scratch_store_b64 off, v[122:123], off offset:112
	s_wait_loadcnt 0x0
	ds_store_b64 v1, v[120:121]
.LBB58_339:
	s_wait_xcnt 0x0
	s_or_b32 exec_lo, exec_lo, s0
	s_wait_storecnt_dscnt 0x0
	s_barrier_signal -1
	s_barrier_wait -1
	s_clause 0xf
	scratch_load_b128 v[124:127], off, off offset:120
	scratch_load_b128 v[132:135], off, off offset:136
	;; [unrolled: 1-line block ×16, first 2 shown]
	ds_load_2addr_b64 v[120:123], v7 offset0:75 offset1:76
	ds_load_2addr_b64 v[128:131], v7 offset0:77 offset1:78
	s_clause 0x2
	scratch_load_b128 v[252:255], off, off offset:376
	s_set_vgpr_msb 64                       ;  msbs: dst=1 src0=0 src1=0 src2=0
	scratch_load_b128 v[4:7] /*v[260:263]*/, off, off offset:392
	s_set_vgpr_msb 0                        ;  msbs: dst=0 src0=0 src1=0 src2=0
	ds_load_2addr_b64 v[136:139], v7 offset0:79 offset1:80
	ds_load_2addr_b64 v[144:147], v7 offset0:81 offset1:82
	;; [unrolled: 1-line block ×15, first 2 shown]
	s_set_vgpr_msb 64                       ;  msbs: dst=1 src0=0 src1=0 src2=0
	ds_load_2addr_b64 v[0:3] /*v[256:259]*/, v7 offset0:109 offset1:110
	s_clause 0x3
	scratch_load_b128 v[8:11] /*v[264:267]*/, off, off offset:408
	scratch_load_b128 v[12:15] /*v[268:271]*/, off, off offset:424
	;; [unrolled: 1-line block ×4, first 2 shown]
	s_mov_b32 s0, exec_lo
	s_wait_loadcnt_dscnt 0x1511
	s_set_vgpr_msb 0                        ;  msbs: dst=0 src0=0 src1=0 src2=0
	v_dual_mul_f32 v9, v120, v125 :: v_dual_mul_f32 v11, v122, v127
	s_delay_alu instid0(VALU_DEP_1) | instskip(NEXT) | instid1(VALU_DEP_1)
	v_dual_fmac_f32 v9, v121, v124 :: v_dual_fmac_f32 v11, v123, v126
	v_add_f32_e32 v9, 0, v9
	s_wait_loadcnt_dscnt 0x1410
	s_delay_alu instid0(VALU_DEP_1)
	v_dual_add_f32 v9, v9, v11 :: v_dual_mul_f32 v11, v128, v133
	s_wait_loadcnt_dscnt 0x400
	s_set_vgpr_msb 0x45                     ;  msbs: dst=1 src0=1 src1=1 src2=0
	v_dual_mul_f32 v27 /*v283*/, v0 /*v256*/, v5 /*v261*/ :: v_dual_mul_f32 v29 /*v285*/, v2 /*v258*/, v7 /*v263*/
	s_set_vgpr_msb 0                        ;  msbs: dst=0 src0=0 src1=0 src2=0
	v_fmac_f32_e32 v11, v129, v132
	s_set_vgpr_msb 0x45                     ;  msbs: dst=1 src0=1 src1=1 src2=0
	s_delay_alu instid0(VALU_DEP_2) | instskip(SKIP_1) | instid1(VALU_DEP_2)
	v_dual_fmac_f32 v27 /*v283*/, v1 /*v257*/, v4 /*v260*/ :: v_dual_fmac_f32 v29 /*v285*/, v3 /*v259*/, v6 /*v262*/
	s_set_vgpr_msb 0                        ;  msbs: dst=0 src0=0 src1=0 src2=0
	v_add_f32_e32 v9, v9, v11
	v_mul_f32_e32 v11, v130, v135
	s_delay_alu instid0(VALU_DEP_1) | instskip(NEXT) | instid1(VALU_DEP_1)
	v_fmac_f32_e32 v11, v131, v134
	v_dual_add_f32 v9, v9, v11 :: v_dual_mul_f32 v11, v136, v141
	s_delay_alu instid0(VALU_DEP_1) | instskip(NEXT) | instid1(VALU_DEP_1)
	v_fmac_f32_e32 v11, v137, v140
	v_add_f32_e32 v9, v9, v11
	v_mul_f32_e32 v11, v138, v143
	s_delay_alu instid0(VALU_DEP_1) | instskip(NEXT) | instid1(VALU_DEP_1)
	v_fmac_f32_e32 v11, v139, v142
	v_dual_add_f32 v9, v9, v11 :: v_dual_mul_f32 v11, v144, v149
	s_delay_alu instid0(VALU_DEP_1) | instskip(NEXT) | instid1(VALU_DEP_1)
	v_fmac_f32_e32 v11, v145, v148
	;; [unrolled: 7-line block ×15, first 2 shown]
	v_add_f32_e32 v9, v9, v11
	v_mul_f32_e32 v11, v250, v255
	s_delay_alu instid0(VALU_DEP_1) | instskip(SKIP_1) | instid1(VALU_DEP_1)
	v_fmac_f32_e32 v11, v251, v254
	s_set_vgpr_msb 64                       ;  msbs: dst=1 src0=0 src1=0 src2=0
	v_add_f32_e32 v25 /*v281*/, v9, v11
	s_set_vgpr_msb 0                        ;  msbs: dst=0 src0=0 src1=0 src2=0
	v_dual_mul_f32 v9, v121, v125 :: v_dual_mul_f32 v11, v123, v127
	s_delay_alu instid0(VALU_DEP_1) | instskip(NEXT) | instid1(VALU_DEP_1)
	v_dual_fma_f32 v9, v120, v124, -v9 :: v_dual_fma_f32 v11, v122, v126, -v11
	v_add_f32_e32 v9, 0, v9
	s_delay_alu instid0(VALU_DEP_1) | instskip(SKIP_1) | instid1(VALU_DEP_1)
	v_add_f32_e32 v9, v9, v11
	v_mul_f32_e32 v11, v129, v133
	v_fma_f32 v11, v128, v132, -v11
	s_delay_alu instid0(VALU_DEP_1) | instskip(SKIP_1) | instid1(VALU_DEP_1)
	v_add_f32_e32 v9, v9, v11
	v_mul_f32_e32 v11, v131, v135
	v_fma_f32 v11, v130, v134, -v11
	ds_load_2addr_b64 v[120:123], v7 offset0:111 offset1:112
	ds_load_2addr_b64 v[124:127], v7 offset0:113 offset1:114
	;; [unrolled: 1-line block ×4, first 2 shown]
	v_add_f32_e32 v9, v9, v11
	v_mul_f32_e32 v11, v137, v141
	s_delay_alu instid0(VALU_DEP_1) | instskip(NEXT) | instid1(VALU_DEP_1)
	v_fma_f32 v11, v136, v140, -v11
	v_add_f32_e32 v9, v9, v11
	v_mul_f32_e32 v11, v139, v143
	s_delay_alu instid0(VALU_DEP_1)
	v_fma_f32 v11, v138, v142, -v11
	s_wait_loadcnt_dscnt 0x303
	s_set_vgpr_msb 4                        ;  msbs: dst=0 src0=0 src1=1 src2=0
	v_pk_mul_f32 v[138:139], v[120:121], v[8:9] /*v[264:265]*/ op_sel:[1,1] op_sel_hi:[0,1]
	s_set_vgpr_msb 0                        ;  msbs: dst=0 src0=0 src1=0 src2=0
	v_add_f32_e32 v9, v9, v11
	v_mul_f32_e32 v11, v145, v149
	s_set_vgpr_msb 4                        ;  msbs: dst=0 src0=0 src1=1 src2=0
	v_pk_fma_f32 v[140:141], v[120:121], v[8:9] /*v[264:265]*/, v[138:139] neg_lo:[0,0,1] neg_hi:[0,0,1]
	v_pk_fma_f32 v[120:121], v[120:121], v[8:9] /*v[264:265]*/, v[138:139] op_sel_hi:[1,0,1]
	s_set_vgpr_msb 1                        ;  msbs: dst=0 src0=1 src1=0 src2=0
	v_mov_b32_e32 v138, v11 /*v267*/
	s_set_vgpr_msb 0                        ;  msbs: dst=0 src0=0 src1=0 src2=0
	s_delay_alu instid0(VALU_DEP_2) | instskip(NEXT) | instid1(VALU_DEP_1)
	v_dual_fma_f32 v11, v144, v148, -v11 :: v_dual_mov_b32 v141, v121
	v_add_f32_e32 v9, v9, v11
	v_mul_f32_e32 v11, v147, v151
	s_delay_alu instid0(VALU_DEP_1) | instskip(NEXT) | instid1(VALU_DEP_1)
	v_fma_f32 v11, v146, v150, -v11
	v_add_f32_e32 v9, v9, v11
	v_mul_f32_e32 v11, v153, v157
	s_delay_alu instid0(VALU_DEP_1) | instskip(NEXT) | instid1(VALU_DEP_1)
	v_fma_f32 v11, v152, v156, -v11
	;; [unrolled: 4-line block ×26, first 2 shown]
	v_add_f32_e32 v9, v9, v11
	v_mul_f32_e32 v11, v251, v255
	s_delay_alu instid0(VALU_DEP_1) | instskip(SKIP_1) | instid1(VALU_DEP_1)
	v_fma_f32 v11, v250, v254, -v11
	s_set_vgpr_msb 64                       ;  msbs: dst=1 src0=0 src1=0 src2=0
	v_add_f32_e32 v24 /*v280*/, v9, v11
	s_set_vgpr_msb 5                        ;  msbs: dst=0 src0=1 src1=1 src2=0
	v_mul_f32_e32 v9, v1 /*v257*/, v5 /*v261*/
	s_set_vgpr_msb 0x45                     ;  msbs: dst=1 src0=1 src1=1 src2=0
	s_delay_alu instid0(VALU_DEP_1) | instskip(SKIP_3) | instid1(VALU_DEP_1)
	v_fma_f32 v26 /*v282*/, v0 /*v256*/, v4 /*v260*/, -v9
	s_set_vgpr_msb 5                        ;  msbs: dst=0 src0=1 src1=1 src2=0
	v_mul_f32_e32 v9, v3 /*v259*/, v7 /*v263*/
	s_set_vgpr_msb 0x45                     ;  msbs: dst=1 src0=1 src1=1 src2=0
	v_fma_f32 v28 /*v284*/, v2 /*v258*/, v6 /*v262*/, -v9
	s_set_vgpr_msb 5                        ;  msbs: dst=0 src0=1 src1=1 src2=0
	v_pk_add_f32 v[136:137], v[24:25] /*v[280:281]*/, v[26:27] /*v[282:283]*/
	s_set_vgpr_msb 4                        ;  msbs: dst=0 src0=0 src1=1 src2=0
	s_delay_alu instid0(VALU_DEP_1) | instskip(SKIP_1) | instid1(VALU_DEP_1)
	v_pk_add_f32 v[136:137], v[136:137], v[28:29] /*v[284:285]*/
	s_set_vgpr_msb 0                        ;  msbs: dst=0 src0=0 src1=0 src2=0
	v_pk_add_f32 v[120:121], v[136:137], v[140:141]
	v_dual_mov_b32 v136, v123 :: v_dual_mov_b32 v137, v122
	s_delay_alu instid0(VALU_DEP_1) | instskip(SKIP_1) | instid1(VALU_DEP_1)
	v_pk_mul_f32 v[136:137], v[136:137], v[138:139] op_sel_hi:[1,0]
	s_set_vgpr_msb 4                        ;  msbs: dst=0 src0=0 src1=1 src2=0
	v_pk_fma_f32 v[138:139], v[122:123], v[10:11] /*v[266:267]*/, v[136:137] neg_lo:[0,0,1] neg_hi:[0,0,1]
	v_pk_fma_f32 v[122:123], v[122:123], v[10:11] /*v[266:267]*/, v[136:137] op_sel_hi:[1,0,1]
	s_delay_alu instid0(VALU_DEP_1) | instskip(SKIP_3) | instid1(VALU_DEP_2)
	v_mov_b32_e32 v139, v123
	s_wait_loadcnt_dscnt 0x202
	v_pk_mul_f32 v[122:123], v[124:125], v[12:13] /*v[268:269]*/ op_sel:[1,1] op_sel_hi:[0,1]
	s_set_vgpr_msb 0                        ;  msbs: dst=0 src0=0 src1=0 src2=0
	v_pk_add_f32 v[120:121], v[120:121], v[138:139]
	s_set_vgpr_msb 4                        ;  msbs: dst=0 src0=0 src1=1 src2=0
	s_delay_alu instid0(VALU_DEP_2)
	v_pk_fma_f32 v[136:137], v[124:125], v[12:13] /*v[268:269]*/, v[122:123] neg_lo:[0,0,1] neg_hi:[0,0,1]
	v_pk_fma_f32 v[122:123], v[124:125], v[12:13] /*v[268:269]*/, v[122:123] op_sel_hi:[1,0,1]
	v_mov_b32_e32 v122, v127
	s_set_vgpr_msb 1                        ;  msbs: dst=0 src0=1 src1=0 src2=0
	v_mov_b32_e32 v124, v15 /*v271*/
	s_set_vgpr_msb 0                        ;  msbs: dst=0 src0=0 src1=0 src2=0
	v_dual_mov_b32 v137, v123 :: v_dual_mov_b32 v123, v126
	s_delay_alu instid0(VALU_DEP_1) | instskip(NEXT) | instid1(VALU_DEP_2)
	v_pk_add_f32 v[120:121], v[120:121], v[136:137]
	v_pk_mul_f32 v[122:123], v[122:123], v[124:125] op_sel_hi:[1,0]
	s_set_vgpr_msb 4                        ;  msbs: dst=0 src0=0 src1=1 src2=0
	s_delay_alu instid0(VALU_DEP_1) | instskip(SKIP_1) | instid1(VALU_DEP_1)
	v_pk_fma_f32 v[124:125], v[126:127], v[14:15] /*v[270:271]*/, v[122:123] neg_lo:[0,0,1] neg_hi:[0,0,1]
	v_pk_fma_f32 v[122:123], v[126:127], v[14:15] /*v[270:271]*/, v[122:123] op_sel_hi:[1,0,1]
	v_mov_b32_e32 v125, v123
	s_wait_loadcnt_dscnt 0x101
	v_pk_mul_f32 v[122:123], v[128:129], v[16:17] /*v[272:273]*/ op_sel:[1,1] op_sel_hi:[0,1]
	s_set_vgpr_msb 0                        ;  msbs: dst=0 src0=0 src1=0 src2=0
	s_delay_alu instid0(VALU_DEP_2) | instskip(SKIP_1) | instid1(VALU_DEP_2)
	v_pk_add_f32 v[120:121], v[120:121], v[124:125]
	s_set_vgpr_msb 4                        ;  msbs: dst=0 src0=0 src1=1 src2=0
	v_pk_fma_f32 v[124:125], v[128:129], v[16:17] /*v[272:273]*/, v[122:123] neg_lo:[0,0,1] neg_hi:[0,0,1]
	v_pk_fma_f32 v[122:123], v[128:129], v[16:17] /*v[272:273]*/, v[122:123] op_sel_hi:[1,0,1]
	s_delay_alu instid0(VALU_DEP_1) | instskip(SKIP_2) | instid1(VALU_DEP_2)
	v_dual_mov_b32 v122, v131 :: v_dual_mov_b32 v125, v123
	v_mov_b32_e32 v123, v130
	s_set_vgpr_msb 0                        ;  msbs: dst=0 src0=0 src1=0 src2=0
	v_pk_add_f32 v[120:121], v[120:121], v[124:125]
	s_set_vgpr_msb 1                        ;  msbs: dst=0 src0=1 src1=0 src2=0
	v_mov_b32_e32 v124, v19 /*v275*/
	s_set_vgpr_msb 0                        ;  msbs: dst=0 src0=0 src1=0 src2=0
	s_delay_alu instid0(VALU_DEP_1) | instskip(SKIP_1) | instid1(VALU_DEP_1)
	v_pk_mul_f32 v[122:123], v[122:123], v[124:125] op_sel_hi:[1,0]
	s_set_vgpr_msb 4                        ;  msbs: dst=0 src0=0 src1=1 src2=0
	v_pk_fma_f32 v[124:125], v[130:131], v[18:19] /*v[274:275]*/, v[122:123] neg_lo:[0,0,1] neg_hi:[0,0,1]
	v_pk_fma_f32 v[122:123], v[130:131], v[18:19] /*v[274:275]*/, v[122:123] op_sel_hi:[1,0,1]
	s_delay_alu instid0(VALU_DEP_1) | instskip(SKIP_3) | instid1(VALU_DEP_2)
	v_mov_b32_e32 v125, v123
	s_wait_loadcnt_dscnt 0x0
	v_pk_mul_f32 v[122:123], v[132:133], v[20:21] /*v[276:277]*/ op_sel:[1,1] op_sel_hi:[0,1]
	s_set_vgpr_msb 0                        ;  msbs: dst=0 src0=0 src1=0 src2=0
	v_pk_add_f32 v[120:121], v[120:121], v[124:125]
	s_set_vgpr_msb 4                        ;  msbs: dst=0 src0=0 src1=1 src2=0
	s_delay_alu instid0(VALU_DEP_2) | instskip(SKIP_1) | instid1(VALU_DEP_1)
	v_pk_fma_f32 v[124:125], v[132:133], v[20:21] /*v[276:277]*/, v[122:123] neg_lo:[0,0,1] neg_hi:[0,0,1]
	v_pk_fma_f32 v[122:123], v[132:133], v[20:21] /*v[276:277]*/, v[122:123] op_sel_hi:[1,0,1]
	v_dual_mov_b32 v122, v135 :: v_dual_mov_b32 v125, v123
	v_mov_b32_e32 v123, v134
	s_set_vgpr_msb 0                        ;  msbs: dst=0 src0=0 src1=0 src2=0
	s_delay_alu instid0(VALU_DEP_2) | instskip(SKIP_3) | instid1(VALU_DEP_1)
	v_pk_add_f32 v[120:121], v[120:121], v[124:125]
	s_set_vgpr_msb 1                        ;  msbs: dst=0 src0=1 src1=0 src2=0
	v_mov_b32_e32 v124, v23 /*v279*/
	s_set_vgpr_msb 0                        ;  msbs: dst=0 src0=0 src1=0 src2=0
	v_pk_mul_f32 v[122:123], v[122:123], v[124:125] op_sel_hi:[1,0]
	s_set_vgpr_msb 4                        ;  msbs: dst=0 src0=0 src1=1 src2=0
	s_delay_alu instid0(VALU_DEP_1) | instskip(SKIP_1) | instid1(VALU_DEP_1)
	v_pk_fma_f32 v[124:125], v[134:135], v[22:23] /*v[278:279]*/, v[122:123] neg_lo:[0,0,1] neg_hi:[0,0,1]
	v_pk_fma_f32 v[122:123], v[134:135], v[22:23] /*v[278:279]*/, v[122:123] op_sel_hi:[1,0,1]
	v_mov_b32_e32 v125, v123
	scratch_load_b64 v[122:123], off, off offset:112
	s_set_vgpr_msb 0                        ;  msbs: dst=0 src0=0 src1=0 src2=0
	v_pk_add_f32 v[120:121], v[120:121], v[124:125]
	s_wait_loadcnt 0x0
	s_delay_alu instid0(VALU_DEP_1)
	v_pk_add_f32 v[120:121], v[122:123], v[120:121] neg_lo:[0,1] neg_hi:[0,1]
	scratch_store_b64 off, v[120:121], off offset:112
	s_wait_xcnt 0x0
	v_cmpx_lt_u32_e32 13, v0
	s_cbranch_execz .LBB58_341
; %bb.340:
	scratch_load_b64 v[120:121], off, off offset:104
	v_mov_b64_e32 v[122:123], 0
	scratch_store_b64 off, v[122:123], off offset:104
	s_wait_loadcnt 0x0
	ds_store_b64 v1, v[120:121]
.LBB58_341:
	s_wait_xcnt 0x0
	s_or_b32 exec_lo, exec_lo, s0
	v_mov_b32_e32 v7, 0
	s_wait_storecnt_dscnt 0x0
	s_barrier_signal -1
	s_barrier_wait -1
	ds_load_b128 v[120:123], v7 offset:592
	ds_load_b128 v[124:127], v7 offset:608
	;; [unrolled: 1-line block ×4, first 2 shown]
	s_clause 0x13
	scratch_load_b128 v[136:139], off, off offset:112
	scratch_load_b128 v[140:143], off, off offset:128
	;; [unrolled: 1-line block ×17, first 2 shown]
	s_set_vgpr_msb 64                       ;  msbs: dst=1 src0=0 src1=0 src2=0
	scratch_load_b128 v[4:7] /*v[260:263]*/, off, off offset:384
	scratch_load_b128 v[12:15] /*v[268:271]*/, off, off offset:400
	s_mov_b32 s0, exec_lo
	s_wait_loadcnt_dscnt 0x1203
	s_set_vgpr_msb 0                        ;  msbs: dst=0 src0=0 src1=0 src2=0
	v_mul_f32_e32 v9, v120, v137
	ds_load_b128 v[152:155], v7 offset:656
	ds_load_b128 v[160:163], v7 offset:672
	;; [unrolled: 1-line block ×4, first 2 shown]
	v_dual_fmac_f32 v9, v121, v136 :: v_dual_mul_f32 v11, v122, v139
	ds_load_b128 v[184:187], v7 offset:720
	ds_load_b128 v[192:195], v7 offset:736
	;; [unrolled: 1-line block ×4, first 2 shown]
	v_dual_add_f32 v9, 0, v9 :: v_dual_fmac_f32 v11, v123, v138
	ds_load_b128 v[216:219], v7 offset:784
	ds_load_b128 v[224:227], v7 offset:800
	;; [unrolled: 1-line block ×4, first 2 shown]
	s_wait_loadcnt_dscnt 0x110e
	v_dual_add_f32 v9, v9, v11 :: v_dual_mul_f32 v11, v124, v141
	ds_load_b128 v[248:251], v7 offset:848
	s_set_vgpr_msb 64                       ;  msbs: dst=1 src0=0 src1=0 src2=0
	ds_load_b128 v[0:3] /*v[256:259]*/, v7 offset:864
	ds_load_b128 v[8:11] /*v[264:267]*/, v7 offset:880
	s_clause 0x3
	scratch_load_b128 v[16:19] /*v[272:275]*/, off, off offset:416
	scratch_load_b128 v[20:23] /*v[276:279]*/, off, off offset:432
	;; [unrolled: 1-line block ×3, first 2 shown]
	scratch_load_b64 v[34:35] /*v[290:291]*/, off, off offset:464
	s_set_vgpr_msb 0                        ;  msbs: dst=0 src0=0 src1=0 src2=0
	v_fmac_f32_e32 v11, v125, v140
	s_delay_alu instid0(VALU_DEP_1) | instskip(SKIP_1) | instid1(VALU_DEP_1)
	v_add_f32_e32 v9, v9, v11
	v_mul_f32_e32 v11, v126, v143
	v_fmac_f32_e32 v11, v127, v142
	s_wait_loadcnt_dscnt 0x1410
	s_delay_alu instid0(VALU_DEP_1)
	v_dual_add_f32 v9, v9, v11 :: v_dual_mul_f32 v11, v128, v145
	s_wait_loadcnt_dscnt 0x400
	s_set_vgpr_msb 0x45                     ;  msbs: dst=1 src0=1 src1=1 src2=0
	v_dual_mul_f32 v31 /*v287*/, v2 /*v258*/, v7 /*v263*/ :: v_dual_mul_f32 v33 /*v289*/, v8 /*v264*/, v13 /*v269*/
	s_set_vgpr_msb 0                        ;  msbs: dst=0 src0=0 src1=0 src2=0
	v_fmac_f32_e32 v11, v129, v144
	s_set_vgpr_msb 0x45                     ;  msbs: dst=1 src0=1 src1=1 src2=0
	s_delay_alu instid0(VALU_DEP_2) | instskip(SKIP_1) | instid1(VALU_DEP_2)
	v_dual_fmac_f32 v31 /*v287*/, v3 /*v259*/, v6 /*v262*/ :: v_dual_fmac_f32 v33 /*v289*/, v9 /*v265*/, v12 /*v268*/
	s_set_vgpr_msb 0                        ;  msbs: dst=0 src0=0 src1=0 src2=0
	v_add_f32_e32 v9, v9, v11
	v_mul_f32_e32 v11, v130, v147
	s_delay_alu instid0(VALU_DEP_1) | instskip(NEXT) | instid1(VALU_DEP_1)
	v_fmac_f32_e32 v11, v131, v146
	v_dual_add_f32 v9, v9, v11 :: v_dual_mul_f32 v11, v132, v149
	s_delay_alu instid0(VALU_DEP_1) | instskip(NEXT) | instid1(VALU_DEP_1)
	v_fmac_f32_e32 v11, v133, v148
	v_add_f32_e32 v9, v9, v11
	v_mul_f32_e32 v11, v134, v151
	s_delay_alu instid0(VALU_DEP_1) | instskip(NEXT) | instid1(VALU_DEP_1)
	v_fmac_f32_e32 v11, v135, v150
	v_dual_add_f32 v9, v9, v11 :: v_dual_mul_f32 v11, v152, v157
	s_delay_alu instid0(VALU_DEP_1) | instskip(NEXT) | instid1(VALU_DEP_1)
	v_fmac_f32_e32 v11, v153, v156
	;; [unrolled: 7-line block ×14, first 2 shown]
	v_add_f32_e32 v9, v9, v11
	v_mul_f32_e32 v11, v250, v255
	s_delay_alu instid0(VALU_DEP_1) | instskip(NEXT) | instid1(VALU_DEP_1)
	v_fmac_f32_e32 v11, v251, v254
	v_add_f32_e32 v9, v9, v11
	s_set_vgpr_msb 5                        ;  msbs: dst=0 src0=1 src1=1 src2=0
	v_mul_f32_e32 v11, v0 /*v256*/, v5 /*v261*/
	s_delay_alu instid0(VALU_DEP_1) | instskip(SKIP_1) | instid1(VALU_DEP_1)
	v_fmac_f32_e32 v11, v1 /*v257*/, v4 /*v260*/
	s_set_vgpr_msb 64                       ;  msbs: dst=1 src0=0 src1=0 src2=0
	v_add_f32_e32 v29 /*v285*/, v9, v11
	s_set_vgpr_msb 0                        ;  msbs: dst=0 src0=0 src1=0 src2=0
	v_dual_mul_f32 v9, v121, v137 :: v_dual_mul_f32 v11, v123, v139
	s_set_vgpr_msb 1                        ;  msbs: dst=0 src0=1 src1=0 src2=0
	v_mov_b32_e32 v137, v10 /*v266*/
	s_set_vgpr_msb 0                        ;  msbs: dst=0 src0=0 src1=0 src2=0
	s_delay_alu instid0(VALU_DEP_2) | instskip(SKIP_2) | instid1(VALU_DEP_2)
	v_dual_fma_f32 v9, v120, v136, -v9 :: v_dual_fma_f32 v11, v122, v138, -v11
	s_set_vgpr_msb 1                        ;  msbs: dst=0 src0=1 src1=0 src2=0
	v_dual_mov_b32 v136, v11 /*v267*/ :: v_dual_mov_b32 v138, v15 /*v271*/
	v_add_f32_e32 v9, 0, v9
	s_set_vgpr_msb 0                        ;  msbs: dst=0 src0=0 src1=0 src2=0
	s_delay_alu instid0(VALU_DEP_2) | instskip(NEXT) | instid1(VALU_DEP_2)
	v_pk_mul_f32 v[136:137], v[136:137], v[138:139] op_sel_hi:[1,0]
	v_add_f32_e32 v9, v9, v11
	v_mul_f32_e32 v11, v125, v141
	s_set_vgpr_msb 5                        ;  msbs: dst=0 src0=1 src1=1 src2=0
	s_delay_alu instid0(VALU_DEP_3) | instskip(SKIP_2) | instid1(VALU_DEP_1)
	v_pk_fma_f32 v[138:139], v[10:11] /*v[266:267]*/, v[14:15] /*v[270:271]*/, v[136:137] neg_lo:[0,0,1] neg_hi:[0,0,1]
	v_pk_fma_f32 v[136:137], v[10:11] /*v[266:267]*/, v[14:15] /*v[270:271]*/, v[136:137] op_sel_hi:[1,0,1]
	s_set_vgpr_msb 0                        ;  msbs: dst=0 src0=0 src1=0 src2=0
	v_dual_fma_f32 v11, v124, v140, -v11 :: v_dual_mov_b32 v139, v137
	s_delay_alu instid0(VALU_DEP_1) | instskip(SKIP_1) | instid1(VALU_DEP_1)
	v_add_f32_e32 v9, v9, v11
	v_mul_f32_e32 v11, v127, v143
	v_fma_f32 v11, v126, v142, -v11
	s_delay_alu instid0(VALU_DEP_1) | instskip(SKIP_1) | instid1(VALU_DEP_1)
	v_add_f32_e32 v9, v9, v11
	v_mul_f32_e32 v11, v129, v145
	v_fma_f32 v11, v128, v144, -v11
	s_delay_alu instid0(VALU_DEP_1) | instskip(SKIP_1) | instid1(VALU_DEP_1)
	v_add_f32_e32 v9, v9, v11
	v_mul_f32_e32 v11, v131, v147
	v_fma_f32 v11, v130, v146, -v11
	s_delay_alu instid0(VALU_DEP_1) | instskip(SKIP_1) | instid1(VALU_DEP_1)
	v_add_f32_e32 v9, v9, v11
	v_mul_f32_e32 v11, v133, v149
	v_fma_f32 v11, v132, v148, -v11
	ds_load_b128 v[120:123], v7 offset:896
	ds_load_b128 v[124:127], v7 offset:912
	;; [unrolled: 1-line block ×3, first 2 shown]
	ds_load_b64 v[132:133], v7 offset:944
	v_add_f32_e32 v9, v9, v11
	v_mul_f32_e32 v11, v135, v151
	s_delay_alu instid0(VALU_DEP_1) | instskip(NEXT) | instid1(VALU_DEP_1)
	v_fma_f32 v11, v134, v150, -v11
	v_add_f32_e32 v9, v9, v11
	v_mul_f32_e32 v11, v153, v157
	s_wait_loadcnt_dscnt 0x303
	s_set_vgpr_msb 4                        ;  msbs: dst=0 src0=0 src1=1 src2=0
	v_pk_mul_f32 v[136:137], v[120:121], v[16:17] /*v[272:273]*/ op_sel:[1,1] op_sel_hi:[0,1]
	s_set_vgpr_msb 0                        ;  msbs: dst=0 src0=0 src1=0 src2=0
	v_fma_f32 v11, v152, v156, -v11
	s_delay_alu instid0(VALU_DEP_1) | instskip(SKIP_1) | instid1(VALU_DEP_1)
	v_add_f32_e32 v9, v9, v11
	v_mul_f32_e32 v11, v155, v159
	v_fma_f32 v11, v154, v158, -v11
	s_delay_alu instid0(VALU_DEP_1) | instskip(SKIP_1) | instid1(VALU_DEP_1)
	v_add_f32_e32 v9, v9, v11
	v_mul_f32_e32 v11, v161, v165
	;; [unrolled: 4-line block ×25, first 2 shown]
	v_fma_f32 v11, v250, v254, -v11
	s_delay_alu instid0(VALU_DEP_1) | instskip(SKIP_2) | instid1(VALU_DEP_1)
	v_add_f32_e32 v9, v9, v11
	s_set_vgpr_msb 5                        ;  msbs: dst=0 src0=1 src1=1 src2=0
	v_mul_f32_e32 v11, v1 /*v257*/, v5 /*v261*/
	v_fma_f32 v11, v0 /*v256*/, v4 /*v260*/, -v11
	s_set_vgpr_msb 64                       ;  msbs: dst=1 src0=0 src1=0 src2=0
	s_delay_alu instid0(VALU_DEP_1) | instskip(SKIP_3) | instid1(VALU_DEP_1)
	v_add_f32_e32 v28 /*v284*/, v9, v11
	s_set_vgpr_msb 5                        ;  msbs: dst=0 src0=1 src1=1 src2=0
	v_mul_f32_e32 v9, v3 /*v259*/, v7 /*v263*/
	s_set_vgpr_msb 0x45                     ;  msbs: dst=1 src0=1 src1=1 src2=0
	v_fma_f32 v30 /*v286*/, v2 /*v258*/, v6 /*v262*/, -v9
	s_set_vgpr_msb 5                        ;  msbs: dst=0 src0=1 src1=1 src2=0
	v_mul_f32_e32 v9, v9 /*v265*/, v13 /*v269*/
	s_set_vgpr_msb 0x45                     ;  msbs: dst=1 src0=1 src1=1 src2=0
	s_delay_alu instid0(VALU_DEP_1) | instskip(SKIP_3) | instid1(VALU_DEP_1)
	v_fma_f32 v32 /*v288*/, v8 /*v264*/, v12 /*v268*/, -v9
	s_set_vgpr_msb 5                        ;  msbs: dst=0 src0=1 src1=1 src2=0
	v_pk_add_f32 v[134:135], v[28:29] /*v[284:285]*/, v[30:31] /*v[286:287]*/
	s_set_vgpr_msb 4                        ;  msbs: dst=0 src0=0 src1=1 src2=0
	v_pk_add_f32 v[134:135], v[134:135], v[32:33] /*v[288:289]*/
	s_set_vgpr_msb 0                        ;  msbs: dst=0 src0=0 src1=0 src2=0
	s_delay_alu instid0(VALU_DEP_1)
	v_pk_add_f32 v[134:135], v[134:135], v[138:139]
	s_set_vgpr_msb 4                        ;  msbs: dst=0 src0=0 src1=1 src2=0
	v_pk_fma_f32 v[138:139], v[120:121], v[16:17] /*v[272:273]*/, v[136:137] neg_lo:[0,0,1] neg_hi:[0,0,1]
	v_pk_fma_f32 v[120:121], v[120:121], v[16:17] /*v[272:273]*/, v[136:137] op_sel_hi:[1,0,1]
	s_set_vgpr_msb 1                        ;  msbs: dst=0 src0=1 src1=0 src2=0
	v_mov_b32_e32 v136, v19 /*v275*/
	s_set_vgpr_msb 0                        ;  msbs: dst=0 src0=0 src1=0 src2=0
	s_delay_alu instid0(VALU_DEP_2) | instskip(NEXT) | instid1(VALU_DEP_1)
	v_mov_b32_e32 v139, v121
	v_pk_add_f32 v[120:121], v[134:135], v[138:139]
	v_dual_mov_b32 v134, v123 :: v_dual_mov_b32 v135, v122
	s_delay_alu instid0(VALU_DEP_1) | instskip(SKIP_1) | instid1(VALU_DEP_1)
	v_pk_mul_f32 v[134:135], v[134:135], v[136:137] op_sel_hi:[1,0]
	s_set_vgpr_msb 4                        ;  msbs: dst=0 src0=0 src1=1 src2=0
	v_pk_fma_f32 v[136:137], v[122:123], v[18:19] /*v[274:275]*/, v[134:135] neg_lo:[0,0,1] neg_hi:[0,0,1]
	v_pk_fma_f32 v[122:123], v[122:123], v[18:19] /*v[274:275]*/, v[134:135] op_sel_hi:[1,0,1]
	s_delay_alu instid0(VALU_DEP_1) | instskip(SKIP_3) | instid1(VALU_DEP_2)
	v_mov_b32_e32 v137, v123
	s_wait_loadcnt_dscnt 0x202
	v_pk_mul_f32 v[122:123], v[124:125], v[20:21] /*v[276:277]*/ op_sel:[1,1] op_sel_hi:[0,1]
	s_set_vgpr_msb 0                        ;  msbs: dst=0 src0=0 src1=0 src2=0
	v_pk_add_f32 v[120:121], v[120:121], v[136:137]
	s_set_vgpr_msb 4                        ;  msbs: dst=0 src0=0 src1=1 src2=0
	s_delay_alu instid0(VALU_DEP_2)
	v_pk_fma_f32 v[134:135], v[124:125], v[20:21] /*v[276:277]*/, v[122:123] neg_lo:[0,0,1] neg_hi:[0,0,1]
	v_pk_fma_f32 v[122:123], v[124:125], v[20:21] /*v[276:277]*/, v[122:123] op_sel_hi:[1,0,1]
	v_mov_b32_e32 v122, v127
	s_set_vgpr_msb 1                        ;  msbs: dst=0 src0=1 src1=0 src2=0
	v_mov_b32_e32 v124, v23 /*v279*/
	s_set_vgpr_msb 0                        ;  msbs: dst=0 src0=0 src1=0 src2=0
	v_dual_mov_b32 v135, v123 :: v_dual_mov_b32 v123, v126
	s_delay_alu instid0(VALU_DEP_1) | instskip(NEXT) | instid1(VALU_DEP_2)
	v_pk_add_f32 v[120:121], v[120:121], v[134:135]
	v_pk_mul_f32 v[122:123], v[122:123], v[124:125] op_sel_hi:[1,0]
	s_set_vgpr_msb 4                        ;  msbs: dst=0 src0=0 src1=1 src2=0
	s_delay_alu instid0(VALU_DEP_1) | instskip(SKIP_1) | instid1(VALU_DEP_1)
	v_pk_fma_f32 v[124:125], v[126:127], v[22:23] /*v[278:279]*/, v[122:123] neg_lo:[0,0,1] neg_hi:[0,0,1]
	v_pk_fma_f32 v[122:123], v[126:127], v[22:23] /*v[278:279]*/, v[122:123] op_sel_hi:[1,0,1]
	v_mov_b32_e32 v125, v123
	s_wait_loadcnt_dscnt 0x101
	v_pk_mul_f32 v[122:123], v[128:129], v[24:25] /*v[280:281]*/ op_sel:[1,1] op_sel_hi:[0,1]
	s_set_vgpr_msb 0                        ;  msbs: dst=0 src0=0 src1=0 src2=0
	s_delay_alu instid0(VALU_DEP_2) | instskip(SKIP_1) | instid1(VALU_DEP_2)
	v_pk_add_f32 v[120:121], v[120:121], v[124:125]
	s_set_vgpr_msb 4                        ;  msbs: dst=0 src0=0 src1=1 src2=0
	v_pk_fma_f32 v[124:125], v[128:129], v[24:25] /*v[280:281]*/, v[122:123] neg_lo:[0,0,1] neg_hi:[0,0,1]
	v_pk_fma_f32 v[122:123], v[128:129], v[24:25] /*v[280:281]*/, v[122:123] op_sel_hi:[1,0,1]
	s_delay_alu instid0(VALU_DEP_1) | instskip(SKIP_2) | instid1(VALU_DEP_2)
	v_dual_mov_b32 v122, v131 :: v_dual_mov_b32 v125, v123
	v_mov_b32_e32 v123, v130
	s_set_vgpr_msb 0                        ;  msbs: dst=0 src0=0 src1=0 src2=0
	v_pk_add_f32 v[120:121], v[120:121], v[124:125]
	s_set_vgpr_msb 1                        ;  msbs: dst=0 src0=1 src1=0 src2=0
	v_mov_b32_e32 v124, v27 /*v283*/
	s_set_vgpr_msb 0                        ;  msbs: dst=0 src0=0 src1=0 src2=0
	s_delay_alu instid0(VALU_DEP_1) | instskip(SKIP_1) | instid1(VALU_DEP_1)
	v_pk_mul_f32 v[122:123], v[122:123], v[124:125] op_sel_hi:[1,0]
	s_set_vgpr_msb 4                        ;  msbs: dst=0 src0=0 src1=1 src2=0
	v_pk_fma_f32 v[124:125], v[130:131], v[26:27] /*v[282:283]*/, v[122:123] neg_lo:[0,0,1] neg_hi:[0,0,1]
	v_pk_fma_f32 v[122:123], v[130:131], v[26:27] /*v[282:283]*/, v[122:123] op_sel_hi:[1,0,1]
	s_delay_alu instid0(VALU_DEP_1) | instskip(SKIP_3) | instid1(VALU_DEP_2)
	v_mov_b32_e32 v125, v123
	s_wait_loadcnt_dscnt 0x0
	v_pk_mul_f32 v[122:123], v[132:133], v[34:35] /*v[290:291]*/ op_sel:[1,1] op_sel_hi:[0,1]
	s_set_vgpr_msb 0                        ;  msbs: dst=0 src0=0 src1=0 src2=0
	v_pk_add_f32 v[120:121], v[120:121], v[124:125]
	s_set_vgpr_msb 4                        ;  msbs: dst=0 src0=0 src1=1 src2=0
	s_delay_alu instid0(VALU_DEP_2) | instskip(SKIP_1) | instid1(VALU_DEP_1)
	v_pk_fma_f32 v[124:125], v[132:133], v[34:35] /*v[290:291]*/, v[122:123] neg_lo:[0,0,1] neg_hi:[0,0,1]
	v_pk_fma_f32 v[122:123], v[132:133], v[34:35] /*v[290:291]*/, v[122:123] op_sel_hi:[1,0,1]
	v_mov_b32_e32 v125, v123
	scratch_load_b64 v[122:123], off, off offset:104
	s_set_vgpr_msb 0                        ;  msbs: dst=0 src0=0 src1=0 src2=0
	v_pk_add_f32 v[120:121], v[120:121], v[124:125]
	s_wait_loadcnt 0x0
	s_delay_alu instid0(VALU_DEP_1)
	v_pk_add_f32 v[120:121], v[122:123], v[120:121] neg_lo:[0,1] neg_hi:[0,1]
	scratch_store_b64 off, v[120:121], off offset:104
	s_wait_xcnt 0x0
	v_cmpx_lt_u32_e32 12, v0
	s_cbranch_execz .LBB58_343
; %bb.342:
	scratch_load_b64 v[120:121], off, off offset:96
	v_mov_b64_e32 v[122:123], 0
	scratch_store_b64 off, v[122:123], off offset:96
	s_wait_loadcnt 0x0
	ds_store_b64 v1, v[120:121]
.LBB58_343:
	s_wait_xcnt 0x0
	s_or_b32 exec_lo, exec_lo, s0
	s_wait_storecnt_dscnt 0x0
	s_barrier_signal -1
	s_barrier_wait -1
	s_clause 0xf
	scratch_load_b128 v[124:127], off, off offset:104
	scratch_load_b128 v[132:135], off, off offset:120
	;; [unrolled: 1-line block ×16, first 2 shown]
	ds_load_2addr_b64 v[120:123], v7 offset0:73 offset1:74
	ds_load_2addr_b64 v[128:131], v7 offset0:75 offset1:76
	s_clause 0x2
	scratch_load_b128 v[252:255], off, off offset:360
	s_set_vgpr_msb 64                       ;  msbs: dst=1 src0=0 src1=0 src2=0
	scratch_load_b128 v[4:7] /*v[260:263]*/, off, off offset:376
	s_set_vgpr_msb 0                        ;  msbs: dst=0 src0=0 src1=0 src2=0
	ds_load_2addr_b64 v[136:139], v7 offset0:77 offset1:78
	ds_load_2addr_b64 v[144:147], v7 offset0:79 offset1:80
	;; [unrolled: 1-line block ×15, first 2 shown]
	s_set_vgpr_msb 64                       ;  msbs: dst=1 src0=0 src1=0 src2=0
	ds_load_2addr_b64 v[0:3] /*v[256:259]*/, v7 offset0:107 offset1:108
	ds_load_2addr_b64 v[8:11] /*v[264:267]*/, v7 offset0:109 offset1:110
	s_clause 0x4
	scratch_load_b128 v[12:15] /*v[268:271]*/, off, off offset:392
	scratch_load_b128 v[16:19] /*v[272:275]*/, off, off offset:408
	;; [unrolled: 1-line block ×5, first 2 shown]
	s_mov_b32 s0, exec_lo
	s_wait_loadcnt_dscnt 0x1612
	s_set_vgpr_msb 0                        ;  msbs: dst=0 src0=0 src1=0 src2=0
	v_dual_mul_f32 v9, v120, v125 :: v_dual_mul_f32 v11, v122, v127
	s_delay_alu instid0(VALU_DEP_1) | instskip(NEXT) | instid1(VALU_DEP_1)
	v_dual_fmac_f32 v9, v121, v124 :: v_dual_fmac_f32 v11, v123, v126
	v_add_f32_e32 v9, 0, v9
	s_wait_loadcnt_dscnt 0x1511
	s_delay_alu instid0(VALU_DEP_1) | instskip(NEXT) | instid1(VALU_DEP_1)
	v_dual_add_f32 v9, v9, v11 :: v_dual_mul_f32 v11, v128, v133
	v_fmac_f32_e32 v11, v129, v132
	s_delay_alu instid0(VALU_DEP_1) | instskip(SKIP_1) | instid1(VALU_DEP_1)
	v_add_f32_e32 v9, v9, v11
	v_mul_f32_e32 v11, v130, v135
	v_fmac_f32_e32 v11, v131, v134
	s_wait_loadcnt_dscnt 0x1410
	s_delay_alu instid0(VALU_DEP_1)
	v_dual_add_f32 v9, v9, v11 :: v_dual_mul_f32 v11, v136, v141
	s_wait_loadcnt_dscnt 0x400
	s_set_vgpr_msb 0x45                     ;  msbs: dst=1 src0=1 src1=1 src2=0
	v_dual_mul_f32 v35 /*v291*/, v8 /*v264*/, v13 /*v269*/ :: v_dual_mul_f32 v37 /*v293*/, v10 /*v266*/, v15 /*v271*/
	s_set_vgpr_msb 0                        ;  msbs: dst=0 src0=0 src1=0 src2=0
	v_fmac_f32_e32 v11, v137, v140
	s_set_vgpr_msb 0x45                     ;  msbs: dst=1 src0=1 src1=1 src2=0
	s_delay_alu instid0(VALU_DEP_2) | instskip(SKIP_1) | instid1(VALU_DEP_2)
	v_dual_fmac_f32 v35 /*v291*/, v9 /*v265*/, v12 /*v268*/ :: v_dual_fmac_f32 v37 /*v293*/, v11 /*v267*/, v14 /*v270*/
	s_set_vgpr_msb 0                        ;  msbs: dst=0 src0=0 src1=0 src2=0
	v_add_f32_e32 v9, v9, v11
	v_mul_f32_e32 v11, v138, v143
	s_delay_alu instid0(VALU_DEP_1) | instskip(NEXT) | instid1(VALU_DEP_1)
	v_fmac_f32_e32 v11, v139, v142
	v_dual_add_f32 v9, v9, v11 :: v_dual_mul_f32 v11, v144, v149
	s_delay_alu instid0(VALU_DEP_1) | instskip(NEXT) | instid1(VALU_DEP_1)
	v_fmac_f32_e32 v11, v145, v148
	v_add_f32_e32 v9, v9, v11
	v_mul_f32_e32 v11, v146, v151
	s_delay_alu instid0(VALU_DEP_1) | instskip(NEXT) | instid1(VALU_DEP_1)
	v_fmac_f32_e32 v11, v147, v150
	v_dual_add_f32 v9, v9, v11 :: v_dual_mul_f32 v11, v152, v157
	s_delay_alu instid0(VALU_DEP_1) | instskip(NEXT) | instid1(VALU_DEP_1)
	v_fmac_f32_e32 v11, v153, v156
	;; [unrolled: 7-line block ×14, first 2 shown]
	v_add_f32_e32 v9, v9, v11
	v_mul_f32_e32 v11, v250, v255
	s_delay_alu instid0(VALU_DEP_1) | instskip(NEXT) | instid1(VALU_DEP_1)
	v_fmac_f32_e32 v11, v251, v254
	v_add_f32_e32 v9, v9, v11
	s_set_vgpr_msb 5                        ;  msbs: dst=0 src0=1 src1=1 src2=0
	v_mul_f32_e32 v11, v0 /*v256*/, v5 /*v261*/
	s_delay_alu instid0(VALU_DEP_1) | instskip(SKIP_1) | instid1(VALU_DEP_1)
	v_fmac_f32_e32 v11, v1 /*v257*/, v4 /*v260*/
	s_set_vgpr_msb 0                        ;  msbs: dst=0 src0=0 src1=0 src2=0
	v_add_f32_e32 v9, v9, v11
	s_set_vgpr_msb 5                        ;  msbs: dst=0 src0=1 src1=1 src2=0
	v_mul_f32_e32 v11, v2 /*v258*/, v7 /*v263*/
	s_delay_alu instid0(VALU_DEP_1) | instskip(SKIP_1) | instid1(VALU_DEP_1)
	v_fmac_f32_e32 v11, v3 /*v259*/, v6 /*v262*/
	s_set_vgpr_msb 64                       ;  msbs: dst=1 src0=0 src1=0 src2=0
	v_add_f32_e32 v33 /*v289*/, v9, v11
	s_set_vgpr_msb 0                        ;  msbs: dst=0 src0=0 src1=0 src2=0
	v_dual_mul_f32 v9, v121, v125 :: v_dual_mul_f32 v11, v123, v127
	s_delay_alu instid0(VALU_DEP_1) | instskip(NEXT) | instid1(VALU_DEP_1)
	v_dual_fma_f32 v9, v120, v124, -v9 :: v_dual_fma_f32 v11, v122, v126, -v11
	v_add_f32_e32 v9, 0, v9
	s_delay_alu instid0(VALU_DEP_1) | instskip(SKIP_1) | instid1(VALU_DEP_1)
	v_add_f32_e32 v9, v9, v11
	v_mul_f32_e32 v11, v129, v133
	v_fma_f32 v11, v128, v132, -v11
	s_delay_alu instid0(VALU_DEP_1) | instskip(SKIP_1) | instid1(VALU_DEP_1)
	v_add_f32_e32 v9, v9, v11
	v_mul_f32_e32 v11, v131, v135
	v_fma_f32 v11, v130, v134, -v11
	ds_load_2addr_b64 v[120:123], v7 offset0:111 offset1:112
	ds_load_2addr_b64 v[124:127], v7 offset0:113 offset1:114
	;; [unrolled: 1-line block ×4, first 2 shown]
	v_add_f32_e32 v9, v9, v11
	v_mul_f32_e32 v11, v137, v141
	s_delay_alu instid0(VALU_DEP_1) | instskip(NEXT) | instid1(VALU_DEP_1)
	v_fma_f32 v11, v136, v140, -v11
	v_add_f32_e32 v9, v9, v11
	v_mul_f32_e32 v11, v139, v143
	s_delay_alu instid0(VALU_DEP_1)
	v_fma_f32 v11, v138, v142, -v11
	s_wait_loadcnt_dscnt 0x303
	s_set_vgpr_msb 4                        ;  msbs: dst=0 src0=0 src1=1 src2=0
	v_pk_mul_f32 v[138:139], v[120:121], v[16:17] /*v[272:273]*/ op_sel:[1,1] op_sel_hi:[0,1]
	s_set_vgpr_msb 0                        ;  msbs: dst=0 src0=0 src1=0 src2=0
	v_add_f32_e32 v9, v9, v11
	v_mul_f32_e32 v11, v145, v149
	s_set_vgpr_msb 4                        ;  msbs: dst=0 src0=0 src1=1 src2=0
	v_pk_fma_f32 v[140:141], v[120:121], v[16:17] /*v[272:273]*/, v[138:139] neg_lo:[0,0,1] neg_hi:[0,0,1]
	v_pk_fma_f32 v[120:121], v[120:121], v[16:17] /*v[272:273]*/, v[138:139] op_sel_hi:[1,0,1]
	s_set_vgpr_msb 1                        ;  msbs: dst=0 src0=1 src1=0 src2=0
	v_mov_b32_e32 v138, v19 /*v275*/
	s_set_vgpr_msb 0                        ;  msbs: dst=0 src0=0 src1=0 src2=0
	s_delay_alu instid0(VALU_DEP_2) | instskip(NEXT) | instid1(VALU_DEP_1)
	v_dual_fma_f32 v11, v144, v148, -v11 :: v_dual_mov_b32 v141, v121
	v_add_f32_e32 v9, v9, v11
	v_mul_f32_e32 v11, v147, v151
	s_delay_alu instid0(VALU_DEP_1) | instskip(NEXT) | instid1(VALU_DEP_1)
	v_fma_f32 v11, v146, v150, -v11
	v_add_f32_e32 v9, v9, v11
	v_mul_f32_e32 v11, v153, v157
	s_delay_alu instid0(VALU_DEP_1) | instskip(NEXT) | instid1(VALU_DEP_1)
	v_fma_f32 v11, v152, v156, -v11
	;; [unrolled: 4-line block ×27, first 2 shown]
	v_add_f32_e32 v9, v9, v11
	s_set_vgpr_msb 5                        ;  msbs: dst=0 src0=1 src1=1 src2=0
	v_mul_f32_e32 v11, v1 /*v257*/, v5 /*v261*/
	s_delay_alu instid0(VALU_DEP_1) | instskip(SKIP_1) | instid1(VALU_DEP_1)
	v_fma_f32 v11, v0 /*v256*/, v4 /*v260*/, -v11
	s_set_vgpr_msb 0                        ;  msbs: dst=0 src0=0 src1=0 src2=0
	v_add_f32_e32 v9, v9, v11
	s_set_vgpr_msb 5                        ;  msbs: dst=0 src0=1 src1=1 src2=0
	v_mul_f32_e32 v11, v3 /*v259*/, v7 /*v263*/
	s_delay_alu instid0(VALU_DEP_1) | instskip(SKIP_1) | instid1(VALU_DEP_1)
	v_fma_f32 v11, v2 /*v258*/, v6 /*v262*/, -v11
	s_set_vgpr_msb 64                       ;  msbs: dst=1 src0=0 src1=0 src2=0
	v_add_f32_e32 v32 /*v288*/, v9, v11
	s_set_vgpr_msb 5                        ;  msbs: dst=0 src0=1 src1=1 src2=0
	v_mul_f32_e32 v9, v9 /*v265*/, v13 /*v269*/
	s_set_vgpr_msb 0x45                     ;  msbs: dst=1 src0=1 src1=1 src2=0
	s_delay_alu instid0(VALU_DEP_1) | instskip(SKIP_3) | instid1(VALU_DEP_1)
	v_fma_f32 v34 /*v290*/, v8 /*v264*/, v12 /*v268*/, -v9
	s_set_vgpr_msb 5                        ;  msbs: dst=0 src0=1 src1=1 src2=0
	v_mul_f32_e32 v9, v11 /*v267*/, v15 /*v271*/
	s_set_vgpr_msb 0x45                     ;  msbs: dst=1 src0=1 src1=1 src2=0
	v_fma_f32 v36 /*v292*/, v10 /*v266*/, v14 /*v270*/, -v9
	s_set_vgpr_msb 5                        ;  msbs: dst=0 src0=1 src1=1 src2=0
	v_pk_add_f32 v[136:137], v[32:33] /*v[288:289]*/, v[34:35] /*v[290:291]*/
	s_set_vgpr_msb 4                        ;  msbs: dst=0 src0=0 src1=1 src2=0
	s_delay_alu instid0(VALU_DEP_1) | instskip(SKIP_1) | instid1(VALU_DEP_1)
	v_pk_add_f32 v[136:137], v[136:137], v[36:37] /*v[292:293]*/
	s_set_vgpr_msb 0                        ;  msbs: dst=0 src0=0 src1=0 src2=0
	v_pk_add_f32 v[120:121], v[136:137], v[140:141]
	v_dual_mov_b32 v136, v123 :: v_dual_mov_b32 v137, v122
	s_delay_alu instid0(VALU_DEP_1) | instskip(SKIP_1) | instid1(VALU_DEP_1)
	v_pk_mul_f32 v[136:137], v[136:137], v[138:139] op_sel_hi:[1,0]
	s_set_vgpr_msb 4                        ;  msbs: dst=0 src0=0 src1=1 src2=0
	v_pk_fma_f32 v[138:139], v[122:123], v[18:19] /*v[274:275]*/, v[136:137] neg_lo:[0,0,1] neg_hi:[0,0,1]
	v_pk_fma_f32 v[122:123], v[122:123], v[18:19] /*v[274:275]*/, v[136:137] op_sel_hi:[1,0,1]
	s_delay_alu instid0(VALU_DEP_1) | instskip(SKIP_3) | instid1(VALU_DEP_2)
	v_mov_b32_e32 v139, v123
	s_wait_loadcnt_dscnt 0x202
	v_pk_mul_f32 v[122:123], v[124:125], v[20:21] /*v[276:277]*/ op_sel:[1,1] op_sel_hi:[0,1]
	s_set_vgpr_msb 0                        ;  msbs: dst=0 src0=0 src1=0 src2=0
	v_pk_add_f32 v[120:121], v[120:121], v[138:139]
	s_set_vgpr_msb 4                        ;  msbs: dst=0 src0=0 src1=1 src2=0
	s_delay_alu instid0(VALU_DEP_2)
	v_pk_fma_f32 v[136:137], v[124:125], v[20:21] /*v[276:277]*/, v[122:123] neg_lo:[0,0,1] neg_hi:[0,0,1]
	v_pk_fma_f32 v[122:123], v[124:125], v[20:21] /*v[276:277]*/, v[122:123] op_sel_hi:[1,0,1]
	v_mov_b32_e32 v122, v127
	s_set_vgpr_msb 1                        ;  msbs: dst=0 src0=1 src1=0 src2=0
	v_mov_b32_e32 v124, v23 /*v279*/
	s_set_vgpr_msb 0                        ;  msbs: dst=0 src0=0 src1=0 src2=0
	v_dual_mov_b32 v137, v123 :: v_dual_mov_b32 v123, v126
	s_delay_alu instid0(VALU_DEP_1) | instskip(NEXT) | instid1(VALU_DEP_2)
	v_pk_add_f32 v[120:121], v[120:121], v[136:137]
	v_pk_mul_f32 v[122:123], v[122:123], v[124:125] op_sel_hi:[1,0]
	s_set_vgpr_msb 4                        ;  msbs: dst=0 src0=0 src1=1 src2=0
	s_delay_alu instid0(VALU_DEP_1) | instskip(SKIP_1) | instid1(VALU_DEP_1)
	v_pk_fma_f32 v[124:125], v[126:127], v[22:23] /*v[278:279]*/, v[122:123] neg_lo:[0,0,1] neg_hi:[0,0,1]
	v_pk_fma_f32 v[122:123], v[126:127], v[22:23] /*v[278:279]*/, v[122:123] op_sel_hi:[1,0,1]
	v_mov_b32_e32 v125, v123
	s_wait_loadcnt_dscnt 0x101
	v_pk_mul_f32 v[122:123], v[128:129], v[24:25] /*v[280:281]*/ op_sel:[1,1] op_sel_hi:[0,1]
	s_set_vgpr_msb 0                        ;  msbs: dst=0 src0=0 src1=0 src2=0
	s_delay_alu instid0(VALU_DEP_2) | instskip(SKIP_1) | instid1(VALU_DEP_2)
	v_pk_add_f32 v[120:121], v[120:121], v[124:125]
	s_set_vgpr_msb 4                        ;  msbs: dst=0 src0=0 src1=1 src2=0
	v_pk_fma_f32 v[124:125], v[128:129], v[24:25] /*v[280:281]*/, v[122:123] neg_lo:[0,0,1] neg_hi:[0,0,1]
	v_pk_fma_f32 v[122:123], v[128:129], v[24:25] /*v[280:281]*/, v[122:123] op_sel_hi:[1,0,1]
	s_delay_alu instid0(VALU_DEP_1) | instskip(SKIP_2) | instid1(VALU_DEP_2)
	v_dual_mov_b32 v122, v131 :: v_dual_mov_b32 v125, v123
	v_mov_b32_e32 v123, v130
	s_set_vgpr_msb 0                        ;  msbs: dst=0 src0=0 src1=0 src2=0
	v_pk_add_f32 v[120:121], v[120:121], v[124:125]
	s_set_vgpr_msb 1                        ;  msbs: dst=0 src0=1 src1=0 src2=0
	v_mov_b32_e32 v124, v27 /*v283*/
	s_set_vgpr_msb 0                        ;  msbs: dst=0 src0=0 src1=0 src2=0
	s_delay_alu instid0(VALU_DEP_1) | instskip(SKIP_1) | instid1(VALU_DEP_1)
	v_pk_mul_f32 v[122:123], v[122:123], v[124:125] op_sel_hi:[1,0]
	s_set_vgpr_msb 4                        ;  msbs: dst=0 src0=0 src1=1 src2=0
	v_pk_fma_f32 v[124:125], v[130:131], v[26:27] /*v[282:283]*/, v[122:123] neg_lo:[0,0,1] neg_hi:[0,0,1]
	v_pk_fma_f32 v[122:123], v[130:131], v[26:27] /*v[282:283]*/, v[122:123] op_sel_hi:[1,0,1]
	s_delay_alu instid0(VALU_DEP_1) | instskip(SKIP_3) | instid1(VALU_DEP_2)
	v_mov_b32_e32 v125, v123
	s_wait_loadcnt_dscnt 0x0
	v_pk_mul_f32 v[122:123], v[132:133], v[28:29] /*v[284:285]*/ op_sel:[1,1] op_sel_hi:[0,1]
	s_set_vgpr_msb 0                        ;  msbs: dst=0 src0=0 src1=0 src2=0
	v_pk_add_f32 v[120:121], v[120:121], v[124:125]
	s_set_vgpr_msb 4                        ;  msbs: dst=0 src0=0 src1=1 src2=0
	s_delay_alu instid0(VALU_DEP_2) | instskip(SKIP_1) | instid1(VALU_DEP_1)
	v_pk_fma_f32 v[124:125], v[132:133], v[28:29] /*v[284:285]*/, v[122:123] neg_lo:[0,0,1] neg_hi:[0,0,1]
	v_pk_fma_f32 v[122:123], v[132:133], v[28:29] /*v[284:285]*/, v[122:123] op_sel_hi:[1,0,1]
	v_dual_mov_b32 v122, v135 :: v_dual_mov_b32 v125, v123
	v_mov_b32_e32 v123, v134
	s_set_vgpr_msb 0                        ;  msbs: dst=0 src0=0 src1=0 src2=0
	s_delay_alu instid0(VALU_DEP_2) | instskip(SKIP_3) | instid1(VALU_DEP_1)
	v_pk_add_f32 v[120:121], v[120:121], v[124:125]
	s_set_vgpr_msb 1                        ;  msbs: dst=0 src0=1 src1=0 src2=0
	v_mov_b32_e32 v124, v31 /*v287*/
	s_set_vgpr_msb 0                        ;  msbs: dst=0 src0=0 src1=0 src2=0
	v_pk_mul_f32 v[122:123], v[122:123], v[124:125] op_sel_hi:[1,0]
	s_set_vgpr_msb 4                        ;  msbs: dst=0 src0=0 src1=1 src2=0
	s_delay_alu instid0(VALU_DEP_1) | instskip(SKIP_1) | instid1(VALU_DEP_1)
	v_pk_fma_f32 v[124:125], v[134:135], v[30:31] /*v[286:287]*/, v[122:123] neg_lo:[0,0,1] neg_hi:[0,0,1]
	v_pk_fma_f32 v[122:123], v[134:135], v[30:31] /*v[286:287]*/, v[122:123] op_sel_hi:[1,0,1]
	v_mov_b32_e32 v125, v123
	scratch_load_b64 v[122:123], off, off offset:96
	s_set_vgpr_msb 0                        ;  msbs: dst=0 src0=0 src1=0 src2=0
	v_pk_add_f32 v[120:121], v[120:121], v[124:125]
	s_wait_loadcnt 0x0
	s_delay_alu instid0(VALU_DEP_1)
	v_pk_add_f32 v[120:121], v[122:123], v[120:121] neg_lo:[0,1] neg_hi:[0,1]
	scratch_store_b64 off, v[120:121], off offset:96
	s_wait_xcnt 0x0
	v_cmpx_lt_u32_e32 11, v0
	s_cbranch_execz .LBB58_345
; %bb.344:
	scratch_load_b64 v[120:121], off, off offset:88
	v_mov_b64_e32 v[122:123], 0
	scratch_store_b64 off, v[122:123], off offset:88
	s_wait_loadcnt 0x0
	ds_store_b64 v1, v[120:121]
.LBB58_345:
	s_wait_xcnt 0x0
	s_or_b32 exec_lo, exec_lo, s0
	v_mov_b32_e32 v7, 0
	s_wait_storecnt_dscnt 0x0
	s_barrier_signal -1
	s_barrier_wait -1
	ds_load_b128 v[120:123], v7 offset:576
	ds_load_b128 v[124:127], v7 offset:592
	;; [unrolled: 1-line block ×4, first 2 shown]
	s_clause 0x14
	scratch_load_b128 v[136:139], off, off offset:96
	scratch_load_b128 v[140:143], off, off offset:112
	;; [unrolled: 1-line block ×17, first 2 shown]
	s_set_vgpr_msb 64                       ;  msbs: dst=1 src0=0 src1=0 src2=0
	scratch_load_b128 v[4:7] /*v[260:263]*/, off, off offset:368
	scratch_load_b128 v[12:15] /*v[268:271]*/, off, off offset:384
	;; [unrolled: 1-line block ×3, first 2 shown]
	s_mov_b32 s0, exec_lo
	s_wait_loadcnt_dscnt 0x1303
	s_set_vgpr_msb 0                        ;  msbs: dst=0 src0=0 src1=0 src2=0
	v_mul_f32_e32 v9, v120, v137
	ds_load_b128 v[152:155], v7 offset:640
	ds_load_b128 v[160:163], v7 offset:656
	ds_load_b128 v[168:171], v7 offset:672
	ds_load_b128 v[176:179], v7 offset:688
	v_dual_fmac_f32 v9, v121, v136 :: v_dual_mul_f32 v11, v122, v139
	ds_load_b128 v[184:187], v7 offset:704
	ds_load_b128 v[192:195], v7 offset:720
	;; [unrolled: 1-line block ×4, first 2 shown]
	v_dual_add_f32 v9, 0, v9 :: v_dual_fmac_f32 v11, v123, v138
	ds_load_b128 v[216:219], v7 offset:768
	ds_load_b128 v[224:227], v7 offset:784
	;; [unrolled: 1-line block ×4, first 2 shown]
	s_wait_loadcnt_dscnt 0x120e
	v_dual_add_f32 v9, v9, v11 :: v_dual_mul_f32 v11, v124, v141
	ds_load_b128 v[248:251], v7 offset:832
	s_set_vgpr_msb 64                       ;  msbs: dst=1 src0=0 src1=0 src2=0
	ds_load_b128 v[0:3] /*v[256:259]*/, v7 offset:848
	ds_load_b128 v[8:11] /*v[264:267]*/, v7 offset:864
	;; [unrolled: 1-line block ×3, first 2 shown]
	s_set_vgpr_msb 0                        ;  msbs: dst=0 src0=0 src1=0 src2=0
	v_fmac_f32_e32 v11, v125, v140
	s_set_vgpr_msb 64                       ;  msbs: dst=1 src0=0 src1=0 src2=0
	s_clause 0x3
	scratch_load_b128 v[24:27] /*v[280:283]*/, off, off offset:416
	scratch_load_b128 v[28:31] /*v[284:287]*/, off, off offset:432
	;; [unrolled: 1-line block ×3, first 2 shown]
	scratch_load_b64 v[42:43] /*v[298:299]*/, off, off offset:464
	s_set_vgpr_msb 0                        ;  msbs: dst=0 src0=0 src1=0 src2=0
	v_add_f32_e32 v9, v9, v11
	v_mul_f32_e32 v11, v126, v143
	s_delay_alu instid0(VALU_DEP_1) | instskip(SKIP_1) | instid1(VALU_DEP_1)
	v_fmac_f32_e32 v11, v127, v142
	s_wait_loadcnt_dscnt 0x1511
	v_dual_add_f32 v9, v9, v11 :: v_dual_mul_f32 v11, v128, v145
	s_wait_loadcnt_dscnt 0x400
	s_set_vgpr_msb 0x45                     ;  msbs: dst=1 src0=1 src1=1 src2=0
	v_dual_mul_f32 v39 /*v295*/, v10 /*v266*/, v15 /*v271*/ :: v_dual_mul_f32 v41 /*v297*/, v16 /*v272*/, v21 /*v277*/
	s_set_vgpr_msb 0                        ;  msbs: dst=0 src0=0 src1=0 src2=0
	v_fmac_f32_e32 v11, v129, v144
	s_set_vgpr_msb 0x45                     ;  msbs: dst=1 src0=1 src1=1 src2=0
	s_delay_alu instid0(VALU_DEP_2) | instskip(SKIP_1) | instid1(VALU_DEP_2)
	v_dual_fmac_f32 v39 /*v295*/, v11 /*v267*/, v14 /*v270*/ :: v_dual_fmac_f32 v41 /*v297*/, v17 /*v273*/, v20 /*v276*/
	s_set_vgpr_msb 0                        ;  msbs: dst=0 src0=0 src1=0 src2=0
	v_add_f32_e32 v9, v9, v11
	v_mul_f32_e32 v11, v130, v147
	s_delay_alu instid0(VALU_DEP_1) | instskip(NEXT) | instid1(VALU_DEP_1)
	v_fmac_f32_e32 v11, v131, v146
	v_dual_add_f32 v9, v9, v11 :: v_dual_mul_f32 v11, v132, v149
	s_delay_alu instid0(VALU_DEP_1) | instskip(NEXT) | instid1(VALU_DEP_1)
	v_fmac_f32_e32 v11, v133, v148
	v_add_f32_e32 v9, v9, v11
	v_mul_f32_e32 v11, v134, v151
	s_delay_alu instid0(VALU_DEP_1) | instskip(NEXT) | instid1(VALU_DEP_1)
	v_fmac_f32_e32 v11, v135, v150
	v_dual_add_f32 v9, v9, v11 :: v_dual_mul_f32 v11, v152, v157
	s_delay_alu instid0(VALU_DEP_1) | instskip(NEXT) | instid1(VALU_DEP_1)
	v_fmac_f32_e32 v11, v153, v156
	;; [unrolled: 7-line block ×14, first 2 shown]
	v_add_f32_e32 v9, v9, v11
	v_mul_f32_e32 v11, v250, v255
	s_delay_alu instid0(VALU_DEP_1) | instskip(NEXT) | instid1(VALU_DEP_1)
	v_fmac_f32_e32 v11, v251, v254
	v_add_f32_e32 v9, v9, v11
	s_set_vgpr_msb 5                        ;  msbs: dst=0 src0=1 src1=1 src2=0
	v_mul_f32_e32 v11, v0 /*v256*/, v5 /*v261*/
	s_delay_alu instid0(VALU_DEP_1) | instskip(SKIP_1) | instid1(VALU_DEP_1)
	v_fmac_f32_e32 v11, v1 /*v257*/, v4 /*v260*/
	s_set_vgpr_msb 0                        ;  msbs: dst=0 src0=0 src1=0 src2=0
	v_add_f32_e32 v9, v9, v11
	s_set_vgpr_msb 5                        ;  msbs: dst=0 src0=1 src1=1 src2=0
	v_mul_f32_e32 v11, v2 /*v258*/, v7 /*v263*/
	s_delay_alu instid0(VALU_DEP_1) | instskip(SKIP_1) | instid1(VALU_DEP_1)
	v_fmac_f32_e32 v11, v3 /*v259*/, v6 /*v262*/
	s_set_vgpr_msb 0                        ;  msbs: dst=0 src0=0 src1=0 src2=0
	v_add_f32_e32 v9, v9, v11
	s_set_vgpr_msb 5                        ;  msbs: dst=0 src0=1 src1=1 src2=0
	v_mul_f32_e32 v11, v8 /*v264*/, v13 /*v269*/
	s_delay_alu instid0(VALU_DEP_1) | instskip(SKIP_1) | instid1(VALU_DEP_1)
	v_fmac_f32_e32 v11, v9 /*v265*/, v12 /*v268*/
	s_set_vgpr_msb 64                       ;  msbs: dst=1 src0=0 src1=0 src2=0
	v_add_f32_e32 v37 /*v293*/, v9, v11
	s_set_vgpr_msb 0                        ;  msbs: dst=0 src0=0 src1=0 src2=0
	v_dual_mul_f32 v9, v121, v137 :: v_dual_mul_f32 v11, v123, v139
	s_set_vgpr_msb 1                        ;  msbs: dst=0 src0=1 src1=0 src2=0
	v_mov_b32_e32 v137, v18 /*v274*/
	s_set_vgpr_msb 0                        ;  msbs: dst=0 src0=0 src1=0 src2=0
	s_delay_alu instid0(VALU_DEP_2) | instskip(SKIP_2) | instid1(VALU_DEP_2)
	v_dual_fma_f32 v9, v120, v136, -v9 :: v_dual_fma_f32 v11, v122, v138, -v11
	s_set_vgpr_msb 1                        ;  msbs: dst=0 src0=1 src1=0 src2=0
	v_dual_mov_b32 v136, v19 /*v275*/ :: v_dual_mov_b32 v138, v23 /*v279*/
	v_add_f32_e32 v9, 0, v9
	s_set_vgpr_msb 0                        ;  msbs: dst=0 src0=0 src1=0 src2=0
	s_delay_alu instid0(VALU_DEP_2) | instskip(NEXT) | instid1(VALU_DEP_2)
	v_pk_mul_f32 v[136:137], v[136:137], v[138:139] op_sel_hi:[1,0]
	v_add_f32_e32 v9, v9, v11
	v_mul_f32_e32 v11, v125, v141
	s_set_vgpr_msb 5                        ;  msbs: dst=0 src0=1 src1=1 src2=0
	s_delay_alu instid0(VALU_DEP_3) | instskip(SKIP_2) | instid1(VALU_DEP_1)
	v_pk_fma_f32 v[138:139], v[18:19] /*v[274:275]*/, v[22:23] /*v[278:279]*/, v[136:137] neg_lo:[0,0,1] neg_hi:[0,0,1]
	v_pk_fma_f32 v[136:137], v[18:19] /*v[274:275]*/, v[22:23] /*v[278:279]*/, v[136:137] op_sel_hi:[1,0,1]
	s_set_vgpr_msb 0                        ;  msbs: dst=0 src0=0 src1=0 src2=0
	v_dual_fma_f32 v11, v124, v140, -v11 :: v_dual_mov_b32 v139, v137
	s_delay_alu instid0(VALU_DEP_1) | instskip(SKIP_1) | instid1(VALU_DEP_1)
	v_add_f32_e32 v9, v9, v11
	v_mul_f32_e32 v11, v127, v143
	v_fma_f32 v11, v126, v142, -v11
	s_delay_alu instid0(VALU_DEP_1) | instskip(SKIP_1) | instid1(VALU_DEP_1)
	v_add_f32_e32 v9, v9, v11
	v_mul_f32_e32 v11, v129, v145
	v_fma_f32 v11, v128, v144, -v11
	;; [unrolled: 4-line block ×4, first 2 shown]
	ds_load_b128 v[120:123], v7 offset:896
	ds_load_b128 v[124:127], v7 offset:912
	;; [unrolled: 1-line block ×3, first 2 shown]
	ds_load_b64 v[132:133], v7 offset:944
	v_add_f32_e32 v9, v9, v11
	v_mul_f32_e32 v11, v135, v151
	s_delay_alu instid0(VALU_DEP_1) | instskip(NEXT) | instid1(VALU_DEP_1)
	v_fma_f32 v11, v134, v150, -v11
	v_add_f32_e32 v9, v9, v11
	v_mul_f32_e32 v11, v153, v157
	s_wait_loadcnt_dscnt 0x303
	s_set_vgpr_msb 4                        ;  msbs: dst=0 src0=0 src1=1 src2=0
	v_pk_mul_f32 v[136:137], v[120:121], v[24:25] /*v[280:281]*/ op_sel:[1,1] op_sel_hi:[0,1]
	s_set_vgpr_msb 0                        ;  msbs: dst=0 src0=0 src1=0 src2=0
	v_fma_f32 v11, v152, v156, -v11
	s_delay_alu instid0(VALU_DEP_1) | instskip(SKIP_1) | instid1(VALU_DEP_1)
	v_add_f32_e32 v9, v9, v11
	v_mul_f32_e32 v11, v155, v159
	v_fma_f32 v11, v154, v158, -v11
	s_delay_alu instid0(VALU_DEP_1) | instskip(SKIP_1) | instid1(VALU_DEP_1)
	v_add_f32_e32 v9, v9, v11
	v_mul_f32_e32 v11, v161, v165
	;; [unrolled: 4-line block ×25, first 2 shown]
	v_fma_f32 v11, v250, v254, -v11
	s_delay_alu instid0(VALU_DEP_1) | instskip(SKIP_2) | instid1(VALU_DEP_1)
	v_add_f32_e32 v9, v9, v11
	s_set_vgpr_msb 5                        ;  msbs: dst=0 src0=1 src1=1 src2=0
	v_mul_f32_e32 v11, v1 /*v257*/, v5 /*v261*/
	v_fma_f32 v11, v0 /*v256*/, v4 /*v260*/, -v11
	s_set_vgpr_msb 0                        ;  msbs: dst=0 src0=0 src1=0 src2=0
	s_delay_alu instid0(VALU_DEP_1) | instskip(SKIP_2) | instid1(VALU_DEP_1)
	v_add_f32_e32 v9, v9, v11
	s_set_vgpr_msb 5                        ;  msbs: dst=0 src0=1 src1=1 src2=0
	v_mul_f32_e32 v11, v3 /*v259*/, v7 /*v263*/
	v_fma_f32 v11, v2 /*v258*/, v6 /*v262*/, -v11
	s_set_vgpr_msb 0                        ;  msbs: dst=0 src0=0 src1=0 src2=0
	s_delay_alu instid0(VALU_DEP_1) | instskip(SKIP_2) | instid1(VALU_DEP_1)
	v_add_f32_e32 v9, v9, v11
	s_set_vgpr_msb 5                        ;  msbs: dst=0 src0=1 src1=1 src2=0
	v_mul_f32_e32 v11, v9 /*v265*/, v13 /*v269*/
	v_fma_f32 v11, v8 /*v264*/, v12 /*v268*/, -v11
	s_set_vgpr_msb 64                       ;  msbs: dst=1 src0=0 src1=0 src2=0
	s_delay_alu instid0(VALU_DEP_1) | instskip(SKIP_3) | instid1(VALU_DEP_1)
	v_add_f32_e32 v36 /*v292*/, v9, v11
	s_set_vgpr_msb 5                        ;  msbs: dst=0 src0=1 src1=1 src2=0
	v_mul_f32_e32 v9, v11 /*v267*/, v15 /*v271*/
	s_set_vgpr_msb 0x45                     ;  msbs: dst=1 src0=1 src1=1 src2=0
	v_fma_f32 v38 /*v294*/, v10 /*v266*/, v14 /*v270*/, -v9
	s_set_vgpr_msb 5                        ;  msbs: dst=0 src0=1 src1=1 src2=0
	v_mul_f32_e32 v9, v17 /*v273*/, v21 /*v277*/
	s_set_vgpr_msb 0x45                     ;  msbs: dst=1 src0=1 src1=1 src2=0
	s_delay_alu instid0(VALU_DEP_1) | instskip(SKIP_3) | instid1(VALU_DEP_1)
	v_fma_f32 v40 /*v296*/, v16 /*v272*/, v20 /*v276*/, -v9
	s_set_vgpr_msb 5                        ;  msbs: dst=0 src0=1 src1=1 src2=0
	v_pk_add_f32 v[134:135], v[36:37] /*v[292:293]*/, v[38:39] /*v[294:295]*/
	s_set_vgpr_msb 4                        ;  msbs: dst=0 src0=0 src1=1 src2=0
	v_pk_add_f32 v[134:135], v[134:135], v[40:41] /*v[296:297]*/
	s_set_vgpr_msb 0                        ;  msbs: dst=0 src0=0 src1=0 src2=0
	s_delay_alu instid0(VALU_DEP_1)
	v_pk_add_f32 v[134:135], v[134:135], v[138:139]
	s_set_vgpr_msb 4                        ;  msbs: dst=0 src0=0 src1=1 src2=0
	v_pk_fma_f32 v[138:139], v[120:121], v[24:25] /*v[280:281]*/, v[136:137] neg_lo:[0,0,1] neg_hi:[0,0,1]
	v_pk_fma_f32 v[120:121], v[120:121], v[24:25] /*v[280:281]*/, v[136:137] op_sel_hi:[1,0,1]
	s_set_vgpr_msb 1                        ;  msbs: dst=0 src0=1 src1=0 src2=0
	v_mov_b32_e32 v136, v27 /*v283*/
	s_set_vgpr_msb 0                        ;  msbs: dst=0 src0=0 src1=0 src2=0
	s_delay_alu instid0(VALU_DEP_2) | instskip(NEXT) | instid1(VALU_DEP_1)
	v_mov_b32_e32 v139, v121
	v_pk_add_f32 v[120:121], v[134:135], v[138:139]
	v_dual_mov_b32 v134, v123 :: v_dual_mov_b32 v135, v122
	s_delay_alu instid0(VALU_DEP_1) | instskip(SKIP_1) | instid1(VALU_DEP_1)
	v_pk_mul_f32 v[134:135], v[134:135], v[136:137] op_sel_hi:[1,0]
	s_set_vgpr_msb 4                        ;  msbs: dst=0 src0=0 src1=1 src2=0
	v_pk_fma_f32 v[136:137], v[122:123], v[26:27] /*v[282:283]*/, v[134:135] neg_lo:[0,0,1] neg_hi:[0,0,1]
	v_pk_fma_f32 v[122:123], v[122:123], v[26:27] /*v[282:283]*/, v[134:135] op_sel_hi:[1,0,1]
	s_delay_alu instid0(VALU_DEP_1) | instskip(SKIP_3) | instid1(VALU_DEP_2)
	v_mov_b32_e32 v137, v123
	s_wait_loadcnt_dscnt 0x202
	v_pk_mul_f32 v[122:123], v[124:125], v[28:29] /*v[284:285]*/ op_sel:[1,1] op_sel_hi:[0,1]
	s_set_vgpr_msb 0                        ;  msbs: dst=0 src0=0 src1=0 src2=0
	v_pk_add_f32 v[120:121], v[120:121], v[136:137]
	s_set_vgpr_msb 4                        ;  msbs: dst=0 src0=0 src1=1 src2=0
	s_delay_alu instid0(VALU_DEP_2)
	v_pk_fma_f32 v[134:135], v[124:125], v[28:29] /*v[284:285]*/, v[122:123] neg_lo:[0,0,1] neg_hi:[0,0,1]
	v_pk_fma_f32 v[122:123], v[124:125], v[28:29] /*v[284:285]*/, v[122:123] op_sel_hi:[1,0,1]
	v_mov_b32_e32 v122, v127
	s_set_vgpr_msb 1                        ;  msbs: dst=0 src0=1 src1=0 src2=0
	v_mov_b32_e32 v124, v31 /*v287*/
	s_set_vgpr_msb 0                        ;  msbs: dst=0 src0=0 src1=0 src2=0
	v_dual_mov_b32 v135, v123 :: v_dual_mov_b32 v123, v126
	s_delay_alu instid0(VALU_DEP_1) | instskip(NEXT) | instid1(VALU_DEP_2)
	v_pk_add_f32 v[120:121], v[120:121], v[134:135]
	v_pk_mul_f32 v[122:123], v[122:123], v[124:125] op_sel_hi:[1,0]
	s_set_vgpr_msb 4                        ;  msbs: dst=0 src0=0 src1=1 src2=0
	s_delay_alu instid0(VALU_DEP_1) | instskip(SKIP_1) | instid1(VALU_DEP_1)
	v_pk_fma_f32 v[124:125], v[126:127], v[30:31] /*v[286:287]*/, v[122:123] neg_lo:[0,0,1] neg_hi:[0,0,1]
	v_pk_fma_f32 v[122:123], v[126:127], v[30:31] /*v[286:287]*/, v[122:123] op_sel_hi:[1,0,1]
	v_mov_b32_e32 v125, v123
	s_wait_loadcnt_dscnt 0x101
	v_pk_mul_f32 v[122:123], v[128:129], v[32:33] /*v[288:289]*/ op_sel:[1,1] op_sel_hi:[0,1]
	s_set_vgpr_msb 0                        ;  msbs: dst=0 src0=0 src1=0 src2=0
	s_delay_alu instid0(VALU_DEP_2) | instskip(SKIP_1) | instid1(VALU_DEP_2)
	v_pk_add_f32 v[120:121], v[120:121], v[124:125]
	s_set_vgpr_msb 4                        ;  msbs: dst=0 src0=0 src1=1 src2=0
	v_pk_fma_f32 v[124:125], v[128:129], v[32:33] /*v[288:289]*/, v[122:123] neg_lo:[0,0,1] neg_hi:[0,0,1]
	v_pk_fma_f32 v[122:123], v[128:129], v[32:33] /*v[288:289]*/, v[122:123] op_sel_hi:[1,0,1]
	s_delay_alu instid0(VALU_DEP_1) | instskip(SKIP_2) | instid1(VALU_DEP_2)
	v_dual_mov_b32 v122, v131 :: v_dual_mov_b32 v125, v123
	v_mov_b32_e32 v123, v130
	s_set_vgpr_msb 0                        ;  msbs: dst=0 src0=0 src1=0 src2=0
	v_pk_add_f32 v[120:121], v[120:121], v[124:125]
	s_set_vgpr_msb 1                        ;  msbs: dst=0 src0=1 src1=0 src2=0
	v_mov_b32_e32 v124, v35 /*v291*/
	s_set_vgpr_msb 0                        ;  msbs: dst=0 src0=0 src1=0 src2=0
	s_delay_alu instid0(VALU_DEP_1) | instskip(SKIP_1) | instid1(VALU_DEP_1)
	v_pk_mul_f32 v[122:123], v[122:123], v[124:125] op_sel_hi:[1,0]
	s_set_vgpr_msb 4                        ;  msbs: dst=0 src0=0 src1=1 src2=0
	v_pk_fma_f32 v[124:125], v[130:131], v[34:35] /*v[290:291]*/, v[122:123] neg_lo:[0,0,1] neg_hi:[0,0,1]
	v_pk_fma_f32 v[122:123], v[130:131], v[34:35] /*v[290:291]*/, v[122:123] op_sel_hi:[1,0,1]
	s_delay_alu instid0(VALU_DEP_1) | instskip(SKIP_3) | instid1(VALU_DEP_2)
	v_mov_b32_e32 v125, v123
	s_wait_loadcnt_dscnt 0x0
	v_pk_mul_f32 v[122:123], v[132:133], v[42:43] /*v[298:299]*/ op_sel:[1,1] op_sel_hi:[0,1]
	s_set_vgpr_msb 0                        ;  msbs: dst=0 src0=0 src1=0 src2=0
	v_pk_add_f32 v[120:121], v[120:121], v[124:125]
	s_set_vgpr_msb 4                        ;  msbs: dst=0 src0=0 src1=1 src2=0
	s_delay_alu instid0(VALU_DEP_2) | instskip(SKIP_1) | instid1(VALU_DEP_1)
	v_pk_fma_f32 v[124:125], v[132:133], v[42:43] /*v[298:299]*/, v[122:123] neg_lo:[0,0,1] neg_hi:[0,0,1]
	v_pk_fma_f32 v[122:123], v[132:133], v[42:43] /*v[298:299]*/, v[122:123] op_sel_hi:[1,0,1]
	v_mov_b32_e32 v125, v123
	scratch_load_b64 v[122:123], off, off offset:88
	s_set_vgpr_msb 0                        ;  msbs: dst=0 src0=0 src1=0 src2=0
	v_pk_add_f32 v[120:121], v[120:121], v[124:125]
	s_wait_loadcnt 0x0
	s_delay_alu instid0(VALU_DEP_1)
	v_pk_add_f32 v[120:121], v[122:123], v[120:121] neg_lo:[0,1] neg_hi:[0,1]
	scratch_store_b64 off, v[120:121], off offset:88
	s_wait_xcnt 0x0
	v_cmpx_lt_u32_e32 10, v0
	s_cbranch_execz .LBB58_347
; %bb.346:
	scratch_load_b64 v[120:121], off, off offset:80
	v_mov_b64_e32 v[122:123], 0
	scratch_store_b64 off, v[122:123], off offset:80
	s_wait_loadcnt 0x0
	ds_store_b64 v1, v[120:121]
.LBB58_347:
	s_wait_xcnt 0x0
	s_or_b32 exec_lo, exec_lo, s0
	s_wait_storecnt_dscnt 0x0
	s_barrier_signal -1
	s_barrier_wait -1
	s_clause 0x17
	scratch_load_b128 v[120:123], off, off offset:88
	scratch_load_b128 v[124:127], off, off offset:104
	;; [unrolled: 1-line block ×24, first 2 shown]
	ds_load_2addr_b64 v[216:219], v7 offset0:71 offset1:72
	ds_load_2addr_b64 v[220:223], v7 offset0:73 offset1:74
	;; [unrolled: 1-line block ×6, first 2 shown]
	s_set_vgpr_msb 64                       ;  msbs: dst=1 src0=0 src1=0 src2=0
	scratch_load_b64 v[56:57] /*v[312:313]*/, off, off offset:80
	s_set_vgpr_msb 0                        ;  msbs: dst=0 src0=0 src1=0 src2=0
	ds_load_2addr_b64 v[240:243], v7 offset0:79 offset1:80
	ds_load_2addr_b64 v[244:247], v7 offset0:81 offset1:82
	;; [unrolled: 1-line block ×4, first 2 shown]
	s_set_vgpr_msb 64                       ;  msbs: dst=1 src0=0 src1=0 src2=0
	ds_load_2addr_b64 v[0:3] /*v[256:259]*/, v7 offset0:83 offset1:84
	ds_load_2addr_b64 v[4:7] /*v[260:263]*/, v7 offset0:85 offset1:86
	;; [unrolled: 1-line block ×14, first 2 shown]
	s_mov_b32 s0, exec_lo
	s_wait_dscnt 0xf
	v_dual_mov_b32 v62 /*v318*/, v251 :: v_dual_mov_b32 v63 /*v319*/, v250
	s_wait_dscnt 0xe
	v_dual_mov_b32 v64 /*v320*/, v255 :: v_dual_mov_b32 v65 /*v321*/, v254
	v_dual_mov_b32 v58 /*v314*/, v235 :: v_dual_mov_b32 v59 /*v315*/, v234
	;; [unrolled: 1-line block ×3, first 2 shown]
	s_wait_loadcnt 0x18
	s_set_vgpr_msb 0                        ;  msbs: dst=0 src0=0 src1=0 src2=0
	v_dual_mul_f32 v7, v216, v121 :: v_dual_mul_f32 v9, v218, v123
	v_dual_mul_f32 v83, v217, v121 :: v_dual_mul_f32 v85, v219, v123
	s_wait_loadcnt 0x17
	v_dual_mul_f32 v11, v220, v125 :: v_dual_mul_f32 v13, v222, v127
	s_delay_alu instid0(VALU_DEP_3) | instskip(SKIP_3) | instid1(VALU_DEP_3)
	v_dual_fmac_f32 v7, v217, v120 :: v_dual_fmac_f32 v9, v219, v122
	s_wait_loadcnt 0x15
	v_dual_fma_f32 v83, v216, v120, -v83 :: v_dual_mul_f32 v95, v229, v133
	v_dual_mul_f32 v87, v221, v125 :: v_dual_mul_f32 v89, v223, v127
	v_dual_fma_f32 v85, v218, v122, -v85 :: v_dual_add_f32 v7, 0, v7
	s_delay_alu instid0(VALU_DEP_3) | instskip(SKIP_1) | instid1(VALU_DEP_4)
	v_dual_add_f32 v83, 0, v83 :: v_dual_fmac_f32 v11, v221, v124
	v_dual_mul_f32 v15, v224, v129 :: v_dual_mul_f32 v17, v226, v131
	v_dual_mul_f32 v97, v231, v135 :: v_dual_fma_f32 v87, v220, v124, -v87
	s_delay_alu instid0(VALU_DEP_4) | instskip(NEXT) | instid1(VALU_DEP_3)
	v_add_f32_e32 v7, v7, v9
	v_dual_add_f32 v9, v83, v85 :: v_dual_fmac_f32 v15, v225, v128
	v_dual_mul_f32 v91, v225, v129 :: v_dual_mul_f32 v93, v227, v131
	s_wait_loadcnt 0x14
	v_dual_mul_f32 v83, v241, v137 :: v_dual_fmac_f32 v13, v223, v126
	v_dual_fma_f32 v85, v222, v126, -v89 :: v_dual_add_f32 v7, v7, v11
	s_delay_alu instid0(VALU_DEP_3) | instskip(SKIP_1) | instid1(VALU_DEP_3)
	v_dual_add_f32 v9, v9, v87 :: v_dual_fma_f32 v87, v224, v128, -v91
	v_dual_mul_f32 v19, v228, v133 :: v_dual_mul_f32 v21, v230, v135
	v_add_f32_e32 v7, v7, v13
	s_delay_alu instid0(VALU_DEP_3) | instskip(SKIP_2) | instid1(VALU_DEP_3)
	v_dual_mul_f32 v11, v243, v139 :: v_dual_add_f32 v9, v9, v85
	s_wait_loadcnt 0x13
	v_dual_mul_f32 v13, v245, v141 :: v_dual_fmac_f32 v17, v227, v130
	v_dual_fma_f32 v85, v226, v130, -v93 :: v_dual_add_f32 v7, v7, v15
	s_delay_alu instid0(VALU_DEP_3) | instskip(SKIP_1) | instid1(VALU_DEP_3)
	v_dual_add_f32 v9, v9, v87 :: v_dual_fma_f32 v87, v228, v132, -v95
	v_dual_mul_f32 v15, v247, v143 :: v_dual_fmac_f32 v19, v229, v132
	v_add_f32_e32 v7, v7, v17
	s_delay_alu instid0(VALU_DEP_3) | instskip(SKIP_1) | instid1(VALU_DEP_3)
	v_dual_add_f32 v9, v9, v85 :: v_dual_fmac_f32 v21, v231, v134
	v_dual_mul_f32 v23, v240, v137 :: v_dual_mul_f32 v25, v242, v139
	v_dual_fma_f32 v85, v230, v134, -v97 :: v_dual_add_f32 v7, v7, v19
	s_delay_alu instid0(VALU_DEP_3) | instskip(NEXT) | instid1(VALU_DEP_3)
	v_dual_add_f32 v9, v9, v87 :: v_dual_fma_f32 v83, v240, v136, -v83
	v_dual_fmac_f32 v23, v241, v136 :: v_dual_mul_f32 v27, v244, v141
	s_delay_alu instid0(VALU_DEP_3) | instskip(NEXT) | instid1(VALU_DEP_3)
	v_dual_mul_f32 v29, v246, v143 :: v_dual_add_f32 v7, v7, v21
	v_dual_fma_f32 v11, v242, v138, -v11 :: v_dual_add_f32 v9, v9, v85
	s_delay_alu instid0(VALU_DEP_3) | instskip(NEXT) | instid1(VALU_DEP_3)
	v_dual_fmac_f32 v25, v243, v138 :: v_dual_fmac_f32 v27, v245, v140
	v_dual_add_f32 v7, v7, v23 :: v_dual_fma_f32 v13, v244, v140, -v13
	s_delay_alu instid0(VALU_DEP_3)
	v_add_f32_e32 v9, v9, v83
	s_wait_loadcnt_dscnt 0x120d
	s_set_vgpr_msb 1                        ;  msbs: dst=0 src0=1 src1=0 src2=0
	v_dual_mul_f32 v31, v0 /*v256*/, v145 :: v_dual_mul_f32 v33, v2 /*v258*/, v147
	s_set_vgpr_msb 0                        ;  msbs: dst=0 src0=0 src1=0 src2=0
	v_add_f32_e32 v7, v7, v25
	s_set_vgpr_msb 1                        ;  msbs: dst=0 src0=1 src1=0 src2=0
	v_dual_mul_f32 v17, v1 /*v257*/, v145 :: v_dual_mul_f32 v19, v3 /*v259*/, v147
	s_set_vgpr_msb 0                        ;  msbs: dst=0 src0=0 src1=0 src2=0
	v_dual_add_f32 v9, v9, v11 :: v_dual_fmac_f32 v29, v247, v142
	v_dual_fma_f32 v15, v246, v142, -v15 :: v_dual_add_f32 v7, v7, v27
	s_set_vgpr_msb 1                        ;  msbs: dst=0 src0=1 src1=0 src2=0
	v_dual_fmac_f32 v31, v1 /*v257*/, v144 :: v_dual_fma_f32 v17, v0 /*v256*/, v144, -v17
	s_set_vgpr_msb 0                        ;  msbs: dst=0 src0=0 src1=0 src2=0
	v_add_f32_e32 v9, v9, v13
	s_wait_loadcnt_dscnt 0x110c
	s_set_vgpr_msb 1                        ;  msbs: dst=0 src0=1 src1=0 src2=0
	v_dual_mul_f32 v35, v4 /*v260*/, v149 :: v_dual_mul_f32 v37, v6 /*v262*/, v151
	s_set_vgpr_msb 0                        ;  msbs: dst=0 src0=0 src1=0 src2=0
	v_add_f32_e32 v7, v7, v29
	s_set_vgpr_msb 1                        ;  msbs: dst=0 src0=1 src1=0 src2=0
	v_dual_mul_f32 v21, v5 /*v261*/, v149 :: v_dual_mul_f32 v23, v7 /*v263*/, v151
	s_set_vgpr_msb 0                        ;  msbs: dst=0 src0=0 src1=0 src2=0
	v_add_f32_e32 v9, v9, v15
	s_wait_loadcnt_dscnt 0xf0a
	s_set_vgpr_msb 1                        ;  msbs: dst=0 src0=1 src1=0 src2=0
	v_dual_mul_f32 v15, v13 /*v269*/, v157 :: v_dual_fmac_f32 v33, v3 /*v259*/, v146
	v_fma_f32 v19, v2 /*v258*/, v146, -v19
	s_set_vgpr_msb 0                        ;  msbs: dst=0 src0=0 src1=0 src2=0
	v_dual_add_f32 v7, v7, v31 :: v_dual_add_f32 v9, v9, v17
	s_set_vgpr_msb 1                        ;  msbs: dst=0 src0=1 src1=0 src2=0
	v_dual_mul_f32 v17, v15 /*v271*/, v159 :: v_dual_fmac_f32 v35, v5 /*v261*/, v148
	v_fma_f32 v21, v4 /*v260*/, v148, -v21
	s_set_vgpr_msb 0                        ;  msbs: dst=0 src0=0 src1=0 src2=0
	v_dual_add_f32 v7, v7, v33 :: v_dual_add_f32 v9, v9, v19
	s_set_vgpr_msb 1                        ;  msbs: dst=0 src0=1 src1=0 src2=0
	v_dual_mul_f32 v11, v9 /*v265*/, v153 :: v_dual_mul_f32 v13, v11 /*v267*/, v155
	s_wait_loadcnt_dscnt 0xe09
	v_dual_mul_f32 v19, v17 /*v273*/, v161 :: v_dual_fmac_f32 v37, v7 /*v263*/, v150
	v_fma_f32 v23, v6 /*v262*/, v150, -v23
	s_set_vgpr_msb 0                        ;  msbs: dst=0 src0=0 src1=0 src2=0
	v_dual_add_f32 v7, v7, v35 :: v_dual_add_f32 v9, v9, v21
	s_set_vgpr_msb 1                        ;  msbs: dst=0 src0=1 src1=0 src2=0
	v_dual_mul_f32 v39, v8 /*v264*/, v153 :: v_dual_mul_f32 v41, v10 /*v266*/, v155
	v_dual_mul_f32 v21, v19 /*v275*/, v163 :: v_dual_fma_f32 v11, v8 /*v264*/, v152, -v11
	s_set_vgpr_msb 0                        ;  msbs: dst=0 src0=0 src1=0 src2=0
	v_dual_add_f32 v7, v7, v37 :: v_dual_add_f32 v9, v9, v23
	s_set_vgpr_msb 1                        ;  msbs: dst=0 src0=1 src1=0 src2=0
	v_dual_fmac_f32 v39, v9 /*v265*/, v152 :: v_dual_fmac_f32 v41, v11 /*v267*/, v154
	s_wait_loadcnt_dscnt 0xd08
	v_dual_mul_f32 v23, v21 /*v277*/, v165 :: v_dual_fma_f32 v13, v10 /*v266*/, v154, -v13
	s_set_vgpr_msb 0                        ;  msbs: dst=0 src0=0 src1=0 src2=0
	v_add_f32_e32 v9, v9, v11
	s_set_vgpr_msb 1                        ;  msbs: dst=0 src0=1 src1=0 src2=0
	v_dual_mul_f32 v43, v12 /*v268*/, v157 :: v_dual_mul_f32 v45, v14 /*v270*/, v159
	v_mul_f32_e32 v11, v23 /*v279*/, v167
	s_set_vgpr_msb 0                        ;  msbs: dst=0 src0=0 src1=0 src2=0
	v_dual_add_f32 v7, v7, v39 :: v_dual_add_f32 v9, v9, v13
	s_wait_loadcnt_dscnt 0xc07
	s_set_vgpr_msb 1                        ;  msbs: dst=0 src0=1 src1=0 src2=0
	v_dual_fma_f32 v15, v12 /*v268*/, v156, -v15 :: v_dual_mul_f32 v13, v25 /*v281*/, v169
	v_dual_fmac_f32 v43, v13 /*v269*/, v156 :: v_dual_fmac_f32 v45, v15 /*v271*/, v158
	s_set_vgpr_msb 0                        ;  msbs: dst=0 src0=0 src1=0 src2=0
	v_add_f32_e32 v7, v7, v41
	s_set_vgpr_msb 1                        ;  msbs: dst=0 src0=1 src1=0 src2=0
	v_fma_f32 v17, v14 /*v270*/, v158, -v17
	s_set_vgpr_msb 0                        ;  msbs: dst=0 src0=0 src1=0 src2=0
	v_add_f32_e32 v9, v9, v15
	s_set_vgpr_msb 1                        ;  msbs: dst=0 src0=1 src1=0 src2=0
	v_dual_mul_f32 v47, v16 /*v272*/, v161 :: v_dual_mul_f32 v49, v18 /*v274*/, v163
	v_mul_f32_e32 v15, v27 /*v283*/, v171
	s_set_vgpr_msb 0                        ;  msbs: dst=0 src0=0 src1=0 src2=0
	v_dual_add_f32 v7, v7, v43 :: v_dual_add_f32 v9, v9, v17
	s_wait_loadcnt_dscnt 0xb06
	s_set_vgpr_msb 1                        ;  msbs: dst=0 src0=1 src1=0 src2=0
	v_dual_fma_f32 v19, v16 /*v272*/, v160, -v19 :: v_dual_mul_f32 v17, v29 /*v285*/, v173
	v_dual_fmac_f32 v47, v17 /*v273*/, v160 :: v_dual_fmac_f32 v49, v19 /*v275*/, v162
	s_set_vgpr_msb 0                        ;  msbs: dst=0 src0=0 src1=0 src2=0
	v_add_f32_e32 v7, v7, v45
	s_set_vgpr_msb 1                        ;  msbs: dst=0 src0=1 src1=0 src2=0
	v_fma_f32 v21, v18 /*v274*/, v162, -v21
	s_set_vgpr_msb 0                        ;  msbs: dst=0 src0=0 src1=0 src2=0
	v_add_f32_e32 v9, v9, v19
	s_set_vgpr_msb 1                        ;  msbs: dst=0 src0=1 src1=0 src2=0
	v_dual_mul_f32 v51, v20 /*v276*/, v165 :: v_dual_mul_f32 v53, v22 /*v278*/, v167
	v_mul_f32_e32 v19, v31 /*v287*/, v175
	s_set_vgpr_msb 0                        ;  msbs: dst=0 src0=0 src1=0 src2=0
	v_dual_add_f32 v7, v7, v47 :: v_dual_add_f32 v9, v9, v21
	s_wait_loadcnt_dscnt 0xa05
	s_set_vgpr_msb 1                        ;  msbs: dst=0 src0=1 src1=0 src2=0
	v_dual_fma_f32 v23, v20 /*v276*/, v164, -v23 :: v_dual_mul_f32 v21, v33 /*v289*/, v177
	v_dual_mul_f32 v55, v24 /*v280*/, v169 :: v_dual_mul_f32 v57, v26 /*v282*/, v171
	v_dual_mul_f32 v59, v28 /*v284*/, v173 :: v_dual_mul_f32 v61, v30 /*v286*/, v175
	v_dual_fmac_f32 v51, v21 /*v277*/, v164 :: v_dual_fmac_f32 v53, v23 /*v279*/, v166
	v_fma_f32 v11, v22 /*v278*/, v166, -v11
	s_set_vgpr_msb 0                        ;  msbs: dst=0 src0=0 src1=0 src2=0
	v_dual_add_f32 v9, v9, v23 :: v_dual_add_f32 v7, v7, v49
	s_set_vgpr_msb 1                        ;  msbs: dst=0 src0=1 src1=0 src2=0
	v_dual_mul_f32 v23, v35 /*v291*/, v179 :: v_dual_fmac_f32 v55, v25 /*v281*/, v168
	v_fma_f32 v13, v24 /*v280*/, v168, -v13
	v_dual_fmac_f32 v57, v27 /*v283*/, v170 :: v_dual_fmac_f32 v59, v29 /*v285*/, v172
	s_set_vgpr_msb 0                        ;  msbs: dst=0 src0=0 src1=0 src2=0
	v_add_f32_e32 v9, v9, v11
	s_set_vgpr_msb 1                        ;  msbs: dst=0 src0=1 src1=0 src2=0
	v_dual_mul_f32 v63, v32 /*v288*/, v177 :: v_dual_mul_f32 v65, v34 /*v290*/, v179
	s_set_vgpr_msb 0                        ;  msbs: dst=0 src0=0 src1=0 src2=0
	v_add_f32_e32 v7, v7, v51
	s_wait_loadcnt_dscnt 0x904
	s_set_vgpr_msb 1                        ;  msbs: dst=0 src0=1 src1=0 src2=0
	v_dual_mul_f32 v11, v37 /*v293*/, v181 :: v_dual_fma_f32 v15, v26 /*v282*/, v170, -v15
	s_set_vgpr_msb 0                        ;  msbs: dst=0 src0=0 src1=0 src2=0
	v_add_f32_e32 v9, v9, v13
	s_set_vgpr_msb 1                        ;  msbs: dst=0 src0=1 src1=0 src2=0
	v_dual_mul_f32 v13, v39 /*v295*/, v183 :: v_dual_fma_f32 v17, v28 /*v284*/, v172, -v17
	s_set_vgpr_msb 0                        ;  msbs: dst=0 src0=0 src1=0 src2=0
	v_add_f32_e32 v7, v7, v53
	s_set_vgpr_msb 1                        ;  msbs: dst=0 src0=1 src1=0 src2=0
	v_dual_fmac_f32 v61, v31 /*v287*/, v174 :: v_dual_fmac_f32 v63, v33 /*v289*/, v176
	s_set_vgpr_msb 0                        ;  msbs: dst=0 src0=0 src1=0 src2=0
	v_add_f32_e32 v9, v9, v15
	s_set_vgpr_msb 1                        ;  msbs: dst=0 src0=1 src1=0 src2=0
	v_dual_mul_f32 v67, v36 /*v292*/, v181 :: v_dual_mul_f32 v69, v38 /*v294*/, v183
	s_set_vgpr_msb 0                        ;  msbs: dst=0 src0=0 src1=0 src2=0
	v_add_f32_e32 v7, v7, v55
	s_wait_loadcnt_dscnt 0x803
	s_set_vgpr_msb 1                        ;  msbs: dst=0 src0=1 src1=0 src2=0
	v_dual_mul_f32 v15, v41 /*v297*/, v185 :: v_dual_fma_f32 v19, v30 /*v286*/, v174, -v19
	s_set_vgpr_msb 0                        ;  msbs: dst=0 src0=0 src1=0 src2=0
	v_add_f32_e32 v9, v9, v17
	s_set_vgpr_msb 1                        ;  msbs: dst=0 src0=1 src1=0 src2=0
	v_dual_mul_f32 v17, v43 /*v299*/, v187 :: v_dual_fma_f32 v21, v32 /*v288*/, v176, -v21
	s_set_vgpr_msb 0                        ;  msbs: dst=0 src0=0 src1=0 src2=0
	v_add_f32_e32 v7, v7, v57
	s_set_vgpr_msb 1                        ;  msbs: dst=0 src0=1 src1=0 src2=0
	v_dual_fmac_f32 v65, v35 /*v291*/, v178 :: v_dual_fmac_f32 v67, v37 /*v293*/, v180
	s_set_vgpr_msb 0                        ;  msbs: dst=0 src0=0 src1=0 src2=0
	v_add_f32_e32 v9, v9, v19
	s_set_vgpr_msb 1                        ;  msbs: dst=0 src0=1 src1=0 src2=0
	v_dual_mul_f32 v71, v40 /*v296*/, v185 :: v_dual_mul_f32 v73, v42 /*v298*/, v187
	s_set_vgpr_msb 0                        ;  msbs: dst=0 src0=0 src1=0 src2=0
	v_add_f32_e32 v7, v7, v59
	s_wait_loadcnt_dscnt 0x702
	s_set_vgpr_msb 1                        ;  msbs: dst=0 src0=1 src1=0 src2=0
	v_dual_mul_f32 v19, v45 /*v301*/, v189 :: v_dual_fma_f32 v23, v34 /*v290*/, v178, -v23
	s_set_vgpr_msb 0                        ;  msbs: dst=0 src0=0 src1=0 src2=0
	v_add_f32_e32 v9, v9, v21
	s_set_vgpr_msb 1                        ;  msbs: dst=0 src0=1 src1=0 src2=0
	v_dual_mul_f32 v75, v44 /*v300*/, v189 :: v_dual_mul_f32 v77, v46 /*v302*/, v191
	s_set_vgpr_msb 0                        ;  msbs: dst=0 src0=0 src1=0 src2=0
	v_add_f32_e32 v7, v7, v61
	s_set_vgpr_msb 1                        ;  msbs: dst=0 src0=1 src1=0 src2=0
	v_dual_mul_f32 v21, v47 /*v303*/, v191 :: v_dual_fma_f32 v11, v36 /*v292*/, v180, -v11
	v_dual_fmac_f32 v69, v39 /*v295*/, v182 :: v_dual_fmac_f32 v71, v41 /*v297*/, v184
	s_set_vgpr_msb 0                        ;  msbs: dst=0 src0=0 src1=0 src2=0
	v_add_f32_e32 v9, v9, v23
	s_wait_loadcnt_dscnt 0x601
	s_set_vgpr_msb 1                        ;  msbs: dst=0 src0=1 src1=0 src2=0
	v_dual_mul_f32 v23, v49 /*v305*/, v193 :: v_dual_fma_f32 v13, v38 /*v294*/, v182, -v13
	v_dual_fmac_f32 v73, v43 /*v299*/, v186 :: v_dual_fmac_f32 v75, v45 /*v301*/, v188
	s_set_vgpr_msb 0                        ;  msbs: dst=0 src0=0 src1=0 src2=0
	v_add_f32_e32 v9, v9, v11
	v_add_f32_e32 v7, v7, v63
	s_set_vgpr_msb 1                        ;  msbs: dst=0 src0=1 src1=0 src2=0
	v_dual_mul_f32 v11, v51 /*v307*/, v195 :: v_dual_fma_f32 v15, v40 /*v296*/, v184, -v15
	v_fma_f32 v17, v42 /*v298*/, v186, -v17
	s_set_vgpr_msb 0                        ;  msbs: dst=0 src0=0 src1=0 src2=0
	v_add_f32_e32 v9, v9, v13
	v_add_f32_e32 v7, v7, v65
	s_wait_loadcnt_dscnt 0x500
	s_set_vgpr_msb 1                        ;  msbs: dst=0 src0=1 src1=0 src2=0
	v_mul_f32_e32 v13, v53 /*v309*/, v197
	s_wait_loadcnt 0x4
	s_set_vgpr_msb 0                        ;  msbs: dst=0 src0=0 src1=0 src2=0
	v_mov_b32_e32 v122, v203
	s_set_vgpr_msb 1                        ;  msbs: dst=0 src0=1 src1=0 src2=0
	v_dual_mul_f32 v79, v48 /*v304*/, v193 :: v_dual_mul_f32 v81, v50 /*v306*/, v195
	s_set_vgpr_msb 0                        ;  msbs: dst=0 src0=0 src1=0 src2=0
	v_add_f32_e32 v9, v9, v15
	v_add_f32_e32 v7, v7, v67
	s_set_vgpr_msb 1                        ;  msbs: dst=0 src0=1 src1=0 src2=0
	v_dual_mul_f32 v15, v55 /*v311*/, v199 :: v_dual_fma_f32 v19, v44 /*v300*/, v188, -v19
	v_dual_fmac_f32 v77, v47 /*v303*/, v190 :: v_dual_fmac_f32 v79, v49 /*v305*/, v192
	s_set_vgpr_msb 0                        ;  msbs: dst=0 src0=0 src1=0 src2=0
	v_add_f32_e32 v9, v9, v17
	v_add_f32_e32 v7, v7, v69
	s_set_vgpr_msb 1                        ;  msbs: dst=0 src0=1 src1=0 src2=0
	v_fma_f32 v17, v46 /*v302*/, v190, -v21
	s_set_vgpr_msb 0x41                     ;  msbs: dst=1 src0=1 src1=0 src2=0
	v_dual_mul_f32 v67 /*v323*/, v52 /*v308*/, v197 :: v_dual_mul_f32 v69 /*v325*/, v54 /*v310*/, v199
	s_set_vgpr_msb 0                        ;  msbs: dst=0 src0=0 src1=0 src2=0
	v_add_f32_e32 v9, v9, v19
	s_set_vgpr_msb 1                        ;  msbs: dst=0 src0=1 src1=0 src2=0
	v_fma_f32 v19, v48 /*v304*/, v192, -v23
	s_set_vgpr_msb 0                        ;  msbs: dst=0 src0=0 src1=0 src2=0
	v_add_f32_e32 v7, v7, v71
	s_set_vgpr_msb 1                        ;  msbs: dst=0 src0=1 src1=0 src2=0
	v_dual_fmac_f32 v81, v51 /*v307*/, v194 :: v_dual_fma_f32 v11, v50 /*v306*/, v194, -v11
	s_set_vgpr_msb 0                        ;  msbs: dst=0 src0=0 src1=0 src2=0
	v_add_f32_e32 v9, v9, v17
	v_pk_mul_f32 v[120:121], v[232:233], v[200:201] op_sel:[1,1] op_sel_hi:[0,1]
	v_add_f32_e32 v7, v7, v73
	s_wait_loadcnt 0x3
	v_mov_b32_e32 v126, v207
	s_set_vgpr_msb 0x41                     ;  msbs: dst=1 src0=1 src1=0 src2=0
	v_dual_fmac_f32 v67 /*v323*/, v53 /*v309*/, v196 :: v_dual_fmac_f32 v69 /*v325*/, v55 /*v311*/, v198
	s_set_vgpr_msb 0                        ;  msbs: dst=0 src0=0 src1=0 src2=0
	v_add_f32_e32 v9, v9, v19
	v_add_f32_e32 v7, v7, v75
	s_set_vgpr_msb 0x41                     ;  msbs: dst=1 src0=1 src1=0 src2=0
	v_dual_fma_f32 v66 /*v322*/, v52 /*v308*/, v196, -v13 :: v_dual_fma_f32 v68 /*v324*/, v54 /*v310*/, v198, -v15
	s_set_vgpr_msb 0                        ;  msbs: dst=0 src0=0 src1=0 src2=0
	v_pk_fma_f32 v[130:131], v[232:233], v[200:201], v[120:121] op_sel_hi:[1,0,1]
	v_dual_add_f32 v128, v9, v11 :: v_dual_add_f32 v7, v7, v77
	s_set_vgpr_msb 1                        ;  msbs: dst=0 src0=1 src1=0 src2=0
	v_pk_mul_f32 v[122:123], v[58:59] /*v[314:315]*/, v[122:123] op_sel_hi:[1,0]
	s_set_vgpr_msb 0                        ;  msbs: dst=0 src0=0 src1=0 src2=0
	v_pk_fma_f32 v[120:121], v[232:233], v[200:201], v[120:121] neg_lo:[0,0,1] neg_hi:[0,0,1]
	v_pk_mul_f32 v[124:125], v[236:237], v[204:205] op_sel:[1,1] op_sel_hi:[0,1]
	v_mov_b32_e32 v121, v131
	v_add_f32_e32 v7, v7, v79
	v_pk_fma_f32 v[130:131], v[234:235], v[202:203], v[122:123] op_sel_hi:[1,0,1]
	v_pk_fma_f32 v[122:123], v[234:235], v[202:203], v[122:123] neg_lo:[0,0,1] neg_hi:[0,0,1]
	v_pk_fma_f32 v[134:135], v[236:237], v[204:205], v[124:125] op_sel_hi:[1,0,1]
	s_set_vgpr_msb 1                        ;  msbs: dst=0 src0=1 src1=0 src2=0
	v_pk_mul_f32 v[126:127], v[60:61] /*v[316:317]*/, v[126:127] op_sel_hi:[1,0]
	s_set_vgpr_msb 0                        ;  msbs: dst=0 src0=0 src1=0 src2=0
	v_add_f32_e32 v129, v7, v81
	v_mov_b32_e32 v123, v131
	s_wait_loadcnt 0x2
	v_pk_mul_f32 v[132:133], v[248:249], v[208:209] op_sel:[1,1] op_sel_hi:[0,1]
	v_pk_fma_f32 v[124:125], v[236:237], v[204:205], v[124:125] neg_lo:[0,0,1] neg_hi:[0,0,1]
	v_mov_b32_e32 v125, v135
	s_set_vgpr_msb 4                        ;  msbs: dst=0 src0=0 src1=1 src2=0
	v_pk_add_f32 v[128:129], v[128:129], v[66:67] /*v[322:323]*/
	s_set_vgpr_msb 0                        ;  msbs: dst=0 src0=0 src1=0 src2=0
	v_pk_fma_f32 v[130:131], v[238:239], v[206:207], v[126:127] op_sel_hi:[1,0,1]
	v_pk_fma_f32 v[126:127], v[238:239], v[206:207], v[126:127] neg_lo:[0,0,1] neg_hi:[0,0,1]
	s_set_vgpr_msb 4                        ;  msbs: dst=0 src0=0 src1=1 src2=0
	v_pk_add_f32 v[128:129], v[128:129], v[68:69] /*v[324:325]*/
	s_set_vgpr_msb 0                        ;  msbs: dst=0 src0=0 src1=0 src2=0
	s_delay_alu instid0(VALU_DEP_1) | instskip(SKIP_1) | instid1(VALU_DEP_2)
	v_pk_add_f32 v[120:121], v[128:129], v[120:121]
	v_mov_b32_e32 v128, v211
	v_pk_add_f32 v[120:121], v[120:121], v[122:123]
	v_pk_fma_f32 v[122:123], v[248:249], v[208:209], v[132:133] op_sel_hi:[1,0,1]
	s_set_vgpr_msb 1                        ;  msbs: dst=0 src0=1 src1=0 src2=0
	s_delay_alu instid0(VALU_DEP_3)
	v_pk_mul_f32 v[128:129], v[62:63] /*v[318:319]*/, v[128:129] op_sel_hi:[1,0]
	s_set_vgpr_msb 0                        ;  msbs: dst=0 src0=0 src1=0 src2=0
	v_mov_b32_e32 v127, v131
	v_pk_fma_f32 v[130:131], v[248:249], v[208:209], v[132:133] neg_lo:[0,0,1] neg_hi:[0,0,1]
	v_pk_add_f32 v[120:121], v[120:121], v[124:125]
	v_mov_b32_e32 v131, v123
	v_pk_fma_f32 v[122:123], v[250:251], v[210:211], v[128:129] op_sel_hi:[1,0,1]
	s_wait_loadcnt 0x1
	v_pk_mul_f32 v[124:125], v[252:253], v[212:213] op_sel:[1,1] op_sel_hi:[0,1]
	v_mov_b32_e32 v122, v215
	v_pk_add_f32 v[120:121], v[120:121], v[126:127]
	v_pk_fma_f32 v[128:129], v[250:251], v[210:211], v[128:129] neg_lo:[0,0,1] neg_hi:[0,0,1]
	v_mov_b32_e32 v129, v123
	v_pk_fma_f32 v[126:127], v[252:253], v[212:213], v[124:125] op_sel_hi:[1,0,1]
	s_set_vgpr_msb 1                        ;  msbs: dst=0 src0=1 src1=0 src2=0
	v_pk_mul_f32 v[122:123], v[64:65] /*v[320:321]*/, v[122:123] op_sel_hi:[1,0]
	s_set_vgpr_msb 0                        ;  msbs: dst=0 src0=0 src1=0 src2=0
	v_pk_add_f32 v[120:121], v[120:121], v[130:131]
	v_pk_fma_f32 v[124:125], v[252:253], v[212:213], v[124:125] neg_lo:[0,0,1] neg_hi:[0,0,1]
	v_mov_b32_e32 v125, v127
	v_pk_fma_f32 v[126:127], v[254:255], v[214:215], v[122:123] op_sel_hi:[1,0,1]
	s_delay_alu instid0(VALU_DEP_4) | instskip(SKIP_1) | instid1(VALU_DEP_3)
	v_pk_add_f32 v[120:121], v[120:121], v[128:129]
	v_pk_fma_f32 v[122:123], v[254:255], v[214:215], v[122:123] neg_lo:[0,0,1] neg_hi:[0,0,1]
	v_mov_b32_e32 v123, v127
	s_delay_alu instid0(VALU_DEP_3) | instskip(NEXT) | instid1(VALU_DEP_1)
	v_pk_add_f32 v[120:121], v[120:121], v[124:125]
	v_pk_add_f32 v[120:121], v[120:121], v[122:123]
	s_wait_loadcnt 0x0
	s_set_vgpr_msb 1                        ;  msbs: dst=0 src0=1 src1=0 src2=0
	s_delay_alu instid0(VALU_DEP_1)
	v_pk_add_f32 v[120:121], v[56:57] /*v[312:313]*/, v[120:121] neg_lo:[0,1] neg_hi:[0,1]
	scratch_store_b64 off, v[120:121], off offset:80
	s_wait_xcnt 0x0
	v_cmpx_lt_u32_e32 9, v0
	s_set_vgpr_msb 0                        ;  msbs: dst=0 src0=0 src1=0 src2=0
	s_cbranch_execz .LBB58_349
; %bb.348:
	scratch_load_b64 v[120:121], off, off offset:72
	v_mov_b64_e32 v[122:123], 0
	scratch_store_b64 off, v[122:123], off offset:72
	s_wait_loadcnt 0x0
	ds_store_b64 v1, v[120:121]
.LBB58_349:
	s_wait_xcnt 0x0
	s_or_b32 exec_lo, exec_lo, s0
	s_wait_storecnt_dscnt 0x0
	s_barrier_signal -1
	s_barrier_wait -1
	s_clause 0x1a
	scratch_load_b128 v[120:123], off, off offset:80
	scratch_load_b128 v[124:127], off, off offset:96
	;; [unrolled: 1-line block ×24, first 2 shown]
	s_set_vgpr_msb 64                       ;  msbs: dst=1 src0=0 src1=0 src2=0
	scratch_load_b64 v[56:57] /*v[312:313]*/, off, off offset:464
	scratch_load_b64 v[58:59] /*v[314:315]*/, off, off offset:72
	s_set_vgpr_msb 0                        ;  msbs: dst=0 src0=0 src1=0 src2=0
	v_mov_b32_e32 v7, 0
	ds_load_b128 v[216:219], v7 offset:560
	ds_load_b128 v[220:223], v7 offset:576
	;; [unrolled: 1-line block ×10, first 2 shown]
	s_set_vgpr_msb 64                       ;  msbs: dst=1 src0=0 src1=0 src2=0
	ds_load_b128 v[0:3] /*v[256:259]*/, v7 offset:672
	ds_load_b128 v[4:7] /*v[260:263]*/, v7 offset:928
	;; [unrolled: 1-line block ×14, first 2 shown]
	ds_load_b64 v[60:61] /*v[316:317]*/, v7 offset:944
	s_wait_dscnt 0x14
	v_dual_mov_b32 v62 /*v318*/, v235 :: v_dual_mov_b32 v63 /*v319*/, v234
	s_wait_dscnt 0x11
	v_dual_mov_b32 v64 /*v320*/, v247 :: v_dual_mov_b32 v65 /*v321*/, v246
	s_wait_dscnt 0x10
	v_dual_mov_b32 v66 /*v322*/, v251 :: v_dual_mov_b32 v67 /*v323*/, v250
	s_wait_dscnt 0xd
	s_set_vgpr_msb 0x41                     ;  msbs: dst=1 src0=1 src1=0 src2=0
	v_dual_mov_b32 v68 /*v324*/, v7 /*v263*/ :: v_dual_mov_b32 v69 /*v325*/, v6 /*v262*/
	s_mov_b32 s0, exec_lo
	s_wait_loadcnt 0x19
	s_set_vgpr_msb 0                        ;  msbs: dst=0 src0=0 src1=0 src2=0
	v_dual_mul_f32 v9, v216, v121 :: v_dual_mul_f32 v11, v218, v123
	s_wait_loadcnt 0x18
	v_mul_f32_e32 v13, v220, v125
	v_dual_mul_f32 v87, v217, v121 :: v_dual_mul_f32 v89, v219, v123
	s_wait_loadcnt 0x13
	v_dual_mul_f32 v91, v221, v125 :: v_dual_mul_f32 v35, v254, v147
	s_delay_alu instid0(VALU_DEP_2) | instskip(NEXT) | instid1(VALU_DEP_3)
	v_dual_fmac_f32 v9, v217, v120 :: v_dual_fma_f32 v87, v216, v120, -v87
	v_dual_mul_f32 v101, v231, v135 :: v_dual_fma_f32 v89, v218, v122, -v89
	s_delay_alu instid0(VALU_DEP_2) | instskip(SKIP_1) | instid1(VALU_DEP_4)
	v_dual_fmac_f32 v11, v219, v122 :: v_dual_add_f32 v9, 0, v9
	v_dual_mul_f32 v15, v222, v127 :: v_dual_mul_f32 v17, v224, v129
	v_add_f32_e32 v87, 0, v87
	v_dual_mul_f32 v93, v223, v127 :: v_dual_mul_f32 v95, v225, v129
	v_dual_mul_f32 v103, v237, v137 :: v_dual_fma_f32 v91, v220, v124, -v91
	s_wait_loadcnt_dscnt 0x601
	s_set_vgpr_msb 1                        ;  msbs: dst=0 src0=1 src1=0 src2=0
	v_mul_f32_e32 v85, v52 /*v308*/, v197
	s_set_vgpr_msb 0                        ;  msbs: dst=0 src0=0 src1=0 src2=0
	v_fmac_f32_e32 v13, v221, v124
	v_dual_add_f32 v9, v9, v11 :: v_dual_fmac_f32 v15, v223, v126
	v_add_f32_e32 v11, v87, v89
	v_dual_mul_f32 v87, v239, v139 :: v_dual_fma_f32 v89, v222, v126, -v93
	s_delay_alu instid0(VALU_DEP_3) | instskip(NEXT) | instid1(VALU_DEP_3)
	v_dual_add_f32 v9, v9, v13 :: v_dual_mul_f32 v19, v226, v131
	v_dual_mul_f32 v21, v228, v133 :: v_dual_add_f32 v11, v11, v91
	v_dual_mul_f32 v97, v227, v131 :: v_dual_mul_f32 v99, v229, v133
	v_dual_mul_f32 v13, v241, v141 :: v_dual_fma_f32 v91, v224, v128, -v95
	s_delay_alu instid0(VALU_DEP_3) | instskip(SKIP_1) | instid1(VALU_DEP_4)
	v_dual_fmac_f32 v17, v225, v128 :: v_dual_add_f32 v11, v11, v89
	v_dual_add_f32 v9, v9, v15 :: v_dual_fmac_f32 v19, v227, v130
	v_dual_mul_f32 v15, v243, v143 :: v_dual_fma_f32 v89, v226, v130, -v97
	s_delay_alu instid0(VALU_DEP_2) | instskip(SKIP_2) | instid1(VALU_DEP_3)
	v_dual_add_f32 v11, v11, v91 :: v_dual_add_f32 v9, v9, v17
	v_dual_mul_f32 v23, v230, v135 :: v_dual_mul_f32 v25, v236, v137
	v_dual_mul_f32 v17, v253, v145 :: v_dual_fma_f32 v91, v228, v132, -v99
	v_dual_fmac_f32 v21, v229, v132 :: v_dual_add_f32 v11, v11, v89
	s_delay_alu instid0(VALU_DEP_3) | instskip(SKIP_1) | instid1(VALU_DEP_2)
	v_dual_add_f32 v9, v9, v19 :: v_dual_fmac_f32 v23, v231, v134
	v_dual_mul_f32 v19, v255, v147 :: v_dual_fma_f32 v89, v230, v134, -v101
	v_dual_add_f32 v11, v11, v91 :: v_dual_add_f32 v9, v9, v21
	v_dual_mul_f32 v27, v238, v139 :: v_dual_mul_f32 v29, v240, v141
	v_dual_fmac_f32 v25, v237, v136 :: v_dual_fma_f32 v91, v236, v136, -v103
	s_delay_alu instid0(VALU_DEP_3) | instskip(NEXT) | instid1(VALU_DEP_3)
	v_dual_add_f32 v9, v9, v23 :: v_dual_add_f32 v11, v11, v89
	v_fmac_f32_e32 v27, v239, v138
	v_fma_f32 v87, v238, v138, -v87
	v_dual_mul_f32 v31, v242, v143 :: v_dual_mul_f32 v33, v252, v145
	s_delay_alu instid0(VALU_DEP_4)
	v_dual_add_f32 v9, v9, v25 :: v_dual_add_f32 v11, v11, v91
	v_fmac_f32_e32 v29, v241, v140
	v_fma_f32 v13, v240, v140, -v13
	s_set_vgpr_msb 1                        ;  msbs: dst=0 src0=1 src1=0 src2=0
	v_dual_mul_f32 v37, v0 /*v256*/, v149 :: v_dual_mul_f32 v39, v2 /*v258*/, v151
	s_set_vgpr_msb 0                        ;  msbs: dst=0 src0=0 src1=0 src2=0
	v_add_f32_e32 v9, v9, v27
	v_add_f32_e32 v11, v11, v87
	v_fmac_f32_e32 v31, v243, v142
	v_fma_f32 v15, v242, v142, -v15
	s_set_vgpr_msb 1                        ;  msbs: dst=0 src0=1 src1=0 src2=0
	v_dual_mul_f32 v21, v1 /*v257*/, v149 :: v_dual_mul_f32 v23, v3 /*v259*/, v151
	s_set_vgpr_msb 0                        ;  msbs: dst=0 src0=0 src1=0 src2=0
	v_add_f32_e32 v9, v9, v29
	v_dual_add_f32 v11, v11, v13 :: v_dual_fmac_f32 v33, v253, v144
	v_fma_f32 v17, v252, v144, -v17
	s_set_vgpr_msb 1                        ;  msbs: dst=0 src0=1 src1=0 src2=0
	v_fmac_f32_e32 v37, v1 /*v257*/, v148
	s_set_vgpr_msb 0                        ;  msbs: dst=0 src0=0 src1=0 src2=0
	v_add_f32_e32 v9, v9, v31
	v_add_f32_e32 v11, v11, v15
	v_fmac_f32_e32 v35, v255, v146
	v_fma_f32 v19, v254, v146, -v19
	s_set_vgpr_msb 1                        ;  msbs: dst=0 src0=1 src1=0 src2=0
	v_fma_f32 v21, v0 /*v256*/, v148, -v21
	s_set_vgpr_msb 0                        ;  msbs: dst=0 src0=0 src1=0 src2=0
	v_add_f32_e32 v9, v9, v33
	v_add_f32_e32 v11, v11, v17
	s_set_vgpr_msb 1                        ;  msbs: dst=0 src0=1 src1=0 src2=0
	v_mul_f32_e32 v17, v17 /*v273*/, v161
	v_dual_mul_f32 v41, v8 /*v264*/, v153 :: v_dual_mul_f32 v43, v10 /*v266*/, v155
	v_dual_mul_f32 v25, v9 /*v265*/, v153 :: v_dual_mul_f32 v27, v11 /*v267*/, v155
	s_set_vgpr_msb 0                        ;  msbs: dst=0 src0=0 src1=0 src2=0
	v_add_f32_e32 v11, v11, v19
	v_add_f32_e32 v9, v9, v35
	s_set_vgpr_msb 1                        ;  msbs: dst=0 src0=1 src1=0 src2=0
	v_mul_f32_e32 v19, v19 /*v275*/, v163
	v_fmac_f32_e32 v39, v3 /*v259*/, v150
	v_dual_fma_f32 v23, v2 /*v258*/, v150, -v23 :: v_dual_fmac_f32 v41, v9 /*v265*/, v152
	s_set_vgpr_msb 0                        ;  msbs: dst=0 src0=0 src1=0 src2=0
	v_add_f32_e32 v11, v11, v21
	v_add_f32_e32 v9, v9, v37
	s_set_vgpr_msb 1                        ;  msbs: dst=0 src0=1 src1=0 src2=0
	v_dual_mul_f32 v21, v21 /*v277*/, v165 :: v_dual_fma_f32 v25, v8 /*v264*/, v152, -v25
	v_dual_mul_f32 v45, v12 /*v268*/, v157 :: v_dual_mul_f32 v47, v14 /*v270*/, v159
	s_set_vgpr_msb 0                        ;  msbs: dst=0 src0=0 src1=0 src2=0
	v_add_f32_e32 v11, v11, v23
	s_set_vgpr_msb 1                        ;  msbs: dst=0 src0=1 src1=0 src2=0
	v_mul_f32_e32 v23, v23 /*v279*/, v167
	s_set_vgpr_msb 0                        ;  msbs: dst=0 src0=0 src1=0 src2=0
	v_add_f32_e32 v9, v9, v39
	s_set_vgpr_msb 1                        ;  msbs: dst=0 src0=1 src1=0 src2=0
	v_dual_mul_f32 v13, v13 /*v269*/, v157 :: v_dual_mul_f32 v15, v15 /*v271*/, v159
	v_fmac_f32_e32 v43, v11 /*v267*/, v154
	v_dual_fma_f32 v27, v10 /*v266*/, v154, -v27 :: v_dual_fmac_f32 v45, v13 /*v269*/, v156
	s_set_vgpr_msb 0                        ;  msbs: dst=0 src0=0 src1=0 src2=0
	v_add_f32_e32 v11, v11, v25
	v_add_f32_e32 v9, v9, v41
	s_set_vgpr_msb 1                        ;  msbs: dst=0 src0=1 src1=0 src2=0
	v_dual_mul_f32 v25, v25 /*v281*/, v169 :: v_dual_fma_f32 v13, v12 /*v268*/, v156, -v13
	v_dual_mul_f32 v49, v16 /*v272*/, v161 :: v_dual_mul_f32 v51, v18 /*v274*/, v163
	s_set_vgpr_msb 0                        ;  msbs: dst=0 src0=0 src1=0 src2=0
	v_add_f32_e32 v11, v11, v27
	s_set_vgpr_msb 1                        ;  msbs: dst=0 src0=1 src1=0 src2=0
	v_mul_f32_e32 v27, v27 /*v283*/, v171
	s_set_vgpr_msb 0                        ;  msbs: dst=0 src0=0 src1=0 src2=0
	v_add_f32_e32 v9, v9, v43
	s_set_vgpr_msb 1                        ;  msbs: dst=0 src0=1 src1=0 src2=0
	v_fmac_f32_e32 v47, v15 /*v271*/, v158
	v_dual_fma_f32 v15, v14 /*v270*/, v158, -v15 :: v_dual_fmac_f32 v49, v17 /*v273*/, v160
	s_set_vgpr_msb 0                        ;  msbs: dst=0 src0=0 src1=0 src2=0
	v_add_f32_e32 v11, v11, v13
	v_add_f32_e32 v9, v9, v45
	s_set_vgpr_msb 1                        ;  msbs: dst=0 src0=1 src1=0 src2=0
	v_dual_mul_f32 v13, v29 /*v285*/, v173 :: v_dual_fma_f32 v17, v16 /*v272*/, v160, -v17
	v_dual_mul_f32 v53, v20 /*v276*/, v165 :: v_dual_mul_f32 v55, v22 /*v278*/, v167
	s_set_vgpr_msb 0                        ;  msbs: dst=0 src0=0 src1=0 src2=0
	v_add_f32_e32 v11, v11, v15
	s_set_vgpr_msb 1                        ;  msbs: dst=0 src0=1 src1=0 src2=0
	v_mul_f32_e32 v15, v31 /*v287*/, v175
	s_set_vgpr_msb 0                        ;  msbs: dst=0 src0=0 src1=0 src2=0
	v_add_f32_e32 v9, v9, v47
	s_set_vgpr_msb 1                        ;  msbs: dst=0 src0=1 src1=0 src2=0
	;; [unrolled: 15-line block ×8, first 2 shown]
	v_dual_fmac_f32 v75, v43 /*v299*/, v186 :: v_dual_fmac_f32 v77, v45 /*v301*/, v188
	v_dual_fma_f32 v27, v42 /*v298*/, v186, -v27 :: v_dual_fma_f32 v13, v44 /*v300*/, v188, -v13
	s_set_vgpr_msb 0                        ;  msbs: dst=0 src0=0 src1=0 src2=0
	v_add_f32_e32 v11, v11, v25
	v_add_f32_e32 v9, v9, v73
	s_set_vgpr_msb 1                        ;  msbs: dst=0 src0=1 src1=0 src2=0
	v_dual_mul_f32 v81, v48 /*v304*/, v193 :: v_dual_mul_f32 v83, v50 /*v306*/, v195
	s_wait_loadcnt 0x5
	s_set_vgpr_msb 0                        ;  msbs: dst=0 src0=0 src1=0 src2=0
	v_dual_mul_f32 v25, v233, v201 :: v_dual_add_f32 v11, v11, v27
	v_dual_add_f32 v9, v9, v75 :: v_dual_mov_b32 v120, v203
	s_set_vgpr_msb 1                        ;  msbs: dst=0 src0=1 src1=0 src2=0
	v_dual_fmac_f32 v79, v47 /*v303*/, v190 :: v_dual_fmac_f32 v81, v49 /*v305*/, v192
	v_fma_f32 v15, v46 /*v302*/, v190, -v15
	s_set_vgpr_msb 0                        ;  msbs: dst=0 src0=0 src1=0 src2=0
	v_add_f32_e32 v11, v11, v13
	s_set_vgpr_msb 1                        ;  msbs: dst=0 src0=1 src1=0 src2=0
	v_fma_f32 v13, v48 /*v304*/, v192, -v17
	s_set_vgpr_msb 0                        ;  msbs: dst=0 src0=0 src1=0 src2=0
	v_add_f32_e32 v9, v9, v77
	s_set_vgpr_msb 1                        ;  msbs: dst=0 src0=1 src1=0 src2=0
	v_dual_fmac_f32 v83, v51 /*v307*/, v194 :: v_dual_fmac_f32 v85, v53 /*v309*/, v196
	s_set_vgpr_msb 0                        ;  msbs: dst=0 src0=0 src1=0 src2=0
	v_add_f32_e32 v11, v11, v15
	s_set_vgpr_msb 1                        ;  msbs: dst=0 src0=1 src1=0 src2=0
	v_fma_f32 v15, v50 /*v306*/, v194, -v19
	s_wait_loadcnt 0x4
	s_set_vgpr_msb 0                        ;  msbs: dst=0 src0=0 src1=0 src2=0
	v_dual_add_f32 v9, v9, v79 :: v_dual_mov_b32 v124, v207
	s_set_vgpr_msb 0x41                     ;  msbs: dst=1 src0=1 src1=0 src2=0
	v_dual_mul_f32 v71 /*v327*/, v54 /*v310*/, v199 :: v_dual_fma_f32 v70 /*v326*/, v54 /*v310*/, v198, -v23
	s_set_vgpr_msb 1                        ;  msbs: dst=0 src0=1 src1=0 src2=0
	v_pk_mul_f32 v[120:121], v[62:63] /*v[318:319]*/, v[120:121] op_sel_hi:[1,0]
	s_set_vgpr_msb 0                        ;  msbs: dst=0 src0=0 src1=0 src2=0
	v_add_f32_e32 v9, v9, v81
	v_add_f32_e32 v11, v11, v13
	s_set_vgpr_msb 1                        ;  msbs: dst=0 src0=1 src1=0 src2=0
	v_fma_f32 v13, v52 /*v308*/, v196, -v21
	s_set_vgpr_msb 64                       ;  msbs: dst=1 src0=0 src1=0 src2=0
	v_dual_mul_f32 v73 /*v329*/, v232, v201 :: v_dual_fma_f32 v72 /*v328*/, v232, v200, -v25
	s_set_vgpr_msb 0                        ;  msbs: dst=0 src0=0 src1=0 src2=0
	v_add_f32_e32 v9, v9, v83
	v_add_f32_e32 v11, v11, v15
	s_set_vgpr_msb 0x41                     ;  msbs: dst=1 src0=1 src1=0 src2=0
	v_fmac_f32_e32 v71 /*v327*/, v55 /*v311*/, v198
	s_set_vgpr_msb 0                        ;  msbs: dst=0 src0=0 src1=0 src2=0
	v_pk_fma_f32 v[132:133], v[234:235], v[202:203], v[120:121] op_sel_hi:[1,0,1]
	v_pk_fma_f32 v[120:121], v[234:235], v[202:203], v[120:121] neg_lo:[0,0,1] neg_hi:[0,0,1]
	v_add_f32_e32 v129, v9, v85
	v_add_f32_e32 v128, v11, v13
	v_pk_mul_f32 v[122:123], v[244:245], v[204:205] op_sel:[1,1] op_sel_hi:[0,1]
	s_set_vgpr_msb 64                       ;  msbs: dst=1 src0=0 src1=0 src2=0
	v_fmac_f32_e32 v73 /*v329*/, v233, v200
	s_set_vgpr_msb 0                        ;  msbs: dst=0 src0=0 src1=0 src2=0
	v_mov_b32_e32 v121, v133
	s_set_vgpr_msb 1                        ;  msbs: dst=0 src0=1 src1=0 src2=0
	v_pk_mul_f32 v[124:125], v[64:65] /*v[320:321]*/, v[124:125] op_sel_hi:[1,0]
	s_set_vgpr_msb 4                        ;  msbs: dst=0 src0=0 src1=1 src2=0
	v_pk_add_f32 v[128:129], v[128:129], v[70:71] /*v[326:327]*/
	s_set_vgpr_msb 0                        ;  msbs: dst=0 src0=0 src1=0 src2=0
	v_pk_fma_f32 v[134:135], v[244:245], v[204:205], v[122:123] op_sel_hi:[1,0,1]
	v_pk_fma_f32 v[122:123], v[244:245], v[204:205], v[122:123] neg_lo:[0,0,1] neg_hi:[0,0,1]
	s_wait_loadcnt 0x3
	v_pk_mul_f32 v[126:127], v[248:249], v[208:209] op_sel:[1,1] op_sel_hi:[0,1]
	v_mov_b32_e32 v130, v211
	s_set_vgpr_msb 4                        ;  msbs: dst=0 src0=0 src1=1 src2=0
	v_pk_add_f32 v[128:129], v[128:129], v[72:73] /*v[328:329]*/
	v_mov_b32_e32 v123, v135
	s_set_vgpr_msb 0                        ;  msbs: dst=0 src0=0 src1=0 src2=0
	v_pk_fma_f32 v[134:135], v[246:247], v[206:207], v[124:125] op_sel_hi:[1,0,1]
	v_pk_fma_f32 v[124:125], v[246:247], v[206:207], v[124:125] neg_lo:[0,0,1] neg_hi:[0,0,1]
	s_set_vgpr_msb 1                        ;  msbs: dst=0 src0=1 src1=0 src2=0
	v_pk_mul_f32 v[130:131], v[66:67] /*v[322:323]*/, v[130:131] op_sel_hi:[1,0]
	s_set_vgpr_msb 0                        ;  msbs: dst=0 src0=0 src1=0 src2=0
	v_pk_add_f32 v[120:121], v[128:129], v[120:121]
	v_pk_fma_f32 v[128:129], v[248:249], v[208:209], v[126:127] op_sel_hi:[1,0,1]
	v_mov_b32_e32 v125, v135
	v_pk_fma_f32 v[126:127], v[248:249], v[208:209], v[126:127] neg_lo:[0,0,1] neg_hi:[0,0,1]
	s_wait_loadcnt 0x2
	s_set_vgpr_msb 1                        ;  msbs: dst=0 src0=1 src1=0 src2=0
	v_pk_mul_f32 v[132:133], v[4:5] /*v[260:261]*/, v[212:213] op_sel:[1,1] op_sel_hi:[0,1]
	s_set_vgpr_msb 0                        ;  msbs: dst=0 src0=0 src1=0 src2=0
	v_pk_add_f32 v[120:121], v[120:121], v[122:123]
	v_dual_mov_b32 v122, v215 :: v_dual_mov_b32 v127, v129
	v_pk_fma_f32 v[128:129], v[250:251], v[210:211], v[130:131] op_sel_hi:[1,0,1]
	v_pk_fma_f32 v[130:131], v[250:251], v[210:211], v[130:131] neg_lo:[0,0,1] neg_hi:[0,0,1]
	s_delay_alu instid0(VALU_DEP_4)
	v_pk_add_f32 v[120:121], v[120:121], v[124:125]
	s_set_vgpr_msb 1                        ;  msbs: dst=0 src0=1 src1=0 src2=0
	v_pk_fma_f32 v[124:125], v[4:5] /*v[260:261]*/, v[212:213], v[132:133] op_sel_hi:[1,0,1]
	v_pk_mul_f32 v[122:123], v[68:69] /*v[324:325]*/, v[122:123] op_sel_hi:[1,0]
	s_set_vgpr_msb 0                        ;  msbs: dst=0 src0=0 src1=0 src2=0
	v_mov_b32_e32 v131, v129
	s_wait_loadcnt_dscnt 0x100
	s_set_vgpr_msb 5                        ;  msbs: dst=0 src0=1 src1=1 src2=0
	v_pk_mul_f32 v[128:129], v[60:61] /*v[316:317]*/, v[56:57] /*v[312:313]*/ op_sel:[1,1] op_sel_hi:[0,1]
	s_set_vgpr_msb 0                        ;  msbs: dst=0 src0=0 src1=0 src2=0
	v_pk_add_f32 v[120:121], v[120:121], v[126:127]
	s_set_vgpr_msb 1                        ;  msbs: dst=0 src0=1 src1=0 src2=0
	v_pk_fma_f32 v[126:127], v[4:5] /*v[260:261]*/, v[212:213], v[132:133] neg_lo:[0,0,1] neg_hi:[0,0,1]
	s_set_vgpr_msb 0                        ;  msbs: dst=0 src0=0 src1=0 src2=0
	v_mov_b32_e32 v127, v125
	s_set_vgpr_msb 1                        ;  msbs: dst=0 src0=1 src1=0 src2=0
	v_pk_fma_f32 v[124:125], v[6:7] /*v[262:263]*/, v[214:215], v[122:123] op_sel_hi:[1,0,1]
	v_pk_fma_f32 v[122:123], v[6:7] /*v[262:263]*/, v[214:215], v[122:123] neg_lo:[0,0,1] neg_hi:[0,0,1]
	s_set_vgpr_msb 0                        ;  msbs: dst=0 src0=0 src1=0 src2=0
	v_pk_add_f32 v[120:121], v[120:121], v[130:131]
	s_delay_alu instid0(VALU_DEP_3)
	v_mov_b32_e32 v123, v125
	s_set_vgpr_msb 5                        ;  msbs: dst=0 src0=1 src1=1 src2=0
	v_pk_fma_f32 v[124:125], v[60:61] /*v[316:317]*/, v[56:57] /*v[312:313]*/, v[128:129] op_sel_hi:[1,0,1]
	s_set_vgpr_msb 0                        ;  msbs: dst=0 src0=0 src1=0 src2=0
	v_pk_add_f32 v[120:121], v[120:121], v[126:127]
	s_set_vgpr_msb 5                        ;  msbs: dst=0 src0=1 src1=1 src2=0
	v_pk_fma_f32 v[126:127], v[60:61] /*v[316:317]*/, v[56:57] /*v[312:313]*/, v[128:129] neg_lo:[0,0,1] neg_hi:[0,0,1]
	s_set_vgpr_msb 0                        ;  msbs: dst=0 src0=0 src1=0 src2=0
	v_mov_b32_e32 v127, v125
	v_pk_add_f32 v[120:121], v[120:121], v[122:123]
	s_delay_alu instid0(VALU_DEP_1) | instskip(SKIP_2) | instid1(VALU_DEP_1)
	v_pk_add_f32 v[120:121], v[120:121], v[126:127]
	s_wait_loadcnt 0x0
	s_set_vgpr_msb 1                        ;  msbs: dst=0 src0=1 src1=0 src2=0
	v_pk_add_f32 v[120:121], v[58:59] /*v[314:315]*/, v[120:121] neg_lo:[0,1] neg_hi:[0,1]
	scratch_store_b64 off, v[120:121], off offset:72
	s_wait_xcnt 0x0
	v_cmpx_lt_u32_e32 8, v0
	s_set_vgpr_msb 0                        ;  msbs: dst=0 src0=0 src1=0 src2=0
	s_cbranch_execz .LBB58_351
; %bb.350:
	scratch_load_b64 v[120:121], off, off offset:64
	v_mov_b64_e32 v[122:123], 0
	scratch_store_b64 off, v[122:123], off offset:64
	s_wait_loadcnt 0x0
	ds_store_b64 v1, v[120:121]
.LBB58_351:
	s_wait_xcnt 0x0
	s_or_b32 exec_lo, exec_lo, s0
	s_wait_storecnt_dscnt 0x0
	s_barrier_signal -1
	s_barrier_wait -1
	s_clause 0x18
	scratch_load_b128 v[120:123], off, off offset:72
	scratch_load_b128 v[124:127], off, off offset:88
	;; [unrolled: 1-line block ×25, first 2 shown]
	ds_load_2addr_b64 v[220:223], v7 offset0:69 offset1:70
	ds_load_2addr_b64 v[224:227], v7 offset0:71 offset1:72
	ds_load_2addr_b64 v[228:231], v7 offset0:73 offset1:74
	ds_load_2addr_b64 v[232:235], v7 offset0:75 offset1:76
	ds_load_2addr_b64 v[236:239], v7 offset0:109 offset1:110
	ds_load_2addr_b64 v[240:243], v7 offset0:111 offset1:112
	ds_load_2addr_b64 v[244:247], v7 offset0:77 offset1:78
	ds_load_2addr_b64 v[248:251], v7 offset0:79 offset1:80
	ds_load_2addr_b64 v[252:255], v7 offset0:113 offset1:114
	s_set_vgpr_msb 64                       ;  msbs: dst=1 src0=0 src1=0 src2=0
	ds_load_2addr_b64 v[0:3] /*v[256:259]*/, v7 offset0:115 offset1:116
	ds_load_2addr_b64 v[4:7] /*v[260:263]*/, v7 offset0:81 offset1:82
	;; [unrolled: 1-line block ×10, first 2 shown]
	scratch_load_b64 v[64:65] /*v[320:321]*/, off, off offset:64
	ds_load_2addr_b64 v[40:43] /*v[296:299]*/, v7 offset0:97 offset1:98
	ds_load_2addr_b64 v[44:47] /*v[300:303]*/, v7 offset0:99 offset1:100
	;; [unrolled: 1-line block ×6, first 2 shown]
	s_mov_b32 s0, exec_lo
	s_wait_dscnt 0x13
	v_dual_mov_b32 v66 /*v322*/, v243 :: v_dual_mov_b32 v67 /*v323*/, v242
	s_wait_dscnt 0x10
	v_dual_mov_b32 v68 /*v324*/, v255 :: v_dual_mov_b32 v69 /*v325*/, v254
	s_wait_dscnt 0xf
	s_set_vgpr_msb 0x41                     ;  msbs: dst=1 src0=1 src1=0 src2=0
	v_dual_mov_b32 v70 /*v326*/, v3 /*v259*/ :: v_dual_mov_b32 v71 /*v327*/, v2 /*v258*/
	s_wait_dscnt 0xc
	v_dual_mov_b32 v72 /*v328*/, v15 /*v271*/ :: v_dual_mov_b32 v73 /*v329*/, v14 /*v270*/
	s_wait_loadcnt 0x19
	s_set_vgpr_msb 0                        ;  msbs: dst=0 src0=0 src1=0 src2=0
	v_dual_mul_f32 v7, v220, v121 :: v_dual_mul_f32 v9, v222, v123
	v_dual_mul_f32 v87, v221, v121 :: v_dual_mul_f32 v89, v223, v123
	s_wait_loadcnt 0x18
	v_dual_mul_f32 v11, v224, v125 :: v_dual_mul_f32 v13, v226, v127
	s_delay_alu instid0(VALU_DEP_3) | instskip(SKIP_3) | instid1(VALU_DEP_3)
	v_dual_fmac_f32 v7, v221, v120 :: v_dual_fmac_f32 v9, v223, v122
	s_wait_loadcnt 0x16
	v_dual_fma_f32 v87, v220, v120, -v87 :: v_dual_mul_f32 v99, v233, v133
	v_dual_mul_f32 v91, v225, v125 :: v_dual_mul_f32 v93, v227, v127
	v_dual_fma_f32 v89, v222, v122, -v89 :: v_dual_add_f32 v7, 0, v7
	s_delay_alu instid0(VALU_DEP_3) | instskip(SKIP_1) | instid1(VALU_DEP_4)
	v_dual_add_f32 v87, 0, v87 :: v_dual_fmac_f32 v11, v225, v124
	v_dual_mul_f32 v15, v228, v129 :: v_dual_mul_f32 v17, v230, v131
	v_dual_mul_f32 v101, v235, v135 :: v_dual_fma_f32 v91, v224, v124, -v91
	s_delay_alu instid0(VALU_DEP_4) | instskip(NEXT) | instid1(VALU_DEP_3)
	v_add_f32_e32 v7, v7, v9
	v_dual_add_f32 v9, v87, v89 :: v_dual_fmac_f32 v15, v229, v128
	v_dual_mul_f32 v95, v229, v129 :: v_dual_mul_f32 v97, v231, v131
	s_wait_loadcnt 0x15
	v_dual_mul_f32 v87, v245, v137 :: v_dual_fmac_f32 v13, v227, v126
	v_dual_fma_f32 v89, v226, v126, -v93 :: v_dual_add_f32 v7, v7, v11
	s_delay_alu instid0(VALU_DEP_3) | instskip(SKIP_1) | instid1(VALU_DEP_3)
	v_dual_add_f32 v9, v9, v91 :: v_dual_fma_f32 v91, v228, v128, -v95
	v_dual_mul_f32 v19, v232, v133 :: v_dual_mul_f32 v21, v234, v135
	v_add_f32_e32 v7, v7, v13
	s_delay_alu instid0(VALU_DEP_3) | instskip(SKIP_2) | instid1(VALU_DEP_3)
	v_dual_mul_f32 v11, v247, v139 :: v_dual_add_f32 v9, v9, v89
	s_wait_loadcnt 0x14
	v_dual_mul_f32 v13, v249, v141 :: v_dual_fmac_f32 v17, v231, v130
	v_dual_fma_f32 v89, v230, v130, -v97 :: v_dual_add_f32 v7, v7, v15
	s_delay_alu instid0(VALU_DEP_3) | instskip(SKIP_1) | instid1(VALU_DEP_3)
	v_dual_add_f32 v9, v9, v91 :: v_dual_fma_f32 v91, v232, v132, -v99
	v_dual_mul_f32 v15, v251, v143 :: v_dual_fmac_f32 v19, v233, v132
	v_add_f32_e32 v7, v7, v17
	s_delay_alu instid0(VALU_DEP_3) | instskip(SKIP_1) | instid1(VALU_DEP_3)
	v_dual_add_f32 v9, v9, v89 :: v_dual_fmac_f32 v21, v235, v134
	v_dual_mul_f32 v23, v244, v137 :: v_dual_mul_f32 v25, v246, v139
	v_dual_fma_f32 v89, v234, v134, -v101 :: v_dual_add_f32 v7, v7, v19
	s_delay_alu instid0(VALU_DEP_3) | instskip(NEXT) | instid1(VALU_DEP_3)
	v_dual_add_f32 v9, v9, v91 :: v_dual_fma_f32 v87, v244, v136, -v87
	v_dual_fmac_f32 v23, v245, v136 :: v_dual_mul_f32 v27, v248, v141
	s_delay_alu instid0(VALU_DEP_3) | instskip(NEXT) | instid1(VALU_DEP_3)
	v_dual_mul_f32 v29, v250, v143 :: v_dual_add_f32 v7, v7, v21
	v_dual_fma_f32 v11, v246, v138, -v11 :: v_dual_add_f32 v9, v9, v89
	s_delay_alu instid0(VALU_DEP_3) | instskip(NEXT) | instid1(VALU_DEP_3)
	v_dual_fmac_f32 v25, v247, v138 :: v_dual_fmac_f32 v27, v249, v140
	v_dual_add_f32 v7, v7, v23 :: v_dual_fma_f32 v13, v248, v140, -v13
	s_delay_alu instid0(VALU_DEP_3)
	v_add_f32_e32 v9, v9, v87
	s_wait_loadcnt 0x13
	s_set_vgpr_msb 1                        ;  msbs: dst=0 src0=1 src1=0 src2=0
	v_dual_mul_f32 v31, v4 /*v260*/, v145 :: v_dual_mul_f32 v33, v6 /*v262*/, v147
	s_set_vgpr_msb 0                        ;  msbs: dst=0 src0=0 src1=0 src2=0
	v_add_f32_e32 v7, v7, v25
	s_set_vgpr_msb 1                        ;  msbs: dst=0 src0=1 src1=0 src2=0
	v_dual_mul_f32 v17, v5 /*v261*/, v145 :: v_dual_mul_f32 v19, v7 /*v263*/, v147
	s_set_vgpr_msb 0                        ;  msbs: dst=0 src0=0 src1=0 src2=0
	v_dual_add_f32 v9, v9, v11 :: v_dual_fmac_f32 v29, v251, v142
	v_dual_fma_f32 v15, v250, v142, -v15 :: v_dual_add_f32 v7, v7, v27
	s_set_vgpr_msb 1                        ;  msbs: dst=0 src0=1 src1=0 src2=0
	v_dual_fmac_f32 v31, v5 /*v261*/, v144 :: v_dual_fma_f32 v17, v4 /*v260*/, v144, -v17
	s_set_vgpr_msb 0                        ;  msbs: dst=0 src0=0 src1=0 src2=0
	v_add_f32_e32 v9, v9, v13
	s_wait_loadcnt 0x12
	s_set_vgpr_msb 1                        ;  msbs: dst=0 src0=1 src1=0 src2=0
	v_dual_mul_f32 v35, v8 /*v264*/, v149 :: v_dual_mul_f32 v37, v10 /*v266*/, v151
	s_set_vgpr_msb 0                        ;  msbs: dst=0 src0=0 src1=0 src2=0
	v_add_f32_e32 v7, v7, v29
	s_set_vgpr_msb 1                        ;  msbs: dst=0 src0=1 src1=0 src2=0
	v_dual_mul_f32 v21, v9 /*v265*/, v149 :: v_dual_mul_f32 v23, v11 /*v267*/, v151
	s_set_vgpr_msb 0                        ;  msbs: dst=0 src0=0 src1=0 src2=0
	v_add_f32_e32 v9, v9, v15
	s_wait_loadcnt_dscnt 0x100a
	s_set_vgpr_msb 1                        ;  msbs: dst=0 src0=1 src1=0 src2=0
	v_dual_mul_f32 v15, v21 /*v277*/, v157 :: v_dual_fmac_f32 v33, v7 /*v263*/, v146
	v_fma_f32 v19, v6 /*v262*/, v146, -v19
	s_set_vgpr_msb 0                        ;  msbs: dst=0 src0=0 src1=0 src2=0
	v_dual_add_f32 v7, v7, v31 :: v_dual_add_f32 v9, v9, v17
	s_set_vgpr_msb 1                        ;  msbs: dst=0 src0=1 src1=0 src2=0
	v_dual_mul_f32 v17, v23 /*v279*/, v159 :: v_dual_fmac_f32 v35, v9 /*v265*/, v148
	v_fma_f32 v21, v8 /*v264*/, v148, -v21
	s_set_vgpr_msb 0                        ;  msbs: dst=0 src0=0 src1=0 src2=0
	v_dual_add_f32 v7, v7, v33 :: v_dual_add_f32 v9, v9, v19
	s_set_vgpr_msb 1                        ;  msbs: dst=0 src0=1 src1=0 src2=0
	v_dual_mul_f32 v11, v17 /*v273*/, v153 :: v_dual_mul_f32 v13, v19 /*v275*/, v155
	s_wait_loadcnt_dscnt 0xf09
	v_dual_mul_f32 v19, v25 /*v281*/, v161 :: v_dual_fmac_f32 v37, v11 /*v267*/, v150
	v_fma_f32 v23, v10 /*v266*/, v150, -v23
	s_set_vgpr_msb 0                        ;  msbs: dst=0 src0=0 src1=0 src2=0
	v_dual_add_f32 v7, v7, v35 :: v_dual_add_f32 v9, v9, v21
	s_set_vgpr_msb 1                        ;  msbs: dst=0 src0=1 src1=0 src2=0
	v_dual_mul_f32 v39, v16 /*v272*/, v153 :: v_dual_mul_f32 v41, v18 /*v274*/, v155
	v_dual_mul_f32 v21, v27 /*v283*/, v163 :: v_dual_fma_f32 v11, v16 /*v272*/, v152, -v11
	s_set_vgpr_msb 0                        ;  msbs: dst=0 src0=0 src1=0 src2=0
	v_dual_add_f32 v7, v7, v37 :: v_dual_add_f32 v9, v9, v23
	s_set_vgpr_msb 1                        ;  msbs: dst=0 src0=1 src1=0 src2=0
	v_dual_fmac_f32 v39, v17 /*v273*/, v152 :: v_dual_fmac_f32 v41, v19 /*v275*/, v154
	s_wait_loadcnt_dscnt 0xe08
	v_dual_mul_f32 v23, v29 /*v285*/, v165 :: v_dual_fma_f32 v13, v18 /*v274*/, v154, -v13
	s_set_vgpr_msb 0                        ;  msbs: dst=0 src0=0 src1=0 src2=0
	v_add_f32_e32 v9, v9, v11
	s_set_vgpr_msb 1                        ;  msbs: dst=0 src0=1 src1=0 src2=0
	v_dual_mul_f32 v43, v20 /*v276*/, v157 :: v_dual_mul_f32 v45, v22 /*v278*/, v159
	v_mul_f32_e32 v11, v31 /*v287*/, v167
	s_set_vgpr_msb 0                        ;  msbs: dst=0 src0=0 src1=0 src2=0
	v_dual_add_f32 v7, v7, v39 :: v_dual_add_f32 v9, v9, v13
	s_wait_loadcnt_dscnt 0xd07
	s_set_vgpr_msb 1                        ;  msbs: dst=0 src0=1 src1=0 src2=0
	v_dual_fma_f32 v15, v20 /*v276*/, v156, -v15 :: v_dual_mul_f32 v13, v33 /*v289*/, v169
	v_dual_fmac_f32 v43, v21 /*v277*/, v156 :: v_dual_fmac_f32 v45, v23 /*v279*/, v158
	s_set_vgpr_msb 0                        ;  msbs: dst=0 src0=0 src1=0 src2=0
	v_add_f32_e32 v7, v7, v41
	s_set_vgpr_msb 1                        ;  msbs: dst=0 src0=1 src1=0 src2=0
	v_fma_f32 v17, v22 /*v278*/, v158, -v17
	s_set_vgpr_msb 0                        ;  msbs: dst=0 src0=0 src1=0 src2=0
	v_add_f32_e32 v9, v9, v15
	s_set_vgpr_msb 1                        ;  msbs: dst=0 src0=1 src1=0 src2=0
	v_dual_mul_f32 v47, v24 /*v280*/, v161 :: v_dual_mul_f32 v49, v26 /*v282*/, v163
	v_mul_f32_e32 v15, v35 /*v291*/, v171
	s_set_vgpr_msb 0                        ;  msbs: dst=0 src0=0 src1=0 src2=0
	v_dual_add_f32 v7, v7, v43 :: v_dual_add_f32 v9, v9, v17
	s_wait_loadcnt_dscnt 0xc06
	s_set_vgpr_msb 1                        ;  msbs: dst=0 src0=1 src1=0 src2=0
	v_dual_fma_f32 v19, v24 /*v280*/, v160, -v19 :: v_dual_mul_f32 v17, v37 /*v293*/, v173
	v_dual_fmac_f32 v47, v25 /*v281*/, v160 :: v_dual_fmac_f32 v49, v27 /*v283*/, v162
	s_set_vgpr_msb 0                        ;  msbs: dst=0 src0=0 src1=0 src2=0
	v_add_f32_e32 v7, v7, v45
	s_set_vgpr_msb 1                        ;  msbs: dst=0 src0=1 src1=0 src2=0
	v_fma_f32 v21, v26 /*v282*/, v162, -v21
	s_set_vgpr_msb 0                        ;  msbs: dst=0 src0=0 src1=0 src2=0
	v_add_f32_e32 v9, v9, v19
	s_set_vgpr_msb 1                        ;  msbs: dst=0 src0=1 src1=0 src2=0
	v_dual_mul_f32 v51, v28 /*v284*/, v165 :: v_dual_mul_f32 v53, v30 /*v286*/, v167
	v_mul_f32_e32 v19, v39 /*v295*/, v175
	s_set_vgpr_msb 0                        ;  msbs: dst=0 src0=0 src1=0 src2=0
	v_dual_add_f32 v7, v7, v47 :: v_dual_add_f32 v9, v9, v21
	s_wait_loadcnt_dscnt 0xb05
	s_set_vgpr_msb 1                        ;  msbs: dst=0 src0=1 src1=0 src2=0
	v_dual_fma_f32 v23, v28 /*v284*/, v164, -v23 :: v_dual_mul_f32 v21, v41 /*v297*/, v177
	v_dual_mul_f32 v55, v32 /*v288*/, v169 :: v_dual_mul_f32 v57, v34 /*v290*/, v171
	v_dual_mul_f32 v59, v36 /*v292*/, v173 :: v_dual_mul_f32 v61, v38 /*v294*/, v175
	v_dual_fmac_f32 v51, v29 /*v285*/, v164 :: v_dual_fmac_f32 v53, v31 /*v287*/, v166
	v_fma_f32 v11, v30 /*v286*/, v166, -v11
	s_set_vgpr_msb 0                        ;  msbs: dst=0 src0=0 src1=0 src2=0
	v_dual_add_f32 v9, v9, v23 :: v_dual_add_f32 v7, v7, v49
	s_set_vgpr_msb 1                        ;  msbs: dst=0 src0=1 src1=0 src2=0
	v_dual_mul_f32 v23, v43 /*v299*/, v179 :: v_dual_fmac_f32 v55, v33 /*v289*/, v168
	v_fma_f32 v13, v32 /*v288*/, v168, -v13
	v_dual_fmac_f32 v57, v35 /*v291*/, v170 :: v_dual_fmac_f32 v59, v37 /*v293*/, v172
	s_set_vgpr_msb 0                        ;  msbs: dst=0 src0=0 src1=0 src2=0
	v_add_f32_e32 v9, v9, v11
	s_set_vgpr_msb 1                        ;  msbs: dst=0 src0=1 src1=0 src2=0
	v_dual_mul_f32 v63, v40 /*v296*/, v177 :: v_dual_mul_f32 v65, v42 /*v298*/, v179
	s_set_vgpr_msb 0                        ;  msbs: dst=0 src0=0 src1=0 src2=0
	v_add_f32_e32 v7, v7, v51
	s_wait_loadcnt_dscnt 0xa04
	s_set_vgpr_msb 1                        ;  msbs: dst=0 src0=1 src1=0 src2=0
	v_dual_mul_f32 v11, v45 /*v301*/, v181 :: v_dual_fma_f32 v15, v34 /*v290*/, v170, -v15
	s_set_vgpr_msb 0                        ;  msbs: dst=0 src0=0 src1=0 src2=0
	v_add_f32_e32 v9, v9, v13
	s_set_vgpr_msb 1                        ;  msbs: dst=0 src0=1 src1=0 src2=0
	v_dual_mul_f32 v13, v47 /*v303*/, v183 :: v_dual_fma_f32 v17, v36 /*v292*/, v172, -v17
	s_set_vgpr_msb 0                        ;  msbs: dst=0 src0=0 src1=0 src2=0
	v_add_f32_e32 v7, v7, v53
	s_set_vgpr_msb 1                        ;  msbs: dst=0 src0=1 src1=0 src2=0
	v_dual_fmac_f32 v61, v39 /*v295*/, v174 :: v_dual_fmac_f32 v63, v41 /*v297*/, v176
	s_set_vgpr_msb 0                        ;  msbs: dst=0 src0=0 src1=0 src2=0
	v_add_f32_e32 v9, v9, v15
	s_set_vgpr_msb 1                        ;  msbs: dst=0 src0=1 src1=0 src2=0
	v_dual_mul_f32 v67, v44 /*v300*/, v181 :: v_dual_mul_f32 v69, v46 /*v302*/, v183
	s_set_vgpr_msb 0                        ;  msbs: dst=0 src0=0 src1=0 src2=0
	v_add_f32_e32 v7, v7, v55
	s_wait_loadcnt_dscnt 0x903
	s_set_vgpr_msb 1                        ;  msbs: dst=0 src0=1 src1=0 src2=0
	v_dual_mul_f32 v15, v49 /*v305*/, v185 :: v_dual_fma_f32 v19, v38 /*v294*/, v174, -v19
	s_set_vgpr_msb 0                        ;  msbs: dst=0 src0=0 src1=0 src2=0
	v_add_f32_e32 v9, v9, v17
	s_set_vgpr_msb 1                        ;  msbs: dst=0 src0=1 src1=0 src2=0
	v_dual_mul_f32 v17, v51 /*v307*/, v187 :: v_dual_fma_f32 v21, v40 /*v296*/, v176, -v21
	s_set_vgpr_msb 0                        ;  msbs: dst=0 src0=0 src1=0 src2=0
	v_add_f32_e32 v7, v7, v57
	s_set_vgpr_msb 1                        ;  msbs: dst=0 src0=1 src1=0 src2=0
	v_dual_fmac_f32 v65, v43 /*v299*/, v178 :: v_dual_fmac_f32 v67, v45 /*v301*/, v180
	s_set_vgpr_msb 0                        ;  msbs: dst=0 src0=0 src1=0 src2=0
	v_add_f32_e32 v9, v9, v19
	s_set_vgpr_msb 1                        ;  msbs: dst=0 src0=1 src1=0 src2=0
	v_dual_mul_f32 v71, v48 /*v304*/, v185 :: v_dual_mul_f32 v73, v50 /*v306*/, v187
	s_set_vgpr_msb 0                        ;  msbs: dst=0 src0=0 src1=0 src2=0
	v_add_f32_e32 v7, v7, v59
	s_wait_loadcnt_dscnt 0x802
	s_set_vgpr_msb 1                        ;  msbs: dst=0 src0=1 src1=0 src2=0
	v_dual_mul_f32 v19, v53 /*v309*/, v189 :: v_dual_fma_f32 v23, v42 /*v298*/, v178, -v23
	s_set_vgpr_msb 0                        ;  msbs: dst=0 src0=0 src1=0 src2=0
	v_add_f32_e32 v9, v9, v21
	s_set_vgpr_msb 1                        ;  msbs: dst=0 src0=1 src1=0 src2=0
	v_dual_mul_f32 v75, v52 /*v308*/, v189 :: v_dual_mul_f32 v77, v54 /*v310*/, v191
	s_set_vgpr_msb 0                        ;  msbs: dst=0 src0=0 src1=0 src2=0
	v_add_f32_e32 v7, v7, v61
	s_set_vgpr_msb 1                        ;  msbs: dst=0 src0=1 src1=0 src2=0
	v_dual_mul_f32 v21, v55 /*v311*/, v191 :: v_dual_fma_f32 v11, v44 /*v300*/, v180, -v11
	v_dual_fmac_f32 v69, v47 /*v303*/, v182 :: v_dual_fmac_f32 v71, v49 /*v305*/, v184
	s_set_vgpr_msb 0                        ;  msbs: dst=0 src0=0 src1=0 src2=0
	v_add_f32_e32 v9, v9, v23
	s_wait_loadcnt_dscnt 0x701
	s_set_vgpr_msb 1                        ;  msbs: dst=0 src0=1 src1=0 src2=0
	v_dual_mul_f32 v23, v57 /*v313*/, v193 :: v_dual_fma_f32 v13, v46 /*v302*/, v182, -v13
	v_dual_fmac_f32 v73, v51 /*v307*/, v186 :: v_dual_fmac_f32 v75, v53 /*v309*/, v188
	s_set_vgpr_msb 0                        ;  msbs: dst=0 src0=0 src1=0 src2=0
	v_add_f32_e32 v9, v9, v11
	v_add_f32_e32 v7, v7, v63
	s_set_vgpr_msb 1                        ;  msbs: dst=0 src0=1 src1=0 src2=0
	v_dual_mul_f32 v79, v56 /*v312*/, v193 :: v_dual_mul_f32 v81, v58 /*v314*/, v195
	v_dual_mul_f32 v11, v59 /*v315*/, v195 :: v_dual_fma_f32 v15, v48 /*v304*/, v184, -v15
	s_set_vgpr_msb 0                        ;  msbs: dst=0 src0=0 src1=0 src2=0
	v_add_f32_e32 v9, v9, v13
	v_add_f32_e32 v7, v7, v65
	s_wait_loadcnt_dscnt 0x600
	s_set_vgpr_msb 1                        ;  msbs: dst=0 src0=1 src1=0 src2=0
	v_dual_mul_f32 v13, v61 /*v317*/, v197 :: v_dual_fma_f32 v17, v50 /*v306*/, v186, -v17
	v_dual_fmac_f32 v77, v55 /*v311*/, v190 :: v_dual_fmac_f32 v79, v57 /*v313*/, v192
	s_set_vgpr_msb 0                        ;  msbs: dst=0 src0=0 src1=0 src2=0
	v_add_f32_e32 v9, v9, v15
	v_add_f32_e32 v7, v7, v67
	s_set_vgpr_msb 1                        ;  msbs: dst=0 src0=1 src1=0 src2=0
	v_dual_mul_f32 v15, v63 /*v319*/, v199 :: v_dual_fma_f32 v19, v52 /*v308*/, v188, -v19
	v_dual_fma_f32 v21, v54 /*v310*/, v190, -v21 :: v_dual_fma_f32 v23, v56 /*v312*/, v192, -v23
	s_set_vgpr_msb 0                        ;  msbs: dst=0 src0=0 src1=0 src2=0
	v_add_f32_e32 v9, v9, v17
	v_add_f32_e32 v7, v7, v69
	s_wait_loadcnt 0x4
	v_dual_mul_f32 v17, v237, v201 :: v_dual_mov_b32 v122, v207
	s_set_vgpr_msb 1                        ;  msbs: dst=0 src0=1 src1=0 src2=0
	v_dual_mul_f32 v83, v60 /*v316*/, v197 :: v_dual_mul_f32 v85, v62 /*v318*/, v199
	s_set_vgpr_msb 0                        ;  msbs: dst=0 src0=0 src1=0 src2=0
	v_add_f32_e32 v7, v7, v71
	v_add_f32_e32 v9, v9, v19
	s_set_vgpr_msb 1                        ;  msbs: dst=0 src0=1 src1=0 src2=0
	v_dual_fmac_f32 v81, v59 /*v315*/, v194 :: v_dual_fma_f32 v11, v58 /*v314*/, v194, -v11
	v_dual_fmac_f32 v83, v61 /*v317*/, v196 :: v_dual_fma_f32 v13, v60 /*v316*/, v196, -v13
	s_set_vgpr_msb 0                        ;  msbs: dst=0 src0=0 src1=0 src2=0
	v_add_f32_e32 v7, v7, v73
	v_add_f32_e32 v9, v9, v21
	s_set_vgpr_msb 64                       ;  msbs: dst=1 src0=0 src1=0 src2=0
	v_dual_mul_f32 v75 /*v331*/, v236, v201 :: v_dual_mul_f32 v77 /*v333*/, v238, v203
	s_set_vgpr_msb 1                        ;  msbs: dst=0 src0=1 src1=0 src2=0
	v_fmac_f32_e32 v85, v63 /*v319*/, v198
	s_set_vgpr_msb 0                        ;  msbs: dst=0 src0=0 src1=0 src2=0
	v_add_f32_e32 v7, v7, v75
	s_wait_loadcnt 0x3
	v_mov_b32_e32 v126, v211
	v_pk_mul_f32 v[120:121], v[240:241], v[204:205] op_sel:[1,1] op_sel_hi:[0,1]
	s_set_vgpr_msb 64                       ;  msbs: dst=1 src0=0 src1=0 src2=0
	v_dual_fmac_f32 v75 /*v331*/, v237, v200 :: v_dual_fmac_f32 v77 /*v333*/, v239, v202
	s_set_vgpr_msb 0                        ;  msbs: dst=0 src0=0 src1=0 src2=0
	v_add_f32_e32 v7, v7, v77
	s_set_vgpr_msb 1                        ;  msbs: dst=0 src0=1 src1=0 src2=0
	v_pk_mul_f32 v[122:123], v[66:67] /*v[322:323]*/, v[122:123] op_sel_hi:[1,0]
	s_set_vgpr_msb 0                        ;  msbs: dst=0 src0=0 src1=0 src2=0
	v_pk_fma_f32 v[130:131], v[240:241], v[204:205], v[120:121] op_sel_hi:[1,0,1]
	v_pk_fma_f32 v[120:121], v[240:241], v[204:205], v[120:121] neg_lo:[0,0,1] neg_hi:[0,0,1]
	v_pk_mul_f32 v[124:125], v[252:253], v[208:209] op_sel:[1,1] op_sel_hi:[0,1]
	v_add_f32_e32 v7, v7, v79
	s_delay_alu instid0(VALU_DEP_4) | instskip(SKIP_2) | instid1(VALU_DEP_3)
	v_dual_add_f32 v9, v9, v23 :: v_dual_mov_b32 v121, v131
	v_pk_fma_f32 v[130:131], v[242:243], v[206:207], v[122:123] op_sel_hi:[1,0,1]
	v_pk_fma_f32 v[122:123], v[242:243], v[206:207], v[122:123] neg_lo:[0,0,1] neg_hi:[0,0,1]
	v_dual_add_f32 v7, v7, v81 :: v_dual_add_f32 v9, v9, v11
	v_mul_f32_e32 v19, v239, v203
	s_set_vgpr_msb 1                        ;  msbs: dst=0 src0=1 src1=0 src2=0
	v_fma_f32 v11, v62 /*v318*/, v198, -v15
	s_set_vgpr_msb 0                        ;  msbs: dst=0 src0=0 src1=0 src2=0
	v_pk_fma_f32 v[134:135], v[252:253], v[208:209], v[124:125] op_sel_hi:[1,0,1]
	v_dual_add_f32 v7, v7, v83 :: v_dual_add_f32 v9, v9, v13
	s_set_vgpr_msb 64                       ;  msbs: dst=1 src0=0 src1=0 src2=0
	v_dual_fma_f32 v74 /*v330*/, v236, v200, -v17 :: v_dual_fma_f32 v76 /*v332*/, v238, v202, -v19
	s_set_vgpr_msb 1                        ;  msbs: dst=0 src0=1 src1=0 src2=0
	v_pk_mul_f32 v[126:127], v[68:69] /*v[324:325]*/, v[126:127] op_sel_hi:[1,0]
	s_set_vgpr_msb 0                        ;  msbs: dst=0 src0=0 src1=0 src2=0
	v_dual_add_f32 v129, v7, v85 :: v_dual_add_f32 v128, v9, v11
	v_mov_b32_e32 v123, v131
	s_wait_loadcnt 0x2
	s_set_vgpr_msb 1                        ;  msbs: dst=0 src0=1 src1=0 src2=0
	v_pk_mul_f32 v[132:133], v[0:1] /*v[256:257]*/, v[212:213] op_sel:[1,1] op_sel_hi:[0,1]
	s_set_vgpr_msb 0                        ;  msbs: dst=0 src0=0 src1=0 src2=0
	v_pk_fma_f32 v[124:125], v[252:253], v[208:209], v[124:125] neg_lo:[0,0,1] neg_hi:[0,0,1]
	v_mov_b32_e32 v125, v135
	s_set_vgpr_msb 4                        ;  msbs: dst=0 src0=0 src1=1 src2=0
	v_pk_add_f32 v[128:129], v[128:129], v[74:75] /*v[330:331]*/
	s_set_vgpr_msb 0                        ;  msbs: dst=0 src0=0 src1=0 src2=0
	v_pk_fma_f32 v[130:131], v[254:255], v[210:211], v[126:127] op_sel_hi:[1,0,1]
	v_pk_fma_f32 v[126:127], v[254:255], v[210:211], v[126:127] neg_lo:[0,0,1] neg_hi:[0,0,1]
	s_set_vgpr_msb 4                        ;  msbs: dst=0 src0=0 src1=1 src2=0
	v_pk_add_f32 v[128:129], v[128:129], v[76:77] /*v[332:333]*/
	s_set_vgpr_msb 0                        ;  msbs: dst=0 src0=0 src1=0 src2=0
	s_delay_alu instid0(VALU_DEP_1) | instskip(SKIP_1) | instid1(VALU_DEP_2)
	v_pk_add_f32 v[120:121], v[128:129], v[120:121]
	v_mov_b32_e32 v128, v215
	v_pk_add_f32 v[120:121], v[120:121], v[122:123]
	s_set_vgpr_msb 1                        ;  msbs: dst=0 src0=1 src1=0 src2=0
	v_pk_fma_f32 v[122:123], v[0:1] /*v[256:257]*/, v[212:213], v[132:133] op_sel_hi:[1,0,1]
	s_delay_alu instid0(VALU_DEP_3)
	v_pk_mul_f32 v[128:129], v[70:71] /*v[326:327]*/, v[128:129] op_sel_hi:[1,0]
	s_set_vgpr_msb 0                        ;  msbs: dst=0 src0=0 src1=0 src2=0
	v_mov_b32_e32 v127, v131
	s_set_vgpr_msb 1                        ;  msbs: dst=0 src0=1 src1=0 src2=0
	v_pk_fma_f32 v[130:131], v[0:1] /*v[256:257]*/, v[212:213], v[132:133] neg_lo:[0,0,1] neg_hi:[0,0,1]
	s_set_vgpr_msb 0                        ;  msbs: dst=0 src0=0 src1=0 src2=0
	v_pk_add_f32 v[120:121], v[120:121], v[124:125]
	v_mov_b32_e32 v131, v123
	s_set_vgpr_msb 1                        ;  msbs: dst=0 src0=1 src1=0 src2=0
	v_pk_fma_f32 v[122:123], v[2:3] /*v[258:259]*/, v[214:215], v[128:129] op_sel_hi:[1,0,1]
	s_wait_loadcnt 0x1
	v_pk_mul_f32 v[124:125], v[12:13] /*v[268:269]*/, v[216:217] op_sel:[1,1] op_sel_hi:[0,1]
	s_set_vgpr_msb 0                        ;  msbs: dst=0 src0=0 src1=0 src2=0
	v_mov_b32_e32 v122, v219
	v_pk_add_f32 v[120:121], v[120:121], v[126:127]
	s_set_vgpr_msb 1                        ;  msbs: dst=0 src0=1 src1=0 src2=0
	v_pk_fma_f32 v[128:129], v[2:3] /*v[258:259]*/, v[214:215], v[128:129] neg_lo:[0,0,1] neg_hi:[0,0,1]
	s_set_vgpr_msb 0                        ;  msbs: dst=0 src0=0 src1=0 src2=0
	v_mov_b32_e32 v129, v123
	s_set_vgpr_msb 1                        ;  msbs: dst=0 src0=1 src1=0 src2=0
	v_pk_fma_f32 v[126:127], v[12:13] /*v[268:269]*/, v[216:217], v[124:125] op_sel_hi:[1,0,1]
	v_pk_mul_f32 v[122:123], v[72:73] /*v[328:329]*/, v[122:123] op_sel_hi:[1,0]
	s_set_vgpr_msb 0                        ;  msbs: dst=0 src0=0 src1=0 src2=0
	v_pk_add_f32 v[120:121], v[120:121], v[130:131]
	s_set_vgpr_msb 1                        ;  msbs: dst=0 src0=1 src1=0 src2=0
	v_pk_fma_f32 v[124:125], v[12:13] /*v[268:269]*/, v[216:217], v[124:125] neg_lo:[0,0,1] neg_hi:[0,0,1]
	s_set_vgpr_msb 0                        ;  msbs: dst=0 src0=0 src1=0 src2=0
	v_mov_b32_e32 v125, v127
	s_set_vgpr_msb 1                        ;  msbs: dst=0 src0=1 src1=0 src2=0
	v_pk_fma_f32 v[126:127], v[14:15] /*v[270:271]*/, v[218:219], v[122:123] op_sel_hi:[1,0,1]
	s_set_vgpr_msb 0                        ;  msbs: dst=0 src0=0 src1=0 src2=0
	v_pk_add_f32 v[120:121], v[120:121], v[128:129]
	s_set_vgpr_msb 1                        ;  msbs: dst=0 src0=1 src1=0 src2=0
	v_pk_fma_f32 v[122:123], v[14:15] /*v[270:271]*/, v[218:219], v[122:123] neg_lo:[0,0,1] neg_hi:[0,0,1]
	s_set_vgpr_msb 0                        ;  msbs: dst=0 src0=0 src1=0 src2=0
	v_mov_b32_e32 v123, v127
	v_pk_add_f32 v[120:121], v[120:121], v[124:125]
	s_delay_alu instid0(VALU_DEP_1) | instskip(SKIP_2) | instid1(VALU_DEP_1)
	v_pk_add_f32 v[120:121], v[120:121], v[122:123]
	s_wait_loadcnt 0x0
	s_set_vgpr_msb 1                        ;  msbs: dst=0 src0=1 src1=0 src2=0
	v_pk_add_f32 v[120:121], v[64:65] /*v[320:321]*/, v[120:121] neg_lo:[0,1] neg_hi:[0,1]
	scratch_store_b64 off, v[120:121], off offset:64
	s_wait_xcnt 0x0
	v_cmpx_lt_u32_e32 7, v0
	s_set_vgpr_msb 0                        ;  msbs: dst=0 src0=0 src1=0 src2=0
	s_cbranch_execz .LBB58_353
; %bb.352:
	scratch_load_b64 v[120:121], off, off offset:56
	v_mov_b64_e32 v[122:123], 0
	scratch_store_b64 off, v[122:123], off offset:56
	s_wait_loadcnt 0x0
	ds_store_b64 v1, v[120:121]
.LBB58_353:
	s_wait_xcnt 0x0
	s_or_b32 exec_lo, exec_lo, s0
	s_wait_storecnt_dscnt 0x0
	s_barrier_signal -1
	s_barrier_wait -1
	s_clause 0x1b
	scratch_load_b128 v[120:123], off, off offset:64
	scratch_load_b128 v[124:127], off, off offset:80
	;; [unrolled: 1-line block ×25, first 2 shown]
	s_set_vgpr_msb 64                       ;  msbs: dst=1 src0=0 src1=0 src2=0
	scratch_load_b64 v[64:65] /*v[320:321]*/, off, off offset:464
	scratch_load_b64 v[66:67] /*v[322:323]*/, off, off offset:56
	s_set_vgpr_msb 0                        ;  msbs: dst=0 src0=0 src1=0 src2=0
	v_mov_b32_e32 v7, 0
	ds_load_b128 v[220:223], v7 offset:544
	ds_load_b128 v[224:227], v7 offset:560
	;; [unrolled: 1-line block ×9, first 2 shown]
	s_set_vgpr_msb 64                       ;  msbs: dst=1 src0=0 src1=0 src2=0
	ds_load_b128 v[0:3] /*v[256:259]*/, v7 offset:912
	ds_load_b128 v[4:7] /*v[260:263]*/, v7 offset:640
	;; [unrolled: 1-line block ×16, first 2 shown]
	ds_load_b64 v[68:69] /*v[324:325]*/, v7 offset:944
	s_wait_dscnt 0x14
	v_dual_mov_b32 v70 /*v326*/, v243 :: v_dual_mov_b32 v71 /*v327*/, v242
	s_wait_dscnt 0x11
	v_dual_mov_b32 v72 /*v328*/, v255 :: v_dual_mov_b32 v73 /*v329*/, v254
	s_wait_dscnt 0x10
	s_set_vgpr_msb 0x41                     ;  msbs: dst=1 src0=1 src1=0 src2=0
	v_dual_mov_b32 v74 /*v330*/, v3 /*v259*/ :: v_dual_mov_b32 v75 /*v331*/, v2 /*v258*/
	s_wait_dscnt 0xd
	v_dual_mov_b32 v76 /*v332*/, v15 /*v271*/ :: v_dual_mov_b32 v77 /*v333*/, v14 /*v270*/
	s_mov_b32 s0, exec_lo
	s_wait_loadcnt 0x1a
	s_set_vgpr_msb 0                        ;  msbs: dst=0 src0=0 src1=0 src2=0
	v_dual_mul_f32 v9, v220, v121 :: v_dual_mul_f32 v75, v221, v121
	s_wait_loadcnt 0x19
	v_dual_mul_f32 v11, v222, v123 :: v_dual_mul_f32 v13, v224, v125
	v_dual_mul_f32 v77, v223, v123 :: v_dual_mul_f32 v91, v225, v125
	s_wait_loadcnt 0x15
	v_dual_mul_f32 v31, v250, v143 :: v_dual_mul_f32 v103, v233, v133
	v_dual_fma_f32 v75, v220, v120, -v75 :: v_dual_fmac_f32 v9, v221, v120
	v_mul_f32_e32 v105, v235, v135
	v_dual_fmac_f32 v11, v223, v122 :: v_dual_fma_f32 v77, v222, v122, -v77
	s_delay_alu instid0(VALU_DEP_3) | instskip(SKIP_3) | instid1(VALU_DEP_3)
	v_dual_add_f32 v75, 0, v75 :: v_dual_add_f32 v9, 0, v9
	v_dual_mul_f32 v15, v226, v127 :: v_dual_mul_f32 v17, v228, v129
	v_dual_mul_f32 v93, v227, v127 :: v_dual_mul_f32 v107, v245, v137
	v_dual_fma_f32 v91, v224, v124, -v91 :: v_dual_fmac_f32 v13, v225, v124
	v_dual_add_f32 v9, v9, v11 :: v_dual_fmac_f32 v15, v227, v126
	v_add_f32_e32 v11, v75, v77
	s_wait_loadcnt 0x6
	v_mul_f32_e32 v97, v236, v201
	v_dual_mul_f32 v99, v229, v129 :: v_dual_mul_f32 v101, v231, v131
	v_dual_mul_f32 v75, v247, v139 :: v_dual_fma_f32 v77, v226, v126, -v93
	v_dual_add_f32 v9, v9, v13 :: v_dual_add_f32 v11, v11, v91
	v_dual_mul_f32 v19, v230, v131 :: v_dual_mul_f32 v21, v232, v133
	s_delay_alu instid0(VALU_DEP_4) | instskip(NEXT) | instid1(VALU_DEP_3)
	v_dual_mul_f32 v13, v249, v141 :: v_dual_fma_f32 v91, v228, v128, -v99
	v_dual_fmac_f32 v17, v229, v128 :: v_dual_add_f32 v11, v11, v77
	s_delay_alu instid0(VALU_DEP_3) | instskip(SKIP_1) | instid1(VALU_DEP_2)
	v_dual_add_f32 v9, v9, v15 :: v_dual_fmac_f32 v19, v231, v130
	v_dual_mul_f32 v15, v251, v143 :: v_dual_fma_f32 v77, v230, v130, -v101
	v_dual_add_f32 v11, v11, v91 :: v_dual_add_f32 v9, v9, v17
	v_dual_mul_f32 v23, v234, v135 :: v_dual_mul_f32 v25, v244, v137
	v_dual_fmac_f32 v21, v233, v132 :: v_dual_fma_f32 v91, v232, v132, -v103
	s_delay_alu instid0(VALU_DEP_3) | instskip(NEXT) | instid1(VALU_DEP_3)
	v_dual_add_f32 v9, v9, v19 :: v_dual_add_f32 v11, v11, v77
	v_dual_fmac_f32 v23, v235, v134 :: v_dual_fma_f32 v77, v234, v134, -v105
	v_dual_mul_f32 v27, v246, v139 :: v_dual_mul_f32 v29, v248, v141
	s_delay_alu instid0(VALU_DEP_3)
	v_dual_add_f32 v9, v9, v21 :: v_dual_add_f32 v11, v11, v91
	v_dual_fmac_f32 v25, v245, v136 :: v_dual_fma_f32 v91, v244, v136, -v107
	s_set_vgpr_msb 1                        ;  msbs: dst=0 src0=1 src1=0 src2=0
	v_dual_mul_f32 v33, v4 /*v260*/, v145 :: v_dual_mul_f32 v35, v6 /*v262*/, v147
	s_set_vgpr_msb 0                        ;  msbs: dst=0 src0=0 src1=0 src2=0
	v_dual_add_f32 v9, v9, v23 :: v_dual_add_f32 v11, v11, v77
	v_fmac_f32_e32 v27, v247, v138
	v_fma_f32 v75, v246, v138, -v75
	s_set_vgpr_msb 1                        ;  msbs: dst=0 src0=1 src1=0 src2=0
	v_dual_mul_f32 v17, v5 /*v261*/, v145 :: v_dual_mul_f32 v19, v7 /*v263*/, v147
	s_set_vgpr_msb 0                        ;  msbs: dst=0 src0=0 src1=0 src2=0
	v_dual_add_f32 v9, v9, v25 :: v_dual_add_f32 v11, v11, v91
	v_fmac_f32_e32 v29, v249, v140
	v_fma_f32 v13, v248, v140, -v13
	s_set_vgpr_msb 1                        ;  msbs: dst=0 src0=1 src1=0 src2=0
	v_fmac_f32_e32 v33, v5 /*v261*/, v144
	s_set_vgpr_msb 0                        ;  msbs: dst=0 src0=0 src1=0 src2=0
	v_add_f32_e32 v9, v9, v27
	v_add_f32_e32 v11, v11, v75
	v_fmac_f32_e32 v31, v251, v142
	v_fma_f32 v15, v250, v142, -v15
	s_set_vgpr_msb 1                        ;  msbs: dst=0 src0=1 src1=0 src2=0
	v_fma_f32 v17, v4 /*v260*/, v144, -v17
	s_set_vgpr_msb 0                        ;  msbs: dst=0 src0=0 src1=0 src2=0
	v_add_f32_e32 v9, v9, v29
	v_add_f32_e32 v11, v11, v13
	s_wait_dscnt 0xb
	s_set_vgpr_msb 1                        ;  msbs: dst=0 src0=1 src1=0 src2=0
	v_mul_f32_e32 v13, v21 /*v277*/, v157
	v_dual_mul_f32 v37, v8 /*v264*/, v149 :: v_dual_mul_f32 v39, v10 /*v266*/, v151
	v_dual_mul_f32 v21, v9 /*v265*/, v149 :: v_dual_mul_f32 v23, v11 /*v267*/, v151
	s_set_vgpr_msb 0                        ;  msbs: dst=0 src0=0 src1=0 src2=0
	v_add_f32_e32 v11, v11, v15
	v_add_f32_e32 v9, v9, v31
	s_set_vgpr_msb 1                        ;  msbs: dst=0 src0=1 src1=0 src2=0
	v_mul_f32_e32 v15, v23 /*v279*/, v159
	v_fmac_f32_e32 v35, v7 /*v263*/, v146
	v_dual_fma_f32 v19, v6 /*v262*/, v146, -v19 :: v_dual_fmac_f32 v37, v9 /*v265*/, v148
	s_set_vgpr_msb 0                        ;  msbs: dst=0 src0=0 src1=0 src2=0
	v_add_f32_e32 v11, v11, v17
	v_add_f32_e32 v9, v9, v33
	s_wait_dscnt 0xa
	s_set_vgpr_msb 1                        ;  msbs: dst=0 src0=1 src1=0 src2=0
	v_dual_mul_f32 v17, v25 /*v281*/, v161 :: v_dual_fma_f32 v21, v8 /*v264*/, v148, -v21
	v_dual_mul_f32 v41, v16 /*v272*/, v153 :: v_dual_mul_f32 v43, v18 /*v274*/, v155
	s_set_vgpr_msb 0                        ;  msbs: dst=0 src0=0 src1=0 src2=0
	v_add_f32_e32 v11, v11, v19
	s_set_vgpr_msb 1                        ;  msbs: dst=0 src0=1 src1=0 src2=0
	v_mul_f32_e32 v19, v27 /*v283*/, v163
	s_set_vgpr_msb 0                        ;  msbs: dst=0 src0=0 src1=0 src2=0
	v_add_f32_e32 v9, v9, v35
	s_set_vgpr_msb 1                        ;  msbs: dst=0 src0=1 src1=0 src2=0
	v_dual_mul_f32 v25, v17 /*v273*/, v153 :: v_dual_mul_f32 v27, v19 /*v275*/, v155
	v_fmac_f32_e32 v39, v11 /*v267*/, v150
	v_dual_fma_f32 v23, v10 /*v266*/, v150, -v23 :: v_dual_fmac_f32 v41, v17 /*v273*/, v152
	s_set_vgpr_msb 0                        ;  msbs: dst=0 src0=0 src1=0 src2=0
	v_add_f32_e32 v11, v11, v21
	v_add_f32_e32 v9, v9, v37
	s_wait_dscnt 0x9
	s_set_vgpr_msb 1                        ;  msbs: dst=0 src0=1 src1=0 src2=0
	v_dual_mul_f32 v21, v29 /*v285*/, v165 :: v_dual_fma_f32 v25, v16 /*v272*/, v152, -v25
	v_dual_mul_f32 v45, v20 /*v276*/, v157 :: v_dual_mul_f32 v47, v22 /*v278*/, v159
	s_set_vgpr_msb 0                        ;  msbs: dst=0 src0=0 src1=0 src2=0
	v_add_f32_e32 v11, v11, v23
	s_set_vgpr_msb 1                        ;  msbs: dst=0 src0=1 src1=0 src2=0
	v_mul_f32_e32 v23, v31 /*v287*/, v167
	s_set_vgpr_msb 0                        ;  msbs: dst=0 src0=0 src1=0 src2=0
	v_add_f32_e32 v9, v9, v39
	s_set_vgpr_msb 1                        ;  msbs: dst=0 src0=1 src1=0 src2=0
	v_fmac_f32_e32 v43, v19 /*v275*/, v154
	v_dual_fma_f32 v27, v18 /*v274*/, v154, -v27 :: v_dual_fmac_f32 v45, v21 /*v277*/, v156
	s_set_vgpr_msb 0                        ;  msbs: dst=0 src0=0 src1=0 src2=0
	v_add_f32_e32 v11, v11, v25
	v_add_f32_e32 v9, v9, v41
	s_wait_dscnt 0x8
	s_set_vgpr_msb 1                        ;  msbs: dst=0 src0=1 src1=0 src2=0
	v_dual_mul_f32 v25, v33 /*v289*/, v169 :: v_dual_fma_f32 v13, v20 /*v276*/, v156, -v13
	v_dual_mul_f32 v49, v24 /*v280*/, v161 :: v_dual_mul_f32 v51, v26 /*v282*/, v163
	s_set_vgpr_msb 0                        ;  msbs: dst=0 src0=0 src1=0 src2=0
	v_add_f32_e32 v11, v11, v27
	s_set_vgpr_msb 1                        ;  msbs: dst=0 src0=1 src1=0 src2=0
	v_mul_f32_e32 v27, v35 /*v291*/, v171
	s_set_vgpr_msb 0                        ;  msbs: dst=0 src0=0 src1=0 src2=0
	v_add_f32_e32 v9, v9, v43
	s_set_vgpr_msb 1                        ;  msbs: dst=0 src0=1 src1=0 src2=0
	;; [unrolled: 16-line block ×9, first 2 shown]
	v_dual_fmac_f32 v79, v51 /*v307*/, v186 :: v_dual_fmac_f32 v81, v53 /*v309*/, v188
	v_dual_fma_f32 v27, v50 /*v306*/, v186, -v27 :: v_dual_fma_f32 v13, v52 /*v308*/, v188, -v13
	s_set_vgpr_msb 0                        ;  msbs: dst=0 src0=0 src1=0 src2=0
	v_add_f32_e32 v11, v11, v25
	v_add_f32_e32 v9, v9, v73
	v_mul_f32_e32 v25, v237, v201
	s_set_vgpr_msb 1                        ;  msbs: dst=0 src0=1 src1=0 src2=0
	v_dual_mul_f32 v85, v56 /*v312*/, v193 :: v_dual_mul_f32 v87, v58 /*v314*/, v195
	s_set_vgpr_msb 0                        ;  msbs: dst=0 src0=0 src1=0 src2=0
	v_add_f32_e32 v11, v11, v27
	v_add_f32_e32 v9, v9, v79
	s_set_vgpr_msb 1                        ;  msbs: dst=0 src0=1 src1=0 src2=0
	v_dual_fmac_f32 v83, v55 /*v311*/, v190 :: v_dual_fmac_f32 v85, v57 /*v313*/, v192
	v_dual_fma_f32 v15, v54 /*v310*/, v190, -v15 :: v_dual_fma_f32 v17, v56 /*v312*/, v192, -v17
	s_set_vgpr_msb 0                        ;  msbs: dst=0 src0=0 src1=0 src2=0
	v_add_f32_e32 v11, v11, v13
	v_dual_mul_f32 v27, v239, v203 :: v_dual_add_f32 v9, v9, v81
	s_set_vgpr_msb 1                        ;  msbs: dst=0 src0=1 src1=0 src2=0
	v_dual_mul_f32 v89, v60 /*v316*/, v197 :: v_dual_mul_f32 v95, v62 /*v318*/, v199
	s_wait_loadcnt 0x5
	s_set_vgpr_msb 0                        ;  msbs: dst=0 src0=0 src1=0 src2=0
	v_dual_mul_f32 v13, v241, v205 :: v_dual_add_f32 v11, v11, v15
	v_dual_add_f32 v9, v9, v83 :: v_dual_mov_b32 v122, v207
	s_set_vgpr_msb 1                        ;  msbs: dst=0 src0=1 src1=0 src2=0
	v_dual_fmac_f32 v87, v59 /*v315*/, v194 :: v_dual_fmac_f32 v89, v61 /*v317*/, v196
	v_fma_f32 v15, v58 /*v314*/, v194, -v19
	s_set_vgpr_msb 0                        ;  msbs: dst=0 src0=0 src1=0 src2=0
	v_add_f32_e32 v11, v11, v17
	s_set_vgpr_msb 1                        ;  msbs: dst=0 src0=1 src1=0 src2=0
	v_fma_f32 v17, v60 /*v316*/, v196, -v21
	s_set_vgpr_msb 0                        ;  msbs: dst=0 src0=0 src1=0 src2=0
	v_add_f32_e32 v9, v9, v85
	s_set_vgpr_msb 1                        ;  msbs: dst=0 src0=1 src1=0 src2=0
	v_fmac_f32_e32 v95, v63 /*v319*/, v198
	s_set_vgpr_msb 0                        ;  msbs: dst=0 src0=0 src1=0 src2=0
	v_dual_mul_f32 v121, v238, v203 :: v_dual_mul_f32 v123, v240, v205
	v_add_f32_e32 v11, v11, v15
	s_wait_loadcnt 0x4
	v_dual_add_f32 v9, v9, v87 :: v_dual_mov_b32 v126, v211
	s_set_vgpr_msb 1                        ;  msbs: dst=0 src0=1 src1=0 src2=0
	v_fma_f32 v15, v62 /*v318*/, v198, -v23
	s_set_vgpr_msb 0                        ;  msbs: dst=0 src0=0 src1=0 src2=0
	v_dual_fmac_f32 v97, v237, v200 :: v_dual_add_f32 v11, v11, v17
	v_dual_add_f32 v9, v9, v89 :: v_dual_fma_f32 v17, v236, v200, -v25
	v_fma_f32 v120, v238, v202, -v27
	s_set_vgpr_msb 1                        ;  msbs: dst=0 src0=1 src1=0 src2=0
	v_pk_mul_f32 v[130:131], v[70:71] /*v[326:327]*/, v[122:123] op_sel_hi:[1,0]
	s_set_vgpr_msb 0                        ;  msbs: dst=0 src0=0 src1=0 src2=0
	v_add_f32_e32 v11, v11, v15
	v_dual_add_f32 v9, v9, v95 :: v_dual_fmac_f32 v121, v239, v202
	v_pk_mul_f32 v[124:125], v[252:253], v[208:209] op_sel:[1,1] op_sel_hi:[0,1]
	s_wait_loadcnt 0x3
	v_dual_mov_b32 v134, v215 :: v_dual_fma_f32 v122, v240, v204, -v13
	s_delay_alu instid0(VALU_DEP_3)
	v_add_f32_e32 v133, v9, v97
	v_dual_add_f32 v132, v11, v17 :: v_dual_fmac_f32 v123, v241, v204
	v_pk_fma_f32 v[136:137], v[242:243], v[206:207], v[130:131] op_sel_hi:[1,0,1]
	v_pk_fma_f32 v[130:131], v[242:243], v[206:207], v[130:131] neg_lo:[0,0,1] neg_hi:[0,0,1]
	s_set_vgpr_msb 1                        ;  msbs: dst=0 src0=1 src1=0 src2=0
	v_pk_mul_f32 v[126:127], v[72:73] /*v[328:329]*/, v[126:127] op_sel_hi:[1,0]
	s_set_vgpr_msb 0                        ;  msbs: dst=0 src0=0 src1=0 src2=0
	v_pk_add_f32 v[120:121], v[132:133], v[120:121]
	v_pk_fma_f32 v[132:133], v[252:253], v[208:209], v[124:125] op_sel_hi:[1,0,1]
	v_mov_b32_e32 v131, v137
	v_pk_fma_f32 v[124:125], v[252:253], v[208:209], v[124:125] neg_lo:[0,0,1] neg_hi:[0,0,1]
	s_set_vgpr_msb 1                        ;  msbs: dst=0 src0=1 src1=0 src2=0
	v_pk_mul_f32 v[128:129], v[0:1] /*v[256:257]*/, v[212:213] op_sel:[1,1] op_sel_hi:[0,1]
	s_set_vgpr_msb 0                        ;  msbs: dst=0 src0=0 src1=0 src2=0
	v_pk_add_f32 v[120:121], v[120:121], v[122:123]
	v_mov_b32_e32 v125, v133
	v_pk_fma_f32 v[132:133], v[254:255], v[210:211], v[126:127] op_sel_hi:[1,0,1]
	v_pk_fma_f32 v[126:127], v[254:255], v[210:211], v[126:127] neg_lo:[0,0,1] neg_hi:[0,0,1]
	s_set_vgpr_msb 1                        ;  msbs: dst=0 src0=1 src1=0 src2=0
	v_pk_mul_f32 v[134:135], v[74:75] /*v[330:331]*/, v[134:135] op_sel_hi:[1,0]
	s_set_vgpr_msb 0                        ;  msbs: dst=0 src0=0 src1=0 src2=0
	v_pk_add_f32 v[120:121], v[120:121], v[130:131]
	s_set_vgpr_msb 1                        ;  msbs: dst=0 src0=1 src1=0 src2=0
	v_pk_fma_f32 v[130:131], v[0:1] /*v[256:257]*/, v[212:213], v[128:129] op_sel_hi:[1,0,1]
	s_set_vgpr_msb 0                        ;  msbs: dst=0 src0=0 src1=0 src2=0
	v_mov_b32_e32 v127, v133
	s_set_vgpr_msb 1                        ;  msbs: dst=0 src0=1 src1=0 src2=0
	v_pk_fma_f32 v[128:129], v[0:1] /*v[256:257]*/, v[212:213], v[128:129] neg_lo:[0,0,1] neg_hi:[0,0,1]
	s_wait_loadcnt 0x2
	v_pk_mul_f32 v[122:123], v[12:13] /*v[268:269]*/, v[216:217] op_sel:[1,1] op_sel_hi:[0,1]
	s_set_vgpr_msb 0                        ;  msbs: dst=0 src0=0 src1=0 src2=0
	v_pk_add_f32 v[120:121], v[120:121], v[124:125]
	v_dual_mov_b32 v124, v219 :: v_dual_mov_b32 v129, v131
	s_set_vgpr_msb 1                        ;  msbs: dst=0 src0=1 src1=0 src2=0
	v_pk_fma_f32 v[130:131], v[2:3] /*v[258:259]*/, v[214:215], v[134:135] op_sel_hi:[1,0,1]
	v_pk_fma_f32 v[132:133], v[2:3] /*v[258:259]*/, v[214:215], v[134:135] neg_lo:[0,0,1] neg_hi:[0,0,1]
	s_set_vgpr_msb 0                        ;  msbs: dst=0 src0=0 src1=0 src2=0
	v_pk_add_f32 v[120:121], v[120:121], v[126:127]
	s_set_vgpr_msb 1                        ;  msbs: dst=0 src0=1 src1=0 src2=0
	v_pk_fma_f32 v[126:127], v[12:13] /*v[268:269]*/, v[216:217], v[122:123] op_sel_hi:[1,0,1]
	v_pk_mul_f32 v[124:125], v[76:77] /*v[332:333]*/, v[124:125] op_sel_hi:[1,0]
	s_set_vgpr_msb 0                        ;  msbs: dst=0 src0=0 src1=0 src2=0
	v_mov_b32_e32 v133, v131
	s_set_vgpr_msb 1                        ;  msbs: dst=0 src0=1 src1=0 src2=0
	v_pk_fma_f32 v[122:123], v[12:13] /*v[268:269]*/, v[216:217], v[122:123] neg_lo:[0,0,1] neg_hi:[0,0,1]
	s_set_vgpr_msb 0                        ;  msbs: dst=0 src0=0 src1=0 src2=0
	v_pk_add_f32 v[120:121], v[120:121], v[128:129]
	v_mov_b32_e32 v123, v127
	s_set_vgpr_msb 1                        ;  msbs: dst=0 src0=1 src1=0 src2=0
	v_pk_fma_f32 v[126:127], v[14:15] /*v[270:271]*/, v[218:219], v[124:125] op_sel_hi:[1,0,1]
	s_wait_loadcnt_dscnt 0x100
	s_set_vgpr_msb 5                        ;  msbs: dst=0 src0=1 src1=1 src2=0
	v_pk_mul_f32 v[128:129], v[68:69] /*v[324:325]*/, v[64:65] /*v[320:321]*/ op_sel:[1,1] op_sel_hi:[0,1]
	s_set_vgpr_msb 1                        ;  msbs: dst=0 src0=1 src1=0 src2=0
	v_pk_fma_f32 v[124:125], v[14:15] /*v[270:271]*/, v[218:219], v[124:125] neg_lo:[0,0,1] neg_hi:[0,0,1]
	s_set_vgpr_msb 0                        ;  msbs: dst=0 src0=0 src1=0 src2=0
	v_pk_add_f32 v[120:121], v[120:121], v[132:133]
	v_mov_b32_e32 v125, v127
	s_set_vgpr_msb 5                        ;  msbs: dst=0 src0=1 src1=1 src2=0
	v_pk_fma_f32 v[126:127], v[68:69] /*v[324:325]*/, v[64:65] /*v[320:321]*/, v[128:129] neg_lo:[0,0,1] neg_hi:[0,0,1]
	s_set_vgpr_msb 0                        ;  msbs: dst=0 src0=0 src1=0 src2=0
	v_pk_add_f32 v[120:121], v[120:121], v[122:123]
	s_set_vgpr_msb 5                        ;  msbs: dst=0 src0=1 src1=1 src2=0
	v_pk_fma_f32 v[122:123], v[68:69] /*v[324:325]*/, v[64:65] /*v[320:321]*/, v[128:129] op_sel_hi:[1,0,1]
	s_set_vgpr_msb 0                        ;  msbs: dst=0 src0=0 src1=0 src2=0
	s_delay_alu instid0(VALU_DEP_2) | instskip(NEXT) | instid1(VALU_DEP_2)
	v_pk_add_f32 v[120:121], v[120:121], v[124:125]
	v_mov_b32_e32 v127, v123
	s_delay_alu instid0(VALU_DEP_1) | instskip(SKIP_2) | instid1(VALU_DEP_1)
	v_pk_add_f32 v[120:121], v[120:121], v[126:127]
	s_wait_loadcnt 0x0
	s_set_vgpr_msb 1                        ;  msbs: dst=0 src0=1 src1=0 src2=0
	v_pk_add_f32 v[120:121], v[66:67] /*v[322:323]*/, v[120:121] neg_lo:[0,1] neg_hi:[0,1]
	scratch_store_b64 off, v[120:121], off offset:56
	s_wait_xcnt 0x0
	v_cmpx_lt_u32_e32 6, v0
	s_set_vgpr_msb 0                        ;  msbs: dst=0 src0=0 src1=0 src2=0
	s_cbranch_execz .LBB58_355
; %bb.354:
	scratch_load_b64 v[120:121], off, off offset:48
	v_mov_b64_e32 v[122:123], 0
	scratch_store_b64 off, v[122:123], off offset:48
	s_wait_loadcnt 0x0
	ds_store_b64 v1, v[120:121]
.LBB58_355:
	s_wait_xcnt 0x0
	s_or_b32 exec_lo, exec_lo, s0
	s_wait_storecnt_dscnt 0x0
	s_barrier_signal -1
	s_barrier_wait -1
	s_clause 0x18
	scratch_load_b128 v[120:123], off, off offset:56
	scratch_load_b128 v[124:127], off, off offset:72
	;; [unrolled: 1-line block ×25, first 2 shown]
	ds_load_2addr_b64 v[220:223], v7 offset0:67 offset1:68
	ds_load_2addr_b64 v[224:227], v7 offset0:69 offset1:70
	scratch_load_b128 v[228:231], off, off offset:456
	ds_load_2addr_b64 v[232:235], v7 offset0:71 offset1:72
	ds_load_2addr_b64 v[236:239], v7 offset0:73 offset1:74
	;; [unrolled: 1-line block ×6, first 2 shown]
	s_set_vgpr_msb 64                       ;  msbs: dst=1 src0=0 src1=0 src2=0
	ds_load_2addr_b64 v[0:3] /*v[256:259]*/, v7 offset0:81 offset1:82
	ds_load_2addr_b64 v[4:7] /*v[260:263]*/, v7 offset0:113 offset1:114
	;; [unrolled: 1-line block ×18, first 2 shown]
	scratch_load_b64 v[72:73] /*v[328:329]*/, off, off offset:48
	s_wait_dscnt 0x13
	v_dual_mov_b32 v74 /*v330*/, v251 :: v_dual_mov_b32 v75 /*v331*/, v250
	s_wait_dscnt 0x10
	s_set_vgpr_msb 0x41                     ;  msbs: dst=1 src0=1 src1=0 src2=0
	v_dual_mov_b32 v76 /*v332*/, v7 /*v263*/ :: v_dual_mov_b32 v77 /*v333*/, v6 /*v262*/
	s_wait_dscnt 0xf
	v_dual_mov_b32 v78 /*v334*/, v11 /*v267*/ :: v_dual_mov_b32 v79 /*v335*/, v10 /*v266*/
	s_wait_dscnt 0xc
	v_dual_mov_b32 v80 /*v336*/, v23 /*v279*/ :: v_dual_mov_b32 v81 /*v337*/, v22 /*v278*/
	s_mov_b32 s0, exec_lo
	s_wait_loadcnt 0x1a
	s_set_vgpr_msb 0                        ;  msbs: dst=0 src0=0 src1=0 src2=0
	v_dual_mul_f32 v7, v220, v121 :: v_dual_mul_f32 v9, v222, v123
	v_dual_mul_f32 v91, v221, v121 :: v_dual_mul_f32 v93, v223, v123
	s_wait_loadcnt 0x19
	v_dual_mul_f32 v11, v224, v125 :: v_dual_mul_f32 v13, v226, v127
	s_delay_alu instid0(VALU_DEP_3) | instskip(SKIP_3) | instid1(VALU_DEP_3)
	v_dual_fmac_f32 v7, v221, v120 :: v_dual_fmac_f32 v9, v223, v122
	s_wait_loadcnt 0x17
	v_dual_fma_f32 v91, v220, v120, -v91 :: v_dual_mul_f32 v103, v237, v133
	v_dual_mul_f32 v95, v225, v125 :: v_dual_mul_f32 v97, v227, v127
	v_dual_fma_f32 v93, v222, v122, -v93 :: v_dual_add_f32 v7, 0, v7
	s_delay_alu instid0(VALU_DEP_3) | instskip(SKIP_1) | instid1(VALU_DEP_4)
	v_dual_add_f32 v91, 0, v91 :: v_dual_fmac_f32 v11, v225, v124
	v_dual_mul_f32 v15, v232, v129 :: v_dual_mul_f32 v17, v234, v131
	v_dual_mul_f32 v105, v239, v135 :: v_dual_fma_f32 v95, v224, v124, -v95
	s_delay_alu instid0(VALU_DEP_4) | instskip(NEXT) | instid1(VALU_DEP_3)
	v_add_f32_e32 v7, v7, v9
	v_dual_add_f32 v9, v91, v93 :: v_dual_fmac_f32 v15, v233, v128
	v_dual_mul_f32 v99, v233, v129 :: v_dual_mul_f32 v101, v235, v131
	s_wait_loadcnt 0x16
	v_dual_mul_f32 v91, v241, v137 :: v_dual_fmac_f32 v13, v227, v126
	v_dual_fma_f32 v93, v226, v126, -v97 :: v_dual_add_f32 v7, v7, v11
	s_delay_alu instid0(VALU_DEP_3) | instskip(SKIP_1) | instid1(VALU_DEP_3)
	v_dual_add_f32 v9, v9, v95 :: v_dual_fma_f32 v95, v232, v128, -v99
	v_dual_mul_f32 v19, v236, v133 :: v_dual_mul_f32 v21, v238, v135
	v_add_f32_e32 v7, v7, v13
	s_delay_alu instid0(VALU_DEP_3) | instskip(SKIP_2) | instid1(VALU_DEP_3)
	v_dual_mul_f32 v11, v243, v139 :: v_dual_add_f32 v9, v9, v93
	s_wait_loadcnt 0x15
	v_dual_mul_f32 v13, v245, v141 :: v_dual_fmac_f32 v17, v235, v130
	v_dual_fma_f32 v93, v234, v130, -v101 :: v_dual_add_f32 v7, v7, v15
	s_delay_alu instid0(VALU_DEP_3) | instskip(SKIP_1) | instid1(VALU_DEP_3)
	v_dual_add_f32 v9, v9, v95 :: v_dual_fma_f32 v95, v236, v132, -v103
	v_dual_mul_f32 v15, v247, v143 :: v_dual_fmac_f32 v19, v237, v132
	v_add_f32_e32 v7, v7, v17
	s_delay_alu instid0(VALU_DEP_3)
	v_dual_add_f32 v9, v9, v93 :: v_dual_fmac_f32 v21, v239, v134
	v_dual_mul_f32 v23, v240, v137 :: v_dual_mul_f32 v25, v242, v139
	s_wait_loadcnt 0x14
	v_dual_fma_f32 v93, v238, v134, -v105 :: v_dual_mul_f32 v17, v253, v145
	v_add_f32_e32 v7, v7, v19
	v_dual_add_f32 v9, v9, v95 :: v_dual_fma_f32 v91, v240, v136, -v91
	v_dual_mul_f32 v19, v255, v147 :: v_dual_fmac_f32 v23, v241, v136
	s_delay_alu instid0(VALU_DEP_3) | instskip(NEXT) | instid1(VALU_DEP_3)
	v_dual_add_f32 v7, v7, v21 :: v_dual_fma_f32 v11, v242, v138, -v11
	v_dual_add_f32 v9, v9, v93 :: v_dual_fmac_f32 v25, v243, v138
	v_dual_mul_f32 v27, v244, v141 :: v_dual_mul_f32 v29, v246, v143
	s_delay_alu instid0(VALU_DEP_3) | instskip(NEXT) | instid1(VALU_DEP_3)
	v_add_f32_e32 v7, v7, v23
	v_dual_add_f32 v9, v9, v91 :: v_dual_fma_f32 v13, v244, v140, -v13
	s_delay_alu instid0(VALU_DEP_3) | instskip(NEXT) | instid1(VALU_DEP_3)
	v_dual_fmac_f32 v27, v245, v140 :: v_dual_mul_f32 v31, v252, v145
	v_dual_mul_f32 v33, v254, v147 :: v_dual_add_f32 v7, v7, v25
	s_delay_alu instid0(VALU_DEP_3) | instskip(SKIP_1) | instid1(VALU_DEP_4)
	v_dual_add_f32 v9, v9, v11 :: v_dual_fmac_f32 v29, v247, v142
	v_fma_f32 v15, v246, v142, -v15
	v_dual_fmac_f32 v31, v253, v144 :: v_dual_fma_f32 v17, v252, v144, -v17
	s_delay_alu instid0(VALU_DEP_3)
	v_dual_add_f32 v7, v7, v27 :: v_dual_add_f32 v9, v9, v13
	s_wait_loadcnt 0x13
	s_set_vgpr_msb 1                        ;  msbs: dst=0 src0=1 src1=0 src2=0
	v_dual_mul_f32 v35, v0 /*v256*/, v149 :: v_dual_mul_f32 v37, v2 /*v258*/, v151
	v_dual_mul_f32 v21, v1 /*v257*/, v149 :: v_dual_mul_f32 v23, v3 /*v259*/, v151
	s_set_vgpr_msb 0                        ;  msbs: dst=0 src0=0 src1=0 src2=0
	v_dual_add_f32 v7, v7, v29 :: v_dual_add_f32 v9, v9, v15
	v_dual_fmac_f32 v33, v255, v146 :: v_dual_fma_f32 v19, v254, v146, -v19
	s_set_vgpr_msb 1                        ;  msbs: dst=0 src0=1 src1=0 src2=0
	v_dual_fmac_f32 v35, v1 /*v257*/, v148 :: v_dual_fma_f32 v21, v0 /*v256*/, v148, -v21
	s_set_vgpr_msb 0                        ;  msbs: dst=0 src0=0 src1=0 src2=0
	v_dual_add_f32 v7, v7, v31 :: v_dual_add_f32 v9, v9, v17
	s_wait_loadcnt 0x12
	s_set_vgpr_msb 1                        ;  msbs: dst=0 src0=1 src1=0 src2=0
	v_dual_mul_f32 v11, v13 /*v269*/, v153 :: v_dual_mul_f32 v13, v15 /*v271*/, v155
	v_fmac_f32_e32 v37, v3 /*v259*/, v150
	s_set_vgpr_msb 0                        ;  msbs: dst=0 src0=0 src1=0 src2=0
	v_dual_add_f32 v7, v7, v33 :: v_dual_add_f32 v9, v9, v19
	s_wait_loadcnt_dscnt 0x100b
	s_set_vgpr_msb 1                        ;  msbs: dst=0 src0=1 src1=0 src2=0
	v_dual_mul_f32 v19, v25 /*v281*/, v161 :: v_dual_fma_f32 v23, v2 /*v258*/, v150, -v23
	v_dual_mul_f32 v39, v12 /*v268*/, v153 :: v_dual_mul_f32 v41, v14 /*v270*/, v155
	s_set_vgpr_msb 0                        ;  msbs: dst=0 src0=0 src1=0 src2=0
	v_dual_add_f32 v7, v7, v35 :: v_dual_add_f32 v9, v9, v21
	s_set_vgpr_msb 1                        ;  msbs: dst=0 src0=1 src1=0 src2=0
	v_dual_mul_f32 v21, v27 /*v283*/, v163 :: v_dual_fma_f32 v11, v12 /*v268*/, v152, -v11
	v_dual_mul_f32 v15, v17 /*v273*/, v157 :: v_dual_mul_f32 v17, v19 /*v275*/, v159
	s_set_vgpr_msb 0                        ;  msbs: dst=0 src0=0 src1=0 src2=0
	v_dual_add_f32 v7, v7, v37 :: v_dual_add_f32 v9, v9, v23
	s_set_vgpr_msb 1                        ;  msbs: dst=0 src0=1 src1=0 src2=0
	v_dual_fmac_f32 v39, v13 /*v269*/, v152 :: v_dual_fmac_f32 v41, v15 /*v271*/, v154
	s_wait_loadcnt_dscnt 0xf0a
	v_dual_mul_f32 v23, v29 /*v285*/, v165 :: v_dual_fma_f32 v13, v14 /*v270*/, v154, -v13
	s_set_vgpr_msb 0                        ;  msbs: dst=0 src0=0 src1=0 src2=0
	v_add_f32_e32 v9, v9, v11
	s_set_vgpr_msb 1                        ;  msbs: dst=0 src0=1 src1=0 src2=0
	v_dual_mul_f32 v43, v16 /*v272*/, v157 :: v_dual_mul_f32 v45, v18 /*v274*/, v159
	v_mul_f32_e32 v11, v31 /*v287*/, v167
	s_set_vgpr_msb 0                        ;  msbs: dst=0 src0=0 src1=0 src2=0
	v_dual_add_f32 v7, v7, v39 :: v_dual_add_f32 v9, v9, v13
	s_wait_loadcnt_dscnt 0xe09
	s_set_vgpr_msb 1                        ;  msbs: dst=0 src0=1 src1=0 src2=0
	v_dual_fma_f32 v15, v16 /*v272*/, v156, -v15 :: v_dual_mul_f32 v13, v33 /*v289*/, v169
	v_dual_fmac_f32 v43, v17 /*v273*/, v156 :: v_dual_fmac_f32 v45, v19 /*v275*/, v158
	s_set_vgpr_msb 0                        ;  msbs: dst=0 src0=0 src1=0 src2=0
	v_add_f32_e32 v7, v7, v41
	s_set_vgpr_msb 1                        ;  msbs: dst=0 src0=1 src1=0 src2=0
	v_fma_f32 v17, v18 /*v274*/, v158, -v17
	s_set_vgpr_msb 0                        ;  msbs: dst=0 src0=0 src1=0 src2=0
	v_add_f32_e32 v9, v9, v15
	s_set_vgpr_msb 1                        ;  msbs: dst=0 src0=1 src1=0 src2=0
	v_dual_mul_f32 v47, v24 /*v280*/, v161 :: v_dual_mul_f32 v49, v26 /*v282*/, v163
	v_mul_f32_e32 v15, v35 /*v291*/, v171
	s_set_vgpr_msb 0                        ;  msbs: dst=0 src0=0 src1=0 src2=0
	v_dual_add_f32 v7, v7, v43 :: v_dual_add_f32 v9, v9, v17
	s_wait_loadcnt_dscnt 0xd08
	s_set_vgpr_msb 1                        ;  msbs: dst=0 src0=1 src1=0 src2=0
	v_dual_fma_f32 v19, v24 /*v280*/, v160, -v19 :: v_dual_mul_f32 v17, v37 /*v293*/, v173
	v_dual_fmac_f32 v47, v25 /*v281*/, v160 :: v_dual_fmac_f32 v49, v27 /*v283*/, v162
	s_set_vgpr_msb 0                        ;  msbs: dst=0 src0=0 src1=0 src2=0
	v_add_f32_e32 v7, v7, v45
	s_set_vgpr_msb 1                        ;  msbs: dst=0 src0=1 src1=0 src2=0
	v_fma_f32 v21, v26 /*v282*/, v162, -v21
	s_set_vgpr_msb 0                        ;  msbs: dst=0 src0=0 src1=0 src2=0
	v_add_f32_e32 v9, v9, v19
	s_set_vgpr_msb 1                        ;  msbs: dst=0 src0=1 src1=0 src2=0
	v_dual_mul_f32 v51, v28 /*v284*/, v165 :: v_dual_mul_f32 v53, v30 /*v286*/, v167
	v_mul_f32_e32 v19, v39 /*v295*/, v175
	s_set_vgpr_msb 0                        ;  msbs: dst=0 src0=0 src1=0 src2=0
	v_dual_add_f32 v7, v7, v47 :: v_dual_add_f32 v9, v9, v21
	s_wait_loadcnt_dscnt 0xc07
	s_set_vgpr_msb 1                        ;  msbs: dst=0 src0=1 src1=0 src2=0
	v_dual_fma_f32 v23, v28 /*v284*/, v164, -v23 :: v_dual_mul_f32 v21, v41 /*v297*/, v177
	v_dual_mul_f32 v55, v32 /*v288*/, v169 :: v_dual_mul_f32 v57, v34 /*v290*/, v171
	v_dual_mul_f32 v59, v36 /*v292*/, v173 :: v_dual_mul_f32 v61, v38 /*v294*/, v175
	v_dual_fmac_f32 v51, v29 /*v285*/, v164 :: v_dual_fmac_f32 v53, v31 /*v287*/, v166
	v_fma_f32 v11, v30 /*v286*/, v166, -v11
	s_set_vgpr_msb 0                        ;  msbs: dst=0 src0=0 src1=0 src2=0
	v_dual_add_f32 v9, v9, v23 :: v_dual_add_f32 v7, v7, v49
	s_set_vgpr_msb 1                        ;  msbs: dst=0 src0=1 src1=0 src2=0
	v_dual_mul_f32 v23, v43 /*v299*/, v179 :: v_dual_fmac_f32 v55, v33 /*v289*/, v168
	v_fma_f32 v13, v32 /*v288*/, v168, -v13
	v_dual_fmac_f32 v57, v35 /*v291*/, v170 :: v_dual_fmac_f32 v59, v37 /*v293*/, v172
	s_set_vgpr_msb 0                        ;  msbs: dst=0 src0=0 src1=0 src2=0
	v_add_f32_e32 v9, v9, v11
	s_set_vgpr_msb 1                        ;  msbs: dst=0 src0=1 src1=0 src2=0
	v_dual_mul_f32 v63, v40 /*v296*/, v177 :: v_dual_mul_f32 v65, v42 /*v298*/, v179
	s_set_vgpr_msb 0                        ;  msbs: dst=0 src0=0 src1=0 src2=0
	v_add_f32_e32 v7, v7, v51
	s_wait_loadcnt_dscnt 0xb06
	s_set_vgpr_msb 1                        ;  msbs: dst=0 src0=1 src1=0 src2=0
	v_dual_mul_f32 v11, v45 /*v301*/, v181 :: v_dual_fma_f32 v15, v34 /*v290*/, v170, -v15
	s_set_vgpr_msb 0                        ;  msbs: dst=0 src0=0 src1=0 src2=0
	v_add_f32_e32 v9, v9, v13
	s_set_vgpr_msb 1                        ;  msbs: dst=0 src0=1 src1=0 src2=0
	v_dual_mul_f32 v13, v47 /*v303*/, v183 :: v_dual_fma_f32 v17, v36 /*v292*/, v172, -v17
	s_set_vgpr_msb 0                        ;  msbs: dst=0 src0=0 src1=0 src2=0
	v_add_f32_e32 v7, v7, v53
	s_set_vgpr_msb 1                        ;  msbs: dst=0 src0=1 src1=0 src2=0
	v_dual_fmac_f32 v61, v39 /*v295*/, v174 :: v_dual_fmac_f32 v63, v41 /*v297*/, v176
	s_set_vgpr_msb 0                        ;  msbs: dst=0 src0=0 src1=0 src2=0
	v_add_f32_e32 v9, v9, v15
	s_set_vgpr_msb 1                        ;  msbs: dst=0 src0=1 src1=0 src2=0
	v_dual_mul_f32 v67, v44 /*v300*/, v181 :: v_dual_mul_f32 v69, v46 /*v302*/, v183
	s_set_vgpr_msb 0                        ;  msbs: dst=0 src0=0 src1=0 src2=0
	v_add_f32_e32 v7, v7, v55
	s_wait_loadcnt_dscnt 0xa05
	s_set_vgpr_msb 1                        ;  msbs: dst=0 src0=1 src1=0 src2=0
	v_dual_mul_f32 v15, v49 /*v305*/, v185 :: v_dual_fma_f32 v19, v38 /*v294*/, v174, -v19
	s_set_vgpr_msb 0                        ;  msbs: dst=0 src0=0 src1=0 src2=0
	v_add_f32_e32 v9, v9, v17
	s_set_vgpr_msb 1                        ;  msbs: dst=0 src0=1 src1=0 src2=0
	v_dual_mul_f32 v17, v51 /*v307*/, v187 :: v_dual_fma_f32 v21, v40 /*v296*/, v176, -v21
	s_set_vgpr_msb 0                        ;  msbs: dst=0 src0=0 src1=0 src2=0
	v_add_f32_e32 v7, v7, v57
	s_set_vgpr_msb 1                        ;  msbs: dst=0 src0=1 src1=0 src2=0
	v_dual_fmac_f32 v65, v43 /*v299*/, v178 :: v_dual_fmac_f32 v67, v45 /*v301*/, v180
	s_set_vgpr_msb 0                        ;  msbs: dst=0 src0=0 src1=0 src2=0
	v_add_f32_e32 v9, v9, v19
	s_set_vgpr_msb 1                        ;  msbs: dst=0 src0=1 src1=0 src2=0
	v_dual_mul_f32 v71, v48 /*v304*/, v185 :: v_dual_mul_f32 v73, v50 /*v306*/, v187
	s_set_vgpr_msb 0                        ;  msbs: dst=0 src0=0 src1=0 src2=0
	v_add_f32_e32 v7, v7, v59
	s_wait_loadcnt_dscnt 0x904
	s_set_vgpr_msb 1                        ;  msbs: dst=0 src0=1 src1=0 src2=0
	v_dual_mul_f32 v19, v53 /*v309*/, v189 :: v_dual_fma_f32 v23, v42 /*v298*/, v178, -v23
	s_set_vgpr_msb 0                        ;  msbs: dst=0 src0=0 src1=0 src2=0
	v_add_f32_e32 v9, v9, v21
	s_set_vgpr_msb 1                        ;  msbs: dst=0 src0=1 src1=0 src2=0
	v_dual_mul_f32 v75, v52 /*v308*/, v189 :: v_dual_mul_f32 v77, v54 /*v310*/, v191
	v_dual_mul_f32 v21, v55 /*v311*/, v191 :: v_dual_fma_f32 v11, v44 /*v300*/, v180, -v11
	v_dual_fmac_f32 v69, v47 /*v303*/, v182 :: v_dual_fmac_f32 v71, v49 /*v305*/, v184
	s_set_vgpr_msb 0                        ;  msbs: dst=0 src0=0 src1=0 src2=0
	v_dual_add_f32 v9, v9, v23 :: v_dual_add_f32 v7, v7, v61
	s_wait_loadcnt_dscnt 0x803
	s_set_vgpr_msb 1                        ;  msbs: dst=0 src0=1 src1=0 src2=0
	v_dual_mul_f32 v23, v57 /*v313*/, v193 :: v_dual_fma_f32 v13, v46 /*v302*/, v182, -v13
	v_dual_fmac_f32 v73, v51 /*v307*/, v186 :: v_dual_fmac_f32 v75, v53 /*v309*/, v188
	s_set_vgpr_msb 0                        ;  msbs: dst=0 src0=0 src1=0 src2=0
	v_add_f32_e32 v9, v9, v11
	s_set_vgpr_msb 1                        ;  msbs: dst=0 src0=1 src1=0 src2=0
	v_dual_mul_f32 v79, v56 /*v312*/, v193 :: v_dual_mul_f32 v81, v58 /*v314*/, v195
	s_set_vgpr_msb 0                        ;  msbs: dst=0 src0=0 src1=0 src2=0
	v_add_f32_e32 v7, v7, v63
	s_set_vgpr_msb 1                        ;  msbs: dst=0 src0=1 src1=0 src2=0
	v_dual_mul_f32 v11, v59 /*v315*/, v195 :: v_dual_fma_f32 v15, v48 /*v304*/, v184, -v15
	s_set_vgpr_msb 0                        ;  msbs: dst=0 src0=0 src1=0 src2=0
	v_add_f32_e32 v9, v9, v13
	s_wait_loadcnt_dscnt 0x702
	s_set_vgpr_msb 1                        ;  msbs: dst=0 src0=1 src1=0 src2=0
	v_dual_mul_f32 v13, v61 /*v317*/, v197 :: v_dual_fma_f32 v17, v50 /*v306*/, v186, -v17
	s_set_vgpr_msb 0                        ;  msbs: dst=0 src0=0 src1=0 src2=0
	v_add_f32_e32 v7, v7, v65
	s_set_vgpr_msb 1                        ;  msbs: dst=0 src0=1 src1=0 src2=0
	v_dual_fmac_f32 v77, v55 /*v311*/, v190 :: v_dual_fmac_f32 v79, v57 /*v313*/, v192
	s_set_vgpr_msb 0                        ;  msbs: dst=0 src0=0 src1=0 src2=0
	v_add_f32_e32 v9, v9, v15
	s_set_vgpr_msb 1                        ;  msbs: dst=0 src0=1 src1=0 src2=0
	v_dual_mul_f32 v83, v60 /*v316*/, v197 :: v_dual_mul_f32 v85, v62 /*v318*/, v199
	s_set_vgpr_msb 0                        ;  msbs: dst=0 src0=0 src1=0 src2=0
	v_add_f32_e32 v7, v7, v67
	s_set_vgpr_msb 1                        ;  msbs: dst=0 src0=1 src1=0 src2=0
	v_dual_mul_f32 v15, v63 /*v319*/, v199 :: v_dual_fma_f32 v19, v52 /*v308*/, v188, -v19
	s_set_vgpr_msb 0                        ;  msbs: dst=0 src0=0 src1=0 src2=0
	v_add_f32_e32 v9, v9, v17
	s_wait_loadcnt_dscnt 0x601
	s_set_vgpr_msb 1                        ;  msbs: dst=0 src0=1 src1=0 src2=0
	v_dual_mul_f32 v17, v65 /*v321*/, v201 :: v_dual_fma_f32 v21, v54 /*v310*/, v190, -v21
	s_set_vgpr_msb 0                        ;  msbs: dst=0 src0=0 src1=0 src2=0
	v_add_f32_e32 v7, v7, v69
	s_set_vgpr_msb 1                        ;  msbs: dst=0 src0=1 src1=0 src2=0
	v_dual_fmac_f32 v81, v59 /*v315*/, v194 :: v_dual_fmac_f32 v83, v61 /*v317*/, v196
	s_set_vgpr_msb 0                        ;  msbs: dst=0 src0=0 src1=0 src2=0
	v_add_f32_e32 v9, v9, v19
	s_set_vgpr_msb 1                        ;  msbs: dst=0 src0=1 src1=0 src2=0
	v_dual_mul_f32 v19, v67 /*v323*/, v203 :: v_dual_fma_f32 v23, v56 /*v312*/, v192, -v23
	s_set_vgpr_msb 0                        ;  msbs: dst=0 src0=0 src1=0 src2=0
	v_add_f32_e32 v7, v7, v71
	s_set_vgpr_msb 1                        ;  msbs: dst=0 src0=1 src1=0 src2=0
	v_fma_f32 v11, v58 /*v314*/, v194, -v11
	s_set_vgpr_msb 0                        ;  msbs: dst=0 src0=0 src1=0 src2=0
	v_add_f32_e32 v9, v9, v21
	s_wait_loadcnt_dscnt 0x500
	s_set_vgpr_msb 1                        ;  msbs: dst=0 src0=1 src1=0 src2=0
	v_dual_mul_f32 v21, v69 /*v325*/, v205 :: v_dual_fma_f32 v13, v60 /*v316*/, v196, -v13
	s_set_vgpr_msb 0                        ;  msbs: dst=0 src0=0 src1=0 src2=0
	v_add_f32_e32 v7, v7, v73
	s_set_vgpr_msb 1                        ;  msbs: dst=0 src0=1 src1=0 src2=0
	v_fmac_f32_e32 v85, v63 /*v319*/, v198
	s_wait_loadcnt 0x4
	s_set_vgpr_msb 0                        ;  msbs: dst=0 src0=0 src1=0 src2=0
	v_dual_add_f32 v9, v9, v23 :: v_dual_mov_b32 v122, v211
	s_set_vgpr_msb 1                        ;  msbs: dst=0 src0=1 src1=0 src2=0
	v_dual_mul_f32 v23, v71 /*v327*/, v207 :: v_dual_mul_f32 v87, v64 /*v320*/, v201
	v_mul_f32_e32 v89, v66 /*v322*/, v203
	s_set_vgpr_msb 0                        ;  msbs: dst=0 src0=0 src1=0 src2=0
	v_add_f32_e32 v9, v9, v11
	v_add_f32_e32 v7, v7, v75
	s_set_vgpr_msb 1                        ;  msbs: dst=0 src0=1 src1=0 src2=0
	v_fma_f32 v11, v62 /*v318*/, v198, -v15
	v_fmac_f32_e32 v87, v65 /*v321*/, v200
	s_wait_loadcnt 0x3
	s_set_vgpr_msb 0                        ;  msbs: dst=0 src0=0 src1=0 src2=0
	v_dual_mov_b32 v126, v215 :: v_dual_add_f32 v9, v9, v13
	v_add_f32_e32 v7, v7, v77
	s_set_vgpr_msb 1                        ;  msbs: dst=0 src0=1 src1=0 src2=0
	v_fma_f32 v13, v64 /*v320*/, v200, -v17
	s_set_vgpr_msb 0x41                     ;  msbs: dst=1 src0=1 src1=0 src2=0
	v_dual_mul_f32 v83 /*v339*/, v68 /*v324*/, v205 :: v_dual_mul_f32 v85 /*v341*/, v70 /*v326*/, v207
	s_set_vgpr_msb 0                        ;  msbs: dst=0 src0=0 src1=0 src2=0
	v_add_f32_e32 v9, v9, v11
	v_add_f32_e32 v7, v7, v79
	s_set_vgpr_msb 1                        ;  msbs: dst=0 src0=1 src1=0 src2=0
	v_dual_fmac_f32 v89, v67 /*v323*/, v202 :: v_dual_fma_f32 v11, v66 /*v322*/, v202, -v19
	s_set_vgpr_msb 0                        ;  msbs: dst=0 src0=0 src1=0 src2=0
	v_pk_mul_f32 v[120:121], v[248:249], v[208:209] op_sel:[1,1] op_sel_hi:[0,1]
	v_add_f32_e32 v9, v9, v13
	v_add_f32_e32 v7, v7, v81
	s_set_vgpr_msb 0x41                     ;  msbs: dst=1 src0=1 src1=0 src2=0
	v_dual_fmac_f32 v83 /*v339*/, v69 /*v325*/, v204 :: v_dual_fmac_f32 v85 /*v341*/, v71 /*v327*/, v206
	v_dual_fma_f32 v82 /*v338*/, v68 /*v324*/, v204, -v21 :: v_dual_fma_f32 v84 /*v340*/, v70 /*v326*/, v206, -v23
	s_set_vgpr_msb 0                        ;  msbs: dst=0 src0=0 src1=0 src2=0
	v_add_f32_e32 v7, v7, v83
	v_add_f32_e32 v128, v9, v11
	v_pk_fma_f32 v[130:131], v[248:249], v[208:209], v[120:121] op_sel_hi:[1,0,1]
	s_set_vgpr_msb 1                        ;  msbs: dst=0 src0=1 src1=0 src2=0
	v_pk_mul_f32 v[122:123], v[74:75] /*v[330:331]*/, v[122:123] op_sel_hi:[1,0]
	s_set_vgpr_msb 0                        ;  msbs: dst=0 src0=0 src1=0 src2=0
	v_pk_fma_f32 v[120:121], v[248:249], v[208:209], v[120:121] neg_lo:[0,0,1] neg_hi:[0,0,1]
	v_add_f32_e32 v7, v7, v85
	s_set_vgpr_msb 1                        ;  msbs: dst=0 src0=1 src1=0 src2=0
	v_pk_mul_f32 v[124:125], v[4:5] /*v[260:261]*/, v[212:213] op_sel:[1,1] op_sel_hi:[0,1]
	s_set_vgpr_msb 0                        ;  msbs: dst=0 src0=0 src1=0 src2=0
	v_mov_b32_e32 v121, v131
	v_pk_fma_f32 v[130:131], v[250:251], v[210:211], v[122:123] op_sel_hi:[1,0,1]
	v_pk_fma_f32 v[122:123], v[250:251], v[210:211], v[122:123] neg_lo:[0,0,1] neg_hi:[0,0,1]
	v_add_f32_e32 v7, v7, v87
	s_set_vgpr_msb 1                        ;  msbs: dst=0 src0=1 src1=0 src2=0
	v_pk_fma_f32 v[134:135], v[4:5] /*v[260:261]*/, v[212:213], v[124:125] op_sel_hi:[1,0,1]
	v_pk_mul_f32 v[126:127], v[76:77] /*v[332:333]*/, v[126:127] op_sel_hi:[1,0]
	s_set_vgpr_msb 0                        ;  msbs: dst=0 src0=0 src1=0 src2=0
	v_mov_b32_e32 v123, v131
	s_wait_loadcnt 0x2
	s_set_vgpr_msb 1                        ;  msbs: dst=0 src0=1 src1=0 src2=0
	v_pk_mul_f32 v[132:133], v[8:9] /*v[264:265]*/, v[216:217] op_sel:[1,1] op_sel_hi:[0,1]
	s_set_vgpr_msb 0                        ;  msbs: dst=0 src0=0 src1=0 src2=0
	v_add_f32_e32 v129, v7, v89
	s_set_vgpr_msb 1                        ;  msbs: dst=0 src0=1 src1=0 src2=0
	v_pk_fma_f32 v[124:125], v[4:5] /*v[260:261]*/, v[212:213], v[124:125] neg_lo:[0,0,1] neg_hi:[0,0,1]
	s_set_vgpr_msb 0                        ;  msbs: dst=0 src0=0 src1=0 src2=0
	v_mov_b32_e32 v125, v135
	s_set_vgpr_msb 1                        ;  msbs: dst=0 src0=1 src1=0 src2=0
	v_pk_fma_f32 v[130:131], v[6:7] /*v[262:263]*/, v[214:215], v[126:127] op_sel_hi:[1,0,1]
	v_pk_fma_f32 v[126:127], v[6:7] /*v[262:263]*/, v[214:215], v[126:127] neg_lo:[0,0,1] neg_hi:[0,0,1]
	s_set_vgpr_msb 4                        ;  msbs: dst=0 src0=0 src1=1 src2=0
	v_pk_add_f32 v[128:129], v[128:129], v[82:83] /*v[338:339]*/
	s_delay_alu instid0(VALU_DEP_1) | instskip(SKIP_1) | instid1(VALU_DEP_1)
	v_pk_add_f32 v[128:129], v[128:129], v[84:85] /*v[340:341]*/
	s_set_vgpr_msb 0                        ;  msbs: dst=0 src0=0 src1=0 src2=0
	v_pk_add_f32 v[120:121], v[128:129], v[120:121]
	v_mov_b32_e32 v128, v219
	s_delay_alu instid0(VALU_DEP_2) | instskip(SKIP_2) | instid1(VALU_DEP_3)
	v_pk_add_f32 v[120:121], v[120:121], v[122:123]
	s_set_vgpr_msb 1                        ;  msbs: dst=0 src0=1 src1=0 src2=0
	v_pk_fma_f32 v[122:123], v[8:9] /*v[264:265]*/, v[216:217], v[132:133] op_sel_hi:[1,0,1]
	v_pk_mul_f32 v[128:129], v[78:79] /*v[334:335]*/, v[128:129] op_sel_hi:[1,0]
	s_set_vgpr_msb 0                        ;  msbs: dst=0 src0=0 src1=0 src2=0
	v_mov_b32_e32 v127, v131
	s_set_vgpr_msb 1                        ;  msbs: dst=0 src0=1 src1=0 src2=0
	v_pk_fma_f32 v[130:131], v[8:9] /*v[264:265]*/, v[216:217], v[132:133] neg_lo:[0,0,1] neg_hi:[0,0,1]
	s_set_vgpr_msb 0                        ;  msbs: dst=0 src0=0 src1=0 src2=0
	v_pk_add_f32 v[120:121], v[120:121], v[124:125]
	v_mov_b32_e32 v131, v123
	s_set_vgpr_msb 1                        ;  msbs: dst=0 src0=1 src1=0 src2=0
	v_pk_fma_f32 v[122:123], v[10:11] /*v[266:267]*/, v[218:219], v[128:129] op_sel_hi:[1,0,1]
	s_wait_loadcnt 0x1
	v_pk_mul_f32 v[124:125], v[20:21] /*v[276:277]*/, v[228:229] op_sel:[1,1] op_sel_hi:[0,1]
	s_set_vgpr_msb 0                        ;  msbs: dst=0 src0=0 src1=0 src2=0
	v_mov_b32_e32 v122, v231
	v_pk_add_f32 v[120:121], v[120:121], v[126:127]
	s_set_vgpr_msb 1                        ;  msbs: dst=0 src0=1 src1=0 src2=0
	v_pk_fma_f32 v[128:129], v[10:11] /*v[266:267]*/, v[218:219], v[128:129] neg_lo:[0,0,1] neg_hi:[0,0,1]
	s_set_vgpr_msb 0                        ;  msbs: dst=0 src0=0 src1=0 src2=0
	v_mov_b32_e32 v129, v123
	s_set_vgpr_msb 1                        ;  msbs: dst=0 src0=1 src1=0 src2=0
	v_pk_fma_f32 v[126:127], v[20:21] /*v[276:277]*/, v[228:229], v[124:125] op_sel_hi:[1,0,1]
	v_pk_mul_f32 v[122:123], v[80:81] /*v[336:337]*/, v[122:123] op_sel_hi:[1,0]
	s_set_vgpr_msb 0                        ;  msbs: dst=0 src0=0 src1=0 src2=0
	v_pk_add_f32 v[120:121], v[120:121], v[130:131]
	s_set_vgpr_msb 1                        ;  msbs: dst=0 src0=1 src1=0 src2=0
	v_pk_fma_f32 v[124:125], v[20:21] /*v[276:277]*/, v[228:229], v[124:125] neg_lo:[0,0,1] neg_hi:[0,0,1]
	s_set_vgpr_msb 0                        ;  msbs: dst=0 src0=0 src1=0 src2=0
	v_mov_b32_e32 v125, v127
	s_set_vgpr_msb 1                        ;  msbs: dst=0 src0=1 src1=0 src2=0
	v_pk_fma_f32 v[126:127], v[22:23] /*v[278:279]*/, v[230:231], v[122:123] op_sel_hi:[1,0,1]
	s_set_vgpr_msb 0                        ;  msbs: dst=0 src0=0 src1=0 src2=0
	v_pk_add_f32 v[120:121], v[120:121], v[128:129]
	s_set_vgpr_msb 1                        ;  msbs: dst=0 src0=1 src1=0 src2=0
	v_pk_fma_f32 v[122:123], v[22:23] /*v[278:279]*/, v[230:231], v[122:123] neg_lo:[0,0,1] neg_hi:[0,0,1]
	s_set_vgpr_msb 0                        ;  msbs: dst=0 src0=0 src1=0 src2=0
	v_mov_b32_e32 v123, v127
	v_pk_add_f32 v[120:121], v[120:121], v[124:125]
	s_delay_alu instid0(VALU_DEP_1) | instskip(SKIP_2) | instid1(VALU_DEP_1)
	v_pk_add_f32 v[120:121], v[120:121], v[122:123]
	s_wait_loadcnt 0x0
	s_set_vgpr_msb 1                        ;  msbs: dst=0 src0=1 src1=0 src2=0
	v_pk_add_f32 v[120:121], v[72:73] /*v[328:329]*/, v[120:121] neg_lo:[0,1] neg_hi:[0,1]
	scratch_store_b64 off, v[120:121], off offset:48
	s_wait_xcnt 0x0
	v_cmpx_lt_u32_e32 5, v0
	s_set_vgpr_msb 0                        ;  msbs: dst=0 src0=0 src1=0 src2=0
	s_cbranch_execz .LBB58_357
; %bb.356:
	scratch_load_b64 v[120:121], off, off offset:40
	v_mov_b64_e32 v[122:123], 0
	scratch_store_b64 off, v[122:123], off offset:40
	s_wait_loadcnt 0x0
	ds_store_b64 v1, v[120:121]
.LBB58_357:
	s_wait_xcnt 0x0
	s_or_b32 exec_lo, exec_lo, s0
	s_wait_storecnt_dscnt 0x0
	s_barrier_signal -1
	s_barrier_wait -1
	s_clause 0x1c
	scratch_load_b128 v[120:123], off, off offset:48
	scratch_load_b128 v[124:127], off, off offset:64
	;; [unrolled: 1-line block ×26, first 2 shown]
	s_set_vgpr_msb 64                       ;  msbs: dst=1 src0=0 src1=0 src2=0
	scratch_load_b64 v[72:73] /*v[328:329]*/, off, off offset:464
	scratch_load_b64 v[74:75] /*v[330:331]*/, off, off offset:40
	s_set_vgpr_msb 0                        ;  msbs: dst=0 src0=0 src1=0 src2=0
	v_mov_b32_e32 v7, 0
	ds_load_b128 v[224:227], v7 offset:528
	ds_load_b128 v[228:231], v7 offset:544
	;; [unrolled: 1-line block ×8, first 2 shown]
	s_set_vgpr_msb 64                       ;  msbs: dst=1 src0=0 src1=0 src2=0
	ds_load_b128 v[0:3] /*v[256:259]*/, v7 offset:640
	ds_load_b128 v[4:7] /*v[260:263]*/, v7 offset:896
	;; [unrolled: 1-line block ×18, first 2 shown]
	ds_load_b64 v[76:77] /*v[332:333]*/, v7 offset:944
	s_wait_dscnt 0x14
	v_dual_mov_b32 v78 /*v334*/, v251 :: v_dual_mov_b32 v79 /*v335*/, v250
	s_wait_dscnt 0x11
	s_set_vgpr_msb 0x41                     ;  msbs: dst=1 src0=1 src1=0 src2=0
	v_dual_mov_b32 v80 /*v336*/, v7 /*v263*/ :: v_dual_mov_b32 v81 /*v337*/, v6 /*v262*/
	s_wait_dscnt 0x10
	v_dual_mov_b32 v82 /*v338*/, v11 /*v267*/ :: v_dual_mov_b32 v83 /*v339*/, v10 /*v266*/
	s_wait_dscnt 0xd
	v_dual_mov_b32 v84 /*v340*/, v23 /*v279*/ :: v_dual_mov_b32 v85 /*v341*/, v22 /*v278*/
	s_mov_b32 s0, exec_lo
	s_wait_loadcnt 0x1b
	s_set_vgpr_msb 0                        ;  msbs: dst=0 src0=0 src1=0 src2=0
	v_dual_mul_f32 v9, v224, v121 :: v_dual_mul_f32 v11, v226, v123
	s_wait_loadcnt 0x1a
	v_mul_f32_e32 v13, v228, v125
	v_dual_mul_f32 v95, v225, v121 :: v_dual_mul_f32 v97, v227, v123
	s_wait_loadcnt 0x15
	v_dual_mul_f32 v99, v229, v125 :: v_dual_mul_f32 v35, v254, v147
	s_delay_alu instid0(VALU_DEP_2) | instskip(NEXT) | instid1(VALU_DEP_3)
	v_dual_fmac_f32 v9, v225, v120 :: v_dual_fma_f32 v95, v224, v120, -v95
	v_dual_mul_f32 v109, v239, v135 :: v_dual_fma_f32 v97, v226, v122, -v97
	s_delay_alu instid0(VALU_DEP_2)
	v_dual_fmac_f32 v11, v227, v122 :: v_dual_add_f32 v9, 0, v9
	v_dual_mul_f32 v15, v230, v127 :: v_dual_mul_f32 v17, v232, v129
	v_dual_mul_f32 v101, v231, v127 :: v_dual_mul_f32 v103, v233, v129
	v_dual_add_f32 v95, 0, v95 :: v_dual_mul_f32 v111, v241, v137
	v_dual_fma_f32 v99, v228, v124, -v99 :: v_dual_fmac_f32 v13, v229, v124
	s_wait_loadcnt_dscnt 0x601
	s_set_vgpr_msb 1                        ;  msbs: dst=0 src0=1 src1=0 src2=0
	v_mul_f32_e32 v93, v68 /*v324*/, v205
	s_set_vgpr_msb 0                        ;  msbs: dst=0 src0=0 src1=0 src2=0
	v_dual_add_f32 v9, v9, v11 :: v_dual_fmac_f32 v15, v231, v126
	v_add_f32_e32 v11, v95, v97
	v_dual_mul_f32 v95, v243, v139 :: v_dual_fma_f32 v97, v230, v126, -v101
	s_delay_alu instid0(VALU_DEP_3) | instskip(NEXT) | instid1(VALU_DEP_3)
	v_dual_add_f32 v9, v9, v13 :: v_dual_mul_f32 v19, v234, v131
	v_dual_mul_f32 v21, v236, v133 :: v_dual_add_f32 v11, v11, v99
	v_dual_mul_f32 v105, v235, v131 :: v_dual_mul_f32 v107, v237, v133
	v_dual_mul_f32 v13, v245, v141 :: v_dual_fma_f32 v99, v232, v128, -v103
	s_delay_alu instid0(VALU_DEP_3) | instskip(SKIP_1) | instid1(VALU_DEP_4)
	v_dual_fmac_f32 v17, v233, v128 :: v_dual_add_f32 v11, v11, v97
	v_dual_add_f32 v9, v9, v15 :: v_dual_fmac_f32 v19, v235, v130
	v_dual_mul_f32 v15, v247, v143 :: v_dual_fma_f32 v97, v234, v130, -v105
	s_delay_alu instid0(VALU_DEP_2) | instskip(SKIP_2) | instid1(VALU_DEP_3)
	v_dual_add_f32 v11, v11, v99 :: v_dual_add_f32 v9, v9, v17
	v_dual_mul_f32 v23, v238, v135 :: v_dual_mul_f32 v25, v240, v137
	v_dual_mul_f32 v17, v253, v145 :: v_dual_fma_f32 v99, v236, v132, -v107
	v_dual_fmac_f32 v21, v237, v132 :: v_dual_add_f32 v11, v11, v97
	s_delay_alu instid0(VALU_DEP_3) | instskip(SKIP_1) | instid1(VALU_DEP_2)
	v_dual_add_f32 v9, v9, v19 :: v_dual_fmac_f32 v23, v239, v134
	v_dual_mul_f32 v19, v255, v147 :: v_dual_fma_f32 v97, v238, v134, -v109
	v_dual_add_f32 v11, v11, v99 :: v_dual_add_f32 v9, v9, v21
	v_dual_mul_f32 v27, v242, v139 :: v_dual_mul_f32 v29, v244, v141
	v_dual_fmac_f32 v25, v241, v136 :: v_dual_fma_f32 v99, v240, v136, -v111
	s_delay_alu instid0(VALU_DEP_3) | instskip(NEXT) | instid1(VALU_DEP_3)
	v_dual_add_f32 v9, v9, v23 :: v_dual_add_f32 v11, v11, v97
	v_fmac_f32_e32 v27, v243, v138
	v_fma_f32 v95, v242, v138, -v95
	v_dual_mul_f32 v31, v246, v143 :: v_dual_mul_f32 v33, v252, v145
	s_delay_alu instid0(VALU_DEP_4)
	v_dual_add_f32 v9, v9, v25 :: v_dual_add_f32 v11, v11, v99
	v_fmac_f32_e32 v29, v245, v140
	v_fma_f32 v13, v244, v140, -v13
	s_set_vgpr_msb 1                        ;  msbs: dst=0 src0=1 src1=0 src2=0
	v_dual_mul_f32 v37, v0 /*v256*/, v149 :: v_dual_mul_f32 v39, v2 /*v258*/, v151
	s_set_vgpr_msb 0                        ;  msbs: dst=0 src0=0 src1=0 src2=0
	v_add_f32_e32 v9, v9, v27
	v_add_f32_e32 v11, v11, v95
	v_fmac_f32_e32 v31, v247, v142
	v_fma_f32 v15, v246, v142, -v15
	s_set_vgpr_msb 1                        ;  msbs: dst=0 src0=1 src1=0 src2=0
	v_dual_mul_f32 v21, v1 /*v257*/, v149 :: v_dual_mul_f32 v23, v3 /*v259*/, v151
	s_set_vgpr_msb 0                        ;  msbs: dst=0 src0=0 src1=0 src2=0
	v_add_f32_e32 v9, v9, v29
	v_dual_add_f32 v11, v11, v13 :: v_dual_fmac_f32 v33, v253, v144
	v_fma_f32 v17, v252, v144, -v17
	s_set_vgpr_msb 1                        ;  msbs: dst=0 src0=1 src1=0 src2=0
	v_fmac_f32_e32 v37, v1 /*v257*/, v148
	s_set_vgpr_msb 0                        ;  msbs: dst=0 src0=0 src1=0 src2=0
	v_add_f32_e32 v9, v9, v31
	v_add_f32_e32 v11, v11, v15
	v_fmac_f32_e32 v35, v255, v146
	v_fma_f32 v19, v254, v146, -v19
	s_set_vgpr_msb 1                        ;  msbs: dst=0 src0=1 src1=0 src2=0
	v_fma_f32 v21, v0 /*v256*/, v148, -v21
	s_set_vgpr_msb 0                        ;  msbs: dst=0 src0=0 src1=0 src2=0
	v_add_f32_e32 v9, v9, v33
	v_add_f32_e32 v11, v11, v17
	s_set_vgpr_msb 1                        ;  msbs: dst=0 src0=1 src1=0 src2=0
	v_mul_f32_e32 v17, v25 /*v281*/, v161
	v_dual_mul_f32 v41, v12 /*v268*/, v153 :: v_dual_mul_f32 v43, v14 /*v270*/, v155
	v_dual_mul_f32 v25, v13 /*v269*/, v153 :: v_dual_mul_f32 v27, v15 /*v271*/, v155
	s_set_vgpr_msb 0                        ;  msbs: dst=0 src0=0 src1=0 src2=0
	v_add_f32_e32 v11, v11, v19
	v_add_f32_e32 v9, v9, v35
	s_set_vgpr_msb 1                        ;  msbs: dst=0 src0=1 src1=0 src2=0
	v_mul_f32_e32 v19, v27 /*v283*/, v163
	v_fmac_f32_e32 v39, v3 /*v259*/, v150
	v_dual_fma_f32 v23, v2 /*v258*/, v150, -v23 :: v_dual_fmac_f32 v41, v13 /*v269*/, v152
	s_set_vgpr_msb 0                        ;  msbs: dst=0 src0=0 src1=0 src2=0
	v_add_f32_e32 v11, v11, v21
	v_add_f32_e32 v9, v9, v37
	s_set_vgpr_msb 1                        ;  msbs: dst=0 src0=1 src1=0 src2=0
	v_dual_mul_f32 v21, v29 /*v285*/, v165 :: v_dual_fma_f32 v25, v12 /*v268*/, v152, -v25
	v_dual_mul_f32 v45, v16 /*v272*/, v157 :: v_dual_mul_f32 v47, v18 /*v274*/, v159
	s_set_vgpr_msb 0                        ;  msbs: dst=0 src0=0 src1=0 src2=0
	v_add_f32_e32 v11, v11, v23
	s_set_vgpr_msb 1                        ;  msbs: dst=0 src0=1 src1=0 src2=0
	v_mul_f32_e32 v23, v31 /*v287*/, v167
	s_set_vgpr_msb 0                        ;  msbs: dst=0 src0=0 src1=0 src2=0
	v_add_f32_e32 v9, v9, v39
	s_set_vgpr_msb 1                        ;  msbs: dst=0 src0=1 src1=0 src2=0
	v_dual_mul_f32 v13, v17 /*v273*/, v157 :: v_dual_mul_f32 v15, v19 /*v275*/, v159
	v_fmac_f32_e32 v43, v15 /*v271*/, v154
	v_dual_fma_f32 v27, v14 /*v270*/, v154, -v27 :: v_dual_fmac_f32 v45, v17 /*v273*/, v156
	s_set_vgpr_msb 0                        ;  msbs: dst=0 src0=0 src1=0 src2=0
	v_add_f32_e32 v11, v11, v25
	v_add_f32_e32 v9, v9, v41
	s_set_vgpr_msb 1                        ;  msbs: dst=0 src0=1 src1=0 src2=0
	v_dual_mul_f32 v25, v33 /*v289*/, v169 :: v_dual_fma_f32 v13, v16 /*v272*/, v156, -v13
	v_dual_mul_f32 v49, v24 /*v280*/, v161 :: v_dual_mul_f32 v51, v26 /*v282*/, v163
	s_set_vgpr_msb 0                        ;  msbs: dst=0 src0=0 src1=0 src2=0
	v_add_f32_e32 v11, v11, v27
	s_set_vgpr_msb 1                        ;  msbs: dst=0 src0=1 src1=0 src2=0
	v_mul_f32_e32 v27, v35 /*v291*/, v171
	s_set_vgpr_msb 0                        ;  msbs: dst=0 src0=0 src1=0 src2=0
	v_add_f32_e32 v9, v9, v43
	s_set_vgpr_msb 1                        ;  msbs: dst=0 src0=1 src1=0 src2=0
	v_fmac_f32_e32 v47, v19 /*v275*/, v158
	v_dual_fma_f32 v15, v18 /*v274*/, v158, -v15 :: v_dual_fmac_f32 v49, v25 /*v281*/, v160
	s_set_vgpr_msb 0                        ;  msbs: dst=0 src0=0 src1=0 src2=0
	v_add_f32_e32 v11, v11, v13
	v_add_f32_e32 v9, v9, v45
	s_set_vgpr_msb 1                        ;  msbs: dst=0 src0=1 src1=0 src2=0
	v_dual_mul_f32 v13, v37 /*v293*/, v173 :: v_dual_fma_f32 v17, v24 /*v280*/, v160, -v17
	v_dual_mul_f32 v53, v28 /*v284*/, v165 :: v_dual_mul_f32 v55, v30 /*v286*/, v167
	s_set_vgpr_msb 0                        ;  msbs: dst=0 src0=0 src1=0 src2=0
	v_add_f32_e32 v11, v11, v15
	s_set_vgpr_msb 1                        ;  msbs: dst=0 src0=1 src1=0 src2=0
	v_mul_f32_e32 v15, v39 /*v295*/, v175
	s_set_vgpr_msb 0                        ;  msbs: dst=0 src0=0 src1=0 src2=0
	v_add_f32_e32 v9, v9, v47
	s_set_vgpr_msb 1                        ;  msbs: dst=0 src0=1 src1=0 src2=0
	;; [unrolled: 15-line block ×10, first 2 shown]
	v_dual_fmac_f32 v83, v59 /*v315*/, v194 :: v_dual_fmac_f32 v85, v61 /*v317*/, v196
	v_dual_fma_f32 v19, v58 /*v314*/, v194, -v19 :: v_dual_fma_f32 v21, v60 /*v316*/, v196, -v21
	s_set_vgpr_msb 0                        ;  msbs: dst=0 src0=0 src1=0 src2=0
	v_add_f32_e32 v11, v11, v17
	v_add_f32_e32 v9, v9, v81
	s_set_vgpr_msb 1                        ;  msbs: dst=0 src0=1 src1=0 src2=0
	v_dual_mul_f32 v89, v64 /*v320*/, v201 :: v_dual_mul_f32 v91, v66 /*v322*/, v203
	s_wait_loadcnt 0x5
	s_set_vgpr_msb 0                        ;  msbs: dst=0 src0=0 src1=0 src2=0
	v_dual_mul_f32 v17, v249, v209 :: v_dual_add_f32 v11, v11, v19
	v_dual_add_f32 v9, v9, v83 :: v_dual_mov_b32 v120, v211
	s_set_vgpr_msb 1                        ;  msbs: dst=0 src0=1 src1=0 src2=0
	v_dual_fmac_f32 v87, v63 /*v319*/, v198 :: v_dual_fmac_f32 v89, v65 /*v321*/, v200
	v_fma_f32 v19, v62 /*v318*/, v198, -v23
	s_set_vgpr_msb 0                        ;  msbs: dst=0 src0=0 src1=0 src2=0
	v_add_f32_e32 v11, v11, v21
	s_set_vgpr_msb 1                        ;  msbs: dst=0 src0=1 src1=0 src2=0
	v_fma_f32 v21, v64 /*v320*/, v200, -v25
	s_set_vgpr_msb 0                        ;  msbs: dst=0 src0=0 src1=0 src2=0
	v_add_f32_e32 v9, v9, v85
	s_set_vgpr_msb 1                        ;  msbs: dst=0 src0=1 src1=0 src2=0
	v_dual_fmac_f32 v91, v67 /*v323*/, v202 :: v_dual_fmac_f32 v93, v69 /*v325*/, v204
	s_set_vgpr_msb 0                        ;  msbs: dst=0 src0=0 src1=0 src2=0
	v_add_f32_e32 v11, v11, v19
	s_set_vgpr_msb 1                        ;  msbs: dst=0 src0=1 src1=0 src2=0
	v_dual_fma_f32 v19, v66 /*v322*/, v202, -v27 :: v_dual_fma_f32 v13, v68 /*v324*/, v204, -v13
	s_wait_loadcnt 0x4
	s_set_vgpr_msb 0                        ;  msbs: dst=0 src0=0 src1=0 src2=0
	v_dual_add_f32 v9, v9, v87 :: v_dual_mov_b32 v124, v215
	s_set_vgpr_msb 0x41                     ;  msbs: dst=1 src0=1 src1=0 src2=0
	v_dual_mul_f32 v87 /*v343*/, v70 /*v326*/, v207 :: v_dual_fma_f32 v86 /*v342*/, v70 /*v326*/, v206, -v15
	s_set_vgpr_msb 1                        ;  msbs: dst=0 src0=1 src1=0 src2=0
	v_pk_mul_f32 v[120:121], v[78:79] /*v[334:335]*/, v[120:121] op_sel_hi:[1,0]
	s_set_vgpr_msb 0                        ;  msbs: dst=0 src0=0 src1=0 src2=0
	v_add_f32_e32 v9, v9, v89
	v_add_f32_e32 v11, v11, v21
	s_set_vgpr_msb 64                       ;  msbs: dst=1 src0=0 src1=0 src2=0
	v_dual_mul_f32 v89 /*v345*/, v248, v209 :: v_dual_fma_f32 v88 /*v344*/, v248, v208, -v17
	s_set_vgpr_msb 0x41                     ;  msbs: dst=1 src0=1 src1=0 src2=0
	v_fmac_f32_e32 v87 /*v343*/, v71 /*v327*/, v206
	s_set_vgpr_msb 0                        ;  msbs: dst=0 src0=0 src1=0 src2=0
	v_add_f32_e32 v9, v9, v91
	v_add_f32_e32 v11, v11, v19
	v_pk_fma_f32 v[132:133], v[250:251], v[210:211], v[120:121] op_sel_hi:[1,0,1]
	v_pk_fma_f32 v[120:121], v[250:251], v[210:211], v[120:121] neg_lo:[0,0,1] neg_hi:[0,0,1]
	s_set_vgpr_msb 1                        ;  msbs: dst=0 src0=1 src1=0 src2=0
	v_pk_mul_f32 v[122:123], v[4:5] /*v[260:261]*/, v[212:213] op_sel:[1,1] op_sel_hi:[0,1]
	s_set_vgpr_msb 0                        ;  msbs: dst=0 src0=0 src1=0 src2=0
	v_add_f32_e32 v129, v9, v93
	v_dual_add_f32 v128, v11, v13 :: v_dual_mov_b32 v121, v133
	s_set_vgpr_msb 64                       ;  msbs: dst=1 src0=0 src1=0 src2=0
	v_fmac_f32_e32 v89 /*v345*/, v249, v208
	s_set_vgpr_msb 1                        ;  msbs: dst=0 src0=1 src1=0 src2=0
	v_pk_fma_f32 v[134:135], v[4:5] /*v[260:261]*/, v[212:213], v[122:123] op_sel_hi:[1,0,1]
	v_pk_mul_f32 v[124:125], v[80:81] /*v[336:337]*/, v[124:125] op_sel_hi:[1,0]
	s_set_vgpr_msb 4                        ;  msbs: dst=0 src0=0 src1=1 src2=0
	v_pk_add_f32 v[128:129], v[128:129], v[86:87] /*v[342:343]*/
	s_set_vgpr_msb 1                        ;  msbs: dst=0 src0=1 src1=0 src2=0
	v_pk_fma_f32 v[122:123], v[4:5] /*v[260:261]*/, v[212:213], v[122:123] neg_lo:[0,0,1] neg_hi:[0,0,1]
	s_wait_loadcnt 0x3
	v_pk_mul_f32 v[126:127], v[8:9] /*v[264:265]*/, v[216:217] op_sel:[1,1] op_sel_hi:[0,1]
	s_set_vgpr_msb 4                        ;  msbs: dst=0 src0=0 src1=1 src2=0
	v_dual_mov_b32 v130, v219 :: v_dual_mov_b32 v123, v135
	v_pk_add_f32 v[128:129], v[128:129], v[88:89] /*v[344:345]*/
	s_set_vgpr_msb 1                        ;  msbs: dst=0 src0=1 src1=0 src2=0
	v_pk_fma_f32 v[134:135], v[6:7] /*v[262:263]*/, v[214:215], v[124:125] op_sel_hi:[1,0,1]
	v_pk_fma_f32 v[124:125], v[6:7] /*v[262:263]*/, v[214:215], v[124:125] neg_lo:[0,0,1] neg_hi:[0,0,1]
	v_pk_mul_f32 v[130:131], v[82:83] /*v[338:339]*/, v[130:131] op_sel_hi:[1,0]
	s_wait_loadcnt 0x2
	v_pk_mul_f32 v[132:133], v[20:21] /*v[276:277]*/, v[220:221] op_sel:[1,1] op_sel_hi:[0,1]
	s_set_vgpr_msb 0                        ;  msbs: dst=0 src0=0 src1=0 src2=0
	v_pk_add_f32 v[120:121], v[128:129], v[120:121]
	s_set_vgpr_msb 1                        ;  msbs: dst=0 src0=1 src1=0 src2=0
	v_pk_fma_f32 v[128:129], v[8:9] /*v[264:265]*/, v[216:217], v[126:127] op_sel_hi:[1,0,1]
	s_set_vgpr_msb 0                        ;  msbs: dst=0 src0=0 src1=0 src2=0
	v_mov_b32_e32 v125, v135
	s_set_vgpr_msb 1                        ;  msbs: dst=0 src0=1 src1=0 src2=0
	v_pk_fma_f32 v[126:127], v[8:9] /*v[264:265]*/, v[216:217], v[126:127] neg_lo:[0,0,1] neg_hi:[0,0,1]
	s_set_vgpr_msb 0                        ;  msbs: dst=0 src0=0 src1=0 src2=0
	v_pk_add_f32 v[120:121], v[120:121], v[122:123]
	v_dual_mov_b32 v122, v223 :: v_dual_mov_b32 v127, v129
	s_set_vgpr_msb 1                        ;  msbs: dst=0 src0=1 src1=0 src2=0
	v_pk_fma_f32 v[128:129], v[10:11] /*v[266:267]*/, v[218:219], v[130:131] op_sel_hi:[1,0,1]
	v_pk_fma_f32 v[130:131], v[10:11] /*v[266:267]*/, v[218:219], v[130:131] neg_lo:[0,0,1] neg_hi:[0,0,1]
	s_set_vgpr_msb 0                        ;  msbs: dst=0 src0=0 src1=0 src2=0
	v_pk_add_f32 v[120:121], v[120:121], v[124:125]
	s_set_vgpr_msb 1                        ;  msbs: dst=0 src0=1 src1=0 src2=0
	v_pk_fma_f32 v[124:125], v[20:21] /*v[276:277]*/, v[220:221], v[132:133] op_sel_hi:[1,0,1]
	v_pk_mul_f32 v[122:123], v[84:85] /*v[340:341]*/, v[122:123] op_sel_hi:[1,0]
	s_set_vgpr_msb 0                        ;  msbs: dst=0 src0=0 src1=0 src2=0
	v_mov_b32_e32 v131, v129
	s_wait_loadcnt_dscnt 0x100
	s_set_vgpr_msb 5                        ;  msbs: dst=0 src0=1 src1=1 src2=0
	v_pk_mul_f32 v[128:129], v[76:77] /*v[332:333]*/, v[72:73] /*v[328:329]*/ op_sel:[1,1] op_sel_hi:[0,1]
	s_set_vgpr_msb 0                        ;  msbs: dst=0 src0=0 src1=0 src2=0
	v_pk_add_f32 v[120:121], v[120:121], v[126:127]
	s_set_vgpr_msb 1                        ;  msbs: dst=0 src0=1 src1=0 src2=0
	v_pk_fma_f32 v[126:127], v[20:21] /*v[276:277]*/, v[220:221], v[132:133] neg_lo:[0,0,1] neg_hi:[0,0,1]
	s_set_vgpr_msb 0                        ;  msbs: dst=0 src0=0 src1=0 src2=0
	v_mov_b32_e32 v127, v125
	s_set_vgpr_msb 1                        ;  msbs: dst=0 src0=1 src1=0 src2=0
	v_pk_fma_f32 v[124:125], v[22:23] /*v[278:279]*/, v[222:223], v[122:123] op_sel_hi:[1,0,1]
	v_pk_fma_f32 v[122:123], v[22:23] /*v[278:279]*/, v[222:223], v[122:123] neg_lo:[0,0,1] neg_hi:[0,0,1]
	s_set_vgpr_msb 0                        ;  msbs: dst=0 src0=0 src1=0 src2=0
	v_pk_add_f32 v[120:121], v[120:121], v[130:131]
	s_delay_alu instid0(VALU_DEP_3)
	v_mov_b32_e32 v123, v125
	s_set_vgpr_msb 5                        ;  msbs: dst=0 src0=1 src1=1 src2=0
	v_pk_fma_f32 v[124:125], v[76:77] /*v[332:333]*/, v[72:73] /*v[328:329]*/, v[128:129] op_sel_hi:[1,0,1]
	s_set_vgpr_msb 0                        ;  msbs: dst=0 src0=0 src1=0 src2=0
	v_pk_add_f32 v[120:121], v[120:121], v[126:127]
	s_set_vgpr_msb 5                        ;  msbs: dst=0 src0=1 src1=1 src2=0
	v_pk_fma_f32 v[126:127], v[76:77] /*v[332:333]*/, v[72:73] /*v[328:329]*/, v[128:129] neg_lo:[0,0,1] neg_hi:[0,0,1]
	s_set_vgpr_msb 0                        ;  msbs: dst=0 src0=0 src1=0 src2=0
	v_mov_b32_e32 v127, v125
	v_pk_add_f32 v[120:121], v[120:121], v[122:123]
	s_delay_alu instid0(VALU_DEP_1) | instskip(SKIP_2) | instid1(VALU_DEP_1)
	v_pk_add_f32 v[120:121], v[120:121], v[126:127]
	s_wait_loadcnt 0x0
	s_set_vgpr_msb 1                        ;  msbs: dst=0 src0=1 src1=0 src2=0
	v_pk_add_f32 v[120:121], v[74:75] /*v[330:331]*/, v[120:121] neg_lo:[0,1] neg_hi:[0,1]
	scratch_store_b64 off, v[120:121], off offset:40
	s_wait_xcnt 0x0
	v_cmpx_lt_u32_e32 4, v0
	s_set_vgpr_msb 0                        ;  msbs: dst=0 src0=0 src1=0 src2=0
	s_cbranch_execz .LBB58_359
; %bb.358:
	scratch_load_b64 v[120:121], off, off offset:32
	v_mov_b64_e32 v[122:123], 0
	scratch_store_b64 off, v[122:123], off offset:32
	s_wait_loadcnt 0x0
	ds_store_b64 v1, v[120:121]
.LBB58_359:
	s_wait_xcnt 0x0
	s_or_b32 exec_lo, exec_lo, s0
	s_wait_storecnt_dscnt 0x0
	s_barrier_signal -1
	s_barrier_wait -1
	s_clause 0x19
	scratch_load_b128 v[120:123], off, off offset:40
	scratch_load_b128 v[124:127], off, off offset:56
	;; [unrolled: 1-line block ×26, first 2 shown]
	ds_load_2addr_b64 v[224:227], v7 offset0:65 offset1:66
	ds_load_2addr_b64 v[228:231], v7 offset0:67 offset1:68
	;; [unrolled: 1-line block ×8, first 2 shown]
	s_set_vgpr_msb 64                       ;  msbs: dst=1 src0=0 src1=0 src2=0
	ds_load_2addr_b64 v[0:3] /*v[256:259]*/, v7 offset0:109 offset1:110
	ds_load_2addr_b64 v[4:7] /*v[260:263]*/, v7 offset0:111 offset1:112
	;; [unrolled: 1-line block ×6, first 2 shown]
	scratch_load_b128 v[24:27] /*v[280:283]*/, off, off offset:456
	ds_load_2addr_b64 v[28:31] /*v[284:287]*/, v7 offset0:117 offset1:118
	ds_load_2addr_b64 v[32:35] /*v[288:291]*/, v7 offset0:85 offset1:86
	;; [unrolled: 1-line block ×13, first 2 shown]
	scratch_load_b64 v[80:81] /*v[336:337]*/, off, off offset:32
	s_mov_b32 s0, exec_lo
	s_wait_dscnt 0xc
	s_set_vgpr_msb 0x41                     ;  msbs: dst=1 src0=1 src1=0 src2=0
	v_dual_mov_b32 v88 /*v344*/, v31 /*v287*/ :: v_dual_mov_b32 v89 /*v345*/, v30 /*v286*/
	v_dual_mov_b32 v82 /*v338*/, v7 /*v263*/ :: v_dual_mov_b32 v83 /*v339*/, v6 /*v262*/
	;; [unrolled: 1-line block ×4, first 2 shown]
	s_wait_loadcnt 0x1b
	s_set_vgpr_msb 0                        ;  msbs: dst=0 src0=0 src1=0 src2=0
	v_dual_mul_f32 v7, v224, v121 :: v_dual_mul_f32 v9, v226, v123
	v_dual_mul_f32 v95, v225, v121 :: v_dual_mul_f32 v97, v227, v123
	s_wait_loadcnt 0x1a
	v_dual_mul_f32 v11, v228, v125 :: v_dual_mul_f32 v13, v230, v127
	s_delay_alu instid0(VALU_DEP_3) | instskip(SKIP_3) | instid1(VALU_DEP_3)
	v_dual_fmac_f32 v7, v225, v120 :: v_dual_fmac_f32 v9, v227, v122
	s_wait_loadcnt 0x18
	v_dual_fma_f32 v95, v224, v120, -v95 :: v_dual_mul_f32 v107, v237, v133
	v_dual_mul_f32 v99, v229, v125 :: v_dual_mul_f32 v101, v231, v127
	v_dual_fma_f32 v97, v226, v122, -v97 :: v_dual_add_f32 v7, 0, v7
	s_delay_alu instid0(VALU_DEP_3) | instskip(SKIP_1) | instid1(VALU_DEP_4)
	v_dual_add_f32 v95, 0, v95 :: v_dual_fmac_f32 v11, v229, v124
	v_dual_mul_f32 v15, v232, v129 :: v_dual_mul_f32 v17, v234, v131
	v_dual_mul_f32 v109, v239, v135 :: v_dual_fma_f32 v99, v228, v124, -v99
	s_delay_alu instid0(VALU_DEP_4) | instskip(NEXT) | instid1(VALU_DEP_3)
	v_add_f32_e32 v7, v7, v9
	v_dual_add_f32 v9, v95, v97 :: v_dual_fmac_f32 v15, v233, v128
	v_dual_mul_f32 v103, v233, v129 :: v_dual_mul_f32 v105, v235, v131
	s_wait_loadcnt 0x17
	v_dual_mul_f32 v95, v241, v137 :: v_dual_fmac_f32 v13, v231, v126
	v_dual_fma_f32 v97, v230, v126, -v101 :: v_dual_add_f32 v7, v7, v11
	s_delay_alu instid0(VALU_DEP_3) | instskip(SKIP_1) | instid1(VALU_DEP_3)
	v_dual_add_f32 v9, v9, v99 :: v_dual_fma_f32 v99, v232, v128, -v103
	v_dual_mul_f32 v19, v236, v133 :: v_dual_mul_f32 v21, v238, v135
	v_add_f32_e32 v7, v7, v13
	s_delay_alu instid0(VALU_DEP_3) | instskip(SKIP_2) | instid1(VALU_DEP_3)
	v_dual_mul_f32 v11, v243, v139 :: v_dual_add_f32 v9, v9, v97
	s_wait_loadcnt 0x16
	v_dual_mul_f32 v13, v245, v141 :: v_dual_fmac_f32 v17, v235, v130
	v_dual_fma_f32 v97, v234, v130, -v105 :: v_dual_add_f32 v7, v7, v15
	s_delay_alu instid0(VALU_DEP_3) | instskip(SKIP_1) | instid1(VALU_DEP_3)
	v_dual_add_f32 v9, v9, v99 :: v_dual_fma_f32 v99, v236, v132, -v107
	v_dual_mul_f32 v15, v247, v143 :: v_dual_fmac_f32 v19, v237, v132
	v_add_f32_e32 v7, v7, v17
	s_delay_alu instid0(VALU_DEP_3)
	v_dual_add_f32 v9, v9, v97 :: v_dual_fmac_f32 v21, v239, v134
	v_dual_mul_f32 v23, v240, v137 :: v_dual_mul_f32 v25, v242, v139
	s_wait_loadcnt 0x15
	v_dual_fma_f32 v97, v238, v134, -v109 :: v_dual_mul_f32 v17, v249, v145
	v_add_f32_e32 v7, v7, v19
	v_dual_add_f32 v9, v9, v99 :: v_dual_fma_f32 v95, v240, v136, -v95
	v_dual_mul_f32 v19, v251, v147 :: v_dual_fmac_f32 v23, v241, v136
	s_delay_alu instid0(VALU_DEP_3) | instskip(NEXT) | instid1(VALU_DEP_3)
	v_dual_add_f32 v7, v7, v21 :: v_dual_fma_f32 v11, v242, v138, -v11
	v_dual_add_f32 v9, v9, v97 :: v_dual_fmac_f32 v25, v243, v138
	v_dual_mul_f32 v27, v244, v141 :: v_dual_mul_f32 v29, v246, v143
	s_wait_loadcnt 0x14
	s_delay_alu instid0(VALU_DEP_3) | instskip(NEXT) | instid1(VALU_DEP_3)
	v_dual_mul_f32 v21, v253, v149 :: v_dual_add_f32 v7, v7, v23
	v_dual_add_f32 v9, v9, v95 :: v_dual_fma_f32 v13, v244, v140, -v13
	s_delay_alu instid0(VALU_DEP_3) | instskip(NEXT) | instid1(VALU_DEP_2)
	v_dual_mul_f32 v23, v255, v151 :: v_dual_fmac_f32 v27, v245, v140
	v_dual_add_f32 v7, v7, v25 :: v_dual_add_f32 v9, v9, v11
	v_dual_mul_f32 v31, v248, v145 :: v_dual_mul_f32 v33, v250, v147
	v_dual_fmac_f32 v29, v247, v142 :: v_dual_fma_f32 v15, v246, v142, -v15
	s_delay_alu instid0(VALU_DEP_3) | instskip(NEXT) | instid1(VALU_DEP_3)
	v_dual_add_f32 v7, v7, v27 :: v_dual_add_f32 v9, v9, v13
	v_dual_fmac_f32 v31, v249, v144 :: v_dual_fma_f32 v17, v248, v144, -v17
	v_dual_mul_f32 v35, v252, v149 :: v_dual_mul_f32 v37, v254, v151
	s_delay_alu instid0(VALU_DEP_3) | instskip(SKIP_1) | instid1(VALU_DEP_3)
	v_dual_add_f32 v7, v7, v29 :: v_dual_add_f32 v9, v9, v15
	v_dual_fmac_f32 v33, v251, v146 :: v_dual_fma_f32 v19, v250, v146, -v19
	v_dual_fmac_f32 v35, v253, v148 :: v_dual_fma_f32 v21, v252, v148, -v21
	s_delay_alu instid0(VALU_DEP_3)
	v_dual_add_f32 v7, v7, v31 :: v_dual_add_f32 v9, v9, v17
	s_wait_loadcnt 0x13
	s_set_vgpr_msb 1                        ;  msbs: dst=0 src0=1 src1=0 src2=0
	v_dual_mul_f32 v11, v13 /*v269*/, v153 :: v_dual_mul_f32 v13, v15 /*v271*/, v155
	s_set_vgpr_msb 0                        ;  msbs: dst=0 src0=0 src1=0 src2=0
	v_dual_fmac_f32 v37, v255, v150 :: v_dual_fma_f32 v23, v254, v150, -v23
	v_dual_add_f32 v7, v7, v33 :: v_dual_add_f32 v9, v9, v19
	s_set_vgpr_msb 1                        ;  msbs: dst=0 src0=1 src1=0 src2=0
	v_dual_mul_f32 v39, v12 /*v268*/, v153 :: v_dual_mul_f32 v41, v14 /*v270*/, v155
	v_fma_f32 v11, v12 /*v268*/, v152, -v11
	s_set_vgpr_msb 0                        ;  msbs: dst=0 src0=0 src1=0 src2=0
	v_dual_add_f32 v7, v7, v35 :: v_dual_add_f32 v9, v9, v21
	s_wait_loadcnt 0x12
	s_set_vgpr_msb 1                        ;  msbs: dst=0 src0=1 src1=0 src2=0
	v_dual_mul_f32 v15, v17 /*v273*/, v157 :: v_dual_mul_f32 v17, v19 /*v275*/, v159
	v_dual_fmac_f32 v39, v13 /*v269*/, v152 :: v_dual_fmac_f32 v41, v15 /*v271*/, v154
	s_set_vgpr_msb 0                        ;  msbs: dst=0 src0=0 src1=0 src2=0
	v_dual_add_f32 v7, v7, v37 :: v_dual_add_f32 v9, v9, v23
	s_wait_loadcnt_dscnt 0x100a
	s_set_vgpr_msb 1                        ;  msbs: dst=0 src0=1 src1=0 src2=0
	v_dual_mul_f32 v23, v37 /*v293*/, v165 :: v_dual_fma_f32 v13, v14 /*v270*/, v154, -v13
	v_dual_mul_f32 v43, v16 /*v272*/, v157 :: v_dual_mul_f32 v45, v18 /*v274*/, v159
	s_set_vgpr_msb 0                        ;  msbs: dst=0 src0=0 src1=0 src2=0
	v_add_f32_e32 v9, v9, v11
	s_set_vgpr_msb 1                        ;  msbs: dst=0 src0=1 src1=0 src2=0
	v_mul_f32_e32 v11, v39 /*v295*/, v167
	s_set_vgpr_msb 0                        ;  msbs: dst=0 src0=0 src1=0 src2=0
	v_add_f32_e32 v7, v7, v39
	s_set_vgpr_msb 1                        ;  msbs: dst=0 src0=1 src1=0 src2=0
	v_dual_fma_f32 v15, v16 /*v272*/, v156, -v15 :: v_dual_mul_f32 v19, v33 /*v289*/, v161
	v_mul_f32_e32 v21, v35 /*v291*/, v163
	s_set_vgpr_msb 0                        ;  msbs: dst=0 src0=0 src1=0 src2=0
	v_add_f32_e32 v9, v9, v13
	s_set_vgpr_msb 1                        ;  msbs: dst=0 src0=1 src1=0 src2=0
	v_dual_fmac_f32 v43, v17 /*v273*/, v156 :: v_dual_fmac_f32 v45, v19 /*v275*/, v158
	s_set_vgpr_msb 0                        ;  msbs: dst=0 src0=0 src1=0 src2=0
	v_add_f32_e32 v7, v7, v41
	s_wait_loadcnt_dscnt 0xf09
	s_set_vgpr_msb 1                        ;  msbs: dst=0 src0=1 src1=0 src2=0
	v_dual_mul_f32 v13, v41 /*v297*/, v169 :: v_dual_fma_f32 v17, v18 /*v274*/, v158, -v17
	s_set_vgpr_msb 0                        ;  msbs: dst=0 src0=0 src1=0 src2=0
	v_add_f32_e32 v9, v9, v15
	s_set_vgpr_msb 1                        ;  msbs: dst=0 src0=1 src1=0 src2=0
	v_dual_mul_f32 v47, v32 /*v288*/, v161 :: v_dual_mul_f32 v49, v34 /*v290*/, v163
	v_mul_f32_e32 v15, v43 /*v299*/, v171
	s_set_vgpr_msb 0                        ;  msbs: dst=0 src0=0 src1=0 src2=0
	v_dual_add_f32 v7, v7, v43 :: v_dual_add_f32 v9, v9, v17
	s_wait_loadcnt_dscnt 0xe08
	s_set_vgpr_msb 1                        ;  msbs: dst=0 src0=1 src1=0 src2=0
	v_dual_fma_f32 v19, v32 /*v288*/, v160, -v19 :: v_dual_mul_f32 v17, v45 /*v301*/, v173
	v_dual_fmac_f32 v47, v33 /*v289*/, v160 :: v_dual_fmac_f32 v49, v35 /*v291*/, v162
	s_set_vgpr_msb 0                        ;  msbs: dst=0 src0=0 src1=0 src2=0
	v_add_f32_e32 v7, v7, v45
	s_set_vgpr_msb 1                        ;  msbs: dst=0 src0=1 src1=0 src2=0
	v_fma_f32 v21, v34 /*v290*/, v162, -v21
	s_set_vgpr_msb 0                        ;  msbs: dst=0 src0=0 src1=0 src2=0
	v_add_f32_e32 v9, v9, v19
	s_set_vgpr_msb 1                        ;  msbs: dst=0 src0=1 src1=0 src2=0
	v_dual_mul_f32 v51, v36 /*v292*/, v165 :: v_dual_mul_f32 v53, v38 /*v294*/, v167
	v_mul_f32_e32 v19, v47 /*v303*/, v175
	s_set_vgpr_msb 0                        ;  msbs: dst=0 src0=0 src1=0 src2=0
	v_dual_add_f32 v7, v7, v47 :: v_dual_add_f32 v9, v9, v21
	s_wait_loadcnt_dscnt 0xd07
	s_set_vgpr_msb 1                        ;  msbs: dst=0 src0=1 src1=0 src2=0
	v_dual_fma_f32 v23, v36 /*v292*/, v164, -v23 :: v_dual_mul_f32 v21, v49 /*v305*/, v177
	v_dual_mul_f32 v55, v40 /*v296*/, v169 :: v_dual_mul_f32 v57, v42 /*v298*/, v171
	v_dual_mul_f32 v59, v44 /*v300*/, v173 :: v_dual_mul_f32 v61, v46 /*v302*/, v175
	v_dual_fmac_f32 v51, v37 /*v293*/, v164 :: v_dual_fmac_f32 v53, v39 /*v295*/, v166
	v_fma_f32 v11, v38 /*v294*/, v166, -v11
	s_set_vgpr_msb 0                        ;  msbs: dst=0 src0=0 src1=0 src2=0
	v_dual_add_f32 v9, v9, v23 :: v_dual_add_f32 v7, v7, v49
	s_set_vgpr_msb 1                        ;  msbs: dst=0 src0=1 src1=0 src2=0
	v_dual_mul_f32 v23, v51 /*v307*/, v179 :: v_dual_fmac_f32 v55, v41 /*v297*/, v168
	v_fma_f32 v13, v40 /*v296*/, v168, -v13
	v_dual_fmac_f32 v57, v43 /*v299*/, v170 :: v_dual_fmac_f32 v59, v45 /*v301*/, v172
	s_set_vgpr_msb 0                        ;  msbs: dst=0 src0=0 src1=0 src2=0
	v_add_f32_e32 v9, v9, v11
	s_set_vgpr_msb 1                        ;  msbs: dst=0 src0=1 src1=0 src2=0
	v_dual_mul_f32 v63, v48 /*v304*/, v177 :: v_dual_mul_f32 v65, v50 /*v306*/, v179
	s_set_vgpr_msb 0                        ;  msbs: dst=0 src0=0 src1=0 src2=0
	v_add_f32_e32 v7, v7, v51
	s_wait_loadcnt_dscnt 0xc06
	s_set_vgpr_msb 1                        ;  msbs: dst=0 src0=1 src1=0 src2=0
	v_dual_mul_f32 v11, v53 /*v309*/, v181 :: v_dual_fma_f32 v15, v42 /*v298*/, v170, -v15
	s_set_vgpr_msb 0                        ;  msbs: dst=0 src0=0 src1=0 src2=0
	v_add_f32_e32 v9, v9, v13
	s_set_vgpr_msb 1                        ;  msbs: dst=0 src0=1 src1=0 src2=0
	v_dual_mul_f32 v13, v55 /*v311*/, v183 :: v_dual_fma_f32 v17, v44 /*v300*/, v172, -v17
	s_set_vgpr_msb 0                        ;  msbs: dst=0 src0=0 src1=0 src2=0
	v_add_f32_e32 v7, v7, v53
	s_set_vgpr_msb 1                        ;  msbs: dst=0 src0=1 src1=0 src2=0
	v_dual_fmac_f32 v61, v47 /*v303*/, v174 :: v_dual_fmac_f32 v63, v49 /*v305*/, v176
	s_set_vgpr_msb 0                        ;  msbs: dst=0 src0=0 src1=0 src2=0
	v_add_f32_e32 v9, v9, v15
	s_set_vgpr_msb 1                        ;  msbs: dst=0 src0=1 src1=0 src2=0
	v_dual_mul_f32 v67, v52 /*v308*/, v181 :: v_dual_mul_f32 v69, v54 /*v310*/, v183
	s_set_vgpr_msb 0                        ;  msbs: dst=0 src0=0 src1=0 src2=0
	v_add_f32_e32 v7, v7, v55
	s_wait_loadcnt_dscnt 0xb05
	s_set_vgpr_msb 1                        ;  msbs: dst=0 src0=1 src1=0 src2=0
	v_dual_mul_f32 v15, v57 /*v313*/, v185 :: v_dual_fma_f32 v19, v46 /*v302*/, v174, -v19
	s_set_vgpr_msb 0                        ;  msbs: dst=0 src0=0 src1=0 src2=0
	v_add_f32_e32 v9, v9, v17
	s_set_vgpr_msb 1                        ;  msbs: dst=0 src0=1 src1=0 src2=0
	v_dual_mul_f32 v17, v59 /*v315*/, v187 :: v_dual_fma_f32 v21, v48 /*v304*/, v176, -v21
	s_set_vgpr_msb 0                        ;  msbs: dst=0 src0=0 src1=0 src2=0
	v_add_f32_e32 v7, v7, v57
	s_set_vgpr_msb 1                        ;  msbs: dst=0 src0=1 src1=0 src2=0
	v_dual_fmac_f32 v65, v51 /*v307*/, v178 :: v_dual_fmac_f32 v67, v53 /*v309*/, v180
	s_set_vgpr_msb 0                        ;  msbs: dst=0 src0=0 src1=0 src2=0
	v_add_f32_e32 v9, v9, v19
	s_set_vgpr_msb 1                        ;  msbs: dst=0 src0=1 src1=0 src2=0
	v_dual_mul_f32 v71, v56 /*v312*/, v185 :: v_dual_mul_f32 v73, v58 /*v314*/, v187
	s_set_vgpr_msb 0                        ;  msbs: dst=0 src0=0 src1=0 src2=0
	v_add_f32_e32 v7, v7, v59
	s_wait_loadcnt_dscnt 0xa04
	s_set_vgpr_msb 1                        ;  msbs: dst=0 src0=1 src1=0 src2=0
	v_dual_mul_f32 v19, v61 /*v317*/, v189 :: v_dual_fma_f32 v23, v50 /*v306*/, v178, -v23
	s_set_vgpr_msb 0                        ;  msbs: dst=0 src0=0 src1=0 src2=0
	v_add_f32_e32 v9, v9, v21
	s_set_vgpr_msb 1                        ;  msbs: dst=0 src0=1 src1=0 src2=0
	v_dual_mul_f32 v75, v60 /*v316*/, v189 :: v_dual_mul_f32 v77, v62 /*v318*/, v191
	v_dual_mul_f32 v21, v63 /*v319*/, v191 :: v_dual_fma_f32 v11, v52 /*v308*/, v180, -v11
	v_dual_fmac_f32 v69, v55 /*v311*/, v182 :: v_dual_fmac_f32 v71, v57 /*v313*/, v184
	s_set_vgpr_msb 0                        ;  msbs: dst=0 src0=0 src1=0 src2=0
	v_dual_add_f32 v9, v9, v23 :: v_dual_add_f32 v7, v7, v61
	s_wait_loadcnt_dscnt 0x903
	s_set_vgpr_msb 1                        ;  msbs: dst=0 src0=1 src1=0 src2=0
	v_dual_mul_f32 v23, v65 /*v321*/, v193 :: v_dual_fma_f32 v13, v54 /*v310*/, v182, -v13
	v_dual_fmac_f32 v73, v59 /*v315*/, v186 :: v_dual_fmac_f32 v75, v61 /*v317*/, v188
	s_set_vgpr_msb 0                        ;  msbs: dst=0 src0=0 src1=0 src2=0
	v_add_f32_e32 v9, v9, v11
	s_set_vgpr_msb 1                        ;  msbs: dst=0 src0=1 src1=0 src2=0
	v_dual_mul_f32 v79, v64 /*v320*/, v193 :: v_dual_mul_f32 v81, v66 /*v322*/, v195
	s_set_vgpr_msb 0                        ;  msbs: dst=0 src0=0 src1=0 src2=0
	v_add_f32_e32 v7, v7, v63
	s_set_vgpr_msb 1                        ;  msbs: dst=0 src0=1 src1=0 src2=0
	v_dual_mul_f32 v11, v67 /*v323*/, v195 :: v_dual_fma_f32 v15, v56 /*v312*/, v184, -v15
	s_set_vgpr_msb 0                        ;  msbs: dst=0 src0=0 src1=0 src2=0
	v_add_f32_e32 v9, v9, v13
	s_wait_loadcnt_dscnt 0x802
	s_set_vgpr_msb 1                        ;  msbs: dst=0 src0=1 src1=0 src2=0
	v_dual_mul_f32 v13, v69 /*v325*/, v197 :: v_dual_fma_f32 v17, v58 /*v314*/, v186, -v17
	s_set_vgpr_msb 0                        ;  msbs: dst=0 src0=0 src1=0 src2=0
	v_add_f32_e32 v7, v7, v65
	s_set_vgpr_msb 1                        ;  msbs: dst=0 src0=1 src1=0 src2=0
	v_dual_fmac_f32 v77, v63 /*v319*/, v190 :: v_dual_fmac_f32 v79, v65 /*v321*/, v192
	s_set_vgpr_msb 0                        ;  msbs: dst=0 src0=0 src1=0 src2=0
	v_add_f32_e32 v9, v9, v15
	s_set_vgpr_msb 1                        ;  msbs: dst=0 src0=1 src1=0 src2=0
	v_dual_mul_f32 v83, v68 /*v324*/, v197 :: v_dual_mul_f32 v85, v70 /*v326*/, v199
	s_set_vgpr_msb 0                        ;  msbs: dst=0 src0=0 src1=0 src2=0
	v_add_f32_e32 v7, v7, v67
	s_set_vgpr_msb 1                        ;  msbs: dst=0 src0=1 src1=0 src2=0
	v_dual_mul_f32 v15, v71 /*v327*/, v199 :: v_dual_fma_f32 v19, v60 /*v316*/, v188, -v19
	s_set_vgpr_msb 0                        ;  msbs: dst=0 src0=0 src1=0 src2=0
	v_add_f32_e32 v9, v9, v17
	s_wait_loadcnt_dscnt 0x701
	s_set_vgpr_msb 1                        ;  msbs: dst=0 src0=1 src1=0 src2=0
	v_dual_mul_f32 v17, v73 /*v329*/, v201 :: v_dual_fma_f32 v21, v62 /*v318*/, v190, -v21
	s_set_vgpr_msb 0                        ;  msbs: dst=0 src0=0 src1=0 src2=0
	v_add_f32_e32 v7, v7, v69
	s_set_vgpr_msb 1                        ;  msbs: dst=0 src0=1 src1=0 src2=0
	;; [unrolled: 17-line block ×3, first 2 shown]
	v_dual_fmac_f32 v85, v71 /*v327*/, v198 :: v_dual_fmac_f32 v87, v73 /*v329*/, v200
	s_set_vgpr_msb 0                        ;  msbs: dst=0 src0=0 src1=0 src2=0
	v_add_f32_e32 v9, v9, v23
	s_set_vgpr_msb 1                        ;  msbs: dst=0 src0=1 src1=0 src2=0
	v_dual_mul_f32 v23, v79 /*v335*/, v207 :: v_dual_fma_f32 v13, v68 /*v324*/, v196, -v13
	s_wait_loadcnt 0x4
	s_set_vgpr_msb 0                        ;  msbs: dst=0 src0=0 src1=0 src2=0
	v_mov_b32_e32 v122, v215
	s_set_vgpr_msb 1                        ;  msbs: dst=0 src0=1 src1=0 src2=0
	v_fma_f32 v15, v70 /*v326*/, v198, -v15
	s_set_vgpr_msb 0                        ;  msbs: dst=0 src0=0 src1=0 src2=0
	v_add_f32_e32 v9, v9, v11
	v_add_f32_e32 v7, v7, v75
	s_set_vgpr_msb 1                        ;  msbs: dst=0 src0=1 src1=0 src2=0
	v_dual_mul_f32 v11, v1 /*v257*/, v209 :: v_dual_fma_f32 v17, v72 /*v328*/, v200, -v17
	v_fmac_f32_e32 v89, v75 /*v331*/, v202
	s_set_vgpr_msb 0                        ;  msbs: dst=0 src0=0 src1=0 src2=0
	v_add_f32_e32 v9, v9, v13
	v_add_f32_e32 v7, v7, v77
	s_set_vgpr_msb 1                        ;  msbs: dst=0 src0=1 src1=0 src2=0
	v_dual_mul_f32 v13, v3 /*v259*/, v211 :: v_dual_mul_f32 v91, v76 /*v332*/, v205
	v_mul_f32_e32 v93, v78 /*v334*/, v207
	s_set_vgpr_msb 0                        ;  msbs: dst=0 src0=0 src1=0 src2=0
	v_add_f32_e32 v9, v9, v15
	v_add_f32_e32 v7, v7, v79
	s_set_vgpr_msb 1                        ;  msbs: dst=0 src0=1 src1=0 src2=0
	v_fma_f32 v15, v74 /*v330*/, v202, -v19
	v_fmac_f32_e32 v91, v77 /*v333*/, v204
	s_wait_loadcnt 0x3
	s_set_vgpr_msb 0                        ;  msbs: dst=0 src0=0 src1=0 src2=0
	v_dual_mov_b32 v126, v219 :: v_dual_add_f32 v9, v9, v17
	v_add_f32_e32 v7, v7, v81
	s_set_vgpr_msb 1                        ;  msbs: dst=0 src0=1 src1=0 src2=0
	v_fma_f32 v17, v76 /*v332*/, v204, -v21
	s_set_vgpr_msb 0x41                     ;  msbs: dst=1 src0=1 src1=0 src2=0
	v_dual_mul_f32 v91 /*v347*/, v0 /*v256*/, v209 :: v_dual_mul_f32 v93 /*v349*/, v2 /*v258*/, v211
	s_set_vgpr_msb 0                        ;  msbs: dst=0 src0=0 src1=0 src2=0
	v_add_f32_e32 v9, v9, v15
	v_add_f32_e32 v7, v7, v83
	s_set_vgpr_msb 1                        ;  msbs: dst=0 src0=1 src1=0 src2=0
	v_dual_fmac_f32 v93, v79 /*v335*/, v206 :: v_dual_fma_f32 v15, v78 /*v334*/, v206, -v23
	v_pk_mul_f32 v[120:121], v[4:5] /*v[260:261]*/, v[212:213] op_sel:[1,1] op_sel_hi:[0,1]
	s_set_vgpr_msb 0                        ;  msbs: dst=0 src0=0 src1=0 src2=0
	v_add_f32_e32 v9, v9, v17
	v_add_f32_e32 v7, v7, v85
	s_set_vgpr_msb 0x41                     ;  msbs: dst=1 src0=1 src1=0 src2=0
	v_dual_fmac_f32 v91 /*v347*/, v1 /*v257*/, v208 :: v_dual_fmac_f32 v93 /*v349*/, v3 /*v259*/, v210
	v_dual_fma_f32 v90 /*v346*/, v0 /*v256*/, v208, -v11 :: v_dual_fma_f32 v92 /*v348*/, v2 /*v258*/, v210, -v13
	s_set_vgpr_msb 0                        ;  msbs: dst=0 src0=0 src1=0 src2=0
	v_add_f32_e32 v7, v7, v87
	v_add_f32_e32 v128, v9, v15
	s_set_vgpr_msb 1                        ;  msbs: dst=0 src0=1 src1=0 src2=0
	v_pk_fma_f32 v[130:131], v[4:5] /*v[260:261]*/, v[212:213], v[120:121] op_sel_hi:[1,0,1]
	v_pk_mul_f32 v[122:123], v[82:83] /*v[338:339]*/, v[122:123] op_sel_hi:[1,0]
	v_pk_fma_f32 v[120:121], v[4:5] /*v[260:261]*/, v[212:213], v[120:121] neg_lo:[0,0,1] neg_hi:[0,0,1]
	s_set_vgpr_msb 0                        ;  msbs: dst=0 src0=0 src1=0 src2=0
	v_add_f32_e32 v7, v7, v89
	s_set_vgpr_msb 1                        ;  msbs: dst=0 src0=1 src1=0 src2=0
	v_pk_mul_f32 v[124:125], v[8:9] /*v[264:265]*/, v[216:217] op_sel:[1,1] op_sel_hi:[0,1]
	s_set_vgpr_msb 0                        ;  msbs: dst=0 src0=0 src1=0 src2=0
	v_mov_b32_e32 v121, v131
	s_set_vgpr_msb 1                        ;  msbs: dst=0 src0=1 src1=0 src2=0
	v_pk_fma_f32 v[130:131], v[6:7] /*v[262:263]*/, v[214:215], v[122:123] op_sel_hi:[1,0,1]
	v_pk_fma_f32 v[122:123], v[6:7] /*v[262:263]*/, v[214:215], v[122:123] neg_lo:[0,0,1] neg_hi:[0,0,1]
	s_set_vgpr_msb 0                        ;  msbs: dst=0 src0=0 src1=0 src2=0
	v_add_f32_e32 v7, v7, v91
	s_set_vgpr_msb 1                        ;  msbs: dst=0 src0=1 src1=0 src2=0
	v_pk_fma_f32 v[134:135], v[8:9] /*v[264:265]*/, v[216:217], v[124:125] op_sel_hi:[1,0,1]
	v_pk_mul_f32 v[126:127], v[84:85] /*v[340:341]*/, v[126:127] op_sel_hi:[1,0]
	s_set_vgpr_msb 0                        ;  msbs: dst=0 src0=0 src1=0 src2=0
	v_mov_b32_e32 v123, v131
	s_wait_loadcnt 0x2
	s_set_vgpr_msb 1                        ;  msbs: dst=0 src0=1 src1=0 src2=0
	v_pk_mul_f32 v[132:133], v[20:21] /*v[276:277]*/, v[220:221] op_sel:[1,1] op_sel_hi:[0,1]
	s_set_vgpr_msb 0                        ;  msbs: dst=0 src0=0 src1=0 src2=0
	v_add_f32_e32 v129, v7, v93
	s_set_vgpr_msb 1                        ;  msbs: dst=0 src0=1 src1=0 src2=0
	v_pk_fma_f32 v[124:125], v[8:9] /*v[264:265]*/, v[216:217], v[124:125] neg_lo:[0,0,1] neg_hi:[0,0,1]
	s_set_vgpr_msb 0                        ;  msbs: dst=0 src0=0 src1=0 src2=0
	v_mov_b32_e32 v125, v135
	s_set_vgpr_msb 1                        ;  msbs: dst=0 src0=1 src1=0 src2=0
	v_pk_fma_f32 v[130:131], v[10:11] /*v[266:267]*/, v[218:219], v[126:127] op_sel_hi:[1,0,1]
	v_pk_fma_f32 v[126:127], v[10:11] /*v[266:267]*/, v[218:219], v[126:127] neg_lo:[0,0,1] neg_hi:[0,0,1]
	s_set_vgpr_msb 4                        ;  msbs: dst=0 src0=0 src1=1 src2=0
	v_pk_add_f32 v[128:129], v[128:129], v[90:91] /*v[346:347]*/
	s_delay_alu instid0(VALU_DEP_1) | instskip(SKIP_1) | instid1(VALU_DEP_1)
	v_pk_add_f32 v[128:129], v[128:129], v[92:93] /*v[348:349]*/
	s_set_vgpr_msb 0                        ;  msbs: dst=0 src0=0 src1=0 src2=0
	v_pk_add_f32 v[120:121], v[128:129], v[120:121]
	v_mov_b32_e32 v128, v223
	s_delay_alu instid0(VALU_DEP_2) | instskip(SKIP_2) | instid1(VALU_DEP_3)
	v_pk_add_f32 v[120:121], v[120:121], v[122:123]
	s_set_vgpr_msb 1                        ;  msbs: dst=0 src0=1 src1=0 src2=0
	v_pk_fma_f32 v[122:123], v[20:21] /*v[276:277]*/, v[220:221], v[132:133] op_sel_hi:[1,0,1]
	v_pk_mul_f32 v[128:129], v[86:87] /*v[342:343]*/, v[128:129] op_sel_hi:[1,0]
	s_set_vgpr_msb 0                        ;  msbs: dst=0 src0=0 src1=0 src2=0
	v_mov_b32_e32 v127, v131
	s_set_vgpr_msb 1                        ;  msbs: dst=0 src0=1 src1=0 src2=0
	v_pk_fma_f32 v[130:131], v[20:21] /*v[276:277]*/, v[220:221], v[132:133] neg_lo:[0,0,1] neg_hi:[0,0,1]
	s_set_vgpr_msb 0                        ;  msbs: dst=0 src0=0 src1=0 src2=0
	v_pk_add_f32 v[120:121], v[120:121], v[124:125]
	v_mov_b32_e32 v131, v123
	s_set_vgpr_msb 1                        ;  msbs: dst=0 src0=1 src1=0 src2=0
	v_pk_fma_f32 v[122:123], v[22:23] /*v[278:279]*/, v[222:223], v[128:129] op_sel_hi:[1,0,1]
	s_wait_loadcnt 0x1
	s_set_vgpr_msb 5                        ;  msbs: dst=0 src0=1 src1=1 src2=0
	v_pk_mul_f32 v[124:125], v[28:29] /*v[284:285]*/, v[24:25] /*v[280:281]*/ op_sel:[1,1] op_sel_hi:[0,1]
	v_mov_b32_e32 v122, v27 /*v283*/
	s_set_vgpr_msb 0                        ;  msbs: dst=0 src0=0 src1=0 src2=0
	v_pk_add_f32 v[120:121], v[120:121], v[126:127]
	s_set_vgpr_msb 1                        ;  msbs: dst=0 src0=1 src1=0 src2=0
	v_pk_fma_f32 v[128:129], v[22:23] /*v[278:279]*/, v[222:223], v[128:129] neg_lo:[0,0,1] neg_hi:[0,0,1]
	s_set_vgpr_msb 5                        ;  msbs: dst=0 src0=1 src1=1 src2=0
	v_pk_fma_f32 v[126:127], v[28:29] /*v[284:285]*/, v[24:25] /*v[280:281]*/, v[124:125] op_sel_hi:[1,0,1]
	s_set_vgpr_msb 0                        ;  msbs: dst=0 src0=0 src1=0 src2=0
	v_mov_b32_e32 v129, v123
	v_pk_add_f32 v[120:121], v[120:121], v[130:131]
	s_set_vgpr_msb 1                        ;  msbs: dst=0 src0=1 src1=0 src2=0
	v_pk_mul_f32 v[122:123], v[88:89] /*v[344:345]*/, v[122:123] op_sel_hi:[1,0]
	s_set_vgpr_msb 5                        ;  msbs: dst=0 src0=1 src1=1 src2=0
	v_pk_fma_f32 v[124:125], v[28:29] /*v[284:285]*/, v[24:25] /*v[280:281]*/, v[124:125] neg_lo:[0,0,1] neg_hi:[0,0,1]
	s_set_vgpr_msb 0                        ;  msbs: dst=0 src0=0 src1=0 src2=0
	v_mov_b32_e32 v125, v127
	v_pk_add_f32 v[120:121], v[120:121], v[128:129]
	s_set_vgpr_msb 5                        ;  msbs: dst=0 src0=1 src1=1 src2=0
	v_pk_fma_f32 v[126:127], v[30:31] /*v[286:287]*/, v[26:27] /*v[282:283]*/, v[122:123] op_sel_hi:[1,0,1]
	v_pk_fma_f32 v[122:123], v[30:31] /*v[286:287]*/, v[26:27] /*v[282:283]*/, v[122:123] neg_lo:[0,0,1] neg_hi:[0,0,1]
	s_set_vgpr_msb 0                        ;  msbs: dst=0 src0=0 src1=0 src2=0
	v_pk_add_f32 v[120:121], v[120:121], v[124:125]
	s_delay_alu instid0(VALU_DEP_3) | instskip(NEXT) | instid1(VALU_DEP_1)
	v_mov_b32_e32 v123, v127
	v_pk_add_f32 v[120:121], v[120:121], v[122:123]
	s_wait_loadcnt 0x0
	s_set_vgpr_msb 1                        ;  msbs: dst=0 src0=1 src1=0 src2=0
	s_delay_alu instid0(VALU_DEP_1)
	v_pk_add_f32 v[120:121], v[80:81] /*v[336:337]*/, v[120:121] neg_lo:[0,1] neg_hi:[0,1]
	scratch_store_b64 off, v[120:121], off offset:32
	s_wait_xcnt 0x0
	v_cmpx_lt_u32_e32 3, v0
	s_set_vgpr_msb 0                        ;  msbs: dst=0 src0=0 src1=0 src2=0
	s_cbranch_execz .LBB58_361
; %bb.360:
	scratch_load_b64 v[120:121], off, off offset:24
	v_mov_b64_e32 v[122:123], 0
	scratch_store_b64 off, v[122:123], off offset:24
	s_wait_loadcnt 0x0
	ds_store_b64 v1, v[120:121]
.LBB58_361:
	s_wait_xcnt 0x0
	s_or_b32 exec_lo, exec_lo, s0
	v_mov_b32_e32 v7, 0
	s_wait_storecnt_dscnt 0x0
	s_barrier_signal -1
	s_barrier_wait -1
	ds_load_b128 v[120:123], v7 offset:512
	ds_load_b128 v[124:127], v7 offset:528
	;; [unrolled: 1-line block ×4, first 2 shown]
	s_clause 0x18
	scratch_load_b128 v[136:139], off, off offset:32
	scratch_load_b128 v[140:143], off, off offset:48
	;; [unrolled: 1-line block ×17, first 2 shown]
	s_set_vgpr_msb 64                       ;  msbs: dst=1 src0=0 src1=0 src2=0
	scratch_load_b128 v[4:7] /*v[260:263]*/, off, off offset:304
	scratch_load_b128 v[12:15] /*v[268:271]*/, off, off offset:320
	scratch_load_b128 v[20:23] /*v[276:279]*/, off, off offset:336
	scratch_load_b128 v[28:31] /*v[284:287]*/, off, off offset:352
	scratch_load_b128 v[36:39] /*v[292:295]*/, off, off offset:368
	scratch_load_b128 v[44:47] /*v[300:303]*/, off, off offset:384
	scratch_load_b128 v[52:55] /*v[308:311]*/, off, off offset:400
	s_mov_b32 s0, exec_lo
	s_wait_loadcnt_dscnt 0x1703
	s_set_vgpr_msb 0                        ;  msbs: dst=0 src0=0 src1=0 src2=0
	v_mul_f32_e32 v9, v120, v137
	ds_load_b128 v[152:155], v7 offset:576
	ds_load_b128 v[160:163], v7 offset:592
	;; [unrolled: 1-line block ×4, first 2 shown]
	v_dual_fmac_f32 v9, v121, v136 :: v_dual_mul_f32 v11, v122, v139
	ds_load_b128 v[184:187], v7 offset:640
	ds_load_b128 v[192:195], v7 offset:656
	;; [unrolled: 1-line block ×4, first 2 shown]
	v_dual_add_f32 v9, 0, v9 :: v_dual_fmac_f32 v11, v123, v138
	ds_load_b128 v[216:219], v7 offset:704
	ds_load_b128 v[224:227], v7 offset:720
	ds_load_b128 v[232:235], v7 offset:736
	ds_load_b128 v[240:243], v7 offset:752
	s_wait_loadcnt_dscnt 0x160e
	v_dual_add_f32 v9, v9, v11 :: v_dual_mul_f32 v11, v124, v141
	ds_load_b128 v[248:251], v7 offset:768
	s_set_vgpr_msb 64                       ;  msbs: dst=1 src0=0 src1=0 src2=0
	ds_load_b128 v[0:3] /*v[256:259]*/, v7 offset:784
	ds_load_b128 v[8:11] /*v[264:267]*/, v7 offset:800
	;; [unrolled: 1-line block ×3, first 2 shown]
	s_set_vgpr_msb 0                        ;  msbs: dst=0 src0=0 src1=0 src2=0
	v_fmac_f32_e32 v11, v125, v140
	s_set_vgpr_msb 64                       ;  msbs: dst=1 src0=0 src1=0 src2=0
	ds_load_b128 v[40:43] /*v[296:299]*/, v7 offset:864
	ds_load_b128 v[48:51] /*v[304:307]*/, v7 offset:880
	;; [unrolled: 1-line block ×4, first 2 shown]
	s_set_vgpr_msb 0                        ;  msbs: dst=0 src0=0 src1=0 src2=0
	v_add_f32_e32 v9, v9, v11
	v_mul_f32_e32 v11, v126, v143
	s_set_vgpr_msb 64                       ;  msbs: dst=1 src0=0 src1=0 src2=0
	s_clause 0x3
	scratch_load_b128 v[56:59] /*v[312:315]*/, off, off offset:416
	scratch_load_b128 v[60:63] /*v[316:319]*/, off, off offset:432
	;; [unrolled: 1-line block ×3, first 2 shown]
	scratch_load_b64 v[74:75] /*v[330:331]*/, off, off offset:464
	s_set_vgpr_msb 0                        ;  msbs: dst=0 src0=0 src1=0 src2=0
	v_fmac_f32_e32 v11, v127, v142
	s_wait_loadcnt_dscnt 0x1915
	s_delay_alu instid0(VALU_DEP_1)
	v_dual_add_f32 v9, v9, v11 :: v_dual_mul_f32 v11, v128, v145
	s_wait_loadcnt_dscnt 0x402
	s_set_vgpr_msb 0x45                     ;  msbs: dst=1 src0=1 src1=1 src2=0
	v_dual_mul_f32 v71 /*v327*/, v42 /*v298*/, v47 /*v303*/ :: v_dual_mul_f32 v73 /*v329*/, v48 /*v304*/, v53 /*v309*/
	s_set_vgpr_msb 0                        ;  msbs: dst=0 src0=0 src1=0 src2=0
	v_fmac_f32_e32 v11, v129, v144
	s_set_vgpr_msb 0x45                     ;  msbs: dst=1 src0=1 src1=1 src2=0
	s_delay_alu instid0(VALU_DEP_2) | instskip(SKIP_1) | instid1(VALU_DEP_2)
	v_dual_fmac_f32 v71 /*v327*/, v43 /*v299*/, v46 /*v302*/ :: v_dual_fmac_f32 v73 /*v329*/, v49 /*v305*/, v52 /*v308*/
	s_set_vgpr_msb 0                        ;  msbs: dst=0 src0=0 src1=0 src2=0
	v_add_f32_e32 v9, v9, v11
	v_mul_f32_e32 v11, v130, v147
	s_delay_alu instid0(VALU_DEP_1) | instskip(NEXT) | instid1(VALU_DEP_1)
	v_fmac_f32_e32 v11, v131, v146
	v_dual_add_f32 v9, v9, v11 :: v_dual_mul_f32 v11, v132, v149
	s_delay_alu instid0(VALU_DEP_1) | instskip(NEXT) | instid1(VALU_DEP_1)
	v_fmac_f32_e32 v11, v133, v148
	v_add_f32_e32 v9, v9, v11
	v_mul_f32_e32 v11, v134, v151
	s_delay_alu instid0(VALU_DEP_1) | instskip(NEXT) | instid1(VALU_DEP_1)
	v_fmac_f32_e32 v11, v135, v150
	v_dual_add_f32 v9, v9, v11 :: v_dual_mul_f32 v11, v152, v157
	s_delay_alu instid0(VALU_DEP_1) | instskip(NEXT) | instid1(VALU_DEP_1)
	v_fmac_f32_e32 v11, v153, v156
	;; [unrolled: 7-line block ×14, first 2 shown]
	v_add_f32_e32 v9, v9, v11
	v_mul_f32_e32 v11, v250, v255
	s_delay_alu instid0(VALU_DEP_1) | instskip(NEXT) | instid1(VALU_DEP_1)
	v_fmac_f32_e32 v11, v251, v254
	v_add_f32_e32 v9, v9, v11
	s_set_vgpr_msb 5                        ;  msbs: dst=0 src0=1 src1=1 src2=0
	v_mul_f32_e32 v11, v0 /*v256*/, v5 /*v261*/
	s_delay_alu instid0(VALU_DEP_1) | instskip(SKIP_1) | instid1(VALU_DEP_1)
	v_fmac_f32_e32 v11, v1 /*v257*/, v4 /*v260*/
	s_set_vgpr_msb 0                        ;  msbs: dst=0 src0=0 src1=0 src2=0
	v_add_f32_e32 v9, v9, v11
	s_set_vgpr_msb 5                        ;  msbs: dst=0 src0=1 src1=1 src2=0
	v_mul_f32_e32 v11, v2 /*v258*/, v7 /*v263*/
	s_delay_alu instid0(VALU_DEP_1) | instskip(SKIP_1) | instid1(VALU_DEP_1)
	v_fmac_f32_e32 v11, v3 /*v259*/, v6 /*v262*/
	s_set_vgpr_msb 0                        ;  msbs: dst=0 src0=0 src1=0 src2=0
	;; [unrolled: 6-line block ×6, first 2 shown]
	v_add_f32_e32 v9, v9, v11
	s_wait_dscnt 0x1
	s_set_vgpr_msb 5                        ;  msbs: dst=0 src0=1 src1=1 src2=0
	v_mul_f32_e32 v11, v24 /*v280*/, v29 /*v285*/
	s_delay_alu instid0(VALU_DEP_1) | instskip(SKIP_1) | instid1(VALU_DEP_1)
	v_fmac_f32_e32 v11, v25 /*v281*/, v28 /*v284*/
	s_set_vgpr_msb 0                        ;  msbs: dst=0 src0=0 src1=0 src2=0
	v_add_f32_e32 v9, v9, v11
	s_set_vgpr_msb 5                        ;  msbs: dst=0 src0=1 src1=1 src2=0
	v_mul_f32_e32 v11, v26 /*v282*/, v31 /*v287*/
	s_delay_alu instid0(VALU_DEP_1) | instskip(SKIP_1) | instid1(VALU_DEP_1)
	v_fmac_f32_e32 v11, v27 /*v283*/, v30 /*v286*/
	s_set_vgpr_msb 0                        ;  msbs: dst=0 src0=0 src1=0 src2=0
	v_add_f32_e32 v9, v9, v11
	s_wait_dscnt 0x0
	s_set_vgpr_msb 5                        ;  msbs: dst=0 src0=1 src1=1 src2=0
	v_mul_f32_e32 v11, v32 /*v288*/, v37 /*v293*/
	s_delay_alu instid0(VALU_DEP_1) | instskip(SKIP_1) | instid1(VALU_DEP_1)
	v_fmac_f32_e32 v11, v33 /*v289*/, v36 /*v292*/
	s_set_vgpr_msb 0                        ;  msbs: dst=0 src0=0 src1=0 src2=0
	v_add_f32_e32 v9, v9, v11
	s_set_vgpr_msb 5                        ;  msbs: dst=0 src0=1 src1=1 src2=0
	v_mul_f32_e32 v11, v34 /*v290*/, v39 /*v295*/
	s_delay_alu instid0(VALU_DEP_1) | instskip(SKIP_1) | instid1(VALU_DEP_1)
	v_fmac_f32_e32 v11, v35 /*v291*/, v38 /*v294*/
	s_set_vgpr_msb 0                        ;  msbs: dst=0 src0=0 src1=0 src2=0
	v_add_f32_e32 v9, v9, v11
	s_set_vgpr_msb 5                        ;  msbs: dst=0 src0=1 src1=1 src2=0
	v_mul_f32_e32 v11, v40 /*v296*/, v45 /*v301*/
	s_delay_alu instid0(VALU_DEP_1) | instskip(SKIP_1) | instid1(VALU_DEP_1)
	v_fmac_f32_e32 v11, v41 /*v297*/, v44 /*v300*/
	s_set_vgpr_msb 64                       ;  msbs: dst=1 src0=0 src1=0 src2=0
	v_add_f32_e32 v69 /*v325*/, v9, v11
	s_set_vgpr_msb 0                        ;  msbs: dst=0 src0=0 src1=0 src2=0
	v_dual_mul_f32 v9, v121, v137 :: v_dual_mul_f32 v11, v123, v139
	s_set_vgpr_msb 1                        ;  msbs: dst=0 src0=1 src1=0 src2=0
	v_mov_b32_e32 v137, v50 /*v306*/
	s_set_vgpr_msb 0                        ;  msbs: dst=0 src0=0 src1=0 src2=0
	s_delay_alu instid0(VALU_DEP_2) | instskip(SKIP_2) | instid1(VALU_DEP_2)
	v_dual_fma_f32 v9, v120, v136, -v9 :: v_dual_fma_f32 v11, v122, v138, -v11
	s_set_vgpr_msb 1                        ;  msbs: dst=0 src0=1 src1=0 src2=0
	v_dual_mov_b32 v136, v51 /*v307*/ :: v_dual_mov_b32 v138, v55 /*v311*/
	v_add_f32_e32 v9, 0, v9
	s_set_vgpr_msb 0                        ;  msbs: dst=0 src0=0 src1=0 src2=0
	s_delay_alu instid0(VALU_DEP_2) | instskip(NEXT) | instid1(VALU_DEP_2)
	v_pk_mul_f32 v[136:137], v[136:137], v[138:139] op_sel_hi:[1,0]
	v_add_f32_e32 v9, v9, v11
	v_mul_f32_e32 v11, v125, v141
	s_set_vgpr_msb 5                        ;  msbs: dst=0 src0=1 src1=1 src2=0
	s_delay_alu instid0(VALU_DEP_3) | instskip(SKIP_2) | instid1(VALU_DEP_1)
	v_pk_fma_f32 v[138:139], v[50:51] /*v[306:307]*/, v[54:55] /*v[310:311]*/, v[136:137] neg_lo:[0,0,1] neg_hi:[0,0,1]
	v_pk_fma_f32 v[136:137], v[50:51] /*v[306:307]*/, v[54:55] /*v[310:311]*/, v[136:137] op_sel_hi:[1,0,1]
	s_set_vgpr_msb 0                        ;  msbs: dst=0 src0=0 src1=0 src2=0
	v_dual_fma_f32 v11, v124, v140, -v11 :: v_dual_mov_b32 v139, v137
	s_delay_alu instid0(VALU_DEP_1) | instskip(SKIP_1) | instid1(VALU_DEP_1)
	v_add_f32_e32 v9, v9, v11
	v_mul_f32_e32 v11, v127, v143
	v_fma_f32 v11, v126, v142, -v11
	s_delay_alu instid0(VALU_DEP_1) | instskip(SKIP_1) | instid1(VALU_DEP_1)
	v_add_f32_e32 v9, v9, v11
	v_mul_f32_e32 v11, v129, v145
	v_fma_f32 v11, v128, v144, -v11
	s_delay_alu instid0(VALU_DEP_1) | instskip(SKIP_1) | instid1(VALU_DEP_1)
	v_add_f32_e32 v9, v9, v11
	v_mul_f32_e32 v11, v131, v147
	v_fma_f32 v11, v130, v146, -v11
	s_delay_alu instid0(VALU_DEP_1) | instskip(SKIP_1) | instid1(VALU_DEP_1)
	v_add_f32_e32 v9, v9, v11
	v_mul_f32_e32 v11, v133, v149
	v_fma_f32 v11, v132, v148, -v11
	ds_load_b128 v[120:123], v7 offset:896
	ds_load_b128 v[124:127], v7 offset:912
	;; [unrolled: 1-line block ×3, first 2 shown]
	ds_load_b64 v[132:133], v7 offset:944
	v_add_f32_e32 v9, v9, v11
	v_mul_f32_e32 v11, v135, v151
	s_delay_alu instid0(VALU_DEP_1) | instskip(NEXT) | instid1(VALU_DEP_1)
	v_fma_f32 v11, v134, v150, -v11
	v_add_f32_e32 v9, v9, v11
	v_mul_f32_e32 v11, v153, v157
	s_wait_loadcnt_dscnt 0x303
	s_set_vgpr_msb 4                        ;  msbs: dst=0 src0=0 src1=1 src2=0
	v_pk_mul_f32 v[136:137], v[120:121], v[56:57] /*v[312:313]*/ op_sel:[1,1] op_sel_hi:[0,1]
	s_set_vgpr_msb 0                        ;  msbs: dst=0 src0=0 src1=0 src2=0
	v_fma_f32 v11, v152, v156, -v11
	s_delay_alu instid0(VALU_DEP_1) | instskip(SKIP_1) | instid1(VALU_DEP_1)
	v_add_f32_e32 v9, v9, v11
	v_mul_f32_e32 v11, v155, v159
	v_fma_f32 v11, v154, v158, -v11
	s_delay_alu instid0(VALU_DEP_1) | instskip(SKIP_1) | instid1(VALU_DEP_1)
	v_add_f32_e32 v9, v9, v11
	v_mul_f32_e32 v11, v161, v165
	;; [unrolled: 4-line block ×25, first 2 shown]
	v_fma_f32 v11, v250, v254, -v11
	s_delay_alu instid0(VALU_DEP_1) | instskip(SKIP_2) | instid1(VALU_DEP_1)
	v_add_f32_e32 v9, v9, v11
	s_set_vgpr_msb 5                        ;  msbs: dst=0 src0=1 src1=1 src2=0
	v_mul_f32_e32 v11, v1 /*v257*/, v5 /*v261*/
	v_fma_f32 v11, v0 /*v256*/, v4 /*v260*/, -v11
	s_set_vgpr_msb 0                        ;  msbs: dst=0 src0=0 src1=0 src2=0
	s_delay_alu instid0(VALU_DEP_1) | instskip(SKIP_2) | instid1(VALU_DEP_1)
	v_add_f32_e32 v9, v9, v11
	s_set_vgpr_msb 5                        ;  msbs: dst=0 src0=1 src1=1 src2=0
	v_mul_f32_e32 v11, v3 /*v259*/, v7 /*v263*/
	v_fma_f32 v11, v2 /*v258*/, v6 /*v262*/, -v11
	s_set_vgpr_msb 0                        ;  msbs: dst=0 src0=0 src1=0 src2=0
	s_delay_alu instid0(VALU_DEP_1) | instskip(SKIP_2) | instid1(VALU_DEP_1)
	v_add_f32_e32 v9, v9, v11
	s_set_vgpr_msb 5                        ;  msbs: dst=0 src0=1 src1=1 src2=0
	v_mul_f32_e32 v11, v9 /*v265*/, v13 /*v269*/
	v_fma_f32 v11, v8 /*v264*/, v12 /*v268*/, -v11
	s_set_vgpr_msb 0                        ;  msbs: dst=0 src0=0 src1=0 src2=0
	s_delay_alu instid0(VALU_DEP_1) | instskip(SKIP_2) | instid1(VALU_DEP_1)
	v_add_f32_e32 v9, v9, v11
	s_set_vgpr_msb 5                        ;  msbs: dst=0 src0=1 src1=1 src2=0
	v_mul_f32_e32 v11, v11 /*v267*/, v15 /*v271*/
	v_fma_f32 v11, v10 /*v266*/, v14 /*v270*/, -v11
	s_set_vgpr_msb 0                        ;  msbs: dst=0 src0=0 src1=0 src2=0
	s_delay_alu instid0(VALU_DEP_1) | instskip(SKIP_2) | instid1(VALU_DEP_1)
	v_add_f32_e32 v9, v9, v11
	s_set_vgpr_msb 5                        ;  msbs: dst=0 src0=1 src1=1 src2=0
	v_mul_f32_e32 v11, v17 /*v273*/, v21 /*v277*/
	v_fma_f32 v11, v16 /*v272*/, v20 /*v276*/, -v11
	s_set_vgpr_msb 0                        ;  msbs: dst=0 src0=0 src1=0 src2=0
	s_delay_alu instid0(VALU_DEP_1) | instskip(SKIP_2) | instid1(VALU_DEP_1)
	v_add_f32_e32 v9, v9, v11
	s_set_vgpr_msb 5                        ;  msbs: dst=0 src0=1 src1=1 src2=0
	v_mul_f32_e32 v11, v19 /*v275*/, v23 /*v279*/
	v_fma_f32 v11, v18 /*v274*/, v22 /*v278*/, -v11
	s_set_vgpr_msb 0                        ;  msbs: dst=0 src0=0 src1=0 src2=0
	s_delay_alu instid0(VALU_DEP_1) | instskip(SKIP_2) | instid1(VALU_DEP_1)
	v_add_f32_e32 v9, v9, v11
	s_set_vgpr_msb 5                        ;  msbs: dst=0 src0=1 src1=1 src2=0
	v_mul_f32_e32 v11, v25 /*v281*/, v29 /*v285*/
	v_fma_f32 v11, v24 /*v280*/, v28 /*v284*/, -v11
	s_set_vgpr_msb 0                        ;  msbs: dst=0 src0=0 src1=0 src2=0
	s_delay_alu instid0(VALU_DEP_1) | instskip(SKIP_2) | instid1(VALU_DEP_1)
	v_add_f32_e32 v9, v9, v11
	s_set_vgpr_msb 5                        ;  msbs: dst=0 src0=1 src1=1 src2=0
	v_mul_f32_e32 v11, v27 /*v283*/, v31 /*v287*/
	v_fma_f32 v11, v26 /*v282*/, v30 /*v286*/, -v11
	s_set_vgpr_msb 0                        ;  msbs: dst=0 src0=0 src1=0 src2=0
	s_delay_alu instid0(VALU_DEP_1) | instskip(SKIP_2) | instid1(VALU_DEP_1)
	v_add_f32_e32 v9, v9, v11
	s_set_vgpr_msb 5                        ;  msbs: dst=0 src0=1 src1=1 src2=0
	v_mul_f32_e32 v11, v33 /*v289*/, v37 /*v293*/
	v_fma_f32 v11, v32 /*v288*/, v36 /*v292*/, -v11
	s_set_vgpr_msb 0                        ;  msbs: dst=0 src0=0 src1=0 src2=0
	s_delay_alu instid0(VALU_DEP_1) | instskip(SKIP_2) | instid1(VALU_DEP_1)
	v_add_f32_e32 v9, v9, v11
	s_set_vgpr_msb 5                        ;  msbs: dst=0 src0=1 src1=1 src2=0
	v_mul_f32_e32 v11, v35 /*v291*/, v39 /*v295*/
	v_fma_f32 v11, v34 /*v290*/, v38 /*v294*/, -v11
	s_set_vgpr_msb 0                        ;  msbs: dst=0 src0=0 src1=0 src2=0
	s_delay_alu instid0(VALU_DEP_1) | instskip(SKIP_2) | instid1(VALU_DEP_1)
	v_add_f32_e32 v9, v9, v11
	s_set_vgpr_msb 5                        ;  msbs: dst=0 src0=1 src1=1 src2=0
	v_mul_f32_e32 v11, v41 /*v297*/, v45 /*v301*/
	v_fma_f32 v11, v40 /*v296*/, v44 /*v300*/, -v11
	s_set_vgpr_msb 64                       ;  msbs: dst=1 src0=0 src1=0 src2=0
	s_delay_alu instid0(VALU_DEP_1) | instskip(SKIP_3) | instid1(VALU_DEP_1)
	v_add_f32_e32 v68 /*v324*/, v9, v11
	s_set_vgpr_msb 5                        ;  msbs: dst=0 src0=1 src1=1 src2=0
	v_mul_f32_e32 v9, v43 /*v299*/, v47 /*v303*/
	s_set_vgpr_msb 0x45                     ;  msbs: dst=1 src0=1 src1=1 src2=0
	v_fma_f32 v70 /*v326*/, v42 /*v298*/, v46 /*v302*/, -v9
	s_set_vgpr_msb 5                        ;  msbs: dst=0 src0=1 src1=1 src2=0
	v_mul_f32_e32 v9, v49 /*v305*/, v53 /*v309*/
	s_set_vgpr_msb 0x45                     ;  msbs: dst=1 src0=1 src1=1 src2=0
	s_delay_alu instid0(VALU_DEP_1) | instskip(SKIP_3) | instid1(VALU_DEP_1)
	v_fma_f32 v72 /*v328*/, v48 /*v304*/, v52 /*v308*/, -v9
	s_set_vgpr_msb 5                        ;  msbs: dst=0 src0=1 src1=1 src2=0
	v_pk_add_f32 v[134:135], v[68:69] /*v[324:325]*/, v[70:71] /*v[326:327]*/
	s_set_vgpr_msb 4                        ;  msbs: dst=0 src0=0 src1=1 src2=0
	v_pk_add_f32 v[134:135], v[134:135], v[72:73] /*v[328:329]*/
	s_set_vgpr_msb 0                        ;  msbs: dst=0 src0=0 src1=0 src2=0
	s_delay_alu instid0(VALU_DEP_1)
	v_pk_add_f32 v[134:135], v[134:135], v[138:139]
	s_set_vgpr_msb 4                        ;  msbs: dst=0 src0=0 src1=1 src2=0
	v_pk_fma_f32 v[138:139], v[120:121], v[56:57] /*v[312:313]*/, v[136:137] neg_lo:[0,0,1] neg_hi:[0,0,1]
	v_pk_fma_f32 v[120:121], v[120:121], v[56:57] /*v[312:313]*/, v[136:137] op_sel_hi:[1,0,1]
	s_set_vgpr_msb 1                        ;  msbs: dst=0 src0=1 src1=0 src2=0
	v_mov_b32_e32 v136, v59 /*v315*/
	s_set_vgpr_msb 0                        ;  msbs: dst=0 src0=0 src1=0 src2=0
	s_delay_alu instid0(VALU_DEP_2) | instskip(NEXT) | instid1(VALU_DEP_1)
	v_mov_b32_e32 v139, v121
	v_pk_add_f32 v[120:121], v[134:135], v[138:139]
	v_dual_mov_b32 v134, v123 :: v_dual_mov_b32 v135, v122
	s_delay_alu instid0(VALU_DEP_1) | instskip(SKIP_1) | instid1(VALU_DEP_1)
	v_pk_mul_f32 v[134:135], v[134:135], v[136:137] op_sel_hi:[1,0]
	s_set_vgpr_msb 4                        ;  msbs: dst=0 src0=0 src1=1 src2=0
	v_pk_fma_f32 v[136:137], v[122:123], v[58:59] /*v[314:315]*/, v[134:135] neg_lo:[0,0,1] neg_hi:[0,0,1]
	v_pk_fma_f32 v[122:123], v[122:123], v[58:59] /*v[314:315]*/, v[134:135] op_sel_hi:[1,0,1]
	s_delay_alu instid0(VALU_DEP_1) | instskip(SKIP_3) | instid1(VALU_DEP_2)
	v_mov_b32_e32 v137, v123
	s_wait_loadcnt_dscnt 0x202
	v_pk_mul_f32 v[122:123], v[124:125], v[60:61] /*v[316:317]*/ op_sel:[1,1] op_sel_hi:[0,1]
	s_set_vgpr_msb 0                        ;  msbs: dst=0 src0=0 src1=0 src2=0
	v_pk_add_f32 v[120:121], v[120:121], v[136:137]
	s_set_vgpr_msb 4                        ;  msbs: dst=0 src0=0 src1=1 src2=0
	s_delay_alu instid0(VALU_DEP_2)
	v_pk_fma_f32 v[134:135], v[124:125], v[60:61] /*v[316:317]*/, v[122:123] neg_lo:[0,0,1] neg_hi:[0,0,1]
	v_pk_fma_f32 v[122:123], v[124:125], v[60:61] /*v[316:317]*/, v[122:123] op_sel_hi:[1,0,1]
	v_mov_b32_e32 v122, v127
	s_set_vgpr_msb 1                        ;  msbs: dst=0 src0=1 src1=0 src2=0
	v_mov_b32_e32 v124, v63 /*v319*/
	s_set_vgpr_msb 0                        ;  msbs: dst=0 src0=0 src1=0 src2=0
	v_dual_mov_b32 v135, v123 :: v_dual_mov_b32 v123, v126
	s_delay_alu instid0(VALU_DEP_1) | instskip(NEXT) | instid1(VALU_DEP_2)
	v_pk_add_f32 v[120:121], v[120:121], v[134:135]
	v_pk_mul_f32 v[122:123], v[122:123], v[124:125] op_sel_hi:[1,0]
	s_set_vgpr_msb 4                        ;  msbs: dst=0 src0=0 src1=1 src2=0
	s_delay_alu instid0(VALU_DEP_1) | instskip(SKIP_1) | instid1(VALU_DEP_1)
	v_pk_fma_f32 v[124:125], v[126:127], v[62:63] /*v[318:319]*/, v[122:123] neg_lo:[0,0,1] neg_hi:[0,0,1]
	v_pk_fma_f32 v[122:123], v[126:127], v[62:63] /*v[318:319]*/, v[122:123] op_sel_hi:[1,0,1]
	v_mov_b32_e32 v125, v123
	s_wait_loadcnt_dscnt 0x101
	v_pk_mul_f32 v[122:123], v[128:129], v[64:65] /*v[320:321]*/ op_sel:[1,1] op_sel_hi:[0,1]
	s_set_vgpr_msb 0                        ;  msbs: dst=0 src0=0 src1=0 src2=0
	s_delay_alu instid0(VALU_DEP_2) | instskip(SKIP_1) | instid1(VALU_DEP_2)
	v_pk_add_f32 v[120:121], v[120:121], v[124:125]
	s_set_vgpr_msb 4                        ;  msbs: dst=0 src0=0 src1=1 src2=0
	v_pk_fma_f32 v[124:125], v[128:129], v[64:65] /*v[320:321]*/, v[122:123] neg_lo:[0,0,1] neg_hi:[0,0,1]
	v_pk_fma_f32 v[122:123], v[128:129], v[64:65] /*v[320:321]*/, v[122:123] op_sel_hi:[1,0,1]
	s_delay_alu instid0(VALU_DEP_1) | instskip(SKIP_2) | instid1(VALU_DEP_2)
	v_dual_mov_b32 v122, v131 :: v_dual_mov_b32 v125, v123
	v_mov_b32_e32 v123, v130
	s_set_vgpr_msb 0                        ;  msbs: dst=0 src0=0 src1=0 src2=0
	v_pk_add_f32 v[120:121], v[120:121], v[124:125]
	s_set_vgpr_msb 1                        ;  msbs: dst=0 src0=1 src1=0 src2=0
	v_mov_b32_e32 v124, v67 /*v323*/
	s_set_vgpr_msb 0                        ;  msbs: dst=0 src0=0 src1=0 src2=0
	s_delay_alu instid0(VALU_DEP_1) | instskip(SKIP_1) | instid1(VALU_DEP_1)
	v_pk_mul_f32 v[122:123], v[122:123], v[124:125] op_sel_hi:[1,0]
	s_set_vgpr_msb 4                        ;  msbs: dst=0 src0=0 src1=1 src2=0
	v_pk_fma_f32 v[124:125], v[130:131], v[66:67] /*v[322:323]*/, v[122:123] neg_lo:[0,0,1] neg_hi:[0,0,1]
	v_pk_fma_f32 v[122:123], v[130:131], v[66:67] /*v[322:323]*/, v[122:123] op_sel_hi:[1,0,1]
	s_delay_alu instid0(VALU_DEP_1) | instskip(SKIP_3) | instid1(VALU_DEP_2)
	v_mov_b32_e32 v125, v123
	s_wait_loadcnt_dscnt 0x0
	v_pk_mul_f32 v[122:123], v[132:133], v[74:75] /*v[330:331]*/ op_sel:[1,1] op_sel_hi:[0,1]
	s_set_vgpr_msb 0                        ;  msbs: dst=0 src0=0 src1=0 src2=0
	v_pk_add_f32 v[120:121], v[120:121], v[124:125]
	s_set_vgpr_msb 4                        ;  msbs: dst=0 src0=0 src1=1 src2=0
	s_delay_alu instid0(VALU_DEP_2) | instskip(SKIP_1) | instid1(VALU_DEP_1)
	v_pk_fma_f32 v[124:125], v[132:133], v[74:75] /*v[330:331]*/, v[122:123] neg_lo:[0,0,1] neg_hi:[0,0,1]
	v_pk_fma_f32 v[122:123], v[132:133], v[74:75] /*v[330:331]*/, v[122:123] op_sel_hi:[1,0,1]
	v_mov_b32_e32 v125, v123
	scratch_load_b64 v[122:123], off, off offset:24
	s_set_vgpr_msb 0                        ;  msbs: dst=0 src0=0 src1=0 src2=0
	v_pk_add_f32 v[120:121], v[120:121], v[124:125]
	s_wait_loadcnt 0x0
	s_delay_alu instid0(VALU_DEP_1)
	v_pk_add_f32 v[120:121], v[122:123], v[120:121] neg_lo:[0,1] neg_hi:[0,1]
	scratch_store_b64 off, v[120:121], off offset:24
	s_wait_xcnt 0x0
	v_cmpx_lt_u32_e32 2, v0
	s_cbranch_execz .LBB58_363
; %bb.362:
	scratch_load_b64 v[120:121], off, off offset:16
	v_mov_b64_e32 v[122:123], 0
	scratch_store_b64 off, v[122:123], off offset:16
	s_wait_loadcnt 0x0
	ds_store_b64 v1, v[120:121]
.LBB58_363:
	s_wait_xcnt 0x0
	s_or_b32 exec_lo, exec_lo, s0
	s_wait_storecnt_dscnt 0x0
	s_barrier_signal -1
	s_barrier_wait -1
	s_clause 0xf
	scratch_load_b128 v[124:127], off, off offset:24
	scratch_load_b128 v[132:135], off, off offset:40
	;; [unrolled: 1-line block ×16, first 2 shown]
	ds_load_2addr_b64 v[120:123], v7 offset0:63 offset1:64
	ds_load_2addr_b64 v[128:131], v7 offset0:65 offset1:66
	s_clause 0x2
	scratch_load_b128 v[252:255], off, off offset:280
	s_set_vgpr_msb 64                       ;  msbs: dst=1 src0=0 src1=0 src2=0
	scratch_load_b128 v[4:7] /*v[260:263]*/, off, off offset:296
	s_set_vgpr_msb 0                        ;  msbs: dst=0 src0=0 src1=0 src2=0
	ds_load_2addr_b64 v[136:139], v7 offset0:67 offset1:68
	ds_load_2addr_b64 v[144:147], v7 offset0:69 offset1:70
	s_set_vgpr_msb 64                       ;  msbs: dst=1 src0=0 src1=0 src2=0
	s_clause 0x1
	scratch_load_b128 v[12:15] /*v[268:271]*/, off, off offset:312
	scratch_load_b128 v[20:23] /*v[276:279]*/, off, off offset:328
	s_set_vgpr_msb 0                        ;  msbs: dst=0 src0=0 src1=0 src2=0
	ds_load_2addr_b64 v[152:155], v7 offset0:71 offset1:72
	ds_load_2addr_b64 v[160:163], v7 offset0:73 offset1:74
	s_set_vgpr_msb 64                       ;  msbs: dst=1 src0=0 src1=0 src2=0
	s_clause 0x1
	scratch_load_b128 v[28:31] /*v[284:287]*/, off, off offset:344
	;; [unrolled: 7-line block ×3, first 2 shown]
	scratch_load_b128 v[52:55] /*v[308:311]*/, off, off offset:392
	s_set_vgpr_msb 0                        ;  msbs: dst=0 src0=0 src1=0 src2=0
	ds_load_2addr_b64 v[184:187], v7 offset0:79 offset1:80
	ds_load_2addr_b64 v[192:195], v7 offset0:81 offset1:82
	;; [unrolled: 1-line block ×9, first 2 shown]
	s_set_vgpr_msb 64                       ;  msbs: dst=1 src0=0 src1=0 src2=0
	ds_load_2addr_b64 v[0:3] /*v[256:259]*/, v7 offset0:97 offset1:98
	ds_load_2addr_b64 v[8:11] /*v[264:267]*/, v7 offset0:99 offset1:100
	;; [unrolled: 1-line block ×7, first 2 shown]
	s_clause 0x3
	scratch_load_b128 v[56:59] /*v[312:315]*/, off, off offset:408
	scratch_load_b128 v[60:63] /*v[316:319]*/, off, off offset:424
	;; [unrolled: 1-line block ×4, first 2 shown]
	s_mov_b32 s0, exec_lo
	s_wait_loadcnt_dscnt 0x1b17
	s_set_vgpr_msb 0                        ;  msbs: dst=0 src0=0 src1=0 src2=0
	v_dual_mul_f32 v9, v120, v125 :: v_dual_mul_f32 v11, v122, v127
	s_delay_alu instid0(VALU_DEP_1) | instskip(NEXT) | instid1(VALU_DEP_1)
	v_dual_fmac_f32 v9, v121, v124 :: v_dual_fmac_f32 v11, v123, v126
	v_add_f32_e32 v9, 0, v9
	s_wait_loadcnt_dscnt 0x1a16
	s_delay_alu instid0(VALU_DEP_1) | instskip(NEXT) | instid1(VALU_DEP_1)
	v_dual_add_f32 v9, v9, v11 :: v_dual_mul_f32 v11, v128, v133
	v_fmac_f32_e32 v11, v129, v132
	s_delay_alu instid0(VALU_DEP_1)
	v_add_f32_e32 v9, v9, v11
	v_mul_f32_e32 v11, v130, v135
	s_wait_loadcnt_dscnt 0x402
	s_set_vgpr_msb 0x45                     ;  msbs: dst=1 src0=1 src1=1 src2=0
	v_dual_mul_f32 v75 /*v331*/, v48 /*v304*/, v53 /*v309*/ :: v_dual_mul_f32 v77 /*v333*/, v50 /*v306*/, v55 /*v311*/
	s_set_vgpr_msb 0                        ;  msbs: dst=0 src0=0 src1=0 src2=0
	v_fmac_f32_e32 v11, v131, v134
	s_set_vgpr_msb 0x45                     ;  msbs: dst=1 src0=1 src1=1 src2=0
	s_delay_alu instid0(VALU_DEP_2) | instskip(SKIP_1) | instid1(VALU_DEP_2)
	v_dual_fmac_f32 v75 /*v331*/, v49 /*v305*/, v52 /*v308*/ :: v_dual_fmac_f32 v77 /*v333*/, v51 /*v307*/, v54 /*v310*/
	s_set_vgpr_msb 0                        ;  msbs: dst=0 src0=0 src1=0 src2=0
	v_dual_add_f32 v9, v9, v11 :: v_dual_mul_f32 v11, v136, v141
	s_delay_alu instid0(VALU_DEP_1) | instskip(NEXT) | instid1(VALU_DEP_1)
	v_fmac_f32_e32 v11, v137, v140
	v_add_f32_e32 v9, v9, v11
	v_mul_f32_e32 v11, v138, v143
	s_delay_alu instid0(VALU_DEP_1) | instskip(NEXT) | instid1(VALU_DEP_1)
	v_fmac_f32_e32 v11, v139, v142
	v_dual_add_f32 v9, v9, v11 :: v_dual_mul_f32 v11, v144, v149
	s_delay_alu instid0(VALU_DEP_1) | instskip(NEXT) | instid1(VALU_DEP_1)
	v_fmac_f32_e32 v11, v145, v148
	v_add_f32_e32 v9, v9, v11
	v_mul_f32_e32 v11, v146, v151
	s_delay_alu instid0(VALU_DEP_1) | instskip(NEXT) | instid1(VALU_DEP_1)
	v_fmac_f32_e32 v11, v147, v150
	v_dual_add_f32 v9, v9, v11 :: v_dual_mul_f32 v11, v152, v157
	s_delay_alu instid0(VALU_DEP_1) | instskip(NEXT) | instid1(VALU_DEP_1)
	v_fmac_f32_e32 v11, v153, v156
	v_add_f32_e32 v9, v9, v11
	v_mul_f32_e32 v11, v154, v159
	s_delay_alu instid0(VALU_DEP_1) | instskip(NEXT) | instid1(VALU_DEP_1)
	v_fmac_f32_e32 v11, v155, v158
	v_dual_add_f32 v9, v9, v11 :: v_dual_mul_f32 v11, v160, v165
	s_delay_alu instid0(VALU_DEP_1) | instskip(NEXT) | instid1(VALU_DEP_1)
	v_fmac_f32_e32 v11, v161, v164
	v_add_f32_e32 v9, v9, v11
	v_mul_f32_e32 v11, v162, v167
	s_delay_alu instid0(VALU_DEP_1) | instskip(NEXT) | instid1(VALU_DEP_1)
	v_fmac_f32_e32 v11, v163, v166
	v_dual_add_f32 v9, v9, v11 :: v_dual_mul_f32 v11, v168, v173
	s_delay_alu instid0(VALU_DEP_1) | instskip(NEXT) | instid1(VALU_DEP_1)
	v_fmac_f32_e32 v11, v169, v172
	v_add_f32_e32 v9, v9, v11
	v_mul_f32_e32 v11, v170, v175
	s_delay_alu instid0(VALU_DEP_1) | instskip(NEXT) | instid1(VALU_DEP_1)
	v_fmac_f32_e32 v11, v171, v174
	v_dual_add_f32 v9, v9, v11 :: v_dual_mul_f32 v11, v176, v181
	s_delay_alu instid0(VALU_DEP_1) | instskip(NEXT) | instid1(VALU_DEP_1)
	v_fmac_f32_e32 v11, v177, v180
	v_add_f32_e32 v9, v9, v11
	v_mul_f32_e32 v11, v178, v183
	s_delay_alu instid0(VALU_DEP_1) | instskip(NEXT) | instid1(VALU_DEP_1)
	v_fmac_f32_e32 v11, v179, v182
	v_dual_add_f32 v9, v9, v11 :: v_dual_mul_f32 v11, v184, v189
	s_delay_alu instid0(VALU_DEP_1) | instskip(NEXT) | instid1(VALU_DEP_1)
	v_fmac_f32_e32 v11, v185, v188
	v_add_f32_e32 v9, v9, v11
	v_mul_f32_e32 v11, v186, v191
	s_delay_alu instid0(VALU_DEP_1) | instskip(NEXT) | instid1(VALU_DEP_1)
	v_fmac_f32_e32 v11, v187, v190
	v_dual_add_f32 v9, v9, v11 :: v_dual_mul_f32 v11, v192, v197
	s_delay_alu instid0(VALU_DEP_1) | instskip(NEXT) | instid1(VALU_DEP_1)
	v_fmac_f32_e32 v11, v193, v196
	v_add_f32_e32 v9, v9, v11
	v_mul_f32_e32 v11, v194, v199
	s_delay_alu instid0(VALU_DEP_1) | instskip(NEXT) | instid1(VALU_DEP_1)
	v_fmac_f32_e32 v11, v195, v198
	v_dual_add_f32 v9, v9, v11 :: v_dual_mul_f32 v11, v200, v205
	s_delay_alu instid0(VALU_DEP_1) | instskip(NEXT) | instid1(VALU_DEP_1)
	v_fmac_f32_e32 v11, v201, v204
	v_add_f32_e32 v9, v9, v11
	v_mul_f32_e32 v11, v202, v207
	s_delay_alu instid0(VALU_DEP_1) | instskip(NEXT) | instid1(VALU_DEP_1)
	v_fmac_f32_e32 v11, v203, v206
	v_dual_add_f32 v9, v9, v11 :: v_dual_mul_f32 v11, v208, v213
	s_delay_alu instid0(VALU_DEP_1) | instskip(NEXT) | instid1(VALU_DEP_1)
	v_fmac_f32_e32 v11, v209, v212
	v_add_f32_e32 v9, v9, v11
	v_mul_f32_e32 v11, v210, v215
	s_delay_alu instid0(VALU_DEP_1) | instskip(NEXT) | instid1(VALU_DEP_1)
	v_fmac_f32_e32 v11, v211, v214
	v_dual_add_f32 v9, v9, v11 :: v_dual_mul_f32 v11, v216, v221
	s_delay_alu instid0(VALU_DEP_1) | instskip(NEXT) | instid1(VALU_DEP_1)
	v_fmac_f32_e32 v11, v217, v220
	v_add_f32_e32 v9, v9, v11
	v_mul_f32_e32 v11, v218, v223
	s_delay_alu instid0(VALU_DEP_1) | instskip(NEXT) | instid1(VALU_DEP_1)
	v_fmac_f32_e32 v11, v219, v222
	v_dual_add_f32 v9, v9, v11 :: v_dual_mul_f32 v11, v224, v229
	s_delay_alu instid0(VALU_DEP_1) | instskip(NEXT) | instid1(VALU_DEP_1)
	v_fmac_f32_e32 v11, v225, v228
	v_add_f32_e32 v9, v9, v11
	v_mul_f32_e32 v11, v226, v231
	s_delay_alu instid0(VALU_DEP_1) | instskip(NEXT) | instid1(VALU_DEP_1)
	v_fmac_f32_e32 v11, v227, v230
	v_dual_add_f32 v9, v9, v11 :: v_dual_mul_f32 v11, v232, v237
	s_delay_alu instid0(VALU_DEP_1) | instskip(NEXT) | instid1(VALU_DEP_1)
	v_fmac_f32_e32 v11, v233, v236
	v_add_f32_e32 v9, v9, v11
	v_mul_f32_e32 v11, v234, v239
	s_delay_alu instid0(VALU_DEP_1) | instskip(NEXT) | instid1(VALU_DEP_1)
	v_fmac_f32_e32 v11, v235, v238
	v_dual_add_f32 v9, v9, v11 :: v_dual_mul_f32 v11, v240, v245
	s_delay_alu instid0(VALU_DEP_1) | instskip(NEXT) | instid1(VALU_DEP_1)
	v_fmac_f32_e32 v11, v241, v244
	v_add_f32_e32 v9, v9, v11
	v_mul_f32_e32 v11, v242, v247
	s_delay_alu instid0(VALU_DEP_1) | instskip(NEXT) | instid1(VALU_DEP_1)
	v_fmac_f32_e32 v11, v243, v246
	v_dual_add_f32 v9, v9, v11 :: v_dual_mul_f32 v11, v248, v253
	s_delay_alu instid0(VALU_DEP_1) | instskip(NEXT) | instid1(VALU_DEP_1)
	v_fmac_f32_e32 v11, v249, v252
	v_add_f32_e32 v9, v9, v11
	v_mul_f32_e32 v11, v250, v255
	s_delay_alu instid0(VALU_DEP_1) | instskip(NEXT) | instid1(VALU_DEP_1)
	v_fmac_f32_e32 v11, v251, v254
	v_add_f32_e32 v9, v9, v11
	s_set_vgpr_msb 5                        ;  msbs: dst=0 src0=1 src1=1 src2=0
	v_mul_f32_e32 v11, v0 /*v256*/, v5 /*v261*/
	s_delay_alu instid0(VALU_DEP_1) | instskip(SKIP_1) | instid1(VALU_DEP_1)
	v_fmac_f32_e32 v11, v1 /*v257*/, v4 /*v260*/
	s_set_vgpr_msb 0                        ;  msbs: dst=0 src0=0 src1=0 src2=0
	v_add_f32_e32 v9, v9, v11
	s_set_vgpr_msb 5                        ;  msbs: dst=0 src0=1 src1=1 src2=0
	v_mul_f32_e32 v11, v2 /*v258*/, v7 /*v263*/
	s_delay_alu instid0(VALU_DEP_1) | instskip(SKIP_1) | instid1(VALU_DEP_1)
	v_fmac_f32_e32 v11, v3 /*v259*/, v6 /*v262*/
	s_set_vgpr_msb 0                        ;  msbs: dst=0 src0=0 src1=0 src2=0
	;; [unrolled: 6-line block ×6, first 2 shown]
	v_add_f32_e32 v9, v9, v11
	s_wait_dscnt 0x1
	s_set_vgpr_msb 5                        ;  msbs: dst=0 src0=1 src1=1 src2=0
	v_mul_f32_e32 v11, v24 /*v280*/, v29 /*v285*/
	s_delay_alu instid0(VALU_DEP_1) | instskip(SKIP_1) | instid1(VALU_DEP_1)
	v_fmac_f32_e32 v11, v25 /*v281*/, v28 /*v284*/
	s_set_vgpr_msb 0                        ;  msbs: dst=0 src0=0 src1=0 src2=0
	v_add_f32_e32 v9, v9, v11
	s_set_vgpr_msb 5                        ;  msbs: dst=0 src0=1 src1=1 src2=0
	v_mul_f32_e32 v11, v26 /*v282*/, v31 /*v287*/
	s_delay_alu instid0(VALU_DEP_1) | instskip(SKIP_1) | instid1(VALU_DEP_1)
	v_fmac_f32_e32 v11, v27 /*v283*/, v30 /*v286*/
	s_set_vgpr_msb 0                        ;  msbs: dst=0 src0=0 src1=0 src2=0
	v_add_f32_e32 v9, v9, v11
	s_wait_dscnt 0x0
	s_set_vgpr_msb 5                        ;  msbs: dst=0 src0=1 src1=1 src2=0
	v_mul_f32_e32 v11, v32 /*v288*/, v37 /*v293*/
	s_delay_alu instid0(VALU_DEP_1) | instskip(SKIP_1) | instid1(VALU_DEP_1)
	v_fmac_f32_e32 v11, v33 /*v289*/, v36 /*v292*/
	s_set_vgpr_msb 0                        ;  msbs: dst=0 src0=0 src1=0 src2=0
	v_add_f32_e32 v9, v9, v11
	s_set_vgpr_msb 5                        ;  msbs: dst=0 src0=1 src1=1 src2=0
	v_mul_f32_e32 v11, v34 /*v290*/, v39 /*v295*/
	s_delay_alu instid0(VALU_DEP_1) | instskip(SKIP_1) | instid1(VALU_DEP_1)
	v_fmac_f32_e32 v11, v35 /*v291*/, v38 /*v294*/
	s_set_vgpr_msb 0                        ;  msbs: dst=0 src0=0 src1=0 src2=0
	v_add_f32_e32 v9, v9, v11
	;; [unrolled: 6-line block ×3, first 2 shown]
	s_set_vgpr_msb 5                        ;  msbs: dst=0 src0=1 src1=1 src2=0
	v_mul_f32_e32 v11, v42 /*v298*/, v47 /*v303*/
	s_delay_alu instid0(VALU_DEP_1) | instskip(SKIP_1) | instid1(VALU_DEP_1)
	v_fmac_f32_e32 v11, v43 /*v299*/, v46 /*v302*/
	s_set_vgpr_msb 64                       ;  msbs: dst=1 src0=0 src1=0 src2=0
	v_add_f32_e32 v73 /*v329*/, v9, v11
	s_set_vgpr_msb 0                        ;  msbs: dst=0 src0=0 src1=0 src2=0
	v_dual_mul_f32 v9, v121, v125 :: v_dual_mul_f32 v11, v123, v127
	s_delay_alu instid0(VALU_DEP_1) | instskip(NEXT) | instid1(VALU_DEP_1)
	v_dual_fma_f32 v9, v120, v124, -v9 :: v_dual_fma_f32 v11, v122, v126, -v11
	v_add_f32_e32 v9, 0, v9
	s_delay_alu instid0(VALU_DEP_1) | instskip(SKIP_1) | instid1(VALU_DEP_1)
	v_add_f32_e32 v9, v9, v11
	v_mul_f32_e32 v11, v129, v133
	v_fma_f32 v11, v128, v132, -v11
	s_delay_alu instid0(VALU_DEP_1) | instskip(SKIP_1) | instid1(VALU_DEP_1)
	v_add_f32_e32 v9, v9, v11
	v_mul_f32_e32 v11, v131, v135
	v_fma_f32 v11, v130, v134, -v11
	ds_load_2addr_b64 v[120:123], v7 offset0:111 offset1:112
	ds_load_2addr_b64 v[124:127], v7 offset0:113 offset1:114
	;; [unrolled: 1-line block ×4, first 2 shown]
	v_add_f32_e32 v9, v9, v11
	v_mul_f32_e32 v11, v137, v141
	s_delay_alu instid0(VALU_DEP_1) | instskip(NEXT) | instid1(VALU_DEP_1)
	v_fma_f32 v11, v136, v140, -v11
	v_add_f32_e32 v9, v9, v11
	v_mul_f32_e32 v11, v139, v143
	s_delay_alu instid0(VALU_DEP_1)
	v_fma_f32 v11, v138, v142, -v11
	s_wait_loadcnt_dscnt 0x303
	s_set_vgpr_msb 4                        ;  msbs: dst=0 src0=0 src1=1 src2=0
	v_pk_mul_f32 v[138:139], v[120:121], v[56:57] /*v[312:313]*/ op_sel:[1,1] op_sel_hi:[0,1]
	s_set_vgpr_msb 0                        ;  msbs: dst=0 src0=0 src1=0 src2=0
	v_add_f32_e32 v9, v9, v11
	v_mul_f32_e32 v11, v145, v149
	s_set_vgpr_msb 4                        ;  msbs: dst=0 src0=0 src1=1 src2=0
	v_pk_fma_f32 v[140:141], v[120:121], v[56:57] /*v[312:313]*/, v[138:139] neg_lo:[0,0,1] neg_hi:[0,0,1]
	v_pk_fma_f32 v[120:121], v[120:121], v[56:57] /*v[312:313]*/, v[138:139] op_sel_hi:[1,0,1]
	s_set_vgpr_msb 1                        ;  msbs: dst=0 src0=1 src1=0 src2=0
	v_mov_b32_e32 v138, v59 /*v315*/
	s_set_vgpr_msb 0                        ;  msbs: dst=0 src0=0 src1=0 src2=0
	s_delay_alu instid0(VALU_DEP_2) | instskip(NEXT) | instid1(VALU_DEP_1)
	v_dual_fma_f32 v11, v144, v148, -v11 :: v_dual_mov_b32 v141, v121
	v_add_f32_e32 v9, v9, v11
	v_mul_f32_e32 v11, v147, v151
	s_delay_alu instid0(VALU_DEP_1) | instskip(NEXT) | instid1(VALU_DEP_1)
	v_fma_f32 v11, v146, v150, -v11
	v_add_f32_e32 v9, v9, v11
	v_mul_f32_e32 v11, v153, v157
	s_delay_alu instid0(VALU_DEP_1) | instskip(NEXT) | instid1(VALU_DEP_1)
	v_fma_f32 v11, v152, v156, -v11
	;; [unrolled: 4-line block ×27, first 2 shown]
	v_add_f32_e32 v9, v9, v11
	s_set_vgpr_msb 5                        ;  msbs: dst=0 src0=1 src1=1 src2=0
	v_mul_f32_e32 v11, v1 /*v257*/, v5 /*v261*/
	s_delay_alu instid0(VALU_DEP_1) | instskip(SKIP_1) | instid1(VALU_DEP_1)
	v_fma_f32 v11, v0 /*v256*/, v4 /*v260*/, -v11
	s_set_vgpr_msb 0                        ;  msbs: dst=0 src0=0 src1=0 src2=0
	v_add_f32_e32 v9, v9, v11
	s_set_vgpr_msb 5                        ;  msbs: dst=0 src0=1 src1=1 src2=0
	v_mul_f32_e32 v11, v3 /*v259*/, v7 /*v263*/
	s_delay_alu instid0(VALU_DEP_1) | instskip(SKIP_1) | instid1(VALU_DEP_1)
	v_fma_f32 v11, v2 /*v258*/, v6 /*v262*/, -v11
	s_set_vgpr_msb 0                        ;  msbs: dst=0 src0=0 src1=0 src2=0
	;; [unrolled: 6-line block ×11, first 2 shown]
	v_add_f32_e32 v9, v9, v11
	s_set_vgpr_msb 5                        ;  msbs: dst=0 src0=1 src1=1 src2=0
	v_mul_f32_e32 v11, v43 /*v299*/, v47 /*v303*/
	s_delay_alu instid0(VALU_DEP_1) | instskip(SKIP_1) | instid1(VALU_DEP_1)
	v_fma_f32 v11, v42 /*v298*/, v46 /*v302*/, -v11
	s_set_vgpr_msb 64                       ;  msbs: dst=1 src0=0 src1=0 src2=0
	v_add_f32_e32 v72 /*v328*/, v9, v11
	s_set_vgpr_msb 5                        ;  msbs: dst=0 src0=1 src1=1 src2=0
	v_mul_f32_e32 v9, v49 /*v305*/, v53 /*v309*/
	s_set_vgpr_msb 0x45                     ;  msbs: dst=1 src0=1 src1=1 src2=0
	s_delay_alu instid0(VALU_DEP_1) | instskip(SKIP_3) | instid1(VALU_DEP_1)
	v_fma_f32 v74 /*v330*/, v48 /*v304*/, v52 /*v308*/, -v9
	s_set_vgpr_msb 5                        ;  msbs: dst=0 src0=1 src1=1 src2=0
	v_mul_f32_e32 v9, v51 /*v307*/, v55 /*v311*/
	s_set_vgpr_msb 0x45                     ;  msbs: dst=1 src0=1 src1=1 src2=0
	v_fma_f32 v76 /*v332*/, v50 /*v306*/, v54 /*v310*/, -v9
	s_set_vgpr_msb 5                        ;  msbs: dst=0 src0=1 src1=1 src2=0
	v_pk_add_f32 v[136:137], v[72:73] /*v[328:329]*/, v[74:75] /*v[330:331]*/
	s_set_vgpr_msb 4                        ;  msbs: dst=0 src0=0 src1=1 src2=0
	s_delay_alu instid0(VALU_DEP_1) | instskip(SKIP_1) | instid1(VALU_DEP_1)
	v_pk_add_f32 v[136:137], v[136:137], v[76:77] /*v[332:333]*/
	s_set_vgpr_msb 0                        ;  msbs: dst=0 src0=0 src1=0 src2=0
	v_pk_add_f32 v[120:121], v[136:137], v[140:141]
	v_dual_mov_b32 v136, v123 :: v_dual_mov_b32 v137, v122
	s_delay_alu instid0(VALU_DEP_1) | instskip(SKIP_1) | instid1(VALU_DEP_1)
	v_pk_mul_f32 v[136:137], v[136:137], v[138:139] op_sel_hi:[1,0]
	s_set_vgpr_msb 4                        ;  msbs: dst=0 src0=0 src1=1 src2=0
	v_pk_fma_f32 v[138:139], v[122:123], v[58:59] /*v[314:315]*/, v[136:137] neg_lo:[0,0,1] neg_hi:[0,0,1]
	v_pk_fma_f32 v[122:123], v[122:123], v[58:59] /*v[314:315]*/, v[136:137] op_sel_hi:[1,0,1]
	s_delay_alu instid0(VALU_DEP_1) | instskip(SKIP_3) | instid1(VALU_DEP_2)
	v_mov_b32_e32 v139, v123
	s_wait_loadcnt_dscnt 0x202
	v_pk_mul_f32 v[122:123], v[124:125], v[60:61] /*v[316:317]*/ op_sel:[1,1] op_sel_hi:[0,1]
	s_set_vgpr_msb 0                        ;  msbs: dst=0 src0=0 src1=0 src2=0
	v_pk_add_f32 v[120:121], v[120:121], v[138:139]
	s_set_vgpr_msb 4                        ;  msbs: dst=0 src0=0 src1=1 src2=0
	s_delay_alu instid0(VALU_DEP_2)
	v_pk_fma_f32 v[136:137], v[124:125], v[60:61] /*v[316:317]*/, v[122:123] neg_lo:[0,0,1] neg_hi:[0,0,1]
	v_pk_fma_f32 v[122:123], v[124:125], v[60:61] /*v[316:317]*/, v[122:123] op_sel_hi:[1,0,1]
	v_mov_b32_e32 v122, v127
	s_set_vgpr_msb 1                        ;  msbs: dst=0 src0=1 src1=0 src2=0
	v_mov_b32_e32 v124, v63 /*v319*/
	s_set_vgpr_msb 0                        ;  msbs: dst=0 src0=0 src1=0 src2=0
	v_dual_mov_b32 v137, v123 :: v_dual_mov_b32 v123, v126
	s_delay_alu instid0(VALU_DEP_1) | instskip(NEXT) | instid1(VALU_DEP_2)
	v_pk_add_f32 v[120:121], v[120:121], v[136:137]
	v_pk_mul_f32 v[122:123], v[122:123], v[124:125] op_sel_hi:[1,0]
	s_set_vgpr_msb 4                        ;  msbs: dst=0 src0=0 src1=1 src2=0
	s_delay_alu instid0(VALU_DEP_1) | instskip(SKIP_1) | instid1(VALU_DEP_1)
	v_pk_fma_f32 v[124:125], v[126:127], v[62:63] /*v[318:319]*/, v[122:123] neg_lo:[0,0,1] neg_hi:[0,0,1]
	v_pk_fma_f32 v[122:123], v[126:127], v[62:63] /*v[318:319]*/, v[122:123] op_sel_hi:[1,0,1]
	v_mov_b32_e32 v125, v123
	s_wait_loadcnt_dscnt 0x101
	v_pk_mul_f32 v[122:123], v[128:129], v[64:65] /*v[320:321]*/ op_sel:[1,1] op_sel_hi:[0,1]
	s_set_vgpr_msb 0                        ;  msbs: dst=0 src0=0 src1=0 src2=0
	s_delay_alu instid0(VALU_DEP_2) | instskip(SKIP_1) | instid1(VALU_DEP_2)
	v_pk_add_f32 v[120:121], v[120:121], v[124:125]
	s_set_vgpr_msb 4                        ;  msbs: dst=0 src0=0 src1=1 src2=0
	v_pk_fma_f32 v[124:125], v[128:129], v[64:65] /*v[320:321]*/, v[122:123] neg_lo:[0,0,1] neg_hi:[0,0,1]
	v_pk_fma_f32 v[122:123], v[128:129], v[64:65] /*v[320:321]*/, v[122:123] op_sel_hi:[1,0,1]
	s_delay_alu instid0(VALU_DEP_1) | instskip(SKIP_2) | instid1(VALU_DEP_2)
	v_dual_mov_b32 v122, v131 :: v_dual_mov_b32 v125, v123
	v_mov_b32_e32 v123, v130
	s_set_vgpr_msb 0                        ;  msbs: dst=0 src0=0 src1=0 src2=0
	v_pk_add_f32 v[120:121], v[120:121], v[124:125]
	s_set_vgpr_msb 1                        ;  msbs: dst=0 src0=1 src1=0 src2=0
	v_mov_b32_e32 v124, v67 /*v323*/
	s_set_vgpr_msb 0                        ;  msbs: dst=0 src0=0 src1=0 src2=0
	s_delay_alu instid0(VALU_DEP_1) | instskip(SKIP_1) | instid1(VALU_DEP_1)
	v_pk_mul_f32 v[122:123], v[122:123], v[124:125] op_sel_hi:[1,0]
	s_set_vgpr_msb 4                        ;  msbs: dst=0 src0=0 src1=1 src2=0
	v_pk_fma_f32 v[124:125], v[130:131], v[66:67] /*v[322:323]*/, v[122:123] neg_lo:[0,0,1] neg_hi:[0,0,1]
	v_pk_fma_f32 v[122:123], v[130:131], v[66:67] /*v[322:323]*/, v[122:123] op_sel_hi:[1,0,1]
	s_delay_alu instid0(VALU_DEP_1) | instskip(SKIP_3) | instid1(VALU_DEP_2)
	v_mov_b32_e32 v125, v123
	s_wait_loadcnt_dscnt 0x0
	v_pk_mul_f32 v[122:123], v[132:133], v[68:69] /*v[324:325]*/ op_sel:[1,1] op_sel_hi:[0,1]
	s_set_vgpr_msb 0                        ;  msbs: dst=0 src0=0 src1=0 src2=0
	v_pk_add_f32 v[120:121], v[120:121], v[124:125]
	s_set_vgpr_msb 4                        ;  msbs: dst=0 src0=0 src1=1 src2=0
	s_delay_alu instid0(VALU_DEP_2) | instskip(SKIP_1) | instid1(VALU_DEP_1)
	v_pk_fma_f32 v[124:125], v[132:133], v[68:69] /*v[324:325]*/, v[122:123] neg_lo:[0,0,1] neg_hi:[0,0,1]
	v_pk_fma_f32 v[122:123], v[132:133], v[68:69] /*v[324:325]*/, v[122:123] op_sel_hi:[1,0,1]
	v_dual_mov_b32 v122, v135 :: v_dual_mov_b32 v125, v123
	v_mov_b32_e32 v123, v134
	s_set_vgpr_msb 0                        ;  msbs: dst=0 src0=0 src1=0 src2=0
	s_delay_alu instid0(VALU_DEP_2) | instskip(SKIP_3) | instid1(VALU_DEP_1)
	v_pk_add_f32 v[120:121], v[120:121], v[124:125]
	s_set_vgpr_msb 1                        ;  msbs: dst=0 src0=1 src1=0 src2=0
	v_mov_b32_e32 v124, v71 /*v327*/
	s_set_vgpr_msb 0                        ;  msbs: dst=0 src0=0 src1=0 src2=0
	v_pk_mul_f32 v[122:123], v[122:123], v[124:125] op_sel_hi:[1,0]
	s_set_vgpr_msb 4                        ;  msbs: dst=0 src0=0 src1=1 src2=0
	s_delay_alu instid0(VALU_DEP_1) | instskip(SKIP_1) | instid1(VALU_DEP_1)
	v_pk_fma_f32 v[124:125], v[134:135], v[70:71] /*v[326:327]*/, v[122:123] neg_lo:[0,0,1] neg_hi:[0,0,1]
	v_pk_fma_f32 v[122:123], v[134:135], v[70:71] /*v[326:327]*/, v[122:123] op_sel_hi:[1,0,1]
	v_mov_b32_e32 v125, v123
	scratch_load_b64 v[122:123], off, off offset:16
	s_set_vgpr_msb 0                        ;  msbs: dst=0 src0=0 src1=0 src2=0
	v_pk_add_f32 v[120:121], v[120:121], v[124:125]
	s_wait_loadcnt 0x0
	s_delay_alu instid0(VALU_DEP_1)
	v_pk_add_f32 v[120:121], v[122:123], v[120:121] neg_lo:[0,1] neg_hi:[0,1]
	scratch_store_b64 off, v[120:121], off offset:16
	s_wait_xcnt 0x0
	v_cmpx_lt_u32_e32 1, v0
	s_cbranch_execz .LBB58_365
; %bb.364:
	scratch_load_b64 v[120:121], off, off offset:8
	v_mov_b64_e32 v[122:123], 0
	scratch_store_b64 off, v[122:123], off offset:8
	s_wait_loadcnt 0x0
	ds_store_b64 v1, v[120:121]
.LBB58_365:
	s_wait_xcnt 0x0
	s_or_b32 exec_lo, exec_lo, s0
	s_wait_storecnt_dscnt 0x0
	s_barrier_signal -1
	s_barrier_wait -1
	s_clause 0x1e
	scratch_load_b128 v[122:125], off, off offset:16
	scratch_load_b128 v[126:129], off, off offset:32
	;; [unrolled: 1-line block ×28, first 2 shown]
	s_set_vgpr_msb 64                       ;  msbs: dst=1 src0=0 src1=0 src2=0
	scratch_load_b64 v[90:91] /*v[346:347]*/, off, off offset:464
	scratch_load_b64 v[92:93] /*v[348:349]*/, off, off offset:8
	s_set_vgpr_msb 0                        ;  msbs: dst=0 src0=0 src1=0 src2=0
	v_dual_mov_b32 v120, 0 :: v_dual_ashrrev_i32 v95, 31, v94
	ds_load_b128 v[234:237], v120 offset:496
	ds_load_b128 v[238:241], v120 offset:512
	;; [unrolled: 1-line block ×6, first 2 shown]
	s_set_vgpr_msb 64                       ;  msbs: dst=1 src0=0 src1=0 src2=0
	ds_load_b128 v[2:5] /*v[258:261]*/, v120 offset:592
	ds_load_b128 v[6:9] /*v[262:265]*/, v120 offset:608
	;; [unrolled: 1-line block ×22, first 2 shown]
	ds_load_b64 v[94:95] /*v[350:351]*/, v120 offset:944
	s_wait_dscnt 0x14
	s_set_vgpr_msb 0x41                     ;  msbs: dst=1 src0=1 src1=0 src2=0
	v_dual_mov_b32 v96 /*v352*/, v13 /*v269*/ :: v_dual_mov_b32 v97 /*v353*/, v12 /*v268*/
	s_wait_dscnt 0x11
	v_dual_mov_b32 v98 /*v354*/, v25 /*v281*/ :: v_dual_mov_b32 v99 /*v355*/, v24 /*v280*/
	s_wait_dscnt 0x10
	v_dual_mov_b32 v100 /*v356*/, v29 /*v285*/ :: v_dual_mov_b32 v101 /*v357*/, v28 /*v284*/
	s_wait_dscnt 0xd
	v_dual_mov_b32 v102 /*v358*/, v41 /*v297*/ :: v_dual_mov_b32 v103 /*v359*/, v40 /*v296*/
	s_set_vgpr_msb 0                        ;  msbs: dst=0 src0=0 src1=0 src2=0
	v_dual_ashrrev_i32 v7, 31, v6 :: v_dual_ashrrev_i32 v9, 31, v8
	v_dual_ashrrev_i32 v11, 31, v10 :: v_dual_ashrrev_i32 v13, 31, v12
	;; [unrolled: 1-line block ×22, first 2 shown]
	s_mov_b32 s0, exec_lo
	s_wait_loadcnt 0x1d
	v_dual_mul_f32 v97, v234, v123 :: v_dual_mul_f32 v99, v236, v125
	v_dual_mul_f32 v101, v235, v123 :: v_dual_mul_f32 v103, v237, v125
	s_wait_loadcnt 0x1c
	v_dual_mul_f32 v105, v238, v127 :: v_dual_mul_f32 v107, v240, v129
	s_delay_alu instid0(VALU_DEP_3) | instskip(NEXT) | instid1(VALU_DEP_3)
	v_dual_fmac_f32 v97, v235, v122 :: v_dual_fmac_f32 v99, v237, v124
	v_dual_fma_f32 v101, v234, v122, -v101 :: v_dual_fma_f32 v103, v236, v124, -v103
	s_wait_loadcnt 0x1b
	v_dual_mul_f32 v109, v242, v131 :: v_dual_mul_f32 v111, v244, v133
	s_delay_alu instid0(VALU_DEP_3) | instskip(SKIP_1) | instid1(VALU_DEP_2)
	v_dual_add_f32 v97, 0, v97 :: v_dual_fmac_f32 v105, v239, v126
	v_dual_mul_f32 v113, v239, v127 :: v_dual_mul_f32 v115, v241, v129
	v_dual_add_f32 v101, 0, v101 :: v_dual_add_f32 v97, v97, v99
	v_dual_mul_f32 v117, v243, v131 :: v_dual_mul_f32 v119, v245, v133
	s_delay_alu instid0(VALU_DEP_2) | instskip(SKIP_1) | instid1(VALU_DEP_4)
	v_dual_fma_f32 v113, v238, v126, -v113 :: v_dual_add_f32 v99, v101, v103
	v_dual_fmac_f32 v109, v243, v130 :: v_dual_fmac_f32 v107, v241, v128
	v_dual_fma_f32 v103, v240, v128, -v115 :: v_dual_add_f32 v97, v97, v105
	s_delay_alu instid0(VALU_DEP_3) | instskip(SKIP_2) | instid1(VALU_DEP_3)
	v_dual_add_f32 v99, v99, v113 :: v_dual_fma_f32 v113, v242, v130, -v117
	s_wait_loadcnt 0x1a
	v_dual_mul_f32 v121, v246, v135 :: v_dual_mul_f32 v125, v248, v137
	v_dual_add_f32 v97, v97, v107 :: v_dual_fma_f32 v107, v244, v132, -v119
	s_delay_alu instid0(VALU_DEP_3) | instskip(SKIP_1) | instid1(VALU_DEP_3)
	v_dual_add_f32 v99, v99, v103 :: v_dual_fmac_f32 v111, v245, v132
	v_dual_mul_f32 v123, v247, v135 :: v_dual_mul_f32 v127, v249, v137
	v_dual_add_f32 v97, v97, v109 :: v_dual_fmac_f32 v121, v247, v134
	s_delay_alu instid0(VALU_DEP_2) | instskip(SKIP_2) | instid1(VALU_DEP_3)
	v_dual_add_f32 v99, v99, v113 :: v_dual_fma_f32 v113, v246, v134, -v123
	s_wait_loadcnt 0x19
	v_dual_mul_f32 v129, v250, v139 :: v_dual_mul_f32 v131, v252, v141
	v_dual_add_f32 v97, v97, v111 :: v_dual_fma_f32 v111, v248, v136, -v127
	v_dual_mul_f32 v133, v251, v139 :: v_dual_mul_f32 v135, v253, v141
	v_dual_add_f32 v99, v99, v107 :: v_dual_fmac_f32 v125, v249, v136
	s_delay_alu instid0(VALU_DEP_3) | instskip(SKIP_2) | instid1(VALU_DEP_3)
	v_dual_add_f32 v97, v97, v121 :: v_dual_fmac_f32 v129, v251, v138
	s_wait_loadcnt 0x18
	v_dual_mul_f32 v137, v254, v143 :: v_dual_mul_f32 v141, v255, v143
	v_dual_add_f32 v99, v99, v113 :: v_dual_fma_f32 v113, v250, v138, -v133
	s_delay_alu instid0(VALU_DEP_3)
	v_add_f32_e32 v97, v97, v125
	s_set_vgpr_msb 1                        ;  msbs: dst=0 src0=1 src1=0 src2=0
	v_dual_mul_f32 v139, v0 /*v256*/, v145 :: v_dual_mul_f32 v143, v1 /*v257*/, v145
	s_set_vgpr_msb 0                        ;  msbs: dst=0 src0=0 src1=0 src2=0
	v_dual_add_f32 v99, v99, v111 :: v_dual_fmac_f32 v131, v253, v140
	v_dual_fma_f32 v111, v252, v140, -v135 :: v_dual_add_f32 v97, v97, v129
	s_wait_loadcnt 0x17
	s_set_vgpr_msb 1                        ;  msbs: dst=0 src0=1 src1=0 src2=0
	v_dual_mul_f32 v145, v2 /*v258*/, v147 :: v_dual_mul_f32 v147, v3 /*v259*/, v147
	s_set_vgpr_msb 0                        ;  msbs: dst=0 src0=0 src1=0 src2=0
	v_add_f32_e32 v99, v99, v113
	v_dual_fmac_f32 v137, v255, v142 :: v_dual_add_f32 v97, v97, v131
	v_fma_f32 v115, v254, v142, -v141
	s_set_vgpr_msb 1                        ;  msbs: dst=0 src0=1 src1=0 src2=0
	v_fmac_f32_e32 v139, v1 /*v257*/, v144
	s_set_vgpr_msb 0                        ;  msbs: dst=0 src0=0 src1=0 src2=0
	v_add_f32_e32 v99, v99, v111
	s_wait_loadcnt 0x16
	s_set_vgpr_msb 0x41                     ;  msbs: dst=1 src0=1 src1=0 src2=0
	v_dual_mul_f32 v104 /*v360*/, v4 /*v260*/, v149 :: v_dual_mul_f32 v105 /*v361*/, v6 /*v262*/, v151
	s_set_vgpr_msb 0                        ;  msbs: dst=0 src0=0 src1=0 src2=0
	v_add_f32_e32 v97, v97, v137
	s_set_vgpr_msb 1                        ;  msbs: dst=0 src0=1 src1=0 src2=0
	v_dual_fma_f32 v117, v0 /*v256*/, v144, -v143 :: v_dual_fmac_f32 v145, v3 /*v259*/, v146
	s_set_vgpr_msb 0                        ;  msbs: dst=0 src0=0 src1=0 src2=0
	v_add_f32_e32 v99, v99, v115
	s_wait_loadcnt 0x14
	s_set_vgpr_msb 1                        ;  msbs: dst=0 src0=1 src1=0 src2=0
	v_mul_f32_e32 v115, v19 /*v275*/, v159
	s_set_vgpr_msb 0                        ;  msbs: dst=0 src0=0 src1=0 src2=0
	v_add_f32_e32 v97, v97, v139
	s_wait_loadcnt_dscnt 0xa05
	s_set_vgpr_msb 0x41                     ;  msbs: dst=1 src0=1 src1=0 src2=0
	v_dual_mul_f32 v130 /*v386*/, v72 /*v328*/, v201 :: v_dual_fmac_f32 v104 /*v360*/, v5 /*v261*/, v148
	s_set_vgpr_msb 1                        ;  msbs: dst=0 src0=1 src1=0 src2=0
	v_fma_f32 v119, v2 /*v258*/, v146, -v147
	s_set_vgpr_msb 0                        ;  msbs: dst=0 src0=0 src1=0 src2=0
	v_add_f32_e32 v99, v99, v117
	s_set_vgpr_msb 1                        ;  msbs: dst=0 src0=1 src1=0 src2=0
	v_mul_f32_e32 v117, v21 /*v277*/, v161
	s_set_vgpr_msb 0                        ;  msbs: dst=0 src0=0 src1=0 src2=0
	v_add_f32_e32 v97, v97, v145
	s_set_vgpr_msb 0x41                     ;  msbs: dst=1 src0=1 src1=0 src2=0
	v_dual_mul_f32 v106 /*v362*/, v8 /*v264*/, v153 :: v_dual_mul_f32 v107 /*v363*/, v14 /*v270*/, v155
	s_set_vgpr_msb 0                        ;  msbs: dst=0 src0=0 src1=0 src2=0
	v_add_f32_e32 v99, v99, v119
	s_set_vgpr_msb 0x41                     ;  msbs: dst=1 src0=1 src1=0 src2=0
	v_fmac_f32_e32 v105 /*v361*/, v7 /*v263*/, v150
	s_set_vgpr_msb 4                        ;  msbs: dst=0 src0=0 src1=1 src2=0
	v_add_f32_e32 v97, v97, v104 /*v360*/
	s_set_vgpr_msb 0x41                     ;  msbs: dst=1 src0=1 src1=0 src2=0
	v_dual_fmac_f32 v106 /*v362*/, v9 /*v265*/, v152 :: v_dual_mul_f32 v108 /*v364*/, v16 /*v272*/, v157
	v_dual_mul_f32 v109 /*v365*/, v18 /*v274*/, v159 :: v_dual_fmac_f32 v107 /*v363*/, v15 /*v271*/, v154
	s_set_vgpr_msb 4                        ;  msbs: dst=0 src0=0 src1=1 src2=0
	v_add_f32_e32 v97, v97, v105 /*v361*/
	s_set_vgpr_msb 0x41                     ;  msbs: dst=1 src0=1 src1=0 src2=0
	v_dual_mul_f32 v110 /*v366*/, v20 /*v276*/, v161 :: v_dual_mul_f32 v111 /*v367*/, v30 /*v286*/, v163
	v_dual_fmac_f32 v108 /*v364*/, v17 /*v273*/, v156 :: v_dual_fmac_f32 v109 /*v365*/, v19 /*v275*/, v158
	s_set_vgpr_msb 4                        ;  msbs: dst=0 src0=0 src1=1 src2=0
	v_add_f32_e32 v97, v97, v106 /*v362*/
	s_set_vgpr_msb 0x41                     ;  msbs: dst=1 src0=1 src1=0 src2=0
	v_dual_fmac_f32 v110 /*v366*/, v21 /*v277*/, v160 :: v_dual_mul_f32 v112 /*v368*/, v32 /*v288*/, v165
	v_dual_mul_f32 v113 /*v369*/, v34 /*v290*/, v167 :: v_dual_fmac_f32 v111 /*v367*/, v31 /*v287*/, v162
	s_set_vgpr_msb 4                        ;  msbs: dst=0 src0=0 src1=1 src2=0
	v_add_f32_e32 v97, v97, v107 /*v363*/
	s_set_vgpr_msb 0x41                     ;  msbs: dst=1 src0=1 src1=0 src2=0
	v_dual_mul_f32 v114 /*v370*/, v36 /*v292*/, v169 :: v_dual_mul_f32 v115 /*v371*/, v42 /*v298*/, v171
	v_dual_fmac_f32 v112 /*v368*/, v33 /*v289*/, v164 :: v_dual_fmac_f32 v113 /*v369*/, v35 /*v291*/, v166
	s_set_vgpr_msb 4                        ;  msbs: dst=0 src0=0 src1=1 src2=0
	v_add_f32_e32 v97, v97, v108 /*v364*/
	s_set_vgpr_msb 0x41                     ;  msbs: dst=1 src0=1 src1=0 src2=0
	v_dual_fmac_f32 v114 /*v370*/, v37 /*v293*/, v168 :: v_dual_mul_f32 v116 /*v372*/, v44 /*v300*/, v173
	v_dual_mul_f32 v117 /*v373*/, v46 /*v302*/, v175 :: v_dual_fmac_f32 v115 /*v371*/, v43 /*v299*/, v170
	s_set_vgpr_msb 4                        ;  msbs: dst=0 src0=0 src1=1 src2=0
	v_add_f32_e32 v97, v97, v109 /*v365*/
	s_set_vgpr_msb 0x41                     ;  msbs: dst=1 src0=1 src1=0 src2=0
	v_dual_mul_f32 v118 /*v374*/, v48 /*v304*/, v177 :: v_dual_mul_f32 v119 /*v375*/, v50 /*v306*/, v179
	v_dual_fmac_f32 v116 /*v372*/, v45 /*v301*/, v172 :: v_dual_fmac_f32 v117 /*v373*/, v47 /*v303*/, v174
	s_set_vgpr_msb 4                        ;  msbs: dst=0 src0=0 src1=1 src2=0
	v_add_f32_e32 v97, v97, v110 /*v366*/
	s_set_vgpr_msb 0x41                     ;  msbs: dst=1 src0=1 src1=0 src2=0
	v_dual_fmac_f32 v118 /*v374*/, v49 /*v305*/, v176 :: v_dual_mul_f32 v120 /*v376*/, v52 /*v308*/, v181
	v_dual_mul_f32 v121 /*v377*/, v54 /*v310*/, v183 :: v_dual_fmac_f32 v119 /*v375*/, v51 /*v307*/, v178
	s_set_vgpr_msb 4                        ;  msbs: dst=0 src0=0 src1=1 src2=0
	v_add_f32_e32 v97, v97, v111 /*v367*/
	s_set_vgpr_msb 0x41                     ;  msbs: dst=1 src0=1 src1=0 src2=0
	v_dual_mul_f32 v122 /*v378*/, v56 /*v312*/, v185 :: v_dual_mul_f32 v123 /*v379*/, v58 /*v314*/, v187
	v_dual_fmac_f32 v120 /*v376*/, v53 /*v309*/, v180 :: v_dual_fmac_f32 v121 /*v377*/, v55 /*v311*/, v182
	s_set_vgpr_msb 4                        ;  msbs: dst=0 src0=0 src1=1 src2=0
	v_add_f32_e32 v97, v97, v112 /*v368*/
	s_set_vgpr_msb 0x41                     ;  msbs: dst=1 src0=1 src1=0 src2=0
	v_dual_fmac_f32 v122 /*v378*/, v57 /*v313*/, v184 :: v_dual_mul_f32 v124 /*v380*/, v60 /*v316*/, v189
	v_dual_mul_f32 v125 /*v381*/, v62 /*v318*/, v191 :: v_dual_fmac_f32 v123 /*v379*/, v59 /*v315*/, v186
	s_set_vgpr_msb 4                        ;  msbs: dst=0 src0=0 src1=1 src2=0
	v_add_f32_e32 v97, v97, v113 /*v369*/
	s_set_vgpr_msb 0x41                     ;  msbs: dst=1 src0=1 src1=0 src2=0
	v_dual_mul_f32 v126 /*v382*/, v64 /*v320*/, v193 :: v_dual_mul_f32 v127 /*v383*/, v66 /*v322*/, v195
	v_dual_fmac_f32 v124 /*v380*/, v61 /*v317*/, v188 :: v_dual_fmac_f32 v125 /*v381*/, v63 /*v319*/, v190
	s_set_vgpr_msb 4                        ;  msbs: dst=0 src0=0 src1=1 src2=0
	v_add_f32_e32 v97, v97, v114 /*v370*/
	s_set_vgpr_msb 0x41                     ;  msbs: dst=1 src0=1 src1=0 src2=0
	v_dual_fmac_f32 v126 /*v382*/, v65 /*v321*/, v192 :: v_dual_mul_f32 v128 /*v384*/, v68 /*v324*/, v197
	v_dual_mul_f32 v129 /*v385*/, v70 /*v326*/, v199 :: v_dual_fmac_f32 v127 /*v383*/, v67 /*v323*/, v194
	s_set_vgpr_msb 4                        ;  msbs: dst=0 src0=0 src1=1 src2=0
	v_add_f32_e32 v97, v97, v115 /*v371*/
	s_set_vgpr_msb 1                        ;  msbs: dst=0 src0=1 src1=0 src2=0
	v_dual_mul_f32 v149, v5 /*v261*/, v149 :: v_dual_mul_f32 v151, v7 /*v263*/, v151
	s_set_vgpr_msb 0x41                     ;  msbs: dst=1 src0=1 src1=0 src2=0
	v_dual_fmac_f32 v128 /*v384*/, v69 /*v325*/, v196 :: v_dual_fmac_f32 v129 /*v385*/, v71 /*v327*/, v198
	v_fmac_f32_e32 v130 /*v386*/, v73 /*v329*/, v200
	s_set_vgpr_msb 4                        ;  msbs: dst=0 src0=0 src1=1 src2=0
	v_add_f32_e32 v97, v97, v116 /*v372*/
	s_wait_loadcnt_dscnt 0x904
	s_set_vgpr_msb 1                        ;  msbs: dst=0 src0=1 src1=0 src2=0
	v_dual_mul_f32 v153, v9 /*v265*/, v153 :: v_dual_mul_f32 v122, v74 /*v330*/, v203
	v_dual_fma_f32 v121, v4 /*v260*/, v148, -v149 :: v_dual_mul_f32 v119, v31 /*v287*/, v163
	s_set_vgpr_msb 4                        ;  msbs: dst=0 src0=0 src1=1 src2=0
	v_add_f32_e32 v97, v97, v117 /*v373*/
	s_wait_loadcnt_dscnt 0x803
	s_set_vgpr_msb 1                        ;  msbs: dst=0 src0=1 src1=0 src2=0
	v_dual_mul_f32 v124, v76 /*v332*/, v205 :: v_dual_mul_f32 v101, v78 /*v334*/, v207
	v_fma_f32 v126, v6 /*v262*/, v150, -v151
	v_fmac_f32_e32 v122, v75 /*v331*/, v202
	s_set_vgpr_msb 4                        ;  msbs: dst=0 src0=0 src1=1 src2=0
	v_add_f32_e32 v97, v97, v118 /*v374*/
	s_set_vgpr_msb 1                        ;  msbs: dst=0 src0=1 src1=0 src2=0
	v_dual_mul_f32 v113, v15 /*v271*/, v155 :: v_dual_mul_f32 v111, v17 /*v273*/, v157
	v_fma_f32 v127, v8 /*v264*/, v152, -v153
	v_fmac_f32_e32 v124, v77 /*v333*/, v204
	s_set_vgpr_msb 4                        ;  msbs: dst=0 src0=0 src1=1 src2=0
	v_add_f32_e32 v97, v97, v119 /*v375*/
	s_set_vgpr_msb 1                        ;  msbs: dst=0 src0=1 src1=0 src2=0
	v_dual_fma_f32 v113, v14 /*v270*/, v154, -v113 :: v_dual_fma_f32 v111, v16 /*v272*/, v156, -v111
	s_wait_loadcnt_dscnt 0x702
	v_dual_mul_f32 v105, v80 /*v336*/, v209 :: v_dual_mul_f32 v103, v82 /*v338*/, v211
	s_set_vgpr_msb 4                        ;  msbs: dst=0 src0=0 src1=1 src2=0
	v_add_f32_e32 v97, v97, v120 /*v376*/
	s_set_vgpr_msb 1                        ;  msbs: dst=0 src0=1 src1=0 src2=0
	v_fma_f32 v115, v18 /*v274*/, v158, -v115
	v_fmac_f32_e32 v101, v79 /*v335*/, v206
	v_fma_f32 v117, v20 /*v276*/, v160, -v117
	v_dual_fmac_f32 v105, v81 /*v337*/, v208 :: v_dual_fmac_f32 v103, v83 /*v339*/, v210
	s_set_vgpr_msb 4                        ;  msbs: dst=0 src0=0 src1=1 src2=0
	v_add_f32_e32 v97, v97, v121 /*v377*/
	s_wait_loadcnt_dscnt 0x601
	s_set_vgpr_msb 1                        ;  msbs: dst=0 src0=1 src1=0 src2=0
	v_dual_mul_f32 v109, v84 /*v340*/, v213 :: v_dual_mul_f32 v107, v86 /*v342*/, v215
	v_dual_fma_f32 v119, v30 /*v286*/, v162, -v119 :: v_dual_mul_f32 v123, v88 /*v344*/, v217
	s_wait_loadcnt 0x5
	v_mul_f32_e32 v125, v10 /*v266*/, v219
	s_set_vgpr_msb 4                        ;  msbs: dst=0 src0=0 src1=1 src2=0
	v_add_f32_e32 v97, v97, v122 /*v378*/
	s_set_vgpr_msb 1                        ;  msbs: dst=0 src0=1 src1=0 src2=0
	v_dual_fmac_f32 v109, v85 /*v341*/, v212 :: v_dual_fmac_f32 v107, v87 /*v343*/, v214
	s_wait_loadcnt 0x3
	v_pk_mul_f32 v[130:131], v[26:27] /*v[282:283]*/, v[226:227] op_sel:[1,1] op_sel_hi:[0,1]
	s_set_vgpr_msb 4                        ;  msbs: dst=0 src0=0 src1=1 src2=0
	v_mov_b32_e32 v128, v225
	v_add_f32_e32 v97, v97, v123 /*v379*/
	v_mov_b32_e32 v136, v229
	s_set_vgpr_msb 1                        ;  msbs: dst=0 src0=1 src1=0 src2=0
	v_dual_mul_f32 v129, v87 /*v343*/, v215 :: v_dual_fmac_f32 v123, v89 /*v345*/, v216
	s_set_vgpr_msb 4                        ;  msbs: dst=0 src0=0 src1=1 src2=0
	v_add_f32_e32 v97, v97, v124 /*v380*/
	s_set_vgpr_msb 1                        ;  msbs: dst=0 src0=1 src1=0 src2=0
	v_pk_mul_f32 v[136:137], v[100:101] /*v[356:357]*/, v[136:137] op_sel_hi:[1,0]
	s_set_vgpr_msb 4                        ;  msbs: dst=0 src0=0 src1=1 src2=0
	s_delay_alu instid0(VALU_DEP_2) | instskip(NEXT) | instid1(VALU_DEP_1)
	v_add_f32_e32 v97, v97, v125 /*v381*/
	v_add_f32_e32 v97, v97, v126 /*v382*/
	s_delay_alu instid0(VALU_DEP_1) | instskip(NEXT) | instid1(VALU_DEP_1)
	v_add_f32_e32 v97, v97, v127 /*v383*/
	v_add_f32_e32 v97, v97, v128 /*v384*/
	s_delay_alu instid0(VALU_DEP_1) | instskip(NEXT) | instid1(VALU_DEP_1)
	v_add_f32_e32 v97, v97, v129 /*v385*/
	v_add_f32_e32 v97, v97, v130 /*v386*/
	s_set_vgpr_msb 0                        ;  msbs: dst=0 src0=0 src1=0 src2=0
	v_add_f32_e32 v99, v99, v121
	s_set_vgpr_msb 1                        ;  msbs: dst=0 src0=1 src1=0 src2=0
	v_mul_f32_e32 v121, v33 /*v289*/, v165
	s_set_vgpr_msb 0                        ;  msbs: dst=0 src0=0 src1=0 src2=0
	v_add_f32_e32 v97, v97, v122
	v_add_f32_e32 v99, v99, v126
	s_set_vgpr_msb 1                        ;  msbs: dst=0 src0=1 src1=0 src2=0
	v_dual_mul_f32 v126, v35 /*v291*/, v167 :: v_dual_fma_f32 v121, v32 /*v288*/, v164, -v121
	s_set_vgpr_msb 0                        ;  msbs: dst=0 src0=0 src1=0 src2=0
	s_delay_alu instid0(VALU_DEP_2)
	v_dual_add_f32 v97, v97, v124 :: v_dual_add_f32 v99, v99, v127
	v_mov_b32_e32 v124, v221
	s_set_vgpr_msb 1                        ;  msbs: dst=0 src0=1 src1=0 src2=0
	v_dual_mul_f32 v127, v37 /*v293*/, v169 :: v_dual_fma_f32 v126, v34 /*v290*/, v166, -v126
	s_set_vgpr_msb 0                        ;  msbs: dst=0 src0=0 src1=0 src2=0
	v_add_f32_e32 v97, v97, v101
	v_add_f32_e32 v99, v99, v113
	s_set_vgpr_msb 1                        ;  msbs: dst=0 src0=1 src1=0 src2=0
	v_dual_mul_f32 v113, v43 /*v299*/, v171 :: v_dual_fma_f32 v127, v36 /*v292*/, v168, -v127
	s_set_vgpr_msb 0                        ;  msbs: dst=0 src0=0 src1=0 src2=0
	s_delay_alu instid0(VALU_DEP_2) | instskip(SKIP_1) | instid1(VALU_DEP_2)
	v_dual_add_f32 v97, v97, v105 :: v_dual_add_f32 v99, v99, v111
	s_set_vgpr_msb 1                        ;  msbs: dst=0 src0=1 src1=0 src2=0
	v_dual_mul_f32 v111, v45 /*v301*/, v173 :: v_dual_fma_f32 v113, v42 /*v298*/, v170, -v113
	s_set_vgpr_msb 0                        ;  msbs: dst=0 src0=0 src1=0 src2=0
	s_delay_alu instid0(VALU_DEP_2)
	v_add_f32_e32 v97, v97, v103
	v_add_f32_e32 v99, v99, v115
	s_set_vgpr_msb 1                        ;  msbs: dst=0 src0=1 src1=0 src2=0
	v_dual_mul_f32 v115, v47 /*v303*/, v175 :: v_dual_fma_f32 v111, v44 /*v300*/, v172, -v111
	s_set_vgpr_msb 0                        ;  msbs: dst=0 src0=0 src1=0 src2=0
	v_dual_ashrrev_i32 v103, 31, v102 :: v_dual_add_f32 v97, v97, v109
	v_add_f32_e32 v99, v99, v117
	s_set_vgpr_msb 1                        ;  msbs: dst=0 src0=1 src1=0 src2=0
	v_dual_mul_f32 v117, v49 /*v305*/, v177 :: v_dual_fma_f32 v115, v46 /*v302*/, v174, -v115
	s_set_vgpr_msb 0                        ;  msbs: dst=0 src0=0 src1=0 src2=0
	v_dual_ashrrev_i32 v109, 31, v108 :: v_dual_add_f32 v135, v97, v107
	v_add_f32_e32 v99, v99, v119
	s_set_vgpr_msb 1                        ;  msbs: dst=0 src0=1 src1=0 src2=0
	v_dual_mul_f32 v119, v51 /*v307*/, v179 :: v_dual_fma_f32 v117, v48 /*v304*/, v176, -v117
	v_dual_ashrrev_i32 v97, 31, v96 :: v_dual_ashrrev_i32 v107, 31, v106
	s_set_vgpr_msb 0                        ;  msbs: dst=0 src0=0 src1=0 src2=0
	v_add_f32_e32 v99, v99, v121
	s_set_vgpr_msb 1                        ;  msbs: dst=0 src0=1 src1=0 src2=0
	v_dual_mul_f32 v121, v53 /*v309*/, v181 :: v_dual_fma_f32 v119, v50 /*v306*/, v178, -v119
	s_set_vgpr_msb 0                        ;  msbs: dst=0 src0=0 src1=0 src2=0
	s_delay_alu instid0(VALU_DEP_2) | instskip(SKIP_1) | instid1(VALU_DEP_2)
	v_add_f32_e32 v99, v99, v126
	s_set_vgpr_msb 1                        ;  msbs: dst=0 src0=1 src1=0 src2=0
	v_dual_mul_f32 v126, v55 /*v311*/, v183 :: v_dual_fma_f32 v121, v52 /*v308*/, v180, -v121
	s_set_vgpr_msb 0                        ;  msbs: dst=0 src0=0 src1=0 src2=0
	s_delay_alu instid0(VALU_DEP_2) | instskip(SKIP_1) | instid1(VALU_DEP_2)
	;; [unrolled: 5-line block ×12, first 2 shown]
	v_add_f32_e32 v99, v99, v111
	s_set_vgpr_msb 1                        ;  msbs: dst=0 src0=1 src1=0 src2=0
	v_dual_mul_f32 v111, v77 /*v333*/, v205 :: v_dual_fma_f32 v113, v74 /*v330*/, v202, -v113
	v_mul_f32_e32 v132, v89 /*v345*/, v217
	s_set_vgpr_msb 0                        ;  msbs: dst=0 src0=0 src1=0 src2=0
	v_add_f32_e32 v99, v99, v115
	s_set_vgpr_msb 1                        ;  msbs: dst=0 src0=1 src1=0 src2=0
	v_dual_mul_f32 v115, v79 /*v335*/, v207 :: v_dual_fma_f32 v111, v76 /*v332*/, v204, -v111
	v_fma_f32 v122, v88 /*v344*/, v216, -v132
	v_pk_mul_f32 v[132:133], v[96:97] /*v[352:353]*/, v[124:125] op_sel_hi:[1,0]
	s_set_vgpr_msb 0                        ;  msbs: dst=0 src0=0 src1=0 src2=0
	v_add_f32_e32 v99, v99, v117
	s_set_vgpr_msb 1                        ;  msbs: dst=0 src0=1 src1=0 src2=0
	v_dual_mul_f32 v117, v81 /*v337*/, v209 :: v_dual_fma_f32 v115, v78 /*v334*/, v206, -v115
	v_fmac_f32_e32 v125, v11 /*v267*/, v218
	v_pk_fma_f32 v[138:139], v[12:13] /*v[268:269]*/, v[220:221], v[132:133] op_sel_hi:[1,0,1]
	s_set_vgpr_msb 0                        ;  msbs: dst=0 src0=0 src1=0 src2=0
	v_add_f32_e32 v99, v99, v119
	s_set_vgpr_msb 1                        ;  msbs: dst=0 src0=1 src1=0 src2=0
	v_mul_f32_e32 v119, v83 /*v339*/, v211
	v_pk_fma_f32 v[132:133], v[12:13] /*v[268:269]*/, v[220:221], v[132:133] neg_lo:[0,0,1] neg_hi:[0,0,1]
	s_set_vgpr_msb 0                        ;  msbs: dst=0 src0=0 src1=0 src2=0
	v_mov_b32_e32 v133, v139
	v_add_f32_e32 v99, v99, v121
	s_set_vgpr_msb 1                        ;  msbs: dst=0 src0=1 src1=0 src2=0
	v_dual_mul_f32 v121, v85 /*v341*/, v213 :: v_dual_fma_f32 v101, v82 /*v338*/, v210, -v119
	v_ashrrev_i32_e32 v119, 31, v118
	s_set_vgpr_msb 0                        ;  msbs: dst=0 src0=0 src1=0 src2=0
	v_add_f32_e32 v99, v99, v126
	s_set_vgpr_msb 1                        ;  msbs: dst=0 src0=1 src1=0 src2=0
	v_fma_f32 v105, v84 /*v340*/, v212, -v121
	s_set_vgpr_msb 0                        ;  msbs: dst=0 src0=0 src1=0 src2=0
	s_delay_alu instid0(VALU_DEP_2) | instskip(SKIP_3) | instid1(VALU_DEP_2)
	v_add_f32_e32 v99, v99, v127
	s_set_vgpr_msb 1                        ;  msbs: dst=0 src0=1 src1=0 src2=0
	v_pk_mul_f32 v[126:127], v[22:23] /*v[278:279]*/, v[222:223] op_sel:[1,1] op_sel_hi:[0,1]
	s_set_vgpr_msb 0                        ;  msbs: dst=0 src0=0 src1=0 src2=0
	v_add_f32_e32 v99, v99, v113
	s_set_vgpr_msb 1                        ;  msbs: dst=0 src0=1 src1=0 src2=0
	v_mul_f32_e32 v113, v11 /*v267*/, v219
	s_set_vgpr_msb 0                        ;  msbs: dst=0 src0=0 src1=0 src2=0
	s_delay_alu instid0(VALU_DEP_2)
	v_add_f32_e32 v99, v99, v111
	s_set_vgpr_msb 1                        ;  msbs: dst=0 src0=1 src1=0 src2=0
	v_fma_f32 v111, v80 /*v336*/, v208, -v117
	v_dual_fma_f32 v124, v10 /*v266*/, v218, -v113 :: v_dual_ashrrev_i32 v113, 31, v112
	s_set_vgpr_msb 0                        ;  msbs: dst=0 src0=0 src1=0 src2=0
	v_dual_ashrrev_i32 v117, 31, v116 :: v_dual_add_f32 v99, v99, v115
	s_delay_alu instid0(VALU_DEP_1) | instskip(NEXT) | instid1(VALU_DEP_1)
	v_dual_ashrrev_i32 v115, 31, v114 :: v_dual_add_f32 v99, v99, v111
	v_dual_ashrrev_i32 v111, 31, v110 :: v_dual_add_f32 v99, v99, v101
	s_set_vgpr_msb 1                        ;  msbs: dst=0 src0=1 src1=0 src2=0
	v_fma_f32 v101, v86 /*v342*/, v214, -v129
	v_pk_mul_f32 v[128:129], v[98:99] /*v[354:355]*/, v[128:129] op_sel_hi:[1,0]
	s_set_vgpr_msb 0                        ;  msbs: dst=0 src0=0 src1=0 src2=0
	v_dual_add_f32 v99, v99, v105 :: v_dual_ashrrev_i32 v105, 31, v104
	s_delay_alu instid0(VALU_DEP_1) | instskip(SKIP_1) | instid1(VALU_DEP_2)
	v_dual_add_f32 v134, v99, v101 :: v_dual_ashrrev_i32 v99, 31, v98
	v_ashrrev_i32_e32 v101, 31, v100
	v_pk_add_f32 v[122:123], v[134:135], v[122:123]
	s_set_vgpr_msb 1                        ;  msbs: dst=0 src0=1 src1=0 src2=0
	v_pk_fma_f32 v[134:135], v[22:23] /*v[278:279]*/, v[222:223], v[126:127] op_sel_hi:[1,0,1]
	v_pk_fma_f32 v[126:127], v[22:23] /*v[278:279]*/, v[222:223], v[126:127] neg_lo:[0,0,1] neg_hi:[0,0,1]
	s_set_vgpr_msb 0                        ;  msbs: dst=0 src0=0 src1=0 src2=0
	v_pk_add_f32 v[122:123], v[122:123], v[124:125]
	s_delay_alu instid0(VALU_DEP_3)
	v_mov_b32_e32 v127, v135
	s_set_vgpr_msb 1                        ;  msbs: dst=0 src0=1 src1=0 src2=0
	v_pk_fma_f32 v[134:135], v[24:25] /*v[280:281]*/, v[224:225], v[128:129] op_sel_hi:[1,0,1]
	v_pk_fma_f32 v[128:129], v[24:25] /*v[280:281]*/, v[224:225], v[128:129] neg_lo:[0,0,1] neg_hi:[0,0,1]
	s_wait_loadcnt 0x2
	v_pk_mul_f32 v[124:125], v[38:39] /*v[294:295]*/, v[230:231] op_sel:[1,1] op_sel_hi:[0,1]
	s_set_vgpr_msb 0                        ;  msbs: dst=0 src0=0 src1=0 src2=0
	v_pk_add_f32 v[122:123], v[122:123], v[132:133]
	s_set_vgpr_msb 1                        ;  msbs: dst=0 src0=1 src1=0 src2=0
	v_pk_fma_f32 v[132:133], v[26:27] /*v[282:283]*/, v[226:227], v[130:131] op_sel_hi:[1,0,1]
	s_set_vgpr_msb 0                        ;  msbs: dst=0 src0=0 src1=0 src2=0
	v_mov_b32_e32 v129, v135
	s_set_vgpr_msb 1                        ;  msbs: dst=0 src0=1 src1=0 src2=0
	v_pk_fma_f32 v[130:131], v[26:27] /*v[282:283]*/, v[226:227], v[130:131] neg_lo:[0,0,1] neg_hi:[0,0,1]
	v_pk_fma_f32 v[134:135], v[28:29] /*v[284:285]*/, v[228:229], v[136:137] neg_lo:[0,0,1] neg_hi:[0,0,1]
	s_set_vgpr_msb 0                        ;  msbs: dst=0 src0=0 src1=0 src2=0
	v_pk_add_f32 v[122:123], v[122:123], v[126:127]
	v_dual_mov_b32 v126, v233 :: v_dual_mov_b32 v131, v133
	s_set_vgpr_msb 1                        ;  msbs: dst=0 src0=1 src1=0 src2=0
	v_pk_fma_f32 v[132:133], v[28:29] /*v[284:285]*/, v[228:229], v[136:137] op_sel_hi:[1,0,1]
	s_set_vgpr_msb 0                        ;  msbs: dst=0 src0=0 src1=0 src2=0
	v_pk_add_f32 v[122:123], v[122:123], v[128:129]
	s_set_vgpr_msb 1                        ;  msbs: dst=0 src0=1 src1=0 src2=0
	v_pk_fma_f32 v[128:129], v[38:39] /*v[294:295]*/, v[230:231], v[124:125] op_sel_hi:[1,0,1]
	v_pk_mul_f32 v[126:127], v[102:103] /*v[358:359]*/, v[126:127] op_sel_hi:[1,0]
	s_set_vgpr_msb 0                        ;  msbs: dst=0 src0=0 src1=0 src2=0
	v_mov_b32_e32 v135, v133
	s_set_vgpr_msb 1                        ;  msbs: dst=0 src0=1 src1=0 src2=0
	v_pk_fma_f32 v[124:125], v[38:39] /*v[294:295]*/, v[230:231], v[124:125] neg_lo:[0,0,1] neg_hi:[0,0,1]
	s_set_vgpr_msb 0                        ;  msbs: dst=0 src0=0 src1=0 src2=0
	v_pk_add_f32 v[122:123], v[122:123], v[130:131]
	v_mov_b32_e32 v125, v129
	s_set_vgpr_msb 1                        ;  msbs: dst=0 src0=1 src1=0 src2=0
	v_pk_fma_f32 v[128:129], v[40:41] /*v[296:297]*/, v[232:233], v[126:127] op_sel_hi:[1,0,1]
	s_wait_loadcnt_dscnt 0x100
	s_set_vgpr_msb 5                        ;  msbs: dst=0 src0=1 src1=1 src2=0
	v_pk_mul_f32 v[130:131], v[94:95] /*v[350:351]*/, v[90:91] /*v[346:347]*/ op_sel:[1,1] op_sel_hi:[0,1]
	s_set_vgpr_msb 1                        ;  msbs: dst=0 src0=1 src1=0 src2=0
	v_pk_fma_f32 v[126:127], v[40:41] /*v[296:297]*/, v[232:233], v[126:127] neg_lo:[0,0,1] neg_hi:[0,0,1]
	s_set_vgpr_msb 0                        ;  msbs: dst=0 src0=0 src1=0 src2=0
	v_pk_add_f32 v[122:123], v[122:123], v[134:135]
	v_mov_b32_e32 v127, v129
	s_set_vgpr_msb 5                        ;  msbs: dst=0 src0=1 src1=1 src2=0
	v_pk_fma_f32 v[128:129], v[94:95] /*v[350:351]*/, v[90:91] /*v[346:347]*/, v[130:131] neg_lo:[0,0,1] neg_hi:[0,0,1]
	s_set_vgpr_msb 0                        ;  msbs: dst=0 src0=0 src1=0 src2=0
	v_pk_add_f32 v[122:123], v[122:123], v[124:125]
	s_set_vgpr_msb 5                        ;  msbs: dst=0 src0=1 src1=1 src2=0
	v_pk_fma_f32 v[124:125], v[94:95] /*v[350:351]*/, v[90:91] /*v[346:347]*/, v[130:131] op_sel_hi:[1,0,1]
	s_set_vgpr_msb 0                        ;  msbs: dst=0 src0=0 src1=0 src2=0
	s_delay_alu instid0(VALU_DEP_2) | instskip(NEXT) | instid1(VALU_DEP_2)
	v_pk_add_f32 v[122:123], v[122:123], v[126:127]
	v_mov_b32_e32 v129, v125
	s_delay_alu instid0(VALU_DEP_1) | instskip(SKIP_2) | instid1(VALU_DEP_1)
	v_pk_add_f32 v[122:123], v[122:123], v[128:129]
	s_wait_loadcnt 0x0
	s_set_vgpr_msb 1                        ;  msbs: dst=0 src0=1 src1=0 src2=0
	v_pk_add_f32 v[122:123], v[92:93] /*v[348:349]*/, v[122:123] neg_lo:[0,1] neg_hi:[0,1]
	scratch_store_b64 off, v[122:123], off offset:8
	s_wait_xcnt 0x0
	v_cmpx_ne_u32_e32 0, v0
	s_set_vgpr_msb 0                        ;  msbs: dst=0 src0=0 src1=0 src2=0
	s_cbranch_execz .LBB58_367
; %bb.366:
	scratch_load_b64 v[122:123], off, off
	v_mov_b64_e32 v[124:125], 0
	scratch_store_b64 off, v[124:125], off
	s_wait_loadcnt 0x0
	ds_store_b64 v1, v[122:123]
.LBB58_367:
	s_wait_xcnt 0x0
	s_or_b32 exec_lo, exec_lo, s0
	s_wait_storecnt_dscnt 0x0
	s_barrier_signal -1
	s_barrier_wait -1
	s_clause 0x19
	scratch_load_b128 v[122:125], off, off offset:8
	scratch_load_b128 v[126:129], off, off offset:24
	;; [unrolled: 1-line block ×26, first 2 shown]
	ds_load_2addr_b64 v[226:229], v120 offset0:61 offset1:62
	ds_load_2addr_b64 v[230:233], v120 offset0:63 offset1:64
	;; [unrolled: 1-line block ×4, first 2 shown]
	scratch_load_b128 v[242:245], off, off offset:424
	ds_load_2addr_b64 v[246:249], v120 offset0:69 offset1:70
	ds_load_2addr_b64 v[250:253], v120 offset0:71 offset1:72
	;; [unrolled: 1-line block ×3, first 2 shown]
	s_set_vgpr_msb 64                       ;  msbs: dst=1 src0=0 src1=0 src2=0
	ds_load_2addr_b64 v[2:5] /*v[258:261]*/, v120 offset0:75 offset1:76
	ds_load_2addr_b64 v[6:9] /*v[262:265]*/, v120 offset0:77 offset1:78
	;; [unrolled: 1-line block ×3, first 2 shown]
	scratch_load_b128 v[14:17] /*v[270:273]*/, off, off offset:440
	ds_load_2addr_b64 v[18:21] /*v[274:277]*/, v120 offset0:109 offset1:110
	ds_load_2addr_b64 v[22:25] /*v[278:281]*/, v120 offset0:111 offset1:112
	;; [unrolled: 1-line block ×19, first 2 shown]
	s_clause 0x2
	scratch_load_b128 v[94:97] /*v[350:353]*/, off, off offset:456
	s_set_vgpr_msb 1                        ;  msbs: dst=0 src0=1 src1=0 src2=0
	scratch_load_b64 v[0:1], off, off
	s_and_b32 vcc_lo, exec_lo, s18
	s_wait_dscnt 0x11
	v_dual_mov_b32 v120, v25 /*v281*/ :: v_dual_mov_b32 v121, v24 /*v280*/
	s_wait_dscnt 0x10
	s_set_vgpr_msb 0x41                     ;  msbs: dst=1 src0=1 src1=0 src2=0
	v_dual_mov_b32 v98 /*v354*/, v29 /*v285*/ :: v_dual_mov_b32 v99 /*v355*/, v28 /*v284*/
	s_wait_dscnt 0xd
	v_dual_mov_b32 v100 /*v356*/, v41 /*v297*/ :: v_dual_mov_b32 v101 /*v357*/, v40 /*v296*/
	s_wait_dscnt 0xc
	v_dual_mov_b32 v102 /*v358*/, v45 /*v301*/ :: v_dual_mov_b32 v103 /*v359*/, v44 /*v300*/
	s_wait_loadcnt 0x1d
	s_set_vgpr_msb 64                       ;  msbs: dst=1 src0=0 src1=0 src2=0
	v_dual_mul_f32 v104 /*v360*/, v226, v123 :: v_dual_mul_f32 v106 /*v362*/, v228, v125
	s_set_vgpr_msb 0                        ;  msbs: dst=0 src0=0 src1=0 src2=0
	v_dual_mul_f32 v123, v227, v123 :: v_dual_mul_f32 v125, v229, v125
	s_wait_loadcnt 0x1a
	s_set_vgpr_msb 64                       ;  msbs: dst=1 src0=0 src1=0 src2=0
	v_dual_mul_f32 v112 /*v368*/, v238, v135 :: v_dual_mul_f32 v113 /*v369*/, v240, v137
	s_wait_loadcnt 0x17
	v_dual_mul_f32 v118 /*v374*/, v254, v147 :: v_dual_fmac_f32 v104 /*v360*/, v227, v122
	s_set_vgpr_msb 0                        ;  msbs: dst=0 src0=0 src1=0 src2=0
	v_dual_mul_f32 v135, v239, v135 :: v_dual_fma_f32 v122, v226, v122, -v123
	s_set_vgpr_msb 64                       ;  msbs: dst=1 src0=0 src1=0 src2=0
	v_dual_mul_f32 v108 /*v364*/, v230, v127 :: v_dual_mul_f32 v109 /*v365*/, v232, v129
	s_set_vgpr_msb 0                        ;  msbs: dst=0 src0=0 src1=0 src2=0
	v_dual_mul_f32 v127, v231, v127 :: v_dual_mul_f32 v129, v233, v129
	v_mul_f32_e32 v123, v241, v137
	s_set_vgpr_msb 64                       ;  msbs: dst=1 src0=0 src1=0 src2=0
	v_dual_fmac_f32 v106 /*v362*/, v229, v124 :: v_dual_fmac_f32 v108 /*v364*/, v231, v126
	s_set_vgpr_msb 0                        ;  msbs: dst=0 src0=0 src1=0 src2=0
	v_dual_fma_f32 v124, v228, v124, -v125 :: v_dual_add_f32 v122, 0, v122
	v_dual_mul_f32 v137, v247, v139 :: v_dual_fma_f32 v126, v230, v126, -v127
	s_set_vgpr_msb 64                       ;  msbs: dst=1 src0=0 src1=0 src2=0
	v_dual_mul_f32 v110 /*v366*/, v234, v131 :: v_dual_mul_f32 v111 /*v367*/, v236, v133
	s_set_vgpr_msb 0                        ;  msbs: dst=0 src0=0 src1=0 src2=0
	v_dual_add_f32 v122, v122, v124 :: v_dual_mul_f32 v131, v235, v131
	v_mul_f32_e32 v133, v237, v133
	v_dual_mul_f32 v124, v249, v141 :: v_dual_fma_f32 v127, v232, v128, -v129
	s_delay_alu instid0(VALU_DEP_3)
	v_add_f32_e32 v122, v122, v126
	s_set_vgpr_msb 64                       ;  msbs: dst=1 src0=0 src1=0 src2=0
	v_dual_fmac_f32 v109 /*v365*/, v233, v128 :: v_dual_fmac_f32 v110 /*v366*/, v235, v130
	s_set_vgpr_msb 0                        ;  msbs: dst=0 src0=0 src1=0 src2=0
	v_dual_fma_f32 v128, v234, v130, -v131 :: v_dual_fma_f32 v129, v236, v132, -v133
	v_dual_add_f32 v122, v122, v127 :: v_dual_mul_f32 v127, v253, v145
	v_dual_fma_f32 v130, v238, v134, -v135 :: v_dual_fma_f32 v124, v248, v140, -v124
	v_fma_f32 v123, v240, v136, -v123
	s_delay_alu instid0(VALU_DEP_3) | instskip(NEXT) | instid1(VALU_DEP_4)
	v_dual_add_f32 v122, v122, v128 :: v_dual_mul_f32 v128, v255, v147
	v_dual_fma_f32 v131, v246, v138, -v137 :: v_dual_fma_f32 v127, v252, v144, -v127
	s_delay_alu instid0(VALU_DEP_2)
	v_dual_mul_f32 v126, v251, v143 :: v_dual_add_f32 v122, v122, v129
	s_set_vgpr_msb 64                       ;  msbs: dst=1 src0=0 src1=0 src2=0
	v_dual_fmac_f32 v111 /*v367*/, v237, v132 :: v_dual_fmac_f32 v112 /*v368*/, v239, v134
	s_wait_loadcnt_dscnt 0x600
	s_set_vgpr_msb 1                        ;  msbs: dst=0 src0=1 src1=0 src2=0
	v_mul_f32_e32 v132, v93 /*v349*/, v217
	v_mul_f32_e32 v129, v1 /*v257*/, v149
	s_set_vgpr_msb 0                        ;  msbs: dst=0 src0=0 src1=0 src2=0
	v_add_f32_e32 v122, v122, v130
	v_fma_f32 v128, v254, v146, -v128
	s_set_vgpr_msb 1                        ;  msbs: dst=0 src0=1 src1=0 src2=0
	v_dual_mul_f32 v130, v3 /*v259*/, v151 :: v_dual_fma_f32 v132, v92 /*v348*/, v216, -v132
	s_set_vgpr_msb 0                        ;  msbs: dst=0 src0=0 src1=0 src2=0
	v_fma_f32 v126, v250, v142, -v126
	v_add_f32_e32 v122, v122, v123
	s_set_vgpr_msb 1                        ;  msbs: dst=0 src0=1 src1=0 src2=0
	v_mul_f32_e32 v123, v5 /*v261*/, v153
	s_set_vgpr_msb 0x41                     ;  msbs: dst=1 src0=1 src1=0 src2=0
	v_dual_mul_f32 v145 /*v401*/, v76 /*v332*/, v201 :: v_dual_mul_f32 v146 /*v402*/, v78 /*v334*/, v203
	v_dual_mul_f32 v147 /*v403*/, v80 /*v336*/, v205 :: v_dual_mul_f32 v148 /*v404*/, v82 /*v338*/, v207
	s_set_vgpr_msb 0                        ;  msbs: dst=0 src0=0 src1=0 src2=0
	v_add_f32_e32 v122, v122, v131
	s_set_vgpr_msb 1                        ;  msbs: dst=0 src0=1 src1=0 src2=0
	v_mul_f32_e32 v131, v7 /*v263*/, v155
	s_set_vgpr_msb 0x41                     ;  msbs: dst=1 src0=1 src1=0 src2=0
	v_dual_mul_f32 v149 /*v405*/, v84 /*v340*/, v209 :: v_dual_mul_f32 v150 /*v406*/, v86 /*v342*/, v211
	s_set_vgpr_msb 1                        ;  msbs: dst=0 src0=1 src1=0 src2=0
	v_fma_f32 v129, v0 /*v256*/, v148, -v129
	s_set_vgpr_msb 0                        ;  msbs: dst=0 src0=0 src1=0 src2=0
	v_add_f32_e32 v122, v122, v124
	s_set_vgpr_msb 1                        ;  msbs: dst=0 src0=1 src1=0 src2=0
	v_mul_f32_e32 v124, v9 /*v265*/, v157
	s_set_vgpr_msb 0x41                     ;  msbs: dst=1 src0=1 src1=0 src2=0
	v_dual_fmac_f32 v146 /*v402*/, v79 /*v335*/, v202 :: v_dual_fmac_f32 v147 /*v403*/, v81 /*v337*/, v204
	s_set_vgpr_msb 1                        ;  msbs: dst=0 src0=1 src1=0 src2=0
	v_fma_f32 v130, v2 /*v258*/, v150, -v130
	s_set_vgpr_msb 0                        ;  msbs: dst=0 src0=0 src1=0 src2=0
	v_add_f32_e32 v122, v122, v126
	s_set_vgpr_msb 1                        ;  msbs: dst=0 src0=1 src1=0 src2=0
	v_mul_f32_e32 v126, v11 /*v267*/, v159
	s_set_vgpr_msb 4                        ;  msbs: dst=0 src0=0 src1=1 src2=0
	v_add_f32_e32 v125, 0, v104 /*v360*/
	s_set_vgpr_msb 1                        ;  msbs: dst=0 src0=1 src1=0 src2=0
	v_fma_f32 v123, v4 /*v260*/, v152, -v123
	s_set_vgpr_msb 0x41                     ;  msbs: dst=1 src0=1 src1=0 src2=0
	v_dual_fmac_f32 v148 /*v404*/, v83 /*v339*/, v206 :: v_dual_fmac_f32 v149 /*v405*/, v85 /*v341*/, v208
	s_set_vgpr_msb 0                        ;  msbs: dst=0 src0=0 src1=0 src2=0
	v_add_f32_e32 v122, v122, v127
	s_set_vgpr_msb 1                        ;  msbs: dst=0 src0=1 src1=0 src2=0
	v_dual_mul_f32 v127, v13 /*v269*/, v161 :: v_dual_fma_f32 v131, v6 /*v262*/, v154, -v131
	s_set_vgpr_msb 4                        ;  msbs: dst=0 src0=0 src1=1 src2=0
	v_add_f32_e32 v125, v125, v106 /*v362*/
	s_set_vgpr_msb 0x41                     ;  msbs: dst=1 src0=1 src1=0 src2=0
	v_dual_mul_f32 v151 /*v407*/, v88 /*v344*/, v213 :: v_dual_mul_f32 v152 /*v408*/, v90 /*v346*/, v215
	s_set_vgpr_msb 0                        ;  msbs: dst=0 src0=0 src1=0 src2=0
	v_add_f32_e32 v122, v122, v128
	s_set_vgpr_msb 1                        ;  msbs: dst=0 src0=1 src1=0 src2=0
	v_dual_mul_f32 v128, v31 /*v287*/, v163 :: v_dual_fma_f32 v124, v8 /*v264*/, v156, -v124
	s_set_vgpr_msb 4                        ;  msbs: dst=0 src0=0 src1=1 src2=0
	v_add_f32_e32 v125, v125, v108 /*v364*/
	s_set_vgpr_msb 0x41                     ;  msbs: dst=1 src0=1 src1=0 src2=0
	v_dual_fmac_f32 v150 /*v406*/, v87 /*v343*/, v210 :: v_dual_fmac_f32 v151 /*v407*/, v89 /*v345*/, v212
	s_set_vgpr_msb 0                        ;  msbs: dst=0 src0=0 src1=0 src2=0
	v_add_f32_e32 v122, v122, v129
	s_set_vgpr_msb 1                        ;  msbs: dst=0 src0=1 src1=0 src2=0
	v_dual_mul_f32 v129, v33 /*v289*/, v165 :: v_dual_fma_f32 v126, v10 /*v266*/, v158, -v126
	s_set_vgpr_msb 4                        ;  msbs: dst=0 src0=0 src1=1 src2=0
	v_add_f32_e32 v125, v125, v109 /*v365*/
	s_wait_loadcnt 0x5
	s_set_vgpr_msb 0x41                     ;  msbs: dst=1 src0=1 src1=0 src2=0
	v_dual_mul_f32 v153 /*v409*/, v92 /*v348*/, v217 :: v_dual_mul_f32 v105 /*v361*/, v18 /*v274*/, v219
	s_set_vgpr_msb 0                        ;  msbs: dst=0 src0=0 src1=0 src2=0
	v_add_f32_e32 v122, v122, v130
	s_set_vgpr_msb 1                        ;  msbs: dst=0 src0=1 src1=0 src2=0
	v_dual_mul_f32 v130, v35 /*v291*/, v167 :: v_dual_fma_f32 v127, v12 /*v268*/, v160, -v127
	s_set_vgpr_msb 4                        ;  msbs: dst=0 src0=0 src1=1 src2=0
	v_add_f32_e32 v125, v125, v110 /*v366*/
	s_set_vgpr_msb 1                        ;  msbs: dst=0 src0=1 src1=0 src2=0
	v_fma_f32 v128, v30 /*v286*/, v162, -v128
	s_set_vgpr_msb 0                        ;  msbs: dst=0 src0=0 src1=0 src2=0
	v_add_f32_e32 v122, v122, v123
	s_set_vgpr_msb 1                        ;  msbs: dst=0 src0=1 src1=0 src2=0
	v_mul_f32_e32 v123, v37 /*v293*/, v169
	s_set_vgpr_msb 0x41                     ;  msbs: dst=1 src0=1 src1=0 src2=0
	v_dual_fmac_f32 v152 /*v408*/, v91 /*v347*/, v214 :: v_dual_fmac_f32 v153 /*v409*/, v93 /*v349*/, v216
	s_set_vgpr_msb 1                        ;  msbs: dst=0 src0=1 src1=0 src2=0
	v_fma_f32 v129, v32 /*v288*/, v164, -v129
	s_set_vgpr_msb 0                        ;  msbs: dst=0 src0=0 src1=0 src2=0
	v_add_f32_e32 v122, v122, v131
	s_set_vgpr_msb 1                        ;  msbs: dst=0 src0=1 src1=0 src2=0
	v_mul_f32_e32 v131, v47 /*v303*/, v171
	s_set_vgpr_msb 4                        ;  msbs: dst=0 src0=0 src1=1 src2=0
	v_add_f32_e32 v125, v125, v111 /*v367*/
	s_set_vgpr_msb 64                       ;  msbs: dst=1 src0=0 src1=0 src2=0
	v_dual_mul_f32 v114 /*v370*/, v246, v139 :: v_dual_mul_f32 v115 /*v371*/, v248, v141
	s_set_vgpr_msb 0                        ;  msbs: dst=0 src0=0 src1=0 src2=0
	v_add_f32_e32 v122, v122, v124
	s_set_vgpr_msb 1                        ;  msbs: dst=0 src0=1 src1=0 src2=0
	v_dual_mul_f32 v124, v49 /*v305*/, v173 :: v_dual_fma_f32 v130, v34 /*v290*/, v166, -v130
	s_set_vgpr_msb 64                       ;  msbs: dst=1 src0=0 src1=0 src2=0
	v_dual_fmac_f32 v113 /*v369*/, v241, v136 :: v_dual_fmac_f32 v114 /*v370*/, v247, v138
	s_set_vgpr_msb 0                        ;  msbs: dst=0 src0=0 src1=0 src2=0
	v_add_f32_e32 v122, v122, v126
	s_set_vgpr_msb 1                        ;  msbs: dst=0 src0=1 src1=0 src2=0
	v_dual_mul_f32 v126, v51 /*v307*/, v175 :: v_dual_fma_f32 v123, v36 /*v292*/, v168, -v123
	s_set_vgpr_msb 64                       ;  msbs: dst=1 src0=0 src1=0 src2=0
	v_dual_mul_f32 v116 /*v372*/, v250, v143 :: v_dual_mul_f32 v117 /*v373*/, v252, v145
	s_set_vgpr_msb 0                        ;  msbs: dst=0 src0=0 src1=0 src2=0
	v_add_f32_e32 v122, v122, v127
	s_set_vgpr_msb 1                        ;  msbs: dst=0 src0=1 src1=0 src2=0
	v_dual_mul_f32 v127, v53 /*v309*/, v177 :: v_dual_fma_f32 v131, v46 /*v302*/, v170, -v131
	s_set_vgpr_msb 64                       ;  msbs: dst=1 src0=0 src1=0 src2=0
	v_dual_fmac_f32 v115 /*v371*/, v249, v140 :: v_dual_fmac_f32 v116 /*v372*/, v251, v142
	s_set_vgpr_msb 0                        ;  msbs: dst=0 src0=0 src1=0 src2=0
	v_add_f32_e32 v122, v122, v128
	s_set_vgpr_msb 1                        ;  msbs: dst=0 src0=1 src1=0 src2=0
	v_dual_mul_f32 v128, v55 /*v311*/, v179 :: v_dual_fma_f32 v124, v48 /*v304*/, v172, -v124
	s_set_vgpr_msb 64                       ;  msbs: dst=1 src0=0 src1=0 src2=0
	v_dual_fmac_f32 v117 /*v373*/, v253, v144 :: v_dual_fmac_f32 v118 /*v374*/, v255, v146
	s_set_vgpr_msb 0                        ;  msbs: dst=0 src0=0 src1=0 src2=0
	v_add_f32_e32 v122, v122, v129
	s_set_vgpr_msb 1                        ;  msbs: dst=0 src0=1 src1=0 src2=0
	v_dual_mul_f32 v129, v57 /*v313*/, v181 :: v_dual_fma_f32 v126, v50 /*v306*/, v174, -v126
	s_set_vgpr_msb 0x41                     ;  msbs: dst=1 src0=1 src1=0 src2=0
	v_dual_mul_f32 v119 /*v375*/, v0 /*v256*/, v149 :: v_dual_mul_f32 v120 /*v376*/, v2 /*v258*/, v151
	s_set_vgpr_msb 0                        ;  msbs: dst=0 src0=0 src1=0 src2=0
	v_add_f32_e32 v122, v122, v130
	s_set_vgpr_msb 1                        ;  msbs: dst=0 src0=1 src1=0 src2=0
	v_dual_mul_f32 v130, v59 /*v315*/, v183 :: v_dual_fma_f32 v127, v52 /*v308*/, v176, -v127
	s_set_vgpr_msb 0x41                     ;  msbs: dst=1 src0=1 src1=0 src2=0
	v_dual_mul_f32 v107 /*v363*/, v20 /*v276*/, v221 :: v_dual_fmac_f32 v119 /*v375*/, v1 /*v257*/, v148
	s_set_vgpr_msb 0                        ;  msbs: dst=0 src0=0 src1=0 src2=0
	v_add_f32_e32 v122, v122, v123
	s_set_vgpr_msb 1                        ;  msbs: dst=0 src0=1 src1=0 src2=0
	v_dual_mul_f32 v123, v61 /*v317*/, v185 :: v_dual_fma_f32 v128, v54 /*v310*/, v178, -v128
	s_set_vgpr_msb 0x41                     ;  msbs: dst=1 src0=1 src1=0 src2=0
	v_dual_mul_f32 v121 /*v377*/, v4 /*v260*/, v153 :: v_dual_mul_f32 v122 /*v378*/, v6 /*v262*/, v155
	s_set_vgpr_msb 0                        ;  msbs: dst=0 src0=0 src1=0 src2=0
	v_add_f32_e32 v122, v122, v131
	s_set_vgpr_msb 1                        ;  msbs: dst=0 src0=1 src1=0 src2=0
	v_dual_mul_f32 v131, v63 /*v319*/, v187 :: v_dual_fma_f32 v129, v56 /*v312*/, v180, -v129
	s_set_vgpr_msb 0x41                     ;  msbs: dst=1 src0=1 src1=0 src2=0
	v_dual_fmac_f32 v120 /*v376*/, v3 /*v259*/, v150 :: v_dual_fmac_f32 v121 /*v377*/, v5 /*v261*/, v152
	s_set_vgpr_msb 0                        ;  msbs: dst=0 src0=0 src1=0 src2=0
	v_add_f32_e32 v122, v122, v124
	s_set_vgpr_msb 1                        ;  msbs: dst=0 src0=1 src1=0 src2=0
	v_dual_mul_f32 v124, v65 /*v321*/, v189 :: v_dual_fma_f32 v130, v58 /*v314*/, v182, -v130
	s_set_vgpr_msb 0x41                     ;  msbs: dst=1 src0=1 src1=0 src2=0
	v_dual_mul_f32 v123 /*v379*/, v8 /*v264*/, v157 :: v_dual_mul_f32 v124 /*v380*/, v10 /*v266*/, v159
	s_set_vgpr_msb 0                        ;  msbs: dst=0 src0=0 src1=0 src2=0
	v_add_f32_e32 v122, v122, v126
	s_set_vgpr_msb 1                        ;  msbs: dst=0 src0=1 src1=0 src2=0
	v_dual_mul_f32 v126, v67 /*v323*/, v191 :: v_dual_fma_f32 v123, v60 /*v316*/, v184, -v123
	s_set_vgpr_msb 0x41                     ;  msbs: dst=1 src0=1 src1=0 src2=0
	v_dual_fmac_f32 v122 /*v378*/, v7 /*v263*/, v154 :: v_dual_fmac_f32 v123 /*v379*/, v9 /*v265*/, v156
	;; [unrolled: 12-line block ×4, first 2 shown]
	s_set_vgpr_msb 0                        ;  msbs: dst=0 src0=0 src1=0 src2=0
	v_add_f32_e32 v122, v122, v123
	s_set_vgpr_msb 1                        ;  msbs: dst=0 src0=1 src1=0 src2=0
	v_dual_mul_f32 v123, v77 /*v333*/, v201 :: v_dual_fma_f32 v128, v70 /*v326*/, v194, -v128
	s_set_vgpr_msb 0x41                     ;  msbs: dst=1 src0=1 src1=0 src2=0
	v_dual_mul_f32 v129 /*v385*/, v36 /*v292*/, v169 :: v_dual_mul_f32 v130 /*v386*/, v46 /*v302*/, v171
	s_set_vgpr_msb 0                        ;  msbs: dst=0 src0=0 src1=0 src2=0
	v_add_f32_e32 v122, v122, v131
	s_set_vgpr_msb 1                        ;  msbs: dst=0 src0=1 src1=0 src2=0
	v_dual_mul_f32 v131, v79 /*v335*/, v203 :: v_dual_fma_f32 v129, v72 /*v328*/, v196, -v129
	v_dual_mul_f32 v134, v21 /*v277*/, v221 :: v_dual_fma_f32 v130, v74 /*v330*/, v198, -v130
	s_set_vgpr_msb 0                        ;  msbs: dst=0 src0=0 src1=0 src2=0
	v_add_f32_e32 v122, v122, v124
	s_set_vgpr_msb 1                        ;  msbs: dst=0 src0=1 src1=0 src2=0
	v_mul_f32_e32 v124, v81 /*v337*/, v205
	s_set_vgpr_msb 0x41                     ;  msbs: dst=1 src0=1 src1=0 src2=0
	v_dual_fmac_f32 v128 /*v384*/, v35 /*v291*/, v166 :: v_dual_fmac_f32 v129 /*v385*/, v37 /*v293*/, v168
	s_set_vgpr_msb 1                        ;  msbs: dst=0 src0=1 src1=0 src2=0
	v_fma_f32 v123, v76 /*v332*/, v200, -v123
	s_set_vgpr_msb 0                        ;  msbs: dst=0 src0=0 src1=0 src2=0
	v_add_f32_e32 v122, v122, v126
	s_set_vgpr_msb 1                        ;  msbs: dst=0 src0=1 src1=0 src2=0
	v_mul_f32_e32 v126, v83 /*v339*/, v207
	s_set_vgpr_msb 0x41                     ;  msbs: dst=1 src0=1 src1=0 src2=0
	v_fma_f32 v106 /*v362*/, v20 /*v276*/, v220, -v134
	v_dual_mul_f32 v131 /*v387*/, v48 /*v304*/, v173 :: v_dual_mul_f32 v132 /*v388*/, v50 /*v306*/, v175
	s_set_vgpr_msb 0                        ;  msbs: dst=0 src0=0 src1=0 src2=0
	v_add_f32_e32 v122, v122, v127
	s_set_vgpr_msb 1                        ;  msbs: dst=0 src0=1 src1=0 src2=0
	v_dual_mul_f32 v127, v85 /*v341*/, v209 :: v_dual_fma_f32 v131, v78 /*v334*/, v202, -v131
	v_fma_f32 v126, v82 /*v338*/, v206, -v126
	s_set_vgpr_msb 0x41                     ;  msbs: dst=1 src0=1 src1=0 src2=0
	v_dual_fmac_f32 v130 /*v386*/, v47 /*v303*/, v170 :: v_dual_fmac_f32 v131 /*v387*/, v49 /*v305*/, v172
	s_set_vgpr_msb 0                        ;  msbs: dst=0 src0=0 src1=0 src2=0
	v_add_f32_e32 v122, v122, v128
	s_set_vgpr_msb 1                        ;  msbs: dst=0 src0=1 src1=0 src2=0
	v_mul_f32_e32 v128, v87 /*v343*/, v211
	s_set_vgpr_msb 0x41                     ;  msbs: dst=1 src0=1 src1=0 src2=0
	v_dual_mul_f32 v133 /*v389*/, v52 /*v308*/, v177 :: v_dual_mul_f32 v134 /*v390*/, v54 /*v310*/, v179
	v_fmac_f32_e32 v132 /*v388*/, v51 /*v307*/, v174
	s_set_vgpr_msb 0                        ;  msbs: dst=0 src0=0 src1=0 src2=0
	v_add_f32_e32 v122, v122, v129
	s_set_vgpr_msb 1                        ;  msbs: dst=0 src0=1 src1=0 src2=0
	v_mul_f32_e32 v129, v89 /*v345*/, v213
	s_set_vgpr_msb 0x41                     ;  msbs: dst=1 src0=1 src1=0 src2=0
	v_dual_fmac_f32 v133 /*v389*/, v53 /*v309*/, v176 :: v_dual_mul_f32 v135 /*v391*/, v56 /*v312*/, v181
	v_mul_f32_e32 v136 /*v392*/, v58 /*v314*/, v183
	s_set_vgpr_msb 0                        ;  msbs: dst=0 src0=0 src1=0 src2=0
	v_add_f32_e32 v122, v122, v130
	s_set_vgpr_msb 1                        ;  msbs: dst=0 src0=1 src1=0 src2=0
	v_mul_f32_e32 v130, v91 /*v347*/, v215
	s_set_vgpr_msb 0x41                     ;  msbs: dst=1 src0=1 src1=0 src2=0
	v_dual_fmac_f32 v134 /*v390*/, v55 /*v311*/, v178 :: v_dual_fmac_f32 v135 /*v391*/, v57 /*v313*/, v180
	v_dual_mul_f32 v137 /*v393*/, v60 /*v316*/, v185 :: v_dual_mul_f32 v138 /*v394*/, v62 /*v318*/, v187
	s_set_vgpr_msb 0                        ;  msbs: dst=0 src0=0 src1=0 src2=0
	v_add_f32_e32 v122, v122, v123
	s_set_vgpr_msb 1                        ;  msbs: dst=0 src0=1 src1=0 src2=0
	v_fma_f32 v123, v80 /*v336*/, v204, -v124
	s_set_vgpr_msb 0x41                     ;  msbs: dst=1 src0=1 src1=0 src2=0
	v_dual_fmac_f32 v136 /*v392*/, v59 /*v315*/, v182 :: v_dual_fmac_f32 v137 /*v393*/, v61 /*v317*/, v184
	v_dual_mul_f32 v139 /*v395*/, v64 /*v320*/, v189 :: v_dual_mul_f32 v140 /*v396*/, v66 /*v322*/, v191
	s_set_vgpr_msb 0                        ;  msbs: dst=0 src0=0 src1=0 src2=0
	v_add_f32_e32 v122, v122, v131
	s_set_vgpr_msb 0x41                     ;  msbs: dst=1 src0=1 src1=0 src2=0
	v_dual_fmac_f32 v138 /*v394*/, v63 /*v319*/, v186 :: v_dual_mul_f32 v141 /*v397*/, v68 /*v324*/, v193
	v_dual_mul_f32 v142 /*v398*/, v70 /*v326*/, v195 :: v_dual_fmac_f32 v139 /*v395*/, v65 /*v321*/, v188
	s_set_vgpr_msb 0                        ;  msbs: dst=0 src0=0 src1=0 src2=0
	v_add_f32_e32 v122, v122, v123
	s_set_vgpr_msb 0x41                     ;  msbs: dst=1 src0=1 src1=0 src2=0
	v_dual_fmac_f32 v140 /*v396*/, v67 /*v323*/, v190 :: v_dual_fmac_f32 v141 /*v397*/, v69 /*v325*/, v192
	v_dual_mul_f32 v143 /*v399*/, v72 /*v328*/, v197 :: v_dual_mul_f32 v144 /*v400*/, v74 /*v330*/, v199
	s_set_vgpr_msb 0                        ;  msbs: dst=0 src0=0 src1=0 src2=0
	v_add_f32_e32 v126, v122, v126
	s_wait_loadcnt 0x4
	s_set_vgpr_msb 1                        ;  msbs: dst=0 src0=1 src1=0 src2=0
	v_pk_mul_f32 v[122:123], v[22:23] /*v[278:279]*/, v[222:223] op_sel:[1,1] op_sel_hi:[0,1]
	s_set_vgpr_msb 0x41                     ;  msbs: dst=1 src0=1 src1=0 src2=0
	v_dual_fmac_f32 v142 /*v398*/, v71 /*v327*/, v194 :: v_dual_fmac_f32 v143 /*v399*/, v73 /*v329*/, v196
	v_dual_fmac_f32 v144 /*v400*/, v75 /*v331*/, v198 :: v_dual_fmac_f32 v145 /*v401*/, v77 /*v333*/, v200
	s_set_vgpr_msb 1                        ;  msbs: dst=0 src0=1 src1=0 src2=0
	v_pk_fma_f32 v[134:135], v[22:23] /*v[278:279]*/, v[222:223], v[122:123] op_sel_hi:[1,0,1]
	s_set_vgpr_msb 4                        ;  msbs: dst=0 src0=0 src1=1 src2=0
	v_add_f32_e32 v125, v125, v112 /*v368*/
	s_set_vgpr_msb 1                        ;  msbs: dst=0 src0=1 src1=0 src2=0
	v_pk_fma_f32 v[122:123], v[22:23] /*v[278:279]*/, v[222:223], v[122:123] neg_lo:[0,0,1] neg_hi:[0,0,1]
	v_dual_fma_f32 v128, v86 /*v342*/, v210, -v128 :: v_dual_fma_f32 v129, v88 /*v344*/, v212, -v129
	s_set_vgpr_msb 4                        ;  msbs: dst=0 src0=0 src1=1 src2=0
	v_dual_mov_b32 v123, v135 :: v_dual_add_f32 v125, v125, v113 /*v369*/
	s_set_vgpr_msb 1                        ;  msbs: dst=0 src0=1 src1=0 src2=0
	v_fma_f32 v130, v90 /*v346*/, v214, -v130
	s_set_vgpr_msb 0x41                     ;  msbs: dst=1 src0=1 src1=0 src2=0
	v_dual_fmac_f32 v105 /*v361*/, v19 /*v275*/, v218 :: v_dual_fmac_f32 v107 /*v363*/, v21 /*v277*/, v220
	s_set_vgpr_msb 1                        ;  msbs: dst=0 src0=1 src1=0 src2=0
	v_fma_f32 v127, v84 /*v340*/, v208, -v127
	s_set_vgpr_msb 4                        ;  msbs: dst=0 src0=0 src1=1 src2=0
	v_add_f32_e32 v125, v125, v114 /*v370*/
	s_set_vgpr_msb 0                        ;  msbs: dst=0 src0=0 src1=0 src2=0
	s_delay_alu instid0(VALU_DEP_2) | instskip(SKIP_1) | instid1(VALU_DEP_2)
	v_add_f32_e32 v126, v126, v127
	s_set_vgpr_msb 4                        ;  msbs: dst=0 src0=0 src1=1 src2=0
	v_add_f32_e32 v125, v125, v115 /*v371*/
	s_set_vgpr_msb 0                        ;  msbs: dst=0 src0=0 src1=0 src2=0
	s_delay_alu instid0(VALU_DEP_2) | instskip(SKIP_1) | instid1(VALU_DEP_2)
	v_add_f32_e32 v128, v126, v128
	s_set_vgpr_msb 4                        ;  msbs: dst=0 src0=0 src1=1 src2=0
	v_add_f32_e32 v125, v125, v116 /*v372*/
	s_wait_loadcnt 0x3
	s_set_vgpr_msb 1                        ;  msbs: dst=0 src0=1 src1=0 src2=0
	v_pk_mul_f32 v[126:127], v[26:27] /*v[282:283]*/, v[242:243] op_sel:[1,1] op_sel_hi:[0,1]
	s_set_vgpr_msb 0                        ;  msbs: dst=0 src0=0 src1=0 src2=0
	v_add_f32_e32 v129, v128, v129
	s_set_vgpr_msb 4                        ;  msbs: dst=0 src0=0 src1=1 src2=0
	v_add_f32_e32 v125, v125, v117 /*v373*/
	v_mov_b32_e32 v128, v245
	s_set_vgpr_msb 1                        ;  msbs: dst=0 src0=1 src1=0 src2=0
	v_pk_fma_f32 v[136:137], v[26:27] /*v[282:283]*/, v[242:243], v[126:127] op_sel_hi:[1,0,1]
	v_pk_fma_f32 v[126:127], v[26:27] /*v[282:283]*/, v[242:243], v[126:127] neg_lo:[0,0,1] neg_hi:[0,0,1]
	s_set_vgpr_msb 0                        ;  msbs: dst=0 src0=0 src1=0 src2=0
	v_add_f32_e32 v129, v129, v130
	s_set_vgpr_msb 4                        ;  msbs: dst=0 src0=0 src1=1 src2=0
	v_add_f32_e32 v125, v125, v118 /*v374*/
	v_mov_b32_e32 v127, v137
	s_set_vgpr_msb 0                        ;  msbs: dst=0 src0=0 src1=0 src2=0
	v_add_f32_e32 v132, v129, v132
	s_set_vgpr_msb 4                        ;  msbs: dst=0 src0=0 src1=1 src2=0
	v_add_f32_e32 v125, v125, v119 /*v375*/
	s_set_vgpr_msb 1                        ;  msbs: dst=0 src0=1 src1=0 src2=0
	v_pk_mul_f32 v[128:129], v[98:99] /*v[354:355]*/, v[128:129] op_sel_hi:[1,0]
	s_set_vgpr_msb 4                        ;  msbs: dst=0 src0=0 src1=1 src2=0
	s_delay_alu instid0(VALU_DEP_2) | instskip(NEXT) | instid1(VALU_DEP_1)
	v_add_f32_e32 v125, v125, v120 /*v376*/
	v_add_f32_e32 v125, v125, v121 /*v377*/
	s_delay_alu instid0(VALU_DEP_1) | instskip(NEXT) | instid1(VALU_DEP_1)
	v_add_f32_e32 v125, v125, v122 /*v378*/
	v_add_f32_e32 v125, v125, v123 /*v379*/
	s_delay_alu instid0(VALU_DEP_1) | instskip(NEXT) | instid1(VALU_DEP_1)
	;; [unrolled: 3-line block ×12, first 2 shown]
	v_add_f32_e32 v125, v125, v144 /*v400*/
	v_add_f32_e32 v125, v125, v145 /*v401*/
	s_delay_alu instid0(VALU_DEP_1) | instskip(SKIP_3) | instid1(VALU_DEP_2)
	v_add_f32_e32 v124, v125, v146 /*v402*/
	s_set_vgpr_msb 1                        ;  msbs: dst=0 src0=1 src1=0 src2=0
	v_mul_f32_e32 v125, v19 /*v275*/, v219
	s_set_vgpr_msb 4                        ;  msbs: dst=0 src0=0 src1=1 src2=0
	v_add_f32_e32 v124, v124, v147 /*v403*/
	s_set_vgpr_msb 0x41                     ;  msbs: dst=1 src0=1 src1=0 src2=0
	s_delay_alu instid0(VALU_DEP_2) | instskip(SKIP_1) | instid1(VALU_DEP_2)
	v_fma_f32 v104 /*v360*/, v18 /*v274*/, v218, -v125
	s_set_vgpr_msb 4                        ;  msbs: dst=0 src0=0 src1=1 src2=0
	v_add_f32_e32 v124, v124, v148 /*v404*/
	s_delay_alu instid0(VALU_DEP_1) | instskip(NEXT) | instid1(VALU_DEP_1)
	v_dual_add_f32 v131, v124, v149 /*v405*/ :: v_dual_mov_b32 v124, v225
	v_add_f32_e32 v131, v131, v150 /*v406*/
	s_set_vgpr_msb 0                        ;  msbs: dst=0 src0=0 src1=0 src2=0
	s_delay_alu instid0(VALU_DEP_2) | instskip(SKIP_1) | instid1(VALU_DEP_2)
	v_pk_mul_f32 v[120:121], v[120:121], v[124:125] op_sel_hi:[1,0]
	s_set_vgpr_msb 4                        ;  msbs: dst=0 src0=0 src1=1 src2=0
	v_add_f32_e32 v131, v131, v151 /*v407*/
	s_set_vgpr_msb 1                        ;  msbs: dst=0 src0=1 src1=0 src2=0
	s_delay_alu instid0(VALU_DEP_2) | instskip(SKIP_3) | instid1(VALU_DEP_3)
	v_pk_fma_f32 v[134:135], v[24:25] /*v[280:281]*/, v[224:225], v[120:121] op_sel_hi:[1,0,1]
	v_pk_fma_f32 v[120:121], v[24:25] /*v[280:281]*/, v[224:225], v[120:121] neg_lo:[0,0,1] neg_hi:[0,0,1]
	s_set_vgpr_msb 4                        ;  msbs: dst=0 src0=0 src1=1 src2=0
	v_add_f32_e32 v133, v131, v152 /*v408*/
	v_mov_b32_e32 v121, v135
	s_wait_loadcnt 0x2
	s_set_vgpr_msb 5                        ;  msbs: dst=0 src0=1 src1=1 src2=0
	v_pk_mul_f32 v[130:131], v[38:39] /*v[294:295]*/, v[14:15] /*v[270:271]*/ op_sel:[1,1] op_sel_hi:[0,1]
	s_set_vgpr_msb 1                        ;  msbs: dst=0 src0=1 src1=0 src2=0
	v_pk_fma_f32 v[134:135], v[28:29] /*v[284:285]*/, v[244:245], v[128:129] op_sel_hi:[1,0,1]
	v_pk_fma_f32 v[128:129], v[28:29] /*v[284:285]*/, v[244:245], v[128:129] neg_lo:[0,0,1] neg_hi:[0,0,1]
	s_set_vgpr_msb 4                        ;  msbs: dst=0 src0=0 src1=1 src2=0
	s_delay_alu instid0(VALU_DEP_2) | instskip(NEXT) | instid1(VALU_DEP_1)
	v_dual_add_f32 v133, v133, v153 /*v409*/ :: v_dual_mov_b32 v129, v135
	v_pk_add_f32 v[124:125], v[132:133], v[104:105] /*v[360:361]*/
	s_set_vgpr_msb 1                        ;  msbs: dst=0 src0=1 src1=0 src2=0
	v_mov_b32_e32 v132, v17 /*v273*/
	s_set_vgpr_msb 4                        ;  msbs: dst=0 src0=0 src1=1 src2=0
	s_delay_alu instid0(VALU_DEP_2) | instskip(SKIP_1) | instid1(VALU_DEP_2)
	v_pk_add_f32 v[124:125], v[124:125], v[106:107] /*v[362:363]*/
	s_set_vgpr_msb 1                        ;  msbs: dst=0 src0=1 src1=0 src2=0
	v_pk_mul_f32 v[132:133], v[100:101] /*v[356:357]*/, v[132:133] op_sel_hi:[1,0]
	s_set_vgpr_msb 0                        ;  msbs: dst=0 src0=0 src1=0 src2=0
	s_delay_alu instid0(VALU_DEP_2)
	v_pk_add_f32 v[122:123], v[124:125], v[122:123]
	s_wait_loadcnt 0x1
	s_set_vgpr_msb 5                        ;  msbs: dst=0 src0=1 src1=1 src2=0
	v_pk_mul_f32 v[124:125], v[42:43] /*v[298:299]*/, v[94:95] /*v[350:351]*/ op_sel:[1,1] op_sel_hi:[0,1]
	s_set_vgpr_msb 0                        ;  msbs: dst=0 src0=0 src1=0 src2=0
	v_pk_add_f32 v[120:121], v[122:123], v[120:121]
	s_set_vgpr_msb 5                        ;  msbs: dst=0 src0=1 src1=1 src2=0
	v_pk_fma_f32 v[122:123], v[38:39] /*v[294:295]*/, v[14:15] /*v[270:271]*/, v[130:131] op_sel_hi:[1,0,1]
	v_mov_b32_e32 v122, v97 /*v353*/
	s_set_vgpr_msb 0                        ;  msbs: dst=0 src0=0 src1=0 src2=0
	v_pk_add_f32 v[120:121], v[120:121], v[126:127]
	s_set_vgpr_msb 5                        ;  msbs: dst=0 src0=1 src1=1 src2=0
	v_pk_fma_f32 v[126:127], v[38:39] /*v[294:295]*/, v[14:15] /*v[270:271]*/, v[130:131] neg_lo:[0,0,1] neg_hi:[0,0,1]
	s_set_vgpr_msb 0                        ;  msbs: dst=0 src0=0 src1=0 src2=0
	v_mov_b32_e32 v127, v123
	s_set_vgpr_msb 5                        ;  msbs: dst=0 src0=1 src1=1 src2=0
	v_pk_fma_f32 v[130:131], v[40:41] /*v[296:297]*/, v[16:17] /*v[272:273]*/, v[132:133] op_sel_hi:[1,0,1]
	v_pk_fma_f32 v[132:133], v[40:41] /*v[296:297]*/, v[16:17] /*v[272:273]*/, v[132:133] neg_lo:[0,0,1] neg_hi:[0,0,1]
	s_set_vgpr_msb 0                        ;  msbs: dst=0 src0=0 src1=0 src2=0
	v_pk_add_f32 v[120:121], v[120:121], v[128:129]
	s_set_vgpr_msb 5                        ;  msbs: dst=0 src0=1 src1=1 src2=0
	v_pk_fma_f32 v[128:129], v[42:43] /*v[298:299]*/, v[94:95] /*v[350:351]*/, v[124:125] op_sel_hi:[1,0,1]
	s_set_vgpr_msb 1                        ;  msbs: dst=0 src0=1 src1=0 src2=0
	v_pk_mul_f32 v[122:123], v[102:103] /*v[358:359]*/, v[122:123] op_sel_hi:[1,0]
	s_set_vgpr_msb 0                        ;  msbs: dst=0 src0=0 src1=0 src2=0
	v_mov_b32_e32 v133, v131
	s_set_vgpr_msb 5                        ;  msbs: dst=0 src0=1 src1=1 src2=0
	v_pk_fma_f32 v[124:125], v[42:43] /*v[298:299]*/, v[94:95] /*v[350:351]*/, v[124:125] neg_lo:[0,0,1] neg_hi:[0,0,1]
	s_set_vgpr_msb 0                        ;  msbs: dst=0 src0=0 src1=0 src2=0
	v_pk_add_f32 v[120:121], v[120:121], v[126:127]
	v_mov_b32_e32 v125, v129
	s_set_vgpr_msb 5                        ;  msbs: dst=0 src0=1 src1=1 src2=0
	v_pk_fma_f32 v[126:127], v[44:45] /*v[300:301]*/, v[96:97] /*v[352:353]*/, v[122:123] op_sel_hi:[1,0,1]
	v_pk_fma_f32 v[122:123], v[44:45] /*v[300:301]*/, v[96:97] /*v[352:353]*/, v[122:123] neg_lo:[0,0,1] neg_hi:[0,0,1]
	s_set_vgpr_msb 0                        ;  msbs: dst=0 src0=0 src1=0 src2=0
	v_pk_add_f32 v[120:121], v[120:121], v[132:133]
	s_delay_alu instid0(VALU_DEP_3) | instskip(NEXT) | instid1(VALU_DEP_2)
	v_mov_b32_e32 v123, v127
	v_pk_add_f32 v[120:121], v[120:121], v[124:125]
	s_delay_alu instid0(VALU_DEP_1) | instskip(SKIP_1) | instid1(VALU_DEP_1)
	v_pk_add_f32 v[120:121], v[120:121], v[122:123]
	s_wait_loadcnt 0x0
	v_pk_add_f32 v[0:1], v[0:1], v[120:121] neg_lo:[0,1] neg_hi:[0,1]
	scratch_store_b64 off, v[0:1], off
	s_cbranch_vccz .LBB58_484
; %bb.368:
	s_wait_xcnt 0x0
	v_mov_b32_e32 v0, 0
	global_load_b32 v1, v0, s[2:3] offset:228
	s_wait_loadcnt 0x0
	v_cmp_ne_u32_e32 vcc_lo, 58, v1
	s_cbranch_vccz .LBB58_370
; %bb.369:
	v_lshlrev_b32_e32 v1, 3, v1
	scratch_load_b64 v[120:121], v1, off offset:-8
	scratch_load_b64 v[122:123], off, off offset:456
	s_wait_loadcnt 0x1
	scratch_store_b64 off, v[120:121], off offset:456
	s_wait_loadcnt 0x0
	scratch_store_b64 v1, v[122:123], off offset:-8
.LBB58_370:
	global_load_b32 v0, v0, s[2:3] offset:224
	s_wait_loadcnt 0x0
	v_cmp_eq_u32_e32 vcc_lo, 57, v0
	s_cbranch_vccnz .LBB58_372
; %bb.371:
	s_wait_xcnt 0x0
	v_lshlrev_b32_e32 v0, 3, v0
	s_delay_alu instid0(VALU_DEP_1)
	v_mov_b32_e32 v122, v0
	scratch_load_b64 v[0:1], v122, off offset:-8
	scratch_load_b64 v[120:121], off, off offset:448
	s_wait_loadcnt 0x1
	scratch_store_b64 off, v[0:1], off offset:448
	s_wait_loadcnt 0x0
	scratch_store_b64 v122, v[120:121], off offset:-8
.LBB58_372:
	s_wait_xcnt 0x0
	v_mov_b32_e32 v0, 0
	global_load_b32 v1, v0, s[2:3] offset:220
	s_wait_loadcnt 0x0
	v_cmp_eq_u32_e32 vcc_lo, 56, v1
	s_cbranch_vccnz .LBB58_374
; %bb.373:
	v_lshlrev_b32_e32 v1, 3, v1
	scratch_load_b64 v[120:121], v1, off offset:-8
	scratch_load_b64 v[122:123], off, off offset:440
	s_wait_loadcnt 0x1
	scratch_store_b64 off, v[120:121], off offset:440
	s_wait_loadcnt 0x0
	scratch_store_b64 v1, v[122:123], off offset:-8
.LBB58_374:
	global_load_b32 v0, v0, s[2:3] offset:216
	s_wait_loadcnt 0x0
	v_cmp_eq_u32_e32 vcc_lo, 55, v0
	s_cbranch_vccnz .LBB58_376
; %bb.375:
	s_wait_xcnt 0x0
	v_lshlrev_b32_e32 v0, 3, v0
	s_delay_alu instid0(VALU_DEP_1)
	v_mov_b32_e32 v122, v0
	scratch_load_b64 v[0:1], v122, off offset:-8
	scratch_load_b64 v[120:121], off, off offset:432
	s_wait_loadcnt 0x1
	scratch_store_b64 off, v[0:1], off offset:432
	s_wait_loadcnt 0x0
	scratch_store_b64 v122, v[120:121], off offset:-8
.LBB58_376:
	s_wait_xcnt 0x0
	v_mov_b32_e32 v0, 0
	global_load_b32 v1, v0, s[2:3] offset:212
	s_wait_loadcnt 0x0
	v_cmp_eq_u32_e32 vcc_lo, 54, v1
	s_cbranch_vccnz .LBB58_378
; %bb.377:
	v_lshlrev_b32_e32 v1, 3, v1
	scratch_load_b64 v[120:121], v1, off offset:-8
	scratch_load_b64 v[122:123], off, off offset:424
	s_wait_loadcnt 0x1
	scratch_store_b64 off, v[120:121], off offset:424
	s_wait_loadcnt 0x0
	scratch_store_b64 v1, v[122:123], off offset:-8
.LBB58_378:
	;; [unrolled: 31-line block ×28, first 2 shown]
	global_load_b32 v120, v0, s[2:3]
	scratch_load_b64 v[0:1], off, off
	s_wait_loadcnt 0x1
	v_cmp_eq_u32_e32 vcc_lo, 1, v120
	s_cbranch_vccnz .LBB58_484
; %bb.483:
	v_lshlrev_b32_e32 v120, 3, v120
	s_delay_alu instid0(VALU_DEP_1)
	v_mov_b32_e32 v122, v120
	scratch_load_b64 v[120:121], v122, off offset:-8
	s_wait_loadcnt 0x0
	scratch_store_b64 off, v[120:121], off
	scratch_store_b64 v122, v[0:1], off offset:-8
	scratch_load_b64 v[0:1], off, off
.LBB58_484:
	v_lshl_add_u64 v[120:121], v[6:7], 3, s[4:5]
	v_lshl_add_u64 v[122:123], v[8:9], 3, s[4:5]
	;; [unrolled: 1-line block ×4, first 2 shown]
	s_clause 0x1c
	scratch_load_b128 v[116:119], off, off offset:8
	scratch_load_b128 v[124:127], off, off offset:24
	scratch_load_b128 v[128:131], off, off offset:40
	scratch_load_b128 v[132:135], off, off offset:56
	scratch_load_b128 v[136:139], off, off offset:72
	scratch_load_b128 v[140:143], off, off offset:88
	scratch_load_b128 v[144:147], off, off offset:104
	scratch_load_b128 v[148:151], off, off offset:120
	scratch_load_b128 v[152:155], off, off offset:136
	scratch_load_b128 v[156:159], off, off offset:152
	scratch_load_b128 v[160:163], off, off offset:168
	scratch_load_b128 v[164:167], off, off offset:184
	scratch_load_b128 v[168:171], off, off offset:200
	scratch_load_b128 v[172:175], off, off offset:216
	scratch_load_b128 v[176:179], off, off offset:232
	scratch_load_b128 v[180:183], off, off offset:248
	scratch_load_b128 v[184:187], off, off offset:264
	scratch_load_b128 v[188:191], off, off offset:280
	scratch_load_b128 v[192:195], off, off offset:296
	scratch_load_b128 v[196:199], off, off offset:312
	scratch_load_b128 v[200:203], off, off offset:328
	scratch_load_b128 v[204:207], off, off offset:344
	scratch_load_b128 v[208:211], off, off offset:360
	scratch_load_b128 v[212:215], off, off offset:376
	scratch_load_b128 v[216:219], off, off offset:392
	scratch_load_b128 v[220:223], off, off offset:408
	scratch_load_b128 v[224:227], off, off offset:424
	scratch_load_b128 v[228:231], off, off offset:440
	scratch_load_b128 v[232:235], off, off offset:456
	v_lshl_add_u64 v[10:11], v[10:11], 3, s[4:5]
	v_lshl_add_u64 v[12:13], v[12:13], 3, s[4:5]
	;; [unrolled: 1-line block ×53, first 2 shown]
	s_wait_loadcnt 0x1d
	global_store_b64 v[2:3], v[0:1], off
	s_wait_loadcnt 0x1c
	s_clause 0x1
	global_store_b64 v[4:5], v[116:117], off
	global_store_b64 v[120:121], v[118:119], off
	s_wait_loadcnt 0x1b
	s_clause 0x1
	global_store_b64 v[122:123], v[124:125], off
	global_store_b64 v[10:11], v[126:127], off
	s_wait_loadcnt 0x1a
	s_clause 0x1
	global_store_b64 v[12:13], v[128:129], off
	global_store_b64 v[14:15], v[130:131], off
	s_wait_loadcnt 0x19
	s_clause 0x1
	global_store_b64 v[16:17], v[132:133], off
	global_store_b64 v[18:19], v[134:135], off
	s_wait_loadcnt 0x18
	s_clause 0x1
	global_store_b64 v[20:21], v[136:137], off
	global_store_b64 v[22:23], v[138:139], off
	s_wait_loadcnt 0x17
	s_clause 0x1
	global_store_b64 v[24:25], v[140:141], off
	global_store_b64 v[26:27], v[142:143], off
	s_wait_loadcnt 0x16
	s_clause 0x1
	global_store_b64 v[28:29], v[144:145], off
	global_store_b64 v[30:31], v[146:147], off
	s_wait_loadcnt 0x15
	s_clause 0x1
	global_store_b64 v[32:33], v[148:149], off
	global_store_b64 v[34:35], v[150:151], off
	s_wait_loadcnt 0x14
	s_clause 0x1
	global_store_b64 v[36:37], v[152:153], off
	global_store_b64 v[38:39], v[154:155], off
	s_wait_loadcnt 0x13
	s_clause 0x1
	global_store_b64 v[40:41], v[156:157], off
	global_store_b64 v[42:43], v[158:159], off
	s_wait_loadcnt 0x12
	s_clause 0x1
	global_store_b64 v[44:45], v[160:161], off
	global_store_b64 v[46:47], v[162:163], off
	s_wait_loadcnt 0x11
	s_clause 0x1
	global_store_b64 v[48:49], v[164:165], off
	global_store_b64 v[50:51], v[166:167], off
	s_wait_loadcnt 0x10
	s_clause 0x1
	global_store_b64 v[52:53], v[168:169], off
	global_store_b64 v[54:55], v[170:171], off
	s_wait_loadcnt 0xf
	s_clause 0x1
	global_store_b64 v[56:57], v[172:173], off
	global_store_b64 v[58:59], v[174:175], off
	s_wait_loadcnt 0xe
	s_clause 0x1
	global_store_b64 v[60:61], v[176:177], off
	global_store_b64 v[62:63], v[178:179], off
	s_wait_loadcnt 0xd
	s_clause 0x1
	global_store_b64 v[64:65], v[180:181], off
	global_store_b64 v[66:67], v[182:183], off
	s_wait_loadcnt 0xc
	s_clause 0x1
	global_store_b64 v[68:69], v[184:185], off
	global_store_b64 v[70:71], v[186:187], off
	s_wait_loadcnt 0xb
	s_clause 0x1
	global_store_b64 v[72:73], v[188:189], off
	global_store_b64 v[74:75], v[190:191], off
	s_wait_loadcnt 0xa
	s_clause 0x1
	global_store_b64 v[76:77], v[192:193], off
	global_store_b64 v[78:79], v[194:195], off
	s_wait_loadcnt 0x9
	s_clause 0x1
	global_store_b64 v[80:81], v[196:197], off
	global_store_b64 v[82:83], v[198:199], off
	s_wait_loadcnt 0x8
	s_clause 0x1
	global_store_b64 v[84:85], v[200:201], off
	global_store_b64 v[86:87], v[202:203], off
	s_wait_loadcnt 0x7
	s_clause 0x1
	global_store_b64 v[88:89], v[204:205], off
	global_store_b64 v[90:91], v[206:207], off
	s_wait_loadcnt 0x6
	s_clause 0x1
	global_store_b64 v[92:93], v[208:209], off
	global_store_b64 v[94:95], v[210:211], off
	s_wait_loadcnt 0x5
	s_clause 0x1
	global_store_b64 v[96:97], v[212:213], off
	global_store_b64 v[98:99], v[214:215], off
	s_wait_loadcnt 0x4
	s_clause 0x1
	global_store_b64 v[100:101], v[216:217], off
	global_store_b64 v[102:103], v[218:219], off
	s_wait_loadcnt 0x3
	s_clause 0x1
	global_store_b64 v[104:105], v[220:221], off
	global_store_b64 v[106:107], v[222:223], off
	s_wait_loadcnt 0x2
	s_clause 0x1
	global_store_b64 v[108:109], v[224:225], off
	global_store_b64 v[110:111], v[226:227], off
	s_wait_loadcnt 0x1
	s_clause 0x1
	global_store_b64 v[112:113], v[228:229], off
	global_store_b64 v[114:115], v[230:231], off
	s_wait_loadcnt 0x0
	s_clause 0x1
	global_store_b64 v[6:7], v[232:233], off
	global_store_b64 v[8:9], v[234:235], off
	s_sendmsg sendmsg(MSG_DEALLOC_VGPRS)
	s_endpgm
	.section	.rodata,"a",@progbits
	.p2align	6, 0x0
	.amdhsa_kernel _ZN9rocsolver6v33100L18getri_kernel_smallILi59E19rocblas_complex_numIfEPS3_EEvT1_iilPiilS6_bb
		.amdhsa_group_segment_fixed_size 952
		.amdhsa_private_segment_fixed_size 480
		.amdhsa_kernarg_size 60
		.amdhsa_user_sgpr_count 2
		.amdhsa_user_sgpr_dispatch_ptr 0
		.amdhsa_user_sgpr_queue_ptr 0
		.amdhsa_user_sgpr_kernarg_segment_ptr 1
		.amdhsa_user_sgpr_dispatch_id 0
		.amdhsa_user_sgpr_kernarg_preload_length 0
		.amdhsa_user_sgpr_kernarg_preload_offset 0
		.amdhsa_user_sgpr_private_segment_size 0
		.amdhsa_wavefront_size32 1
		.amdhsa_uses_dynamic_stack 0
		.amdhsa_enable_private_segment 1
		.amdhsa_system_sgpr_workgroup_id_x 1
		.amdhsa_system_sgpr_workgroup_id_y 0
		.amdhsa_system_sgpr_workgroup_id_z 0
		.amdhsa_system_sgpr_workgroup_info 0
		.amdhsa_system_vgpr_workitem_id 0
		.amdhsa_next_free_vgpr 410
		.amdhsa_next_free_sgpr 19
		.amdhsa_named_barrier_count 0
		.amdhsa_reserve_vcc 1
		.amdhsa_float_round_mode_32 0
		.amdhsa_float_round_mode_16_64 0
		.amdhsa_float_denorm_mode_32 3
		.amdhsa_float_denorm_mode_16_64 3
		.amdhsa_fp16_overflow 0
		.amdhsa_memory_ordered 1
		.amdhsa_forward_progress 1
		.amdhsa_inst_pref_size 255
		.amdhsa_round_robin_scheduling 0
		.amdhsa_exception_fp_ieee_invalid_op 0
		.amdhsa_exception_fp_denorm_src 0
		.amdhsa_exception_fp_ieee_div_zero 0
		.amdhsa_exception_fp_ieee_overflow 0
		.amdhsa_exception_fp_ieee_underflow 0
		.amdhsa_exception_fp_ieee_inexact 0
		.amdhsa_exception_int_div_zero 0
	.end_amdhsa_kernel
	.section	.text._ZN9rocsolver6v33100L18getri_kernel_smallILi59E19rocblas_complex_numIfEPS3_EEvT1_iilPiilS6_bb,"axG",@progbits,_ZN9rocsolver6v33100L18getri_kernel_smallILi59E19rocblas_complex_numIfEPS3_EEvT1_iilPiilS6_bb,comdat
.Lfunc_end58:
	.size	_ZN9rocsolver6v33100L18getri_kernel_smallILi59E19rocblas_complex_numIfEPS3_EEvT1_iilPiilS6_bb, .Lfunc_end58-_ZN9rocsolver6v33100L18getri_kernel_smallILi59E19rocblas_complex_numIfEPS3_EEvT1_iilPiilS6_bb
                                        ; -- End function
	.set _ZN9rocsolver6v33100L18getri_kernel_smallILi59E19rocblas_complex_numIfEPS3_EEvT1_iilPiilS6_bb.num_vgpr, 410
	.set _ZN9rocsolver6v33100L18getri_kernel_smallILi59E19rocblas_complex_numIfEPS3_EEvT1_iilPiilS6_bb.num_agpr, 0
	.set _ZN9rocsolver6v33100L18getri_kernel_smallILi59E19rocblas_complex_numIfEPS3_EEvT1_iilPiilS6_bb.numbered_sgpr, 19
	.set _ZN9rocsolver6v33100L18getri_kernel_smallILi59E19rocblas_complex_numIfEPS3_EEvT1_iilPiilS6_bb.num_named_barrier, 0
	.set _ZN9rocsolver6v33100L18getri_kernel_smallILi59E19rocblas_complex_numIfEPS3_EEvT1_iilPiilS6_bb.private_seg_size, 480
	.set _ZN9rocsolver6v33100L18getri_kernel_smallILi59E19rocblas_complex_numIfEPS3_EEvT1_iilPiilS6_bb.uses_vcc, 1
	.set _ZN9rocsolver6v33100L18getri_kernel_smallILi59E19rocblas_complex_numIfEPS3_EEvT1_iilPiilS6_bb.uses_flat_scratch, 1
	.set _ZN9rocsolver6v33100L18getri_kernel_smallILi59E19rocblas_complex_numIfEPS3_EEvT1_iilPiilS6_bb.has_dyn_sized_stack, 0
	.set _ZN9rocsolver6v33100L18getri_kernel_smallILi59E19rocblas_complex_numIfEPS3_EEvT1_iilPiilS6_bb.has_recursion, 0
	.set _ZN9rocsolver6v33100L18getri_kernel_smallILi59E19rocblas_complex_numIfEPS3_EEvT1_iilPiilS6_bb.has_indirect_call, 0
	.section	.AMDGPU.csdata,"",@progbits
; Kernel info:
; codeLenInByte = 126932
; TotalNumSgprs: 21
; NumVgprs: 410
; ScratchSize: 480
; MemoryBound: 0
; FloatMode: 240
; IeeeMode: 1
; LDSByteSize: 952 bytes/workgroup (compile time only)
; SGPRBlocks: 0
; VGPRBlocks: 25
; NumSGPRsForWavesPerEU: 21
; NumVGPRsForWavesPerEU: 410
; NamedBarCnt: 0
; Occupancy: 2
; WaveLimiterHint : 1
; COMPUTE_PGM_RSRC2:SCRATCH_EN: 1
; COMPUTE_PGM_RSRC2:USER_SGPR: 2
; COMPUTE_PGM_RSRC2:TRAP_HANDLER: 0
; COMPUTE_PGM_RSRC2:TGID_X_EN: 1
; COMPUTE_PGM_RSRC2:TGID_Y_EN: 0
; COMPUTE_PGM_RSRC2:TGID_Z_EN: 0
; COMPUTE_PGM_RSRC2:TIDIG_COMP_CNT: 0
	.section	.text._ZN9rocsolver6v33100L18getri_kernel_smallILi60E19rocblas_complex_numIfEPS3_EEvT1_iilPiilS6_bb,"axG",@progbits,_ZN9rocsolver6v33100L18getri_kernel_smallILi60E19rocblas_complex_numIfEPS3_EEvT1_iilPiilS6_bb,comdat
	.globl	_ZN9rocsolver6v33100L18getri_kernel_smallILi60E19rocblas_complex_numIfEPS3_EEvT1_iilPiilS6_bb ; -- Begin function _ZN9rocsolver6v33100L18getri_kernel_smallILi60E19rocblas_complex_numIfEPS3_EEvT1_iilPiilS6_bb
	.p2align	8
	.type	_ZN9rocsolver6v33100L18getri_kernel_smallILi60E19rocblas_complex_numIfEPS3_EEvT1_iilPiilS6_bb,@function
_ZN9rocsolver6v33100L18getri_kernel_smallILi60E19rocblas_complex_numIfEPS3_EEvT1_iilPiilS6_bb: ; @_ZN9rocsolver6v33100L18getri_kernel_smallILi60E19rocblas_complex_numIfEPS3_EEvT1_iilPiilS6_bb
; %bb.0:
	s_mov_b32 s2, exec_lo
	v_cmpx_gt_u32_e32 60, v0
	s_cbranch_execz .LBB59_254
; %bb.1:
	s_clause 0x2
	s_load_b32 s2, s[0:1], 0x38
	s_load_b128 s[12:15], s[0:1], 0x10
	s_load_b128 s[4:7], s[0:1], 0x28
	s_getreg_b32 s9, hwreg(HW_REG_IB_STS2, 6, 4)
	s_wait_kmcnt 0x0
	s_bitcmp1_b32 s2, 8
	s_cselect_b32 s18, -1, 0
	s_bfe_u32 s3, ttmp6, 0x4000c
	s_and_b32 s8, ttmp6, 15
	s_add_co_i32 s3, s3, 1
	s_delay_alu instid0(SALU_CYCLE_1) | instskip(NEXT) | instid1(SALU_CYCLE_1)
	s_mul_i32 s3, ttmp9, s3
	s_add_co_i32 s8, s8, s3
	s_cmp_eq_u32 s9, 0
	s_cselect_b32 s16, ttmp9, s8
	s_bfe_u32 s2, s2, 0x10008
	s_ashr_i32 s17, s16, 31
	s_cmp_eq_u32 s2, 0
                                        ; implicit-def: $sgpr2_sgpr3
	s_cbranch_scc1 .LBB59_3
; %bb.2:
	s_load_b32 s2, s[0:1], 0x20
	s_mul_u64 s[4:5], s[4:5], s[16:17]
	s_delay_alu instid0(SALU_CYCLE_1) | instskip(NEXT) | instid1(SALU_CYCLE_1)
	s_lshl_b64 s[4:5], s[4:5], 2
	s_add_nc_u64 s[4:5], s[14:15], s[4:5]
	s_wait_kmcnt 0x0
	s_ashr_i32 s3, s2, 31
	s_delay_alu instid0(SALU_CYCLE_1) | instskip(NEXT) | instid1(SALU_CYCLE_1)
	s_lshl_b64 s[2:3], s[2:3], 2
	s_add_nc_u64 s[2:3], s[4:5], s[2:3]
.LBB59_3:
	s_clause 0x1
	s_load_b128 s[8:11], s[0:1], 0x0
	s_load_b32 s14, s[0:1], 0x38
	s_wait_xcnt 0x0
	s_mul_u64 s[0:1], s[12:13], s[16:17]
	v_lshlrev_b32_e32 v122, 3, v0
	s_lshl_b64 s[0:1], s[0:1], 3
	v_mov_b32_e32 v123, 0
	s_wait_kmcnt 0x0
	v_add3_u32 v6, s11, s11, v0
	s_ashr_i32 s5, s10, 31
	s_mov_b32 s4, s10
	s_add_nc_u64 s[0:1], s[8:9], s[0:1]
	s_lshl_b64 s[4:5], s[4:5], 3
	v_add_nc_u32_e32 v8, s11, v6
	s_add_nc_u64 s[4:5], s[0:1], s[4:5]
	s_ashr_i32 s1, s11, 31
	s_mov_b32 s0, s11
	s_bitcmp0_b32 s14, 0
	v_add_nc_u32_e32 v10, s11, v8
	v_add_nc_u64_e32 v[2:3], s[4:5], v[122:123]
	s_delay_alu instid0(VALU_DEP_2) | instskip(NEXT) | instid1(VALU_DEP_2)
	v_add_nc_u32_e32 v12, s11, v10
	v_lshl_add_u64 v[4:5], s[0:1], 3, v[2:3]
	s_mov_b32 s1, -1
	s_delay_alu instid0(VALU_DEP_2) | instskip(SKIP_4) | instid1(VALU_DEP_1)
	v_add_nc_u32_e32 v14, s11, v12
	s_clause 0x1
	global_load_b64 v[124:125], v0, s[4:5] scale_offset
	global_load_b64 v[126:127], v[4:5], off
	v_add_nc_u32_e32 v16, s11, v14
	v_add_nc_u32_e32 v18, s11, v16
	s_clause 0x3
	global_load_b64 v[128:129], v6, s[4:5] scale_offset
	global_load_b64 v[130:131], v8, s[4:5] scale_offset
	global_load_b64 v[132:133], v10, s[4:5] scale_offset
	global_load_b64 v[134:135], v12, s[4:5] scale_offset
	v_add_nc_u32_e32 v20, s11, v18
	s_delay_alu instid0(VALU_DEP_1) | instskip(NEXT) | instid1(VALU_DEP_1)
	v_add_nc_u32_e32 v22, s11, v20
	v_add_nc_u32_e32 v24, s11, v22
	s_delay_alu instid0(VALU_DEP_1)
	v_add_nc_u32_e32 v26, s11, v24
	s_clause 0x3
	global_load_b64 v[136:137], v14, s[4:5] scale_offset
	global_load_b64 v[138:139], v16, s[4:5] scale_offset
	global_load_b64 v[140:141], v18, s[4:5] scale_offset
	global_load_b64 v[142:143], v20, s[4:5] scale_offset
	v_add_nc_u32_e32 v28, s11, v26
	s_delay_alu instid0(VALU_DEP_1)
	v_add_nc_u32_e32 v30, s11, v28
	s_clause 0x3
	global_load_b64 v[144:145], v22, s[4:5] scale_offset
	global_load_b64 v[146:147], v24, s[4:5] scale_offset
	global_load_b64 v[148:149], v26, s[4:5] scale_offset
	global_load_b64 v[150:151], v28, s[4:5] scale_offset
	v_add_nc_u32_e32 v32, s11, v30
	s_delay_alu instid0(VALU_DEP_1) | instskip(NEXT) | instid1(VALU_DEP_1)
	v_add_nc_u32_e32 v34, s11, v32
	v_add_nc_u32_e32 v36, s11, v34
	s_delay_alu instid0(VALU_DEP_1) | instskip(NEXT) | instid1(VALU_DEP_1)
	v_add_nc_u32_e32 v38, s11, v36
	v_add_nc_u32_e32 v40, s11, v38
	s_delay_alu instid0(VALU_DEP_1)
	v_add_nc_u32_e32 v42, s11, v40
	s_clause 0x3
	global_load_b64 v[152:153], v30, s[4:5] scale_offset
	global_load_b64 v[154:155], v32, s[4:5] scale_offset
	global_load_b64 v[156:157], v34, s[4:5] scale_offset
	global_load_b64 v[158:159], v36, s[4:5] scale_offset
	v_add_nc_u32_e32 v44, s11, v42
	s_delay_alu instid0(VALU_DEP_1) | instskip(NEXT) | instid1(VALU_DEP_1)
	v_add_nc_u32_e32 v46, s11, v44
	v_add_nc_u32_e32 v48, s11, v46
	s_delay_alu instid0(VALU_DEP_1)
	v_add_nc_u32_e32 v50, s11, v48
	s_clause 0x3
	global_load_b64 v[160:161], v38, s[4:5] scale_offset
	global_load_b64 v[162:163], v40, s[4:5] scale_offset
	global_load_b64 v[164:165], v42, s[4:5] scale_offset
	global_load_b64 v[166:167], v44, s[4:5] scale_offset
	v_add_nc_u32_e32 v52, s11, v50
	s_delay_alu instid0(VALU_DEP_1)
	v_add_nc_u32_e32 v54, s11, v52
	s_clause 0x3
	global_load_b64 v[168:169], v46, s[4:5] scale_offset
	global_load_b64 v[170:171], v48, s[4:5] scale_offset
	global_load_b64 v[172:173], v50, s[4:5] scale_offset
	global_load_b64 v[174:175], v52, s[4:5] scale_offset
	v_add_nc_u32_e32 v56, s11, v54
	s_delay_alu instid0(VALU_DEP_1) | instskip(NEXT) | instid1(VALU_DEP_1)
	v_add_nc_u32_e32 v58, s11, v56
	v_add_nc_u32_e32 v60, s11, v58
	s_delay_alu instid0(VALU_DEP_1) | instskip(NEXT) | instid1(VALU_DEP_1)
	v_add_nc_u32_e32 v62, s11, v60
	v_add_nc_u32_e32 v64, s11, v62
	s_delay_alu instid0(VALU_DEP_1)
	;; [unrolled: 33-line block ×3, first 2 shown]
	v_add_nc_u32_e32 v90, s11, v88
	s_clause 0x3
	global_load_b64 v[200:201], v78, s[4:5] scale_offset
	global_load_b64 v[202:203], v80, s[4:5] scale_offset
	;; [unrolled: 1-line block ×4, first 2 shown]
	v_add_nc_u32_e32 v92, s11, v90
	s_delay_alu instid0(VALU_DEP_1)
	v_add_nc_u32_e32 v94, s11, v92
	s_clause 0x3
	global_load_b64 v[208:209], v86, s[4:5] scale_offset
	global_load_b64 v[210:211], v88, s[4:5] scale_offset
	;; [unrolled: 1-line block ×4, first 2 shown]
	v_add_nc_u32_e32 v96, s11, v94
	s_delay_alu instid0(VALU_DEP_1) | instskip(NEXT) | instid1(VALU_DEP_1)
	v_add_nc_u32_e32 v98, s11, v96
	v_add_nc_u32_e32 v100, s11, v98
	s_delay_alu instid0(VALU_DEP_1) | instskip(NEXT) | instid1(VALU_DEP_1)
	v_add_nc_u32_e32 v102, s11, v100
	v_add_nc_u32_e32 v104, s11, v102
	s_delay_alu instid0(VALU_DEP_1)
	v_add_nc_u32_e32 v106, s11, v104
	s_clause 0x3
	global_load_b64 v[216:217], v94, s[4:5] scale_offset
	global_load_b64 v[218:219], v96, s[4:5] scale_offset
	;; [unrolled: 1-line block ×4, first 2 shown]
	v_add_nc_u32_e32 v108, s11, v106
	s_delay_alu instid0(VALU_DEP_1) | instskip(NEXT) | instid1(VALU_DEP_1)
	v_add_nc_u32_e32 v110, s11, v108
	v_add_nc_u32_e32 v112, s11, v110
	s_delay_alu instid0(VALU_DEP_1)
	v_add_nc_u32_e32 v114, s11, v112
	s_clause 0x3
	global_load_b64 v[224:225], v102, s[4:5] scale_offset
	global_load_b64 v[226:227], v104, s[4:5] scale_offset
	;; [unrolled: 1-line block ×4, first 2 shown]
	v_add_nc_u32_e32 v116, s11, v114
	s_delay_alu instid0(VALU_DEP_1) | instskip(NEXT) | instid1(VALU_DEP_1)
	v_add_nc_u32_e32 v118, s11, v116
	v_add_nc_u32_e32 v120, s11, v118
	s_clause 0x5
	global_load_b64 v[232:233], v110, s[4:5] scale_offset
	global_load_b64 v[234:235], v112, s[4:5] scale_offset
	;; [unrolled: 1-line block ×6, first 2 shown]
	s_wait_loadcnt 0x3a
	scratch_store_b128 off, v[124:127], off
	s_wait_loadcnt 0x38
	scratch_store_b128 off, v[128:131], off offset:16
	s_wait_loadcnt 0x36
	scratch_store_b128 off, v[132:135], off offset:32
	;; [unrolled: 2-line block ×29, first 2 shown]
	s_cbranch_scc1 .LBB59_252
; %bb.4:
	v_cmp_eq_u32_e64 s0, 0, v0
	s_wait_xcnt 0x0
	s_and_saveexec_b32 s1, s0
; %bb.5:
	v_mov_b32_e32 v1, 0
	ds_store_b32 v1, v1 offset:960
; %bb.6:
	s_or_b32 exec_lo, exec_lo, s1
	s_wait_storecnt_dscnt 0x0
	s_barrier_signal -1
	s_barrier_wait -1
	scratch_load_b64 v[124:125], v0, off scale_offset
	s_wait_loadcnt 0x0
	v_cmp_eq_f32_e32 vcc_lo, 0, v124
	v_cmp_eq_f32_e64 s1, 0, v125
	s_and_b32 s1, vcc_lo, s1
	s_delay_alu instid0(SALU_CYCLE_1)
	s_and_saveexec_b32 s8, s1
	s_cbranch_execz .LBB59_10
; %bb.7:
	v_mov_b32_e32 v1, 0
	s_mov_b32 s9, 0
	ds_load_b32 v7, v1 offset:960
	s_wait_dscnt 0x0
	v_readfirstlane_b32 s1, v7
	v_add_nc_u32_e32 v7, 1, v0
	s_cmp_eq_u32 s1, 0
	s_delay_alu instid0(VALU_DEP_1) | instskip(SKIP_1) | instid1(SALU_CYCLE_1)
	v_cmp_gt_i32_e32 vcc_lo, s1, v7
	s_cselect_b32 s10, -1, 0
	s_or_b32 s10, s10, vcc_lo
	s_delay_alu instid0(SALU_CYCLE_1)
	s_and_b32 exec_lo, exec_lo, s10
	s_cbranch_execz .LBB59_10
; %bb.8:
	v_mov_b32_e32 v9, s1
.LBB59_9:                               ; =>This Inner Loop Header: Depth=1
	ds_cmpstore_rtn_b32 v9, v1, v7, v9 offset:960
	s_wait_dscnt 0x0
	v_cmp_ne_u32_e32 vcc_lo, 0, v9
	v_cmp_le_i32_e64 s1, v9, v7
	s_and_b32 s1, vcc_lo, s1
	s_delay_alu instid0(SALU_CYCLE_1) | instskip(NEXT) | instid1(SALU_CYCLE_1)
	s_and_b32 s1, exec_lo, s1
	s_or_b32 s9, s1, s9
	s_delay_alu instid0(SALU_CYCLE_1)
	s_and_not1_b32 exec_lo, exec_lo, s9
	s_cbranch_execnz .LBB59_9
.LBB59_10:
	s_or_b32 exec_lo, exec_lo, s8
	v_mov_b32_e32 v1, 0
	s_barrier_signal -1
	s_barrier_wait -1
	ds_load_b32 v7, v1 offset:960
	s_and_saveexec_b32 s1, s0
	s_cbranch_execz .LBB59_12
; %bb.11:
	s_lshl_b64 s[8:9], s[16:17], 2
	s_delay_alu instid0(SALU_CYCLE_1)
	s_add_nc_u64 s[8:9], s[6:7], s[8:9]
	s_wait_dscnt 0x0
	global_store_b32 v1, v7, s[8:9]
.LBB59_12:
	s_wait_xcnt 0x0
	s_or_b32 exec_lo, exec_lo, s1
	s_wait_dscnt 0x0
	v_cmp_ne_u32_e32 vcc_lo, 0, v7
	s_mov_b32 s1, 0
	s_cbranch_vccnz .LBB59_252
; %bb.13:
	v_lshl_add_u32 v7, v0, 3, 0
                                        ; implicit-def: $vgpr127
                                        ; implicit-def: $vgpr128
	scratch_load_b64 v[124:125], v7, off
	s_wait_loadcnt 0x0
	v_cmp_ngt_f32_e64 s1, |v124|, |v125|
	s_wait_xcnt 0x0
	s_and_saveexec_b32 s8, s1
	s_delay_alu instid0(SALU_CYCLE_1)
	s_xor_b32 s1, exec_lo, s8
	s_cbranch_execz .LBB59_15
; %bb.14:
	v_div_scale_f32 v1, null, v125, v125, v124
	v_div_scale_f32 v13, vcc_lo, v124, v125, v124
	s_delay_alu instid0(VALU_DEP_2) | instskip(SKIP_1) | instid1(TRANS32_DEP_1)
	v_rcp_f32_e32 v9, v1
	v_nop
	v_fma_f32 v11, -v1, v9, 1.0
	s_delay_alu instid0(VALU_DEP_1) | instskip(NEXT) | instid1(VALU_DEP_1)
	v_fmac_f32_e32 v9, v11, v9
	v_mul_f32_e32 v11, v13, v9
	s_delay_alu instid0(VALU_DEP_1) | instskip(NEXT) | instid1(VALU_DEP_1)
	v_fma_f32 v15, -v1, v11, v13
	v_fmac_f32_e32 v11, v15, v9
	s_delay_alu instid0(VALU_DEP_1) | instskip(NEXT) | instid1(VALU_DEP_1)
	v_fma_f32 v1, -v1, v11, v13
	v_div_fmas_f32 v1, v1, v9, v11
	s_delay_alu instid0(VALU_DEP_1) | instskip(NEXT) | instid1(VALU_DEP_1)
	v_div_fixup_f32 v1, v1, v125, v124
	v_fmac_f32_e32 v125, v124, v1
	s_delay_alu instid0(VALU_DEP_1) | instskip(NEXT) | instid1(VALU_DEP_1)
	v_div_scale_f32 v9, null, v125, v125, -1.0
	v_rcp_f32_e32 v11, v9
	v_nop
	s_delay_alu instid0(TRANS32_DEP_1) | instskip(NEXT) | instid1(VALU_DEP_1)
	v_fma_f32 v13, -v9, v11, 1.0
	v_fmac_f32_e32 v11, v13, v11
	v_div_scale_f32 v13, vcc_lo, -1.0, v125, -1.0
	s_delay_alu instid0(VALU_DEP_1) | instskip(NEXT) | instid1(VALU_DEP_1)
	v_mul_f32_e32 v15, v13, v11
	v_fma_f32 v17, -v9, v15, v13
	s_delay_alu instid0(VALU_DEP_1) | instskip(NEXT) | instid1(VALU_DEP_1)
	v_fmac_f32_e32 v15, v17, v11
	v_fma_f32 v9, -v9, v15, v13
	s_delay_alu instid0(VALU_DEP_1) | instskip(NEXT) | instid1(VALU_DEP_1)
	v_div_fmas_f32 v9, v9, v11, v15
	v_div_fixup_f32 v127, v9, v125, -1.0
                                        ; implicit-def: $vgpr124_vgpr125
	s_delay_alu instid0(VALU_DEP_1) | instskip(NEXT) | instid1(VALU_DEP_1)
	v_mul_f32_e32 v128, v1, v127
	v_xor_b32_e32 v126, 0x80000000, v128
.LBB59_15:
	s_and_not1_saveexec_b32 s1, s1
	s_cbranch_execz .LBB59_17
; %bb.16:
	v_div_scale_f32 v1, null, v124, v124, v125
	v_div_scale_f32 v13, vcc_lo, v125, v124, v125
	s_delay_alu instid0(VALU_DEP_2) | instskip(SKIP_1) | instid1(TRANS32_DEP_1)
	v_rcp_f32_e32 v9, v1
	v_nop
	v_fma_f32 v11, -v1, v9, 1.0
	s_delay_alu instid0(VALU_DEP_1) | instskip(NEXT) | instid1(VALU_DEP_1)
	v_fmac_f32_e32 v9, v11, v9
	v_mul_f32_e32 v11, v13, v9
	s_delay_alu instid0(VALU_DEP_1) | instskip(NEXT) | instid1(VALU_DEP_1)
	v_fma_f32 v15, -v1, v11, v13
	v_fmac_f32_e32 v11, v15, v9
	s_delay_alu instid0(VALU_DEP_1) | instskip(NEXT) | instid1(VALU_DEP_1)
	v_fma_f32 v1, -v1, v11, v13
	v_div_fmas_f32 v1, v1, v9, v11
	s_delay_alu instid0(VALU_DEP_1) | instskip(NEXT) | instid1(VALU_DEP_1)
	v_div_fixup_f32 v1, v1, v124, v125
	v_fmac_f32_e32 v124, v125, v1
	s_delay_alu instid0(VALU_DEP_1) | instskip(SKIP_1) | instid1(VALU_DEP_2)
	v_div_scale_f32 v9, null, v124, v124, 1.0
	v_div_scale_f32 v15, vcc_lo, 1.0, v124, 1.0
	v_rcp_f32_e32 v11, v9
	v_nop
	s_delay_alu instid0(TRANS32_DEP_1) | instskip(NEXT) | instid1(VALU_DEP_1)
	v_fma_f32 v13, -v9, v11, 1.0
	v_fmac_f32_e32 v11, v13, v11
	s_delay_alu instid0(VALU_DEP_1) | instskip(NEXT) | instid1(VALU_DEP_1)
	v_mul_f32_e32 v13, v15, v11
	v_fma_f32 v17, -v9, v13, v15
	s_delay_alu instid0(VALU_DEP_1) | instskip(NEXT) | instid1(VALU_DEP_1)
	v_fmac_f32_e32 v13, v17, v11
	v_fma_f32 v9, -v9, v13, v15
	s_delay_alu instid0(VALU_DEP_1) | instskip(NEXT) | instid1(VALU_DEP_1)
	v_div_fmas_f32 v9, v9, v11, v13
	v_div_fixup_f32 v126, v9, v124, 1.0
	s_delay_alu instid0(VALU_DEP_1)
	v_xor_b32_e32 v128, 0x80000000, v126
	v_mul_f32_e64 v127, v1, -v126
.LBB59_17:
	s_or_b32 exec_lo, exec_lo, s1
	scratch_store_b64 v7, v[126:127], off
	scratch_load_b64 v[124:125], off, off offset:8
	v_xor_b32_e32 v129, 0x80000000, v127
	v_add_nc_u32_e32 v1, 0x1e0, v122
	s_wait_loadcnt 0x0
	ds_store_2addr_b64 v122, v[128:129], v[124:125] offset1:60
	s_wait_storecnt_dscnt 0x0
	s_barrier_signal -1
	s_barrier_wait -1
	s_wait_xcnt 0x0
	s_and_saveexec_b32 s1, s0
	s_cbranch_execz .LBB59_19
; %bb.18:
	scratch_load_b64 v[124:125], v7, off
	ds_load_b64 v[126:127], v1
	s_wait_loadcnt_dscnt 0x0
	v_pk_mul_f32 v[130:131], v[126:127], v[124:125] op_sel:[1,1] op_sel_hi:[0,1]
	s_delay_alu instid0(VALU_DEP_1) | instskip(SKIP_2) | instid1(VALU_DEP_3)
	v_pk_fma_f32 v[132:133], v[126:127], v[124:125], v[130:131] op_sel_hi:[1,0,1]
	v_mov_b32_e32 v9, 0
	v_pk_fma_f32 v[124:125], v[126:127], v[124:125], v[130:131] neg_lo:[0,0,1] neg_hi:[0,0,1]
	v_mov_b32_e32 v125, v133
	ds_load_b64 v[128:129], v9 offset:8
	v_pk_add_f32 v[124:125], v[124:125], 0 op_sel_hi:[1,0]
	s_wait_dscnt 0x0
	s_delay_alu instid0(VALU_DEP_1) | instskip(NEXT) | instid1(VALU_DEP_1)
	v_pk_mul_f32 v[126:127], v[124:125], v[128:129] op_sel:[1,1] op_sel_hi:[0,1]
	v_pk_fma_f32 v[130:131], v[124:125], v[128:129], v[126:127] op_sel_hi:[1,0,1]
	v_pk_fma_f32 v[124:125], v[124:125], v[128:129], v[126:127] neg_lo:[0,0,1] neg_hi:[0,0,1]
	s_delay_alu instid0(VALU_DEP_2)
	v_mov_b32_e32 v125, v131
	scratch_store_b64 off, v[124:125], off offset:8
.LBB59_19:
	s_wait_xcnt 0x0
	s_or_b32 exec_lo, exec_lo, s1
	s_wait_storecnt 0x0
	s_barrier_signal -1
	s_barrier_wait -1
	scratch_load_b64 v[124:125], off, off offset:16
	s_mov_b32 s1, exec_lo
	s_wait_loadcnt 0x0
	ds_store_b64 v1, v[124:125]
	s_wait_dscnt 0x0
	s_barrier_signal -1
	s_barrier_wait -1
	v_cmpx_gt_u32_e32 2, v0
	s_cbranch_execz .LBB59_23
; %bb.20:
	scratch_load_b64 v[124:125], v7, off
	ds_load_b64 v[126:127], v1
	s_wait_loadcnt_dscnt 0x0
	v_pk_mul_f32 v[128:129], v[126:127], v[124:125] op_sel:[1,1] op_sel_hi:[0,1]
	s_delay_alu instid0(VALU_DEP_1) | instskip(SKIP_1) | instid1(VALU_DEP_2)
	v_pk_fma_f32 v[130:131], v[126:127], v[124:125], v[128:129] op_sel_hi:[1,0,1]
	v_pk_fma_f32 v[124:125], v[126:127], v[124:125], v[128:129] neg_lo:[0,0,1] neg_hi:[0,0,1]
	v_mov_b32_e32 v125, v131
	s_delay_alu instid0(VALU_DEP_1)
	v_pk_add_f32 v[124:125], v[124:125], 0 op_sel_hi:[1,0]
	s_and_saveexec_b32 s8, s0
	s_cbranch_execz .LBB59_22
; %bb.21:
	scratch_load_b64 v[126:127], off, off offset:8
	v_mov_b32_e32 v7, 0
	ds_load_b64 v[128:129], v7 offset:488
	s_wait_loadcnt_dscnt 0x0
	v_pk_mul_f32 v[130:131], v[128:129], v[126:127] op_sel:[1,1] op_sel_hi:[0,1]
	s_delay_alu instid0(VALU_DEP_1) | instskip(SKIP_1) | instid1(VALU_DEP_2)
	v_pk_fma_f32 v[132:133], v[128:129], v[126:127], v[130:131] op_sel_hi:[1,0,1]
	v_pk_fma_f32 v[126:127], v[128:129], v[126:127], v[130:131] neg_lo:[0,0,1] neg_hi:[0,0,1]
	v_mov_b32_e32 v127, v133
	s_delay_alu instid0(VALU_DEP_1)
	v_pk_add_f32 v[124:125], v[124:125], v[126:127]
.LBB59_22:
	s_or_b32 exec_lo, exec_lo, s8
	v_mov_b32_e32 v7, 0
	ds_load_b64 v[126:127], v7 offset:16
	s_wait_dscnt 0x0
	v_pk_mul_f32 v[128:129], v[124:125], v[126:127] op_sel:[1,1] op_sel_hi:[0,1]
	s_delay_alu instid0(VALU_DEP_1) | instskip(SKIP_1) | instid1(VALU_DEP_2)
	v_pk_fma_f32 v[130:131], v[124:125], v[126:127], v[128:129] op_sel_hi:[1,0,1]
	v_pk_fma_f32 v[124:125], v[124:125], v[126:127], v[128:129] neg_lo:[0,0,1] neg_hi:[0,0,1]
	v_mov_b32_e32 v125, v131
	scratch_store_b64 off, v[124:125], off offset:16
.LBB59_23:
	s_wait_xcnt 0x0
	s_or_b32 exec_lo, exec_lo, s1
	s_wait_storecnt 0x0
	s_barrier_signal -1
	s_barrier_wait -1
	scratch_load_b64 v[124:125], off, off offset:24
	v_add_nc_u32_e32 v7, -1, v0
	s_mov_b32 s0, exec_lo
	s_wait_loadcnt 0x0
	ds_store_b64 v1, v[124:125]
	s_wait_dscnt 0x0
	s_barrier_signal -1
	s_barrier_wait -1
	v_cmpx_gt_u32_e32 3, v0
	s_cbranch_execz .LBB59_27
; %bb.24:
	v_dual_mov_b32 v124, 0 :: v_dual_add_nc_u32 v9, -1, v0
	v_add_nc_u32_e32 v11, 0x1e0, v122
	v_mov_b32_e32 v13, v122
	s_mov_b32 s1, 0
	s_delay_alu instid0(VALU_DEP_3)
	v_mov_b32_e32 v125, v124
.LBB59_25:                              ; =>This Inner Loop Header: Depth=1
	scratch_load_b64 v[126:127], v13, off
	ds_load_b64 v[128:129], v11
	s_wait_xcnt 0x0
	v_dual_add_nc_u32 v11, 8, v11 :: v_dual_add_nc_u32 v13, 8, v13
	s_wait_loadcnt_dscnt 0x0
	v_pk_mul_f32 v[130:131], v[128:129], v[126:127] op_sel:[1,1] op_sel_hi:[0,1]
	s_delay_alu instid0(VALU_DEP_1) | instskip(SKIP_2) | instid1(VALU_DEP_3)
	v_pk_fma_f32 v[132:133], v[128:129], v[126:127], v[130:131] op_sel_hi:[1,0,1]
	v_add_nc_u32_e32 v9, 1, v9
	v_pk_fma_f32 v[126:127], v[128:129], v[126:127], v[130:131] neg_lo:[0,0,1] neg_hi:[0,0,1]
	v_mov_b32_e32 v127, v133
	s_delay_alu instid0(VALU_DEP_3) | instskip(NEXT) | instid1(VALU_DEP_2)
	v_cmp_lt_u32_e32 vcc_lo, 1, v9
	v_pk_add_f32 v[124:125], v[124:125], v[126:127]
	s_or_b32 s1, vcc_lo, s1
	s_delay_alu instid0(SALU_CYCLE_1)
	s_and_not1_b32 exec_lo, exec_lo, s1
	s_cbranch_execnz .LBB59_25
; %bb.26:
	s_or_b32 exec_lo, exec_lo, s1
	v_mov_b32_e32 v9, 0
	ds_load_b64 v[126:127], v9 offset:24
	s_wait_dscnt 0x0
	v_pk_mul_f32 v[128:129], v[124:125], v[126:127] op_sel:[1,1] op_sel_hi:[0,1]
	s_delay_alu instid0(VALU_DEP_1) | instskip(SKIP_1) | instid1(VALU_DEP_2)
	v_pk_fma_f32 v[130:131], v[124:125], v[126:127], v[128:129] op_sel_hi:[1,0,1]
	v_pk_fma_f32 v[124:125], v[124:125], v[126:127], v[128:129] neg_lo:[0,0,1] neg_hi:[0,0,1]
	v_mov_b32_e32 v125, v131
	scratch_store_b64 off, v[124:125], off offset:24
.LBB59_27:
	s_wait_xcnt 0x0
	s_or_b32 exec_lo, exec_lo, s0
	s_wait_storecnt 0x0
	s_barrier_signal -1
	s_barrier_wait -1
	scratch_load_b64 v[124:125], off, off offset:32
	s_mov_b32 s0, exec_lo
	s_wait_loadcnt 0x0
	ds_store_b64 v1, v[124:125]
	s_wait_dscnt 0x0
	s_barrier_signal -1
	s_barrier_wait -1
	v_cmpx_gt_u32_e32 4, v0
	s_cbranch_execz .LBB59_31
; %bb.28:
	v_dual_mov_b32 v124, 0 :: v_dual_add_nc_u32 v9, -1, v0
	v_add_nc_u32_e32 v11, 0x1e0, v122
	v_mov_b32_e32 v13, v122
	s_mov_b32 s1, 0
	s_delay_alu instid0(VALU_DEP_3)
	v_mov_b32_e32 v125, v124
.LBB59_29:                              ; =>This Inner Loop Header: Depth=1
	scratch_load_b64 v[126:127], v13, off
	ds_load_b64 v[128:129], v11
	s_wait_xcnt 0x0
	v_dual_add_nc_u32 v11, 8, v11 :: v_dual_add_nc_u32 v13, 8, v13
	s_wait_loadcnt_dscnt 0x0
	v_pk_mul_f32 v[130:131], v[128:129], v[126:127] op_sel:[1,1] op_sel_hi:[0,1]
	s_delay_alu instid0(VALU_DEP_1) | instskip(SKIP_2) | instid1(VALU_DEP_3)
	v_pk_fma_f32 v[132:133], v[128:129], v[126:127], v[130:131] op_sel_hi:[1,0,1]
	v_add_nc_u32_e32 v9, 1, v9
	v_pk_fma_f32 v[126:127], v[128:129], v[126:127], v[130:131] neg_lo:[0,0,1] neg_hi:[0,0,1]
	v_mov_b32_e32 v127, v133
	s_delay_alu instid0(VALU_DEP_3) | instskip(NEXT) | instid1(VALU_DEP_2)
	v_cmp_lt_u32_e32 vcc_lo, 2, v9
	v_pk_add_f32 v[124:125], v[124:125], v[126:127]
	s_or_b32 s1, vcc_lo, s1
	s_delay_alu instid0(SALU_CYCLE_1)
	s_and_not1_b32 exec_lo, exec_lo, s1
	s_cbranch_execnz .LBB59_29
; %bb.30:
	s_or_b32 exec_lo, exec_lo, s1
	v_mov_b32_e32 v9, 0
	ds_load_b64 v[126:127], v9 offset:32
	s_wait_dscnt 0x0
	v_pk_mul_f32 v[128:129], v[124:125], v[126:127] op_sel:[1,1] op_sel_hi:[0,1]
	s_delay_alu instid0(VALU_DEP_1) | instskip(SKIP_1) | instid1(VALU_DEP_2)
	v_pk_fma_f32 v[130:131], v[124:125], v[126:127], v[128:129] op_sel_hi:[1,0,1]
	v_pk_fma_f32 v[124:125], v[124:125], v[126:127], v[128:129] neg_lo:[0,0,1] neg_hi:[0,0,1]
	v_mov_b32_e32 v125, v131
	scratch_store_b64 off, v[124:125], off offset:32
.LBB59_31:
	s_wait_xcnt 0x0
	s_or_b32 exec_lo, exec_lo, s0
	s_wait_storecnt 0x0
	s_barrier_signal -1
	s_barrier_wait -1
	scratch_load_b64 v[124:125], off, off offset:40
	;; [unrolled: 52-line block ×19, first 2 shown]
	s_mov_b32 s0, exec_lo
	s_wait_loadcnt 0x0
	ds_store_b64 v1, v[124:125]
	s_wait_dscnt 0x0
	s_barrier_signal -1
	s_barrier_wait -1
	v_cmpx_gt_u32_e32 22, v0
	s_cbranch_execz .LBB59_103
; %bb.100:
	v_dual_mov_b32 v124, 0 :: v_dual_add_nc_u32 v9, -1, v0
	v_add_nc_u32_e32 v11, 0x1e0, v122
	v_mov_b32_e32 v13, v122
	s_mov_b32 s1, 0
	s_delay_alu instid0(VALU_DEP_3)
	v_mov_b32_e32 v125, v124
.LBB59_101:                             ; =>This Inner Loop Header: Depth=1
	scratch_load_b64 v[126:127], v13, off
	ds_load_b64 v[128:129], v11
	s_wait_xcnt 0x0
	v_dual_add_nc_u32 v11, 8, v11 :: v_dual_add_nc_u32 v13, 8, v13
	s_wait_loadcnt_dscnt 0x0
	v_pk_mul_f32 v[130:131], v[128:129], v[126:127] op_sel:[1,1] op_sel_hi:[0,1]
	s_delay_alu instid0(VALU_DEP_1) | instskip(SKIP_2) | instid1(VALU_DEP_3)
	v_pk_fma_f32 v[132:133], v[128:129], v[126:127], v[130:131] op_sel_hi:[1,0,1]
	v_add_nc_u32_e32 v9, 1, v9
	v_pk_fma_f32 v[126:127], v[128:129], v[126:127], v[130:131] neg_lo:[0,0,1] neg_hi:[0,0,1]
	v_mov_b32_e32 v127, v133
	s_delay_alu instid0(VALU_DEP_3) | instskip(NEXT) | instid1(VALU_DEP_2)
	v_cmp_lt_u32_e32 vcc_lo, 20, v9
	v_pk_add_f32 v[124:125], v[124:125], v[126:127]
	s_or_b32 s1, vcc_lo, s1
	s_delay_alu instid0(SALU_CYCLE_1)
	s_and_not1_b32 exec_lo, exec_lo, s1
	s_cbranch_execnz .LBB59_101
; %bb.102:
	s_or_b32 exec_lo, exec_lo, s1
	v_mov_b32_e32 v9, 0
	ds_load_b64 v[126:127], v9 offset:176
	s_wait_dscnt 0x0
	v_pk_mul_f32 v[128:129], v[124:125], v[126:127] op_sel:[1,1] op_sel_hi:[0,1]
	s_delay_alu instid0(VALU_DEP_1) | instskip(SKIP_1) | instid1(VALU_DEP_2)
	v_pk_fma_f32 v[130:131], v[124:125], v[126:127], v[128:129] op_sel_hi:[1,0,1]
	v_pk_fma_f32 v[124:125], v[124:125], v[126:127], v[128:129] neg_lo:[0,0,1] neg_hi:[0,0,1]
	v_mov_b32_e32 v125, v131
	scratch_store_b64 off, v[124:125], off offset:176
.LBB59_103:
	s_wait_xcnt 0x0
	s_or_b32 exec_lo, exec_lo, s0
	s_wait_storecnt 0x0
	s_barrier_signal -1
	s_barrier_wait -1
	scratch_load_b64 v[124:125], off, off offset:184
	s_mov_b32 s0, exec_lo
	s_wait_loadcnt 0x0
	ds_store_b64 v1, v[124:125]
	s_wait_dscnt 0x0
	s_barrier_signal -1
	s_barrier_wait -1
	v_cmpx_gt_u32_e32 23, v0
	s_cbranch_execz .LBB59_107
; %bb.104:
	v_dual_mov_b32 v124, 0 :: v_dual_add_nc_u32 v9, -1, v0
	v_add_nc_u32_e32 v11, 0x1e0, v122
	v_mov_b32_e32 v13, v122
	s_mov_b32 s1, 0
	s_delay_alu instid0(VALU_DEP_3)
	v_mov_b32_e32 v125, v124
.LBB59_105:                             ; =>This Inner Loop Header: Depth=1
	scratch_load_b64 v[126:127], v13, off
	ds_load_b64 v[128:129], v11
	s_wait_xcnt 0x0
	v_dual_add_nc_u32 v11, 8, v11 :: v_dual_add_nc_u32 v13, 8, v13
	s_wait_loadcnt_dscnt 0x0
	v_pk_mul_f32 v[130:131], v[128:129], v[126:127] op_sel:[1,1] op_sel_hi:[0,1]
	s_delay_alu instid0(VALU_DEP_1) | instskip(SKIP_2) | instid1(VALU_DEP_3)
	v_pk_fma_f32 v[132:133], v[128:129], v[126:127], v[130:131] op_sel_hi:[1,0,1]
	v_add_nc_u32_e32 v9, 1, v9
	v_pk_fma_f32 v[126:127], v[128:129], v[126:127], v[130:131] neg_lo:[0,0,1] neg_hi:[0,0,1]
	v_mov_b32_e32 v127, v133
	s_delay_alu instid0(VALU_DEP_3) | instskip(NEXT) | instid1(VALU_DEP_2)
	v_cmp_lt_u32_e32 vcc_lo, 21, v9
	v_pk_add_f32 v[124:125], v[124:125], v[126:127]
	s_or_b32 s1, vcc_lo, s1
	s_delay_alu instid0(SALU_CYCLE_1)
	s_and_not1_b32 exec_lo, exec_lo, s1
	s_cbranch_execnz .LBB59_105
; %bb.106:
	s_or_b32 exec_lo, exec_lo, s1
	v_mov_b32_e32 v9, 0
	ds_load_b64 v[126:127], v9 offset:184
	s_wait_dscnt 0x0
	v_pk_mul_f32 v[128:129], v[124:125], v[126:127] op_sel:[1,1] op_sel_hi:[0,1]
	s_delay_alu instid0(VALU_DEP_1) | instskip(SKIP_1) | instid1(VALU_DEP_2)
	v_pk_fma_f32 v[130:131], v[124:125], v[126:127], v[128:129] op_sel_hi:[1,0,1]
	v_pk_fma_f32 v[124:125], v[124:125], v[126:127], v[128:129] neg_lo:[0,0,1] neg_hi:[0,0,1]
	v_mov_b32_e32 v125, v131
	scratch_store_b64 off, v[124:125], off offset:184
.LBB59_107:
	s_wait_xcnt 0x0
	s_or_b32 exec_lo, exec_lo, s0
	s_wait_storecnt 0x0
	s_barrier_signal -1
	s_barrier_wait -1
	scratch_load_b64 v[124:125], off, off offset:192
	;; [unrolled: 52-line block ×37, first 2 shown]
	s_mov_b32 s0, exec_lo
	s_wait_loadcnt 0x0
	ds_store_b64 v1, v[124:125]
	s_wait_dscnt 0x0
	s_barrier_signal -1
	s_barrier_wait -1
	v_cmpx_ne_u32_e32 59, v0
	s_cbranch_execz .LBB59_251
; %bb.248:
	v_dual_mov_b32 v124, 0 :: v_dual_mov_b32 v9, v122
	s_mov_b32 s1, 0
	s_delay_alu instid0(VALU_DEP_1)
	v_mov_b32_e32 v125, v124
.LBB59_249:                             ; =>This Inner Loop Header: Depth=1
	scratch_load_b64 v[122:123], v9, off
	ds_load_b64 v[126:127], v1
	v_add_nc_u32_e32 v1, 8, v1
	s_wait_xcnt 0x0
	v_add_nc_u32_e32 v9, 8, v9
	s_wait_loadcnt_dscnt 0x0
	v_pk_mul_f32 v[128:129], v[126:127], v[122:123] op_sel:[1,1] op_sel_hi:[0,1]
	s_delay_alu instid0(VALU_DEP_1) | instskip(SKIP_2) | instid1(VALU_DEP_3)
	v_pk_fma_f32 v[130:131], v[126:127], v[122:123], v[128:129] op_sel_hi:[1,0,1]
	v_add_nc_u32_e32 v7, 1, v7
	v_pk_fma_f32 v[122:123], v[126:127], v[122:123], v[128:129] neg_lo:[0,0,1] neg_hi:[0,0,1]
	v_mov_b32_e32 v123, v131
	s_delay_alu instid0(VALU_DEP_3) | instskip(NEXT) | instid1(VALU_DEP_2)
	v_cmp_lt_u32_e32 vcc_lo, 57, v7
	v_pk_add_f32 v[124:125], v[124:125], v[122:123]
	s_or_b32 s1, vcc_lo, s1
	s_delay_alu instid0(SALU_CYCLE_1)
	s_and_not1_b32 exec_lo, exec_lo, s1
	s_cbranch_execnz .LBB59_249
; %bb.250:
	s_or_b32 exec_lo, exec_lo, s1
	v_mov_b32_e32 v1, 0
	ds_load_b64 v[122:123], v1 offset:472
	s_wait_dscnt 0x0
	v_pk_mul_f32 v[126:127], v[124:125], v[122:123] op_sel:[1,1] op_sel_hi:[0,1]
	s_delay_alu instid0(VALU_DEP_1) | instskip(SKIP_1) | instid1(VALU_DEP_2)
	v_pk_fma_f32 v[128:129], v[124:125], v[122:123], v[126:127] op_sel_hi:[1,0,1]
	v_pk_fma_f32 v[122:123], v[124:125], v[122:123], v[126:127] neg_lo:[0,0,1] neg_hi:[0,0,1]
	v_mov_b32_e32 v123, v129
	scratch_store_b64 off, v[122:123], off offset:472
.LBB59_251:
	s_wait_xcnt 0x0
	s_or_b32 exec_lo, exec_lo, s0
	s_mov_b32 s1, -1
	s_wait_storecnt 0x0
	s_barrier_signal -1
	s_barrier_wait -1
.LBB59_252:
	s_and_b32 vcc_lo, exec_lo, s1
	s_cbranch_vccz .LBB59_254
; %bb.253:
	v_mov_b32_e32 v1, 0
	s_lshl_b64 s[0:1], s[16:17], 2
	s_delay_alu instid0(SALU_CYCLE_1)
	s_add_nc_u64 s[0:1], s[6:7], s[0:1]
	global_load_b32 v1, v1, s[0:1]
	s_wait_loadcnt 0x0
	v_cmp_ne_u32_e32 vcc_lo, 0, v1
	s_cbranch_vccz .LBB59_255
.LBB59_254:
	s_sendmsg sendmsg(MSG_DEALLOC_VGPRS)
	s_endpgm
.LBB59_255:
	s_wait_xcnt 0x0
	v_lshl_add_u32 v1, v0, 3, 0x1e0
	s_mov_b32 s0, exec_lo
	v_cmpx_eq_u32_e32 59, v0
	s_cbranch_execz .LBB59_257
; %bb.256:
	scratch_load_b64 v[122:123], off, off offset:464
	v_mov_b64_e32 v[124:125], 0
	scratch_store_b64 off, v[124:125], off offset:464
	s_wait_loadcnt 0x0
	ds_store_b64 v1, v[122:123]
.LBB59_257:
	s_wait_xcnt 0x0
	s_or_b32 exec_lo, exec_lo, s0
	s_wait_storecnt_dscnt 0x0
	s_barrier_signal -1
	s_barrier_wait -1
	s_clause 0x1
	scratch_load_b64 v[122:123], off, off offset:472
	scratch_load_b64 v[124:125], off, off offset:464
	v_mov_b32_e32 v7, 0
	s_mov_b32 s0, exec_lo
	ds_load_b64 v[126:127], v7 offset:952
	s_wait_loadcnt_dscnt 0x100
	v_pk_mul_f32 v[128:129], v[126:127], v[122:123] op_sel:[1,1] op_sel_hi:[0,1]
	s_delay_alu instid0(VALU_DEP_1) | instskip(SKIP_1) | instid1(VALU_DEP_2)
	v_pk_fma_f32 v[130:131], v[126:127], v[122:123], v[128:129] op_sel_hi:[1,0,1]
	v_pk_fma_f32 v[122:123], v[126:127], v[122:123], v[128:129] neg_lo:[0,0,1] neg_hi:[0,0,1]
	v_mov_b32_e32 v123, v131
	s_delay_alu instid0(VALU_DEP_1) | instskip(SKIP_1) | instid1(VALU_DEP_1)
	v_pk_add_f32 v[122:123], v[122:123], 0 op_sel_hi:[1,0]
	s_wait_loadcnt 0x0
	v_pk_add_f32 v[122:123], v[124:125], v[122:123] neg_lo:[0,1] neg_hi:[0,1]
	scratch_store_b64 off, v[122:123], off offset:464
	s_wait_xcnt 0x0
	v_cmpx_lt_u32_e32 57, v0
	s_cbranch_execz .LBB59_259
; %bb.258:
	scratch_load_b64 v[122:123], off, off offset:456
	v_mov_b64_e32 v[124:125], 0
	scratch_store_b64 off, v[124:125], off offset:456
	s_wait_loadcnt 0x0
	ds_store_b64 v1, v[122:123]
.LBB59_259:
	s_wait_xcnt 0x0
	s_or_b32 exec_lo, exec_lo, s0
	s_wait_storecnt_dscnt 0x0
	s_barrier_signal -1
	s_barrier_wait -1
	s_clause 0x1
	scratch_load_b128 v[122:125], off, off offset:464
	scratch_load_b64 v[130:131], off, off offset:456
	ds_load_b128 v[126:129], v7 offset:944
	s_mov_b32 s0, exec_lo
	s_wait_dscnt 0x0
	v_dual_mov_b32 v132, v129 :: v_dual_mov_b32 v133, v128
	s_wait_loadcnt 0x1
	v_pk_mul_f32 v[134:135], v[126:127], v[122:123] op_sel:[1,1] op_sel_hi:[0,1]
	s_delay_alu instid0(VALU_DEP_1) | instskip(SKIP_2) | instid1(VALU_DEP_3)
	v_pk_fma_f32 v[138:139], v[126:127], v[122:123], v[134:135] op_sel_hi:[1,0,1]
	v_mov_b32_e32 v136, v125
	v_pk_fma_f32 v[122:123], v[126:127], v[122:123], v[134:135] neg_lo:[0,0,1] neg_hi:[0,0,1]
	v_mov_b32_e32 v123, v139
	s_delay_alu instid0(VALU_DEP_3) | instskip(NEXT) | instid1(VALU_DEP_2)
	v_pk_mul_f32 v[132:133], v[132:133], v[136:137] op_sel_hi:[1,0]
	v_pk_add_f32 v[122:123], v[122:123], 0 op_sel_hi:[1,0]
	s_delay_alu instid0(VALU_DEP_2) | instskip(SKIP_1) | instid1(VALU_DEP_2)
	v_pk_fma_f32 v[126:127], v[128:129], v[124:125], v[132:133] op_sel_hi:[1,0,1]
	v_pk_fma_f32 v[124:125], v[128:129], v[124:125], v[132:133] neg_lo:[0,0,1] neg_hi:[0,0,1]
	v_mov_b32_e32 v125, v127
	s_delay_alu instid0(VALU_DEP_1) | instskip(SKIP_1) | instid1(VALU_DEP_1)
	v_pk_add_f32 v[122:123], v[122:123], v[124:125]
	s_wait_loadcnt 0x0
	v_pk_add_f32 v[122:123], v[130:131], v[122:123] neg_lo:[0,1] neg_hi:[0,1]
	scratch_store_b64 off, v[122:123], off offset:456
	s_wait_xcnt 0x0
	v_cmpx_lt_u32_e32 56, v0
	s_cbranch_execz .LBB59_261
; %bb.260:
	scratch_load_b64 v[122:123], off, off offset:448
	v_mov_b64_e32 v[124:125], 0
	scratch_store_b64 off, v[124:125], off offset:448
	s_wait_loadcnt 0x0
	ds_store_b64 v1, v[122:123]
.LBB59_261:
	s_wait_xcnt 0x0
	s_or_b32 exec_lo, exec_lo, s0
	s_wait_storecnt_dscnt 0x0
	s_barrier_signal -1
	s_barrier_wait -1
	s_clause 0x2
	scratch_load_b128 v[122:125], off, off offset:456
	scratch_load_b64 v[130:131], off, off offset:472
	scratch_load_b64 v[132:133], off, off offset:448
	v_mov_b32_e32 v7, 0
	ds_load_2addr_b64 v[126:129], v7 offset0:117 offset1:118
	ds_load_b64 v[134:135], v7 offset:952
	s_mov_b32 s0, exec_lo
	s_wait_dscnt 0x1
	v_dual_mov_b32 v136, v129 :: v_dual_mov_b32 v137, v128
	s_wait_loadcnt 0x2
	v_mov_b32_e32 v140, v125
	v_pk_mul_f32 v[138:139], v[126:127], v[122:123] op_sel:[1,1] op_sel_hi:[0,1]
	s_delay_alu instid0(VALU_DEP_2) | instskip(NEXT) | instid1(VALU_DEP_2)
	v_pk_mul_f32 v[136:137], v[136:137], v[140:141] op_sel_hi:[1,0]
	v_pk_fma_f32 v[142:143], v[126:127], v[122:123], v[138:139] op_sel_hi:[1,0,1]
	v_pk_fma_f32 v[122:123], v[126:127], v[122:123], v[138:139] neg_lo:[0,0,1] neg_hi:[0,0,1]
	s_wait_loadcnt_dscnt 0x100
	v_pk_mul_f32 v[138:139], v[134:135], v[130:131] op_sel:[1,1] op_sel_hi:[0,1]
	v_pk_fma_f32 v[126:127], v[128:129], v[124:125], v[136:137] op_sel_hi:[1,0,1]
	v_mov_b32_e32 v123, v143
	v_pk_fma_f32 v[124:125], v[128:129], v[124:125], v[136:137] neg_lo:[0,0,1] neg_hi:[0,0,1]
	s_delay_alu instid0(VALU_DEP_4) | instskip(NEXT) | instid1(VALU_DEP_4)
	v_pk_fma_f32 v[128:129], v[134:135], v[130:131], v[138:139] neg_lo:[0,0,1] neg_hi:[0,0,1]
	v_mov_b32_e32 v125, v127
	s_delay_alu instid0(VALU_DEP_4) | instskip(SKIP_1) | instid1(VALU_DEP_2)
	v_pk_add_f32 v[122:123], v[122:123], 0 op_sel_hi:[1,0]
	v_pk_fma_f32 v[126:127], v[134:135], v[130:131], v[138:139] op_sel_hi:[1,0,1]
	v_pk_add_f32 v[122:123], v[122:123], v[124:125]
	s_delay_alu instid0(VALU_DEP_2) | instskip(NEXT) | instid1(VALU_DEP_1)
	v_mov_b32_e32 v129, v127
	v_pk_add_f32 v[122:123], v[122:123], v[128:129]
	s_wait_loadcnt 0x0
	s_delay_alu instid0(VALU_DEP_1)
	v_pk_add_f32 v[122:123], v[132:133], v[122:123] neg_lo:[0,1] neg_hi:[0,1]
	scratch_store_b64 off, v[122:123], off offset:448
	s_wait_xcnt 0x0
	v_cmpx_lt_u32_e32 55, v0
	s_cbranch_execz .LBB59_263
; %bb.262:
	scratch_load_b64 v[122:123], off, off offset:440
	v_mov_b64_e32 v[124:125], 0
	scratch_store_b64 off, v[124:125], off offset:440
	s_wait_loadcnt 0x0
	ds_store_b64 v1, v[122:123]
.LBB59_263:
	s_wait_xcnt 0x0
	s_or_b32 exec_lo, exec_lo, s0
	s_wait_storecnt_dscnt 0x0
	s_barrier_signal -1
	s_barrier_wait -1
	s_clause 0x2
	scratch_load_b128 v[122:125], off, off offset:448
	scratch_load_b128 v[126:129], off, off offset:464
	scratch_load_b64 v[138:139], off, off offset:440
	ds_load_b128 v[130:133], v7 offset:928
	ds_load_b128 v[134:137], v7 offset:944
	s_mov_b32 s0, exec_lo
	s_wait_dscnt 0x1
	v_dual_mov_b32 v140, v133 :: v_dual_mov_b32 v141, v132
	s_wait_loadcnt_dscnt 0x200
	v_dual_mov_b32 v146, v137 :: v_dual_mov_b32 v144, v125
	v_pk_mul_f32 v[142:143], v[130:131], v[122:123] op_sel:[1,1] op_sel_hi:[0,1]
	s_delay_alu instid0(VALU_DEP_2) | instskip(NEXT) | instid1(VALU_DEP_2)
	v_pk_mul_f32 v[140:141], v[140:141], v[144:145] op_sel_hi:[1,0]
	v_pk_fma_f32 v[148:149], v[130:131], v[122:123], v[142:143] op_sel_hi:[1,0,1]
	v_pk_fma_f32 v[122:123], v[130:131], v[122:123], v[142:143] neg_lo:[0,0,1] neg_hi:[0,0,1]
	v_mov_b32_e32 v147, v136
	s_wait_loadcnt 0x1
	v_pk_mul_f32 v[144:145], v[134:135], v[126:127] op_sel:[1,1] op_sel_hi:[0,1]
	v_pk_fma_f32 v[130:131], v[132:133], v[124:125], v[140:141] op_sel_hi:[1,0,1]
	v_dual_mov_b32 v123, v149 :: v_dual_mov_b32 v130, v129
	v_pk_fma_f32 v[124:125], v[132:133], v[124:125], v[140:141] neg_lo:[0,0,1] neg_hi:[0,0,1]
	s_delay_alu instid0(VALU_DEP_4) | instskip(NEXT) | instid1(VALU_DEP_4)
	v_pk_fma_f32 v[142:143], v[134:135], v[126:127], v[144:145] op_sel_hi:[1,0,1]
	v_mov_b32_e32 v125, v131
	s_delay_alu instid0(VALU_DEP_4) | instskip(SKIP_2) | instid1(VALU_DEP_3)
	v_pk_add_f32 v[122:123], v[122:123], 0 op_sel_hi:[1,0]
	v_pk_mul_f32 v[130:131], v[146:147], v[130:131] op_sel_hi:[1,0]
	v_pk_fma_f32 v[126:127], v[134:135], v[126:127], v[144:145] neg_lo:[0,0,1] neg_hi:[0,0,1]
	v_pk_add_f32 v[122:123], v[122:123], v[124:125]
	s_delay_alu instid0(VALU_DEP_3) | instskip(SKIP_2) | instid1(VALU_DEP_3)
	v_pk_fma_f32 v[124:125], v[136:137], v[128:129], v[130:131] op_sel_hi:[1,0,1]
	v_mov_b32_e32 v127, v143
	v_pk_fma_f32 v[128:129], v[136:137], v[128:129], v[130:131] neg_lo:[0,0,1] neg_hi:[0,0,1]
	v_mov_b32_e32 v129, v125
	s_delay_alu instid0(VALU_DEP_3) | instskip(NEXT) | instid1(VALU_DEP_1)
	v_pk_add_f32 v[122:123], v[122:123], v[126:127]
	v_pk_add_f32 v[122:123], v[122:123], v[128:129]
	s_wait_loadcnt 0x0
	s_delay_alu instid0(VALU_DEP_1)
	v_pk_add_f32 v[122:123], v[138:139], v[122:123] neg_lo:[0,1] neg_hi:[0,1]
	scratch_store_b64 off, v[122:123], off offset:440
	s_wait_xcnt 0x0
	v_cmpx_lt_u32_e32 54, v0
	s_cbranch_execz .LBB59_265
; %bb.264:
	scratch_load_b64 v[122:123], off, off offset:432
	v_mov_b64_e32 v[124:125], 0
	scratch_store_b64 off, v[124:125], off offset:432
	s_wait_loadcnt 0x0
	ds_store_b64 v1, v[122:123]
.LBB59_265:
	s_wait_xcnt 0x0
	s_or_b32 exec_lo, exec_lo, s0
	s_wait_storecnt_dscnt 0x0
	s_barrier_signal -1
	s_barrier_wait -1
	s_clause 0x3
	scratch_load_b128 v[122:125], off, off offset:440
	scratch_load_b128 v[126:129], off, off offset:456
	scratch_load_b64 v[138:139], off, off offset:472
	scratch_load_b64 v[140:141], off, off offset:432
	v_mov_b32_e32 v7, 0
	ds_load_2addr_b64 v[130:133], v7 offset0:115 offset1:116
	ds_load_2addr_b64 v[134:137], v7 offset0:117 offset1:118
	s_mov_b32 s0, exec_lo
	s_wait_dscnt 0x1
	v_dual_mov_b32 v142, v133 :: v_dual_mov_b32 v143, v132
	ds_load_b64 v[148:149], v7 offset:952
	s_wait_dscnt 0x1
	v_dual_mov_b32 v150, v137 :: v_dual_mov_b32 v151, v136
	s_wait_loadcnt 0x3
	v_pk_mul_f32 v[144:145], v[130:131], v[122:123] op_sel:[1,1] op_sel_hi:[0,1]
	v_mov_b32_e32 v146, v125
	s_delay_alu instid0(VALU_DEP_2) | instskip(NEXT) | instid1(VALU_DEP_2)
	v_pk_fma_f32 v[152:153], v[130:131], v[122:123], v[144:145] op_sel_hi:[1,0,1]
	v_pk_mul_f32 v[142:143], v[142:143], v[146:147] op_sel_hi:[1,0]
	v_pk_fma_f32 v[122:123], v[130:131], v[122:123], v[144:145] neg_lo:[0,0,1] neg_hi:[0,0,1]
	s_wait_loadcnt 0x2
	v_pk_mul_f32 v[146:147], v[134:135], v[126:127] op_sel:[1,1] op_sel_hi:[0,1]
	v_dual_mov_b32 v152, v129 :: v_dual_mov_b32 v123, v153
	v_pk_fma_f32 v[130:131], v[132:133], v[124:125], v[142:143] op_sel_hi:[1,0,1]
	v_pk_fma_f32 v[124:125], v[132:133], v[124:125], v[142:143] neg_lo:[0,0,1] neg_hi:[0,0,1]
	s_delay_alu instid0(VALU_DEP_4) | instskip(NEXT) | instid1(VALU_DEP_4)
	v_pk_fma_f32 v[144:145], v[134:135], v[126:127], v[146:147] op_sel_hi:[1,0,1]
	v_pk_mul_f32 v[150:151], v[150:151], v[152:153] op_sel_hi:[1,0]
	v_pk_add_f32 v[122:123], v[122:123], 0 op_sel_hi:[1,0]
	v_mov_b32_e32 v125, v131
	v_pk_fma_f32 v[126:127], v[134:135], v[126:127], v[146:147] neg_lo:[0,0,1] neg_hi:[0,0,1]
	v_mov_b32_e32 v127, v145
	v_pk_fma_f32 v[130:131], v[136:137], v[128:129], v[150:151] op_sel_hi:[1,0,1]
	v_pk_fma_f32 v[128:129], v[136:137], v[128:129], v[150:151] neg_lo:[0,0,1] neg_hi:[0,0,1]
	v_pk_add_f32 v[122:123], v[122:123], v[124:125]
	s_wait_loadcnt_dscnt 0x100
	v_pk_mul_f32 v[124:125], v[148:149], v[138:139] op_sel:[1,1] op_sel_hi:[0,1]
	s_delay_alu instid0(VALU_DEP_2) | instskip(NEXT) | instid1(VALU_DEP_2)
	v_pk_add_f32 v[122:123], v[122:123], v[126:127]
	v_pk_fma_f32 v[126:127], v[148:149], v[138:139], v[124:125] op_sel_hi:[1,0,1]
	v_mov_b32_e32 v129, v131
	v_pk_fma_f32 v[124:125], v[148:149], v[138:139], v[124:125] neg_lo:[0,0,1] neg_hi:[0,0,1]
	s_delay_alu instid0(VALU_DEP_3) | instskip(NEXT) | instid1(VALU_DEP_3)
	v_mov_b32_e32 v125, v127
	v_pk_add_f32 v[122:123], v[122:123], v[128:129]
	s_delay_alu instid0(VALU_DEP_1) | instskip(SKIP_1) | instid1(VALU_DEP_1)
	v_pk_add_f32 v[122:123], v[122:123], v[124:125]
	s_wait_loadcnt 0x0
	v_pk_add_f32 v[122:123], v[140:141], v[122:123] neg_lo:[0,1] neg_hi:[0,1]
	scratch_store_b64 off, v[122:123], off offset:432
	s_wait_xcnt 0x0
	v_cmpx_lt_u32_e32 53, v0
	s_cbranch_execz .LBB59_267
; %bb.266:
	scratch_load_b64 v[122:123], off, off offset:424
	v_mov_b64_e32 v[124:125], 0
	scratch_store_b64 off, v[124:125], off offset:424
	s_wait_loadcnt 0x0
	ds_store_b64 v1, v[122:123]
.LBB59_267:
	s_wait_xcnt 0x0
	s_or_b32 exec_lo, exec_lo, s0
	s_wait_storecnt_dscnt 0x0
	s_barrier_signal -1
	s_barrier_wait -1
	s_clause 0x3
	scratch_load_b128 v[122:125], off, off offset:432
	scratch_load_b128 v[126:129], off, off offset:448
	;; [unrolled: 1-line block ×3, first 2 shown]
	scratch_load_b64 v[146:147], off, off offset:424
	ds_load_b128 v[134:137], v7 offset:912
	ds_load_b128 v[138:141], v7 offset:928
	;; [unrolled: 1-line block ×3, first 2 shown]
	s_mov_b32 s0, exec_lo
	s_wait_dscnt 0x2
	v_dual_mov_b32 v148, v137 :: v_dual_mov_b32 v149, v136
	s_wait_dscnt 0x1
	v_dual_mov_b32 v150, v141 :: v_dual_mov_b32 v151, v140
	;; [unrolled: 2-line block ×3, first 2 shown]
	s_wait_loadcnt 0x3
	v_pk_mul_f32 v[152:153], v[134:135], v[122:123] op_sel:[1,1] op_sel_hi:[0,1]
	v_mov_b32_e32 v154, v125
	s_delay_alu instid0(VALU_DEP_2) | instskip(NEXT) | instid1(VALU_DEP_2)
	v_pk_fma_f32 v[158:159], v[134:135], v[122:123], v[152:153] op_sel_hi:[1,0,1]
	v_pk_mul_f32 v[148:149], v[148:149], v[154:155] op_sel_hi:[1,0]
	v_pk_fma_f32 v[122:123], v[134:135], v[122:123], v[152:153] neg_lo:[0,0,1] neg_hi:[0,0,1]
	s_wait_loadcnt 0x2
	v_pk_mul_f32 v[154:155], v[138:139], v[126:127] op_sel:[1,1] op_sel_hi:[0,1]
	v_mov_b32_e32 v158, v129
	v_pk_fma_f32 v[134:135], v[136:137], v[124:125], v[148:149] op_sel_hi:[1,0,1]
	v_mov_b32_e32 v123, v159
	v_pk_fma_f32 v[124:125], v[136:137], v[124:125], v[148:149] neg_lo:[0,0,1] neg_hi:[0,0,1]
	v_pk_fma_f32 v[152:153], v[138:139], v[126:127], v[154:155] op_sel_hi:[1,0,1]
	v_pk_mul_f32 v[150:151], v[150:151], v[158:159] op_sel_hi:[1,0]
	v_mov_b32_e32 v125, v135
	v_pk_add_f32 v[122:123], v[122:123], 0 op_sel_hi:[1,0]
	v_pk_fma_f32 v[126:127], v[138:139], v[126:127], v[154:155] neg_lo:[0,0,1] neg_hi:[0,0,1]
	s_wait_loadcnt 0x1
	v_pk_mul_f32 v[134:135], v[142:143], v[130:131] op_sel:[1,1] op_sel_hi:[0,1]
	v_mov_b32_e32 v127, v153
	v_pk_fma_f32 v[136:137], v[140:141], v[128:129], v[150:151] op_sel_hi:[1,0,1]
	v_pk_add_f32 v[122:123], v[122:123], v[124:125]
	v_mov_b32_e32 v124, v133
	v_pk_fma_f32 v[128:129], v[140:141], v[128:129], v[150:151] neg_lo:[0,0,1] neg_hi:[0,0,1]
	v_pk_fma_f32 v[138:139], v[142:143], v[130:131], v[134:135] op_sel_hi:[1,0,1]
	v_mov_b32_e32 v129, v137
	v_pk_add_f32 v[122:123], v[122:123], v[126:127]
	v_pk_mul_f32 v[124:125], v[156:157], v[124:125] op_sel_hi:[1,0]
	v_pk_fma_f32 v[126:127], v[142:143], v[130:131], v[134:135] neg_lo:[0,0,1] neg_hi:[0,0,1]
	v_mov_b32_e32 v127, v139
	s_delay_alu instid0(VALU_DEP_4) | instskip(NEXT) | instid1(VALU_DEP_4)
	v_pk_add_f32 v[122:123], v[122:123], v[128:129]
	v_pk_fma_f32 v[128:129], v[144:145], v[132:133], v[124:125] op_sel_hi:[1,0,1]
	v_pk_fma_f32 v[124:125], v[144:145], v[132:133], v[124:125] neg_lo:[0,0,1] neg_hi:[0,0,1]
	s_delay_alu instid0(VALU_DEP_3) | instskip(NEXT) | instid1(VALU_DEP_3)
	v_pk_add_f32 v[122:123], v[122:123], v[126:127]
	v_mov_b32_e32 v125, v129
	s_delay_alu instid0(VALU_DEP_1) | instskip(SKIP_1) | instid1(VALU_DEP_1)
	v_pk_add_f32 v[122:123], v[122:123], v[124:125]
	s_wait_loadcnt 0x0
	v_pk_add_f32 v[122:123], v[146:147], v[122:123] neg_lo:[0,1] neg_hi:[0,1]
	scratch_store_b64 off, v[122:123], off offset:424
	s_wait_xcnt 0x0
	v_cmpx_lt_u32_e32 52, v0
	s_cbranch_execz .LBB59_269
; %bb.268:
	scratch_load_b64 v[122:123], off, off offset:416
	v_mov_b64_e32 v[124:125], 0
	scratch_store_b64 off, v[124:125], off offset:416
	s_wait_loadcnt 0x0
	ds_store_b64 v1, v[122:123]
.LBB59_269:
	s_wait_xcnt 0x0
	s_or_b32 exec_lo, exec_lo, s0
	s_wait_storecnt_dscnt 0x0
	s_barrier_signal -1
	s_barrier_wait -1
	s_clause 0x4
	scratch_load_b128 v[122:125], off, off offset:424
	scratch_load_b128 v[126:129], off, off offset:440
	;; [unrolled: 1-line block ×3, first 2 shown]
	scratch_load_b64 v[146:147], off, off offset:472
	scratch_load_b64 v[148:149], off, off offset:416
	v_mov_b32_e32 v7, 0
	ds_load_2addr_b64 v[134:137], v7 offset0:113 offset1:114
	ds_load_2addr_b64 v[138:141], v7 offset0:115 offset1:116
	;; [unrolled: 1-line block ×3, first 2 shown]
	ds_load_b64 v[150:151], v7 offset:952
	s_mov_b32 s0, exec_lo
	s_wait_dscnt 0x3
	v_dual_mov_b32 v152, v137 :: v_dual_mov_b32 v153, v136
	s_wait_dscnt 0x2
	v_dual_mov_b32 v154, v141 :: v_dual_mov_b32 v155, v140
	s_wait_dscnt 0x1
	v_dual_mov_b32 v160, v145 :: v_dual_mov_b32 v161, v144
	s_wait_loadcnt 0x4
	v_pk_mul_f32 v[156:157], v[134:135], v[122:123] op_sel:[1,1] op_sel_hi:[0,1]
	v_mov_b32_e32 v158, v125
	s_wait_loadcnt 0x3
	v_pk_mul_f32 v[162:163], v[138:139], v[126:127] op_sel:[1,1] op_sel_hi:[0,1]
	s_wait_loadcnt 0x2
	v_pk_mul_f32 v[166:167], v[142:143], v[130:131] op_sel:[1,1] op_sel_hi:[0,1]
	v_pk_fma_f32 v[164:165], v[134:135], v[122:123], v[156:157] op_sel_hi:[1,0,1]
	v_pk_mul_f32 v[152:153], v[152:153], v[158:159] op_sel_hi:[1,0]
	v_pk_fma_f32 v[122:123], v[134:135], v[122:123], v[156:157] neg_lo:[0,0,1] neg_hi:[0,0,1]
	v_mov_b32_e32 v158, v129
	v_pk_fma_f32 v[156:157], v[138:139], v[126:127], v[162:163] op_sel_hi:[1,0,1]
	v_mov_b32_e32 v123, v165
	v_pk_fma_f32 v[134:135], v[136:137], v[124:125], v[152:153] op_sel_hi:[1,0,1]
	v_pk_fma_f32 v[124:125], v[136:137], v[124:125], v[152:153] neg_lo:[0,0,1] neg_hi:[0,0,1]
	v_pk_mul_f32 v[154:155], v[154:155], v[158:159] op_sel_hi:[1,0]
	v_pk_fma_f32 v[126:127], v[138:139], v[126:127], v[162:163] neg_lo:[0,0,1] neg_hi:[0,0,1]
	v_pk_add_f32 v[122:123], v[122:123], 0 op_sel_hi:[1,0]
	v_dual_mov_b32 v125, v135 :: v_dual_mov_b32 v134, v133
	s_delay_alu instid0(VALU_DEP_4) | instskip(SKIP_2) | instid1(VALU_DEP_4)
	v_pk_fma_f32 v[136:137], v[140:141], v[128:129], v[154:155] op_sel_hi:[1,0,1]
	v_mov_b32_e32 v127, v157
	v_pk_fma_f32 v[128:129], v[140:141], v[128:129], v[154:155] neg_lo:[0,0,1] neg_hi:[0,0,1]
	v_pk_add_f32 v[122:123], v[122:123], v[124:125]
	v_pk_fma_f32 v[124:125], v[142:143], v[130:131], v[166:167] op_sel_hi:[1,0,1]
	v_pk_mul_f32 v[134:135], v[160:161], v[134:135] op_sel_hi:[1,0]
	v_mov_b32_e32 v129, v137
	s_delay_alu instid0(VALU_DEP_4)
	v_pk_add_f32 v[122:123], v[122:123], v[126:127]
	v_pk_fma_f32 v[126:127], v[142:143], v[130:131], v[166:167] neg_lo:[0,0,1] neg_hi:[0,0,1]
	v_mov_b32_e32 v127, v125
	v_pk_fma_f32 v[124:125], v[144:145], v[132:133], v[134:135] op_sel_hi:[1,0,1]
	v_pk_fma_f32 v[130:131], v[144:145], v[132:133], v[134:135] neg_lo:[0,0,1] neg_hi:[0,0,1]
	v_pk_add_f32 v[122:123], v[122:123], v[128:129]
	s_wait_loadcnt_dscnt 0x100
	v_pk_mul_f32 v[128:129], v[150:151], v[146:147] op_sel:[1,1] op_sel_hi:[0,1]
	v_mov_b32_e32 v131, v125
	s_delay_alu instid0(VALU_DEP_3) | instskip(NEXT) | instid1(VALU_DEP_3)
	v_pk_add_f32 v[122:123], v[122:123], v[126:127]
	v_pk_fma_f32 v[124:125], v[150:151], v[146:147], v[128:129] op_sel_hi:[1,0,1]
	v_pk_fma_f32 v[126:127], v[150:151], v[146:147], v[128:129] neg_lo:[0,0,1] neg_hi:[0,0,1]
	s_delay_alu instid0(VALU_DEP_3) | instskip(NEXT) | instid1(VALU_DEP_3)
	v_pk_add_f32 v[122:123], v[122:123], v[130:131]
	v_mov_b32_e32 v127, v125
	s_delay_alu instid0(VALU_DEP_1) | instskip(SKIP_1) | instid1(VALU_DEP_1)
	v_pk_add_f32 v[122:123], v[122:123], v[126:127]
	s_wait_loadcnt 0x0
	v_pk_add_f32 v[122:123], v[148:149], v[122:123] neg_lo:[0,1] neg_hi:[0,1]
	scratch_store_b64 off, v[122:123], off offset:416
	s_wait_xcnt 0x0
	v_cmpx_lt_u32_e32 51, v0
	s_cbranch_execz .LBB59_271
; %bb.270:
	scratch_load_b64 v[122:123], off, off offset:408
	v_mov_b64_e32 v[124:125], 0
	scratch_store_b64 off, v[124:125], off offset:408
	s_wait_loadcnt 0x0
	ds_store_b64 v1, v[122:123]
.LBB59_271:
	s_wait_xcnt 0x0
	s_or_b32 exec_lo, exec_lo, s0
	s_wait_storecnt_dscnt 0x0
	s_barrier_signal -1
	s_barrier_wait -1
	s_clause 0x4
	scratch_load_b128 v[122:125], off, off offset:416
	scratch_load_b128 v[126:129], off, off offset:432
	;; [unrolled: 1-line block ×4, first 2 shown]
	scratch_load_b64 v[154:155], off, off offset:408
	ds_load_b128 v[138:141], v7 offset:896
	ds_load_b128 v[142:145], v7 offset:912
	;; [unrolled: 1-line block ×4, first 2 shown]
	s_mov_b32 s0, exec_lo
	s_wait_dscnt 0x3
	v_dual_mov_b32 v156, v141 :: v_dual_mov_b32 v157, v140
	s_wait_dscnt 0x2
	v_dual_mov_b32 v158, v145 :: v_dual_mov_b32 v159, v144
	;; [unrolled: 2-line block ×3, first 2 shown]
	v_dual_mov_b32 v161, v148 :: v_dual_mov_b32 v166, v153
	s_wait_loadcnt 0x4
	v_mov_b32_e32 v164, v125
	v_pk_mul_f32 v[162:163], v[138:139], v[122:123] op_sel:[1,1] op_sel_hi:[0,1]
	s_wait_loadcnt 0x3
	v_pk_mul_f32 v[168:169], v[142:143], v[126:127] op_sel:[1,1] op_sel_hi:[0,1]
	s_wait_loadcnt 0x2
	v_pk_mul_f32 v[172:173], v[146:147], v[130:131] op_sel:[1,1] op_sel_hi:[0,1]
	v_pk_mul_f32 v[156:157], v[156:157], v[164:165] op_sel_hi:[1,0]
	v_pk_fma_f32 v[170:171], v[138:139], v[122:123], v[162:163] op_sel_hi:[1,0,1]
	v_pk_fma_f32 v[122:123], v[138:139], v[122:123], v[162:163] neg_lo:[0,0,1] neg_hi:[0,0,1]
	v_mov_b32_e32 v164, v129
	v_pk_fma_f32 v[162:163], v[142:143], v[126:127], v[168:169] op_sel_hi:[1,0,1]
	v_pk_fma_f32 v[138:139], v[140:141], v[124:125], v[156:157] op_sel_hi:[1,0,1]
	v_mov_b32_e32 v123, v171
	v_pk_fma_f32 v[124:125], v[140:141], v[124:125], v[156:157] neg_lo:[0,0,1] neg_hi:[0,0,1]
	v_pk_mul_f32 v[158:159], v[158:159], v[164:165] op_sel_hi:[1,0]
	s_delay_alu instid0(VALU_DEP_4) | instskip(NEXT) | instid1(VALU_DEP_4)
	v_dual_mov_b32 v138, v133 :: v_dual_mov_b32 v125, v139
	v_pk_add_f32 v[122:123], v[122:123], 0 op_sel_hi:[1,0]
	v_pk_fma_f32 v[126:127], v[142:143], v[126:127], v[168:169] neg_lo:[0,0,1] neg_hi:[0,0,1]
	v_mov_b32_e32 v127, v163
	v_pk_fma_f32 v[140:141], v[144:145], v[128:129], v[158:159] op_sel_hi:[1,0,1]
	v_pk_mul_f32 v[138:139], v[160:161], v[138:139] op_sel_hi:[1,0]
	v_pk_add_f32 v[122:123], v[122:123], v[124:125]
	v_pk_fma_f32 v[124:125], v[146:147], v[130:131], v[172:173] op_sel_hi:[1,0,1]
	v_pk_fma_f32 v[128:129], v[144:145], v[128:129], v[158:159] neg_lo:[0,0,1] neg_hi:[0,0,1]
	v_mov_b32_e32 v129, v141
	v_pk_fma_f32 v[130:131], v[146:147], v[130:131], v[172:173] neg_lo:[0,0,1] neg_hi:[0,0,1]
	v_pk_add_f32 v[122:123], v[122:123], v[126:127]
	v_mov_b32_e32 v131, v125
	v_pk_fma_f32 v[124:125], v[148:149], v[132:133], v[138:139] op_sel_hi:[1,0,1]
	s_wait_loadcnt 0x1
	v_pk_mul_f32 v[126:127], v[150:151], v[134:135] op_sel:[1,1] op_sel_hi:[0,1]
	v_mov_b32_e32 v124, v137
	v_pk_add_f32 v[122:123], v[122:123], v[128:129]
	v_pk_fma_f32 v[132:133], v[148:149], v[132:133], v[138:139] neg_lo:[0,0,1] neg_hi:[0,0,1]
	v_mov_b32_e32 v133, v125
	v_pk_fma_f32 v[128:129], v[150:151], v[134:135], v[126:127] op_sel_hi:[1,0,1]
	v_pk_mul_f32 v[124:125], v[166:167], v[124:125] op_sel_hi:[1,0]
	v_pk_add_f32 v[122:123], v[122:123], v[130:131]
	v_pk_fma_f32 v[126:127], v[150:151], v[134:135], v[126:127] neg_lo:[0,0,1] neg_hi:[0,0,1]
	s_delay_alu instid0(VALU_DEP_4) | instskip(NEXT) | instid1(VALU_DEP_4)
	v_mov_b32_e32 v127, v129
	v_pk_fma_f32 v[128:129], v[152:153], v[136:137], v[124:125] op_sel_hi:[1,0,1]
	s_delay_alu instid0(VALU_DEP_4) | instskip(SKIP_1) | instid1(VALU_DEP_3)
	v_pk_add_f32 v[122:123], v[122:123], v[132:133]
	v_pk_fma_f32 v[124:125], v[152:153], v[136:137], v[124:125] neg_lo:[0,0,1] neg_hi:[0,0,1]
	v_mov_b32_e32 v125, v129
	s_delay_alu instid0(VALU_DEP_3) | instskip(NEXT) | instid1(VALU_DEP_1)
	v_pk_add_f32 v[122:123], v[122:123], v[126:127]
	v_pk_add_f32 v[122:123], v[122:123], v[124:125]
	s_wait_loadcnt 0x0
	s_delay_alu instid0(VALU_DEP_1)
	v_pk_add_f32 v[122:123], v[154:155], v[122:123] neg_lo:[0,1] neg_hi:[0,1]
	scratch_store_b64 off, v[122:123], off offset:408
	s_wait_xcnt 0x0
	v_cmpx_lt_u32_e32 50, v0
	s_cbranch_execz .LBB59_273
; %bb.272:
	scratch_load_b64 v[122:123], off, off offset:400
	v_mov_b64_e32 v[124:125], 0
	scratch_store_b64 off, v[124:125], off offset:400
	s_wait_loadcnt 0x0
	ds_store_b64 v1, v[122:123]
.LBB59_273:
	s_wait_xcnt 0x0
	s_or_b32 exec_lo, exec_lo, s0
	s_wait_storecnt_dscnt 0x0
	s_barrier_signal -1
	s_barrier_wait -1
	s_clause 0x5
	scratch_load_b128 v[122:125], off, off offset:408
	scratch_load_b128 v[126:129], off, off offset:424
	scratch_load_b128 v[130:133], off, off offset:440
	scratch_load_b128 v[134:137], off, off offset:456
	scratch_load_b64 v[154:155], off, off offset:472
	scratch_load_b64 v[156:157], off, off offset:400
	v_mov_b32_e32 v7, 0
	ds_load_2addr_b64 v[138:141], v7 offset0:111 offset1:112
	ds_load_2addr_b64 v[142:145], v7 offset0:113 offset1:114
	;; [unrolled: 1-line block ×4, first 2 shown]
	ds_load_b64 v[158:159], v7 offset:952
	s_mov_b32 s0, exec_lo
	s_wait_dscnt 0x4
	v_dual_mov_b32 v160, v141 :: v_dual_mov_b32 v161, v140
	s_wait_dscnt 0x1
	v_dual_mov_b32 v162, v145 :: v_dual_mov_b32 v167, v152
	v_dual_mov_b32 v163, v144 :: v_dual_mov_b32 v164, v149
	;; [unrolled: 1-line block ×3, first 2 shown]
	s_wait_loadcnt 0x5
	v_dual_mov_b32 v168, v125 :: v_dual_mul_f32 v169, v138, v123
	v_mul_f32_e32 v9, v139, v123
	s_wait_loadcnt 0x4
	v_pk_mul_f32 v[170:171], v[142:143], v[126:127] op_sel:[1,1] op_sel_hi:[0,1]
	v_mov_b32_e32 v172, v129
	s_wait_loadcnt 0x3
	v_pk_mul_f32 v[174:175], v[146:147], v[130:131] op_sel:[1,1] op_sel_hi:[0,1]
	v_pk_mul_f32 v[160:161], v[160:161], v[168:169] op_sel_hi:[1,0]
	v_fmac_f32_e32 v169, v139, v122
	v_dual_fma_f32 v168, v138, v122, -v9 :: v_dual_mov_b32 v122, v133
	v_pk_fma_f32 v[176:177], v[142:143], v[126:127], v[170:171] op_sel_hi:[1,0,1]
	s_delay_alu instid0(VALU_DEP_4)
	v_pk_fma_f32 v[138:139], v[140:141], v[124:125], v[160:161] op_sel_hi:[1,0,1]
	v_pk_fma_f32 v[124:125], v[140:141], v[124:125], v[160:161] neg_lo:[0,0,1] neg_hi:[0,0,1]
	v_pk_mul_f32 v[162:163], v[162:163], v[172:173] op_sel_hi:[1,0]
	v_pk_add_f32 v[168:169], v[168:169], 0 op_sel_hi:[1,0]
	v_pk_fma_f32 v[126:127], v[142:143], v[126:127], v[170:171] neg_lo:[0,0,1] neg_hi:[0,0,1]
	v_dual_mov_b32 v125, v139 :: v_dual_mov_b32 v127, v177
	s_delay_alu instid0(VALU_DEP_4) | instskip(SKIP_2) | instid1(VALU_DEP_4)
	v_pk_fma_f32 v[140:141], v[144:145], v[128:129], v[162:163] op_sel_hi:[1,0,1]
	v_pk_fma_f32 v[128:129], v[144:145], v[128:129], v[162:163] neg_lo:[0,0,1] neg_hi:[0,0,1]
	v_pk_fma_f32 v[142:143], v[146:147], v[130:131], v[174:175] op_sel_hi:[1,0,1]
	v_pk_add_f32 v[124:125], v[168:169], v[124:125]
	v_pk_mul_f32 v[122:123], v[164:165], v[122:123] op_sel_hi:[1,0]
	v_mov_b32_e32 v129, v141
	v_pk_fma_f32 v[130:131], v[146:147], v[130:131], v[174:175] neg_lo:[0,0,1] neg_hi:[0,0,1]
	s_wait_loadcnt 0x2
	v_pk_mul_f32 v[138:139], v[150:151], v[134:135] op_sel:[1,1] op_sel_hi:[0,1]
	v_pk_add_f32 v[124:125], v[124:125], v[126:127]
	v_mov_b32_e32 v126, v137
	v_pk_fma_f32 v[140:141], v[148:149], v[132:133], v[122:123] op_sel_hi:[1,0,1]
	v_mov_b32_e32 v131, v143
	v_pk_fma_f32 v[122:123], v[148:149], v[132:133], v[122:123] neg_lo:[0,0,1] neg_hi:[0,0,1]
	v_pk_add_f32 v[124:125], v[124:125], v[128:129]
	v_pk_fma_f32 v[128:129], v[150:151], v[134:135], v[138:139] op_sel_hi:[1,0,1]
	v_pk_mul_f32 v[126:127], v[166:167], v[126:127] op_sel_hi:[1,0]
	v_mov_b32_e32 v123, v141
	s_delay_alu instid0(VALU_DEP_4)
	v_pk_add_f32 v[124:125], v[124:125], v[130:131]
	v_pk_fma_f32 v[130:131], v[150:151], v[134:135], v[138:139] neg_lo:[0,0,1] neg_hi:[0,0,1]
	v_mov_b32_e32 v131, v129
	v_pk_fma_f32 v[128:129], v[152:153], v[136:137], v[126:127] op_sel_hi:[1,0,1]
	v_pk_fma_f32 v[126:127], v[152:153], v[136:137], v[126:127] neg_lo:[0,0,1] neg_hi:[0,0,1]
	v_pk_add_f32 v[122:123], v[124:125], v[122:123]
	s_wait_loadcnt_dscnt 0x100
	v_pk_mul_f32 v[124:125], v[158:159], v[154:155] op_sel:[1,1] op_sel_hi:[0,1]
	v_mov_b32_e32 v127, v129
	s_delay_alu instid0(VALU_DEP_3) | instskip(NEXT) | instid1(VALU_DEP_3)
	v_pk_add_f32 v[122:123], v[122:123], v[130:131]
	v_pk_fma_f32 v[128:129], v[158:159], v[154:155], v[124:125] op_sel_hi:[1,0,1]
	v_pk_fma_f32 v[124:125], v[158:159], v[154:155], v[124:125] neg_lo:[0,0,1] neg_hi:[0,0,1]
	s_delay_alu instid0(VALU_DEP_3) | instskip(NEXT) | instid1(VALU_DEP_3)
	v_pk_add_f32 v[122:123], v[122:123], v[126:127]
	v_mov_b32_e32 v125, v129
	s_delay_alu instid0(VALU_DEP_1) | instskip(SKIP_1) | instid1(VALU_DEP_1)
	v_pk_add_f32 v[122:123], v[122:123], v[124:125]
	s_wait_loadcnt 0x0
	v_pk_add_f32 v[122:123], v[156:157], v[122:123] neg_lo:[0,1] neg_hi:[0,1]
	scratch_store_b64 off, v[122:123], off offset:400
	s_wait_xcnt 0x0
	v_cmpx_lt_u32_e32 49, v0
	s_cbranch_execz .LBB59_275
; %bb.274:
	scratch_load_b64 v[122:123], off, off offset:392
	v_mov_b64_e32 v[124:125], 0
	scratch_store_b64 off, v[124:125], off offset:392
	s_wait_loadcnt 0x0
	ds_store_b64 v1, v[122:123]
.LBB59_275:
	s_wait_xcnt 0x0
	s_or_b32 exec_lo, exec_lo, s0
	s_wait_storecnt_dscnt 0x0
	s_barrier_signal -1
	s_barrier_wait -1
	s_clause 0x5
	scratch_load_b128 v[122:125], off, off offset:400
	scratch_load_b128 v[126:129], off, off offset:416
	;; [unrolled: 1-line block ×5, first 2 shown]
	scratch_load_b64 v[162:163], off, off offset:392
	ds_load_b128 v[142:145], v7 offset:896
	ds_load_b128 v[146:149], v7 offset:912
	;; [unrolled: 1-line block ×5, first 2 shown]
	s_mov_b32 s0, exec_lo
	s_wait_dscnt 0x4
	v_dual_mov_b32 v164, v145 :: v_dual_mov_b32 v165, v144
	s_wait_dscnt 0x3
	v_dual_mov_b32 v166, v149 :: v_dual_mov_b32 v167, v148
	;; [unrolled: 2-line block ×4, first 2 shown]
	s_wait_loadcnt_dscnt 0x500
	v_dual_mul_f32 v173, v158, v123 :: v_dual_mul_f32 v175, v160, v125
	v_dual_mul_f32 v7, v159, v123 :: v_dual_mul_f32 v9, v161, v125
	s_wait_loadcnt 0x4
	v_pk_mul_f32 v[176:177], v[142:143], v[126:127] op_sel:[1,1] op_sel_hi:[0,1]
	s_wait_loadcnt 0x3
	v_dual_mov_b32 v178, v129 :: v_dual_mov_b32 v182, v133
	v_dual_fmac_f32 v173, v159, v122 :: v_dual_fma_f32 v172, v158, v122, -v7
	v_dual_fmac_f32 v175, v161, v124 :: v_dual_fma_f32 v174, v160, v124, -v9
	v_pk_fma_f32 v[122:123], v[142:143], v[126:127], v[176:177] op_sel_hi:[1,0,1]
	s_delay_alu instid0(VALU_DEP_4) | instskip(NEXT) | instid1(VALU_DEP_4)
	v_pk_mul_f32 v[124:125], v[164:165], v[178:179] op_sel_hi:[1,0]
	v_pk_add_f32 v[158:159], v[172:173], 0 op_sel_hi:[1,0]
	v_pk_fma_f32 v[126:127], v[142:143], v[126:127], v[176:177] neg_lo:[0,0,1] neg_hi:[0,0,1]
	v_pk_mul_f32 v[180:181], v[146:147], v[130:131] op_sel:[1,1] op_sel_hi:[0,1]
	v_mov_b32_e32 v127, v123
	v_pk_fma_f32 v[122:123], v[144:145], v[128:129], v[124:125] op_sel_hi:[1,0,1]
	v_pk_add_f32 v[142:143], v[158:159], v[174:175]
	v_pk_fma_f32 v[124:125], v[144:145], v[128:129], v[124:125] neg_lo:[0,0,1] neg_hi:[0,0,1]
	v_pk_fma_f32 v[158:159], v[146:147], v[130:131], v[180:181] op_sel_hi:[1,0,1]
	v_pk_mul_f32 v[164:165], v[166:167], v[182:183] op_sel_hi:[1,0]
	v_mov_b32_e32 v125, v123
	v_pk_add_f32 v[122:123], v[142:143], v[126:127]
	s_wait_loadcnt 0x2
	v_pk_mul_f32 v[160:161], v[150:151], v[134:135] op_sel:[1,1] op_sel_hi:[0,1]
	v_mov_b32_e32 v126, v137
	v_pk_fma_f32 v[128:129], v[146:147], v[130:131], v[180:181] neg_lo:[0,0,1] neg_hi:[0,0,1]
	v_mov_b32_e32 v129, v159
	v_pk_fma_f32 v[130:131], v[148:149], v[132:133], v[164:165] op_sel_hi:[1,0,1]
	v_pk_add_f32 v[122:123], v[122:123], v[124:125]
	v_pk_fma_f32 v[124:125], v[150:151], v[134:135], v[160:161] op_sel_hi:[1,0,1]
	v_pk_mul_f32 v[126:127], v[168:169], v[126:127] op_sel_hi:[1,0]
	v_pk_fma_f32 v[132:133], v[148:149], v[132:133], v[164:165] neg_lo:[0,0,1] neg_hi:[0,0,1]
	v_mov_b32_e32 v133, v131
	v_pk_add_f32 v[122:123], v[122:123], v[128:129]
	v_pk_fma_f32 v[130:131], v[150:151], v[134:135], v[160:161] neg_lo:[0,0,1] neg_hi:[0,0,1]
	v_mov_b32_e32 v131, v125
	v_pk_fma_f32 v[124:125], v[152:153], v[136:137], v[126:127] op_sel_hi:[1,0,1]
	s_wait_loadcnt 0x1
	v_pk_mul_f32 v[128:129], v[154:155], v[138:139] op_sel:[1,1] op_sel_hi:[0,1]
	v_pk_add_f32 v[122:123], v[122:123], v[132:133]
	v_mov_b32_e32 v124, v141
	v_pk_fma_f32 v[126:127], v[152:153], v[136:137], v[126:127] neg_lo:[0,0,1] neg_hi:[0,0,1]
	v_mov_b32_e32 v127, v125
	v_pk_fma_f32 v[132:133], v[154:155], v[138:139], v[128:129] op_sel_hi:[1,0,1]
	v_pk_add_f32 v[122:123], v[122:123], v[130:131]
	v_pk_mul_f32 v[124:125], v[170:171], v[124:125] op_sel_hi:[1,0]
	v_pk_fma_f32 v[128:129], v[154:155], v[138:139], v[128:129] neg_lo:[0,0,1] neg_hi:[0,0,1]
	s_delay_alu instid0(VALU_DEP_3) | instskip(NEXT) | instid1(VALU_DEP_3)
	v_pk_add_f32 v[122:123], v[122:123], v[126:127]
	v_pk_fma_f32 v[126:127], v[156:157], v[140:141], v[124:125] op_sel_hi:[1,0,1]
	v_mov_b32_e32 v129, v133
	v_pk_fma_f32 v[124:125], v[156:157], v[140:141], v[124:125] neg_lo:[0,0,1] neg_hi:[0,0,1]
	s_delay_alu instid0(VALU_DEP_3) | instskip(NEXT) | instid1(VALU_DEP_3)
	v_mov_b32_e32 v125, v127
	v_pk_add_f32 v[122:123], v[122:123], v[128:129]
	s_delay_alu instid0(VALU_DEP_1) | instskip(SKIP_1) | instid1(VALU_DEP_1)
	v_pk_add_f32 v[122:123], v[122:123], v[124:125]
	s_wait_loadcnt 0x0
	v_pk_add_f32 v[122:123], v[162:163], v[122:123] neg_lo:[0,1] neg_hi:[0,1]
	scratch_store_b64 off, v[122:123], off offset:392
	s_wait_xcnt 0x0
	v_cmpx_lt_u32_e32 48, v0
	s_cbranch_execz .LBB59_277
; %bb.276:
	scratch_load_b64 v[122:123], off, off offset:384
	v_mov_b64_e32 v[124:125], 0
	scratch_store_b64 off, v[124:125], off offset:384
	s_wait_loadcnt 0x0
	ds_store_b64 v1, v[122:123]
.LBB59_277:
	s_wait_xcnt 0x0
	s_or_b32 exec_lo, exec_lo, s0
	s_wait_storecnt_dscnt 0x0
	s_barrier_signal -1
	s_barrier_wait -1
	s_clause 0x6
	scratch_load_b128 v[122:125], off, off offset:392
	scratch_load_b128 v[126:129], off, off offset:408
	;; [unrolled: 1-line block ×5, first 2 shown]
	scratch_load_b64 v[162:163], off, off offset:472
	scratch_load_b64 v[164:165], off, off offset:384
	v_mov_b32_e32 v7, 0
	ds_load_2addr_b64 v[142:145], v7 offset0:111 offset1:112
	ds_load_2addr_b64 v[146:149], v7 offset0:113 offset1:114
	;; [unrolled: 1-line block ×5, first 2 shown]
	ds_load_b64 v[166:167], v7 offset:952
	s_mov_b32 s0, exec_lo
	s_wait_dscnt 0x5
	v_dual_mov_b32 v168, v145 :: v_dual_mov_b32 v169, v144
	s_wait_dscnt 0x2
	v_dual_mov_b32 v170, v149 :: v_dual_mov_b32 v175, v156
	v_dual_mov_b32 v171, v148 :: v_dual_mov_b32 v172, v153
	;; [unrolled: 1-line block ×3, first 2 shown]
	s_wait_loadcnt_dscnt 0x601
	v_dual_mul_f32 v9, v158, v123 :: v_dual_mul_f32 v11, v159, v123
	v_dual_mul_f32 v13, v161, v125 :: v_dual_mul_f32 v177, v160, v125
	s_wait_loadcnt 0x5
	v_dual_mul_f32 v179, v142, v127 :: v_dual_mul_f32 v15, v143, v127
	s_wait_loadcnt 0x4
	v_dual_mov_b32 v178, v129 :: v_dual_mov_b32 v182, v133
	v_dual_fmac_f32 v9, v159, v122 :: v_dual_fma_f32 v11, v158, v122, -v11
	v_fmac_f32_e32 v177, v161, v124
	v_pk_mul_f32 v[180:181], v[146:147], v[130:131] op_sel:[1,1] op_sel_hi:[0,1]
	s_delay_alu instid0(VALU_DEP_3)
	v_dual_fma_f32 v176, v160, v124, -v13 :: v_dual_add_f32 v125, 0, v9
	v_pk_mul_f32 v[122:123], v[168:169], v[178:179] op_sel_hi:[1,0]
	s_wait_loadcnt 0x3
	v_dual_add_f32 v124, 0, v11 :: v_dual_mov_b32 v158, v137
	v_fmac_f32_e32 v179, v143, v126
	v_fma_f32 v178, v142, v126, -v15
	v_pk_fma_f32 v[126:127], v[144:145], v[128:129], v[122:123] op_sel_hi:[1,0,1]
	s_delay_alu instid0(VALU_DEP_4) | instskip(SKIP_4) | instid1(VALU_DEP_4)
	v_pk_add_f32 v[124:125], v[124:125], v[176:177]
	v_pk_fma_f32 v[142:143], v[146:147], v[130:131], v[180:181] op_sel_hi:[1,0,1]
	v_pk_fma_f32 v[122:123], v[144:145], v[128:129], v[122:123] neg_lo:[0,0,1] neg_hi:[0,0,1]
	v_pk_fma_f32 v[128:129], v[146:147], v[130:131], v[180:181] neg_lo:[0,0,1] neg_hi:[0,0,1]
	v_pk_mul_f32 v[160:161], v[170:171], v[182:183] op_sel_hi:[1,0]
	v_dual_mov_b32 v123, v127 :: v_dual_mov_b32 v129, v143
	v_pk_add_f32 v[124:125], v[124:125], v[178:179]
	v_pk_mul_f32 v[184:185], v[150:151], v[134:135] op_sel:[1,1] op_sel_hi:[0,1]
	s_delay_alu instid0(VALU_DEP_4)
	v_pk_fma_f32 v[130:131], v[148:149], v[132:133], v[160:161] op_sel_hi:[1,0,1]
	v_pk_fma_f32 v[132:133], v[148:149], v[132:133], v[160:161] neg_lo:[0,0,1] neg_hi:[0,0,1]
	v_pk_mul_f32 v[142:143], v[172:173], v[158:159] op_sel_hi:[1,0]
	v_pk_add_f32 v[122:123], v[124:125], v[122:123]
	v_pk_fma_f32 v[124:125], v[150:151], v[134:135], v[184:185] op_sel_hi:[1,0,1]
	s_wait_loadcnt 0x2
	v_dual_mov_b32 v133, v131 :: v_dual_mov_b32 v124, v141
	v_pk_mul_f32 v[126:127], v[154:155], v[138:139] op_sel:[1,1] op_sel_hi:[0,1]
	v_pk_add_f32 v[122:123], v[122:123], v[128:129]
	v_pk_fma_f32 v[128:129], v[150:151], v[134:135], v[184:185] neg_lo:[0,0,1] neg_hi:[0,0,1]
	v_pk_fma_f32 v[130:131], v[152:153], v[136:137], v[142:143] op_sel_hi:[1,0,1]
	v_mov_b32_e32 v129, v125
	v_pk_fma_f32 v[134:135], v[152:153], v[136:137], v[142:143] neg_lo:[0,0,1] neg_hi:[0,0,1]
	v_pk_add_f32 v[122:123], v[122:123], v[132:133]
	v_pk_fma_f32 v[132:133], v[154:155], v[138:139], v[126:127] op_sel_hi:[1,0,1]
	v_pk_mul_f32 v[124:125], v[174:175], v[124:125] op_sel_hi:[1,0]
	v_mov_b32_e32 v135, v131
	v_pk_fma_f32 v[126:127], v[154:155], v[138:139], v[126:127] neg_lo:[0,0,1] neg_hi:[0,0,1]
	v_pk_add_f32 v[122:123], v[122:123], v[128:129]
	s_wait_loadcnt_dscnt 0x100
	v_pk_mul_f32 v[130:131], v[166:167], v[162:163] op_sel:[1,1] op_sel_hi:[0,1]
	v_pk_fma_f32 v[128:129], v[156:157], v[140:141], v[124:125] op_sel_hi:[1,0,1]
	v_mov_b32_e32 v127, v133
	v_pk_fma_f32 v[124:125], v[156:157], v[140:141], v[124:125] neg_lo:[0,0,1] neg_hi:[0,0,1]
	v_pk_add_f32 v[122:123], v[122:123], v[134:135]
	s_delay_alu instid0(VALU_DEP_4) | instskip(SKIP_1) | instid1(VALU_DEP_3)
	v_mov_b32_e32 v125, v129
	v_pk_fma_f32 v[128:129], v[166:167], v[162:163], v[130:131] neg_lo:[0,0,1] neg_hi:[0,0,1]
	v_pk_add_f32 v[122:123], v[122:123], v[126:127]
	v_pk_fma_f32 v[126:127], v[166:167], v[162:163], v[130:131] op_sel_hi:[1,0,1]
	s_delay_alu instid0(VALU_DEP_2) | instskip(NEXT) | instid1(VALU_DEP_2)
	v_pk_add_f32 v[122:123], v[122:123], v[124:125]
	v_mov_b32_e32 v129, v127
	s_delay_alu instid0(VALU_DEP_1) | instskip(SKIP_1) | instid1(VALU_DEP_1)
	v_pk_add_f32 v[122:123], v[122:123], v[128:129]
	s_wait_loadcnt 0x0
	v_pk_add_f32 v[122:123], v[164:165], v[122:123] neg_lo:[0,1] neg_hi:[0,1]
	scratch_store_b64 off, v[122:123], off offset:384
	s_wait_xcnt 0x0
	v_cmpx_lt_u32_e32 47, v0
	s_cbranch_execz .LBB59_279
; %bb.278:
	scratch_load_b64 v[122:123], off, off offset:376
	v_mov_b64_e32 v[124:125], 0
	scratch_store_b64 off, v[124:125], off offset:376
	s_wait_loadcnt 0x0
	ds_store_b64 v1, v[122:123]
.LBB59_279:
	s_wait_xcnt 0x0
	s_or_b32 exec_lo, exec_lo, s0
	s_wait_storecnt_dscnt 0x0
	s_barrier_signal -1
	s_barrier_wait -1
	s_clause 0x6
	scratch_load_b128 v[122:125], off, off offset:384
	scratch_load_b128 v[126:129], off, off offset:400
	;; [unrolled: 1-line block ×6, first 2 shown]
	scratch_load_b64 v[170:171], off, off offset:376
	ds_load_b128 v[146:149], v7 offset:896
	ds_load_b128 v[150:153], v7 offset:912
	;; [unrolled: 1-line block ×6, first 2 shown]
	s_mov_b32 s0, exec_lo
	s_wait_dscnt 0x5
	v_dual_mov_b32 v172, v149 :: v_dual_mov_b32 v173, v148
	s_wait_dscnt 0x4
	v_dual_mov_b32 v174, v153 :: v_dual_mov_b32 v175, v152
	;; [unrolled: 2-line block ×4, first 2 shown]
	s_wait_loadcnt_dscnt 0x601
	v_dual_mul_f32 v7, v162, v123 :: v_dual_mul_f32 v9, v164, v125
	v_dual_mul_f32 v11, v163, v123 :: v_dual_mul_f32 v13, v165, v125
	s_wait_loadcnt 0x4
	s_delay_alu instid0(VALU_DEP_2)
	v_dual_mov_b32 v186, v133 :: v_dual_fmac_f32 v7, v163, v122
	s_wait_dscnt 0x0
	v_dual_mul_f32 v181, v166, v127 :: v_dual_mul_f32 v183, v168, v129
	v_dual_fma_f32 v11, v162, v122, -v11 :: v_dual_fmac_f32 v9, v165, v124
	v_dual_mul_f32 v15, v167, v127 :: v_dual_mul_f32 v17, v169, v129
	v_dual_fma_f32 v13, v164, v124, -v13 :: v_dual_add_f32 v7, 0, v7
	s_wait_loadcnt 0x3
	s_delay_alu instid0(VALU_DEP_3) | instskip(SKIP_3) | instid1(VALU_DEP_4)
	v_dual_add_f32 v11, 0, v11 :: v_dual_mov_b32 v124, v137
	v_pk_mul_f32 v[184:185], v[146:147], v[130:131] op_sel:[1,1] op_sel_hi:[0,1]
	v_dual_fmac_f32 v181, v167, v126 :: v_dual_fma_f32 v180, v166, v126, -v15
	v_dual_add_f32 v127, v7, v9 :: v_dual_fmac_f32 v183, v169, v128
	v_dual_add_f32 v126, v11, v13 :: v_dual_fma_f32 v182, v168, v128, -v17
	s_delay_alu instid0(VALU_DEP_4) | instskip(SKIP_2) | instid1(VALU_DEP_4)
	v_pk_fma_f32 v[128:129], v[146:147], v[130:131], v[184:185] op_sel_hi:[1,0,1]
	v_pk_mul_f32 v[162:163], v[172:173], v[186:187] op_sel_hi:[1,0]
	v_pk_fma_f32 v[130:131], v[146:147], v[130:131], v[184:185] neg_lo:[0,0,1] neg_hi:[0,0,1]
	v_pk_add_f32 v[126:127], v[126:127], v[180:181]
	v_pk_mul_f32 v[122:123], v[150:151], v[134:135] op_sel:[1,1] op_sel_hi:[0,1]
	v_mov_b32_e32 v131, v129
	v_pk_fma_f32 v[128:129], v[148:149], v[132:133], v[162:163] op_sel_hi:[1,0,1]
	v_pk_fma_f32 v[132:133], v[148:149], v[132:133], v[162:163] neg_lo:[0,0,1] neg_hi:[0,0,1]
	v_pk_add_f32 v[126:127], v[126:127], v[182:183]
	v_pk_fma_f32 v[146:147], v[150:151], v[134:135], v[122:123] op_sel_hi:[1,0,1]
	v_pk_mul_f32 v[124:125], v[174:175], v[124:125] op_sel_hi:[1,0]
	v_mov_b32_e32 v133, v129
	v_pk_fma_f32 v[122:123], v[150:151], v[134:135], v[122:123] neg_lo:[0,0,1] neg_hi:[0,0,1]
	v_pk_add_f32 v[126:127], v[126:127], v[130:131]
	s_wait_loadcnt 0x2
	v_pk_mul_f32 v[164:165], v[154:155], v[138:139] op_sel:[1,1] op_sel_hi:[0,1]
	v_dual_mov_b32 v128, v141 :: v_dual_mov_b32 v123, v147
	v_pk_fma_f32 v[130:131], v[152:153], v[136:137], v[124:125] op_sel_hi:[1,0,1]
	v_pk_add_f32 v[126:127], v[126:127], v[132:133]
	v_pk_fma_f32 v[124:125], v[152:153], v[136:137], v[124:125] neg_lo:[0,0,1] neg_hi:[0,0,1]
	v_pk_fma_f32 v[132:133], v[154:155], v[138:139], v[164:165] op_sel_hi:[1,0,1]
	v_pk_mul_f32 v[128:129], v[176:177], v[128:129] op_sel_hi:[1,0]
	v_mov_b32_e32 v125, v131
	v_pk_add_f32 v[122:123], v[126:127], v[122:123]
	v_pk_fma_f32 v[130:131], v[154:155], v[138:139], v[164:165] neg_lo:[0,0,1] neg_hi:[0,0,1]
	s_wait_loadcnt 0x1
	v_pk_mul_f32 v[126:127], v[158:159], v[142:143] op_sel:[1,1] op_sel_hi:[0,1]
	v_mov_b32_e32 v131, v133
	v_pk_fma_f32 v[132:133], v[156:157], v[140:141], v[128:129] op_sel_hi:[1,0,1]
	v_pk_add_f32 v[122:123], v[122:123], v[124:125]
	v_mov_b32_e32 v124, v145
	v_pk_fma_f32 v[128:129], v[156:157], v[140:141], v[128:129] neg_lo:[0,0,1] neg_hi:[0,0,1]
	v_pk_fma_f32 v[134:135], v[158:159], v[142:143], v[126:127] op_sel_hi:[1,0,1]
	v_mov_b32_e32 v129, v133
	v_pk_add_f32 v[122:123], v[122:123], v[130:131]
	v_pk_mul_f32 v[124:125], v[178:179], v[124:125] op_sel_hi:[1,0]
	v_pk_fma_f32 v[126:127], v[158:159], v[142:143], v[126:127] neg_lo:[0,0,1] neg_hi:[0,0,1]
	s_delay_alu instid0(VALU_DEP_3) | instskip(NEXT) | instid1(VALU_DEP_3)
	v_pk_add_f32 v[122:123], v[122:123], v[128:129]
	v_pk_fma_f32 v[128:129], v[160:161], v[144:145], v[124:125] op_sel_hi:[1,0,1]
	v_mov_b32_e32 v127, v135
	v_pk_fma_f32 v[124:125], v[160:161], v[144:145], v[124:125] neg_lo:[0,0,1] neg_hi:[0,0,1]
	s_delay_alu instid0(VALU_DEP_3) | instskip(NEXT) | instid1(VALU_DEP_3)
	v_mov_b32_e32 v125, v129
	v_pk_add_f32 v[122:123], v[122:123], v[126:127]
	s_delay_alu instid0(VALU_DEP_1) | instskip(SKIP_1) | instid1(VALU_DEP_1)
	v_pk_add_f32 v[122:123], v[122:123], v[124:125]
	s_wait_loadcnt 0x0
	v_pk_add_f32 v[122:123], v[170:171], v[122:123] neg_lo:[0,1] neg_hi:[0,1]
	scratch_store_b64 off, v[122:123], off offset:376
	s_wait_xcnt 0x0
	v_cmpx_lt_u32_e32 46, v0
	s_cbranch_execz .LBB59_281
; %bb.280:
	scratch_load_b64 v[122:123], off, off offset:368
	v_mov_b64_e32 v[124:125], 0
	scratch_store_b64 off, v[124:125], off offset:368
	s_wait_loadcnt 0x0
	ds_store_b64 v1, v[122:123]
.LBB59_281:
	s_wait_xcnt 0x0
	s_or_b32 exec_lo, exec_lo, s0
	s_wait_storecnt_dscnt 0x0
	s_barrier_signal -1
	s_barrier_wait -1
	s_clause 0x7
	scratch_load_b128 v[122:125], off, off offset:376
	scratch_load_b128 v[126:129], off, off offset:392
	;; [unrolled: 1-line block ×6, first 2 shown]
	scratch_load_b64 v[170:171], off, off offset:472
	scratch_load_b64 v[172:173], off, off offset:368
	v_mov_b32_e32 v7, 0
	ds_load_2addr_b64 v[146:149], v7 offset0:111 offset1:112
	ds_load_2addr_b64 v[150:153], v7 offset0:113 offset1:114
	;; [unrolled: 1-line block ×6, first 2 shown]
	ds_load_b64 v[174:175], v7 offset:952
	s_mov_b32 s0, exec_lo
	s_wait_dscnt 0x6
	v_dual_mov_b32 v176, v149 :: v_dual_mov_b32 v177, v148
	s_wait_dscnt 0x3
	v_dual_mov_b32 v178, v153 :: v_dual_mov_b32 v183, v160
	v_dual_mov_b32 v179, v152 :: v_dual_mov_b32 v180, v157
	;; [unrolled: 1-line block ×3, first 2 shown]
	s_wait_loadcnt_dscnt 0x702
	v_dual_mul_f32 v9, v162, v123 :: v_dual_mul_f32 v15, v163, v123
	v_dual_mul_f32 v17, v165, v125 :: v_dual_mul_f32 v11, v164, v125
	s_wait_loadcnt_dscnt 0x601
	s_delay_alu instid0(VALU_DEP_2) | instskip(NEXT) | instid1(VALU_DEP_3)
	v_dual_mul_f32 v13, v166, v127 :: v_dual_fmac_f32 v9, v163, v122
	v_dual_fma_f32 v15, v162, v122, -v15 :: v_dual_mul_f32 v19, v167, v127
	v_mul_f32_e32 v21, v169, v129
	s_wait_loadcnt 0x4
	v_dual_mov_b32 v122, v137 :: v_dual_fma_f32 v17, v164, v124, -v17
	v_dual_fmac_f32 v11, v165, v124 :: v_dual_add_f32 v9, 0, v9
	v_dual_add_f32 v15, 0, v15 :: v_dual_fmac_f32 v13, v167, v126
	v_dual_mul_f32 v185, v168, v129 :: v_dual_mul_f32 v187, v146, v131
	v_dual_mul_f32 v23, v147, v131 :: v_dual_mov_b32 v186, v133
	s_delay_alu instid0(VALU_DEP_4) | instskip(NEXT) | instid1(VALU_DEP_3)
	v_dual_fma_f32 v19, v166, v126, -v19 :: v_dual_add_f32 v9, v9, v11
	v_dual_add_f32 v11, v15, v17 :: v_dual_fmac_f32 v185, v169, v128
	v_pk_mul_f32 v[188:189], v[150:151], v[134:135] op_sel:[1,1] op_sel_hi:[0,1]
	s_delay_alu instid0(VALU_DEP_3)
	v_dual_fma_f32 v184, v168, v128, -v21 :: v_dual_add_f32 v129, v9, v13
	v_pk_mul_f32 v[126:127], v[176:177], v[186:187] op_sel_hi:[1,0]
	s_wait_loadcnt 0x3
	v_dual_add_f32 v128, v11, v19 :: v_dual_mov_b32 v162, v141
	v_fmac_f32_e32 v187, v147, v130
	v_fma_f32 v186, v146, v130, -v23
	v_pk_fma_f32 v[130:131], v[148:149], v[132:133], v[126:127] op_sel_hi:[1,0,1]
	s_delay_alu instid0(VALU_DEP_4) | instskip(SKIP_4) | instid1(VALU_DEP_4)
	v_pk_add_f32 v[128:129], v[128:129], v[184:185]
	v_pk_fma_f32 v[146:147], v[150:151], v[134:135], v[188:189] op_sel_hi:[1,0,1]
	v_pk_fma_f32 v[126:127], v[148:149], v[132:133], v[126:127] neg_lo:[0,0,1] neg_hi:[0,0,1]
	v_pk_fma_f32 v[132:133], v[150:151], v[134:135], v[188:189] neg_lo:[0,0,1] neg_hi:[0,0,1]
	v_pk_mul_f32 v[122:123], v[178:179], v[122:123] op_sel_hi:[1,0]
	v_dual_mov_b32 v127, v131 :: v_dual_mov_b32 v133, v147
	v_pk_add_f32 v[128:129], v[128:129], v[186:187]
	v_pk_mul_f32 v[124:125], v[154:155], v[138:139] op_sel:[1,1] op_sel_hi:[0,1]
	s_delay_alu instid0(VALU_DEP_4)
	v_pk_fma_f32 v[134:135], v[152:153], v[136:137], v[122:123] op_sel_hi:[1,0,1]
	v_pk_fma_f32 v[122:123], v[152:153], v[136:137], v[122:123] neg_lo:[0,0,1] neg_hi:[0,0,1]
	v_pk_mul_f32 v[146:147], v[180:181], v[162:163] op_sel_hi:[1,0]
	v_pk_add_f32 v[126:127], v[128:129], v[126:127]
	v_pk_fma_f32 v[128:129], v[154:155], v[138:139], v[124:125] op_sel_hi:[1,0,1]
	s_wait_loadcnt 0x2
	v_dual_mov_b32 v123, v135 :: v_dual_mov_b32 v128, v145
	v_pk_fma_f32 v[124:125], v[154:155], v[138:139], v[124:125] neg_lo:[0,0,1] neg_hi:[0,0,1]
	v_pk_add_f32 v[126:127], v[126:127], v[132:133]
	v_pk_mul_f32 v[130:131], v[158:159], v[142:143] op_sel:[1,1] op_sel_hi:[0,1]
	v_pk_fma_f32 v[132:133], v[156:157], v[140:141], v[146:147] op_sel_hi:[1,0,1]
	v_mov_b32_e32 v125, v129
	v_pk_fma_f32 v[134:135], v[156:157], v[140:141], v[146:147] neg_lo:[0,0,1] neg_hi:[0,0,1]
	v_pk_add_f32 v[122:123], v[126:127], v[122:123]
	v_pk_fma_f32 v[126:127], v[158:159], v[142:143], v[130:131] op_sel_hi:[1,0,1]
	v_pk_mul_f32 v[128:129], v[182:183], v[128:129] op_sel_hi:[1,0]
	v_mov_b32_e32 v135, v133
	s_delay_alu instid0(VALU_DEP_4)
	v_pk_add_f32 v[122:123], v[122:123], v[124:125]
	v_pk_fma_f32 v[124:125], v[158:159], v[142:143], v[130:131] neg_lo:[0,0,1] neg_hi:[0,0,1]
	v_mov_b32_e32 v125, v127
	v_pk_fma_f32 v[126:127], v[160:161], v[144:145], v[128:129] op_sel_hi:[1,0,1]
	s_wait_loadcnt_dscnt 0x100
	v_pk_mul_f32 v[130:131], v[174:175], v[170:171] op_sel:[1,1] op_sel_hi:[0,1]
	v_pk_add_f32 v[122:123], v[122:123], v[134:135]
	v_pk_fma_f32 v[128:129], v[160:161], v[144:145], v[128:129] neg_lo:[0,0,1] neg_hi:[0,0,1]
	v_mov_b32_e32 v129, v127
	s_delay_alu instid0(VALU_DEP_4) | instskip(NEXT) | instid1(VALU_DEP_4)
	v_pk_fma_f32 v[126:127], v[174:175], v[170:171], v[130:131] neg_lo:[0,0,1] neg_hi:[0,0,1]
	v_pk_add_f32 v[122:123], v[122:123], v[124:125]
	v_pk_fma_f32 v[124:125], v[174:175], v[170:171], v[130:131] op_sel_hi:[1,0,1]
	s_delay_alu instid0(VALU_DEP_2) | instskip(NEXT) | instid1(VALU_DEP_2)
	v_pk_add_f32 v[122:123], v[122:123], v[128:129]
	v_mov_b32_e32 v127, v125
	s_delay_alu instid0(VALU_DEP_1) | instskip(SKIP_1) | instid1(VALU_DEP_1)
	v_pk_add_f32 v[122:123], v[122:123], v[126:127]
	s_wait_loadcnt 0x0
	v_pk_add_f32 v[122:123], v[172:173], v[122:123] neg_lo:[0,1] neg_hi:[0,1]
	scratch_store_b64 off, v[122:123], off offset:368
	s_wait_xcnt 0x0
	v_cmpx_lt_u32_e32 45, v0
	s_cbranch_execz .LBB59_283
; %bb.282:
	scratch_load_b64 v[122:123], off, off offset:360
	v_mov_b64_e32 v[124:125], 0
	scratch_store_b64 off, v[124:125], off offset:360
	s_wait_loadcnt 0x0
	ds_store_b64 v1, v[122:123]
.LBB59_283:
	s_wait_xcnt 0x0
	s_or_b32 exec_lo, exec_lo, s0
	s_wait_storecnt_dscnt 0x0
	s_barrier_signal -1
	s_barrier_wait -1
	s_clause 0x7
	scratch_load_b128 v[122:125], off, off offset:368
	scratch_load_b128 v[126:129], off, off offset:384
	;; [unrolled: 1-line block ×7, first 2 shown]
	scratch_load_b64 v[178:179], off, off offset:360
	ds_load_b128 v[150:153], v7 offset:896
	ds_load_b128 v[154:157], v7 offset:912
	ds_load_b128 v[158:161], v7 offset:928
	ds_load_b128 v[162:165], v7 offset:944
	ds_load_b128 v[166:169], v7 offset:848
	ds_load_b128 v[170:173], v7 offset:864
	ds_load_b128 v[174:177], v7 offset:880
	s_mov_b32 s0, exec_lo
	s_wait_dscnt 0x6
	v_dual_mov_b32 v180, v153 :: v_dual_mov_b32 v181, v152
	s_wait_dscnt 0x5
	v_dual_mov_b32 v182, v157 :: v_dual_mov_b32 v183, v156
	;; [unrolled: 2-line block ×4, first 2 shown]
	s_wait_loadcnt_dscnt 0x702
	v_dual_mul_f32 v7, v166, v123 :: v_dual_mul_f32 v9, v168, v125
	v_dual_mul_f32 v15, v167, v123 :: v_dual_mul_f32 v17, v169, v125
	s_wait_loadcnt_dscnt 0x601
	v_dual_mul_f32 v11, v170, v127 :: v_dual_mul_f32 v13, v172, v129
	s_delay_alu instid0(VALU_DEP_3) | instskip(NEXT) | instid1(VALU_DEP_3)
	v_dual_fmac_f32 v7, v167, v122 :: v_dual_fmac_f32 v9, v169, v124
	v_dual_fma_f32 v15, v166, v122, -v15 :: v_dual_fma_f32 v17, v168, v124, -v17
	v_dual_mul_f32 v19, v171, v127 :: v_dual_mul_f32 v21, v173, v129
	s_wait_loadcnt 0x4
	s_delay_alu instid0(VALU_DEP_3) | instskip(NEXT) | instid1(VALU_DEP_3)
	v_dual_add_f32 v7, 0, v7 :: v_dual_mov_b32 v124, v137
	v_dual_add_f32 v15, 0, v15 :: v_dual_fmac_f32 v11, v171, v126
	s_delay_alu instid0(VALU_DEP_2) | instskip(SKIP_2) | instid1(VALU_DEP_3)
	v_dual_fma_f32 v19, v170, v126, -v19 :: v_dual_add_f32 v7, v7, v9
	s_wait_dscnt 0x0
	v_dual_mul_f32 v189, v174, v131 :: v_dual_mul_f32 v191, v176, v133
	v_dual_add_f32 v9, v15, v17 :: v_dual_fmac_f32 v13, v173, v128
	v_dual_mul_f32 v23, v175, v131 :: v_dual_mul_f32 v25, v177, v133
	v_dual_fma_f32 v15, v172, v128, -v21 :: v_dual_add_f32 v7, v7, v11
	s_delay_alu instid0(VALU_DEP_3) | instskip(SKIP_3) | instid1(VALU_DEP_3)
	v_dual_add_f32 v9, v9, v19 :: v_dual_fmac_f32 v189, v175, v130
	v_pk_mul_f32 v[122:123], v[150:151], v[134:135] op_sel:[1,1] op_sel_hi:[0,1]
	s_wait_loadcnt 0x3
	v_dual_mov_b32 v128, v141 :: v_dual_fma_f32 v188, v174, v130, -v23
	v_dual_add_f32 v131, v7, v13 :: v_dual_add_f32 v130, v9, v15
	v_dual_fmac_f32 v191, v177, v132 :: v_dual_fma_f32 v190, v176, v132, -v25
	v_pk_fma_f32 v[132:133], v[150:151], v[134:135], v[122:123] op_sel_hi:[1,0,1]
	v_pk_mul_f32 v[124:125], v[180:181], v[124:125] op_sel_hi:[1,0]
	s_delay_alu instid0(VALU_DEP_4)
	v_pk_add_f32 v[130:131], v[130:131], v[188:189]
	v_pk_fma_f32 v[122:123], v[150:151], v[134:135], v[122:123] neg_lo:[0,0,1] neg_hi:[0,0,1]
	v_pk_mul_f32 v[126:127], v[154:155], v[138:139] op_sel:[1,1] op_sel_hi:[0,1]
	v_mov_b32_e32 v123, v133
	v_pk_fma_f32 v[132:133], v[152:153], v[136:137], v[124:125] op_sel_hi:[1,0,1]
	v_pk_add_f32 v[130:131], v[130:131], v[190:191]
	v_pk_fma_f32 v[124:125], v[152:153], v[136:137], v[124:125] neg_lo:[0,0,1] neg_hi:[0,0,1]
	v_pk_fma_f32 v[134:135], v[154:155], v[138:139], v[126:127] op_sel_hi:[1,0,1]
	v_pk_mul_f32 v[128:129], v[182:183], v[128:129] op_sel_hi:[1,0]
	v_mov_b32_e32 v125, v133
	v_pk_add_f32 v[122:123], v[130:131], v[122:123]
	s_wait_loadcnt 0x2
	v_pk_mul_f32 v[166:167], v[158:159], v[142:143] op_sel:[1,1] op_sel_hi:[0,1]
	v_mov_b32_e32 v130, v145
	v_pk_fma_f32 v[126:127], v[154:155], v[138:139], v[126:127] neg_lo:[0,0,1] neg_hi:[0,0,1]
	v_mov_b32_e32 v127, v135
	v_pk_fma_f32 v[132:133], v[156:157], v[140:141], v[128:129] op_sel_hi:[1,0,1]
	v_pk_add_f32 v[122:123], v[122:123], v[124:125]
	v_pk_fma_f32 v[124:125], v[158:159], v[142:143], v[166:167] op_sel_hi:[1,0,1]
	v_pk_mul_f32 v[130:131], v[184:185], v[130:131] op_sel_hi:[1,0]
	v_pk_fma_f32 v[128:129], v[156:157], v[140:141], v[128:129] neg_lo:[0,0,1] neg_hi:[0,0,1]
	v_mov_b32_e32 v129, v133
	v_pk_add_f32 v[122:123], v[122:123], v[126:127]
	v_pk_fma_f32 v[132:133], v[158:159], v[142:143], v[166:167] neg_lo:[0,0,1] neg_hi:[0,0,1]
	v_mov_b32_e32 v133, v125
	v_pk_fma_f32 v[124:125], v[160:161], v[144:145], v[130:131] op_sel_hi:[1,0,1]
	s_wait_loadcnt 0x1
	v_pk_mul_f32 v[126:127], v[162:163], v[146:147] op_sel:[1,1] op_sel_hi:[0,1]
	v_pk_add_f32 v[122:123], v[122:123], v[128:129]
	v_mov_b32_e32 v124, v149
	v_pk_fma_f32 v[130:131], v[160:161], v[144:145], v[130:131] neg_lo:[0,0,1] neg_hi:[0,0,1]
	v_mov_b32_e32 v131, v125
	v_pk_fma_f32 v[128:129], v[162:163], v[146:147], v[126:127] op_sel_hi:[1,0,1]
	v_pk_add_f32 v[122:123], v[122:123], v[132:133]
	v_pk_mul_f32 v[124:125], v[186:187], v[124:125] op_sel_hi:[1,0]
	v_pk_fma_f32 v[126:127], v[162:163], v[146:147], v[126:127] neg_lo:[0,0,1] neg_hi:[0,0,1]
	s_delay_alu instid0(VALU_DEP_4) | instskip(NEXT) | instid1(VALU_DEP_4)
	v_mov_b32_e32 v127, v129
	v_pk_add_f32 v[122:123], v[122:123], v[130:131]
	s_delay_alu instid0(VALU_DEP_4) | instskip(SKIP_1) | instid1(VALU_DEP_2)
	v_pk_fma_f32 v[128:129], v[164:165], v[148:149], v[124:125] op_sel_hi:[1,0,1]
	v_pk_fma_f32 v[124:125], v[164:165], v[148:149], v[124:125] neg_lo:[0,0,1] neg_hi:[0,0,1]
	v_mov_b32_e32 v125, v129
	s_delay_alu instid0(VALU_DEP_4) | instskip(NEXT) | instid1(VALU_DEP_1)
	v_pk_add_f32 v[122:123], v[122:123], v[126:127]
	v_pk_add_f32 v[122:123], v[122:123], v[124:125]
	s_wait_loadcnt 0x0
	s_delay_alu instid0(VALU_DEP_1)
	v_pk_add_f32 v[122:123], v[178:179], v[122:123] neg_lo:[0,1] neg_hi:[0,1]
	scratch_store_b64 off, v[122:123], off offset:360
	s_wait_xcnt 0x0
	v_cmpx_lt_u32_e32 44, v0
	s_cbranch_execz .LBB59_285
; %bb.284:
	scratch_load_b64 v[122:123], off, off offset:352
	v_mov_b64_e32 v[124:125], 0
	scratch_store_b64 off, v[124:125], off offset:352
	s_wait_loadcnt 0x0
	ds_store_b64 v1, v[122:123]
.LBB59_285:
	s_wait_xcnt 0x0
	s_or_b32 exec_lo, exec_lo, s0
	s_wait_storecnt_dscnt 0x0
	s_barrier_signal -1
	s_barrier_wait -1
	s_clause 0x8
	scratch_load_b128 v[122:125], off, off offset:360
	scratch_load_b128 v[126:129], off, off offset:376
	;; [unrolled: 1-line block ×7, first 2 shown]
	scratch_load_b64 v[178:179], off, off offset:472
	scratch_load_b64 v[180:181], off, off offset:352
	v_mov_b32_e32 v7, 0
	ds_load_2addr_b64 v[150:153], v7 offset0:111 offset1:112
	ds_load_2addr_b64 v[154:157], v7 offset0:113 offset1:114
	;; [unrolled: 1-line block ×7, first 2 shown]
	ds_load_b64 v[182:183], v7 offset:952
	s_mov_b32 s0, exec_lo
	s_wait_dscnt 0x7
	v_dual_mov_b32 v184, v153 :: v_dual_mov_b32 v185, v152
	s_wait_dscnt 0x4
	v_dual_mov_b32 v186, v157 :: v_dual_mov_b32 v191, v164
	v_dual_mov_b32 v187, v156 :: v_dual_mov_b32 v188, v161
	;; [unrolled: 1-line block ×3, first 2 shown]
	s_wait_loadcnt_dscnt 0x803
	v_dual_mul_f32 v9, v166, v123 :: v_dual_mul_f32 v19, v167, v123
	v_dual_mul_f32 v21, v169, v125 :: v_dual_mul_f32 v11, v168, v125
	s_wait_loadcnt_dscnt 0x702
	v_mul_f32_e32 v13, v170, v127
	s_wait_loadcnt 0x5
	v_dual_mul_f32 v31, v151, v135 :: v_dual_fma_f32 v19, v166, v122, -v19
	v_dual_fmac_f32 v9, v167, v122 :: v_dual_mov_b32 v122, v137
	v_dual_mul_f32 v23, v171, v127 :: v_dual_mul_f32 v25, v173, v129
	v_dual_fmac_f32 v11, v169, v124 :: v_dual_fma_f32 v21, v168, v124, -v21
	s_delay_alu instid0(VALU_DEP_3) | instskip(SKIP_3) | instid1(VALU_DEP_3)
	v_dual_add_f32 v9, 0, v9 :: v_dual_add_f32 v19, 0, v19
	s_wait_dscnt 0x1
	v_dual_mul_f32 v15, v172, v129 :: v_dual_mul_f32 v17, v174, v131
	v_dual_fmac_f32 v13, v171, v126 :: v_dual_fma_f32 v23, v170, v126, -v23
	v_dual_add_f32 v9, v9, v11 :: v_dual_add_f32 v11, v19, v21
	v_dual_mul_f32 v27, v175, v131 :: v_dual_mul_f32 v29, v177, v133
	s_wait_loadcnt 0x4
	v_dual_mov_b32 v126, v141 :: v_dual_fma_f32 v19, v172, v128, -v25
	s_delay_alu instid0(VALU_DEP_3) | instskip(SKIP_2) | instid1(VALU_DEP_2)
	v_dual_fmac_f32 v15, v173, v128 :: v_dual_add_f32 v11, v11, v23
	v_dual_add_f32 v9, v9, v13 :: v_dual_fmac_f32 v17, v175, v130
	v_dual_mul_f32 v193, v176, v133 :: v_dual_mul_f32 v195, v150, v135
	v_dual_fma_f32 v13, v174, v130, -v27 :: v_dual_add_f32 v9, v9, v15
	s_delay_alu instid0(VALU_DEP_2) | instskip(SKIP_1) | instid1(VALU_DEP_3)
	v_dual_add_f32 v11, v11, v19 :: v_dual_fmac_f32 v193, v177, v132
	v_pk_mul_f32 v[124:125], v[154:155], v[138:139] op_sel:[1,1] op_sel_hi:[0,1]
	v_dual_fma_f32 v192, v176, v132, -v29 :: v_dual_add_f32 v131, v9, v17
	v_pk_mul_f32 v[122:123], v[184:185], v[122:123] op_sel_hi:[1,0]
	s_wait_loadcnt 0x3
	v_dual_add_f32 v130, v11, v13 :: v_dual_mov_b32 v132, v145
	v_fmac_f32_e32 v195, v151, v134
	v_fma_f32 v194, v150, v134, -v31
	v_pk_fma_f32 v[134:135], v[152:153], v[136:137], v[122:123] op_sel_hi:[1,0,1]
	s_delay_alu instid0(VALU_DEP_4) | instskip(SKIP_4) | instid1(VALU_DEP_4)
	v_pk_add_f32 v[130:131], v[130:131], v[192:193]
	v_pk_fma_f32 v[150:151], v[154:155], v[138:139], v[124:125] op_sel_hi:[1,0,1]
	v_pk_fma_f32 v[122:123], v[152:153], v[136:137], v[122:123] neg_lo:[0,0,1] neg_hi:[0,0,1]
	v_pk_fma_f32 v[124:125], v[154:155], v[138:139], v[124:125] neg_lo:[0,0,1] neg_hi:[0,0,1]
	v_pk_mul_f32 v[126:127], v[186:187], v[126:127] op_sel_hi:[1,0]
	v_dual_mov_b32 v123, v135 :: v_dual_mov_b32 v125, v151
	v_pk_add_f32 v[130:131], v[130:131], v[194:195]
	v_pk_mul_f32 v[128:129], v[158:159], v[142:143] op_sel:[1,1] op_sel_hi:[0,1]
	s_delay_alu instid0(VALU_DEP_4)
	v_pk_fma_f32 v[136:137], v[156:157], v[140:141], v[126:127] op_sel_hi:[1,0,1]
	v_pk_fma_f32 v[126:127], v[156:157], v[140:141], v[126:127] neg_lo:[0,0,1] neg_hi:[0,0,1]
	v_pk_mul_f32 v[132:133], v[188:189], v[132:133] op_sel_hi:[1,0]
	v_pk_add_f32 v[122:123], v[130:131], v[122:123]
	v_pk_fma_f32 v[130:131], v[158:159], v[142:143], v[128:129] op_sel_hi:[1,0,1]
	v_mov_b32_e32 v127, v137
	v_pk_fma_f32 v[128:129], v[158:159], v[142:143], v[128:129] neg_lo:[0,0,1] neg_hi:[0,0,1]
	s_wait_loadcnt 0x2
	v_pk_mul_f32 v[134:135], v[162:163], v[146:147] op_sel:[1,1] op_sel_hi:[0,1]
	v_pk_add_f32 v[122:123], v[122:123], v[124:125]
	v_dual_mov_b32 v124, v149 :: v_dual_mov_b32 v129, v131
	v_pk_fma_f32 v[130:131], v[160:161], v[144:145], v[132:133] op_sel_hi:[1,0,1]
	v_pk_fma_f32 v[132:133], v[160:161], v[144:145], v[132:133] neg_lo:[0,0,1] neg_hi:[0,0,1]
	s_delay_alu instid0(VALU_DEP_4)
	v_pk_add_f32 v[122:123], v[122:123], v[126:127]
	v_pk_fma_f32 v[126:127], v[162:163], v[146:147], v[134:135] op_sel_hi:[1,0,1]
	v_pk_mul_f32 v[124:125], v[190:191], v[124:125] op_sel_hi:[1,0]
	v_mov_b32_e32 v133, v131
	s_wait_loadcnt_dscnt 0x100
	v_pk_mul_f32 v[130:131], v[182:183], v[178:179] op_sel:[1,1] op_sel_hi:[0,1]
	v_pk_add_f32 v[122:123], v[122:123], v[128:129]
	v_pk_fma_f32 v[128:129], v[162:163], v[146:147], v[134:135] neg_lo:[0,0,1] neg_hi:[0,0,1]
	v_mov_b32_e32 v129, v127
	v_pk_fma_f32 v[126:127], v[164:165], v[148:149], v[124:125] op_sel_hi:[1,0,1]
	v_pk_fma_f32 v[124:125], v[164:165], v[148:149], v[124:125] neg_lo:[0,0,1] neg_hi:[0,0,1]
	v_pk_add_f32 v[122:123], v[122:123], v[132:133]
	s_delay_alu instid0(VALU_DEP_3) | instskip(SKIP_1) | instid1(VALU_DEP_3)
	v_mov_b32_e32 v125, v127
	v_pk_fma_f32 v[126:127], v[182:183], v[178:179], v[130:131] op_sel_hi:[1,0,1]
	v_pk_add_f32 v[122:123], v[122:123], v[128:129]
	v_pk_fma_f32 v[128:129], v[182:183], v[178:179], v[130:131] neg_lo:[0,0,1] neg_hi:[0,0,1]
	s_delay_alu instid0(VALU_DEP_3) | instskip(NEXT) | instid1(VALU_DEP_3)
	v_mov_b32_e32 v129, v127
	v_pk_add_f32 v[122:123], v[122:123], v[124:125]
	s_delay_alu instid0(VALU_DEP_1) | instskip(SKIP_1) | instid1(VALU_DEP_1)
	v_pk_add_f32 v[122:123], v[122:123], v[128:129]
	s_wait_loadcnt 0x0
	v_pk_add_f32 v[122:123], v[180:181], v[122:123] neg_lo:[0,1] neg_hi:[0,1]
	scratch_store_b64 off, v[122:123], off offset:352
	s_wait_xcnt 0x0
	v_cmpx_lt_u32_e32 43, v0
	s_cbranch_execz .LBB59_287
; %bb.286:
	scratch_load_b64 v[122:123], off, off offset:344
	v_mov_b64_e32 v[124:125], 0
	scratch_store_b64 off, v[124:125], off offset:344
	s_wait_loadcnt 0x0
	ds_store_b64 v1, v[122:123]
.LBB59_287:
	s_wait_xcnt 0x0
	s_or_b32 exec_lo, exec_lo, s0
	s_wait_storecnt_dscnt 0x0
	s_barrier_signal -1
	s_barrier_wait -1
	s_clause 0x8
	scratch_load_b128 v[122:125], off, off offset:352
	scratch_load_b128 v[126:129], off, off offset:368
	;; [unrolled: 1-line block ×8, first 2 shown]
	scratch_load_b64 v[186:187], off, off offset:344
	ds_load_b128 v[154:157], v7 offset:896
	ds_load_b128 v[158:161], v7 offset:912
	;; [unrolled: 1-line block ×8, first 2 shown]
	s_mov_b32 s0, exec_lo
	s_wait_dscnt 0x7
	v_dual_mov_b32 v188, v157 :: v_dual_mov_b32 v189, v156
	s_wait_dscnt 0x6
	v_dual_mov_b32 v190, v161 :: v_dual_mov_b32 v191, v160
	;; [unrolled: 2-line block ×4, first 2 shown]
	s_wait_loadcnt_dscnt 0x803
	v_dual_mul_f32 v7, v170, v123 :: v_dual_mul_f32 v9, v172, v125
	v_dual_mul_f32 v19, v171, v123 :: v_dual_mul_f32 v21, v173, v125
	s_wait_loadcnt_dscnt 0x702
	v_dual_mul_f32 v11, v174, v127 :: v_dual_mul_f32 v13, v176, v129
	s_delay_alu instid0(VALU_DEP_3) | instskip(SKIP_3) | instid1(VALU_DEP_3)
	v_dual_fmac_f32 v7, v171, v122 :: v_dual_fmac_f32 v9, v173, v124
	s_wait_loadcnt_dscnt 0x500
	v_dual_fma_f32 v19, v170, v122, -v19 :: v_dual_mul_f32 v31, v183, v135
	v_dual_mul_f32 v23, v175, v127 :: v_dual_mul_f32 v25, v177, v129
	v_dual_fma_f32 v21, v172, v124, -v21 :: v_dual_add_f32 v7, 0, v7
	s_delay_alu instid0(VALU_DEP_3) | instskip(SKIP_1) | instid1(VALU_DEP_3)
	v_dual_add_f32 v19, 0, v19 :: v_dual_mul_f32 v33, v185, v137
	v_dual_fmac_f32 v11, v175, v126 :: v_dual_fmac_f32 v13, v177, v128
	v_dual_fma_f32 v23, v174, v126, -v23 :: v_dual_add_f32 v7, v7, v9
	s_delay_alu instid0(VALU_DEP_3) | instskip(SKIP_4) | instid1(VALU_DEP_3)
	v_dual_add_f32 v9, v19, v21 :: v_dual_fma_f32 v19, v176, v128, -v25
	v_dual_mul_f32 v15, v178, v131 :: v_dual_mul_f32 v17, v180, v133
	v_dual_mul_f32 v27, v179, v131 :: v_dual_mul_f32 v29, v181, v133
	s_wait_loadcnt 0x4
	v_dual_add_f32 v7, v7, v11 :: v_dual_mov_b32 v124, v141
	v_dual_add_f32 v9, v9, v23 :: v_dual_fmac_f32 v15, v179, v130
	s_delay_alu instid0(VALU_DEP_2) | instskip(SKIP_1) | instid1(VALU_DEP_3)
	v_dual_fma_f32 v11, v178, v130, -v27 :: v_dual_add_f32 v7, v7, v13
	v_dual_mul_f32 v197, v182, v135 :: v_dual_mul_f32 v199, v184, v137
	v_dual_add_f32 v9, v9, v19 :: v_dual_fma_f32 v13, v180, v132, -v29
	s_delay_alu instid0(VALU_DEP_3) | instskip(SKIP_1) | instid1(VALU_DEP_3)
	v_dual_fmac_f32 v17, v181, v132 :: v_dual_add_f32 v7, v7, v15
	v_pk_mul_f32 v[122:123], v[154:155], v[138:139] op_sel:[1,1] op_sel_hi:[0,1]
	v_dual_add_f32 v9, v9, v11 :: v_dual_fmac_f32 v197, v183, v134
	s_wait_loadcnt 0x3
	v_dual_mov_b32 v128, v145 :: v_dual_fma_f32 v196, v182, v134, -v31
	v_dual_add_f32 v131, v7, v17 :: v_dual_fmac_f32 v199, v185, v136
	s_delay_alu instid0(VALU_DEP_3) | instskip(SKIP_3) | instid1(VALU_DEP_4)
	v_dual_add_f32 v130, v9, v13 :: v_dual_fma_f32 v198, v184, v136, -v33
	v_pk_fma_f32 v[132:133], v[154:155], v[138:139], v[122:123] op_sel_hi:[1,0,1]
	v_pk_mul_f32 v[124:125], v[188:189], v[124:125] op_sel_hi:[1,0]
	v_pk_fma_f32 v[122:123], v[154:155], v[138:139], v[122:123] neg_lo:[0,0,1] neg_hi:[0,0,1]
	v_pk_add_f32 v[130:131], v[130:131], v[196:197]
	v_pk_mul_f32 v[126:127], v[158:159], v[142:143] op_sel:[1,1] op_sel_hi:[0,1]
	v_mov_b32_e32 v123, v133
	v_pk_fma_f32 v[132:133], v[156:157], v[140:141], v[124:125] op_sel_hi:[1,0,1]
	v_pk_fma_f32 v[124:125], v[156:157], v[140:141], v[124:125] neg_lo:[0,0,1] neg_hi:[0,0,1]
	v_pk_add_f32 v[130:131], v[130:131], v[198:199]
	v_pk_fma_f32 v[136:137], v[158:159], v[142:143], v[126:127] op_sel_hi:[1,0,1]
	v_pk_mul_f32 v[128:129], v[190:191], v[128:129] op_sel_hi:[1,0]
	v_mov_b32_e32 v125, v133
	s_wait_loadcnt 0x2
	v_pk_mul_f32 v[134:135], v[162:163], v[146:147] op_sel:[1,1] op_sel_hi:[0,1]
	v_pk_add_f32 v[122:123], v[130:131], v[122:123]
	v_mov_b32_e32 v130, v149
	v_pk_fma_f32 v[126:127], v[158:159], v[142:143], v[126:127] neg_lo:[0,0,1] neg_hi:[0,0,1]
	v_mov_b32_e32 v127, v137
	v_pk_fma_f32 v[132:133], v[160:161], v[144:145], v[128:129] op_sel_hi:[1,0,1]
	v_pk_add_f32 v[122:123], v[122:123], v[124:125]
	v_pk_fma_f32 v[124:125], v[162:163], v[146:147], v[134:135] op_sel_hi:[1,0,1]
	v_pk_mul_f32 v[130:131], v[192:193], v[130:131] op_sel_hi:[1,0]
	v_pk_fma_f32 v[128:129], v[160:161], v[144:145], v[128:129] neg_lo:[0,0,1] neg_hi:[0,0,1]
	v_mov_b32_e32 v129, v133
	v_pk_add_f32 v[122:123], v[122:123], v[126:127]
	v_pk_fma_f32 v[132:133], v[162:163], v[146:147], v[134:135] neg_lo:[0,0,1] neg_hi:[0,0,1]
	v_mov_b32_e32 v133, v125
	v_pk_fma_f32 v[124:125], v[164:165], v[148:149], v[130:131] op_sel_hi:[1,0,1]
	s_wait_loadcnt 0x1
	v_pk_mul_f32 v[126:127], v[166:167], v[150:151] op_sel:[1,1] op_sel_hi:[0,1]
	v_pk_add_f32 v[122:123], v[122:123], v[128:129]
	v_mov_b32_e32 v124, v153
	v_pk_fma_f32 v[130:131], v[164:165], v[148:149], v[130:131] neg_lo:[0,0,1] neg_hi:[0,0,1]
	v_mov_b32_e32 v131, v125
	v_pk_fma_f32 v[128:129], v[166:167], v[150:151], v[126:127] op_sel_hi:[1,0,1]
	v_pk_add_f32 v[122:123], v[122:123], v[132:133]
	v_pk_mul_f32 v[124:125], v[194:195], v[124:125] op_sel_hi:[1,0]
	v_pk_fma_f32 v[126:127], v[166:167], v[150:151], v[126:127] neg_lo:[0,0,1] neg_hi:[0,0,1]
	s_delay_alu instid0(VALU_DEP_4) | instskip(NEXT) | instid1(VALU_DEP_4)
	v_mov_b32_e32 v127, v129
	v_pk_add_f32 v[122:123], v[122:123], v[130:131]
	s_delay_alu instid0(VALU_DEP_4) | instskip(SKIP_1) | instid1(VALU_DEP_2)
	v_pk_fma_f32 v[128:129], v[168:169], v[152:153], v[124:125] op_sel_hi:[1,0,1]
	v_pk_fma_f32 v[124:125], v[168:169], v[152:153], v[124:125] neg_lo:[0,0,1] neg_hi:[0,0,1]
	v_mov_b32_e32 v125, v129
	s_delay_alu instid0(VALU_DEP_4) | instskip(NEXT) | instid1(VALU_DEP_1)
	v_pk_add_f32 v[122:123], v[122:123], v[126:127]
	v_pk_add_f32 v[122:123], v[122:123], v[124:125]
	s_wait_loadcnt 0x0
	s_delay_alu instid0(VALU_DEP_1)
	v_pk_add_f32 v[122:123], v[186:187], v[122:123] neg_lo:[0,1] neg_hi:[0,1]
	scratch_store_b64 off, v[122:123], off offset:344
	s_wait_xcnt 0x0
	v_cmpx_lt_u32_e32 42, v0
	s_cbranch_execz .LBB59_289
; %bb.288:
	scratch_load_b64 v[122:123], off, off offset:336
	v_mov_b64_e32 v[124:125], 0
	scratch_store_b64 off, v[124:125], off offset:336
	s_wait_loadcnt 0x0
	ds_store_b64 v1, v[122:123]
.LBB59_289:
	s_wait_xcnt 0x0
	s_or_b32 exec_lo, exec_lo, s0
	s_wait_storecnt_dscnt 0x0
	s_barrier_signal -1
	s_barrier_wait -1
	s_clause 0x9
	scratch_load_b128 v[122:125], off, off offset:344
	scratch_load_b128 v[126:129], off, off offset:360
	;; [unrolled: 1-line block ×8, first 2 shown]
	scratch_load_b64 v[186:187], off, off offset:472
	scratch_load_b64 v[188:189], off, off offset:336
	v_mov_b32_e32 v7, 0
	ds_load_2addr_b64 v[154:157], v7 offset0:111 offset1:112
	ds_load_2addr_b64 v[158:161], v7 offset0:113 offset1:114
	;; [unrolled: 1-line block ×8, first 2 shown]
	ds_load_b64 v[190:191], v7 offset:952
	s_mov_b32 s0, exec_lo
	s_wait_dscnt 0x8
	v_dual_mov_b32 v192, v157 :: v_dual_mov_b32 v193, v156
	s_wait_dscnt 0x5
	v_dual_mov_b32 v194, v161 :: v_dual_mov_b32 v199, v168
	v_dual_mov_b32 v195, v160 :: v_dual_mov_b32 v196, v165
	;; [unrolled: 1-line block ×3, first 2 shown]
	s_wait_loadcnt_dscnt 0x904
	v_dual_mul_f32 v9, v170, v123 :: v_dual_mul_f32 v23, v171, v123
	v_dual_mul_f32 v25, v173, v125 :: v_dual_mul_f32 v11, v172, v125
	s_wait_loadcnt_dscnt 0x803
	v_mul_f32_e32 v13, v174, v127
	s_wait_loadcnt_dscnt 0x601
	v_dual_mul_f32 v35, v183, v135 :: v_dual_fma_f32 v23, v170, v122, -v23
	v_dual_fmac_f32 v9, v171, v122 :: v_dual_mul_f32 v37, v185, v137
	v_dual_mul_f32 v27, v175, v127 :: v_dual_mul_f32 v29, v177, v129
	v_dual_fmac_f32 v11, v173, v124 :: v_dual_fma_f32 v25, v172, v124, -v25
	s_delay_alu instid0(VALU_DEP_3) | instskip(SKIP_3) | instid1(VALU_DEP_3)
	v_dual_add_f32 v9, 0, v9 :: v_dual_add_f32 v23, 0, v23
	v_dual_mul_f32 v15, v176, v129 :: v_dual_mul_f32 v17, v178, v131
	s_wait_loadcnt 0x5
	v_dual_mul_f32 v39, v155, v139 :: v_dual_fma_f32 v27, v174, v126, -v27
	v_dual_fmac_f32 v13, v175, v126 :: v_dual_add_f32 v9, v9, v11
	v_dual_add_f32 v11, v23, v25 :: v_dual_mov_b32 v122, v141
	v_dual_mul_f32 v31, v179, v131 :: v_dual_mul_f32 v33, v181, v133
	v_dual_fmac_f32 v15, v177, v128 :: v_dual_fma_f32 v23, v176, v128, -v29
	s_delay_alu instid0(VALU_DEP_3) | instskip(SKIP_1) | instid1(VALU_DEP_4)
	v_dual_add_f32 v9, v9, v13 :: v_dual_add_f32 v11, v11, v27
	v_dual_mul_f32 v19, v180, v133 :: v_dual_mul_f32 v21, v182, v135
	v_dual_fmac_f32 v17, v179, v130 :: v_dual_fma_f32 v13, v178, v130, -v31
	s_delay_alu instid0(VALU_DEP_3) | instskip(SKIP_3) | instid1(VALU_DEP_3)
	v_dual_add_f32 v9, v9, v15 :: v_dual_fma_f32 v15, v180, v132, -v33
	s_wait_loadcnt 0x4
	v_dual_add_f32 v11, v11, v23 :: v_dual_mov_b32 v126, v145
	v_fmac_f32_e32 v19, v181, v132
	v_dual_add_f32 v9, v9, v17 :: v_dual_fmac_f32 v21, v183, v134
	s_delay_alu instid0(VALU_DEP_3) | instskip(SKIP_1) | instid1(VALU_DEP_3)
	v_add_f32_e32 v11, v11, v13
	v_dual_mul_f32 v201, v184, v137 :: v_dual_mul_f32 v203, v154, v139
	v_dual_fma_f32 v13, v182, v134, -v35 :: v_dual_add_f32 v9, v9, v19
	s_delay_alu instid0(VALU_DEP_2) | instskip(SKIP_1) | instid1(VALU_DEP_3)
	v_dual_add_f32 v11, v11, v15 :: v_dual_fmac_f32 v201, v185, v136
	v_pk_mul_f32 v[124:125], v[158:159], v[142:143] op_sel:[1,1] op_sel_hi:[0,1]
	v_dual_fma_f32 v200, v184, v136, -v37 :: v_dual_add_f32 v131, v9, v21
	v_pk_mul_f32 v[122:123], v[192:193], v[122:123] op_sel_hi:[1,0]
	s_wait_loadcnt 0x3
	v_dual_add_f32 v130, v11, v13 :: v_dual_mov_b32 v132, v149
	v_pk_fma_f32 v[136:137], v[158:159], v[142:143], v[124:125] op_sel_hi:[1,0,1]
	v_fmac_f32_e32 v203, v155, v138
	v_pk_fma_f32 v[134:135], v[156:157], v[140:141], v[122:123] op_sel_hi:[1,0,1]
	v_fma_f32 v202, v154, v138, -v39
	v_pk_add_f32 v[130:131], v[130:131], v[200:201]
	v_pk_fma_f32 v[122:123], v[156:157], v[140:141], v[122:123] neg_lo:[0,0,1] neg_hi:[0,0,1]
	v_pk_fma_f32 v[124:125], v[158:159], v[142:143], v[124:125] neg_lo:[0,0,1] neg_hi:[0,0,1]
	v_pk_mul_f32 v[126:127], v[194:195], v[126:127] op_sel_hi:[1,0]
	v_dual_mov_b32 v123, v135 :: v_dual_mov_b32 v125, v137
	v_pk_add_f32 v[130:131], v[130:131], v[202:203]
	v_pk_mul_f32 v[128:129], v[162:163], v[146:147] op_sel:[1,1] op_sel_hi:[0,1]
	s_delay_alu instid0(VALU_DEP_4)
	v_pk_fma_f32 v[136:137], v[160:161], v[144:145], v[126:127] op_sel_hi:[1,0,1]
	v_pk_fma_f32 v[126:127], v[160:161], v[144:145], v[126:127] neg_lo:[0,0,1] neg_hi:[0,0,1]
	v_pk_mul_f32 v[132:133], v[196:197], v[132:133] op_sel_hi:[1,0]
	v_pk_add_f32 v[122:123], v[130:131], v[122:123]
	v_pk_fma_f32 v[130:131], v[162:163], v[146:147], v[128:129] op_sel_hi:[1,0,1]
	v_mov_b32_e32 v127, v137
	v_pk_fma_f32 v[128:129], v[162:163], v[146:147], v[128:129] neg_lo:[0,0,1] neg_hi:[0,0,1]
	s_wait_loadcnt 0x2
	v_pk_mul_f32 v[134:135], v[166:167], v[150:151] op_sel:[1,1] op_sel_hi:[0,1]
	v_pk_add_f32 v[122:123], v[122:123], v[124:125]
	v_dual_mov_b32 v124, v153 :: v_dual_mov_b32 v129, v131
	v_pk_fma_f32 v[130:131], v[164:165], v[148:149], v[132:133] op_sel_hi:[1,0,1]
	v_pk_fma_f32 v[132:133], v[164:165], v[148:149], v[132:133] neg_lo:[0,0,1] neg_hi:[0,0,1]
	s_delay_alu instid0(VALU_DEP_4)
	v_pk_add_f32 v[122:123], v[122:123], v[126:127]
	v_pk_fma_f32 v[126:127], v[166:167], v[150:151], v[134:135] op_sel_hi:[1,0,1]
	v_pk_mul_f32 v[124:125], v[198:199], v[124:125] op_sel_hi:[1,0]
	v_mov_b32_e32 v133, v131
	s_wait_loadcnt_dscnt 0x100
	v_pk_mul_f32 v[130:131], v[190:191], v[186:187] op_sel:[1,1] op_sel_hi:[0,1]
	v_pk_add_f32 v[122:123], v[122:123], v[128:129]
	v_pk_fma_f32 v[128:129], v[166:167], v[150:151], v[134:135] neg_lo:[0,0,1] neg_hi:[0,0,1]
	v_mov_b32_e32 v129, v127
	v_pk_fma_f32 v[126:127], v[168:169], v[152:153], v[124:125] op_sel_hi:[1,0,1]
	v_pk_fma_f32 v[124:125], v[168:169], v[152:153], v[124:125] neg_lo:[0,0,1] neg_hi:[0,0,1]
	v_pk_add_f32 v[122:123], v[122:123], v[132:133]
	s_delay_alu instid0(VALU_DEP_3) | instskip(SKIP_1) | instid1(VALU_DEP_3)
	v_mov_b32_e32 v125, v127
	v_pk_fma_f32 v[126:127], v[190:191], v[186:187], v[130:131] op_sel_hi:[1,0,1]
	v_pk_add_f32 v[122:123], v[122:123], v[128:129]
	v_pk_fma_f32 v[128:129], v[190:191], v[186:187], v[130:131] neg_lo:[0,0,1] neg_hi:[0,0,1]
	s_delay_alu instid0(VALU_DEP_3) | instskip(NEXT) | instid1(VALU_DEP_3)
	v_mov_b32_e32 v129, v127
	v_pk_add_f32 v[122:123], v[122:123], v[124:125]
	s_delay_alu instid0(VALU_DEP_1) | instskip(SKIP_1) | instid1(VALU_DEP_1)
	v_pk_add_f32 v[122:123], v[122:123], v[128:129]
	s_wait_loadcnt 0x0
	v_pk_add_f32 v[122:123], v[188:189], v[122:123] neg_lo:[0,1] neg_hi:[0,1]
	scratch_store_b64 off, v[122:123], off offset:336
	s_wait_xcnt 0x0
	v_cmpx_lt_u32_e32 41, v0
	s_cbranch_execz .LBB59_291
; %bb.290:
	scratch_load_b64 v[122:123], off, off offset:328
	v_mov_b64_e32 v[124:125], 0
	scratch_store_b64 off, v[124:125], off offset:328
	s_wait_loadcnt 0x0
	ds_store_b64 v1, v[122:123]
.LBB59_291:
	s_wait_xcnt 0x0
	s_or_b32 exec_lo, exec_lo, s0
	s_wait_storecnt_dscnt 0x0
	s_barrier_signal -1
	s_barrier_wait -1
	s_clause 0x9
	scratch_load_b128 v[122:125], off, off offset:336
	scratch_load_b128 v[126:129], off, off offset:352
	;; [unrolled: 1-line block ×9, first 2 shown]
	scratch_load_b64 v[194:195], off, off offset:328
	ds_load_b128 v[158:161], v7 offset:896
	ds_load_b128 v[162:165], v7 offset:912
	ds_load_b128 v[166:169], v7 offset:928
	ds_load_b128 v[170:173], v7 offset:944
	ds_load_b128 v[174:177], v7 offset:816
	ds_load_b128 v[178:181], v7 offset:832
	ds_load_b128 v[182:185], v7 offset:848
	ds_load_b128 v[186:189], v7 offset:864
	ds_load_b128 v[190:193], v7 offset:880
	s_mov_b32 s0, exec_lo
	s_wait_dscnt 0x8
	v_dual_mov_b32 v196, v161 :: v_dual_mov_b32 v197, v160
	s_wait_dscnt 0x7
	v_dual_mov_b32 v198, v165 :: v_dual_mov_b32 v199, v164
	;; [unrolled: 2-line block ×4, first 2 shown]
	s_wait_loadcnt_dscnt 0x904
	v_dual_mul_f32 v7, v174, v123 :: v_dual_mul_f32 v9, v176, v125
	v_dual_mul_f32 v23, v175, v123 :: v_dual_mul_f32 v25, v177, v125
	s_wait_loadcnt_dscnt 0x803
	v_dual_mul_f32 v11, v178, v127 :: v_dual_mul_f32 v13, v180, v129
	s_delay_alu instid0(VALU_DEP_3) | instskip(SKIP_3) | instid1(VALU_DEP_3)
	v_dual_fmac_f32 v7, v175, v122 :: v_dual_fmac_f32 v9, v177, v124
	s_wait_loadcnt_dscnt 0x601
	v_dual_fma_f32 v23, v174, v122, -v23 :: v_dual_mul_f32 v35, v187, v135
	v_dual_mul_f32 v27, v179, v127 :: v_dual_mul_f32 v29, v181, v129
	v_dual_fma_f32 v25, v176, v124, -v25 :: v_dual_add_f32 v7, 0, v7
	s_delay_alu instid0(VALU_DEP_3) | instskip(SKIP_1) | instid1(VALU_DEP_3)
	v_dual_add_f32 v23, 0, v23 :: v_dual_mul_f32 v37, v189, v137
	v_dual_fmac_f32 v11, v179, v126 :: v_dual_fmac_f32 v13, v181, v128
	v_dual_fma_f32 v27, v178, v126, -v27 :: v_dual_add_f32 v7, v7, v9
	s_delay_alu instid0(VALU_DEP_3) | instskip(SKIP_2) | instid1(VALU_DEP_4)
	v_dual_add_f32 v9, v23, v25 :: v_dual_fma_f32 v25, v180, v128, -v29
	v_dual_mul_f32 v15, v182, v131 :: v_dual_mul_f32 v17, v184, v133
	v_dual_mul_f32 v31, v183, v131 :: v_dual_mul_f32 v33, v185, v133
	v_add_f32_e32 v7, v7, v11
	s_delay_alu instid0(VALU_DEP_3) | instskip(NEXT) | instid1(VALU_DEP_3)
	v_dual_add_f32 v9, v9, v27 :: v_dual_fmac_f32 v15, v183, v130
	v_fma_f32 v27, v182, v130, -v31
	v_dual_mul_f32 v19, v186, v135 :: v_dual_mul_f32 v21, v188, v137
	s_delay_alu instid0(VALU_DEP_4) | instskip(NEXT) | instid1(VALU_DEP_4)
	v_dual_add_f32 v7, v7, v13 :: v_dual_fmac_f32 v17, v185, v132
	v_dual_add_f32 v9, v9, v25 :: v_dual_fma_f32 v13, v184, v132, -v33
	s_wait_loadcnt 0x4
	s_delay_alu instid0(VALU_DEP_2) | instskip(NEXT) | instid1(VALU_DEP_2)
	v_dual_mov_b32 v124, v145 :: v_dual_add_f32 v7, v7, v15
	v_dual_fmac_f32 v19, v187, v134 :: v_dual_add_f32 v9, v9, v27
	v_fma_f32 v15, v186, v134, -v35
	s_wait_dscnt 0x0
	v_dual_mul_f32 v205, v190, v139 :: v_dual_mul_f32 v207, v192, v141
	v_add_f32_e32 v7, v7, v17
	v_dual_add_f32 v9, v9, v13 :: v_dual_fma_f32 v13, v188, v136, -v37
	v_dual_mul_f32 v23, v191, v139 :: v_dual_mul_f32 v11, v193, v141
	s_delay_alu instid0(VALU_DEP_3) | instskip(NEXT) | instid1(VALU_DEP_3)
	v_dual_fmac_f32 v21, v189, v136 :: v_dual_add_f32 v7, v7, v19
	v_dual_add_f32 v9, v9, v15 :: v_dual_fmac_f32 v205, v191, v138
	v_pk_mul_f32 v[122:123], v[158:159], v[142:143] op_sel:[1,1] op_sel_hi:[0,1]
	s_wait_loadcnt 0x3
	v_dual_mov_b32 v128, v149 :: v_dual_fma_f32 v204, v190, v138, -v23
	v_dual_add_f32 v131, v7, v21 :: v_dual_fmac_f32 v207, v193, v140
	v_dual_add_f32 v130, v9, v13 :: v_dual_fma_f32 v206, v192, v140, -v11
	v_pk_fma_f32 v[132:133], v[158:159], v[142:143], v[122:123] op_sel_hi:[1,0,1]
	v_pk_mul_f32 v[124:125], v[196:197], v[124:125] op_sel_hi:[1,0]
	v_pk_fma_f32 v[122:123], v[158:159], v[142:143], v[122:123] neg_lo:[0,0,1] neg_hi:[0,0,1]
	s_delay_alu instid0(VALU_DEP_4)
	v_pk_add_f32 v[130:131], v[130:131], v[204:205]
	v_pk_mul_f32 v[126:127], v[162:163], v[146:147] op_sel:[1,1] op_sel_hi:[0,1]
	v_mov_b32_e32 v123, v133
	v_pk_fma_f32 v[132:133], v[160:161], v[144:145], v[124:125] op_sel_hi:[1,0,1]
	v_pk_fma_f32 v[124:125], v[160:161], v[144:145], v[124:125] neg_lo:[0,0,1] neg_hi:[0,0,1]
	v_pk_add_f32 v[130:131], v[130:131], v[206:207]
	v_pk_fma_f32 v[136:137], v[162:163], v[146:147], v[126:127] op_sel_hi:[1,0,1]
	v_pk_mul_f32 v[128:129], v[198:199], v[128:129] op_sel_hi:[1,0]
	v_mov_b32_e32 v125, v133
	s_wait_loadcnt 0x2
	v_pk_mul_f32 v[134:135], v[166:167], v[150:151] op_sel:[1,1] op_sel_hi:[0,1]
	v_pk_add_f32 v[122:123], v[130:131], v[122:123]
	v_mov_b32_e32 v130, v153
	v_pk_fma_f32 v[126:127], v[162:163], v[146:147], v[126:127] neg_lo:[0,0,1] neg_hi:[0,0,1]
	v_mov_b32_e32 v127, v137
	v_pk_fma_f32 v[132:133], v[164:165], v[148:149], v[128:129] op_sel_hi:[1,0,1]
	v_pk_add_f32 v[122:123], v[122:123], v[124:125]
	v_pk_fma_f32 v[124:125], v[166:167], v[150:151], v[134:135] op_sel_hi:[1,0,1]
	v_pk_mul_f32 v[130:131], v[200:201], v[130:131] op_sel_hi:[1,0]
	v_pk_fma_f32 v[128:129], v[164:165], v[148:149], v[128:129] neg_lo:[0,0,1] neg_hi:[0,0,1]
	v_mov_b32_e32 v129, v133
	v_pk_add_f32 v[122:123], v[122:123], v[126:127]
	v_pk_fma_f32 v[132:133], v[166:167], v[150:151], v[134:135] neg_lo:[0,0,1] neg_hi:[0,0,1]
	v_mov_b32_e32 v133, v125
	v_pk_fma_f32 v[124:125], v[168:169], v[152:153], v[130:131] op_sel_hi:[1,0,1]
	s_wait_loadcnt 0x1
	v_pk_mul_f32 v[126:127], v[170:171], v[154:155] op_sel:[1,1] op_sel_hi:[0,1]
	v_pk_add_f32 v[122:123], v[122:123], v[128:129]
	v_mov_b32_e32 v124, v157
	v_pk_fma_f32 v[130:131], v[168:169], v[152:153], v[130:131] neg_lo:[0,0,1] neg_hi:[0,0,1]
	v_mov_b32_e32 v131, v125
	v_pk_fma_f32 v[128:129], v[170:171], v[154:155], v[126:127] op_sel_hi:[1,0,1]
	v_pk_add_f32 v[122:123], v[122:123], v[132:133]
	v_pk_mul_f32 v[124:125], v[202:203], v[124:125] op_sel_hi:[1,0]
	v_pk_fma_f32 v[126:127], v[170:171], v[154:155], v[126:127] neg_lo:[0,0,1] neg_hi:[0,0,1]
	s_delay_alu instid0(VALU_DEP_4) | instskip(NEXT) | instid1(VALU_DEP_4)
	v_mov_b32_e32 v127, v129
	v_pk_add_f32 v[122:123], v[122:123], v[130:131]
	s_delay_alu instid0(VALU_DEP_4) | instskip(SKIP_1) | instid1(VALU_DEP_2)
	v_pk_fma_f32 v[128:129], v[172:173], v[156:157], v[124:125] op_sel_hi:[1,0,1]
	v_pk_fma_f32 v[124:125], v[172:173], v[156:157], v[124:125] neg_lo:[0,0,1] neg_hi:[0,0,1]
	v_mov_b32_e32 v125, v129
	s_delay_alu instid0(VALU_DEP_4) | instskip(NEXT) | instid1(VALU_DEP_1)
	v_pk_add_f32 v[122:123], v[122:123], v[126:127]
	v_pk_add_f32 v[122:123], v[122:123], v[124:125]
	s_wait_loadcnt 0x0
	s_delay_alu instid0(VALU_DEP_1)
	v_pk_add_f32 v[122:123], v[194:195], v[122:123] neg_lo:[0,1] neg_hi:[0,1]
	scratch_store_b64 off, v[122:123], off offset:328
	s_wait_xcnt 0x0
	v_cmpx_lt_u32_e32 40, v0
	s_cbranch_execz .LBB59_293
; %bb.292:
	scratch_load_b64 v[122:123], off, off offset:320
	v_mov_b64_e32 v[124:125], 0
	scratch_store_b64 off, v[124:125], off offset:320
	s_wait_loadcnt 0x0
	ds_store_b64 v1, v[122:123]
.LBB59_293:
	s_wait_xcnt 0x0
	s_or_b32 exec_lo, exec_lo, s0
	s_wait_storecnt_dscnt 0x0
	s_barrier_signal -1
	s_barrier_wait -1
	s_clause 0xa
	scratch_load_b128 v[122:125], off, off offset:328
	scratch_load_b128 v[126:129], off, off offset:344
	;; [unrolled: 1-line block ×9, first 2 shown]
	scratch_load_b64 v[194:195], off, off offset:472
	scratch_load_b64 v[196:197], off, off offset:320
	v_mov_b32_e32 v7, 0
	ds_load_2addr_b64 v[158:161], v7 offset0:111 offset1:112
	ds_load_2addr_b64 v[162:165], v7 offset0:113 offset1:114
	;; [unrolled: 1-line block ×9, first 2 shown]
	ds_load_b64 v[198:199], v7 offset:952
	s_mov_b32 s0, exec_lo
	s_wait_dscnt 0x9
	v_dual_mov_b32 v200, v161 :: v_dual_mov_b32 v201, v160
	s_wait_dscnt 0x6
	v_dual_mov_b32 v202, v165 :: v_dual_mov_b32 v207, v172
	v_dual_mov_b32 v203, v164 :: v_dual_mov_b32 v204, v169
	v_dual_mov_b32 v205, v168 :: v_dual_mov_b32 v206, v173
	s_wait_loadcnt_dscnt 0xa05
	v_dual_mul_f32 v9, v174, v123 :: v_dual_mul_f32 v27, v175, v123
	v_dual_mul_f32 v29, v177, v125 :: v_dual_mul_f32 v11, v176, v125
	s_wait_loadcnt_dscnt 0x904
	v_mul_f32_e32 v13, v178, v127
	s_wait_loadcnt_dscnt 0x702
	v_dual_mul_f32 v39, v187, v135 :: v_dual_fma_f32 v27, v174, v122, -v27
	v_dual_fmac_f32 v9, v175, v122 :: v_dual_mul_f32 v41, v189, v137
	v_dual_mul_f32 v31, v179, v127 :: v_dual_mul_f32 v33, v181, v129
	v_dual_fmac_f32 v11, v177, v124 :: v_dual_fma_f32 v29, v176, v124, -v29
	s_delay_alu instid0(VALU_DEP_3) | instskip(SKIP_3) | instid1(VALU_DEP_3)
	v_dual_add_f32 v9, 0, v9 :: v_dual_add_f32 v27, 0, v27
	v_dual_mul_f32 v15, v180, v129 :: v_dual_mul_f32 v17, v182, v131
	s_wait_loadcnt_dscnt 0x601
	v_dual_mul_f32 v43, v191, v139 :: v_dual_fma_f32 v31, v178, v126, -v31
	v_dual_fmac_f32 v13, v179, v126 :: v_dual_add_f32 v9, v9, v11
	s_delay_alu instid0(VALU_DEP_3) | instskip(SKIP_2) | instid1(VALU_DEP_3)
	v_dual_add_f32 v11, v27, v29 :: v_dual_fmac_f32 v15, v181, v128
	v_dual_mul_f32 v35, v183, v131 :: v_dual_mul_f32 v37, v185, v133
	v_dual_mul_f32 v27, v193, v141 :: v_dual_fma_f32 v29, v180, v128, -v33
	v_dual_add_f32 v9, v9, v13 :: v_dual_add_f32 v11, v11, v31
	v_dual_mul_f32 v19, v184, v133 :: v_dual_mul_f32 v21, v186, v135
	s_wait_loadcnt 0x5
	v_dual_mul_f32 v13, v159, v143 :: v_dual_fma_f32 v31, v182, v130, -v35
	s_delay_alu instid0(VALU_DEP_3) | instskip(SKIP_2) | instid1(VALU_DEP_2)
	v_dual_fmac_f32 v17, v183, v130 :: v_dual_add_f32 v9, v9, v15
	v_dual_add_f32 v11, v11, v29 :: v_dual_mov_b32 v122, v145
	v_dual_fmac_f32 v19, v185, v132 :: v_dual_fma_f32 v15, v184, v132, -v37
	v_dual_add_f32 v9, v9, v17 :: v_dual_add_f32 v11, v11, v31
	v_dual_mul_f32 v23, v188, v137 :: v_dual_mul_f32 v25, v190, v139
	v_dual_fmac_f32 v21, v187, v134 :: v_dual_fma_f32 v17, v186, v134, -v39
	s_delay_alu instid0(VALU_DEP_3) | instskip(SKIP_3) | instid1(VALU_DEP_3)
	v_add_f32_e32 v9, v9, v19
	s_wait_loadcnt 0x4
	v_dual_add_f32 v11, v11, v15 :: v_dual_mov_b32 v126, v149
	v_dual_fmac_f32 v23, v189, v136 :: v_dual_fma_f32 v15, v188, v136, -v41
	v_dual_add_f32 v9, v9, v21 :: v_dual_fmac_f32 v25, v191, v138
	s_delay_alu instid0(VALU_DEP_3) | instskip(SKIP_1) | instid1(VALU_DEP_3)
	v_add_f32_e32 v11, v11, v17
	v_dual_mul_f32 v209, v192, v141 :: v_dual_mul_f32 v211, v158, v143
	v_dual_fma_f32 v17, v190, v138, -v43 :: v_dual_add_f32 v9, v9, v23
	s_delay_alu instid0(VALU_DEP_2) | instskip(SKIP_2) | instid1(VALU_DEP_4)
	v_dual_add_f32 v11, v11, v15 :: v_dual_fmac_f32 v209, v193, v140
	v_fma_f32 v208, v192, v140, -v27
	v_pk_mul_f32 v[122:123], v[200:201], v[122:123] op_sel_hi:[1,0]
	v_add_f32_e32 v131, v9, v25
	s_wait_loadcnt 0x3
	v_dual_add_f32 v130, v11, v17 :: v_dual_mov_b32 v132, v153
	v_pk_mul_f32 v[124:125], v[162:163], v[146:147] op_sel:[1,1] op_sel_hi:[0,1]
	v_dual_fmac_f32 v211, v159, v142 :: v_dual_fma_f32 v210, v158, v142, -v13
	v_pk_fma_f32 v[134:135], v[160:161], v[144:145], v[122:123] op_sel_hi:[1,0,1]
	s_delay_alu instid0(VALU_DEP_4)
	v_pk_add_f32 v[130:131], v[130:131], v[208:209]
	v_pk_fma_f32 v[122:123], v[160:161], v[144:145], v[122:123] neg_lo:[0,0,1] neg_hi:[0,0,1]
	v_pk_fma_f32 v[136:137], v[162:163], v[146:147], v[124:125] op_sel_hi:[1,0,1]
	v_pk_mul_f32 v[126:127], v[202:203], v[126:127] op_sel_hi:[1,0]
	v_mov_b32_e32 v123, v135
	v_pk_add_f32 v[130:131], v[130:131], v[210:211]
	v_pk_fma_f32 v[124:125], v[162:163], v[146:147], v[124:125] neg_lo:[0,0,1] neg_hi:[0,0,1]
	v_pk_mul_f32 v[128:129], v[166:167], v[150:151] op_sel:[1,1] op_sel_hi:[0,1]
	v_mov_b32_e32 v125, v137
	v_pk_fma_f32 v[136:137], v[164:165], v[148:149], v[126:127] op_sel_hi:[1,0,1]
	v_pk_add_f32 v[122:123], v[130:131], v[122:123]
	v_pk_fma_f32 v[126:127], v[164:165], v[148:149], v[126:127] neg_lo:[0,0,1] neg_hi:[0,0,1]
	v_pk_fma_f32 v[130:131], v[166:167], v[150:151], v[128:129] op_sel_hi:[1,0,1]
	v_pk_mul_f32 v[132:133], v[204:205], v[132:133] op_sel_hi:[1,0]
	v_mov_b32_e32 v127, v137
	v_pk_add_f32 v[122:123], v[122:123], v[124:125]
	v_pk_fma_f32 v[128:129], v[166:167], v[150:151], v[128:129] neg_lo:[0,0,1] neg_hi:[0,0,1]
	s_wait_loadcnt 0x2
	v_pk_mul_f32 v[134:135], v[170:171], v[154:155] op_sel:[1,1] op_sel_hi:[0,1]
	v_dual_mov_b32 v124, v157 :: v_dual_mov_b32 v129, v131
	v_pk_fma_f32 v[130:131], v[168:169], v[152:153], v[132:133] op_sel_hi:[1,0,1]
	v_pk_add_f32 v[122:123], v[122:123], v[126:127]
	v_pk_fma_f32 v[132:133], v[168:169], v[152:153], v[132:133] neg_lo:[0,0,1] neg_hi:[0,0,1]
	v_pk_fma_f32 v[126:127], v[170:171], v[154:155], v[134:135] op_sel_hi:[1,0,1]
	v_pk_mul_f32 v[124:125], v[206:207], v[124:125] op_sel_hi:[1,0]
	v_mov_b32_e32 v133, v131
	v_pk_add_f32 v[122:123], v[122:123], v[128:129]
	v_pk_fma_f32 v[128:129], v[170:171], v[154:155], v[134:135] neg_lo:[0,0,1] neg_hi:[0,0,1]
	v_mov_b32_e32 v129, v127
	v_pk_fma_f32 v[126:127], v[172:173], v[156:157], v[124:125] op_sel_hi:[1,0,1]
	s_wait_loadcnt_dscnt 0x100
	v_pk_mul_f32 v[130:131], v[198:199], v[194:195] op_sel:[1,1] op_sel_hi:[0,1]
	v_pk_add_f32 v[122:123], v[122:123], v[132:133]
	v_pk_fma_f32 v[124:125], v[172:173], v[156:157], v[124:125] neg_lo:[0,0,1] neg_hi:[0,0,1]
	v_mov_b32_e32 v125, v127
	s_delay_alu instid0(VALU_DEP_4) | instskip(NEXT) | instid1(VALU_DEP_4)
	v_pk_fma_f32 v[126:127], v[198:199], v[194:195], v[130:131] op_sel_hi:[1,0,1]
	v_pk_add_f32 v[122:123], v[122:123], v[128:129]
	v_pk_fma_f32 v[128:129], v[198:199], v[194:195], v[130:131] neg_lo:[0,0,1] neg_hi:[0,0,1]
	s_delay_alu instid0(VALU_DEP_3) | instskip(NEXT) | instid1(VALU_DEP_3)
	v_mov_b32_e32 v129, v127
	v_pk_add_f32 v[122:123], v[122:123], v[124:125]
	s_delay_alu instid0(VALU_DEP_1) | instskip(SKIP_1) | instid1(VALU_DEP_1)
	v_pk_add_f32 v[122:123], v[122:123], v[128:129]
	s_wait_loadcnt 0x0
	v_pk_add_f32 v[122:123], v[196:197], v[122:123] neg_lo:[0,1] neg_hi:[0,1]
	scratch_store_b64 off, v[122:123], off offset:320
	s_wait_xcnt 0x0
	v_cmpx_lt_u32_e32 39, v0
	s_cbranch_execz .LBB59_295
; %bb.294:
	scratch_load_b64 v[122:123], off, off offset:312
	v_mov_b64_e32 v[124:125], 0
	scratch_store_b64 off, v[124:125], off offset:312
	s_wait_loadcnt 0x0
	ds_store_b64 v1, v[122:123]
.LBB59_295:
	s_wait_xcnt 0x0
	s_or_b32 exec_lo, exec_lo, s0
	s_wait_storecnt_dscnt 0x0
	s_barrier_signal -1
	s_barrier_wait -1
	s_clause 0xa
	scratch_load_b128 v[122:125], off, off offset:320
	scratch_load_b128 v[126:129], off, off offset:336
	;; [unrolled: 1-line block ×10, first 2 shown]
	scratch_load_b64 v[202:203], off, off offset:312
	ds_load_b128 v[162:165], v7 offset:896
	ds_load_b128 v[166:169], v7 offset:912
	;; [unrolled: 1-line block ×10, first 2 shown]
	s_mov_b32 s0, exec_lo
	s_wait_dscnt 0x9
	v_dual_mov_b32 v204, v165 :: v_dual_mov_b32 v205, v164
	s_wait_dscnt 0x8
	v_dual_mov_b32 v206, v169 :: v_dual_mov_b32 v207, v168
	;; [unrolled: 2-line block ×4, first 2 shown]
	s_wait_loadcnt_dscnt 0xa05
	v_dual_mul_f32 v7, v178, v123 :: v_dual_mul_f32 v9, v180, v125
	v_dual_mul_f32 v27, v179, v123 :: v_dual_mul_f32 v29, v181, v125
	s_wait_loadcnt_dscnt 0x904
	v_dual_mul_f32 v11, v182, v127 :: v_dual_mul_f32 v13, v184, v129
	s_delay_alu instid0(VALU_DEP_3) | instskip(SKIP_3) | instid1(VALU_DEP_3)
	v_dual_fmac_f32 v7, v179, v122 :: v_dual_fmac_f32 v9, v181, v124
	s_wait_loadcnt_dscnt 0x702
	v_dual_fma_f32 v27, v178, v122, -v27 :: v_dual_mul_f32 v39, v191, v135
	v_dual_mul_f32 v31, v183, v127 :: v_dual_mul_f32 v33, v185, v129
	v_dual_fma_f32 v29, v180, v124, -v29 :: v_dual_add_f32 v7, 0, v7
	s_delay_alu instid0(VALU_DEP_3) | instskip(SKIP_1) | instid1(VALU_DEP_3)
	v_dual_add_f32 v27, 0, v27 :: v_dual_mul_f32 v41, v193, v137
	v_dual_fmac_f32 v11, v183, v126 :: v_dual_fmac_f32 v13, v185, v128
	v_dual_fma_f32 v31, v182, v126, -v31 :: v_dual_add_f32 v7, v7, v9
	s_delay_alu instid0(VALU_DEP_3) | instskip(SKIP_2) | instid1(VALU_DEP_4)
	v_dual_add_f32 v9, v27, v29 :: v_dual_fma_f32 v29, v184, v128, -v33
	v_dual_mul_f32 v15, v186, v131 :: v_dual_mul_f32 v17, v188, v133
	v_dual_mul_f32 v35, v187, v131 :: v_dual_mul_f32 v37, v189, v133
	v_add_f32_e32 v7, v7, v11
	s_delay_alu instid0(VALU_DEP_3) | instskip(NEXT) | instid1(VALU_DEP_3)
	v_dual_add_f32 v9, v9, v31 :: v_dual_fmac_f32 v15, v187, v130
	v_fma_f32 v31, v186, v130, -v35
	v_dual_mul_f32 v19, v190, v135 :: v_dual_mul_f32 v21, v192, v137
	s_delay_alu instid0(VALU_DEP_4) | instskip(SKIP_2) | instid1(VALU_DEP_2)
	v_dual_add_f32 v7, v7, v13 :: v_dual_fmac_f32 v17, v189, v132
	s_wait_loadcnt_dscnt 0x500
	v_dual_add_f32 v9, v9, v29 :: v_dual_mul_f32 v13, v199, v143
	v_dual_fma_f32 v29, v188, v132, -v37 :: v_dual_add_f32 v7, v7, v15
	v_mul_f32_e32 v15, v201, v145
	s_delay_alu instid0(VALU_DEP_3) | instskip(NEXT) | instid1(VALU_DEP_3)
	v_dual_add_f32 v9, v9, v31 :: v_dual_fmac_f32 v19, v191, v134
	v_dual_fma_f32 v31, v190, v134, -v39 :: v_dual_add_f32 v7, v7, v17
	v_fmac_f32_e32 v21, v193, v136
	s_delay_alu instid0(VALU_DEP_3) | instskip(SKIP_4) | instid1(VALU_DEP_3)
	v_dual_add_f32 v9, v9, v29 :: v_dual_fma_f32 v17, v192, v136, -v41
	v_dual_mul_f32 v23, v194, v139 :: v_dual_mul_f32 v25, v196, v141
	v_dual_mul_f32 v27, v195, v139 :: v_dual_mul_f32 v11, v197, v141
	s_wait_loadcnt 0x4
	v_dual_add_f32 v7, v7, v19 :: v_dual_mov_b32 v124, v149
	v_dual_add_f32 v9, v9, v31 :: v_dual_fmac_f32 v23, v195, v138
	s_delay_alu instid0(VALU_DEP_2) | instskip(SKIP_1) | instid1(VALU_DEP_3)
	v_dual_fma_f32 v19, v194, v138, -v27 :: v_dual_add_f32 v7, v7, v21
	v_dual_mul_f32 v213, v198, v143 :: v_dual_mul_f32 v215, v200, v145
	v_dual_add_f32 v9, v9, v17 :: v_dual_fma_f32 v11, v196, v140, -v11
	s_delay_alu instid0(VALU_DEP_3) | instskip(SKIP_1) | instid1(VALU_DEP_3)
	v_dual_fmac_f32 v25, v197, v140 :: v_dual_add_f32 v7, v7, v23
	v_pk_mul_f32 v[122:123], v[162:163], v[146:147] op_sel:[1,1] op_sel_hi:[0,1]
	v_dual_add_f32 v9, v9, v19 :: v_dual_fmac_f32 v213, v199, v142
	s_wait_loadcnt 0x3
	v_dual_mov_b32 v128, v153 :: v_dual_fma_f32 v212, v198, v142, -v13
	s_delay_alu instid0(VALU_DEP_2)
	v_dual_add_f32 v131, v7, v25 :: v_dual_add_f32 v130, v9, v11
	v_fmac_f32_e32 v215, v201, v144
	v_pk_fma_f32 v[132:133], v[162:163], v[146:147], v[122:123] op_sel_hi:[1,0,1]
	v_fma_f32 v214, v200, v144, -v15
	v_pk_mul_f32 v[124:125], v[204:205], v[124:125] op_sel_hi:[1,0]
	v_pk_add_f32 v[130:131], v[130:131], v[212:213]
	v_pk_fma_f32 v[122:123], v[162:163], v[146:147], v[122:123] neg_lo:[0,0,1] neg_hi:[0,0,1]
	v_pk_mul_f32 v[126:127], v[166:167], v[150:151] op_sel:[1,1] op_sel_hi:[0,1]
	v_mov_b32_e32 v123, v133
	v_pk_fma_f32 v[132:133], v[164:165], v[148:149], v[124:125] op_sel_hi:[1,0,1]
	v_pk_add_f32 v[130:131], v[130:131], v[214:215]
	v_pk_fma_f32 v[124:125], v[164:165], v[148:149], v[124:125] neg_lo:[0,0,1] neg_hi:[0,0,1]
	v_pk_fma_f32 v[136:137], v[166:167], v[150:151], v[126:127] op_sel_hi:[1,0,1]
	v_pk_mul_f32 v[128:129], v[206:207], v[128:129] op_sel_hi:[1,0]
	v_mov_b32_e32 v125, v133
	v_pk_add_f32 v[122:123], v[130:131], v[122:123]
	s_wait_loadcnt 0x2
	v_pk_mul_f32 v[134:135], v[170:171], v[154:155] op_sel:[1,1] op_sel_hi:[0,1]
	v_mov_b32_e32 v130, v157
	v_pk_fma_f32 v[126:127], v[166:167], v[150:151], v[126:127] neg_lo:[0,0,1] neg_hi:[0,0,1]
	v_pk_fma_f32 v[132:133], v[168:169], v[152:153], v[128:129] op_sel_hi:[1,0,1]
	v_mov_b32_e32 v127, v137
	v_pk_add_f32 v[122:123], v[122:123], v[124:125]
	v_pk_fma_f32 v[124:125], v[170:171], v[154:155], v[134:135] op_sel_hi:[1,0,1]
	v_pk_mul_f32 v[130:131], v[208:209], v[130:131] op_sel_hi:[1,0]
	v_pk_fma_f32 v[128:129], v[168:169], v[152:153], v[128:129] neg_lo:[0,0,1] neg_hi:[0,0,1]
	v_mov_b32_e32 v129, v133
	v_pk_add_f32 v[122:123], v[122:123], v[126:127]
	v_pk_fma_f32 v[132:133], v[170:171], v[154:155], v[134:135] neg_lo:[0,0,1] neg_hi:[0,0,1]
	v_mov_b32_e32 v133, v125
	v_pk_fma_f32 v[124:125], v[172:173], v[156:157], v[130:131] op_sel_hi:[1,0,1]
	s_wait_loadcnt 0x1
	v_pk_mul_f32 v[126:127], v[174:175], v[158:159] op_sel:[1,1] op_sel_hi:[0,1]
	v_pk_add_f32 v[122:123], v[122:123], v[128:129]
	v_mov_b32_e32 v124, v161
	v_pk_fma_f32 v[130:131], v[172:173], v[156:157], v[130:131] neg_lo:[0,0,1] neg_hi:[0,0,1]
	s_delay_alu instid0(VALU_DEP_4)
	v_pk_fma_f32 v[128:129], v[174:175], v[158:159], v[126:127] op_sel_hi:[1,0,1]
	v_mov_b32_e32 v131, v125
	v_pk_add_f32 v[122:123], v[122:123], v[132:133]
	v_pk_mul_f32 v[124:125], v[210:211], v[124:125] op_sel_hi:[1,0]
	v_pk_fma_f32 v[126:127], v[174:175], v[158:159], v[126:127] neg_lo:[0,0,1] neg_hi:[0,0,1]
	v_mov_b32_e32 v127, v129
	s_delay_alu instid0(VALU_DEP_4) | instskip(NEXT) | instid1(VALU_DEP_4)
	v_pk_add_f32 v[122:123], v[122:123], v[130:131]
	v_pk_fma_f32 v[128:129], v[176:177], v[160:161], v[124:125] op_sel_hi:[1,0,1]
	v_pk_fma_f32 v[124:125], v[176:177], v[160:161], v[124:125] neg_lo:[0,0,1] neg_hi:[0,0,1]
	s_delay_alu instid0(VALU_DEP_3) | instskip(NEXT) | instid1(VALU_DEP_3)
	v_pk_add_f32 v[122:123], v[122:123], v[126:127]
	v_mov_b32_e32 v125, v129
	s_delay_alu instid0(VALU_DEP_1) | instskip(SKIP_1) | instid1(VALU_DEP_1)
	v_pk_add_f32 v[122:123], v[122:123], v[124:125]
	s_wait_loadcnt 0x0
	v_pk_add_f32 v[122:123], v[202:203], v[122:123] neg_lo:[0,1] neg_hi:[0,1]
	scratch_store_b64 off, v[122:123], off offset:312
	s_wait_xcnt 0x0
	v_cmpx_lt_u32_e32 38, v0
	s_cbranch_execz .LBB59_297
; %bb.296:
	scratch_load_b64 v[122:123], off, off offset:304
	v_mov_b64_e32 v[124:125], 0
	scratch_store_b64 off, v[124:125], off offset:304
	s_wait_loadcnt 0x0
	ds_store_b64 v1, v[122:123]
.LBB59_297:
	s_wait_xcnt 0x0
	s_or_b32 exec_lo, exec_lo, s0
	s_wait_storecnt_dscnt 0x0
	s_barrier_signal -1
	s_barrier_wait -1
	s_clause 0xb
	scratch_load_b128 v[122:125], off, off offset:312
	scratch_load_b128 v[126:129], off, off offset:328
	;; [unrolled: 1-line block ×10, first 2 shown]
	scratch_load_b64 v[202:203], off, off offset:472
	scratch_load_b64 v[204:205], off, off offset:304
	v_mov_b32_e32 v7, 0
	ds_load_2addr_b64 v[162:165], v7 offset0:111 offset1:112
	ds_load_2addr_b64 v[166:169], v7 offset0:113 offset1:114
	;; [unrolled: 1-line block ×10, first 2 shown]
	ds_load_b64 v[206:207], v7 offset:952
	s_mov_b32 s0, exec_lo
	s_wait_dscnt 0xa
	v_dual_mov_b32 v208, v165 :: v_dual_mov_b32 v209, v164
	s_wait_dscnt 0x7
	v_dual_mov_b32 v210, v169 :: v_dual_mov_b32 v215, v176
	v_dual_mov_b32 v211, v168 :: v_dual_mov_b32 v212, v173
	v_dual_mov_b32 v213, v172 :: v_dual_mov_b32 v214, v177
	s_wait_loadcnt_dscnt 0xb06
	v_dual_mul_f32 v9, v178, v123 :: v_dual_mul_f32 v31, v179, v123
	v_dual_mul_f32 v33, v181, v125 :: v_dual_mul_f32 v11, v180, v125
	s_wait_loadcnt_dscnt 0xa05
	v_mul_f32_e32 v13, v182, v127
	s_wait_loadcnt_dscnt 0x803
	v_dual_mul_f32 v43, v191, v135 :: v_dual_fma_f32 v31, v178, v122, -v31
	v_dual_fmac_f32 v9, v179, v122 :: v_dual_mul_f32 v45, v193, v137
	v_dual_mul_f32 v35, v183, v127 :: v_dual_mul_f32 v37, v185, v129
	v_dual_fmac_f32 v11, v181, v124 :: v_dual_fma_f32 v33, v180, v124, -v33
	s_delay_alu instid0(VALU_DEP_3) | instskip(SKIP_3) | instid1(VALU_DEP_3)
	v_dual_add_f32 v9, 0, v9 :: v_dual_add_f32 v31, 0, v31
	v_dual_mul_f32 v15, v184, v129 :: v_dual_mul_f32 v17, v186, v131
	s_wait_loadcnt_dscnt 0x702
	v_dual_mul_f32 v47, v195, v139 :: v_dual_fma_f32 v35, v182, v126, -v35
	v_dual_fmac_f32 v13, v183, v126 :: v_dual_add_f32 v9, v9, v11
	s_delay_alu instid0(VALU_DEP_3) | instskip(SKIP_2) | instid1(VALU_DEP_3)
	v_dual_add_f32 v11, v31, v33 :: v_dual_fmac_f32 v15, v185, v128
	v_dual_mul_f32 v39, v187, v131 :: v_dual_mul_f32 v41, v189, v133
	v_dual_mul_f32 v31, v197, v141 :: v_dual_fma_f32 v33, v184, v128, -v37
	v_dual_add_f32 v9, v9, v13 :: v_dual_add_f32 v11, v11, v35
	v_dual_mul_f32 v19, v188, v133 :: v_dual_mul_f32 v21, v190, v135
	s_wait_loadcnt_dscnt 0x601
	v_dual_mul_f32 v13, v199, v143 :: v_dual_fma_f32 v35, v186, v130, -v39
	s_delay_alu instid0(VALU_DEP_3) | instskip(NEXT) | instid1(VALU_DEP_3)
	v_dual_fmac_f32 v17, v187, v130 :: v_dual_add_f32 v9, v9, v15
	v_dual_add_f32 v11, v11, v33 :: v_dual_fmac_f32 v19, v189, v132
	v_dual_mul_f32 v15, v201, v145 :: v_dual_fma_f32 v33, v188, v132, -v41
	s_delay_alu instid0(VALU_DEP_2) | instskip(SKIP_3) | instid1(VALU_DEP_3)
	v_dual_add_f32 v9, v9, v17 :: v_dual_add_f32 v11, v11, v35
	v_dual_mul_f32 v23, v192, v137 :: v_dual_mul_f32 v25, v194, v139
	s_wait_loadcnt 0x5
	v_dual_mul_f32 v17, v163, v147 :: v_dual_fma_f32 v35, v190, v134, -v43
	v_dual_fmac_f32 v21, v191, v134 :: v_dual_add_f32 v9, v9, v19
	v_dual_add_f32 v11, v11, v33 :: v_dual_mov_b32 v122, v149
	v_dual_fmac_f32 v23, v193, v136 :: v_dual_fma_f32 v19, v192, v136, -v45
	s_delay_alu instid0(VALU_DEP_2) | instskip(SKIP_2) | instid1(VALU_DEP_3)
	v_dual_add_f32 v9, v9, v21 :: v_dual_add_f32 v11, v11, v35
	v_dual_mul_f32 v27, v196, v141 :: v_dual_mul_f32 v29, v198, v143
	v_dual_fmac_f32 v25, v195, v138 :: v_dual_fma_f32 v21, v194, v138, -v47
	v_add_f32_e32 v9, v9, v23
	s_wait_loadcnt 0x4
	v_dual_add_f32 v11, v11, v19 :: v_dual_mov_b32 v126, v153
	v_fmac_f32_e32 v27, v197, v140
	s_delay_alu instid0(VALU_DEP_3) | instskip(SKIP_1) | instid1(VALU_DEP_4)
	v_dual_fma_f32 v19, v196, v140, -v31 :: v_dual_add_f32 v9, v9, v25
	v_fmac_f32_e32 v29, v199, v142
	v_add_f32_e32 v11, v11, v21
	v_dual_mul_f32 v217, v200, v145 :: v_dual_mul_f32 v219, v162, v147
	s_delay_alu instid0(VALU_DEP_4) | instskip(NEXT) | instid1(VALU_DEP_2)
	v_dual_fma_f32 v13, v198, v142, -v13 :: v_dual_add_f32 v9, v9, v27
	v_dual_add_f32 v11, v11, v19 :: v_dual_fmac_f32 v217, v201, v144
	v_fma_f32 v216, v200, v144, -v15
	v_pk_mul_f32 v[122:123], v[208:209], v[122:123] op_sel_hi:[1,0]
	s_delay_alu instid0(VALU_DEP_4)
	v_add_f32_e32 v131, v9, v29
	s_wait_loadcnt 0x3
	v_dual_add_f32 v130, v11, v13 :: v_dual_mov_b32 v132, v157
	v_pk_mul_f32 v[124:125], v[166:167], v[150:151] op_sel:[1,1] op_sel_hi:[0,1]
	v_dual_fmac_f32 v219, v163, v146 :: v_dual_fma_f32 v218, v162, v146, -v17
	v_pk_fma_f32 v[134:135], v[164:165], v[148:149], v[122:123] op_sel_hi:[1,0,1]
	s_delay_alu instid0(VALU_DEP_4)
	v_pk_add_f32 v[130:131], v[130:131], v[216:217]
	v_pk_fma_f32 v[122:123], v[164:165], v[148:149], v[122:123] neg_lo:[0,0,1] neg_hi:[0,0,1]
	v_pk_fma_f32 v[136:137], v[166:167], v[150:151], v[124:125] op_sel_hi:[1,0,1]
	v_pk_mul_f32 v[126:127], v[210:211], v[126:127] op_sel_hi:[1,0]
	v_mov_b32_e32 v123, v135
	v_pk_add_f32 v[130:131], v[130:131], v[218:219]
	v_pk_fma_f32 v[124:125], v[166:167], v[150:151], v[124:125] neg_lo:[0,0,1] neg_hi:[0,0,1]
	v_pk_mul_f32 v[128:129], v[170:171], v[154:155] op_sel:[1,1] op_sel_hi:[0,1]
	v_mov_b32_e32 v125, v137
	v_pk_fma_f32 v[136:137], v[168:169], v[152:153], v[126:127] op_sel_hi:[1,0,1]
	v_pk_add_f32 v[122:123], v[130:131], v[122:123]
	v_pk_fma_f32 v[126:127], v[168:169], v[152:153], v[126:127] neg_lo:[0,0,1] neg_hi:[0,0,1]
	v_pk_fma_f32 v[130:131], v[170:171], v[154:155], v[128:129] op_sel_hi:[1,0,1]
	v_pk_mul_f32 v[132:133], v[212:213], v[132:133] op_sel_hi:[1,0]
	v_mov_b32_e32 v127, v137
	v_pk_add_f32 v[122:123], v[122:123], v[124:125]
	v_pk_fma_f32 v[128:129], v[170:171], v[154:155], v[128:129] neg_lo:[0,0,1] neg_hi:[0,0,1]
	s_wait_loadcnt 0x2
	v_pk_mul_f32 v[134:135], v[174:175], v[158:159] op_sel:[1,1] op_sel_hi:[0,1]
	v_dual_mov_b32 v124, v161 :: v_dual_mov_b32 v129, v131
	v_pk_fma_f32 v[130:131], v[172:173], v[156:157], v[132:133] op_sel_hi:[1,0,1]
	v_pk_add_f32 v[122:123], v[122:123], v[126:127]
	v_pk_fma_f32 v[132:133], v[172:173], v[156:157], v[132:133] neg_lo:[0,0,1] neg_hi:[0,0,1]
	v_pk_fma_f32 v[126:127], v[174:175], v[158:159], v[134:135] op_sel_hi:[1,0,1]
	v_pk_mul_f32 v[124:125], v[214:215], v[124:125] op_sel_hi:[1,0]
	v_mov_b32_e32 v133, v131
	v_pk_add_f32 v[122:123], v[122:123], v[128:129]
	v_pk_fma_f32 v[128:129], v[174:175], v[158:159], v[134:135] neg_lo:[0,0,1] neg_hi:[0,0,1]
	v_mov_b32_e32 v129, v127
	v_pk_fma_f32 v[126:127], v[176:177], v[160:161], v[124:125] op_sel_hi:[1,0,1]
	s_wait_loadcnt_dscnt 0x100
	v_pk_mul_f32 v[130:131], v[206:207], v[202:203] op_sel:[1,1] op_sel_hi:[0,1]
	v_pk_add_f32 v[122:123], v[122:123], v[132:133]
	v_pk_fma_f32 v[124:125], v[176:177], v[160:161], v[124:125] neg_lo:[0,0,1] neg_hi:[0,0,1]
	v_mov_b32_e32 v125, v127
	s_delay_alu instid0(VALU_DEP_4) | instskip(NEXT) | instid1(VALU_DEP_4)
	v_pk_fma_f32 v[126:127], v[206:207], v[202:203], v[130:131] op_sel_hi:[1,0,1]
	v_pk_add_f32 v[122:123], v[122:123], v[128:129]
	v_pk_fma_f32 v[128:129], v[206:207], v[202:203], v[130:131] neg_lo:[0,0,1] neg_hi:[0,0,1]
	s_delay_alu instid0(VALU_DEP_3) | instskip(NEXT) | instid1(VALU_DEP_3)
	v_mov_b32_e32 v129, v127
	v_pk_add_f32 v[122:123], v[122:123], v[124:125]
	s_delay_alu instid0(VALU_DEP_1) | instskip(SKIP_1) | instid1(VALU_DEP_1)
	v_pk_add_f32 v[122:123], v[122:123], v[128:129]
	s_wait_loadcnt 0x0
	v_pk_add_f32 v[122:123], v[204:205], v[122:123] neg_lo:[0,1] neg_hi:[0,1]
	scratch_store_b64 off, v[122:123], off offset:304
	s_wait_xcnt 0x0
	v_cmpx_lt_u32_e32 37, v0
	s_cbranch_execz .LBB59_299
; %bb.298:
	scratch_load_b64 v[122:123], off, off offset:296
	v_mov_b64_e32 v[124:125], 0
	scratch_store_b64 off, v[124:125], off offset:296
	s_wait_loadcnt 0x0
	ds_store_b64 v1, v[122:123]
.LBB59_299:
	s_wait_xcnt 0x0
	s_or_b32 exec_lo, exec_lo, s0
	s_wait_storecnt_dscnt 0x0
	s_barrier_signal -1
	s_barrier_wait -1
	s_clause 0xb
	scratch_load_b128 v[122:125], off, off offset:304
	scratch_load_b128 v[126:129], off, off offset:320
	scratch_load_b128 v[130:133], off, off offset:336
	scratch_load_b128 v[134:137], off, off offset:352
	scratch_load_b128 v[138:141], off, off offset:368
	scratch_load_b128 v[142:145], off, off offset:384
	scratch_load_b128 v[146:149], off, off offset:400
	scratch_load_b128 v[150:153], off, off offset:416
	scratch_load_b128 v[154:157], off, off offset:432
	scratch_load_b128 v[158:161], off, off offset:448
	scratch_load_b128 v[162:165], off, off offset:464
	scratch_load_b64 v[210:211], off, off offset:296
	ds_load_b128 v[166:169], v7 offset:896
	ds_load_b128 v[170:173], v7 offset:912
	;; [unrolled: 1-line block ×11, first 2 shown]
	s_mov_b32 s0, exec_lo
	s_wait_dscnt 0xa
	v_dual_mov_b32 v212, v169 :: v_dual_mov_b32 v213, v168
	s_wait_dscnt 0x9
	v_dual_mov_b32 v214, v173 :: v_dual_mov_b32 v215, v172
	;; [unrolled: 2-line block ×4, first 2 shown]
	s_wait_loadcnt_dscnt 0xb06
	v_dual_mul_f32 v7, v182, v123 :: v_dual_mul_f32 v9, v184, v125
	v_dual_mul_f32 v31, v183, v123 :: v_dual_mul_f32 v33, v185, v125
	s_wait_loadcnt_dscnt 0xa05
	v_dual_mul_f32 v11, v186, v127 :: v_dual_mul_f32 v13, v188, v129
	s_delay_alu instid0(VALU_DEP_3) | instskip(SKIP_3) | instid1(VALU_DEP_3)
	v_dual_fmac_f32 v7, v183, v122 :: v_dual_fmac_f32 v9, v185, v124
	s_wait_loadcnt_dscnt 0x803
	v_dual_fma_f32 v31, v182, v122, -v31 :: v_dual_mul_f32 v43, v195, v135
	v_dual_mul_f32 v35, v187, v127 :: v_dual_mul_f32 v37, v189, v129
	v_dual_fma_f32 v33, v184, v124, -v33 :: v_dual_add_f32 v7, 0, v7
	s_delay_alu instid0(VALU_DEP_3) | instskip(SKIP_1) | instid1(VALU_DEP_3)
	v_dual_add_f32 v31, 0, v31 :: v_dual_mul_f32 v45, v197, v137
	v_dual_fmac_f32 v11, v187, v126 :: v_dual_fmac_f32 v13, v189, v128
	v_dual_fma_f32 v35, v186, v126, -v35 :: v_dual_add_f32 v7, v7, v9
	s_delay_alu instid0(VALU_DEP_3) | instskip(SKIP_2) | instid1(VALU_DEP_4)
	v_dual_add_f32 v9, v31, v33 :: v_dual_fma_f32 v33, v188, v128, -v37
	v_dual_mul_f32 v15, v190, v131 :: v_dual_mul_f32 v17, v192, v133
	v_dual_mul_f32 v39, v191, v131 :: v_dual_mul_f32 v41, v193, v133
	v_add_f32_e32 v7, v7, v11
	s_delay_alu instid0(VALU_DEP_3) | instskip(NEXT) | instid1(VALU_DEP_3)
	v_dual_add_f32 v9, v9, v35 :: v_dual_fmac_f32 v15, v191, v130
	v_fma_f32 v35, v190, v130, -v39
	v_dual_mul_f32 v19, v194, v135 :: v_dual_mul_f32 v21, v196, v137
	s_delay_alu instid0(VALU_DEP_4) | instskip(SKIP_2) | instid1(VALU_DEP_2)
	v_dual_add_f32 v7, v7, v13 :: v_dual_fmac_f32 v17, v193, v132
	s_wait_loadcnt_dscnt 0x601
	v_dual_add_f32 v9, v9, v33 :: v_dual_mul_f32 v13, v203, v143
	v_dual_fma_f32 v33, v192, v132, -v41 :: v_dual_add_f32 v7, v7, v15
	v_mul_f32_e32 v15, v205, v145
	s_delay_alu instid0(VALU_DEP_3) | instskip(NEXT) | instid1(VALU_DEP_3)
	v_dual_add_f32 v9, v9, v35 :: v_dual_fmac_f32 v19, v195, v134
	v_dual_fma_f32 v35, v194, v134, -v43 :: v_dual_add_f32 v7, v7, v17
	v_fmac_f32_e32 v21, v197, v136
	s_wait_loadcnt_dscnt 0x500
	s_delay_alu instid0(VALU_DEP_3) | instskip(SKIP_3) | instid1(VALU_DEP_3)
	v_dual_add_f32 v9, v9, v33 :: v_dual_mul_f32 v17, v207, v147
	v_dual_mul_f32 v23, v198, v139 :: v_dual_mul_f32 v25, v200, v141
	v_dual_mul_f32 v31, v199, v139 :: v_dual_mul_f32 v11, v201, v141
	v_dual_fma_f32 v33, v196, v136, -v45 :: v_dual_add_f32 v7, v7, v19
	v_dual_add_f32 v9, v9, v35 :: v_dual_fmac_f32 v23, v199, v138
	s_delay_alu instid0(VALU_DEP_3) | instskip(NEXT) | instid1(VALU_DEP_3)
	v_dual_mul_f32 v19, v209, v149 :: v_dual_fma_f32 v31, v198, v138, -v31
	v_dual_add_f32 v7, v7, v21 :: v_dual_fmac_f32 v25, v201, v140
	s_delay_alu instid0(VALU_DEP_3) | instskip(SKIP_2) | instid1(VALU_DEP_3)
	v_dual_add_f32 v9, v9, v33 :: v_dual_fma_f32 v11, v200, v140, -v11
	v_dual_mul_f32 v27, v202, v143 :: v_dual_mul_f32 v29, v204, v145
	s_wait_loadcnt 0x4
	v_dual_add_f32 v7, v7, v23 :: v_dual_mov_b32 v124, v153
	s_delay_alu instid0(VALU_DEP_2) | instskip(NEXT) | instid1(VALU_DEP_2)
	v_dual_add_f32 v9, v9, v31 :: v_dual_fmac_f32 v27, v203, v142
	v_dual_fma_f32 v13, v202, v142, -v13 :: v_dual_add_f32 v7, v7, v25
	v_dual_mul_f32 v221, v206, v147 :: v_dual_mul_f32 v223, v208, v149
	s_delay_alu instid0(VALU_DEP_3) | instskip(NEXT) | instid1(VALU_DEP_3)
	v_dual_add_f32 v9, v9, v11 :: v_dual_fma_f32 v11, v204, v144, -v15
	v_dual_fmac_f32 v29, v205, v144 :: v_dual_add_f32 v7, v7, v27
	v_pk_mul_f32 v[122:123], v[166:167], v[150:151] op_sel:[1,1] op_sel_hi:[0,1]
	s_delay_alu instid0(VALU_DEP_3) | instskip(SKIP_2) | instid1(VALU_DEP_2)
	v_dual_add_f32 v9, v9, v13 :: v_dual_fmac_f32 v221, v207, v146
	s_wait_loadcnt 0x3
	v_dual_mov_b32 v128, v157 :: v_dual_fma_f32 v220, v206, v146, -v17
	v_dual_add_f32 v131, v7, v29 :: v_dual_add_f32 v130, v9, v11
	v_fmac_f32_e32 v223, v209, v148
	v_pk_fma_f32 v[132:133], v[166:167], v[150:151], v[122:123] op_sel_hi:[1,0,1]
	v_fma_f32 v222, v208, v148, -v19
	v_pk_mul_f32 v[124:125], v[212:213], v[124:125] op_sel_hi:[1,0]
	v_pk_add_f32 v[130:131], v[130:131], v[220:221]
	v_pk_fma_f32 v[122:123], v[166:167], v[150:151], v[122:123] neg_lo:[0,0,1] neg_hi:[0,0,1]
	v_pk_mul_f32 v[126:127], v[170:171], v[154:155] op_sel:[1,1] op_sel_hi:[0,1]
	v_mov_b32_e32 v123, v133
	v_pk_fma_f32 v[132:133], v[168:169], v[152:153], v[124:125] op_sel_hi:[1,0,1]
	v_pk_add_f32 v[130:131], v[130:131], v[222:223]
	v_pk_fma_f32 v[124:125], v[168:169], v[152:153], v[124:125] neg_lo:[0,0,1] neg_hi:[0,0,1]
	v_pk_fma_f32 v[136:137], v[170:171], v[154:155], v[126:127] op_sel_hi:[1,0,1]
	v_pk_mul_f32 v[128:129], v[214:215], v[128:129] op_sel_hi:[1,0]
	v_mov_b32_e32 v125, v133
	v_pk_add_f32 v[122:123], v[130:131], v[122:123]
	s_wait_loadcnt 0x2
	v_pk_mul_f32 v[134:135], v[174:175], v[158:159] op_sel:[1,1] op_sel_hi:[0,1]
	v_mov_b32_e32 v130, v161
	v_pk_fma_f32 v[126:127], v[170:171], v[154:155], v[126:127] neg_lo:[0,0,1] neg_hi:[0,0,1]
	v_pk_fma_f32 v[132:133], v[172:173], v[156:157], v[128:129] op_sel_hi:[1,0,1]
	v_mov_b32_e32 v127, v137
	v_pk_add_f32 v[122:123], v[122:123], v[124:125]
	v_pk_fma_f32 v[124:125], v[174:175], v[158:159], v[134:135] op_sel_hi:[1,0,1]
	v_pk_mul_f32 v[130:131], v[216:217], v[130:131] op_sel_hi:[1,0]
	v_pk_fma_f32 v[128:129], v[172:173], v[156:157], v[128:129] neg_lo:[0,0,1] neg_hi:[0,0,1]
	v_mov_b32_e32 v129, v133
	v_pk_add_f32 v[122:123], v[122:123], v[126:127]
	v_pk_fma_f32 v[132:133], v[174:175], v[158:159], v[134:135] neg_lo:[0,0,1] neg_hi:[0,0,1]
	v_mov_b32_e32 v133, v125
	v_pk_fma_f32 v[124:125], v[176:177], v[160:161], v[130:131] op_sel_hi:[1,0,1]
	s_wait_loadcnt 0x1
	v_pk_mul_f32 v[126:127], v[178:179], v[162:163] op_sel:[1,1] op_sel_hi:[0,1]
	v_pk_add_f32 v[122:123], v[122:123], v[128:129]
	v_mov_b32_e32 v124, v165
	v_pk_fma_f32 v[130:131], v[176:177], v[160:161], v[130:131] neg_lo:[0,0,1] neg_hi:[0,0,1]
	s_delay_alu instid0(VALU_DEP_4)
	v_pk_fma_f32 v[128:129], v[178:179], v[162:163], v[126:127] op_sel_hi:[1,0,1]
	v_mov_b32_e32 v131, v125
	v_pk_add_f32 v[122:123], v[122:123], v[132:133]
	v_pk_mul_f32 v[124:125], v[218:219], v[124:125] op_sel_hi:[1,0]
	v_pk_fma_f32 v[126:127], v[178:179], v[162:163], v[126:127] neg_lo:[0,0,1] neg_hi:[0,0,1]
	v_mov_b32_e32 v127, v129
	s_delay_alu instid0(VALU_DEP_4) | instskip(NEXT) | instid1(VALU_DEP_4)
	v_pk_add_f32 v[122:123], v[122:123], v[130:131]
	v_pk_fma_f32 v[128:129], v[180:181], v[164:165], v[124:125] op_sel_hi:[1,0,1]
	v_pk_fma_f32 v[124:125], v[180:181], v[164:165], v[124:125] neg_lo:[0,0,1] neg_hi:[0,0,1]
	s_delay_alu instid0(VALU_DEP_3) | instskip(NEXT) | instid1(VALU_DEP_3)
	v_pk_add_f32 v[122:123], v[122:123], v[126:127]
	v_mov_b32_e32 v125, v129
	s_delay_alu instid0(VALU_DEP_1) | instskip(SKIP_1) | instid1(VALU_DEP_1)
	v_pk_add_f32 v[122:123], v[122:123], v[124:125]
	s_wait_loadcnt 0x0
	v_pk_add_f32 v[122:123], v[210:211], v[122:123] neg_lo:[0,1] neg_hi:[0,1]
	scratch_store_b64 off, v[122:123], off offset:296
	s_wait_xcnt 0x0
	v_cmpx_lt_u32_e32 36, v0
	s_cbranch_execz .LBB59_301
; %bb.300:
	scratch_load_b64 v[122:123], off, off offset:288
	v_mov_b64_e32 v[124:125], 0
	scratch_store_b64 off, v[124:125], off offset:288
	s_wait_loadcnt 0x0
	ds_store_b64 v1, v[122:123]
.LBB59_301:
	s_wait_xcnt 0x0
	s_or_b32 exec_lo, exec_lo, s0
	s_wait_storecnt_dscnt 0x0
	s_barrier_signal -1
	s_barrier_wait -1
	s_clause 0xc
	scratch_load_b128 v[122:125], off, off offset:296
	scratch_load_b128 v[126:129], off, off offset:312
	;; [unrolled: 1-line block ×11, first 2 shown]
	scratch_load_b64 v[210:211], off, off offset:472
	scratch_load_b64 v[212:213], off, off offset:288
	v_mov_b32_e32 v7, 0
	ds_load_2addr_b64 v[166:169], v7 offset0:111 offset1:112
	ds_load_2addr_b64 v[170:173], v7 offset0:113 offset1:114
	;; [unrolled: 1-line block ×11, first 2 shown]
	ds_load_b64 v[214:215], v7 offset:952
	s_mov_b32 s0, exec_lo
	s_wait_dscnt 0xb
	v_dual_mov_b32 v216, v169 :: v_dual_mov_b32 v217, v168
	s_wait_dscnt 0x8
	v_dual_mov_b32 v218, v173 :: v_dual_mov_b32 v223, v180
	v_dual_mov_b32 v219, v172 :: v_dual_mov_b32 v220, v177
	;; [unrolled: 1-line block ×3, first 2 shown]
	s_wait_loadcnt_dscnt 0xc07
	v_dual_mul_f32 v9, v182, v123 :: v_dual_mul_f32 v35, v183, v123
	v_dual_mul_f32 v37, v185, v125 :: v_dual_mul_f32 v11, v184, v125
	s_wait_loadcnt_dscnt 0xb06
	v_mul_f32_e32 v13, v186, v127
	s_wait_loadcnt_dscnt 0x904
	v_dual_mul_f32 v47, v195, v135 :: v_dual_fma_f32 v35, v182, v122, -v35
	v_dual_fmac_f32 v9, v183, v122 :: v_dual_mul_f32 v49, v197, v137
	v_dual_mul_f32 v39, v187, v127 :: v_dual_mul_f32 v41, v189, v129
	v_dual_fmac_f32 v11, v185, v124 :: v_dual_fma_f32 v37, v184, v124, -v37
	s_delay_alu instid0(VALU_DEP_3) | instskip(SKIP_3) | instid1(VALU_DEP_3)
	v_dual_add_f32 v9, 0, v9 :: v_dual_add_f32 v35, 0, v35
	v_dual_mul_f32 v15, v188, v129 :: v_dual_mul_f32 v17, v190, v131
	s_wait_loadcnt_dscnt 0x803
	v_dual_mul_f32 v51, v199, v139 :: v_dual_fma_f32 v39, v186, v126, -v39
	v_dual_fmac_f32 v13, v187, v126 :: v_dual_add_f32 v9, v9, v11
	s_delay_alu instid0(VALU_DEP_3) | instskip(SKIP_2) | instid1(VALU_DEP_3)
	v_dual_add_f32 v11, v35, v37 :: v_dual_fmac_f32 v15, v189, v128
	v_dual_mul_f32 v43, v191, v131 :: v_dual_mul_f32 v45, v193, v133
	v_dual_mul_f32 v35, v201, v141 :: v_dual_fma_f32 v37, v188, v128, -v41
	v_dual_add_f32 v9, v9, v13 :: v_dual_add_f32 v11, v11, v39
	v_dual_mul_f32 v19, v192, v133 :: v_dual_mul_f32 v21, v194, v135
	s_wait_loadcnt_dscnt 0x701
	v_dual_mul_f32 v13, v207, v143 :: v_dual_fma_f32 v39, v190, v130, -v43
	s_delay_alu instid0(VALU_DEP_3) | instskip(NEXT) | instid1(VALU_DEP_3)
	v_dual_fmac_f32 v17, v191, v130 :: v_dual_add_f32 v9, v9, v15
	v_dual_add_f32 v11, v11, v37 :: v_dual_fmac_f32 v19, v193, v132
	v_dual_mul_f32 v15, v209, v145 :: v_dual_fma_f32 v37, v192, v132, -v45
	s_delay_alu instid0(VALU_DEP_2) | instskip(SKIP_3) | instid1(VALU_DEP_3)
	v_dual_add_f32 v9, v9, v17 :: v_dual_add_f32 v11, v11, v39
	v_dual_mul_f32 v23, v196, v137 :: v_dual_mul_f32 v25, v198, v139
	s_wait_loadcnt 0x6
	v_dual_mul_f32 v17, v203, v147 :: v_dual_fma_f32 v39, v194, v134, -v47
	v_dual_fmac_f32 v21, v195, v134 :: v_dual_add_f32 v9, v9, v19
	s_delay_alu instid0(VALU_DEP_3) | instskip(SKIP_1) | instid1(VALU_DEP_2)
	v_dual_add_f32 v11, v11, v37 :: v_dual_fmac_f32 v23, v197, v136
	v_dual_mul_f32 v19, v205, v149 :: v_dual_fma_f32 v37, v196, v136, -v49
	v_dual_add_f32 v9, v9, v21 :: v_dual_add_f32 v11, v11, v39
	v_dual_mul_f32 v27, v200, v141 :: v_dual_mul_f32 v29, v206, v143
	s_wait_loadcnt 0x5
	v_dual_mul_f32 v21, v167, v151 :: v_dual_fma_f32 v39, v198, v138, -v51
	s_delay_alu instid0(VALU_DEP_3) | instskip(SKIP_2) | instid1(VALU_DEP_3)
	v_dual_fmac_f32 v25, v199, v138 :: v_dual_add_f32 v9, v9, v23
	v_dual_add_f32 v11, v11, v37 :: v_dual_mov_b32 v122, v153
	v_fmac_f32_e32 v27, v201, v140
	v_dual_fma_f32 v23, v200, v140, -v35 :: v_dual_add_f32 v9, v9, v25
	s_delay_alu instid0(VALU_DEP_3) | instskip(SKIP_1) | instid1(VALU_DEP_3)
	v_dual_add_f32 v11, v11, v39 :: v_dual_mul_f32 v31, v208, v145
	v_dual_mul_f32 v33, v202, v147 :: v_dual_fmac_f32 v29, v207, v142
	v_dual_add_f32 v9, v9, v27 :: v_dual_fma_f32 v13, v206, v142, -v13
	s_wait_loadcnt 0x4
	s_delay_alu instid0(VALU_DEP_3) | instskip(SKIP_3) | instid1(VALU_DEP_4)
	v_dual_add_f32 v11, v11, v23 :: v_dual_mov_b32 v126, v157
	v_fma_f32 v15, v208, v144, -v15
	v_fmac_f32_e32 v31, v209, v144
	v_dual_add_f32 v9, v9, v29 :: v_dual_fmac_f32 v33, v203, v146
	v_add_f32_e32 v11, v11, v13
	v_dual_mul_f32 v225, v204, v149 :: v_dual_mul_f32 v227, v166, v151
	s_delay_alu instid0(VALU_DEP_3) | instskip(NEXT) | instid1(VALU_DEP_2)
	v_dual_fma_f32 v13, v202, v146, -v17 :: v_dual_add_f32 v9, v9, v31
	v_dual_add_f32 v11, v11, v15 :: v_dual_fmac_f32 v225, v205, v148
	v_fma_f32 v224, v204, v148, -v19
	v_pk_mul_f32 v[122:123], v[216:217], v[122:123] op_sel_hi:[1,0]
	s_delay_alu instid0(VALU_DEP_4)
	v_add_f32_e32 v131, v9, v33
	s_wait_loadcnt 0x3
	v_dual_add_f32 v130, v11, v13 :: v_dual_mov_b32 v132, v161
	v_pk_mul_f32 v[124:125], v[170:171], v[154:155] op_sel:[1,1] op_sel_hi:[0,1]
	v_dual_fmac_f32 v227, v167, v150 :: v_dual_fma_f32 v226, v166, v150, -v21
	v_pk_fma_f32 v[134:135], v[168:169], v[152:153], v[122:123] op_sel_hi:[1,0,1]
	s_delay_alu instid0(VALU_DEP_4)
	v_pk_add_f32 v[130:131], v[130:131], v[224:225]
	v_pk_fma_f32 v[122:123], v[168:169], v[152:153], v[122:123] neg_lo:[0,0,1] neg_hi:[0,0,1]
	v_pk_fma_f32 v[136:137], v[170:171], v[154:155], v[124:125] op_sel_hi:[1,0,1]
	v_pk_mul_f32 v[126:127], v[218:219], v[126:127] op_sel_hi:[1,0]
	v_mov_b32_e32 v123, v135
	v_pk_add_f32 v[130:131], v[130:131], v[226:227]
	v_pk_fma_f32 v[124:125], v[170:171], v[154:155], v[124:125] neg_lo:[0,0,1] neg_hi:[0,0,1]
	v_pk_mul_f32 v[128:129], v[174:175], v[158:159] op_sel:[1,1] op_sel_hi:[0,1]
	v_mov_b32_e32 v125, v137
	v_pk_fma_f32 v[136:137], v[172:173], v[156:157], v[126:127] op_sel_hi:[1,0,1]
	v_pk_add_f32 v[122:123], v[130:131], v[122:123]
	v_pk_fma_f32 v[126:127], v[172:173], v[156:157], v[126:127] neg_lo:[0,0,1] neg_hi:[0,0,1]
	v_pk_fma_f32 v[130:131], v[174:175], v[158:159], v[128:129] op_sel_hi:[1,0,1]
	v_pk_mul_f32 v[132:133], v[220:221], v[132:133] op_sel_hi:[1,0]
	v_mov_b32_e32 v127, v137
	v_pk_add_f32 v[122:123], v[122:123], v[124:125]
	v_pk_fma_f32 v[128:129], v[174:175], v[158:159], v[128:129] neg_lo:[0,0,1] neg_hi:[0,0,1]
	s_wait_loadcnt 0x2
	v_pk_mul_f32 v[134:135], v[178:179], v[162:163] op_sel:[1,1] op_sel_hi:[0,1]
	v_dual_mov_b32 v124, v165 :: v_dual_mov_b32 v129, v131
	v_pk_fma_f32 v[130:131], v[176:177], v[160:161], v[132:133] op_sel_hi:[1,0,1]
	v_pk_add_f32 v[122:123], v[122:123], v[126:127]
	v_pk_fma_f32 v[132:133], v[176:177], v[160:161], v[132:133] neg_lo:[0,0,1] neg_hi:[0,0,1]
	v_pk_fma_f32 v[126:127], v[178:179], v[162:163], v[134:135] op_sel_hi:[1,0,1]
	v_pk_mul_f32 v[124:125], v[222:223], v[124:125] op_sel_hi:[1,0]
	v_mov_b32_e32 v133, v131
	v_pk_add_f32 v[122:123], v[122:123], v[128:129]
	v_pk_fma_f32 v[128:129], v[178:179], v[162:163], v[134:135] neg_lo:[0,0,1] neg_hi:[0,0,1]
	v_mov_b32_e32 v129, v127
	v_pk_fma_f32 v[126:127], v[180:181], v[164:165], v[124:125] op_sel_hi:[1,0,1]
	s_wait_loadcnt_dscnt 0x100
	v_pk_mul_f32 v[130:131], v[214:215], v[210:211] op_sel:[1,1] op_sel_hi:[0,1]
	v_pk_add_f32 v[122:123], v[122:123], v[132:133]
	v_pk_fma_f32 v[124:125], v[180:181], v[164:165], v[124:125] neg_lo:[0,0,1] neg_hi:[0,0,1]
	v_mov_b32_e32 v125, v127
	s_delay_alu instid0(VALU_DEP_4) | instskip(NEXT) | instid1(VALU_DEP_4)
	v_pk_fma_f32 v[126:127], v[214:215], v[210:211], v[130:131] op_sel_hi:[1,0,1]
	v_pk_add_f32 v[122:123], v[122:123], v[128:129]
	v_pk_fma_f32 v[128:129], v[214:215], v[210:211], v[130:131] neg_lo:[0,0,1] neg_hi:[0,0,1]
	s_delay_alu instid0(VALU_DEP_3) | instskip(NEXT) | instid1(VALU_DEP_3)
	v_mov_b32_e32 v129, v127
	v_pk_add_f32 v[122:123], v[122:123], v[124:125]
	s_delay_alu instid0(VALU_DEP_1) | instskip(SKIP_1) | instid1(VALU_DEP_1)
	v_pk_add_f32 v[122:123], v[122:123], v[128:129]
	s_wait_loadcnt 0x0
	v_pk_add_f32 v[122:123], v[212:213], v[122:123] neg_lo:[0,1] neg_hi:[0,1]
	scratch_store_b64 off, v[122:123], off offset:288
	s_wait_xcnt 0x0
	v_cmpx_lt_u32_e32 35, v0
	s_cbranch_execz .LBB59_303
; %bb.302:
	scratch_load_b64 v[122:123], off, off offset:280
	v_mov_b64_e32 v[124:125], 0
	scratch_store_b64 off, v[124:125], off offset:280
	s_wait_loadcnt 0x0
	ds_store_b64 v1, v[122:123]
.LBB59_303:
	s_wait_xcnt 0x0
	s_or_b32 exec_lo, exec_lo, s0
	s_wait_storecnt_dscnt 0x0
	s_barrier_signal -1
	s_barrier_wait -1
	s_clause 0xc
	scratch_load_b128 v[122:125], off, off offset:288
	scratch_load_b128 v[126:129], off, off offset:304
	;; [unrolled: 1-line block ×12, first 2 shown]
	scratch_load_b64 v[218:219], off, off offset:280
	ds_load_b128 v[170:173], v7 offset:896
	ds_load_b128 v[174:177], v7 offset:912
	ds_load_b128 v[178:181], v7 offset:928
	ds_load_b128 v[182:185], v7 offset:944
	ds_load_b128 v[186:189], v7 offset:768
	ds_load_b128 v[190:193], v7 offset:784
	ds_load_b128 v[194:197], v7 offset:800
	ds_load_b128 v[198:201], v7 offset:816
	ds_load_b128 v[202:205], v7 offset:832
	ds_load_b128 v[206:209], v7 offset:848
	ds_load_b128 v[210:213], v7 offset:864
	ds_load_b128 v[214:217], v7 offset:880
	s_mov_b32 s0, exec_lo
	s_wait_dscnt 0xb
	v_dual_mov_b32 v220, v173 :: v_dual_mov_b32 v221, v172
	s_wait_dscnt 0xa
	v_dual_mov_b32 v222, v177 :: v_dual_mov_b32 v223, v176
	;; [unrolled: 2-line block ×4, first 2 shown]
	s_wait_loadcnt_dscnt 0xc07
	v_dual_mul_f32 v7, v186, v123 :: v_dual_mul_f32 v9, v188, v125
	v_dual_mul_f32 v35, v187, v123 :: v_dual_mul_f32 v37, v189, v125
	s_wait_loadcnt_dscnt 0xb06
	v_dual_mul_f32 v11, v190, v127 :: v_dual_mul_f32 v13, v192, v129
	s_delay_alu instid0(VALU_DEP_3) | instskip(SKIP_3) | instid1(VALU_DEP_3)
	v_dual_fmac_f32 v7, v187, v122 :: v_dual_fmac_f32 v9, v189, v124
	s_wait_loadcnt_dscnt 0x904
	v_dual_fma_f32 v35, v186, v122, -v35 :: v_dual_mul_f32 v47, v199, v135
	v_dual_mul_f32 v39, v191, v127 :: v_dual_mul_f32 v41, v193, v129
	v_dual_fma_f32 v37, v188, v124, -v37 :: v_dual_add_f32 v7, 0, v7
	s_delay_alu instid0(VALU_DEP_3) | instskip(SKIP_1) | instid1(VALU_DEP_3)
	v_dual_add_f32 v35, 0, v35 :: v_dual_mul_f32 v49, v201, v137
	v_dual_fmac_f32 v11, v191, v126 :: v_dual_fmac_f32 v13, v193, v128
	v_dual_fma_f32 v39, v190, v126, -v39 :: v_dual_add_f32 v7, v7, v9
	s_delay_alu instid0(VALU_DEP_3) | instskip(SKIP_2) | instid1(VALU_DEP_4)
	v_dual_add_f32 v9, v35, v37 :: v_dual_fma_f32 v37, v192, v128, -v41
	v_dual_mul_f32 v15, v194, v131 :: v_dual_mul_f32 v17, v196, v133
	v_dual_mul_f32 v43, v195, v131 :: v_dual_mul_f32 v45, v197, v133
	v_add_f32_e32 v7, v7, v11
	s_delay_alu instid0(VALU_DEP_3) | instskip(NEXT) | instid1(VALU_DEP_3)
	v_dual_add_f32 v9, v9, v39 :: v_dual_fmac_f32 v15, v195, v130
	v_fma_f32 v39, v194, v130, -v43
	v_dual_mul_f32 v19, v198, v135 :: v_dual_mul_f32 v21, v200, v137
	s_delay_alu instid0(VALU_DEP_4) | instskip(SKIP_2) | instid1(VALU_DEP_2)
	v_dual_add_f32 v7, v7, v13 :: v_dual_fmac_f32 v17, v197, v132
	s_wait_loadcnt_dscnt 0x702
	v_dual_add_f32 v9, v9, v37 :: v_dual_mul_f32 v13, v207, v143
	v_dual_fma_f32 v37, v196, v132, -v45 :: v_dual_add_f32 v7, v7, v15
	v_mul_f32_e32 v15, v209, v145
	s_delay_alu instid0(VALU_DEP_3) | instskip(NEXT) | instid1(VALU_DEP_3)
	v_dual_add_f32 v9, v9, v39 :: v_dual_fmac_f32 v19, v199, v134
	v_dual_fma_f32 v39, v198, v134, -v47 :: v_dual_add_f32 v7, v7, v17
	v_fmac_f32_e32 v21, v201, v136
	s_wait_loadcnt_dscnt 0x601
	s_delay_alu instid0(VALU_DEP_3) | instskip(SKIP_3) | instid1(VALU_DEP_3)
	v_dual_add_f32 v9, v9, v37 :: v_dual_mul_f32 v17, v211, v147
	v_dual_mul_f32 v23, v202, v139 :: v_dual_mul_f32 v25, v204, v141
	v_dual_mul_f32 v35, v203, v139 :: v_dual_mul_f32 v11, v205, v141
	v_dual_fma_f32 v37, v200, v136, -v49 :: v_dual_add_f32 v7, v7, v19
	v_dual_add_f32 v9, v9, v39 :: v_dual_fmac_f32 v23, v203, v138
	s_delay_alu instid0(VALU_DEP_3) | instskip(NEXT) | instid1(VALU_DEP_3)
	v_dual_mul_f32 v19, v213, v149 :: v_dual_fma_f32 v35, v202, v138, -v35
	v_dual_add_f32 v7, v7, v21 :: v_dual_fmac_f32 v25, v205, v140
	s_wait_loadcnt_dscnt 0x500
	s_delay_alu instid0(VALU_DEP_3) | instskip(SKIP_1) | instid1(VALU_DEP_3)
	v_dual_add_f32 v9, v9, v37 :: v_dual_mul_f32 v21, v215, v151
	v_dual_mul_f32 v27, v206, v143 :: v_dual_mul_f32 v29, v208, v145
	v_dual_fma_f32 v11, v204, v140, -v11 :: v_dual_add_f32 v7, v7, v23
	s_delay_alu instid0(VALU_DEP_2) | instskip(SKIP_1) | instid1(VALU_DEP_2)
	v_dual_add_f32 v9, v9, v35 :: v_dual_fmac_f32 v27, v207, v142
	v_dual_mul_f32 v23, v217, v153 :: v_dual_fma_f32 v13, v206, v142, -v13
	v_dual_add_f32 v7, v7, v25 :: v_dual_add_f32 v9, v9, v11
	v_dual_mul_f32 v31, v210, v147 :: v_dual_mul_f32 v33, v212, v149
	v_dual_fmac_f32 v29, v209, v144 :: v_dual_fma_f32 v11, v208, v144, -v15
	s_delay_alu instid0(VALU_DEP_3) | instskip(SKIP_1) | instid1(VALU_DEP_3)
	v_dual_add_f32 v7, v7, v27 :: v_dual_add_f32 v9, v9, v13
	s_wait_loadcnt 0x4
	v_dual_mov_b32 v124, v157 :: v_dual_fmac_f32 v31, v211, v146
	s_delay_alu instid0(VALU_DEP_2) | instskip(NEXT) | instid1(VALU_DEP_3)
	v_dual_fma_f32 v13, v210, v146, -v17 :: v_dual_add_f32 v7, v7, v29
	v_dual_add_f32 v9, v9, v11 :: v_dual_fma_f32 v11, v212, v148, -v19
	v_dual_mul_f32 v229, v214, v151 :: v_dual_mul_f32 v231, v216, v153
	s_delay_alu instid0(VALU_DEP_3) | instskip(NEXT) | instid1(VALU_DEP_2)
	v_dual_fmac_f32 v33, v213, v148 :: v_dual_add_f32 v7, v7, v31
	v_dual_add_f32 v9, v9, v13 :: v_dual_fmac_f32 v229, v215, v150
	v_pk_mul_f32 v[122:123], v[170:171], v[154:155] op_sel:[1,1] op_sel_hi:[0,1]
	s_wait_loadcnt 0x3
	v_dual_mov_b32 v128, v161 :: v_dual_fma_f32 v228, v214, v150, -v21
	s_delay_alu instid0(VALU_DEP_3)
	v_dual_add_f32 v131, v7, v33 :: v_dual_add_f32 v130, v9, v11
	v_fmac_f32_e32 v231, v217, v152
	v_pk_fma_f32 v[132:133], v[170:171], v[154:155], v[122:123] op_sel_hi:[1,0,1]
	v_fma_f32 v230, v216, v152, -v23
	v_pk_mul_f32 v[124:125], v[220:221], v[124:125] op_sel_hi:[1,0]
	v_pk_add_f32 v[130:131], v[130:131], v[228:229]
	v_pk_fma_f32 v[122:123], v[170:171], v[154:155], v[122:123] neg_lo:[0,0,1] neg_hi:[0,0,1]
	v_pk_mul_f32 v[126:127], v[174:175], v[158:159] op_sel:[1,1] op_sel_hi:[0,1]
	v_mov_b32_e32 v123, v133
	v_pk_fma_f32 v[132:133], v[172:173], v[156:157], v[124:125] op_sel_hi:[1,0,1]
	v_pk_add_f32 v[130:131], v[130:131], v[230:231]
	v_pk_fma_f32 v[124:125], v[172:173], v[156:157], v[124:125] neg_lo:[0,0,1] neg_hi:[0,0,1]
	v_pk_fma_f32 v[136:137], v[174:175], v[158:159], v[126:127] op_sel_hi:[1,0,1]
	v_pk_mul_f32 v[128:129], v[222:223], v[128:129] op_sel_hi:[1,0]
	v_mov_b32_e32 v125, v133
	v_pk_add_f32 v[122:123], v[130:131], v[122:123]
	s_wait_loadcnt 0x2
	v_pk_mul_f32 v[134:135], v[178:179], v[162:163] op_sel:[1,1] op_sel_hi:[0,1]
	v_mov_b32_e32 v130, v165
	v_pk_fma_f32 v[126:127], v[174:175], v[158:159], v[126:127] neg_lo:[0,0,1] neg_hi:[0,0,1]
	v_pk_fma_f32 v[132:133], v[176:177], v[160:161], v[128:129] op_sel_hi:[1,0,1]
	v_mov_b32_e32 v127, v137
	v_pk_add_f32 v[122:123], v[122:123], v[124:125]
	v_pk_fma_f32 v[124:125], v[178:179], v[162:163], v[134:135] op_sel_hi:[1,0,1]
	v_pk_mul_f32 v[130:131], v[224:225], v[130:131] op_sel_hi:[1,0]
	v_pk_fma_f32 v[128:129], v[176:177], v[160:161], v[128:129] neg_lo:[0,0,1] neg_hi:[0,0,1]
	v_mov_b32_e32 v129, v133
	v_pk_add_f32 v[122:123], v[122:123], v[126:127]
	v_pk_fma_f32 v[132:133], v[178:179], v[162:163], v[134:135] neg_lo:[0,0,1] neg_hi:[0,0,1]
	v_mov_b32_e32 v133, v125
	v_pk_fma_f32 v[124:125], v[180:181], v[164:165], v[130:131] op_sel_hi:[1,0,1]
	s_wait_loadcnt 0x1
	v_pk_mul_f32 v[126:127], v[182:183], v[166:167] op_sel:[1,1] op_sel_hi:[0,1]
	v_pk_add_f32 v[122:123], v[122:123], v[128:129]
	v_mov_b32_e32 v124, v169
	v_pk_fma_f32 v[130:131], v[180:181], v[164:165], v[130:131] neg_lo:[0,0,1] neg_hi:[0,0,1]
	s_delay_alu instid0(VALU_DEP_4)
	v_pk_fma_f32 v[128:129], v[182:183], v[166:167], v[126:127] op_sel_hi:[1,0,1]
	v_mov_b32_e32 v131, v125
	v_pk_add_f32 v[122:123], v[122:123], v[132:133]
	v_pk_mul_f32 v[124:125], v[226:227], v[124:125] op_sel_hi:[1,0]
	v_pk_fma_f32 v[126:127], v[182:183], v[166:167], v[126:127] neg_lo:[0,0,1] neg_hi:[0,0,1]
	v_mov_b32_e32 v127, v129
	s_delay_alu instid0(VALU_DEP_4) | instskip(NEXT) | instid1(VALU_DEP_4)
	v_pk_add_f32 v[122:123], v[122:123], v[130:131]
	v_pk_fma_f32 v[128:129], v[184:185], v[168:169], v[124:125] op_sel_hi:[1,0,1]
	v_pk_fma_f32 v[124:125], v[184:185], v[168:169], v[124:125] neg_lo:[0,0,1] neg_hi:[0,0,1]
	s_delay_alu instid0(VALU_DEP_3) | instskip(NEXT) | instid1(VALU_DEP_3)
	v_pk_add_f32 v[122:123], v[122:123], v[126:127]
	v_mov_b32_e32 v125, v129
	s_delay_alu instid0(VALU_DEP_1) | instskip(SKIP_1) | instid1(VALU_DEP_1)
	v_pk_add_f32 v[122:123], v[122:123], v[124:125]
	s_wait_loadcnt 0x0
	v_pk_add_f32 v[122:123], v[218:219], v[122:123] neg_lo:[0,1] neg_hi:[0,1]
	scratch_store_b64 off, v[122:123], off offset:280
	s_wait_xcnt 0x0
	v_cmpx_lt_u32_e32 34, v0
	s_cbranch_execz .LBB59_305
; %bb.304:
	scratch_load_b64 v[122:123], off, off offset:272
	v_mov_b64_e32 v[124:125], 0
	scratch_store_b64 off, v[124:125], off offset:272
	s_wait_loadcnt 0x0
	ds_store_b64 v1, v[122:123]
.LBB59_305:
	s_wait_xcnt 0x0
	s_or_b32 exec_lo, exec_lo, s0
	s_wait_storecnt_dscnt 0x0
	s_barrier_signal -1
	s_barrier_wait -1
	s_clause 0xd
	scratch_load_b128 v[122:125], off, off offset:280
	scratch_load_b128 v[126:129], off, off offset:296
	;; [unrolled: 1-line block ×12, first 2 shown]
	scratch_load_b64 v[218:219], off, off offset:472
	scratch_load_b64 v[220:221], off, off offset:272
	v_mov_b32_e32 v7, 0
	ds_load_2addr_b64 v[170:173], v7 offset0:111 offset1:112
	ds_load_2addr_b64 v[174:177], v7 offset0:113 offset1:114
	;; [unrolled: 1-line block ×12, first 2 shown]
	ds_load_b64 v[222:223], v7 offset:952
	s_mov_b32 s0, exec_lo
	s_wait_dscnt 0xc
	v_dual_mov_b32 v224, v173 :: v_dual_mov_b32 v225, v172
	s_wait_dscnt 0x9
	v_dual_mov_b32 v226, v177 :: v_dual_mov_b32 v231, v184
	v_dual_mov_b32 v227, v176 :: v_dual_mov_b32 v228, v181
	;; [unrolled: 1-line block ×3, first 2 shown]
	s_wait_loadcnt_dscnt 0xd08
	v_dual_mul_f32 v9, v186, v123 :: v_dual_mul_f32 v39, v187, v123
	v_dual_mul_f32 v41, v189, v125 :: v_dual_mul_f32 v11, v188, v125
	s_wait_loadcnt_dscnt 0xc07
	v_mul_f32_e32 v13, v190, v127
	s_wait_loadcnt_dscnt 0xa05
	v_dual_mul_f32 v51, v199, v135 :: v_dual_fma_f32 v39, v186, v122, -v39
	v_dual_fmac_f32 v9, v187, v122 :: v_dual_mul_f32 v53, v201, v137
	v_dual_mul_f32 v43, v191, v127 :: v_dual_mul_f32 v45, v193, v129
	v_dual_fmac_f32 v11, v189, v124 :: v_dual_fma_f32 v41, v188, v124, -v41
	s_delay_alu instid0(VALU_DEP_3) | instskip(SKIP_3) | instid1(VALU_DEP_3)
	v_dual_add_f32 v9, 0, v9 :: v_dual_add_f32 v39, 0, v39
	v_dual_mul_f32 v15, v192, v129 :: v_dual_mul_f32 v17, v194, v131
	s_wait_loadcnt_dscnt 0x904
	v_dual_mul_f32 v55, v203, v139 :: v_dual_fma_f32 v43, v190, v126, -v43
	v_dual_fmac_f32 v13, v191, v126 :: v_dual_add_f32 v9, v9, v11
	s_delay_alu instid0(VALU_DEP_3) | instskip(SKIP_2) | instid1(VALU_DEP_3)
	v_dual_add_f32 v11, v39, v41 :: v_dual_fmac_f32 v15, v193, v128
	v_dual_mul_f32 v47, v195, v131 :: v_dual_mul_f32 v49, v197, v133
	v_dual_mul_f32 v39, v205, v141 :: v_dual_fma_f32 v41, v192, v128, -v45
	v_dual_add_f32 v9, v9, v13 :: v_dual_add_f32 v11, v11, v43
	v_dual_mul_f32 v19, v196, v133 :: v_dual_mul_f32 v21, v198, v135
	s_wait_loadcnt_dscnt 0x803
	v_dual_mul_f32 v13, v207, v143 :: v_dual_fma_f32 v43, v194, v130, -v47
	s_delay_alu instid0(VALU_DEP_3) | instskip(NEXT) | instid1(VALU_DEP_3)
	v_dual_fmac_f32 v17, v195, v130 :: v_dual_add_f32 v9, v9, v15
	v_dual_add_f32 v11, v11, v41 :: v_dual_fmac_f32 v19, v197, v132
	v_dual_mul_f32 v15, v209, v145 :: v_dual_fma_f32 v41, v196, v132, -v49
	s_delay_alu instid0(VALU_DEP_2) | instskip(SKIP_3) | instid1(VALU_DEP_3)
	v_dual_add_f32 v9, v9, v17 :: v_dual_add_f32 v11, v11, v43
	v_dual_mul_f32 v23, v200, v137 :: v_dual_mul_f32 v25, v202, v139
	s_wait_loadcnt_dscnt 0x702
	v_dual_mul_f32 v17, v211, v147 :: v_dual_fma_f32 v43, v198, v134, -v51
	v_dual_fmac_f32 v21, v199, v134 :: v_dual_add_f32 v9, v9, v19
	s_delay_alu instid0(VALU_DEP_3) | instskip(SKIP_1) | instid1(VALU_DEP_2)
	v_dual_add_f32 v11, v11, v41 :: v_dual_fmac_f32 v23, v201, v136
	v_dual_mul_f32 v19, v213, v149 :: v_dual_fma_f32 v41, v200, v136, -v53
	v_dual_add_f32 v9, v9, v21 :: v_dual_add_f32 v11, v11, v43
	v_dual_mul_f32 v27, v204, v141 :: v_dual_mul_f32 v29, v206, v143
	s_wait_loadcnt_dscnt 0x601
	v_dual_mul_f32 v21, v215, v151 :: v_dual_fma_f32 v43, v202, v138, -v55
	s_delay_alu instid0(VALU_DEP_3) | instskip(NEXT) | instid1(VALU_DEP_3)
	v_dual_fmac_f32 v25, v203, v138 :: v_dual_add_f32 v9, v9, v23
	v_dual_add_f32 v11, v11, v41 :: v_dual_fmac_f32 v27, v205, v140
	v_dual_mul_f32 v23, v217, v153 :: v_dual_fma_f32 v39, v204, v140, -v39
	s_delay_alu instid0(VALU_DEP_2) | instskip(SKIP_3) | instid1(VALU_DEP_3)
	v_dual_add_f32 v9, v9, v25 :: v_dual_add_f32 v11, v11, v43
	v_dual_mul_f32 v31, v208, v145 :: v_dual_mul_f32 v33, v210, v147
	s_wait_loadcnt 0x5
	v_dual_mul_f32 v25, v171, v155 :: v_dual_fma_f32 v13, v206, v142, -v13
	v_dual_fmac_f32 v29, v207, v142 :: v_dual_add_f32 v9, v9, v27
	v_dual_add_f32 v11, v11, v39 :: v_dual_mov_b32 v122, v157
	v_fmac_f32_e32 v31, v209, v144
	s_delay_alu instid0(VALU_DEP_3) | instskip(NEXT) | instid1(VALU_DEP_3)
	v_dual_fma_f32 v15, v208, v144, -v15 :: v_dual_add_f32 v9, v9, v29
	v_add_f32_e32 v11, v11, v13
	v_dual_mul_f32 v35, v212, v149 :: v_dual_mul_f32 v37, v214, v151
	s_delay_alu instid0(VALU_DEP_3) | instskip(NEXT) | instid1(VALU_DEP_3)
	v_dual_fmac_f32 v33, v211, v146 :: v_dual_add_f32 v9, v9, v31
	v_dual_fma_f32 v13, v210, v146, -v17 :: v_dual_add_f32 v11, v11, v15
	s_wait_loadcnt 0x4
	v_dual_mov_b32 v126, v161 :: v_dual_fma_f32 v15, v212, v148, -v19
	v_fmac_f32_e32 v35, v213, v148
	v_dual_add_f32 v9, v9, v33 :: v_dual_fmac_f32 v37, v215, v150
	v_add_f32_e32 v11, v11, v13
	v_dual_mul_f32 v233, v216, v153 :: v_dual_mul_f32 v235, v170, v155
	s_delay_alu instid0(VALU_DEP_3) | instskip(NEXT) | instid1(VALU_DEP_2)
	v_dual_fma_f32 v13, v214, v150, -v21 :: v_dual_add_f32 v9, v9, v35
	v_dual_add_f32 v11, v11, v15 :: v_dual_fmac_f32 v233, v217, v152
	v_fma_f32 v232, v216, v152, -v23
	v_pk_mul_f32 v[122:123], v[224:225], v[122:123] op_sel_hi:[1,0]
	s_delay_alu instid0(VALU_DEP_4)
	v_add_f32_e32 v131, v9, v37
	s_wait_loadcnt 0x3
	v_dual_add_f32 v130, v11, v13 :: v_dual_mov_b32 v132, v165
	v_pk_mul_f32 v[124:125], v[174:175], v[158:159] op_sel:[1,1] op_sel_hi:[0,1]
	v_dual_fmac_f32 v235, v171, v154 :: v_dual_fma_f32 v234, v170, v154, -v25
	v_pk_fma_f32 v[134:135], v[172:173], v[156:157], v[122:123] op_sel_hi:[1,0,1]
	s_delay_alu instid0(VALU_DEP_4)
	v_pk_add_f32 v[130:131], v[130:131], v[232:233]
	v_pk_fma_f32 v[122:123], v[172:173], v[156:157], v[122:123] neg_lo:[0,0,1] neg_hi:[0,0,1]
	v_pk_fma_f32 v[136:137], v[174:175], v[158:159], v[124:125] op_sel_hi:[1,0,1]
	v_pk_mul_f32 v[126:127], v[226:227], v[126:127] op_sel_hi:[1,0]
	v_mov_b32_e32 v123, v135
	v_pk_add_f32 v[130:131], v[130:131], v[234:235]
	v_pk_fma_f32 v[124:125], v[174:175], v[158:159], v[124:125] neg_lo:[0,0,1] neg_hi:[0,0,1]
	v_pk_mul_f32 v[128:129], v[178:179], v[162:163] op_sel:[1,1] op_sel_hi:[0,1]
	v_mov_b32_e32 v125, v137
	v_pk_fma_f32 v[136:137], v[176:177], v[160:161], v[126:127] op_sel_hi:[1,0,1]
	v_pk_add_f32 v[122:123], v[130:131], v[122:123]
	v_pk_fma_f32 v[126:127], v[176:177], v[160:161], v[126:127] neg_lo:[0,0,1] neg_hi:[0,0,1]
	v_pk_fma_f32 v[130:131], v[178:179], v[162:163], v[128:129] op_sel_hi:[1,0,1]
	v_pk_mul_f32 v[132:133], v[228:229], v[132:133] op_sel_hi:[1,0]
	v_mov_b32_e32 v127, v137
	v_pk_add_f32 v[122:123], v[122:123], v[124:125]
	v_pk_fma_f32 v[128:129], v[178:179], v[162:163], v[128:129] neg_lo:[0,0,1] neg_hi:[0,0,1]
	s_wait_loadcnt 0x2
	v_pk_mul_f32 v[134:135], v[182:183], v[166:167] op_sel:[1,1] op_sel_hi:[0,1]
	v_dual_mov_b32 v124, v169 :: v_dual_mov_b32 v129, v131
	v_pk_fma_f32 v[130:131], v[180:181], v[164:165], v[132:133] op_sel_hi:[1,0,1]
	v_pk_add_f32 v[122:123], v[122:123], v[126:127]
	v_pk_fma_f32 v[132:133], v[180:181], v[164:165], v[132:133] neg_lo:[0,0,1] neg_hi:[0,0,1]
	v_pk_fma_f32 v[126:127], v[182:183], v[166:167], v[134:135] op_sel_hi:[1,0,1]
	v_pk_mul_f32 v[124:125], v[230:231], v[124:125] op_sel_hi:[1,0]
	v_mov_b32_e32 v133, v131
	v_pk_add_f32 v[122:123], v[122:123], v[128:129]
	v_pk_fma_f32 v[128:129], v[182:183], v[166:167], v[134:135] neg_lo:[0,0,1] neg_hi:[0,0,1]
	v_mov_b32_e32 v129, v127
	v_pk_fma_f32 v[126:127], v[184:185], v[168:169], v[124:125] op_sel_hi:[1,0,1]
	s_wait_loadcnt_dscnt 0x100
	v_pk_mul_f32 v[130:131], v[222:223], v[218:219] op_sel:[1,1] op_sel_hi:[0,1]
	v_pk_add_f32 v[122:123], v[122:123], v[132:133]
	v_pk_fma_f32 v[124:125], v[184:185], v[168:169], v[124:125] neg_lo:[0,0,1] neg_hi:[0,0,1]
	v_mov_b32_e32 v125, v127
	s_delay_alu instid0(VALU_DEP_4) | instskip(NEXT) | instid1(VALU_DEP_4)
	v_pk_fma_f32 v[126:127], v[222:223], v[218:219], v[130:131] op_sel_hi:[1,0,1]
	v_pk_add_f32 v[122:123], v[122:123], v[128:129]
	v_pk_fma_f32 v[128:129], v[222:223], v[218:219], v[130:131] neg_lo:[0,0,1] neg_hi:[0,0,1]
	s_delay_alu instid0(VALU_DEP_3) | instskip(NEXT) | instid1(VALU_DEP_3)
	v_mov_b32_e32 v129, v127
	v_pk_add_f32 v[122:123], v[122:123], v[124:125]
	s_delay_alu instid0(VALU_DEP_1) | instskip(SKIP_1) | instid1(VALU_DEP_1)
	v_pk_add_f32 v[122:123], v[122:123], v[128:129]
	s_wait_loadcnt 0x0
	v_pk_add_f32 v[122:123], v[220:221], v[122:123] neg_lo:[0,1] neg_hi:[0,1]
	scratch_store_b64 off, v[122:123], off offset:272
	s_wait_xcnt 0x0
	v_cmpx_lt_u32_e32 33, v0
	s_cbranch_execz .LBB59_307
; %bb.306:
	scratch_load_b64 v[122:123], off, off offset:264
	v_mov_b64_e32 v[124:125], 0
	scratch_store_b64 off, v[124:125], off offset:264
	s_wait_loadcnt 0x0
	ds_store_b64 v1, v[122:123]
.LBB59_307:
	s_wait_xcnt 0x0
	s_or_b32 exec_lo, exec_lo, s0
	s_wait_storecnt_dscnt 0x0
	s_barrier_signal -1
	s_barrier_wait -1
	s_clause 0xd
	scratch_load_b128 v[122:125], off, off offset:272
	scratch_load_b128 v[126:129], off, off offset:288
	scratch_load_b128 v[130:133], off, off offset:304
	scratch_load_b128 v[134:137], off, off offset:320
	scratch_load_b128 v[138:141], off, off offset:336
	scratch_load_b128 v[142:145], off, off offset:352
	scratch_load_b128 v[146:149], off, off offset:368
	scratch_load_b128 v[150:153], off, off offset:384
	scratch_load_b128 v[154:157], off, off offset:400
	scratch_load_b128 v[158:161], off, off offset:416
	scratch_load_b128 v[162:165], off, off offset:432
	scratch_load_b128 v[166:169], off, off offset:448
	scratch_load_b128 v[170:173], off, off offset:464
	scratch_load_b64 v[226:227], off, off offset:264
	ds_load_b128 v[174:177], v7 offset:896
	ds_load_b128 v[178:181], v7 offset:912
	;; [unrolled: 1-line block ×13, first 2 shown]
	s_mov_b32 s0, exec_lo
	s_wait_dscnt 0xc
	v_dual_mov_b32 v228, v177 :: v_dual_mov_b32 v229, v176
	s_wait_dscnt 0xb
	v_dual_mov_b32 v230, v181 :: v_dual_mov_b32 v231, v180
	s_wait_dscnt 0xa
	v_dual_mov_b32 v232, v185 :: v_dual_mov_b32 v233, v184
	s_wait_dscnt 0x9
	v_dual_mov_b32 v234, v189 :: v_dual_mov_b32 v235, v188
	s_wait_loadcnt_dscnt 0xd08
	v_dual_mul_f32 v7, v190, v123 :: v_dual_mul_f32 v9, v192, v125
	v_dual_mul_f32 v39, v191, v123 :: v_dual_mul_f32 v41, v193, v125
	s_wait_loadcnt_dscnt 0xc07
	v_dual_mul_f32 v11, v194, v127 :: v_dual_mul_f32 v13, v196, v129
	s_delay_alu instid0(VALU_DEP_3) | instskip(SKIP_3) | instid1(VALU_DEP_3)
	v_dual_fmac_f32 v7, v191, v122 :: v_dual_fmac_f32 v9, v193, v124
	s_wait_loadcnt_dscnt 0xa05
	v_dual_fma_f32 v39, v190, v122, -v39 :: v_dual_mul_f32 v51, v203, v135
	v_dual_mul_f32 v43, v195, v127 :: v_dual_mul_f32 v45, v197, v129
	v_dual_fma_f32 v41, v192, v124, -v41 :: v_dual_add_f32 v7, 0, v7
	s_delay_alu instid0(VALU_DEP_3) | instskip(SKIP_1) | instid1(VALU_DEP_3)
	v_dual_add_f32 v39, 0, v39 :: v_dual_mul_f32 v53, v205, v137
	v_dual_fmac_f32 v11, v195, v126 :: v_dual_fmac_f32 v13, v197, v128
	v_dual_fma_f32 v43, v194, v126, -v43 :: v_dual_add_f32 v7, v7, v9
	s_delay_alu instid0(VALU_DEP_3) | instskip(SKIP_2) | instid1(VALU_DEP_4)
	v_dual_add_f32 v9, v39, v41 :: v_dual_fma_f32 v41, v196, v128, -v45
	v_dual_mul_f32 v15, v198, v131 :: v_dual_mul_f32 v17, v200, v133
	v_dual_mul_f32 v47, v199, v131 :: v_dual_mul_f32 v49, v201, v133
	v_add_f32_e32 v7, v7, v11
	s_delay_alu instid0(VALU_DEP_3) | instskip(NEXT) | instid1(VALU_DEP_3)
	v_dual_add_f32 v9, v9, v43 :: v_dual_fmac_f32 v15, v199, v130
	v_fma_f32 v43, v198, v130, -v47
	v_dual_mul_f32 v19, v202, v135 :: v_dual_mul_f32 v21, v204, v137
	s_delay_alu instid0(VALU_DEP_4) | instskip(SKIP_2) | instid1(VALU_DEP_2)
	v_dual_add_f32 v7, v7, v13 :: v_dual_fmac_f32 v17, v201, v132
	s_wait_loadcnt_dscnt 0x802
	v_dual_add_f32 v9, v9, v41 :: v_dual_mul_f32 v13, v215, v143
	v_dual_fma_f32 v41, v200, v132, -v49 :: v_dual_add_f32 v7, v7, v15
	v_mul_f32_e32 v15, v217, v145
	s_delay_alu instid0(VALU_DEP_3) | instskip(NEXT) | instid1(VALU_DEP_3)
	v_dual_add_f32 v9, v9, v43 :: v_dual_fmac_f32 v19, v203, v134
	v_dual_fma_f32 v43, v202, v134, -v51 :: v_dual_add_f32 v7, v7, v17
	v_fmac_f32_e32 v21, v205, v136
	s_wait_loadcnt_dscnt 0x701
	s_delay_alu instid0(VALU_DEP_3) | instskip(SKIP_3) | instid1(VALU_DEP_3)
	v_dual_add_f32 v9, v9, v41 :: v_dual_mul_f32 v17, v219, v147
	v_dual_mul_f32 v23, v210, v139 :: v_dual_mul_f32 v25, v212, v141
	v_dual_mul_f32 v39, v211, v139 :: v_dual_mul_f32 v11, v213, v141
	v_dual_fma_f32 v41, v204, v136, -v53 :: v_dual_add_f32 v7, v7, v19
	v_dual_add_f32 v9, v9, v43 :: v_dual_fmac_f32 v23, v211, v138
	s_delay_alu instid0(VALU_DEP_3) | instskip(NEXT) | instid1(VALU_DEP_3)
	v_dual_mul_f32 v19, v221, v149 :: v_dual_fma_f32 v39, v210, v138, -v39
	v_dual_add_f32 v7, v7, v21 :: v_dual_fmac_f32 v25, v213, v140
	s_wait_loadcnt_dscnt 0x600
	s_delay_alu instid0(VALU_DEP_3) | instskip(SKIP_1) | instid1(VALU_DEP_3)
	v_dual_add_f32 v9, v9, v41 :: v_dual_mul_f32 v21, v223, v151
	v_dual_mul_f32 v27, v214, v143 :: v_dual_mul_f32 v29, v216, v145
	v_dual_fma_f32 v11, v212, v140, -v11 :: v_dual_add_f32 v7, v7, v23
	s_delay_alu instid0(VALU_DEP_2) | instskip(SKIP_1) | instid1(VALU_DEP_2)
	v_dual_add_f32 v9, v9, v39 :: v_dual_fmac_f32 v27, v215, v142
	v_dual_mul_f32 v23, v225, v153 :: v_dual_fma_f32 v13, v214, v142, -v13
	v_dual_add_f32 v7, v7, v25 :: v_dual_add_f32 v9, v9, v11
	v_dual_mul_f32 v31, v218, v147 :: v_dual_mul_f32 v33, v220, v149
	s_wait_loadcnt 0x5
	v_dual_mul_f32 v11, v207, v155 :: v_dual_fmac_f32 v29, v217, v144
	s_delay_alu instid0(VALU_DEP_3) | instskip(NEXT) | instid1(VALU_DEP_3)
	v_dual_fma_f32 v15, v216, v144, -v15 :: v_dual_add_f32 v7, v7, v27
	v_dual_add_f32 v9, v9, v13 :: v_dual_fmac_f32 v31, v219, v146
	v_dual_mul_f32 v13, v209, v157 :: v_dual_fma_f32 v17, v218, v146, -v17
	s_delay_alu instid0(VALU_DEP_2) | instskip(SKIP_2) | instid1(VALU_DEP_3)
	v_dual_add_f32 v7, v7, v29 :: v_dual_add_f32 v9, v9, v15
	v_dual_mul_f32 v35, v222, v151 :: v_dual_mul_f32 v37, v224, v153
	v_dual_fmac_f32 v33, v221, v148 :: v_dual_fma_f32 v15, v220, v148, -v19
	v_dual_add_f32 v7, v7, v31 :: v_dual_add_f32 v9, v9, v17
	s_wait_loadcnt 0x4
	s_delay_alu instid0(VALU_DEP_3) | instskip(NEXT) | instid1(VALU_DEP_2)
	v_dual_mov_b32 v124, v161 :: v_dual_fmac_f32 v35, v223, v150
	v_dual_fma_f32 v17, v222, v150, -v21 :: v_dual_add_f32 v7, v7, v33
	s_delay_alu instid0(VALU_DEP_3) | instskip(SKIP_1) | instid1(VALU_DEP_3)
	v_dual_add_f32 v9, v9, v15 :: v_dual_fma_f32 v15, v224, v152, -v23
	v_dual_mul_f32 v237, v206, v155 :: v_dual_mul_f32 v239, v208, v157
	v_dual_fmac_f32 v37, v225, v152 :: v_dual_add_f32 v7, v7, v35
	s_delay_alu instid0(VALU_DEP_2) | instskip(SKIP_3) | instid1(VALU_DEP_3)
	v_dual_add_f32 v9, v9, v17 :: v_dual_fmac_f32 v237, v207, v154
	v_pk_mul_f32 v[122:123], v[174:175], v[158:159] op_sel:[1,1] op_sel_hi:[0,1]
	s_wait_loadcnt 0x3
	v_dual_mov_b32 v128, v165 :: v_dual_fma_f32 v236, v206, v154, -v11
	v_dual_add_f32 v131, v7, v37 :: v_dual_add_f32 v130, v9, v15
	v_dual_fmac_f32 v239, v209, v156 :: v_dual_fma_f32 v238, v208, v156, -v13
	v_pk_fma_f32 v[132:133], v[174:175], v[158:159], v[122:123] op_sel_hi:[1,0,1]
	v_pk_mul_f32 v[124:125], v[228:229], v[124:125] op_sel_hi:[1,0]
	s_delay_alu instid0(VALU_DEP_4)
	v_pk_add_f32 v[130:131], v[130:131], v[236:237]
	v_pk_fma_f32 v[122:123], v[174:175], v[158:159], v[122:123] neg_lo:[0,0,1] neg_hi:[0,0,1]
	v_pk_mul_f32 v[126:127], v[178:179], v[162:163] op_sel:[1,1] op_sel_hi:[0,1]
	v_mov_b32_e32 v123, v133
	v_pk_fma_f32 v[132:133], v[176:177], v[160:161], v[124:125] op_sel_hi:[1,0,1]
	v_pk_add_f32 v[130:131], v[130:131], v[238:239]
	v_pk_fma_f32 v[124:125], v[176:177], v[160:161], v[124:125] neg_lo:[0,0,1] neg_hi:[0,0,1]
	v_pk_fma_f32 v[136:137], v[178:179], v[162:163], v[126:127] op_sel_hi:[1,0,1]
	v_pk_mul_f32 v[128:129], v[230:231], v[128:129] op_sel_hi:[1,0]
	v_mov_b32_e32 v125, v133
	v_pk_add_f32 v[122:123], v[130:131], v[122:123]
	s_wait_loadcnt 0x2
	v_pk_mul_f32 v[134:135], v[182:183], v[166:167] op_sel:[1,1] op_sel_hi:[0,1]
	v_mov_b32_e32 v130, v169
	v_pk_fma_f32 v[126:127], v[178:179], v[162:163], v[126:127] neg_lo:[0,0,1] neg_hi:[0,0,1]
	v_mov_b32_e32 v127, v137
	v_pk_fma_f32 v[132:133], v[180:181], v[164:165], v[128:129] op_sel_hi:[1,0,1]
	v_pk_add_f32 v[122:123], v[122:123], v[124:125]
	v_pk_fma_f32 v[124:125], v[182:183], v[166:167], v[134:135] op_sel_hi:[1,0,1]
	v_pk_mul_f32 v[130:131], v[232:233], v[130:131] op_sel_hi:[1,0]
	v_pk_fma_f32 v[128:129], v[180:181], v[164:165], v[128:129] neg_lo:[0,0,1] neg_hi:[0,0,1]
	v_mov_b32_e32 v129, v133
	v_pk_add_f32 v[122:123], v[122:123], v[126:127]
	v_pk_fma_f32 v[132:133], v[182:183], v[166:167], v[134:135] neg_lo:[0,0,1] neg_hi:[0,0,1]
	v_mov_b32_e32 v133, v125
	v_pk_fma_f32 v[124:125], v[184:185], v[168:169], v[130:131] op_sel_hi:[1,0,1]
	s_wait_loadcnt 0x1
	v_pk_mul_f32 v[126:127], v[186:187], v[170:171] op_sel:[1,1] op_sel_hi:[0,1]
	v_pk_add_f32 v[122:123], v[122:123], v[128:129]
	v_mov_b32_e32 v124, v173
	v_pk_fma_f32 v[130:131], v[184:185], v[168:169], v[130:131] neg_lo:[0,0,1] neg_hi:[0,0,1]
	v_mov_b32_e32 v131, v125
	v_pk_fma_f32 v[128:129], v[186:187], v[170:171], v[126:127] op_sel_hi:[1,0,1]
	v_pk_add_f32 v[122:123], v[122:123], v[132:133]
	v_pk_mul_f32 v[124:125], v[234:235], v[124:125] op_sel_hi:[1,0]
	v_pk_fma_f32 v[126:127], v[186:187], v[170:171], v[126:127] neg_lo:[0,0,1] neg_hi:[0,0,1]
	s_delay_alu instid0(VALU_DEP_4) | instskip(NEXT) | instid1(VALU_DEP_4)
	v_mov_b32_e32 v127, v129
	v_pk_add_f32 v[122:123], v[122:123], v[130:131]
	s_delay_alu instid0(VALU_DEP_4) | instskip(SKIP_1) | instid1(VALU_DEP_2)
	v_pk_fma_f32 v[128:129], v[188:189], v[172:173], v[124:125] op_sel_hi:[1,0,1]
	v_pk_fma_f32 v[124:125], v[188:189], v[172:173], v[124:125] neg_lo:[0,0,1] neg_hi:[0,0,1]
	v_mov_b32_e32 v125, v129
	s_delay_alu instid0(VALU_DEP_4) | instskip(NEXT) | instid1(VALU_DEP_1)
	v_pk_add_f32 v[122:123], v[122:123], v[126:127]
	v_pk_add_f32 v[122:123], v[122:123], v[124:125]
	s_wait_loadcnt 0x0
	s_delay_alu instid0(VALU_DEP_1)
	v_pk_add_f32 v[122:123], v[226:227], v[122:123] neg_lo:[0,1] neg_hi:[0,1]
	scratch_store_b64 off, v[122:123], off offset:264
	s_wait_xcnt 0x0
	v_cmpx_lt_u32_e32 32, v0
	s_cbranch_execz .LBB59_309
; %bb.308:
	scratch_load_b64 v[122:123], off, off offset:256
	v_mov_b64_e32 v[124:125], 0
	scratch_store_b64 off, v[124:125], off offset:256
	s_wait_loadcnt 0x0
	ds_store_b64 v1, v[122:123]
.LBB59_309:
	s_wait_xcnt 0x0
	s_or_b32 exec_lo, exec_lo, s0
	s_wait_storecnt_dscnt 0x0
	s_barrier_signal -1
	s_barrier_wait -1
	s_clause 0xe
	scratch_load_b128 v[122:125], off, off offset:264
	scratch_load_b128 v[126:129], off, off offset:280
	;; [unrolled: 1-line block ×13, first 2 shown]
	scratch_load_b64 v[226:227], off, off offset:472
	scratch_load_b64 v[228:229], off, off offset:256
	v_mov_b32_e32 v7, 0
	ds_load_2addr_b64 v[174:177], v7 offset0:111 offset1:112
	ds_load_2addr_b64 v[178:181], v7 offset0:113 offset1:114
	;; [unrolled: 1-line block ×13, first 2 shown]
	ds_load_b64 v[230:231], v7 offset:952
	s_mov_b32 s0, exec_lo
	s_wait_dscnt 0xd
	v_dual_mov_b32 v232, v177 :: v_dual_mov_b32 v233, v176
	s_wait_dscnt 0xa
	v_dual_mov_b32 v234, v181 :: v_dual_mov_b32 v239, v188
	v_dual_mov_b32 v235, v180 :: v_dual_mov_b32 v236, v185
	;; [unrolled: 1-line block ×3, first 2 shown]
	s_wait_loadcnt_dscnt 0xe09
	v_dual_mul_f32 v9, v190, v123 :: v_dual_mul_f32 v43, v191, v123
	v_dual_mul_f32 v45, v193, v125 :: v_dual_mul_f32 v11, v192, v125
	s_wait_loadcnt_dscnt 0xd08
	v_mul_f32_e32 v13, v194, v127
	s_wait_loadcnt_dscnt 0xb05
	v_dual_mul_f32 v55, v207, v135 :: v_dual_fma_f32 v43, v190, v122, -v43
	v_dual_fmac_f32 v9, v191, v122 :: v_dual_mul_f32 v57, v209, v137
	v_dual_mul_f32 v47, v195, v127 :: v_dual_mul_f32 v49, v197, v129
	v_dual_fmac_f32 v11, v193, v124 :: v_dual_fma_f32 v45, v192, v124, -v45
	s_delay_alu instid0(VALU_DEP_3) | instskip(SKIP_3) | instid1(VALU_DEP_3)
	v_dual_add_f32 v9, 0, v9 :: v_dual_add_f32 v43, 0, v43
	v_dual_mul_f32 v15, v196, v129 :: v_dual_mul_f32 v17, v198, v131
	s_wait_loadcnt_dscnt 0xa04
	v_dual_mul_f32 v59, v211, v139 :: v_dual_fma_f32 v47, v194, v126, -v47
	v_dual_fmac_f32 v13, v195, v126 :: v_dual_add_f32 v9, v9, v11
	s_delay_alu instid0(VALU_DEP_3) | instskip(SKIP_2) | instid1(VALU_DEP_3)
	v_dual_add_f32 v11, v43, v45 :: v_dual_fmac_f32 v15, v197, v128
	v_dual_mul_f32 v51, v199, v131 :: v_dual_mul_f32 v53, v201, v133
	v_dual_mul_f32 v43, v213, v141 :: v_dual_fma_f32 v45, v196, v128, -v49
	v_dual_add_f32 v9, v9, v13 :: v_dual_add_f32 v11, v11, v47
	v_dual_mul_f32 v19, v200, v133 :: v_dual_mul_f32 v21, v206, v135
	s_wait_loadcnt_dscnt 0x903
	v_dual_mul_f32 v13, v215, v143 :: v_dual_fma_f32 v47, v198, v130, -v51
	s_delay_alu instid0(VALU_DEP_3) | instskip(NEXT) | instid1(VALU_DEP_3)
	v_dual_fmac_f32 v17, v199, v130 :: v_dual_add_f32 v9, v9, v15
	v_dual_add_f32 v11, v11, v45 :: v_dual_fmac_f32 v19, v201, v132
	v_dual_mul_f32 v15, v217, v145 :: v_dual_fma_f32 v45, v200, v132, -v53
	s_delay_alu instid0(VALU_DEP_2) | instskip(SKIP_3) | instid1(VALU_DEP_3)
	v_dual_add_f32 v9, v9, v17 :: v_dual_add_f32 v11, v11, v47
	v_dual_mul_f32 v23, v208, v137 :: v_dual_mul_f32 v25, v210, v139
	s_wait_loadcnt_dscnt 0x802
	v_dual_mul_f32 v17, v219, v147 :: v_dual_fma_f32 v47, v206, v134, -v55
	v_dual_fmac_f32 v21, v207, v134 :: v_dual_add_f32 v9, v9, v19
	s_delay_alu instid0(VALU_DEP_3) | instskip(SKIP_1) | instid1(VALU_DEP_2)
	v_dual_add_f32 v11, v11, v45 :: v_dual_fmac_f32 v23, v209, v136
	v_dual_mul_f32 v19, v221, v149 :: v_dual_fma_f32 v45, v208, v136, -v57
	v_dual_add_f32 v9, v9, v21 :: v_dual_add_f32 v11, v11, v47
	v_dual_mul_f32 v27, v212, v141 :: v_dual_mul_f32 v29, v214, v143
	s_wait_loadcnt_dscnt 0x701
	v_dual_mul_f32 v21, v223, v151 :: v_dual_fma_f32 v47, v210, v138, -v59
	s_delay_alu instid0(VALU_DEP_3) | instskip(NEXT) | instid1(VALU_DEP_3)
	v_dual_fmac_f32 v25, v211, v138 :: v_dual_add_f32 v9, v9, v23
	v_dual_add_f32 v11, v11, v45 :: v_dual_fmac_f32 v27, v213, v140
	v_dual_mul_f32 v23, v225, v153 :: v_dual_fma_f32 v43, v212, v140, -v43
	s_delay_alu instid0(VALU_DEP_2) | instskip(SKIP_3) | instid1(VALU_DEP_3)
	v_dual_add_f32 v9, v9, v25 :: v_dual_add_f32 v11, v11, v47
	v_dual_mul_f32 v31, v216, v145 :: v_dual_mul_f32 v33, v218, v147
	s_wait_loadcnt 0x6
	v_dual_mul_f32 v25, v203, v155 :: v_dual_fma_f32 v13, v214, v142, -v13
	v_dual_fmac_f32 v29, v215, v142 :: v_dual_add_f32 v9, v9, v27
	v_dual_add_f32 v11, v11, v43 :: v_dual_mul_f32 v27, v205, v157
	v_fmac_f32_e32 v31, v217, v144
	s_delay_alu instid0(VALU_DEP_3) | instskip(NEXT) | instid1(VALU_DEP_3)
	v_dual_fma_f32 v15, v216, v144, -v15 :: v_dual_add_f32 v9, v9, v29
	v_add_f32_e32 v11, v11, v13
	v_dual_mul_f32 v35, v220, v149 :: v_dual_mul_f32 v37, v222, v151
	s_wait_loadcnt 0x5
	v_dual_mul_f32 v13, v175, v159 :: v_dual_fma_f32 v17, v218, v146, -v17
	v_dual_fmac_f32 v33, v219, v146 :: v_dual_add_f32 v9, v9, v31
	v_dual_add_f32 v11, v11, v15 :: v_dual_mov_b32 v122, v161
	v_fmac_f32_e32 v35, v221, v148
	s_delay_alu instid0(VALU_DEP_3) | instskip(NEXT) | instid1(VALU_DEP_3)
	v_dual_fma_f32 v15, v220, v148, -v19 :: v_dual_add_f32 v9, v9, v33
	v_add_f32_e32 v11, v11, v17
	v_dual_mul_f32 v39, v224, v153 :: v_dual_mul_f32 v41, v202, v155
	s_delay_alu instid0(VALU_DEP_3) | instskip(NEXT) | instid1(VALU_DEP_3)
	v_dual_fmac_f32 v37, v223, v150 :: v_dual_add_f32 v9, v9, v35
	v_dual_fma_f32 v17, v222, v150, -v21 :: v_dual_add_f32 v11, v11, v15
	s_wait_loadcnt 0x4
	v_dual_mov_b32 v126, v165 :: v_dual_fma_f32 v15, v224, v152, -v23
	v_fmac_f32_e32 v39, v225, v152
	v_dual_add_f32 v9, v9, v37 :: v_dual_fmac_f32 v41, v203, v154
	v_add_f32_e32 v11, v11, v17
	v_dual_mul_f32 v241, v204, v157 :: v_dual_mul_f32 v243, v174, v159
	s_delay_alu instid0(VALU_DEP_3) | instskip(NEXT) | instid1(VALU_DEP_2)
	v_dual_fma_f32 v17, v202, v154, -v25 :: v_dual_add_f32 v9, v9, v39
	v_dual_add_f32 v11, v11, v15 :: v_dual_fmac_f32 v241, v205, v156
	v_fma_f32 v240, v204, v156, -v27
	v_pk_mul_f32 v[122:123], v[232:233], v[122:123] op_sel_hi:[1,0]
	s_delay_alu instid0(VALU_DEP_4)
	v_add_f32_e32 v131, v9, v41
	s_wait_loadcnt 0x3
	v_dual_add_f32 v130, v11, v17 :: v_dual_mov_b32 v132, v169
	v_pk_mul_f32 v[124:125], v[178:179], v[162:163] op_sel:[1,1] op_sel_hi:[0,1]
	v_dual_fmac_f32 v243, v175, v158 :: v_dual_fma_f32 v242, v174, v158, -v13
	v_pk_fma_f32 v[134:135], v[176:177], v[160:161], v[122:123] op_sel_hi:[1,0,1]
	s_delay_alu instid0(VALU_DEP_4)
	v_pk_add_f32 v[130:131], v[130:131], v[240:241]
	v_pk_fma_f32 v[122:123], v[176:177], v[160:161], v[122:123] neg_lo:[0,0,1] neg_hi:[0,0,1]
	v_pk_fma_f32 v[136:137], v[178:179], v[162:163], v[124:125] op_sel_hi:[1,0,1]
	v_pk_mul_f32 v[126:127], v[234:235], v[126:127] op_sel_hi:[1,0]
	v_mov_b32_e32 v123, v135
	v_pk_add_f32 v[130:131], v[130:131], v[242:243]
	v_pk_fma_f32 v[124:125], v[178:179], v[162:163], v[124:125] neg_lo:[0,0,1] neg_hi:[0,0,1]
	v_pk_mul_f32 v[128:129], v[182:183], v[166:167] op_sel:[1,1] op_sel_hi:[0,1]
	v_mov_b32_e32 v125, v137
	v_pk_fma_f32 v[136:137], v[180:181], v[164:165], v[126:127] op_sel_hi:[1,0,1]
	v_pk_add_f32 v[122:123], v[130:131], v[122:123]
	v_pk_fma_f32 v[126:127], v[180:181], v[164:165], v[126:127] neg_lo:[0,0,1] neg_hi:[0,0,1]
	v_pk_fma_f32 v[130:131], v[182:183], v[166:167], v[128:129] op_sel_hi:[1,0,1]
	v_pk_mul_f32 v[132:133], v[236:237], v[132:133] op_sel_hi:[1,0]
	v_mov_b32_e32 v127, v137
	v_pk_add_f32 v[122:123], v[122:123], v[124:125]
	v_pk_fma_f32 v[128:129], v[182:183], v[166:167], v[128:129] neg_lo:[0,0,1] neg_hi:[0,0,1]
	s_wait_loadcnt 0x2
	v_pk_mul_f32 v[134:135], v[186:187], v[170:171] op_sel:[1,1] op_sel_hi:[0,1]
	v_dual_mov_b32 v124, v173 :: v_dual_mov_b32 v129, v131
	v_pk_fma_f32 v[130:131], v[184:185], v[168:169], v[132:133] op_sel_hi:[1,0,1]
	v_pk_add_f32 v[122:123], v[122:123], v[126:127]
	v_pk_fma_f32 v[132:133], v[184:185], v[168:169], v[132:133] neg_lo:[0,0,1] neg_hi:[0,0,1]
	v_pk_fma_f32 v[126:127], v[186:187], v[170:171], v[134:135] op_sel_hi:[1,0,1]
	v_pk_mul_f32 v[124:125], v[238:239], v[124:125] op_sel_hi:[1,0]
	v_mov_b32_e32 v133, v131
	v_pk_add_f32 v[122:123], v[122:123], v[128:129]
	v_pk_fma_f32 v[128:129], v[186:187], v[170:171], v[134:135] neg_lo:[0,0,1] neg_hi:[0,0,1]
	v_mov_b32_e32 v129, v127
	v_pk_fma_f32 v[126:127], v[188:189], v[172:173], v[124:125] op_sel_hi:[1,0,1]
	s_wait_loadcnt_dscnt 0x100
	v_pk_mul_f32 v[130:131], v[230:231], v[226:227] op_sel:[1,1] op_sel_hi:[0,1]
	v_pk_add_f32 v[122:123], v[122:123], v[132:133]
	v_pk_fma_f32 v[124:125], v[188:189], v[172:173], v[124:125] neg_lo:[0,0,1] neg_hi:[0,0,1]
	v_mov_b32_e32 v125, v127
	s_delay_alu instid0(VALU_DEP_4) | instskip(NEXT) | instid1(VALU_DEP_4)
	v_pk_fma_f32 v[126:127], v[230:231], v[226:227], v[130:131] op_sel_hi:[1,0,1]
	v_pk_add_f32 v[122:123], v[122:123], v[128:129]
	v_pk_fma_f32 v[128:129], v[230:231], v[226:227], v[130:131] neg_lo:[0,0,1] neg_hi:[0,0,1]
	s_delay_alu instid0(VALU_DEP_3) | instskip(NEXT) | instid1(VALU_DEP_3)
	v_mov_b32_e32 v129, v127
	v_pk_add_f32 v[122:123], v[122:123], v[124:125]
	s_delay_alu instid0(VALU_DEP_1) | instskip(SKIP_1) | instid1(VALU_DEP_1)
	v_pk_add_f32 v[122:123], v[122:123], v[128:129]
	s_wait_loadcnt 0x0
	v_pk_add_f32 v[122:123], v[228:229], v[122:123] neg_lo:[0,1] neg_hi:[0,1]
	scratch_store_b64 off, v[122:123], off offset:256
	s_wait_xcnt 0x0
	v_cmpx_lt_u32_e32 31, v0
	s_cbranch_execz .LBB59_311
; %bb.310:
	scratch_load_b64 v[122:123], off, off offset:248
	v_mov_b64_e32 v[124:125], 0
	scratch_store_b64 off, v[124:125], off offset:248
	s_wait_loadcnt 0x0
	ds_store_b64 v1, v[122:123]
.LBB59_311:
	s_wait_xcnt 0x0
	s_or_b32 exec_lo, exec_lo, s0
	s_wait_storecnt_dscnt 0x0
	s_barrier_signal -1
	s_barrier_wait -1
	s_clause 0xe
	scratch_load_b128 v[122:125], off, off offset:256
	scratch_load_b128 v[126:129], off, off offset:272
	;; [unrolled: 1-line block ×14, first 2 shown]
	scratch_load_b64 v[234:235], off, off offset:248
	ds_load_b128 v[178:181], v7 offset:896
	ds_load_b128 v[182:185], v7 offset:912
	;; [unrolled: 1-line block ×14, first 2 shown]
	s_mov_b32 s0, exec_lo
	s_wait_dscnt 0xd
	v_dual_mov_b32 v236, v181 :: v_dual_mov_b32 v237, v180
	s_wait_dscnt 0xc
	v_dual_mov_b32 v238, v185 :: v_dual_mov_b32 v239, v184
	;; [unrolled: 2-line block ×4, first 2 shown]
	s_wait_loadcnt_dscnt 0xe09
	v_dual_mul_f32 v7, v194, v123 :: v_dual_mul_f32 v9, v196, v125
	v_dual_mul_f32 v43, v195, v123 :: v_dual_mul_f32 v45, v197, v125
	s_wait_loadcnt_dscnt 0xd08
	v_dual_mul_f32 v11, v198, v127 :: v_dual_mul_f32 v13, v200, v129
	s_delay_alu instid0(VALU_DEP_3) | instskip(SKIP_3) | instid1(VALU_DEP_3)
	v_dual_fmac_f32 v7, v195, v122 :: v_dual_fmac_f32 v9, v197, v124
	s_wait_loadcnt_dscnt 0xb06
	v_dual_fma_f32 v43, v194, v122, -v43 :: v_dual_mul_f32 v55, v207, v135
	v_dual_mul_f32 v47, v199, v127 :: v_dual_mul_f32 v49, v201, v129
	v_dual_fma_f32 v45, v196, v124, -v45 :: v_dual_add_f32 v7, 0, v7
	s_delay_alu instid0(VALU_DEP_3) | instskip(SKIP_1) | instid1(VALU_DEP_3)
	v_dual_add_f32 v43, 0, v43 :: v_dual_mul_f32 v57, v209, v137
	v_dual_fmac_f32 v11, v199, v126 :: v_dual_fmac_f32 v13, v201, v128
	v_dual_fma_f32 v47, v198, v126, -v47 :: v_dual_add_f32 v7, v7, v9
	s_delay_alu instid0(VALU_DEP_3) | instskip(SKIP_2) | instid1(VALU_DEP_4)
	v_dual_add_f32 v9, v43, v45 :: v_dual_fma_f32 v45, v200, v128, -v49
	v_dual_mul_f32 v15, v202, v131 :: v_dual_mul_f32 v17, v204, v133
	v_dual_mul_f32 v51, v203, v131 :: v_dual_mul_f32 v53, v205, v133
	v_add_f32_e32 v7, v7, v11
	s_delay_alu instid0(VALU_DEP_3) | instskip(NEXT) | instid1(VALU_DEP_3)
	v_dual_add_f32 v9, v9, v47 :: v_dual_fmac_f32 v15, v203, v130
	v_fma_f32 v47, v202, v130, -v51
	v_dual_mul_f32 v19, v206, v135 :: v_dual_mul_f32 v21, v208, v137
	s_delay_alu instid0(VALU_DEP_4) | instskip(SKIP_2) | instid1(VALU_DEP_2)
	v_dual_add_f32 v7, v7, v13 :: v_dual_fmac_f32 v17, v205, v132
	s_wait_loadcnt_dscnt 0x904
	v_dual_add_f32 v9, v9, v45 :: v_dual_mul_f32 v13, v215, v143
	v_dual_fma_f32 v45, v204, v132, -v53 :: v_dual_add_f32 v7, v7, v15
	v_mul_f32_e32 v15, v217, v145
	s_delay_alu instid0(VALU_DEP_3) | instskip(NEXT) | instid1(VALU_DEP_3)
	v_dual_add_f32 v9, v9, v47 :: v_dual_fmac_f32 v19, v207, v134
	v_dual_fma_f32 v47, v206, v134, -v55 :: v_dual_add_f32 v7, v7, v17
	v_fmac_f32_e32 v21, v209, v136
	s_wait_loadcnt_dscnt 0x803
	s_delay_alu instid0(VALU_DEP_3) | instskip(SKIP_3) | instid1(VALU_DEP_3)
	v_dual_add_f32 v9, v9, v45 :: v_dual_mul_f32 v17, v219, v147
	v_dual_mul_f32 v23, v210, v139 :: v_dual_mul_f32 v25, v212, v141
	v_dual_mul_f32 v43, v211, v139 :: v_dual_mul_f32 v11, v213, v141
	v_dual_fma_f32 v45, v208, v136, -v57 :: v_dual_add_f32 v7, v7, v19
	v_dual_add_f32 v9, v9, v47 :: v_dual_fmac_f32 v23, v211, v138
	s_delay_alu instid0(VALU_DEP_3) | instskip(NEXT) | instid1(VALU_DEP_3)
	v_dual_mul_f32 v19, v221, v149 :: v_dual_fma_f32 v43, v210, v138, -v43
	v_dual_add_f32 v7, v7, v21 :: v_dual_fmac_f32 v25, v213, v140
	s_wait_loadcnt_dscnt 0x702
	s_delay_alu instid0(VALU_DEP_3) | instskip(SKIP_1) | instid1(VALU_DEP_3)
	v_dual_add_f32 v9, v9, v45 :: v_dual_mul_f32 v21, v223, v151
	v_dual_mul_f32 v27, v214, v143 :: v_dual_mul_f32 v29, v216, v145
	v_dual_fma_f32 v11, v212, v140, -v11 :: v_dual_add_f32 v7, v7, v23
	s_delay_alu instid0(VALU_DEP_2) | instskip(SKIP_1) | instid1(VALU_DEP_2)
	v_dual_add_f32 v9, v9, v43 :: v_dual_fmac_f32 v27, v215, v142
	v_dual_mul_f32 v23, v225, v153 :: v_dual_fma_f32 v13, v214, v142, -v13
	v_dual_add_f32 v7, v7, v25 :: v_dual_add_f32 v9, v9, v11
	v_dual_mul_f32 v31, v218, v147 :: v_dual_mul_f32 v33, v220, v149
	s_wait_loadcnt_dscnt 0x601
	v_dual_mul_f32 v11, v227, v155 :: v_dual_fmac_f32 v29, v217, v144
	s_delay_alu instid0(VALU_DEP_3) | instskip(NEXT) | instid1(VALU_DEP_3)
	v_dual_fma_f32 v15, v216, v144, -v15 :: v_dual_add_f32 v7, v7, v27
	v_dual_add_f32 v9, v9, v13 :: v_dual_fmac_f32 v31, v219, v146
	v_dual_mul_f32 v13, v229, v157 :: v_dual_fma_f32 v17, v218, v146, -v17
	s_delay_alu instid0(VALU_DEP_2) | instskip(SKIP_3) | instid1(VALU_DEP_3)
	v_dual_add_f32 v7, v7, v29 :: v_dual_add_f32 v9, v9, v15
	v_dual_mul_f32 v35, v222, v151 :: v_dual_mul_f32 v37, v224, v153
	s_wait_loadcnt_dscnt 0x500
	v_dual_mul_f32 v15, v231, v159 :: v_dual_fmac_f32 v33, v221, v148
	v_dual_fma_f32 v19, v220, v148, -v19 :: v_dual_add_f32 v7, v7, v31
	s_delay_alu instid0(VALU_DEP_3) | instskip(SKIP_1) | instid1(VALU_DEP_2)
	v_dual_add_f32 v9, v9, v17 :: v_dual_fmac_f32 v35, v223, v150
	v_dual_mul_f32 v17, v233, v161 :: v_dual_fma_f32 v21, v222, v150, -v21
	v_dual_add_f32 v7, v7, v33 :: v_dual_add_f32 v9, v9, v19
	v_dual_mul_f32 v39, v226, v155 :: v_dual_mul_f32 v41, v228, v157
	v_dual_fmac_f32 v37, v225, v152 :: v_dual_fma_f32 v19, v224, v152, -v23
	s_delay_alu instid0(VALU_DEP_3) | instskip(SKIP_1) | instid1(VALU_DEP_3)
	v_dual_add_f32 v7, v7, v35 :: v_dual_add_f32 v9, v9, v21
	s_wait_loadcnt 0x4
	v_dual_mov_b32 v124, v165 :: v_dual_fmac_f32 v39, v227, v154
	s_delay_alu instid0(VALU_DEP_2) | instskip(NEXT) | instid1(VALU_DEP_3)
	v_dual_fma_f32 v11, v226, v154, -v11 :: v_dual_add_f32 v7, v7, v37
	v_dual_add_f32 v9, v9, v19 :: v_dual_fma_f32 v13, v228, v156, -v13
	v_dual_mul_f32 v245, v230, v159 :: v_dual_mul_f32 v247, v232, v161
	s_delay_alu instid0(VALU_DEP_3) | instskip(NEXT) | instid1(VALU_DEP_2)
	v_dual_fmac_f32 v41, v229, v156 :: v_dual_add_f32 v7, v7, v39
	v_dual_add_f32 v9, v9, v11 :: v_dual_fmac_f32 v245, v231, v158
	v_pk_mul_f32 v[122:123], v[178:179], v[162:163] op_sel:[1,1] op_sel_hi:[0,1]
	s_wait_loadcnt 0x3
	v_dual_mov_b32 v128, v169 :: v_dual_fma_f32 v244, v230, v158, -v15
	v_dual_add_f32 v131, v7, v41 :: v_dual_fmac_f32 v247, v233, v160
	v_dual_add_f32 v130, v9, v13 :: v_dual_fma_f32 v246, v232, v160, -v17
	v_pk_fma_f32 v[132:133], v[178:179], v[162:163], v[122:123] op_sel_hi:[1,0,1]
	v_pk_mul_f32 v[124:125], v[236:237], v[124:125] op_sel_hi:[1,0]
	v_pk_fma_f32 v[122:123], v[178:179], v[162:163], v[122:123] neg_lo:[0,0,1] neg_hi:[0,0,1]
	s_delay_alu instid0(VALU_DEP_4)
	v_pk_add_f32 v[130:131], v[130:131], v[244:245]
	v_pk_mul_f32 v[126:127], v[182:183], v[166:167] op_sel:[1,1] op_sel_hi:[0,1]
	v_mov_b32_e32 v123, v133
	v_pk_fma_f32 v[132:133], v[180:181], v[164:165], v[124:125] op_sel_hi:[1,0,1]
	v_pk_fma_f32 v[124:125], v[180:181], v[164:165], v[124:125] neg_lo:[0,0,1] neg_hi:[0,0,1]
	v_pk_add_f32 v[130:131], v[130:131], v[246:247]
	v_pk_fma_f32 v[136:137], v[182:183], v[166:167], v[126:127] op_sel_hi:[1,0,1]
	v_pk_mul_f32 v[128:129], v[238:239], v[128:129] op_sel_hi:[1,0]
	v_mov_b32_e32 v125, v133
	s_wait_loadcnt 0x2
	v_pk_mul_f32 v[134:135], v[186:187], v[170:171] op_sel:[1,1] op_sel_hi:[0,1]
	v_pk_add_f32 v[122:123], v[130:131], v[122:123]
	v_mov_b32_e32 v130, v173
	v_pk_fma_f32 v[126:127], v[182:183], v[166:167], v[126:127] neg_lo:[0,0,1] neg_hi:[0,0,1]
	v_mov_b32_e32 v127, v137
	v_pk_fma_f32 v[132:133], v[184:185], v[168:169], v[128:129] op_sel_hi:[1,0,1]
	v_pk_add_f32 v[122:123], v[122:123], v[124:125]
	v_pk_fma_f32 v[124:125], v[186:187], v[170:171], v[134:135] op_sel_hi:[1,0,1]
	v_pk_mul_f32 v[130:131], v[240:241], v[130:131] op_sel_hi:[1,0]
	v_pk_fma_f32 v[128:129], v[184:185], v[168:169], v[128:129] neg_lo:[0,0,1] neg_hi:[0,0,1]
	v_mov_b32_e32 v129, v133
	v_pk_add_f32 v[122:123], v[122:123], v[126:127]
	v_pk_fma_f32 v[132:133], v[186:187], v[170:171], v[134:135] neg_lo:[0,0,1] neg_hi:[0,0,1]
	v_mov_b32_e32 v133, v125
	v_pk_fma_f32 v[124:125], v[188:189], v[172:173], v[130:131] op_sel_hi:[1,0,1]
	s_wait_loadcnt 0x1
	v_pk_mul_f32 v[126:127], v[190:191], v[174:175] op_sel:[1,1] op_sel_hi:[0,1]
	v_pk_add_f32 v[122:123], v[122:123], v[128:129]
	v_mov_b32_e32 v124, v177
	v_pk_fma_f32 v[130:131], v[188:189], v[172:173], v[130:131] neg_lo:[0,0,1] neg_hi:[0,0,1]
	v_mov_b32_e32 v131, v125
	v_pk_fma_f32 v[128:129], v[190:191], v[174:175], v[126:127] op_sel_hi:[1,0,1]
	v_pk_add_f32 v[122:123], v[122:123], v[132:133]
	v_pk_mul_f32 v[124:125], v[242:243], v[124:125] op_sel_hi:[1,0]
	v_pk_fma_f32 v[126:127], v[190:191], v[174:175], v[126:127] neg_lo:[0,0,1] neg_hi:[0,0,1]
	s_delay_alu instid0(VALU_DEP_4) | instskip(NEXT) | instid1(VALU_DEP_4)
	v_mov_b32_e32 v127, v129
	v_pk_add_f32 v[122:123], v[122:123], v[130:131]
	s_delay_alu instid0(VALU_DEP_4) | instskip(SKIP_1) | instid1(VALU_DEP_2)
	v_pk_fma_f32 v[128:129], v[192:193], v[176:177], v[124:125] op_sel_hi:[1,0,1]
	v_pk_fma_f32 v[124:125], v[192:193], v[176:177], v[124:125] neg_lo:[0,0,1] neg_hi:[0,0,1]
	v_mov_b32_e32 v125, v129
	s_delay_alu instid0(VALU_DEP_4) | instskip(NEXT) | instid1(VALU_DEP_1)
	v_pk_add_f32 v[122:123], v[122:123], v[126:127]
	v_pk_add_f32 v[122:123], v[122:123], v[124:125]
	s_wait_loadcnt 0x0
	s_delay_alu instid0(VALU_DEP_1)
	v_pk_add_f32 v[122:123], v[234:235], v[122:123] neg_lo:[0,1] neg_hi:[0,1]
	scratch_store_b64 off, v[122:123], off offset:248
	s_wait_xcnt 0x0
	v_cmpx_lt_u32_e32 30, v0
	s_cbranch_execz .LBB59_313
; %bb.312:
	scratch_load_b64 v[122:123], off, off offset:240
	v_mov_b64_e32 v[124:125], 0
	scratch_store_b64 off, v[124:125], off offset:240
	s_wait_loadcnt 0x0
	ds_store_b64 v1, v[122:123]
.LBB59_313:
	s_wait_xcnt 0x0
	s_or_b32 exec_lo, exec_lo, s0
	s_wait_storecnt_dscnt 0x0
	s_barrier_signal -1
	s_barrier_wait -1
	s_clause 0xf
	scratch_load_b128 v[122:125], off, off offset:248
	scratch_load_b128 v[126:129], off, off offset:264
	;; [unrolled: 1-line block ×14, first 2 shown]
	scratch_load_b64 v[234:235], off, off offset:472
	scratch_load_b64 v[236:237], off, off offset:240
	v_mov_b32_e32 v7, 0
	ds_load_2addr_b64 v[178:181], v7 offset0:111 offset1:112
	ds_load_2addr_b64 v[182:185], v7 offset0:113 offset1:114
	;; [unrolled: 1-line block ×14, first 2 shown]
	ds_load_b64 v[238:239], v7 offset:952
	s_mov_b32 s0, exec_lo
	s_wait_dscnt 0xe
	v_dual_mov_b32 v240, v181 :: v_dual_mov_b32 v241, v180
	s_wait_dscnt 0xb
	v_dual_mov_b32 v242, v185 :: v_dual_mov_b32 v247, v192
	v_dual_mov_b32 v243, v184 :: v_dual_mov_b32 v244, v189
	;; [unrolled: 1-line block ×3, first 2 shown]
	s_wait_loadcnt_dscnt 0xf0a
	v_dual_mul_f32 v9, v194, v123 :: v_dual_mul_f32 v47, v195, v123
	v_dual_mul_f32 v49, v197, v125 :: v_dual_mul_f32 v11, v196, v125
	s_wait_loadcnt_dscnt 0xe09
	v_mul_f32_e32 v13, v198, v127
	s_wait_loadcnt_dscnt 0xc07
	v_dual_mul_f32 v59, v207, v135 :: v_dual_fma_f32 v47, v194, v122, -v47
	v_dual_fmac_f32 v9, v195, v122 :: v_dual_mul_f32 v61, v209, v137
	v_dual_mul_f32 v51, v199, v127 :: v_dual_mul_f32 v53, v201, v129
	v_dual_fmac_f32 v11, v197, v124 :: v_dual_fma_f32 v49, v196, v124, -v49
	s_delay_alu instid0(VALU_DEP_3) | instskip(SKIP_3) | instid1(VALU_DEP_3)
	v_dual_add_f32 v9, 0, v9 :: v_dual_add_f32 v47, 0, v47
	v_dual_mul_f32 v15, v200, v129 :: v_dual_mul_f32 v17, v202, v131
	s_wait_loadcnt_dscnt 0xb06
	v_dual_mul_f32 v63, v211, v139 :: v_dual_fma_f32 v51, v198, v126, -v51
	v_dual_fmac_f32 v13, v199, v126 :: v_dual_add_f32 v9, v9, v11
	s_delay_alu instid0(VALU_DEP_3) | instskip(SKIP_2) | instid1(VALU_DEP_3)
	v_dual_add_f32 v11, v47, v49 :: v_dual_fmac_f32 v15, v201, v128
	v_dual_mul_f32 v55, v203, v131 :: v_dual_mul_f32 v57, v205, v133
	v_dual_mul_f32 v47, v213, v141 :: v_dual_fma_f32 v49, v200, v128, -v53
	v_dual_add_f32 v9, v9, v13 :: v_dual_add_f32 v11, v11, v51
	v_dual_mul_f32 v19, v204, v133 :: v_dual_mul_f32 v21, v206, v135
	s_wait_loadcnt_dscnt 0xa05
	v_dual_mul_f32 v13, v215, v143 :: v_dual_fma_f32 v51, v202, v130, -v55
	s_delay_alu instid0(VALU_DEP_3) | instskip(NEXT) | instid1(VALU_DEP_3)
	v_dual_fmac_f32 v17, v203, v130 :: v_dual_add_f32 v9, v9, v15
	v_dual_add_f32 v11, v11, v49 :: v_dual_fmac_f32 v19, v205, v132
	v_dual_mul_f32 v15, v217, v145 :: v_dual_fma_f32 v49, v204, v132, -v57
	s_delay_alu instid0(VALU_DEP_2) | instskip(SKIP_3) | instid1(VALU_DEP_3)
	v_dual_add_f32 v9, v9, v17 :: v_dual_add_f32 v11, v11, v51
	v_dual_mul_f32 v23, v208, v137 :: v_dual_mul_f32 v25, v210, v139
	s_wait_loadcnt_dscnt 0x904
	v_dual_mul_f32 v17, v219, v147 :: v_dual_fma_f32 v51, v206, v134, -v59
	v_dual_fmac_f32 v21, v207, v134 :: v_dual_add_f32 v9, v9, v19
	s_delay_alu instid0(VALU_DEP_3) | instskip(SKIP_1) | instid1(VALU_DEP_2)
	v_dual_add_f32 v11, v11, v49 :: v_dual_fmac_f32 v23, v209, v136
	v_dual_mul_f32 v19, v221, v149 :: v_dual_fma_f32 v49, v208, v136, -v61
	v_dual_add_f32 v9, v9, v21 :: v_dual_add_f32 v11, v11, v51
	v_dual_mul_f32 v27, v212, v141 :: v_dual_mul_f32 v29, v214, v143
	s_wait_loadcnt_dscnt 0x803
	v_dual_mul_f32 v21, v223, v151 :: v_dual_fma_f32 v51, v210, v138, -v63
	s_delay_alu instid0(VALU_DEP_3) | instskip(NEXT) | instid1(VALU_DEP_3)
	v_dual_fmac_f32 v25, v211, v138 :: v_dual_add_f32 v9, v9, v23
	v_dual_add_f32 v11, v11, v49 :: v_dual_fmac_f32 v27, v213, v140
	v_dual_mul_f32 v23, v225, v153 :: v_dual_fma_f32 v47, v212, v140, -v47
	s_delay_alu instid0(VALU_DEP_2) | instskip(SKIP_3) | instid1(VALU_DEP_3)
	v_dual_add_f32 v9, v9, v25 :: v_dual_add_f32 v11, v11, v51
	v_dual_mul_f32 v31, v216, v145 :: v_dual_mul_f32 v33, v218, v147
	s_wait_loadcnt_dscnt 0x702
	v_dual_mul_f32 v25, v227, v155 :: v_dual_fma_f32 v13, v214, v142, -v13
	v_dual_fmac_f32 v29, v215, v142 :: v_dual_add_f32 v9, v9, v27
	v_dual_add_f32 v11, v11, v47 :: v_dual_mul_f32 v27, v229, v157
	v_fmac_f32_e32 v31, v217, v144
	s_delay_alu instid0(VALU_DEP_3) | instskip(NEXT) | instid1(VALU_DEP_3)
	v_dual_fma_f32 v15, v216, v144, -v15 :: v_dual_add_f32 v9, v9, v29
	v_add_f32_e32 v11, v11, v13
	v_dual_mul_f32 v35, v220, v149 :: v_dual_mul_f32 v37, v222, v151
	s_wait_loadcnt_dscnt 0x601
	v_dual_mul_f32 v13, v231, v159 :: v_dual_fma_f32 v17, v218, v146, -v17
	v_dual_fmac_f32 v33, v219, v146 :: v_dual_add_f32 v9, v9, v31
	v_dual_add_f32 v11, v11, v15 :: v_dual_mul_f32 v15, v233, v161
	v_fmac_f32_e32 v35, v221, v148
	s_delay_alu instid0(VALU_DEP_3) | instskip(NEXT) | instid1(VALU_DEP_3)
	v_dual_fma_f32 v19, v220, v148, -v19 :: v_dual_add_f32 v9, v9, v33
	v_add_f32_e32 v11, v11, v17
	v_dual_mul_f32 v39, v224, v153 :: v_dual_mul_f32 v41, v226, v155
	s_wait_loadcnt 0x5
	v_dual_mul_f32 v17, v179, v163 :: v_dual_fma_f32 v21, v222, v150, -v21
	v_dual_fmac_f32 v37, v223, v150 :: v_dual_add_f32 v9, v9, v35
	v_dual_add_f32 v11, v11, v19 :: v_dual_mov_b32 v122, v165
	v_fmac_f32_e32 v39, v225, v152
	s_delay_alu instid0(VALU_DEP_3) | instskip(NEXT) | instid1(VALU_DEP_3)
	v_dual_fma_f32 v19, v224, v152, -v23 :: v_dual_add_f32 v9, v9, v37
	v_add_f32_e32 v11, v11, v21
	v_dual_mul_f32 v43, v228, v157 :: v_dual_mul_f32 v45, v230, v159
	s_delay_alu instid0(VALU_DEP_3) | instskip(NEXT) | instid1(VALU_DEP_3)
	v_dual_fmac_f32 v41, v227, v154 :: v_dual_add_f32 v9, v9, v39
	v_dual_fma_f32 v21, v226, v154, -v25 :: v_dual_add_f32 v11, v11, v19
	s_wait_loadcnt 0x4
	v_dual_mov_b32 v126, v169 :: v_dual_fma_f32 v19, v228, v156, -v27
	v_fmac_f32_e32 v43, v229, v156
	v_dual_add_f32 v9, v9, v41 :: v_dual_fmac_f32 v45, v231, v158
	v_add_f32_e32 v11, v11, v21
	v_dual_mul_f32 v249, v232, v161 :: v_dual_mul_f32 v251, v178, v163
	s_delay_alu instid0(VALU_DEP_3) | instskip(NEXT) | instid1(VALU_DEP_2)
	v_dual_fma_f32 v13, v230, v158, -v13 :: v_dual_add_f32 v9, v9, v43
	v_dual_add_f32 v11, v11, v19 :: v_dual_fmac_f32 v249, v233, v160
	v_fma_f32 v248, v232, v160, -v15
	v_pk_mul_f32 v[122:123], v[240:241], v[122:123] op_sel_hi:[1,0]
	s_delay_alu instid0(VALU_DEP_4)
	v_add_f32_e32 v131, v9, v45
	s_wait_loadcnt 0x3
	v_dual_add_f32 v130, v11, v13 :: v_dual_mov_b32 v132, v173
	v_pk_mul_f32 v[124:125], v[182:183], v[166:167] op_sel:[1,1] op_sel_hi:[0,1]
	v_dual_fmac_f32 v251, v179, v162 :: v_dual_fma_f32 v250, v178, v162, -v17
	v_pk_fma_f32 v[134:135], v[180:181], v[164:165], v[122:123] op_sel_hi:[1,0,1]
	s_delay_alu instid0(VALU_DEP_4)
	v_pk_add_f32 v[130:131], v[130:131], v[248:249]
	v_pk_fma_f32 v[122:123], v[180:181], v[164:165], v[122:123] neg_lo:[0,0,1] neg_hi:[0,0,1]
	v_pk_fma_f32 v[136:137], v[182:183], v[166:167], v[124:125] op_sel_hi:[1,0,1]
	v_pk_mul_f32 v[126:127], v[242:243], v[126:127] op_sel_hi:[1,0]
	v_mov_b32_e32 v123, v135
	v_pk_add_f32 v[130:131], v[130:131], v[250:251]
	v_pk_fma_f32 v[124:125], v[182:183], v[166:167], v[124:125] neg_lo:[0,0,1] neg_hi:[0,0,1]
	v_pk_mul_f32 v[128:129], v[186:187], v[170:171] op_sel:[1,1] op_sel_hi:[0,1]
	v_mov_b32_e32 v125, v137
	v_pk_fma_f32 v[136:137], v[184:185], v[168:169], v[126:127] op_sel_hi:[1,0,1]
	v_pk_add_f32 v[122:123], v[130:131], v[122:123]
	v_pk_fma_f32 v[126:127], v[184:185], v[168:169], v[126:127] neg_lo:[0,0,1] neg_hi:[0,0,1]
	v_pk_fma_f32 v[130:131], v[186:187], v[170:171], v[128:129] op_sel_hi:[1,0,1]
	v_pk_mul_f32 v[132:133], v[244:245], v[132:133] op_sel_hi:[1,0]
	v_mov_b32_e32 v127, v137
	v_pk_add_f32 v[122:123], v[122:123], v[124:125]
	v_pk_fma_f32 v[128:129], v[186:187], v[170:171], v[128:129] neg_lo:[0,0,1] neg_hi:[0,0,1]
	s_wait_loadcnt 0x2
	v_pk_mul_f32 v[134:135], v[190:191], v[174:175] op_sel:[1,1] op_sel_hi:[0,1]
	v_dual_mov_b32 v124, v177 :: v_dual_mov_b32 v129, v131
	v_pk_fma_f32 v[130:131], v[188:189], v[172:173], v[132:133] op_sel_hi:[1,0,1]
	v_pk_add_f32 v[122:123], v[122:123], v[126:127]
	v_pk_fma_f32 v[132:133], v[188:189], v[172:173], v[132:133] neg_lo:[0,0,1] neg_hi:[0,0,1]
	v_pk_fma_f32 v[126:127], v[190:191], v[174:175], v[134:135] op_sel_hi:[1,0,1]
	v_pk_mul_f32 v[124:125], v[246:247], v[124:125] op_sel_hi:[1,0]
	v_mov_b32_e32 v133, v131
	v_pk_add_f32 v[122:123], v[122:123], v[128:129]
	v_pk_fma_f32 v[128:129], v[190:191], v[174:175], v[134:135] neg_lo:[0,0,1] neg_hi:[0,0,1]
	v_mov_b32_e32 v129, v127
	v_pk_fma_f32 v[126:127], v[192:193], v[176:177], v[124:125] op_sel_hi:[1,0,1]
	s_wait_loadcnt_dscnt 0x100
	v_pk_mul_f32 v[130:131], v[238:239], v[234:235] op_sel:[1,1] op_sel_hi:[0,1]
	v_pk_add_f32 v[122:123], v[122:123], v[132:133]
	v_pk_fma_f32 v[124:125], v[192:193], v[176:177], v[124:125] neg_lo:[0,0,1] neg_hi:[0,0,1]
	v_mov_b32_e32 v125, v127
	s_delay_alu instid0(VALU_DEP_4) | instskip(NEXT) | instid1(VALU_DEP_4)
	v_pk_fma_f32 v[126:127], v[238:239], v[234:235], v[130:131] op_sel_hi:[1,0,1]
	v_pk_add_f32 v[122:123], v[122:123], v[128:129]
	v_pk_fma_f32 v[128:129], v[238:239], v[234:235], v[130:131] neg_lo:[0,0,1] neg_hi:[0,0,1]
	s_delay_alu instid0(VALU_DEP_3) | instskip(NEXT) | instid1(VALU_DEP_3)
	v_mov_b32_e32 v129, v127
	v_pk_add_f32 v[122:123], v[122:123], v[124:125]
	s_delay_alu instid0(VALU_DEP_1) | instskip(SKIP_1) | instid1(VALU_DEP_1)
	v_pk_add_f32 v[122:123], v[122:123], v[128:129]
	s_wait_loadcnt 0x0
	v_pk_add_f32 v[122:123], v[236:237], v[122:123] neg_lo:[0,1] neg_hi:[0,1]
	scratch_store_b64 off, v[122:123], off offset:240
	s_wait_xcnt 0x0
	v_cmpx_lt_u32_e32 29, v0
	s_cbranch_execz .LBB59_315
; %bb.314:
	scratch_load_b64 v[122:123], off, off offset:232
	v_mov_b64_e32 v[124:125], 0
	scratch_store_b64 off, v[124:125], off offset:232
	s_wait_loadcnt 0x0
	ds_store_b64 v1, v[122:123]
.LBB59_315:
	s_wait_xcnt 0x0
	s_or_b32 exec_lo, exec_lo, s0
	s_wait_storecnt_dscnt 0x0
	s_barrier_signal -1
	s_barrier_wait -1
	s_clause 0xf
	scratch_load_b128 v[122:125], off, off offset:240
	scratch_load_b128 v[126:129], off, off offset:256
	;; [unrolled: 1-line block ×15, first 2 shown]
	scratch_load_b64 v[242:243], off, off offset:232
	ds_load_b128 v[182:185], v7 offset:896
	ds_load_b128 v[186:189], v7 offset:912
	ds_load_b128 v[190:193], v7 offset:928
	ds_load_b128 v[194:197], v7 offset:944
	ds_load_b128 v[198:201], v7 offset:720
	ds_load_b128 v[202:205], v7 offset:736
	ds_load_b128 v[206:209], v7 offset:880
	ds_load_b128 v[210:213], v7 offset:752
	ds_load_b128 v[214:217], v7 offset:768
	ds_load_b128 v[218:221], v7 offset:784
	ds_load_b128 v[222:225], v7 offset:800
	ds_load_b128 v[226:229], v7 offset:816
	ds_load_b128 v[230:233], v7 offset:832
	ds_load_b128 v[234:237], v7 offset:848
	ds_load_b128 v[238:241], v7 offset:864
	s_mov_b32 s0, exec_lo
	s_wait_dscnt 0xe
	v_dual_mov_b32 v244, v185 :: v_dual_mov_b32 v245, v184
	s_wait_dscnt 0xd
	v_dual_mov_b32 v246, v189 :: v_dual_mov_b32 v247, v188
	;; [unrolled: 2-line block ×4, first 2 shown]
	s_wait_loadcnt_dscnt 0xf0a
	v_dual_mul_f32 v7, v198, v123 :: v_dual_mul_f32 v9, v200, v125
	v_dual_mul_f32 v47, v199, v123 :: v_dual_mul_f32 v49, v201, v125
	s_wait_loadcnt_dscnt 0xe09
	v_dual_mul_f32 v11, v202, v127 :: v_dual_mul_f32 v13, v204, v129
	s_delay_alu instid0(VALU_DEP_3) | instskip(SKIP_3) | instid1(VALU_DEP_3)
	v_dual_fmac_f32 v7, v199, v122 :: v_dual_fmac_f32 v9, v201, v124
	s_wait_loadcnt_dscnt 0xc06
	v_dual_fma_f32 v47, v198, v122, -v47 :: v_dual_mul_f32 v59, v215, v135
	v_dual_mul_f32 v51, v203, v127 :: v_dual_mul_f32 v53, v205, v129
	v_dual_fma_f32 v49, v200, v124, -v49 :: v_dual_add_f32 v7, 0, v7
	s_delay_alu instid0(VALU_DEP_3) | instskip(SKIP_1) | instid1(VALU_DEP_3)
	v_dual_add_f32 v47, 0, v47 :: v_dual_mul_f32 v61, v217, v137
	v_dual_fmac_f32 v11, v203, v126 :: v_dual_fmac_f32 v13, v205, v128
	v_dual_fma_f32 v51, v202, v126, -v51 :: v_dual_add_f32 v7, v7, v9
	s_delay_alu instid0(VALU_DEP_3) | instskip(SKIP_2) | instid1(VALU_DEP_4)
	v_dual_add_f32 v9, v47, v49 :: v_dual_fma_f32 v49, v204, v128, -v53
	v_dual_mul_f32 v15, v210, v131 :: v_dual_mul_f32 v17, v212, v133
	v_dual_mul_f32 v55, v211, v131 :: v_dual_mul_f32 v57, v213, v133
	v_add_f32_e32 v7, v7, v11
	s_delay_alu instid0(VALU_DEP_3) | instskip(NEXT) | instid1(VALU_DEP_3)
	v_dual_add_f32 v9, v9, v51 :: v_dual_fmac_f32 v15, v211, v130
	v_fma_f32 v51, v210, v130, -v55
	v_dual_mul_f32 v19, v214, v135 :: v_dual_mul_f32 v21, v216, v137
	s_delay_alu instid0(VALU_DEP_4) | instskip(SKIP_2) | instid1(VALU_DEP_2)
	v_dual_add_f32 v7, v7, v13 :: v_dual_fmac_f32 v17, v213, v132
	s_wait_loadcnt_dscnt 0xa04
	v_dual_add_f32 v9, v9, v49 :: v_dual_mul_f32 v13, v223, v143
	v_dual_fma_f32 v49, v212, v132, -v57 :: v_dual_add_f32 v7, v7, v15
	v_mul_f32_e32 v15, v225, v145
	s_delay_alu instid0(VALU_DEP_3) | instskip(NEXT) | instid1(VALU_DEP_3)
	v_dual_add_f32 v9, v9, v51 :: v_dual_fmac_f32 v19, v215, v134
	v_dual_fma_f32 v51, v214, v134, -v59 :: v_dual_add_f32 v7, v7, v17
	v_fmac_f32_e32 v21, v217, v136
	s_wait_loadcnt_dscnt 0x903
	s_delay_alu instid0(VALU_DEP_3) | instskip(SKIP_3) | instid1(VALU_DEP_3)
	v_dual_add_f32 v9, v9, v49 :: v_dual_mul_f32 v17, v227, v147
	v_dual_mul_f32 v23, v218, v139 :: v_dual_mul_f32 v25, v220, v141
	v_dual_mul_f32 v47, v219, v139 :: v_dual_mul_f32 v11, v221, v141
	v_dual_fma_f32 v49, v216, v136, -v61 :: v_dual_add_f32 v7, v7, v19
	v_dual_add_f32 v9, v9, v51 :: v_dual_fmac_f32 v23, v219, v138
	s_delay_alu instid0(VALU_DEP_3) | instskip(NEXT) | instid1(VALU_DEP_3)
	v_dual_mul_f32 v19, v229, v149 :: v_dual_fma_f32 v47, v218, v138, -v47
	v_dual_add_f32 v7, v7, v21 :: v_dual_fmac_f32 v25, v221, v140
	s_wait_loadcnt_dscnt 0x802
	s_delay_alu instid0(VALU_DEP_3) | instskip(SKIP_1) | instid1(VALU_DEP_3)
	v_dual_add_f32 v9, v9, v49 :: v_dual_mul_f32 v21, v231, v151
	v_dual_mul_f32 v27, v222, v143 :: v_dual_mul_f32 v29, v224, v145
	v_dual_fma_f32 v11, v220, v140, -v11 :: v_dual_add_f32 v7, v7, v23
	s_delay_alu instid0(VALU_DEP_2) | instskip(SKIP_1) | instid1(VALU_DEP_2)
	v_dual_add_f32 v9, v9, v47 :: v_dual_fmac_f32 v27, v223, v142
	v_dual_mul_f32 v23, v233, v153 :: v_dual_fma_f32 v13, v222, v142, -v13
	v_dual_add_f32 v7, v7, v25 :: v_dual_add_f32 v9, v9, v11
	v_dual_mul_f32 v31, v226, v147 :: v_dual_mul_f32 v33, v228, v149
	s_wait_loadcnt_dscnt 0x701
	v_dual_mul_f32 v11, v235, v155 :: v_dual_fmac_f32 v29, v225, v144
	s_delay_alu instid0(VALU_DEP_3) | instskip(NEXT) | instid1(VALU_DEP_3)
	v_dual_fma_f32 v15, v224, v144, -v15 :: v_dual_add_f32 v7, v7, v27
	v_dual_add_f32 v9, v9, v13 :: v_dual_fmac_f32 v31, v227, v146
	v_dual_mul_f32 v13, v237, v157 :: v_dual_fma_f32 v17, v226, v146, -v17
	s_delay_alu instid0(VALU_DEP_2) | instskip(SKIP_3) | instid1(VALU_DEP_3)
	v_dual_add_f32 v7, v7, v29 :: v_dual_add_f32 v9, v9, v15
	v_dual_mul_f32 v35, v230, v151 :: v_dual_mul_f32 v37, v232, v153
	s_wait_loadcnt_dscnt 0x600
	v_dual_mul_f32 v15, v239, v159 :: v_dual_fmac_f32 v33, v229, v148
	v_dual_fma_f32 v19, v228, v148, -v19 :: v_dual_add_f32 v7, v7, v31
	s_delay_alu instid0(VALU_DEP_3) | instskip(SKIP_1) | instid1(VALU_DEP_2)
	v_dual_add_f32 v9, v9, v17 :: v_dual_fmac_f32 v35, v231, v150
	v_dual_mul_f32 v17, v241, v161 :: v_dual_fma_f32 v21, v230, v150, -v21
	v_dual_add_f32 v7, v7, v33 :: v_dual_add_f32 v9, v9, v19
	v_dual_mul_f32 v39, v234, v155 :: v_dual_mul_f32 v41, v236, v157
	s_wait_loadcnt 0x5
	v_dual_mul_f32 v19, v207, v163 :: v_dual_fmac_f32 v37, v233, v152
	s_delay_alu instid0(VALU_DEP_3) | instskip(NEXT) | instid1(VALU_DEP_3)
	v_dual_fma_f32 v23, v232, v152, -v23 :: v_dual_add_f32 v7, v7, v35
	v_dual_add_f32 v9, v9, v21 :: v_dual_fmac_f32 v39, v235, v154
	v_dual_mul_f32 v21, v209, v165 :: v_dual_fma_f32 v11, v234, v154, -v11
	s_delay_alu instid0(VALU_DEP_2) | instskip(SKIP_1) | instid1(VALU_DEP_2)
	v_dual_add_f32 v7, v7, v37 :: v_dual_add_f32 v9, v9, v23
	v_dual_mul_f32 v43, v238, v159 :: v_dual_mul_f32 v45, v240, v161
	v_dual_fmac_f32 v41, v237, v156 :: v_dual_add_f32 v7, v7, v39
	s_delay_alu instid0(VALU_DEP_3) | instskip(SKIP_1) | instid1(VALU_DEP_3)
	v_dual_fma_f32 v13, v236, v156, -v13 :: v_dual_add_f32 v9, v9, v11
	s_wait_loadcnt 0x4
	v_dual_mov_b32 v124, v169 :: v_dual_fmac_f32 v43, v239, v158
	s_delay_alu instid0(VALU_DEP_3) | instskip(NEXT) | instid1(VALU_DEP_3)
	v_dual_fma_f32 v11, v238, v158, -v15 :: v_dual_add_f32 v7, v7, v41
	v_dual_add_f32 v9, v9, v13 :: v_dual_fma_f32 v13, v240, v160, -v17
	v_dual_mul_f32 v253, v206, v163 :: v_dual_mul_f32 v255, v208, v165
	s_delay_alu instid0(VALU_DEP_3) | instskip(NEXT) | instid1(VALU_DEP_2)
	v_dual_fmac_f32 v45, v241, v160 :: v_dual_add_f32 v7, v7, v43
	v_dual_add_f32 v9, v9, v11 :: v_dual_fmac_f32 v253, v207, v162
	v_pk_mul_f32 v[122:123], v[182:183], v[166:167] op_sel:[1,1] op_sel_hi:[0,1]
	s_wait_loadcnt 0x3
	v_dual_mov_b32 v128, v173 :: v_dual_fma_f32 v252, v206, v162, -v19
	v_dual_add_f32 v131, v7, v45 :: v_dual_fmac_f32 v255, v209, v164
	v_dual_add_f32 v130, v9, v13 :: v_dual_fma_f32 v254, v208, v164, -v21
	v_pk_fma_f32 v[132:133], v[182:183], v[166:167], v[122:123] op_sel_hi:[1,0,1]
	v_pk_mul_f32 v[124:125], v[244:245], v[124:125] op_sel_hi:[1,0]
	v_pk_fma_f32 v[122:123], v[182:183], v[166:167], v[122:123] neg_lo:[0,0,1] neg_hi:[0,0,1]
	s_delay_alu instid0(VALU_DEP_4)
	v_pk_add_f32 v[130:131], v[130:131], v[252:253]
	v_pk_mul_f32 v[126:127], v[186:187], v[170:171] op_sel:[1,1] op_sel_hi:[0,1]
	v_mov_b32_e32 v123, v133
	v_pk_fma_f32 v[132:133], v[184:185], v[168:169], v[124:125] op_sel_hi:[1,0,1]
	v_pk_fma_f32 v[124:125], v[184:185], v[168:169], v[124:125] neg_lo:[0,0,1] neg_hi:[0,0,1]
	v_pk_add_f32 v[130:131], v[130:131], v[254:255]
	v_pk_fma_f32 v[136:137], v[186:187], v[170:171], v[126:127] op_sel_hi:[1,0,1]
	v_pk_mul_f32 v[128:129], v[246:247], v[128:129] op_sel_hi:[1,0]
	v_mov_b32_e32 v125, v133
	s_wait_loadcnt 0x2
	v_pk_mul_f32 v[134:135], v[190:191], v[174:175] op_sel:[1,1] op_sel_hi:[0,1]
	v_pk_add_f32 v[122:123], v[130:131], v[122:123]
	v_mov_b32_e32 v130, v177
	v_pk_fma_f32 v[126:127], v[186:187], v[170:171], v[126:127] neg_lo:[0,0,1] neg_hi:[0,0,1]
	v_mov_b32_e32 v127, v137
	v_pk_fma_f32 v[132:133], v[188:189], v[172:173], v[128:129] op_sel_hi:[1,0,1]
	v_pk_add_f32 v[122:123], v[122:123], v[124:125]
	v_pk_fma_f32 v[124:125], v[190:191], v[174:175], v[134:135] op_sel_hi:[1,0,1]
	v_pk_mul_f32 v[130:131], v[248:249], v[130:131] op_sel_hi:[1,0]
	v_pk_fma_f32 v[128:129], v[188:189], v[172:173], v[128:129] neg_lo:[0,0,1] neg_hi:[0,0,1]
	v_mov_b32_e32 v129, v133
	v_pk_add_f32 v[122:123], v[122:123], v[126:127]
	v_pk_fma_f32 v[132:133], v[190:191], v[174:175], v[134:135] neg_lo:[0,0,1] neg_hi:[0,0,1]
	v_mov_b32_e32 v133, v125
	v_pk_fma_f32 v[124:125], v[192:193], v[176:177], v[130:131] op_sel_hi:[1,0,1]
	s_wait_loadcnt 0x1
	v_pk_mul_f32 v[126:127], v[194:195], v[178:179] op_sel:[1,1] op_sel_hi:[0,1]
	v_pk_add_f32 v[122:123], v[122:123], v[128:129]
	v_mov_b32_e32 v124, v181
	v_pk_fma_f32 v[130:131], v[192:193], v[176:177], v[130:131] neg_lo:[0,0,1] neg_hi:[0,0,1]
	v_mov_b32_e32 v131, v125
	v_pk_fma_f32 v[128:129], v[194:195], v[178:179], v[126:127] op_sel_hi:[1,0,1]
	v_pk_add_f32 v[122:123], v[122:123], v[132:133]
	v_pk_mul_f32 v[124:125], v[250:251], v[124:125] op_sel_hi:[1,0]
	v_pk_fma_f32 v[126:127], v[194:195], v[178:179], v[126:127] neg_lo:[0,0,1] neg_hi:[0,0,1]
	s_delay_alu instid0(VALU_DEP_4) | instskip(NEXT) | instid1(VALU_DEP_4)
	v_mov_b32_e32 v127, v129
	v_pk_add_f32 v[122:123], v[122:123], v[130:131]
	s_delay_alu instid0(VALU_DEP_4) | instskip(SKIP_1) | instid1(VALU_DEP_2)
	v_pk_fma_f32 v[128:129], v[196:197], v[180:181], v[124:125] op_sel_hi:[1,0,1]
	v_pk_fma_f32 v[124:125], v[196:197], v[180:181], v[124:125] neg_lo:[0,0,1] neg_hi:[0,0,1]
	v_mov_b32_e32 v125, v129
	s_delay_alu instid0(VALU_DEP_4) | instskip(NEXT) | instid1(VALU_DEP_1)
	v_pk_add_f32 v[122:123], v[122:123], v[126:127]
	v_pk_add_f32 v[122:123], v[122:123], v[124:125]
	s_wait_loadcnt 0x0
	s_delay_alu instid0(VALU_DEP_1)
	v_pk_add_f32 v[122:123], v[242:243], v[122:123] neg_lo:[0,1] neg_hi:[0,1]
	scratch_store_b64 off, v[122:123], off offset:232
	s_wait_xcnt 0x0
	v_cmpx_lt_u32_e32 28, v0
	s_cbranch_execz .LBB59_317
; %bb.316:
	scratch_load_b64 v[122:123], off, off offset:224
	v_mov_b64_e32 v[124:125], 0
	scratch_store_b64 off, v[124:125], off offset:224
	s_wait_loadcnt 0x0
	ds_store_b64 v1, v[122:123]
.LBB59_317:
	s_wait_xcnt 0x0
	s_or_b32 exec_lo, exec_lo, s0
	s_wait_storecnt_dscnt 0x0
	s_barrier_signal -1
	s_barrier_wait -1
	s_clause 0x10
	scratch_load_b128 v[122:125], off, off offset:232
	scratch_load_b128 v[126:129], off, off offset:248
	;; [unrolled: 1-line block ×15, first 2 shown]
	scratch_load_b64 v[242:243], off, off offset:472
	scratch_load_b64 v[244:245], off, off offset:224
	v_mov_b32_e32 v7, 0
	ds_load_2addr_b64 v[182:185], v7 offset0:111 offset1:112
	ds_load_2addr_b64 v[186:189], v7 offset0:113 offset1:114
	;; [unrolled: 1-line block ×15, first 2 shown]
	ds_load_b64 v[246:247], v7 offset:952
	s_mov_b32 s0, exec_lo
	s_wait_dscnt 0xf
	v_dual_mov_b32 v248, v185 :: v_dual_mov_b32 v249, v184
	s_wait_dscnt 0xc
	v_dual_mov_b32 v250, v189 :: v_dual_mov_b32 v255, v196
	v_dual_mov_b32 v251, v188 :: v_dual_mov_b32 v252, v193
	v_dual_mov_b32 v253, v192 :: v_dual_mov_b32 v254, v197
	s_wait_loadcnt_dscnt 0x100b
	v_dual_mul_f32 v9, v198, v123 :: v_dual_mul_f32 v51, v199, v123
	v_dual_mul_f32 v53, v201, v125 :: v_dual_mul_f32 v11, v200, v125
	s_wait_loadcnt_dscnt 0xf09
	v_mul_f32_e32 v13, v206, v127
	s_wait_loadcnt_dscnt 0xd07
	v_dual_mul_f32 v63, v215, v135 :: v_dual_fma_f32 v51, v198, v122, -v51
	v_dual_fmac_f32 v9, v199, v122 :: v_dual_mul_f32 v65, v217, v137
	v_dual_mul_f32 v55, v207, v127 :: v_dual_mul_f32 v57, v209, v129
	v_dual_fmac_f32 v11, v201, v124 :: v_dual_fma_f32 v53, v200, v124, -v53
	s_delay_alu instid0(VALU_DEP_3) | instskip(SKIP_3) | instid1(VALU_DEP_3)
	v_dual_add_f32 v9, 0, v9 :: v_dual_add_f32 v51, 0, v51
	v_dual_mul_f32 v15, v208, v129 :: v_dual_mul_f32 v17, v210, v131
	s_wait_loadcnt_dscnt 0xc06
	v_dual_mul_f32 v67, v219, v139 :: v_dual_fma_f32 v55, v206, v126, -v55
	v_dual_fmac_f32 v13, v207, v126 :: v_dual_add_f32 v9, v9, v11
	s_delay_alu instid0(VALU_DEP_3) | instskip(SKIP_2) | instid1(VALU_DEP_3)
	v_dual_add_f32 v11, v51, v53 :: v_dual_fmac_f32 v15, v209, v128
	v_dual_mul_f32 v59, v211, v131 :: v_dual_mul_f32 v61, v213, v133
	v_dual_mul_f32 v51, v221, v141 :: v_dual_fma_f32 v53, v208, v128, -v57
	v_dual_add_f32 v9, v9, v13 :: v_dual_add_f32 v11, v11, v55
	v_dual_mul_f32 v19, v212, v133 :: v_dual_mul_f32 v21, v214, v135
	s_wait_loadcnt_dscnt 0xb05
	v_dual_mul_f32 v13, v223, v143 :: v_dual_fma_f32 v55, v210, v130, -v59
	s_delay_alu instid0(VALU_DEP_3) | instskip(NEXT) | instid1(VALU_DEP_3)
	v_dual_fmac_f32 v17, v211, v130 :: v_dual_add_f32 v9, v9, v15
	v_dual_add_f32 v11, v11, v53 :: v_dual_fmac_f32 v19, v213, v132
	v_dual_mul_f32 v15, v225, v145 :: v_dual_fma_f32 v53, v212, v132, -v61
	s_delay_alu instid0(VALU_DEP_2) | instskip(SKIP_3) | instid1(VALU_DEP_3)
	v_dual_add_f32 v9, v9, v17 :: v_dual_add_f32 v11, v11, v55
	v_dual_mul_f32 v23, v216, v137 :: v_dual_mul_f32 v25, v218, v139
	s_wait_loadcnt_dscnt 0xa04
	v_dual_mul_f32 v17, v227, v147 :: v_dual_fma_f32 v55, v214, v134, -v63
	v_dual_fmac_f32 v21, v215, v134 :: v_dual_add_f32 v9, v9, v19
	s_delay_alu instid0(VALU_DEP_3) | instskip(SKIP_1) | instid1(VALU_DEP_2)
	v_dual_add_f32 v11, v11, v53 :: v_dual_fmac_f32 v23, v217, v136
	v_dual_mul_f32 v19, v229, v149 :: v_dual_fma_f32 v53, v216, v136, -v65
	v_dual_add_f32 v9, v9, v21 :: v_dual_add_f32 v11, v11, v55
	v_dual_mul_f32 v27, v220, v141 :: v_dual_mul_f32 v29, v222, v143
	s_wait_loadcnt_dscnt 0x903
	v_dual_mul_f32 v21, v231, v151 :: v_dual_fma_f32 v55, v218, v138, -v67
	s_delay_alu instid0(VALU_DEP_3) | instskip(NEXT) | instid1(VALU_DEP_3)
	v_dual_fmac_f32 v25, v219, v138 :: v_dual_add_f32 v9, v9, v23
	v_dual_add_f32 v11, v11, v53 :: v_dual_fmac_f32 v27, v221, v140
	v_dual_mul_f32 v23, v233, v153 :: v_dual_fma_f32 v51, v220, v140, -v51
	s_delay_alu instid0(VALU_DEP_2) | instskip(SKIP_3) | instid1(VALU_DEP_3)
	v_dual_add_f32 v9, v9, v25 :: v_dual_add_f32 v11, v11, v55
	v_dual_mul_f32 v31, v224, v145 :: v_dual_mul_f32 v33, v226, v147
	s_wait_loadcnt_dscnt 0x802
	v_dual_mul_f32 v25, v235, v155 :: v_dual_fma_f32 v13, v222, v142, -v13
	v_dual_fmac_f32 v29, v223, v142 :: v_dual_add_f32 v9, v9, v27
	v_dual_add_f32 v11, v11, v51 :: v_dual_mul_f32 v27, v237, v157
	v_fmac_f32_e32 v31, v225, v144
	s_delay_alu instid0(VALU_DEP_3) | instskip(NEXT) | instid1(VALU_DEP_3)
	v_dual_fma_f32 v15, v224, v144, -v15 :: v_dual_add_f32 v9, v9, v29
	v_add_f32_e32 v11, v11, v13
	v_dual_mul_f32 v35, v228, v149 :: v_dual_mul_f32 v37, v230, v151
	s_wait_loadcnt_dscnt 0x701
	v_dual_mul_f32 v13, v239, v159 :: v_dual_fma_f32 v17, v226, v146, -v17
	v_dual_fmac_f32 v33, v227, v146 :: v_dual_add_f32 v9, v9, v31
	v_dual_add_f32 v11, v11, v15 :: v_dual_mul_f32 v15, v241, v161
	v_fmac_f32_e32 v35, v229, v148
	s_delay_alu instid0(VALU_DEP_3) | instskip(NEXT) | instid1(VALU_DEP_3)
	v_dual_fma_f32 v19, v228, v148, -v19 :: v_dual_add_f32 v9, v9, v33
	v_add_f32_e32 v11, v11, v17
	v_dual_mul_f32 v39, v232, v153 :: v_dual_mul_f32 v41, v234, v155
	s_wait_loadcnt 0x6
	v_dual_mul_f32 v17, v203, v163 :: v_dual_fma_f32 v21, v230, v150, -v21
	v_dual_fmac_f32 v37, v231, v150 :: v_dual_add_f32 v9, v9, v35
	v_dual_add_f32 v11, v11, v19 :: v_dual_mul_f32 v19, v205, v165
	v_fmac_f32_e32 v39, v233, v152
	s_delay_alu instid0(VALU_DEP_3) | instskip(NEXT) | instid1(VALU_DEP_3)
	v_dual_fma_f32 v23, v232, v152, -v23 :: v_dual_add_f32 v9, v9, v37
	v_add_f32_e32 v11, v11, v21
	v_dual_mul_f32 v43, v236, v157 :: v_dual_mul_f32 v45, v238, v159
	s_wait_loadcnt 0x5
	v_dual_mul_f32 v21, v183, v167 :: v_dual_fma_f32 v25, v234, v154, -v25
	v_dual_fmac_f32 v41, v235, v154 :: v_dual_add_f32 v9, v9, v39
	v_dual_add_f32 v11, v11, v23 :: v_dual_mov_b32 v122, v169
	v_fmac_f32_e32 v43, v237, v156
	s_delay_alu instid0(VALU_DEP_3) | instskip(NEXT) | instid1(VALU_DEP_3)
	v_dual_fma_f32 v23, v236, v156, -v27 :: v_dual_add_f32 v9, v9, v41
	v_add_f32_e32 v11, v11, v25
	v_dual_mul_f32 v47, v240, v161 :: v_dual_mul_f32 v49, v202, v163
	s_delay_alu instid0(VALU_DEP_3) | instskip(NEXT) | instid1(VALU_DEP_3)
	v_dual_fmac_f32 v45, v239, v158 :: v_dual_add_f32 v9, v9, v43
	v_dual_fma_f32 v13, v238, v158, -v13 :: v_dual_add_f32 v11, v11, v23
	s_wait_loadcnt 0x4
	v_dual_mov_b32 v126, v173 :: v_dual_fma_f32 v15, v240, v160, -v15
	v_fmac_f32_e32 v47, v241, v160
	v_dual_add_f32 v9, v9, v45 :: v_dual_fmac_f32 v49, v203, v162
	v_add_f32_e32 v11, v11, v13
	s_set_vgpr_msb 64                       ;  msbs: dst=1 src0=0 src1=0 src2=0
	v_dual_mul_f32 v1 /*v257*/, v204, v165 :: v_dual_mul_f32 v3 /*v259*/, v182, v167
	s_set_vgpr_msb 0                        ;  msbs: dst=0 src0=0 src1=0 src2=0
	v_dual_fma_f32 v13, v202, v162, -v17 :: v_dual_add_f32 v9, v9, v47
	v_add_f32_e32 v11, v11, v15
	s_set_vgpr_msb 64                       ;  msbs: dst=1 src0=0 src1=0 src2=0
	v_dual_fmac_f32 v1 /*v257*/, v205, v164 :: v_dual_fmac_f32 v3 /*v259*/, v183, v166
	v_dual_fma_f32 v0 /*v256*/, v204, v164, -v19 :: v_dual_fma_f32 v2 /*v258*/, v182, v166, -v21
	s_set_vgpr_msb 0                        ;  msbs: dst=0 src0=0 src1=0 src2=0
	v_pk_mul_f32 v[122:123], v[248:249], v[122:123] op_sel_hi:[1,0]
	v_add_f32_e32 v131, v9, v49
	s_wait_loadcnt 0x3
	v_dual_add_f32 v130, v11, v13 :: v_dual_mov_b32 v132, v177
	v_pk_mul_f32 v[124:125], v[186:187], v[170:171] op_sel:[1,1] op_sel_hi:[0,1]
	v_pk_fma_f32 v[134:135], v[184:185], v[168:169], v[122:123] op_sel_hi:[1,0,1]
	v_pk_fma_f32 v[122:123], v[184:185], v[168:169], v[122:123] neg_lo:[0,0,1] neg_hi:[0,0,1]
	s_set_vgpr_msb 4                        ;  msbs: dst=0 src0=0 src1=1 src2=0
	v_pk_add_f32 v[130:131], v[130:131], v[0:1] /*v[256:257]*/
	s_set_vgpr_msb 0                        ;  msbs: dst=0 src0=0 src1=0 src2=0
	v_pk_mul_f32 v[126:127], v[250:251], v[126:127] op_sel_hi:[1,0]
	v_pk_fma_f32 v[136:137], v[186:187], v[170:171], v[124:125] op_sel_hi:[1,0,1]
	v_mov_b32_e32 v123, v135
	v_pk_fma_f32 v[124:125], v[186:187], v[170:171], v[124:125] neg_lo:[0,0,1] neg_hi:[0,0,1]
	s_set_vgpr_msb 4                        ;  msbs: dst=0 src0=0 src1=1 src2=0
	v_pk_add_f32 v[130:131], v[130:131], v[2:3] /*v[258:259]*/
	s_set_vgpr_msb 0                        ;  msbs: dst=0 src0=0 src1=0 src2=0
	v_pk_mul_f32 v[128:129], v[190:191], v[174:175] op_sel:[1,1] op_sel_hi:[0,1]
	v_mov_b32_e32 v125, v137
	v_pk_fma_f32 v[136:137], v[188:189], v[172:173], v[126:127] op_sel_hi:[1,0,1]
	v_pk_fma_f32 v[126:127], v[188:189], v[172:173], v[126:127] neg_lo:[0,0,1] neg_hi:[0,0,1]
	v_pk_add_f32 v[122:123], v[130:131], v[122:123]
	v_pk_fma_f32 v[130:131], v[190:191], v[174:175], v[128:129] op_sel_hi:[1,0,1]
	v_pk_mul_f32 v[132:133], v[252:253], v[132:133] op_sel_hi:[1,0]
	v_mov_b32_e32 v127, v137
	v_pk_fma_f32 v[128:129], v[190:191], v[174:175], v[128:129] neg_lo:[0,0,1] neg_hi:[0,0,1]
	v_pk_add_f32 v[122:123], v[122:123], v[124:125]
	s_wait_loadcnt 0x2
	v_pk_mul_f32 v[134:135], v[194:195], v[178:179] op_sel:[1,1] op_sel_hi:[0,1]
	v_dual_mov_b32 v124, v181 :: v_dual_mov_b32 v129, v131
	v_pk_fma_f32 v[130:131], v[192:193], v[176:177], v[132:133] op_sel_hi:[1,0,1]
	v_pk_add_f32 v[122:123], v[122:123], v[126:127]
	v_pk_fma_f32 v[132:133], v[192:193], v[176:177], v[132:133] neg_lo:[0,0,1] neg_hi:[0,0,1]
	v_pk_fma_f32 v[126:127], v[194:195], v[178:179], v[134:135] op_sel_hi:[1,0,1]
	v_pk_mul_f32 v[124:125], v[254:255], v[124:125] op_sel_hi:[1,0]
	v_mov_b32_e32 v133, v131
	v_pk_add_f32 v[122:123], v[122:123], v[128:129]
	v_pk_fma_f32 v[128:129], v[194:195], v[178:179], v[134:135] neg_lo:[0,0,1] neg_hi:[0,0,1]
	v_mov_b32_e32 v129, v127
	v_pk_fma_f32 v[126:127], v[196:197], v[180:181], v[124:125] op_sel_hi:[1,0,1]
	s_wait_loadcnt_dscnt 0x100
	v_pk_mul_f32 v[130:131], v[246:247], v[242:243] op_sel:[1,1] op_sel_hi:[0,1]
	v_pk_add_f32 v[122:123], v[122:123], v[132:133]
	v_pk_fma_f32 v[124:125], v[196:197], v[180:181], v[124:125] neg_lo:[0,0,1] neg_hi:[0,0,1]
	v_mov_b32_e32 v125, v127
	s_delay_alu instid0(VALU_DEP_4) | instskip(NEXT) | instid1(VALU_DEP_4)
	v_pk_fma_f32 v[126:127], v[246:247], v[242:243], v[130:131] op_sel_hi:[1,0,1]
	v_pk_add_f32 v[122:123], v[122:123], v[128:129]
	v_pk_fma_f32 v[128:129], v[246:247], v[242:243], v[130:131] neg_lo:[0,0,1] neg_hi:[0,0,1]
	s_delay_alu instid0(VALU_DEP_3) | instskip(NEXT) | instid1(VALU_DEP_3)
	v_mov_b32_e32 v129, v127
	v_pk_add_f32 v[122:123], v[122:123], v[124:125]
	s_delay_alu instid0(VALU_DEP_1) | instskip(SKIP_1) | instid1(VALU_DEP_1)
	v_pk_add_f32 v[122:123], v[122:123], v[128:129]
	s_wait_loadcnt 0x0
	v_pk_add_f32 v[122:123], v[244:245], v[122:123] neg_lo:[0,1] neg_hi:[0,1]
	scratch_store_b64 off, v[122:123], off offset:224
	s_wait_xcnt 0x0
	v_cmpx_lt_u32_e32 27, v0
	s_cbranch_execz .LBB59_319
; %bb.318:
	scratch_load_b64 v[122:123], off, off offset:216
	v_mov_b64_e32 v[124:125], 0
	scratch_store_b64 off, v[124:125], off offset:216
	s_wait_loadcnt 0x0
	ds_store_b64 v1, v[122:123]
.LBB59_319:
	s_wait_xcnt 0x0
	s_or_b32 exec_lo, exec_lo, s0
	s_wait_storecnt_dscnt 0x0
	s_barrier_signal -1
	s_barrier_wait -1
	s_clause 0x10
	scratch_load_b128 v[122:125], off, off offset:224
	scratch_load_b128 v[126:129], off, off offset:240
	;; [unrolled: 1-line block ×16, first 2 shown]
	scratch_load_b64 v[250:251], off, off offset:216
	ds_load_b128 v[186:189], v7 offset:896
	ds_load_b128 v[190:193], v7 offset:912
	ds_load_b128 v[194:197], v7 offset:928
	ds_load_b128 v[198:201], v7 offset:944
	ds_load_b128 v[202:205], v7 offset:704
	ds_load_b128 v[206:209], v7 offset:720
	ds_load_b128 v[210:213], v7 offset:736
	ds_load_b128 v[214:217], v7 offset:752
	ds_load_b128 v[218:221], v7 offset:768
	ds_load_b128 v[222:225], v7 offset:784
	ds_load_b128 v[226:229], v7 offset:800
	ds_load_b128 v[230:233], v7 offset:816
	ds_load_b128 v[234:237], v7 offset:832
	ds_load_b128 v[238:241], v7 offset:848
	ds_load_b128 v[242:245], v7 offset:864
	ds_load_b128 v[246:249], v7 offset:880
	s_mov_b32 s0, exec_lo
	s_wait_dscnt 0xf
	v_dual_mov_b32 v252, v189 :: v_dual_mov_b32 v253, v188
	s_wait_dscnt 0xe
	v_dual_mov_b32 v254, v193 :: v_dual_mov_b32 v255, v192
	s_wait_dscnt 0xd
	s_set_vgpr_msb 64                       ;  msbs: dst=1 src0=0 src1=0 src2=0
	v_dual_mov_b32 v0 /*v256*/, v197 :: v_dual_mov_b32 v1 /*v257*/, v196
	s_wait_dscnt 0xc
	v_dual_mov_b32 v2 /*v258*/, v201 :: v_dual_mov_b32 v3 /*v259*/, v200
	s_wait_loadcnt_dscnt 0x100b
	s_set_vgpr_msb 0                        ;  msbs: dst=0 src0=0 src1=0 src2=0
	v_dual_mul_f32 v7, v202, v123 :: v_dual_mul_f32 v9, v204, v125
	v_dual_mul_f32 v51, v203, v123 :: v_dual_mul_f32 v53, v205, v125
	s_wait_loadcnt_dscnt 0xf0a
	v_dual_mul_f32 v11, v206, v127 :: v_dual_mul_f32 v13, v208, v129
	s_delay_alu instid0(VALU_DEP_3) | instskip(SKIP_3) | instid1(VALU_DEP_3)
	v_dual_fmac_f32 v7, v203, v122 :: v_dual_fmac_f32 v9, v205, v124
	s_wait_loadcnt_dscnt 0xd08
	v_dual_fma_f32 v51, v202, v122, -v51 :: v_dual_mul_f32 v63, v215, v135
	v_dual_mul_f32 v55, v207, v127 :: v_dual_mul_f32 v57, v209, v129
	v_dual_fma_f32 v53, v204, v124, -v53 :: v_dual_add_f32 v7, 0, v7
	s_delay_alu instid0(VALU_DEP_3) | instskip(SKIP_1) | instid1(VALU_DEP_3)
	v_dual_add_f32 v51, 0, v51 :: v_dual_mul_f32 v65, v217, v137
	v_dual_fmac_f32 v11, v207, v126 :: v_dual_fmac_f32 v13, v209, v128
	v_dual_fma_f32 v55, v206, v126, -v55 :: v_dual_add_f32 v7, v7, v9
	s_delay_alu instid0(VALU_DEP_3) | instskip(SKIP_2) | instid1(VALU_DEP_4)
	v_dual_add_f32 v9, v51, v53 :: v_dual_fma_f32 v53, v208, v128, -v57
	v_dual_mul_f32 v15, v210, v131 :: v_dual_mul_f32 v17, v212, v133
	v_dual_mul_f32 v59, v211, v131 :: v_dual_mul_f32 v61, v213, v133
	v_add_f32_e32 v7, v7, v11
	s_delay_alu instid0(VALU_DEP_3) | instskip(NEXT) | instid1(VALU_DEP_3)
	v_dual_add_f32 v9, v9, v55 :: v_dual_fmac_f32 v15, v211, v130
	v_fma_f32 v55, v210, v130, -v59
	v_dual_mul_f32 v19, v214, v135 :: v_dual_mul_f32 v21, v216, v137
	s_delay_alu instid0(VALU_DEP_4) | instskip(SKIP_2) | instid1(VALU_DEP_2)
	v_dual_add_f32 v7, v7, v13 :: v_dual_fmac_f32 v17, v213, v132
	s_wait_loadcnt_dscnt 0xb06
	v_dual_add_f32 v9, v9, v53 :: v_dual_mul_f32 v13, v223, v143
	v_dual_fma_f32 v53, v212, v132, -v61 :: v_dual_add_f32 v7, v7, v15
	v_mul_f32_e32 v15, v225, v145
	s_delay_alu instid0(VALU_DEP_3) | instskip(NEXT) | instid1(VALU_DEP_3)
	v_dual_add_f32 v9, v9, v55 :: v_dual_fmac_f32 v19, v215, v134
	v_dual_fma_f32 v55, v214, v134, -v63 :: v_dual_add_f32 v7, v7, v17
	v_fmac_f32_e32 v21, v217, v136
	s_wait_loadcnt_dscnt 0xa05
	s_delay_alu instid0(VALU_DEP_3) | instskip(SKIP_3) | instid1(VALU_DEP_3)
	v_dual_add_f32 v9, v9, v53 :: v_dual_mul_f32 v17, v227, v147
	v_dual_mul_f32 v23, v218, v139 :: v_dual_mul_f32 v25, v220, v141
	v_dual_mul_f32 v51, v219, v139 :: v_dual_mul_f32 v11, v221, v141
	v_dual_fma_f32 v53, v216, v136, -v65 :: v_dual_add_f32 v7, v7, v19
	v_dual_add_f32 v9, v9, v55 :: v_dual_fmac_f32 v23, v219, v138
	s_delay_alu instid0(VALU_DEP_3) | instskip(NEXT) | instid1(VALU_DEP_3)
	v_dual_mul_f32 v19, v229, v149 :: v_dual_fma_f32 v51, v218, v138, -v51
	v_dual_add_f32 v7, v7, v21 :: v_dual_fmac_f32 v25, v221, v140
	s_wait_loadcnt_dscnt 0x904
	s_delay_alu instid0(VALU_DEP_3) | instskip(SKIP_1) | instid1(VALU_DEP_3)
	v_dual_add_f32 v9, v9, v53 :: v_dual_mul_f32 v21, v231, v151
	v_dual_mul_f32 v27, v222, v143 :: v_dual_mul_f32 v29, v224, v145
	v_dual_fma_f32 v11, v220, v140, -v11 :: v_dual_add_f32 v7, v7, v23
	s_delay_alu instid0(VALU_DEP_2) | instskip(SKIP_1) | instid1(VALU_DEP_2)
	v_dual_add_f32 v9, v9, v51 :: v_dual_fmac_f32 v27, v223, v142
	v_dual_mul_f32 v23, v233, v153 :: v_dual_fma_f32 v13, v222, v142, -v13
	v_dual_add_f32 v7, v7, v25 :: v_dual_add_f32 v9, v9, v11
	v_dual_mul_f32 v31, v226, v147 :: v_dual_mul_f32 v33, v228, v149
	s_wait_loadcnt_dscnt 0x803
	v_dual_mul_f32 v11, v235, v155 :: v_dual_fmac_f32 v29, v225, v144
	s_delay_alu instid0(VALU_DEP_3) | instskip(NEXT) | instid1(VALU_DEP_3)
	v_dual_fma_f32 v15, v224, v144, -v15 :: v_dual_add_f32 v7, v7, v27
	v_dual_add_f32 v9, v9, v13 :: v_dual_fmac_f32 v31, v227, v146
	v_dual_mul_f32 v13, v237, v157 :: v_dual_fma_f32 v17, v226, v146, -v17
	s_delay_alu instid0(VALU_DEP_2) | instskip(SKIP_3) | instid1(VALU_DEP_3)
	v_dual_add_f32 v7, v7, v29 :: v_dual_add_f32 v9, v9, v15
	v_dual_mul_f32 v35, v230, v151 :: v_dual_mul_f32 v37, v232, v153
	s_wait_loadcnt_dscnt 0x702
	v_dual_mul_f32 v15, v239, v159 :: v_dual_fmac_f32 v33, v229, v148
	v_dual_fma_f32 v19, v228, v148, -v19 :: v_dual_add_f32 v7, v7, v31
	s_delay_alu instid0(VALU_DEP_3) | instskip(SKIP_1) | instid1(VALU_DEP_2)
	v_dual_add_f32 v9, v9, v17 :: v_dual_fmac_f32 v35, v231, v150
	v_dual_mul_f32 v17, v241, v161 :: v_dual_fma_f32 v21, v230, v150, -v21
	v_dual_add_f32 v7, v7, v33 :: v_dual_add_f32 v9, v9, v19
	v_dual_mul_f32 v39, v234, v155 :: v_dual_mul_f32 v41, v236, v157
	s_wait_loadcnt_dscnt 0x601
	v_dual_mul_f32 v19, v243, v163 :: v_dual_fmac_f32 v37, v233, v152
	s_delay_alu instid0(VALU_DEP_3) | instskip(NEXT) | instid1(VALU_DEP_3)
	v_dual_fma_f32 v23, v232, v152, -v23 :: v_dual_add_f32 v7, v7, v35
	v_dual_add_f32 v9, v9, v21 :: v_dual_fmac_f32 v39, v235, v154
	v_dual_mul_f32 v21, v245, v165 :: v_dual_fma_f32 v11, v234, v154, -v11
	s_delay_alu instid0(VALU_DEP_2) | instskip(SKIP_3) | instid1(VALU_DEP_3)
	v_dual_add_f32 v7, v7, v37 :: v_dual_add_f32 v9, v9, v23
	v_dual_mul_f32 v43, v238, v159 :: v_dual_mul_f32 v45, v240, v161
	s_wait_loadcnt_dscnt 0x500
	v_dual_mul_f32 v23, v247, v167 :: v_dual_fmac_f32 v41, v237, v156
	v_dual_fma_f32 v13, v236, v156, -v13 :: v_dual_add_f32 v7, v7, v39
	s_delay_alu instid0(VALU_DEP_3) | instskip(SKIP_1) | instid1(VALU_DEP_3)
	v_dual_add_f32 v9, v9, v11 :: v_dual_fmac_f32 v43, v239, v158
	v_dual_mul_f32 v11, v249, v169 :: v_dual_fma_f32 v15, v238, v158, -v15
	v_dual_add_f32 v7, v7, v41 :: v_dual_fmac_f32 v45, v241, v160
	s_delay_alu instid0(VALU_DEP_3) | instskip(SKIP_2) | instid1(VALU_DEP_3)
	v_dual_add_f32 v9, v9, v13 :: v_dual_fma_f32 v13, v240, v160, -v17
	v_dual_mul_f32 v47, v242, v163 :: v_dual_mul_f32 v49, v244, v165
	s_wait_loadcnt 0x4
	v_dual_add_f32 v7, v7, v43 :: v_dual_mov_b32 v124, v173
	s_delay_alu instid0(VALU_DEP_2) | instskip(NEXT) | instid1(VALU_DEP_2)
	v_dual_add_f32 v9, v9, v15 :: v_dual_fmac_f32 v47, v243, v162
	v_dual_fma_f32 v15, v242, v162, -v19 :: v_dual_add_f32 v7, v7, v45
	s_set_vgpr_msb 64                       ;  msbs: dst=1 src0=0 src1=0 src2=0
	v_dual_mul_f32 v5 /*v261*/, v246, v167 :: v_dual_mul_f32 v7 /*v263*/, v248, v169
	s_set_vgpr_msb 0                        ;  msbs: dst=0 src0=0 src1=0 src2=0
	v_dual_add_f32 v9, v9, v13 :: v_dual_fma_f32 v13, v244, v164, -v21
	v_dual_fmac_f32 v49, v245, v164 :: v_dual_add_f32 v7, v7, v47
	v_pk_mul_f32 v[122:123], v[186:187], v[170:171] op_sel:[1,1] op_sel_hi:[0,1]
	s_delay_alu instid0(VALU_DEP_3)
	v_add_f32_e32 v9, v9, v15
	s_set_vgpr_msb 64                       ;  msbs: dst=1 src0=0 src1=0 src2=0
	v_dual_fmac_f32 v5 /*v261*/, v247, v166 :: v_dual_fmac_f32 v7 /*v263*/, v249, v168
	v_fma_f32 v4 /*v260*/, v246, v166, -v23
	s_set_vgpr_msb 0                        ;  msbs: dst=0 src0=0 src1=0 src2=0
	v_add_f32_e32 v131, v7, v49
	v_add_f32_e32 v130, v9, v13
	s_set_vgpr_msb 64                       ;  msbs: dst=1 src0=0 src1=0 src2=0
	v_fma_f32 v6 /*v262*/, v248, v168, -v11
	s_set_vgpr_msb 0                        ;  msbs: dst=0 src0=0 src1=0 src2=0
	v_pk_fma_f32 v[132:133], v[186:187], v[170:171], v[122:123] op_sel_hi:[1,0,1]
	v_pk_mul_f32 v[124:125], v[252:253], v[124:125] op_sel_hi:[1,0]
	v_pk_fma_f32 v[122:123], v[186:187], v[170:171], v[122:123] neg_lo:[0,0,1] neg_hi:[0,0,1]
	s_set_vgpr_msb 4                        ;  msbs: dst=0 src0=0 src1=1 src2=0
	v_pk_add_f32 v[130:131], v[130:131], v[4:5] /*v[260:261]*/
	s_wait_loadcnt 0x3
	s_set_vgpr_msb 0                        ;  msbs: dst=0 src0=0 src1=0 src2=0
	v_pk_mul_f32 v[126:127], v[190:191], v[174:175] op_sel:[1,1] op_sel_hi:[0,1]
	v_dual_mov_b32 v128, v177 :: v_dual_mov_b32 v123, v133
	v_pk_fma_f32 v[132:133], v[188:189], v[172:173], v[124:125] op_sel_hi:[1,0,1]
	s_set_vgpr_msb 4                        ;  msbs: dst=0 src0=0 src1=1 src2=0
	v_pk_add_f32 v[130:131], v[130:131], v[6:7] /*v[262:263]*/
	s_set_vgpr_msb 0                        ;  msbs: dst=0 src0=0 src1=0 src2=0
	v_pk_fma_f32 v[124:125], v[188:189], v[172:173], v[124:125] neg_lo:[0,0,1] neg_hi:[0,0,1]
	v_pk_fma_f32 v[136:137], v[190:191], v[174:175], v[126:127] op_sel_hi:[1,0,1]
	v_pk_mul_f32 v[128:129], v[254:255], v[128:129] op_sel_hi:[1,0]
	v_mov_b32_e32 v125, v133
	v_pk_add_f32 v[122:123], v[130:131], v[122:123]
	s_wait_loadcnt 0x2
	v_pk_mul_f32 v[134:135], v[194:195], v[178:179] op_sel:[1,1] op_sel_hi:[0,1]
	v_mov_b32_e32 v130, v181
	v_pk_fma_f32 v[126:127], v[190:191], v[174:175], v[126:127] neg_lo:[0,0,1] neg_hi:[0,0,1]
	v_pk_fma_f32 v[132:133], v[192:193], v[176:177], v[128:129] op_sel_hi:[1,0,1]
	v_mov_b32_e32 v127, v137
	v_pk_add_f32 v[122:123], v[122:123], v[124:125]
	v_pk_fma_f32 v[124:125], v[194:195], v[178:179], v[134:135] op_sel_hi:[1,0,1]
	s_set_vgpr_msb 1                        ;  msbs: dst=0 src0=1 src1=0 src2=0
	v_pk_mul_f32 v[130:131], v[0:1] /*v[256:257]*/, v[130:131] op_sel_hi:[1,0]
	s_set_vgpr_msb 0                        ;  msbs: dst=0 src0=0 src1=0 src2=0
	v_pk_fma_f32 v[128:129], v[192:193], v[176:177], v[128:129] neg_lo:[0,0,1] neg_hi:[0,0,1]
	v_mov_b32_e32 v129, v133
	v_pk_add_f32 v[122:123], v[122:123], v[126:127]
	v_pk_fma_f32 v[132:133], v[194:195], v[178:179], v[134:135] neg_lo:[0,0,1] neg_hi:[0,0,1]
	v_mov_b32_e32 v133, v125
	v_pk_fma_f32 v[124:125], v[196:197], v[180:181], v[130:131] op_sel_hi:[1,0,1]
	s_wait_loadcnt 0x1
	v_pk_mul_f32 v[126:127], v[198:199], v[182:183] op_sel:[1,1] op_sel_hi:[0,1]
	v_pk_add_f32 v[122:123], v[122:123], v[128:129]
	v_mov_b32_e32 v124, v185
	v_pk_fma_f32 v[130:131], v[196:197], v[180:181], v[130:131] neg_lo:[0,0,1] neg_hi:[0,0,1]
	s_delay_alu instid0(VALU_DEP_4)
	v_pk_fma_f32 v[128:129], v[198:199], v[182:183], v[126:127] op_sel_hi:[1,0,1]
	v_mov_b32_e32 v131, v125
	v_pk_add_f32 v[122:123], v[122:123], v[132:133]
	s_set_vgpr_msb 1                        ;  msbs: dst=0 src0=1 src1=0 src2=0
	v_pk_mul_f32 v[124:125], v[2:3] /*v[258:259]*/, v[124:125] op_sel_hi:[1,0]
	s_set_vgpr_msb 0                        ;  msbs: dst=0 src0=0 src1=0 src2=0
	v_pk_fma_f32 v[126:127], v[198:199], v[182:183], v[126:127] neg_lo:[0,0,1] neg_hi:[0,0,1]
	v_mov_b32_e32 v127, v129
	v_pk_add_f32 v[122:123], v[122:123], v[130:131]
	v_pk_fma_f32 v[128:129], v[200:201], v[184:185], v[124:125] op_sel_hi:[1,0,1]
	v_pk_fma_f32 v[124:125], v[200:201], v[184:185], v[124:125] neg_lo:[0,0,1] neg_hi:[0,0,1]
	s_delay_alu instid0(VALU_DEP_3) | instskip(NEXT) | instid1(VALU_DEP_3)
	v_pk_add_f32 v[122:123], v[122:123], v[126:127]
	v_mov_b32_e32 v125, v129
	s_delay_alu instid0(VALU_DEP_1) | instskip(SKIP_1) | instid1(VALU_DEP_1)
	v_pk_add_f32 v[122:123], v[122:123], v[124:125]
	s_wait_loadcnt 0x0
	v_pk_add_f32 v[122:123], v[250:251], v[122:123] neg_lo:[0,1] neg_hi:[0,1]
	scratch_store_b64 off, v[122:123], off offset:216
	s_wait_xcnt 0x0
	v_cmpx_lt_u32_e32 26, v0
	s_cbranch_execz .LBB59_321
; %bb.320:
	scratch_load_b64 v[122:123], off, off offset:208
	v_mov_b64_e32 v[124:125], 0
	scratch_store_b64 off, v[124:125], off offset:208
	s_wait_loadcnt 0x0
	ds_store_b64 v1, v[122:123]
.LBB59_321:
	s_wait_xcnt 0x0
	s_or_b32 exec_lo, exec_lo, s0
	s_wait_storecnt_dscnt 0x0
	s_barrier_signal -1
	s_barrier_wait -1
	s_clause 0x11
	scratch_load_b128 v[122:125], off, off offset:216
	scratch_load_b128 v[126:129], off, off offset:232
	;; [unrolled: 1-line block ×16, first 2 shown]
	scratch_load_b64 v[250:251], off, off offset:472
	scratch_load_b64 v[252:253], off, off offset:208
	v_mov_b32_e32 v7, 0
	ds_load_2addr_b64 v[186:189], v7 offset0:111 offset1:112
	ds_load_2addr_b64 v[190:193], v7 offset0:113 offset1:114
	;; [unrolled: 1-line block ×16, first 2 shown]
	ds_load_b64 v[254:255], v7 offset:952
	s_mov_b32 s0, exec_lo
	s_wait_dscnt 0x10
	s_set_vgpr_msb 64                       ;  msbs: dst=1 src0=0 src1=0 src2=0
	v_dual_mov_b32 v0 /*v256*/, v189 :: v_dual_mov_b32 v1 /*v257*/, v188
	s_wait_dscnt 0xf
	v_dual_mov_b32 v2 /*v258*/, v193 :: v_dual_mov_b32 v3 /*v259*/, v192
	s_wait_dscnt 0xe
	;; [unrolled: 2-line block ×3, first 2 shown]
	v_dual_mov_b32 v6 /*v262*/, v201 :: v_dual_mov_b32 v7 /*v263*/, v200
	s_wait_loadcnt_dscnt 0x110c
	s_set_vgpr_msb 0                        ;  msbs: dst=0 src0=0 src1=0 src2=0
	v_dual_mul_f32 v9, v202, v123 :: v_dual_mul_f32 v55, v203, v123
	v_dual_mul_f32 v57, v205, v125 :: v_dual_mul_f32 v11, v204, v125
	s_wait_loadcnt_dscnt 0x100b
	v_mul_f32_e32 v13, v206, v127
	s_wait_loadcnt_dscnt 0xe09
	v_dual_mul_f32 v67, v215, v135 :: v_dual_fma_f32 v55, v202, v122, -v55
	v_dual_fmac_f32 v9, v203, v122 :: v_dual_mul_f32 v69, v217, v137
	v_dual_mul_f32 v59, v207, v127 :: v_dual_mul_f32 v61, v209, v129
	v_dual_fmac_f32 v11, v205, v124 :: v_dual_fma_f32 v57, v204, v124, -v57
	s_delay_alu instid0(VALU_DEP_3) | instskip(SKIP_3) | instid1(VALU_DEP_3)
	v_dual_add_f32 v9, 0, v9 :: v_dual_add_f32 v55, 0, v55
	v_dual_mul_f32 v15, v208, v129 :: v_dual_mul_f32 v17, v210, v131
	s_wait_loadcnt_dscnt 0xd08
	v_dual_mul_f32 v71, v219, v139 :: v_dual_fma_f32 v59, v206, v126, -v59
	v_dual_fmac_f32 v13, v207, v126 :: v_dual_add_f32 v9, v9, v11
	s_delay_alu instid0(VALU_DEP_3) | instskip(SKIP_2) | instid1(VALU_DEP_3)
	v_dual_add_f32 v11, v55, v57 :: v_dual_fmac_f32 v15, v209, v128
	v_dual_mul_f32 v63, v211, v131 :: v_dual_mul_f32 v65, v213, v133
	v_dual_mul_f32 v55, v221, v141 :: v_dual_fma_f32 v57, v208, v128, -v61
	v_dual_add_f32 v9, v9, v13 :: v_dual_add_f32 v11, v11, v59
	v_dual_mul_f32 v19, v212, v133 :: v_dual_mul_f32 v21, v214, v135
	s_wait_loadcnt_dscnt 0xc07
	v_dual_mul_f32 v13, v223, v143 :: v_dual_fma_f32 v59, v210, v130, -v63
	s_delay_alu instid0(VALU_DEP_3) | instskip(NEXT) | instid1(VALU_DEP_3)
	v_dual_fmac_f32 v17, v211, v130 :: v_dual_add_f32 v9, v9, v15
	v_dual_add_f32 v11, v11, v57 :: v_dual_fmac_f32 v19, v213, v132
	v_dual_mul_f32 v15, v225, v145 :: v_dual_fma_f32 v57, v212, v132, -v65
	s_delay_alu instid0(VALU_DEP_2) | instskip(SKIP_3) | instid1(VALU_DEP_3)
	v_dual_add_f32 v9, v9, v17 :: v_dual_add_f32 v11, v11, v59
	v_dual_mul_f32 v23, v216, v137 :: v_dual_mul_f32 v25, v218, v139
	s_wait_loadcnt_dscnt 0xb06
	v_dual_mul_f32 v17, v227, v147 :: v_dual_fma_f32 v59, v214, v134, -v67
	v_dual_fmac_f32 v21, v215, v134 :: v_dual_add_f32 v9, v9, v19
	s_delay_alu instid0(VALU_DEP_3) | instskip(SKIP_1) | instid1(VALU_DEP_2)
	v_dual_add_f32 v11, v11, v57 :: v_dual_fmac_f32 v23, v217, v136
	v_dual_mul_f32 v19, v229, v149 :: v_dual_fma_f32 v57, v216, v136, -v69
	v_dual_add_f32 v9, v9, v21 :: v_dual_add_f32 v11, v11, v59
	v_dual_mul_f32 v27, v220, v141 :: v_dual_mul_f32 v29, v222, v143
	s_wait_loadcnt_dscnt 0xa05
	v_dual_mul_f32 v21, v231, v151 :: v_dual_fma_f32 v59, v218, v138, -v71
	s_delay_alu instid0(VALU_DEP_3) | instskip(NEXT) | instid1(VALU_DEP_3)
	v_dual_fmac_f32 v25, v219, v138 :: v_dual_add_f32 v9, v9, v23
	v_dual_add_f32 v11, v11, v57 :: v_dual_fmac_f32 v27, v221, v140
	v_dual_mul_f32 v23, v233, v153 :: v_dual_fma_f32 v55, v220, v140, -v55
	s_delay_alu instid0(VALU_DEP_2) | instskip(SKIP_3) | instid1(VALU_DEP_3)
	v_dual_add_f32 v9, v9, v25 :: v_dual_add_f32 v11, v11, v59
	v_dual_mul_f32 v31, v224, v145 :: v_dual_mul_f32 v33, v226, v147
	s_wait_loadcnt_dscnt 0x904
	v_dual_mul_f32 v25, v235, v155 :: v_dual_fma_f32 v13, v222, v142, -v13
	v_dual_fmac_f32 v29, v223, v142 :: v_dual_add_f32 v9, v9, v27
	v_dual_add_f32 v11, v11, v55 :: v_dual_mul_f32 v27, v237, v157
	v_fmac_f32_e32 v31, v225, v144
	s_delay_alu instid0(VALU_DEP_3) | instskip(NEXT) | instid1(VALU_DEP_3)
	v_dual_fma_f32 v15, v224, v144, -v15 :: v_dual_add_f32 v9, v9, v29
	v_add_f32_e32 v11, v11, v13
	v_dual_mul_f32 v35, v228, v149 :: v_dual_mul_f32 v37, v230, v151
	s_wait_loadcnt_dscnt 0x803
	v_dual_mul_f32 v13, v239, v159 :: v_dual_fma_f32 v17, v226, v146, -v17
	v_dual_fmac_f32 v33, v227, v146 :: v_dual_add_f32 v9, v9, v31
	v_dual_add_f32 v11, v11, v15 :: v_dual_mul_f32 v15, v241, v161
	v_fmac_f32_e32 v35, v229, v148
	s_delay_alu instid0(VALU_DEP_3) | instskip(NEXT) | instid1(VALU_DEP_3)
	v_dual_fma_f32 v19, v228, v148, -v19 :: v_dual_add_f32 v9, v9, v33
	v_add_f32_e32 v11, v11, v17
	;; [unrolled: 9-line block ×4, first 2 shown]
	v_dual_mul_f32 v47, v240, v161 :: v_dual_mul_f32 v49, v242, v163
	s_wait_loadcnt 0x5
	v_dual_mul_f32 v25, v187, v171 :: v_dual_fma_f32 v13, v238, v158, -v13
	v_dual_fmac_f32 v45, v239, v158 :: v_dual_add_f32 v9, v9, v43
	v_dual_add_f32 v11, v11, v27 :: v_dual_mov_b32 v122, v173
	v_fmac_f32_e32 v47, v241, v160
	s_delay_alu instid0(VALU_DEP_3) | instskip(NEXT) | instid1(VALU_DEP_3)
	v_dual_fma_f32 v15, v240, v160, -v15 :: v_dual_add_f32 v9, v9, v45
	v_add_f32_e32 v11, v11, v13
	v_dual_mul_f32 v51, v244, v165 :: v_dual_mul_f32 v53, v246, v167
	s_delay_alu instid0(VALU_DEP_3) | instskip(NEXT) | instid1(VALU_DEP_3)
	v_dual_fmac_f32 v49, v243, v162 :: v_dual_add_f32 v9, v9, v47
	v_dual_fma_f32 v13, v242, v162, -v17 :: v_dual_add_f32 v11, v11, v15
	s_wait_loadcnt 0x4
	v_dual_mov_b32 v126, v177 :: v_dual_fma_f32 v15, v244, v164, -v19
	v_fmac_f32_e32 v51, v245, v164
	v_dual_add_f32 v9, v9, v49 :: v_dual_fmac_f32 v53, v247, v166
	v_add_f32_e32 v11, v11, v13
	s_set_vgpr_msb 64                       ;  msbs: dst=1 src0=0 src1=0 src2=0
	v_dual_mul_f32 v9 /*v265*/, v248, v169 :: v_dual_mul_f32 v11 /*v267*/, v186, v171
	s_set_vgpr_msb 0                        ;  msbs: dst=0 src0=0 src1=0 src2=0
	v_dual_fma_f32 v13, v246, v166, -v21 :: v_dual_add_f32 v9, v9, v51
	v_add_f32_e32 v11, v11, v15
	s_set_vgpr_msb 64                       ;  msbs: dst=1 src0=0 src1=0 src2=0
	v_dual_fmac_f32 v9 /*v265*/, v249, v168 :: v_dual_fmac_f32 v11 /*v267*/, v187, v170
	v_dual_fma_f32 v8 /*v264*/, v248, v168, -v23 :: v_dual_fma_f32 v10 /*v266*/, v186, v170, -v25
	s_set_vgpr_msb 1                        ;  msbs: dst=0 src0=1 src1=0 src2=0
	v_pk_mul_f32 v[122:123], v[0:1] /*v[256:257]*/, v[122:123] op_sel_hi:[1,0]
	s_set_vgpr_msb 0                        ;  msbs: dst=0 src0=0 src1=0 src2=0
	v_add_f32_e32 v131, v9, v53
	s_wait_loadcnt 0x3
	v_dual_add_f32 v130, v11, v13 :: v_dual_mov_b32 v132, v181
	v_pk_mul_f32 v[124:125], v[190:191], v[174:175] op_sel:[1,1] op_sel_hi:[0,1]
	v_pk_fma_f32 v[134:135], v[188:189], v[172:173], v[122:123] op_sel_hi:[1,0,1]
	v_pk_fma_f32 v[122:123], v[188:189], v[172:173], v[122:123] neg_lo:[0,0,1] neg_hi:[0,0,1]
	s_set_vgpr_msb 4                        ;  msbs: dst=0 src0=0 src1=1 src2=0
	v_pk_add_f32 v[130:131], v[130:131], v[8:9] /*v[264:265]*/
	s_set_vgpr_msb 1                        ;  msbs: dst=0 src0=1 src1=0 src2=0
	v_pk_mul_f32 v[126:127], v[2:3] /*v[258:259]*/, v[126:127] op_sel_hi:[1,0]
	s_set_vgpr_msb 0                        ;  msbs: dst=0 src0=0 src1=0 src2=0
	v_pk_fma_f32 v[136:137], v[190:191], v[174:175], v[124:125] op_sel_hi:[1,0,1]
	v_mov_b32_e32 v123, v135
	v_pk_fma_f32 v[124:125], v[190:191], v[174:175], v[124:125] neg_lo:[0,0,1] neg_hi:[0,0,1]
	s_set_vgpr_msb 4                        ;  msbs: dst=0 src0=0 src1=1 src2=0
	v_pk_add_f32 v[130:131], v[130:131], v[10:11] /*v[266:267]*/
	s_set_vgpr_msb 0                        ;  msbs: dst=0 src0=0 src1=0 src2=0
	v_pk_mul_f32 v[128:129], v[194:195], v[178:179] op_sel:[1,1] op_sel_hi:[0,1]
	v_mov_b32_e32 v125, v137
	v_pk_fma_f32 v[136:137], v[192:193], v[176:177], v[126:127] op_sel_hi:[1,0,1]
	v_pk_fma_f32 v[126:127], v[192:193], v[176:177], v[126:127] neg_lo:[0,0,1] neg_hi:[0,0,1]
	v_pk_add_f32 v[122:123], v[130:131], v[122:123]
	v_pk_fma_f32 v[130:131], v[194:195], v[178:179], v[128:129] op_sel_hi:[1,0,1]
	s_set_vgpr_msb 1                        ;  msbs: dst=0 src0=1 src1=0 src2=0
	v_pk_mul_f32 v[132:133], v[4:5] /*v[260:261]*/, v[132:133] op_sel_hi:[1,0]
	s_set_vgpr_msb 0                        ;  msbs: dst=0 src0=0 src1=0 src2=0
	v_mov_b32_e32 v127, v137
	v_pk_fma_f32 v[128:129], v[194:195], v[178:179], v[128:129] neg_lo:[0,0,1] neg_hi:[0,0,1]
	v_pk_add_f32 v[122:123], v[122:123], v[124:125]
	s_wait_loadcnt 0x2
	v_pk_mul_f32 v[134:135], v[198:199], v[182:183] op_sel:[1,1] op_sel_hi:[0,1]
	v_dual_mov_b32 v124, v185 :: v_dual_mov_b32 v129, v131
	v_pk_fma_f32 v[130:131], v[196:197], v[180:181], v[132:133] op_sel_hi:[1,0,1]
	v_pk_add_f32 v[122:123], v[122:123], v[126:127]
	v_pk_fma_f32 v[132:133], v[196:197], v[180:181], v[132:133] neg_lo:[0,0,1] neg_hi:[0,0,1]
	v_pk_fma_f32 v[126:127], v[198:199], v[182:183], v[134:135] op_sel_hi:[1,0,1]
	s_set_vgpr_msb 1                        ;  msbs: dst=0 src0=1 src1=0 src2=0
	v_pk_mul_f32 v[124:125], v[6:7] /*v[262:263]*/, v[124:125] op_sel_hi:[1,0]
	s_set_vgpr_msb 0                        ;  msbs: dst=0 src0=0 src1=0 src2=0
	v_mov_b32_e32 v133, v131
	v_pk_add_f32 v[122:123], v[122:123], v[128:129]
	v_pk_fma_f32 v[128:129], v[198:199], v[182:183], v[134:135] neg_lo:[0,0,1] neg_hi:[0,0,1]
	v_mov_b32_e32 v129, v127
	v_pk_fma_f32 v[126:127], v[200:201], v[184:185], v[124:125] op_sel_hi:[1,0,1]
	s_wait_loadcnt_dscnt 0x100
	v_pk_mul_f32 v[130:131], v[254:255], v[250:251] op_sel:[1,1] op_sel_hi:[0,1]
	v_pk_add_f32 v[122:123], v[122:123], v[132:133]
	v_pk_fma_f32 v[124:125], v[200:201], v[184:185], v[124:125] neg_lo:[0,0,1] neg_hi:[0,0,1]
	v_mov_b32_e32 v125, v127
	s_delay_alu instid0(VALU_DEP_4) | instskip(NEXT) | instid1(VALU_DEP_4)
	v_pk_fma_f32 v[126:127], v[254:255], v[250:251], v[130:131] op_sel_hi:[1,0,1]
	v_pk_add_f32 v[122:123], v[122:123], v[128:129]
	v_pk_fma_f32 v[128:129], v[254:255], v[250:251], v[130:131] neg_lo:[0,0,1] neg_hi:[0,0,1]
	s_delay_alu instid0(VALU_DEP_3) | instskip(NEXT) | instid1(VALU_DEP_3)
	v_mov_b32_e32 v129, v127
	v_pk_add_f32 v[122:123], v[122:123], v[124:125]
	s_delay_alu instid0(VALU_DEP_1) | instskip(SKIP_1) | instid1(VALU_DEP_1)
	v_pk_add_f32 v[122:123], v[122:123], v[128:129]
	s_wait_loadcnt 0x0
	v_pk_add_f32 v[122:123], v[252:253], v[122:123] neg_lo:[0,1] neg_hi:[0,1]
	scratch_store_b64 off, v[122:123], off offset:208
	s_wait_xcnt 0x0
	v_cmpx_lt_u32_e32 25, v0
	s_cbranch_execz .LBB59_323
; %bb.322:
	scratch_load_b64 v[122:123], off, off offset:200
	v_mov_b64_e32 v[124:125], 0
	scratch_store_b64 off, v[124:125], off offset:200
	s_wait_loadcnt 0x0
	ds_store_b64 v1, v[122:123]
.LBB59_323:
	s_wait_xcnt 0x0
	s_or_b32 exec_lo, exec_lo, s0
	s_wait_storecnt_dscnt 0x0
	s_barrier_signal -1
	s_barrier_wait -1
	s_clause 0x12
	scratch_load_b128 v[122:125], off, off offset:208
	scratch_load_b128 v[126:129], off, off offset:224
	;; [unrolled: 1-line block ×17, first 2 shown]
	s_set_vgpr_msb 64                       ;  msbs: dst=1 src0=0 src1=0 src2=0
	scratch_load_b64 v[2:3] /*v[258:259]*/, off, off offset:200
	s_set_vgpr_msb 0                        ;  msbs: dst=0 src0=0 src1=0 src2=0
	ds_load_b128 v[190:193], v7 offset:896
	ds_load_b128 v[194:197], v7 offset:912
	;; [unrolled: 1-line block ×17, first 2 shown]
	s_mov_b32 s0, exec_lo
	s_wait_dscnt 0x10
	s_set_vgpr_msb 64                       ;  msbs: dst=1 src0=0 src1=0 src2=0
	v_dual_mov_b32 v4 /*v260*/, v193 :: v_dual_mov_b32 v5 /*v261*/, v192
	s_wait_dscnt 0xf
	v_dual_mov_b32 v6 /*v262*/, v197 :: v_dual_mov_b32 v7 /*v263*/, v196
	s_wait_dscnt 0xe
	;; [unrolled: 2-line block ×3, first 2 shown]
	v_dual_mov_b32 v10 /*v266*/, v205 :: v_dual_mov_b32 v11 /*v267*/, v204
	s_wait_loadcnt_dscnt 0x110b
	s_set_vgpr_msb 0                        ;  msbs: dst=0 src0=0 src1=0 src2=0
	v_dual_mul_f32 v7, v210, v123 :: v_dual_mul_f32 v9, v212, v125
	s_wait_loadcnt_dscnt 0x100a
	v_dual_mul_f32 v55, v211, v123 :: v_dual_mul_f32 v61, v217, v129
	s_wait_loadcnt_dscnt 0xf09
	v_mul_f32_e32 v63, v219, v131
	v_dual_fmac_f32 v7, v211, v122 :: v_dual_fmac_f32 v9, v213, v124
	s_delay_alu instid0(VALU_DEP_3)
	v_dual_mul_f32 v57, v213, v125 :: v_dual_fma_f32 v55, v210, v122, -v55
	v_dual_mul_f32 v11, v214, v127 :: v_dual_mul_f32 v13, v216, v129
	s_wait_loadcnt_dscnt 0x600
	v_mul_f32_e32 v51, v254, v167
	s_set_vgpr_msb 1                        ;  msbs: dst=0 src0=1 src1=0 src2=0
	v_dual_mul_f32 v53, v0 /*v256*/, v169 :: v_dual_add_f32 v7, 0, v7
	s_set_vgpr_msb 0                        ;  msbs: dst=0 src0=0 src1=0 src2=0
	v_dual_mul_f32 v59, v215, v127 :: v_dual_mul_f32 v65, v221, v133
	v_dual_mul_f32 v67, v223, v135 :: v_dual_fma_f32 v57, v212, v124, -v57
	v_dual_add_f32 v55, 0, v55 :: v_dual_mul_f32 v69, v225, v137
	v_dual_fmac_f32 v11, v215, v126 :: v_dual_fmac_f32 v13, v217, v128
	s_delay_alu instid0(VALU_DEP_4) | instskip(NEXT) | instid1(VALU_DEP_3)
	v_dual_fma_f32 v59, v214, v126, -v59 :: v_dual_add_f32 v7, v7, v9
	v_dual_add_f32 v9, v55, v57 :: v_dual_fma_f32 v57, v216, v128, -v61
	v_dual_mul_f32 v15, v218, v131 :: v_dual_mul_f32 v17, v220, v133
	s_delay_alu instid0(VALU_DEP_3) | instskip(NEXT) | instid1(VALU_DEP_3)
	v_add_f32_e32 v7, v7, v11
	v_dual_add_f32 v9, v9, v59 :: v_dual_fma_f32 v59, v218, v130, -v63
	s_delay_alu instid0(VALU_DEP_3) | instskip(SKIP_1) | instid1(VALU_DEP_4)
	v_dual_fmac_f32 v15, v219, v130 :: v_dual_mul_f32 v19, v222, v135
	v_mul_f32_e32 v21, v224, v137
	v_dual_add_f32 v7, v7, v13 :: v_dual_fmac_f32 v17, v221, v132
	s_delay_alu instid0(VALU_DEP_4) | instskip(NEXT) | instid1(VALU_DEP_2)
	v_dual_add_f32 v9, v9, v57 :: v_dual_mul_f32 v13, v231, v143
	v_dual_fma_f32 v57, v220, v132, -v65 :: v_dual_add_f32 v7, v7, v15
	v_mul_f32_e32 v15, v233, v145
	s_delay_alu instid0(VALU_DEP_3) | instskip(NEXT) | instid1(VALU_DEP_3)
	v_dual_add_f32 v9, v9, v59 :: v_dual_fmac_f32 v19, v223, v134
	v_dual_fma_f32 v59, v222, v134, -v67 :: v_dual_add_f32 v7, v7, v17
	v_fmac_f32_e32 v21, v225, v136
	s_delay_alu instid0(VALU_DEP_3) | instskip(SKIP_3) | instid1(VALU_DEP_3)
	v_dual_add_f32 v9, v9, v57 :: v_dual_mul_f32 v17, v235, v147
	v_dual_mul_f32 v23, v226, v139 :: v_dual_mul_f32 v25, v228, v141
	v_dual_mul_f32 v55, v227, v139 :: v_dual_mul_f32 v11, v229, v141
	v_dual_fma_f32 v57, v224, v136, -v69 :: v_dual_add_f32 v7, v7, v19
	v_dual_add_f32 v9, v9, v59 :: v_dual_fmac_f32 v23, v227, v138
	s_delay_alu instid0(VALU_DEP_3) | instskip(NEXT) | instid1(VALU_DEP_3)
	v_dual_mul_f32 v19, v237, v149 :: v_dual_fma_f32 v55, v226, v138, -v55
	v_dual_add_f32 v7, v7, v21 :: v_dual_fmac_f32 v25, v229, v140
	s_delay_alu instid0(VALU_DEP_3) | instskip(SKIP_1) | instid1(VALU_DEP_3)
	v_dual_add_f32 v9, v9, v57 :: v_dual_mul_f32 v21, v239, v151
	v_dual_mul_f32 v27, v230, v143 :: v_dual_mul_f32 v29, v232, v145
	v_dual_fma_f32 v11, v228, v140, -v11 :: v_dual_add_f32 v7, v7, v23
	s_delay_alu instid0(VALU_DEP_2) | instskip(SKIP_1) | instid1(VALU_DEP_2)
	v_dual_add_f32 v9, v9, v55 :: v_dual_fmac_f32 v27, v231, v142
	v_dual_mul_f32 v23, v241, v153 :: v_dual_fma_f32 v13, v230, v142, -v13
	v_dual_add_f32 v7, v7, v25 :: v_dual_add_f32 v9, v9, v11
	v_dual_mul_f32 v31, v234, v147 :: v_dual_mul_f32 v33, v236, v149
	v_dual_mul_f32 v11, v243, v155 :: v_dual_fmac_f32 v29, v233, v144
	s_delay_alu instid0(VALU_DEP_3) | instskip(NEXT) | instid1(VALU_DEP_3)
	v_dual_fma_f32 v15, v232, v144, -v15 :: v_dual_add_f32 v7, v7, v27
	v_dual_add_f32 v9, v9, v13 :: v_dual_fmac_f32 v31, v235, v146
	v_dual_mul_f32 v13, v245, v157 :: v_dual_fma_f32 v17, v234, v146, -v17
	s_delay_alu instid0(VALU_DEP_2) | instskip(SKIP_2) | instid1(VALU_DEP_3)
	v_dual_add_f32 v7, v7, v29 :: v_dual_add_f32 v9, v9, v15
	v_dual_mul_f32 v35, v238, v151 :: v_dual_mul_f32 v37, v240, v153
	v_dual_mul_f32 v15, v247, v159 :: v_dual_fmac_f32 v33, v237, v148
	v_dual_fma_f32 v19, v236, v148, -v19 :: v_dual_add_f32 v7, v7, v31
	s_delay_alu instid0(VALU_DEP_3) | instskip(SKIP_1) | instid1(VALU_DEP_2)
	v_dual_add_f32 v9, v9, v17 :: v_dual_fmac_f32 v35, v239, v150
	v_dual_mul_f32 v17, v249, v161 :: v_dual_fma_f32 v21, v238, v150, -v21
	v_dual_add_f32 v7, v7, v33 :: v_dual_add_f32 v9, v9, v19
	v_dual_mul_f32 v39, v242, v155 :: v_dual_mul_f32 v41, v244, v157
	v_dual_mul_f32 v19, v251, v163 :: v_dual_fmac_f32 v37, v241, v152
	s_delay_alu instid0(VALU_DEP_3) | instskip(NEXT) | instid1(VALU_DEP_3)
	v_dual_fma_f32 v23, v240, v152, -v23 :: v_dual_add_f32 v7, v7, v35
	v_dual_add_f32 v9, v9, v21 :: v_dual_fmac_f32 v39, v243, v154
	v_dual_mul_f32 v21, v253, v165 :: v_dual_fma_f32 v11, v242, v154, -v11
	s_delay_alu instid0(VALU_DEP_2) | instskip(SKIP_2) | instid1(VALU_DEP_3)
	v_dual_add_f32 v7, v7, v37 :: v_dual_add_f32 v9, v9, v23
	v_dual_mul_f32 v43, v246, v159 :: v_dual_mul_f32 v45, v248, v161
	v_dual_mul_f32 v23, v255, v167 :: v_dual_fmac_f32 v41, v245, v156
	v_dual_fma_f32 v13, v244, v156, -v13 :: v_dual_add_f32 v7, v7, v39
	s_delay_alu instid0(VALU_DEP_3) | instskip(SKIP_2) | instid1(VALU_DEP_4)
	v_dual_add_f32 v9, v9, v11 :: v_dual_fmac_f32 v43, v247, v158
	v_fma_f32 v15, v246, v158, -v15
	v_dual_mul_f32 v47, v250, v163 :: v_dual_mul_f32 v49, v252, v165
	v_add_f32_e32 v7, v7, v41
	s_wait_loadcnt 0x5
	v_dual_add_f32 v9, v9, v13 :: v_dual_mul_f32 v13, v207, v171
	v_fmac_f32_e32 v45, v249, v160
	s_delay_alu instid0(VALU_DEP_3) | instskip(NEXT) | instid1(VALU_DEP_3)
	v_dual_fma_f32 v17, v248, v160, -v17 :: v_dual_add_f32 v7, v7, v43
	v_add_f32_e32 v9, v9, v15
	v_dual_mul_f32 v15, v209, v173 :: v_dual_fmac_f32 v47, v251, v162
	s_delay_alu instid0(VALU_DEP_3) | instskip(NEXT) | instid1(VALU_DEP_3)
	v_dual_fma_f32 v19, v250, v162, -v19 :: v_dual_add_f32 v7, v7, v45
	v_dual_add_f32 v9, v9, v17 :: v_dual_fma_f32 v17, v252, v164, -v21
	v_fmac_f32_e32 v49, v253, v164
	s_set_vgpr_msb 1                        ;  msbs: dst=0 src0=1 src1=0 src2=0
	v_dual_mul_f32 v11, v1 /*v257*/, v169 :: v_dual_fmac_f32 v53, v1 /*v257*/, v168
	s_set_vgpr_msb 0                        ;  msbs: dst=0 src0=0 src1=0 src2=0
	v_add_f32_e32 v7, v7, v47
	v_dual_add_f32 v9, v9, v19 :: v_dual_fmac_f32 v51, v255, v166
	s_wait_loadcnt 0x4
	v_dual_mov_b32 v124, v177 :: v_dual_fma_f32 v19, v254, v166, -v23
	s_set_vgpr_msb 64                       ;  msbs: dst=1 src0=0 src1=0 src2=0
	v_dual_mul_f32 v13 /*v269*/, v206, v171 :: v_dual_mul_f32 v15 /*v271*/, v208, v173
	s_set_vgpr_msb 0                        ;  msbs: dst=0 src0=0 src1=0 src2=0
	v_add_f32_e32 v9, v9, v17
	v_add_f32_e32 v7, v7, v49
	s_set_vgpr_msb 1                        ;  msbs: dst=0 src0=1 src1=0 src2=0
	v_fma_f32 v11, v0 /*v256*/, v168, -v11
	s_set_vgpr_msb 0                        ;  msbs: dst=0 src0=0 src1=0 src2=0
	v_pk_mul_f32 v[122:123], v[190:191], v[174:175] op_sel:[1,1] op_sel_hi:[0,1]
	s_set_vgpr_msb 64                       ;  msbs: dst=1 src0=0 src1=0 src2=0
	v_dual_fmac_f32 v13 /*v269*/, v207, v170 :: v_dual_fmac_f32 v15 /*v271*/, v209, v172
	s_set_vgpr_msb 0                        ;  msbs: dst=0 src0=0 src1=0 src2=0
	v_add_f32_e32 v9, v9, v19
	s_wait_loadcnt 0x3
	v_dual_add_f32 v7, v7, v51 :: v_dual_mov_b32 v128, v181
	s_set_vgpr_msb 64                       ;  msbs: dst=1 src0=0 src1=0 src2=0
	v_dual_fma_f32 v12 /*v268*/, v206, v170, -v13 :: v_dual_fma_f32 v14 /*v270*/, v208, v172, -v15
	s_set_vgpr_msb 0                        ;  msbs: dst=0 src0=0 src1=0 src2=0
	s_delay_alu instid0(VALU_DEP_2)
	v_dual_add_f32 v130, v9, v11 :: v_dual_add_f32 v131, v7, v53
	v_pk_fma_f32 v[132:133], v[190:191], v[174:175], v[122:123] op_sel_hi:[1,0,1]
	s_set_vgpr_msb 1                        ;  msbs: dst=0 src0=1 src1=0 src2=0
	v_pk_mul_f32 v[124:125], v[4:5] /*v[260:261]*/, v[124:125] op_sel_hi:[1,0]
	s_set_vgpr_msb 0                        ;  msbs: dst=0 src0=0 src1=0 src2=0
	v_pk_fma_f32 v[122:123], v[190:191], v[174:175], v[122:123] neg_lo:[0,0,1] neg_hi:[0,0,1]
	v_pk_mul_f32 v[126:127], v[194:195], v[178:179] op_sel:[1,1] op_sel_hi:[0,1]
	s_set_vgpr_msb 4                        ;  msbs: dst=0 src0=0 src1=1 src2=0
	v_pk_add_f32 v[130:131], v[130:131], v[12:13] /*v[268:269]*/
	v_mov_b32_e32 v123, v133
	s_set_vgpr_msb 0                        ;  msbs: dst=0 src0=0 src1=0 src2=0
	v_pk_fma_f32 v[132:133], v[192:193], v[176:177], v[124:125] op_sel_hi:[1,0,1]
	v_pk_fma_f32 v[124:125], v[192:193], v[176:177], v[124:125] neg_lo:[0,0,1] neg_hi:[0,0,1]
	v_pk_fma_f32 v[136:137], v[194:195], v[178:179], v[126:127] op_sel_hi:[1,0,1]
	s_set_vgpr_msb 4                        ;  msbs: dst=0 src0=0 src1=1 src2=0
	v_pk_add_f32 v[130:131], v[130:131], v[14:15] /*v[270:271]*/
	s_set_vgpr_msb 1                        ;  msbs: dst=0 src0=1 src1=0 src2=0
	v_pk_mul_f32 v[128:129], v[6:7] /*v[262:263]*/, v[128:129] op_sel_hi:[1,0]
	s_set_vgpr_msb 0                        ;  msbs: dst=0 src0=0 src1=0 src2=0
	v_mov_b32_e32 v125, v133
	s_wait_loadcnt 0x2
	v_pk_mul_f32 v[134:135], v[198:199], v[182:183] op_sel:[1,1] op_sel_hi:[0,1]
	v_pk_fma_f32 v[126:127], v[194:195], v[178:179], v[126:127] neg_lo:[0,0,1] neg_hi:[0,0,1]
	v_pk_add_f32 v[122:123], v[130:131], v[122:123]
	v_dual_mov_b32 v130, v185 :: v_dual_mov_b32 v127, v137
	v_pk_fma_f32 v[132:133], v[196:197], v[180:181], v[128:129] op_sel_hi:[1,0,1]
	v_pk_fma_f32 v[128:129], v[196:197], v[180:181], v[128:129] neg_lo:[0,0,1] neg_hi:[0,0,1]
	s_delay_alu instid0(VALU_DEP_4)
	v_pk_add_f32 v[122:123], v[122:123], v[124:125]
	v_pk_fma_f32 v[124:125], v[198:199], v[182:183], v[134:135] op_sel_hi:[1,0,1]
	s_set_vgpr_msb 1                        ;  msbs: dst=0 src0=1 src1=0 src2=0
	v_pk_mul_f32 v[130:131], v[8:9] /*v[264:265]*/, v[130:131] op_sel_hi:[1,0]
	s_set_vgpr_msb 0                        ;  msbs: dst=0 src0=0 src1=0 src2=0
	v_mov_b32_e32 v129, v133
	v_pk_fma_f32 v[132:133], v[198:199], v[182:183], v[134:135] neg_lo:[0,0,1] neg_hi:[0,0,1]
	v_pk_add_f32 v[122:123], v[122:123], v[126:127]
	v_mov_b32_e32 v133, v125
	v_pk_fma_f32 v[124:125], v[200:201], v[184:185], v[130:131] op_sel_hi:[1,0,1]
	s_wait_loadcnt 0x1
	v_pk_mul_f32 v[126:127], v[202:203], v[186:187] op_sel:[1,1] op_sel_hi:[0,1]
	v_mov_b32_e32 v124, v189
	v_pk_add_f32 v[122:123], v[122:123], v[128:129]
	v_pk_fma_f32 v[130:131], v[200:201], v[184:185], v[130:131] neg_lo:[0,0,1] neg_hi:[0,0,1]
	v_mov_b32_e32 v131, v125
	v_pk_fma_f32 v[128:129], v[202:203], v[186:187], v[126:127] op_sel_hi:[1,0,1]
	s_set_vgpr_msb 1                        ;  msbs: dst=0 src0=1 src1=0 src2=0
	v_pk_mul_f32 v[124:125], v[10:11] /*v[266:267]*/, v[124:125] op_sel_hi:[1,0]
	s_set_vgpr_msb 0                        ;  msbs: dst=0 src0=0 src1=0 src2=0
	v_pk_add_f32 v[122:123], v[122:123], v[132:133]
	v_pk_fma_f32 v[126:127], v[202:203], v[186:187], v[126:127] neg_lo:[0,0,1] neg_hi:[0,0,1]
	v_mov_b32_e32 v127, v129
	v_pk_fma_f32 v[128:129], v[204:205], v[188:189], v[124:125] op_sel_hi:[1,0,1]
	s_delay_alu instid0(VALU_DEP_4) | instskip(SKIP_1) | instid1(VALU_DEP_3)
	v_pk_add_f32 v[122:123], v[122:123], v[130:131]
	v_pk_fma_f32 v[124:125], v[204:205], v[188:189], v[124:125] neg_lo:[0,0,1] neg_hi:[0,0,1]
	v_mov_b32_e32 v125, v129
	s_delay_alu instid0(VALU_DEP_3) | instskip(NEXT) | instid1(VALU_DEP_1)
	v_pk_add_f32 v[122:123], v[122:123], v[126:127]
	v_pk_add_f32 v[122:123], v[122:123], v[124:125]
	s_wait_loadcnt 0x0
	s_set_vgpr_msb 1                        ;  msbs: dst=0 src0=1 src1=0 src2=0
	s_delay_alu instid0(VALU_DEP_1)
	v_pk_add_f32 v[122:123], v[2:3] /*v[258:259]*/, v[122:123] neg_lo:[0,1] neg_hi:[0,1]
	scratch_store_b64 off, v[122:123], off offset:200
	s_wait_xcnt 0x0
	v_cmpx_lt_u32_e32 24, v0
	s_set_vgpr_msb 0                        ;  msbs: dst=0 src0=0 src1=0 src2=0
	s_cbranch_execz .LBB59_325
; %bb.324:
	scratch_load_b64 v[122:123], off, off offset:192
	v_mov_b64_e32 v[124:125], 0
	scratch_store_b64 off, v[124:125], off offset:192
	s_wait_loadcnt 0x0
	ds_store_b64 v1, v[122:123]
.LBB59_325:
	s_wait_xcnt 0x0
	s_or_b32 exec_lo, exec_lo, s0
	s_wait_storecnt_dscnt 0x0
	s_barrier_signal -1
	s_barrier_wait -1
	s_clause 0x13
	scratch_load_b128 v[122:125], off, off offset:200
	scratch_load_b128 v[126:129], off, off offset:216
	;; [unrolled: 1-line block ×17, first 2 shown]
	s_set_vgpr_msb 64                       ;  msbs: dst=1 src0=0 src1=0 src2=0
	scratch_load_b64 v[2:3] /*v[258:259]*/, off, off offset:472
	scratch_load_b64 v[4:5] /*v[260:261]*/, off, off offset:192
	s_set_vgpr_msb 0                        ;  msbs: dst=0 src0=0 src1=0 src2=0
	v_mov_b32_e32 v7, 0
	ds_load_2addr_b64 v[190:193], v7 offset0:111 offset1:112
	ds_load_2addr_b64 v[194:197], v7 offset0:113 offset1:114
	;; [unrolled: 1-line block ×17, first 2 shown]
	s_set_vgpr_msb 64                       ;  msbs: dst=1 src0=0 src1=0 src2=0
	ds_load_b64 v[6:7] /*v[262:263]*/, v7 offset:952
	s_mov_b32 s0, exec_lo
	s_wait_dscnt 0x11
	v_dual_mov_b32 v8 /*v264*/, v193 :: v_dual_mov_b32 v9 /*v265*/, v192
	s_wait_dscnt 0x10
	v_dual_mov_b32 v10 /*v266*/, v197 :: v_dual_mov_b32 v11 /*v267*/, v196
	;; [unrolled: 2-line block ×4, first 2 shown]
	s_wait_loadcnt_dscnt 0x120c
	s_set_vgpr_msb 0                        ;  msbs: dst=0 src0=0 src1=0 src2=0
	v_dual_mul_f32 v9, v210, v123 :: v_dual_mul_f32 v59, v211, v123
	s_wait_loadcnt_dscnt 0x110b
	v_mul_f32_e32 v65, v217, v129
	v_dual_mul_f32 v11, v212, v125 :: v_dual_mul_f32 v13, v214, v127
	s_wait_loadcnt_dscnt 0x100a
	v_dual_mul_f32 v67, v219, v131 :: v_dual_fma_f32 v59, v210, v122, -v59
	s_delay_alu instid0(VALU_DEP_2)
	v_dual_fmac_f32 v9, v211, v122 :: v_dual_fmac_f32 v11, v213, v124
	v_dual_mul_f32 v61, v213, v125 :: v_dual_mul_f32 v63, v215, v127
	s_wait_loadcnt 0x6
	v_dual_mul_f32 v69, v221, v133 :: v_dual_mul_f32 v57, v202, v171
	s_wait_dscnt 0x1
	s_set_vgpr_msb 1                        ;  msbs: dst=0 src0=1 src1=0 src2=0
	v_dual_mul_f32 v55, v0 /*v256*/, v169 :: v_dual_add_f32 v59, 0, v59
	s_set_vgpr_msb 0                        ;  msbs: dst=0 src0=0 src1=0 src2=0
	v_dual_fma_f32 v61, v212, v124, -v61 :: v_dual_add_f32 v9, 0, v9
	v_dual_mul_f32 v15, v216, v129 :: v_dual_mul_f32 v17, v218, v131
	v_dual_mul_f32 v75, v227, v139 :: v_dual_fma_f32 v63, v214, v126, -v63
	s_delay_alu instid0(VALU_DEP_3) | instskip(NEXT) | instid1(VALU_DEP_3)
	v_dual_fmac_f32 v13, v215, v126 :: v_dual_add_f32 v9, v9, v11
	v_dual_add_f32 v11, v59, v61 :: v_dual_fmac_f32 v15, v217, v128
	v_dual_mul_f32 v59, v229, v141 :: v_dual_fma_f32 v61, v216, v128, -v65
	s_delay_alu instid0(VALU_DEP_2) | instskip(SKIP_2) | instid1(VALU_DEP_3)
	v_dual_add_f32 v9, v9, v13 :: v_dual_add_f32 v11, v11, v63
	v_dual_mul_f32 v19, v220, v133 :: v_dual_mul_f32 v21, v222, v135
	v_dual_mul_f32 v13, v231, v143 :: v_dual_fma_f32 v63, v218, v130, -v67
	v_dual_fmac_f32 v17, v219, v130 :: v_dual_add_f32 v9, v9, v15
	s_delay_alu instid0(VALU_DEP_3) | instskip(SKIP_2) | instid1(VALU_DEP_3)
	v_dual_add_f32 v11, v11, v61 :: v_dual_fmac_f32 v19, v221, v132
	v_dual_mul_f32 v71, v223, v135 :: v_dual_mul_f32 v73, v225, v137
	v_dual_mul_f32 v15, v233, v145 :: v_dual_fma_f32 v61, v220, v132, -v69
	v_dual_add_f32 v9, v9, v17 :: v_dual_add_f32 v11, v11, v63
	v_dual_mul_f32 v23, v224, v137 :: v_dual_mul_f32 v25, v226, v139
	s_delay_alu instid0(VALU_DEP_4) | instskip(NEXT) | instid1(VALU_DEP_3)
	v_dual_mul_f32 v17, v235, v147 :: v_dual_fma_f32 v63, v222, v134, -v71
	v_dual_fmac_f32 v21, v223, v134 :: v_dual_add_f32 v9, v9, v19
	s_delay_alu instid0(VALU_DEP_3) | instskip(SKIP_1) | instid1(VALU_DEP_2)
	v_dual_add_f32 v11, v11, v61 :: v_dual_fmac_f32 v23, v225, v136
	v_dual_mul_f32 v19, v237, v149 :: v_dual_fma_f32 v61, v224, v136, -v73
	v_dual_add_f32 v9, v9, v21 :: v_dual_add_f32 v11, v11, v63
	v_dual_mul_f32 v27, v228, v141 :: v_dual_mul_f32 v29, v230, v143
	v_dual_mul_f32 v21, v239, v151 :: v_dual_fma_f32 v63, v226, v138, -v75
	s_delay_alu instid0(VALU_DEP_3) | instskip(NEXT) | instid1(VALU_DEP_3)
	v_dual_fmac_f32 v25, v227, v138 :: v_dual_add_f32 v9, v9, v23
	v_dual_add_f32 v11, v11, v61 :: v_dual_fmac_f32 v27, v229, v140
	v_dual_mul_f32 v23, v241, v153 :: v_dual_fma_f32 v59, v228, v140, -v59
	s_delay_alu instid0(VALU_DEP_2) | instskip(SKIP_2) | instid1(VALU_DEP_3)
	v_dual_add_f32 v9, v9, v25 :: v_dual_add_f32 v11, v11, v63
	v_dual_mul_f32 v31, v232, v145 :: v_dual_mul_f32 v33, v234, v147
	v_dual_mul_f32 v25, v243, v155 :: v_dual_fma_f32 v13, v230, v142, -v13
	v_dual_fmac_f32 v29, v231, v142 :: v_dual_add_f32 v9, v9, v27
	s_delay_alu instid0(VALU_DEP_4) | instskip(NEXT) | instid1(VALU_DEP_4)
	v_dual_add_f32 v11, v11, v59 :: v_dual_mul_f32 v27, v245, v157
	v_fmac_f32_e32 v31, v233, v144
	s_delay_alu instid0(VALU_DEP_3) | instskip(NEXT) | instid1(VALU_DEP_3)
	v_dual_fma_f32 v15, v232, v144, -v15 :: v_dual_add_f32 v9, v9, v29
	v_add_f32_e32 v11, v11, v13
	v_dual_mul_f32 v35, v236, v149 :: v_dual_mul_f32 v37, v238, v151
	v_dual_mul_f32 v13, v247, v159 :: v_dual_fma_f32 v17, v234, v146, -v17
	s_delay_alu instid0(VALU_DEP_4) | instskip(NEXT) | instid1(VALU_DEP_4)
	v_dual_fmac_f32 v33, v235, v146 :: v_dual_add_f32 v9, v9, v31
	v_dual_add_f32 v11, v11, v15 :: v_dual_mul_f32 v15, v249, v161
	s_delay_alu instid0(VALU_DEP_4) | instskip(NEXT) | instid1(VALU_DEP_3)
	v_fmac_f32_e32 v35, v237, v148
	v_dual_fma_f32 v19, v236, v148, -v19 :: v_dual_add_f32 v9, v9, v33
	s_delay_alu instid0(VALU_DEP_3) | instskip(SKIP_2) | instid1(VALU_DEP_4)
	v_add_f32_e32 v11, v11, v17
	v_dual_mul_f32 v39, v240, v153 :: v_dual_mul_f32 v41, v242, v155
	v_dual_mul_f32 v17, v251, v163 :: v_dual_fma_f32 v21, v238, v150, -v21
	v_dual_fmac_f32 v37, v239, v150 :: v_dual_add_f32 v9, v9, v35
	s_delay_alu instid0(VALU_DEP_4) | instskip(NEXT) | instid1(VALU_DEP_4)
	v_dual_add_f32 v11, v11, v19 :: v_dual_mul_f32 v19, v253, v165
	v_fmac_f32_e32 v39, v241, v152
	s_delay_alu instid0(VALU_DEP_3) | instskip(NEXT) | instid1(VALU_DEP_3)
	v_dual_fma_f32 v23, v240, v152, -v23 :: v_dual_add_f32 v9, v9, v37
	v_add_f32_e32 v11, v11, v21
	v_dual_mul_f32 v43, v244, v157 :: v_dual_mul_f32 v45, v246, v159
	v_dual_mul_f32 v21, v255, v167 :: v_dual_fma_f32 v25, v242, v154, -v25
	s_delay_alu instid0(VALU_DEP_4) | instskip(NEXT) | instid1(VALU_DEP_3)
	v_dual_fmac_f32 v41, v243, v154 :: v_dual_add_f32 v9, v9, v39
	v_dual_add_f32 v11, v11, v23 :: v_dual_fmac_f32 v43, v245, v156
	v_fma_f32 v27, v244, v156, -v27
	v_dual_mul_f32 v47, v248, v161 :: v_dual_mul_f32 v49, v250, v163
	s_delay_alu instid0(VALU_DEP_4) | instskip(NEXT) | instid1(VALU_DEP_4)
	v_add_f32_e32 v9, v9, v41
	v_dual_add_f32 v11, v11, v25 :: v_dual_fma_f32 v13, v246, v158, -v13
	s_delay_alu instid0(VALU_DEP_3) | instskip(NEXT) | instid1(VALU_DEP_3)
	v_dual_fmac_f32 v45, v247, v158 :: v_dual_fmac_f32 v47, v249, v160
	v_add_f32_e32 v9, v9, v43
	s_delay_alu instid0(VALU_DEP_3) | instskip(SKIP_1) | instid1(VALU_DEP_3)
	v_dual_add_f32 v11, v11, v27 :: v_dual_fma_f32 v15, v248, v160, -v15
	v_dual_mul_f32 v51, v252, v165 :: v_dual_mul_f32 v53, v254, v167
	v_add_f32_e32 v9, v9, v45
	s_delay_alu instid0(VALU_DEP_3) | instskip(NEXT) | instid1(VALU_DEP_3)
	v_dual_add_f32 v11, v11, v13 :: v_dual_fma_f32 v17, v250, v162, -v17
	v_dual_fmac_f32 v49, v251, v162 :: v_dual_fmac_f32 v51, v253, v164
	s_delay_alu instid0(VALU_DEP_3) | instskip(NEXT) | instid1(VALU_DEP_3)
	v_add_f32_e32 v9, v9, v47
	v_dual_add_f32 v11, v11, v15 :: v_dual_fma_f32 v15, v252, v164, -v19
	s_set_vgpr_msb 1                        ;  msbs: dst=0 src0=1 src1=0 src2=0
	v_dual_mul_f32 v23, v1 /*v257*/, v169 :: v_dual_fmac_f32 v55, v1 /*v257*/, v168
	s_set_vgpr_msb 0                        ;  msbs: dst=0 src0=0 src1=0 src2=0
	v_add_f32_e32 v9, v9, v49
	v_dual_add_f32 v11, v11, v17 :: v_dual_fma_f32 v17, v254, v166, -v21
	v_fmac_f32_e32 v53, v255, v166
	v_dual_mul_f32 v25, v203, v171 :: v_dual_mul_f32 v27, v205, v173
	s_delay_alu instid0(VALU_DEP_4)
	v_add_f32_e32 v9, v9, v51
	s_wait_loadcnt 0x4
	v_dual_add_f32 v11, v11, v15 :: v_dual_mov_b32 v126, v181
	s_set_vgpr_msb 1                        ;  msbs: dst=0 src0=1 src1=0 src2=0
	v_fma_f32 v15, v0 /*v256*/, v168, -v23
	s_set_vgpr_msb 64                       ;  msbs: dst=1 src0=0 src1=0 src2=0
	v_dual_mul_f32 v17 /*v273*/, v204, v173 :: v_dual_mul_f32 v19 /*v275*/, v190, v175
	s_set_vgpr_msb 0                        ;  msbs: dst=0 src0=0 src1=0 src2=0
	v_dual_add_f32 v9, v9, v53 :: v_dual_fmac_f32 v57, v203, v170
	v_dual_add_f32 v11, v11, v17 :: v_dual_fma_f32 v17, v202, v170, -v25
	v_dual_mul_f32 v13, v191, v175 :: v_dual_mov_b32 v122, v177
	s_set_vgpr_msb 64                       ;  msbs: dst=1 src0=0 src1=0 src2=0
	v_dual_fmac_f32 v17 /*v273*/, v205, v172 :: v_dual_fmac_f32 v19 /*v275*/, v191, v174
	s_set_vgpr_msb 0                        ;  msbs: dst=0 src0=0 src1=0 src2=0
	v_add_f32_e32 v11, v11, v15
	v_add_f32_e32 v9, v9, v55
	s_set_vgpr_msb 64                       ;  msbs: dst=1 src0=0 src1=0 src2=0
	v_dual_fma_f32 v16 /*v272*/, v204, v172, -v27 :: v_dual_fma_f32 v18 /*v274*/, v190, v174, -v13
	s_set_vgpr_msb 1                        ;  msbs: dst=0 src0=1 src1=0 src2=0
	v_pk_mul_f32 v[122:123], v[8:9] /*v[264:265]*/, v[122:123] op_sel_hi:[1,0]
	s_set_vgpr_msb 0                        ;  msbs: dst=0 src0=0 src1=0 src2=0
	v_add_f32_e32 v130, v11, v17
	v_add_f32_e32 v131, v9, v57
	v_pk_mul_f32 v[124:125], v[194:195], v[178:179] op_sel:[1,1] op_sel_hi:[0,1]
	s_set_vgpr_msb 1                        ;  msbs: dst=0 src0=1 src1=0 src2=0
	v_pk_mul_f32 v[126:127], v[10:11] /*v[266:267]*/, v[126:127] op_sel_hi:[1,0]
	s_set_vgpr_msb 0                        ;  msbs: dst=0 src0=0 src1=0 src2=0
	v_pk_fma_f32 v[134:135], v[192:193], v[176:177], v[122:123] op_sel_hi:[1,0,1]
	v_pk_fma_f32 v[122:123], v[192:193], v[176:177], v[122:123] neg_lo:[0,0,1] neg_hi:[0,0,1]
	s_set_vgpr_msb 4                        ;  msbs: dst=0 src0=0 src1=1 src2=0
	v_pk_add_f32 v[130:131], v[130:131], v[16:17] /*v[272:273]*/
	s_wait_loadcnt 0x3
	v_mov_b32_e32 v132, v185
	s_set_vgpr_msb 0                        ;  msbs: dst=0 src0=0 src1=0 src2=0
	v_pk_fma_f32 v[136:137], v[194:195], v[178:179], v[124:125] op_sel_hi:[1,0,1]
	v_mov_b32_e32 v123, v135
	v_pk_fma_f32 v[124:125], v[194:195], v[178:179], v[124:125] neg_lo:[0,0,1] neg_hi:[0,0,1]
	s_set_vgpr_msb 4                        ;  msbs: dst=0 src0=0 src1=1 src2=0
	v_pk_add_f32 v[130:131], v[130:131], v[18:19] /*v[274:275]*/
	s_set_vgpr_msb 0                        ;  msbs: dst=0 src0=0 src1=0 src2=0
	v_pk_mul_f32 v[128:129], v[198:199], v[182:183] op_sel:[1,1] op_sel_hi:[0,1]
	v_mov_b32_e32 v125, v137
	v_pk_fma_f32 v[136:137], v[196:197], v[180:181], v[126:127] op_sel_hi:[1,0,1]
	v_pk_fma_f32 v[126:127], v[196:197], v[180:181], v[126:127] neg_lo:[0,0,1] neg_hi:[0,0,1]
	v_pk_add_f32 v[122:123], v[130:131], v[122:123]
	v_pk_fma_f32 v[130:131], v[198:199], v[182:183], v[128:129] op_sel_hi:[1,0,1]
	s_set_vgpr_msb 1                        ;  msbs: dst=0 src0=1 src1=0 src2=0
	v_pk_mul_f32 v[132:133], v[12:13] /*v[268:269]*/, v[132:133] op_sel_hi:[1,0]
	s_set_vgpr_msb 0                        ;  msbs: dst=0 src0=0 src1=0 src2=0
	v_mov_b32_e32 v127, v137
	v_pk_fma_f32 v[128:129], v[198:199], v[182:183], v[128:129] neg_lo:[0,0,1] neg_hi:[0,0,1]
	v_pk_add_f32 v[122:123], v[122:123], v[124:125]
	s_wait_loadcnt 0x2
	v_pk_mul_f32 v[134:135], v[206:207], v[186:187] op_sel:[1,1] op_sel_hi:[0,1]
	v_dual_mov_b32 v124, v189 :: v_dual_mov_b32 v129, v131
	v_pk_fma_f32 v[130:131], v[200:201], v[184:185], v[132:133] op_sel_hi:[1,0,1]
	v_pk_add_f32 v[122:123], v[122:123], v[126:127]
	v_pk_fma_f32 v[132:133], v[200:201], v[184:185], v[132:133] neg_lo:[0,0,1] neg_hi:[0,0,1]
	v_pk_fma_f32 v[126:127], v[206:207], v[186:187], v[134:135] op_sel_hi:[1,0,1]
	s_set_vgpr_msb 1                        ;  msbs: dst=0 src0=1 src1=0 src2=0
	v_pk_mul_f32 v[124:125], v[14:15] /*v[270:271]*/, v[124:125] op_sel_hi:[1,0]
	s_set_vgpr_msb 0                        ;  msbs: dst=0 src0=0 src1=0 src2=0
	v_mov_b32_e32 v133, v131
	v_pk_add_f32 v[122:123], v[122:123], v[128:129]
	v_pk_fma_f32 v[128:129], v[206:207], v[186:187], v[134:135] neg_lo:[0,0,1] neg_hi:[0,0,1]
	v_mov_b32_e32 v129, v127
	v_pk_fma_f32 v[126:127], v[208:209], v[188:189], v[124:125] op_sel_hi:[1,0,1]
	s_wait_loadcnt_dscnt 0x100
	s_set_vgpr_msb 5                        ;  msbs: dst=0 src0=1 src1=1 src2=0
	v_pk_mul_f32 v[130:131], v[6:7] /*v[262:263]*/, v[2:3] /*v[258:259]*/ op_sel:[1,1] op_sel_hi:[0,1]
	s_set_vgpr_msb 0                        ;  msbs: dst=0 src0=0 src1=0 src2=0
	v_pk_add_f32 v[122:123], v[122:123], v[132:133]
	v_pk_fma_f32 v[124:125], v[208:209], v[188:189], v[124:125] neg_lo:[0,0,1] neg_hi:[0,0,1]
	v_mov_b32_e32 v125, v127
	s_set_vgpr_msb 5                        ;  msbs: dst=0 src0=1 src1=1 src2=0
	v_pk_fma_f32 v[126:127], v[6:7] /*v[262:263]*/, v[2:3] /*v[258:259]*/, v[130:131] op_sel_hi:[1,0,1]
	s_set_vgpr_msb 0                        ;  msbs: dst=0 src0=0 src1=0 src2=0
	v_pk_add_f32 v[122:123], v[122:123], v[128:129]
	s_set_vgpr_msb 5                        ;  msbs: dst=0 src0=1 src1=1 src2=0
	v_pk_fma_f32 v[128:129], v[6:7] /*v[262:263]*/, v[2:3] /*v[258:259]*/, v[130:131] neg_lo:[0,0,1] neg_hi:[0,0,1]
	s_set_vgpr_msb 0                        ;  msbs: dst=0 src0=0 src1=0 src2=0
	v_mov_b32_e32 v129, v127
	v_pk_add_f32 v[122:123], v[122:123], v[124:125]
	s_delay_alu instid0(VALU_DEP_1) | instskip(SKIP_2) | instid1(VALU_DEP_1)
	v_pk_add_f32 v[122:123], v[122:123], v[128:129]
	s_wait_loadcnt 0x0
	s_set_vgpr_msb 1                        ;  msbs: dst=0 src0=1 src1=0 src2=0
	v_pk_add_f32 v[122:123], v[4:5] /*v[260:261]*/, v[122:123] neg_lo:[0,1] neg_hi:[0,1]
	scratch_store_b64 off, v[122:123], off offset:192
	s_wait_xcnt 0x0
	v_cmpx_lt_u32_e32 23, v0
	s_set_vgpr_msb 0                        ;  msbs: dst=0 src0=0 src1=0 src2=0
	s_cbranch_execz .LBB59_327
; %bb.326:
	scratch_load_b64 v[122:123], off, off offset:184
	v_mov_b64_e32 v[124:125], 0
	scratch_store_b64 off, v[124:125], off offset:184
	s_wait_loadcnt 0x0
	ds_store_b64 v1, v[122:123]
.LBB59_327:
	s_wait_xcnt 0x0
	s_or_b32 exec_lo, exec_lo, s0
	s_wait_storecnt_dscnt 0x0
	s_barrier_signal -1
	s_barrier_wait -1
	s_clause 0x13
	scratch_load_b128 v[122:125], off, off offset:192
	scratch_load_b128 v[126:129], off, off offset:208
	;; [unrolled: 1-line block ×18, first 2 shown]
	s_set_vgpr_msb 64                       ;  msbs: dst=1 src0=0 src1=0 src2=0
	scratch_load_b64 v[10:11] /*v[266:267]*/, off, off offset:184
	s_set_vgpr_msb 0                        ;  msbs: dst=0 src0=0 src1=0 src2=0
	ds_load_b128 v[194:197], v7 offset:896
	ds_load_b128 v[198:201], v7 offset:912
	;; [unrolled: 1-line block ×16, first 2 shown]
	s_set_vgpr_msb 64                       ;  msbs: dst=1 src0=0 src1=0 src2=0
	ds_load_b128 v[2:5] /*v[258:261]*/, v7 offset:864
	ds_load_b128 v[6:9] /*v[262:265]*/, v7 offset:880
	s_mov_b32 s0, exec_lo
	s_wait_dscnt 0x11
	v_dual_mov_b32 v12 /*v268*/, v197 :: v_dual_mov_b32 v13 /*v269*/, v196
	s_wait_dscnt 0x10
	v_dual_mov_b32 v14 /*v270*/, v201 :: v_dual_mov_b32 v15 /*v271*/, v200
	;; [unrolled: 2-line block ×4, first 2 shown]
	s_wait_loadcnt_dscnt 0x120d
	s_set_vgpr_msb 0                        ;  msbs: dst=0 src0=0 src1=0 src2=0
	v_dual_mul_f32 v7, v210, v123 :: v_dual_mul_f32 v9, v212, v125
	s_wait_loadcnt_dscnt 0x110c
	v_dual_mul_f32 v59, v211, v123 :: v_dual_mul_f32 v65, v217, v129
	v_dual_mul_f32 v11, v214, v127 :: v_dual_mul_f32 v13, v216, v129
	s_delay_alu instid0(VALU_DEP_3)
	v_dual_fmac_f32 v7, v211, v122 :: v_dual_fmac_f32 v9, v213, v124
	v_dual_mul_f32 v61, v213, v125 :: v_dual_mul_f32 v63, v215, v127
	s_wait_loadcnt_dscnt 0x702
	v_dual_mul_f32 v69, v221, v133 :: v_dual_mul_f32 v51, v254, v167
	s_wait_loadcnt_dscnt 0x601
	s_set_vgpr_msb 1                        ;  msbs: dst=0 src0=1 src1=0 src2=0
	v_dual_mul_f32 v57, v4 /*v260*/, v173 :: v_dual_add_f32 v7, 0, v7
	s_set_vgpr_msb 0                        ;  msbs: dst=0 src0=0 src1=0 src2=0
	v_dual_mul_f32 v67, v219, v131 :: v_dual_fma_f32 v59, v210, v122, -v59
	v_dual_mul_f32 v71, v223, v135 :: v_dual_fma_f32 v61, v212, v124, -v61
	v_dual_fmac_f32 v11, v215, v126 :: v_dual_fmac_f32 v13, v217, v128
	s_delay_alu instid0(VALU_DEP_3) | instskip(SKIP_2) | instid1(VALU_DEP_3)
	v_dual_add_f32 v59, 0, v59 :: v_dual_mul_f32 v73, v225, v137
	v_dual_fma_f32 v63, v214, v126, -v63 :: v_dual_add_f32 v7, v7, v9
	v_dual_mul_f32 v15, v218, v131 :: v_dual_mul_f32 v17, v220, v133
	v_dual_add_f32 v9, v59, v61 :: v_dual_fma_f32 v61, v216, v128, -v65
	s_delay_alu instid0(VALU_DEP_3) | instskip(NEXT) | instid1(VALU_DEP_3)
	v_add_f32_e32 v7, v7, v11
	v_dual_fmac_f32 v15, v219, v130 :: v_dual_mul_f32 v19, v222, v135
	s_delay_alu instid0(VALU_DEP_3) | instskip(NEXT) | instid1(VALU_DEP_3)
	v_dual_mul_f32 v21, v224, v137 :: v_dual_add_f32 v9, v9, v63
	v_dual_fma_f32 v63, v218, v130, -v67 :: v_dual_add_f32 v7, v7, v13
	v_dual_fmac_f32 v17, v221, v132 :: v_dual_mul_f32 v13, v231, v143
	s_delay_alu instid0(VALU_DEP_3) | instskip(NEXT) | instid1(VALU_DEP_3)
	v_dual_add_f32 v9, v9, v61 :: v_dual_fma_f32 v61, v220, v132, -v69
	v_add_f32_e32 v7, v7, v15
	v_dual_fmac_f32 v19, v223, v134 :: v_dual_mul_f32 v23, v226, v139
	s_delay_alu instid0(VALU_DEP_3) | instskip(NEXT) | instid1(VALU_DEP_3)
	v_dual_mul_f32 v25, v228, v141 :: v_dual_add_f32 v9, v9, v63
	v_dual_add_f32 v7, v7, v17 :: v_dual_fmac_f32 v21, v225, v136
	v_dual_mul_f32 v15, v233, v145 :: v_dual_fma_f32 v63, v222, v134, -v71
	s_delay_alu instid0(VALU_DEP_3) | instskip(NEXT) | instid1(VALU_DEP_3)
	v_dual_add_f32 v9, v9, v61 :: v_dual_mul_f32 v17, v235, v147
	v_dual_fma_f32 v61, v224, v136, -v73 :: v_dual_add_f32 v7, v7, v19
	v_dual_mul_f32 v59, v227, v139 :: v_dual_mul_f32 v11, v229, v141
	s_delay_alu instid0(VALU_DEP_3) | instskip(NEXT) | instid1(VALU_DEP_3)
	v_dual_add_f32 v9, v9, v63 :: v_dual_fmac_f32 v23, v227, v138
	v_dual_add_f32 v7, v7, v21 :: v_dual_fmac_f32 v25, v229, v140
	v_dual_mul_f32 v27, v230, v143 :: v_dual_mul_f32 v29, v232, v145
	s_delay_alu instid0(VALU_DEP_4) | instskip(NEXT) | instid1(VALU_DEP_4)
	v_dual_mul_f32 v19, v237, v149 :: v_dual_fma_f32 v59, v226, v138, -v59
	v_dual_add_f32 v9, v9, v61 :: v_dual_mul_f32 v21, v239, v151
	s_delay_alu instid0(VALU_DEP_4) | instskip(NEXT) | instid1(VALU_DEP_2)
	v_dual_fma_f32 v11, v228, v140, -v11 :: v_dual_add_f32 v7, v7, v23
	v_dual_fmac_f32 v27, v231, v142 :: v_dual_add_f32 v9, v9, v59
	v_dual_mul_f32 v31, v234, v147 :: v_dual_mul_f32 v33, v236, v149
	s_delay_alu instid0(VALU_DEP_3) | instskip(SKIP_1) | instid1(VALU_DEP_4)
	v_add_f32_e32 v7, v7, v25
	v_dual_mul_f32 v23, v241, v153 :: v_dual_fma_f32 v13, v230, v142, -v13
	v_add_f32_e32 v9, v9, v11
	v_dual_mul_f32 v11, v243, v155 :: v_dual_fmac_f32 v29, v233, v144
	s_delay_alu instid0(VALU_DEP_4) | instskip(NEXT) | instid1(VALU_DEP_3)
	v_dual_fma_f32 v15, v232, v144, -v15 :: v_dual_add_f32 v7, v7, v27
	v_dual_add_f32 v9, v9, v13 :: v_dual_fmac_f32 v31, v235, v146
	v_dual_mul_f32 v35, v238, v151 :: v_dual_mul_f32 v37, v240, v153
	s_delay_alu instid0(VALU_DEP_2) | instskip(SKIP_2) | instid1(VALU_DEP_3)
	v_dual_add_f32 v7, v7, v29 :: v_dual_add_f32 v9, v9, v15
	v_dual_mul_f32 v13, v245, v157 :: v_dual_fma_f32 v17, v234, v146, -v17
	v_dual_mul_f32 v15, v247, v159 :: v_dual_fmac_f32 v33, v237, v148
	v_dual_fma_f32 v19, v236, v148, -v19 :: v_dual_add_f32 v7, v7, v31
	s_delay_alu instid0(VALU_DEP_3) | instskip(SKIP_1) | instid1(VALU_DEP_2)
	v_dual_add_f32 v9, v9, v17 :: v_dual_fmac_f32 v35, v239, v150
	v_dual_mul_f32 v39, v242, v155 :: v_dual_mul_f32 v41, v244, v157
	v_dual_add_f32 v7, v7, v33 :: v_dual_add_f32 v9, v9, v19
	v_dual_mul_f32 v17, v249, v161 :: v_dual_fma_f32 v21, v238, v150, -v21
	v_dual_mul_f32 v19, v251, v163 :: v_dual_fmac_f32 v37, v241, v152
	s_delay_alu instid0(VALU_DEP_3) | instskip(NEXT) | instid1(VALU_DEP_3)
	v_dual_fma_f32 v23, v240, v152, -v23 :: v_dual_add_f32 v7, v7, v35
	v_dual_add_f32 v9, v9, v21 :: v_dual_fmac_f32 v39, v243, v154
	v_dual_mul_f32 v43, v246, v159 :: v_dual_mul_f32 v45, v248, v161
	s_delay_alu instid0(VALU_DEP_2) | instskip(SKIP_2) | instid1(VALU_DEP_3)
	v_dual_add_f32 v7, v7, v37 :: v_dual_add_f32 v9, v9, v23
	v_dual_mul_f32 v21, v253, v165 :: v_dual_fma_f32 v11, v242, v154, -v11
	v_dual_mul_f32 v23, v255, v167 :: v_dual_fmac_f32 v41, v245, v156
	v_dual_fma_f32 v13, v244, v156, -v13 :: v_dual_add_f32 v7, v7, v39
	s_delay_alu instid0(VALU_DEP_3) | instskip(SKIP_2) | instid1(VALU_DEP_4)
	v_dual_add_f32 v9, v9, v11 :: v_dual_fmac_f32 v43, v247, v158
	v_fma_f32 v15, v246, v158, -v15
	v_dual_mul_f32 v47, v250, v163 :: v_dual_mul_f32 v49, v252, v165
	v_add_f32_e32 v7, v7, v41
	s_delay_alu instid0(VALU_DEP_4) | instskip(NEXT) | instid1(VALU_DEP_3)
	v_dual_add_f32 v9, v9, v13 :: v_dual_fma_f32 v17, v248, v160, -v17
	v_dual_fmac_f32 v45, v249, v160 :: v_dual_fmac_f32 v47, v251, v162
	s_delay_alu instid0(VALU_DEP_3) | instskip(NEXT) | instid1(VALU_DEP_3)
	v_add_f32_e32 v7, v7, v43
	v_dual_add_f32 v9, v9, v15 :: v_dual_fma_f32 v19, v250, v162, -v19
	s_set_vgpr_msb 1                        ;  msbs: dst=0 src0=1 src1=0 src2=0
	v_dual_mul_f32 v53, v0 /*v256*/, v169 :: v_dual_mul_f32 v55, v2 /*v258*/, v171
	s_set_vgpr_msb 0                        ;  msbs: dst=0 src0=0 src1=0 src2=0
	v_add_f32_e32 v7, v7, v45
	v_dual_add_f32 v9, v9, v17 :: v_dual_fma_f32 v21, v252, v164, -v21
	v_dual_fmac_f32 v49, v253, v164 :: v_dual_fmac_f32 v51, v255, v166
	s_delay_alu instid0(VALU_DEP_3) | instskip(NEXT) | instid1(VALU_DEP_3)
	v_add_f32_e32 v7, v7, v47
	v_dual_add_f32 v9, v9, v19 :: v_dual_fma_f32 v23, v254, v166, -v23
	s_set_vgpr_msb 1                        ;  msbs: dst=0 src0=1 src1=0 src2=0
	v_dual_mul_f32 v11, v1 /*v257*/, v169 :: v_dual_mul_f32 v13, v3 /*v259*/, v171
	s_set_vgpr_msb 0                        ;  msbs: dst=0 src0=0 src1=0 src2=0
	v_add_f32_e32 v7, v7, v49
	v_add_f32_e32 v9, v9, v21
	s_set_vgpr_msb 1                        ;  msbs: dst=0 src0=1 src1=0 src2=0
	v_dual_fmac_f32 v53, v1 /*v257*/, v168 :: v_dual_fmac_f32 v55, v3 /*v259*/, v170
	s_wait_loadcnt_dscnt 0x500
	v_dual_mul_f32 v19, v9 /*v265*/, v177 :: v_dual_fma_f32 v11, v0 /*v256*/, v168, -v11
	s_set_vgpr_msb 0                        ;  msbs: dst=0 src0=0 src1=0 src2=0
	v_add_f32_e32 v7, v7, v51
	v_add_f32_e32 v9, v9, v23
	s_set_vgpr_msb 1                        ;  msbs: dst=0 src0=1 src1=0 src2=0
	v_dual_mul_f32 v15, v5 /*v261*/, v173 :: v_dual_mul_f32 v17, v7 /*v263*/, v175
	v_fma_f32 v13, v2 /*v258*/, v170, -v13
	s_wait_loadcnt 0x4
	s_set_vgpr_msb 0                        ;  msbs: dst=0 src0=0 src1=0 src2=0
	v_dual_add_f32 v7, v7, v53 :: v_dual_mov_b32 v124, v181
	s_set_vgpr_msb 1                        ;  msbs: dst=0 src0=1 src1=0 src2=0
	v_fmac_f32_e32 v57, v5 /*v261*/, v172
	s_set_vgpr_msb 0x41                     ;  msbs: dst=1 src0=1 src1=0 src2=0
	v_dual_mul_f32 v21 /*v277*/, v6 /*v262*/, v175 :: v_dual_mul_f32 v23 /*v279*/, v8 /*v264*/, v177
	s_set_vgpr_msb 0                        ;  msbs: dst=0 src0=0 src1=0 src2=0
	v_add_f32_e32 v7, v7, v55
	v_add_f32_e32 v9, v9, v11
	s_set_vgpr_msb 1                        ;  msbs: dst=0 src0=1 src1=0 src2=0
	v_fma_f32 v11, v4 /*v260*/, v172, -v15
	s_set_vgpr_msb 0                        ;  msbs: dst=0 src0=0 src1=0 src2=0
	v_pk_mul_f32 v[122:123], v[194:195], v[178:179] op_sel:[1,1] op_sel_hi:[0,1]
	s_set_vgpr_msb 0x41                     ;  msbs: dst=1 src0=1 src1=0 src2=0
	v_dual_fmac_f32 v21 /*v277*/, v7 /*v263*/, v174 :: v_dual_fmac_f32 v23 /*v279*/, v9 /*v265*/, v176
	s_set_vgpr_msb 0                        ;  msbs: dst=0 src0=0 src1=0 src2=0
	v_add_f32_e32 v131, v7, v57
	v_add_f32_e32 v9, v9, v13
	s_set_vgpr_msb 0x41                     ;  msbs: dst=1 src0=1 src1=0 src2=0
	v_dual_fma_f32 v20 /*v276*/, v6 /*v262*/, v174, -v17 :: v_dual_fma_f32 v22 /*v278*/, v8 /*v264*/, v176, -v19
	s_set_vgpr_msb 0                        ;  msbs: dst=0 src0=0 src1=0 src2=0
	v_pk_fma_f32 v[132:133], v[194:195], v[178:179], v[122:123] op_sel_hi:[1,0,1]
	s_set_vgpr_msb 1                        ;  msbs: dst=0 src0=1 src1=0 src2=0
	v_pk_mul_f32 v[124:125], v[12:13] /*v[268:269]*/, v[124:125] op_sel_hi:[1,0]
	s_set_vgpr_msb 0                        ;  msbs: dst=0 src0=0 src1=0 src2=0
	v_add_f32_e32 v130, v9, v11
	v_pk_fma_f32 v[122:123], v[194:195], v[178:179], v[122:123] neg_lo:[0,0,1] neg_hi:[0,0,1]
	s_wait_loadcnt 0x3
	v_pk_mul_f32 v[126:127], v[198:199], v[182:183] op_sel:[1,1] op_sel_hi:[0,1]
	v_dual_mov_b32 v128, v185 :: v_dual_mov_b32 v123, v133
	s_set_vgpr_msb 4                        ;  msbs: dst=0 src0=0 src1=1 src2=0
	v_pk_add_f32 v[130:131], v[130:131], v[20:21] /*v[276:277]*/
	s_set_vgpr_msb 0                        ;  msbs: dst=0 src0=0 src1=0 src2=0
	v_pk_fma_f32 v[132:133], v[196:197], v[180:181], v[124:125] op_sel_hi:[1,0,1]
	v_pk_fma_f32 v[124:125], v[196:197], v[180:181], v[124:125] neg_lo:[0,0,1] neg_hi:[0,0,1]
	v_pk_fma_f32 v[136:137], v[198:199], v[182:183], v[126:127] op_sel_hi:[1,0,1]
	s_set_vgpr_msb 1                        ;  msbs: dst=0 src0=1 src1=0 src2=0
	v_pk_mul_f32 v[128:129], v[14:15] /*v[270:271]*/, v[128:129] op_sel_hi:[1,0]
	s_set_vgpr_msb 4                        ;  msbs: dst=0 src0=0 src1=1 src2=0
	v_pk_add_f32 v[130:131], v[130:131], v[22:23] /*v[278:279]*/
	v_mov_b32_e32 v125, v133
	s_wait_loadcnt 0x2
	s_set_vgpr_msb 0                        ;  msbs: dst=0 src0=0 src1=0 src2=0
	v_pk_mul_f32 v[134:135], v[202:203], v[186:187] op_sel:[1,1] op_sel_hi:[0,1]
	v_pk_fma_f32 v[126:127], v[198:199], v[182:183], v[126:127] neg_lo:[0,0,1] neg_hi:[0,0,1]
	v_pk_fma_f32 v[132:133], v[200:201], v[184:185], v[128:129] op_sel_hi:[1,0,1]
	v_pk_add_f32 v[122:123], v[130:131], v[122:123]
	v_dual_mov_b32 v130, v189 :: v_dual_mov_b32 v127, v137
	v_pk_fma_f32 v[128:129], v[200:201], v[184:185], v[128:129] neg_lo:[0,0,1] neg_hi:[0,0,1]
	s_delay_alu instid0(VALU_DEP_4) | instskip(NEXT) | instid1(VALU_DEP_4)
	v_mov_b32_e32 v129, v133
	v_pk_add_f32 v[122:123], v[122:123], v[124:125]
	v_pk_fma_f32 v[124:125], v[202:203], v[186:187], v[134:135] op_sel_hi:[1,0,1]
	s_set_vgpr_msb 1                        ;  msbs: dst=0 src0=1 src1=0 src2=0
	v_pk_mul_f32 v[130:131], v[16:17] /*v[272:273]*/, v[130:131] op_sel_hi:[1,0]
	s_set_vgpr_msb 0                        ;  msbs: dst=0 src0=0 src1=0 src2=0
	v_pk_fma_f32 v[132:133], v[202:203], v[186:187], v[134:135] neg_lo:[0,0,1] neg_hi:[0,0,1]
	v_pk_add_f32 v[122:123], v[122:123], v[126:127]
	v_mov_b32_e32 v133, v125
	v_pk_fma_f32 v[124:125], v[204:205], v[188:189], v[130:131] op_sel_hi:[1,0,1]
	s_wait_loadcnt 0x1
	v_pk_mul_f32 v[126:127], v[206:207], v[190:191] op_sel:[1,1] op_sel_hi:[0,1]
	v_mov_b32_e32 v124, v193
	v_pk_add_f32 v[122:123], v[122:123], v[128:129]
	v_pk_fma_f32 v[130:131], v[204:205], v[188:189], v[130:131] neg_lo:[0,0,1] neg_hi:[0,0,1]
	s_delay_alu instid0(VALU_DEP_4) | instskip(SKIP_1) | instid1(VALU_DEP_4)
	v_pk_fma_f32 v[128:129], v[206:207], v[190:191], v[126:127] op_sel_hi:[1,0,1]
	v_mov_b32_e32 v131, v125
	v_pk_add_f32 v[122:123], v[122:123], v[132:133]
	s_set_vgpr_msb 1                        ;  msbs: dst=0 src0=1 src1=0 src2=0
	v_pk_mul_f32 v[124:125], v[18:19] /*v[274:275]*/, v[124:125] op_sel_hi:[1,0]
	s_set_vgpr_msb 0                        ;  msbs: dst=0 src0=0 src1=0 src2=0
	v_pk_fma_f32 v[126:127], v[206:207], v[190:191], v[126:127] neg_lo:[0,0,1] neg_hi:[0,0,1]
	v_mov_b32_e32 v127, v129
	v_pk_add_f32 v[122:123], v[122:123], v[130:131]
	v_pk_fma_f32 v[128:129], v[208:209], v[192:193], v[124:125] op_sel_hi:[1,0,1]
	v_pk_fma_f32 v[124:125], v[208:209], v[192:193], v[124:125] neg_lo:[0,0,1] neg_hi:[0,0,1]
	s_delay_alu instid0(VALU_DEP_3) | instskip(NEXT) | instid1(VALU_DEP_3)
	v_pk_add_f32 v[122:123], v[122:123], v[126:127]
	v_mov_b32_e32 v125, v129
	s_delay_alu instid0(VALU_DEP_1) | instskip(SKIP_2) | instid1(VALU_DEP_1)
	v_pk_add_f32 v[122:123], v[122:123], v[124:125]
	s_wait_loadcnt 0x0
	s_set_vgpr_msb 1                        ;  msbs: dst=0 src0=1 src1=0 src2=0
	v_pk_add_f32 v[122:123], v[10:11] /*v[266:267]*/, v[122:123] neg_lo:[0,1] neg_hi:[0,1]
	scratch_store_b64 off, v[122:123], off offset:184
	s_wait_xcnt 0x0
	v_cmpx_lt_u32_e32 22, v0
	s_set_vgpr_msb 0                        ;  msbs: dst=0 src0=0 src1=0 src2=0
	s_cbranch_execz .LBB59_329
; %bb.328:
	scratch_load_b64 v[122:123], off, off offset:176
	v_mov_b64_e32 v[124:125], 0
	scratch_store_b64 off, v[124:125], off offset:176
	s_wait_loadcnt 0x0
	ds_store_b64 v1, v[122:123]
.LBB59_329:
	s_wait_xcnt 0x0
	s_or_b32 exec_lo, exec_lo, s0
	s_wait_storecnt_dscnt 0x0
	s_barrier_signal -1
	s_barrier_wait -1
	s_clause 0x14
	scratch_load_b128 v[122:125], off, off offset:184
	scratch_load_b128 v[126:129], off, off offset:200
	;; [unrolled: 1-line block ×18, first 2 shown]
	s_set_vgpr_msb 64                       ;  msbs: dst=1 src0=0 src1=0 src2=0
	scratch_load_b64 v[10:11] /*v[266:267]*/, off, off offset:472
	scratch_load_b64 v[12:13] /*v[268:269]*/, off, off offset:176
	s_set_vgpr_msb 0                        ;  msbs: dst=0 src0=0 src1=0 src2=0
	v_mov_b32_e32 v7, 0
	ds_load_2addr_b64 v[194:197], v7 offset0:111 offset1:112
	ds_load_2addr_b64 v[198:201], v7 offset0:113 offset1:114
	;; [unrolled: 1-line block ×16, first 2 shown]
	s_set_vgpr_msb 64                       ;  msbs: dst=1 src0=0 src1=0 src2=0
	ds_load_2addr_b64 v[2:5] /*v[258:261]*/, v7 offset0:107 offset1:108
	ds_load_2addr_b64 v[6:9] /*v[262:265]*/, v7 offset0:109 offset1:110
	ds_load_b64 v[14:15] /*v[270:271]*/, v7 offset:952
	s_mov_b32 s0, exec_lo
	s_wait_dscnt 0x12
	v_dual_mov_b32 v16 /*v272*/, v197 :: v_dual_mov_b32 v17 /*v273*/, v196
	s_wait_dscnt 0x11
	v_dual_mov_b32 v18 /*v274*/, v201 :: v_dual_mov_b32 v19 /*v275*/, v200
	;; [unrolled: 2-line block ×4, first 2 shown]
	s_wait_loadcnt 0x13
	s_set_vgpr_msb 0                        ;  msbs: dst=0 src0=0 src1=0 src2=0
	v_dual_mul_f32 v9, v206, v123 :: v_dual_mul_f32 v63, v207, v123
	v_dual_mul_f32 v65, v209, v125 :: v_dual_mul_f32 v11, v208, v125
	s_wait_loadcnt 0x12
	v_mul_f32_e32 v13, v210, v127
	s_wait_loadcnt_dscnt 0x100b
	v_dual_mul_f32 v75, v223, v135 :: v_dual_fma_f32 v63, v206, v122, -v63
	v_dual_fmac_f32 v9, v207, v122 :: v_dual_mul_f32 v77, v225, v137
	v_dual_mul_f32 v67, v211, v127 :: v_dual_mul_f32 v69, v213, v129
	v_dual_fmac_f32 v11, v209, v124 :: v_dual_fma_f32 v65, v208, v124, -v65
	s_delay_alu instid0(VALU_DEP_3) | instskip(SKIP_3) | instid1(VALU_DEP_3)
	v_dual_add_f32 v9, 0, v9 :: v_dual_add_f32 v63, 0, v63
	v_dual_mul_f32 v15, v212, v129 :: v_dual_mul_f32 v17, v218, v131
	s_wait_loadcnt_dscnt 0xf0a
	v_dual_mul_f32 v79, v227, v139 :: v_dual_fma_f32 v67, v210, v126, -v67
	v_dual_fmac_f32 v13, v211, v126 :: v_dual_add_f32 v9, v9, v11
	s_delay_alu instid0(VALU_DEP_3) | instskip(SKIP_2) | instid1(VALU_DEP_3)
	v_dual_add_f32 v11, v63, v65 :: v_dual_fmac_f32 v15, v213, v128
	v_dual_mul_f32 v71, v219, v131 :: v_dual_mul_f32 v73, v221, v133
	v_dual_mul_f32 v63, v229, v141 :: v_dual_fma_f32 v65, v212, v128, -v69
	v_dual_add_f32 v9, v9, v13 :: v_dual_add_f32 v11, v11, v67
	v_dual_mul_f32 v19, v220, v133 :: v_dual_mul_f32 v21, v222, v135
	s_wait_loadcnt_dscnt 0xe09
	v_dual_mul_f32 v13, v231, v143 :: v_dual_fma_f32 v67, v218, v130, -v71
	s_delay_alu instid0(VALU_DEP_3) | instskip(NEXT) | instid1(VALU_DEP_3)
	v_dual_fmac_f32 v17, v219, v130 :: v_dual_add_f32 v9, v9, v15
	v_dual_add_f32 v11, v11, v65 :: v_dual_fmac_f32 v19, v221, v132
	v_dual_mul_f32 v15, v233, v145 :: v_dual_fma_f32 v65, v220, v132, -v73
	s_delay_alu instid0(VALU_DEP_2) | instskip(SKIP_3) | instid1(VALU_DEP_3)
	v_dual_add_f32 v9, v9, v17 :: v_dual_add_f32 v11, v11, v67
	v_dual_mul_f32 v23, v224, v137 :: v_dual_mul_f32 v25, v226, v139
	s_wait_loadcnt_dscnt 0xd08
	v_dual_mul_f32 v17, v235, v147 :: v_dual_fma_f32 v67, v222, v134, -v75
	v_dual_fmac_f32 v21, v223, v134 :: v_dual_add_f32 v9, v9, v19
	s_delay_alu instid0(VALU_DEP_3) | instskip(SKIP_1) | instid1(VALU_DEP_2)
	v_dual_add_f32 v11, v11, v65 :: v_dual_fmac_f32 v23, v225, v136
	v_dual_mul_f32 v19, v237, v149 :: v_dual_fma_f32 v65, v224, v136, -v77
	v_dual_add_f32 v9, v9, v21 :: v_dual_add_f32 v11, v11, v67
	v_dual_mul_f32 v27, v228, v141 :: v_dual_mul_f32 v29, v230, v143
	s_wait_loadcnt_dscnt 0xc07
	v_dual_mul_f32 v21, v239, v151 :: v_dual_fma_f32 v67, v226, v138, -v79
	s_delay_alu instid0(VALU_DEP_3) | instskip(NEXT) | instid1(VALU_DEP_3)
	v_dual_fmac_f32 v25, v227, v138 :: v_dual_add_f32 v9, v9, v23
	v_dual_add_f32 v11, v11, v65 :: v_dual_fmac_f32 v27, v229, v140
	v_dual_mul_f32 v23, v241, v153 :: v_dual_fma_f32 v63, v228, v140, -v63
	s_delay_alu instid0(VALU_DEP_2) | instskip(SKIP_3) | instid1(VALU_DEP_3)
	v_dual_add_f32 v9, v9, v25 :: v_dual_add_f32 v11, v11, v67
	v_dual_mul_f32 v31, v232, v145 :: v_dual_mul_f32 v33, v234, v147
	s_wait_loadcnt_dscnt 0xb06
	v_dual_mul_f32 v25, v243, v155 :: v_dual_fma_f32 v13, v230, v142, -v13
	v_dual_fmac_f32 v29, v231, v142 :: v_dual_add_f32 v9, v9, v27
	v_dual_add_f32 v11, v11, v63 :: v_dual_mul_f32 v27, v245, v157
	v_fmac_f32_e32 v31, v233, v144
	s_delay_alu instid0(VALU_DEP_3) | instskip(NEXT) | instid1(VALU_DEP_3)
	v_dual_fma_f32 v15, v232, v144, -v15 :: v_dual_add_f32 v9, v9, v29
	v_add_f32_e32 v11, v11, v13
	v_dual_mul_f32 v35, v236, v149 :: v_dual_mul_f32 v37, v238, v151
	s_wait_loadcnt_dscnt 0xa05
	v_dual_mul_f32 v13, v247, v159 :: v_dual_fma_f32 v17, v234, v146, -v17
	v_dual_fmac_f32 v33, v235, v146 :: v_dual_add_f32 v9, v9, v31
	v_dual_add_f32 v11, v11, v15 :: v_dual_mul_f32 v15, v249, v161
	v_fmac_f32_e32 v35, v237, v148
	s_delay_alu instid0(VALU_DEP_3) | instskip(NEXT) | instid1(VALU_DEP_3)
	v_dual_fma_f32 v19, v236, v148, -v19 :: v_dual_add_f32 v9, v9, v33
	v_add_f32_e32 v11, v11, v17
	;; [unrolled: 9-line block ×3, first 2 shown]
	v_dual_mul_f32 v43, v244, v157 :: v_dual_mul_f32 v45, v246, v159
	s_wait_loadcnt_dscnt 0x803
	v_dual_mul_f32 v21, v255, v167 :: v_dual_fma_f32 v25, v242, v154, -v25
	v_dual_fmac_f32 v41, v243, v154 :: v_dual_add_f32 v9, v9, v39
	s_delay_alu instid0(VALU_DEP_3) | instskip(SKIP_2) | instid1(VALU_DEP_4)
	v_dual_add_f32 v11, v11, v23 :: v_dual_fmac_f32 v43, v245, v156
	v_fma_f32 v27, v244, v156, -v27
	v_dual_mul_f32 v47, v248, v161 :: v_dual_mul_f32 v49, v250, v163
	v_add_f32_e32 v9, v9, v41
	s_delay_alu instid0(VALU_DEP_4) | instskip(NEXT) | instid1(VALU_DEP_3)
	v_dual_add_f32 v11, v11, v25 :: v_dual_fma_f32 v13, v246, v158, -v13
	v_dual_fmac_f32 v45, v247, v158 :: v_dual_fmac_f32 v47, v249, v160
	s_delay_alu instid0(VALU_DEP_3) | instskip(NEXT) | instid1(VALU_DEP_3)
	v_add_f32_e32 v9, v9, v43
	v_dual_add_f32 v11, v11, v27 :: v_dual_fma_f32 v15, v248, v160, -v15
	v_dual_mul_f32 v51, v252, v165 :: v_dual_mul_f32 v53, v254, v167
	s_delay_alu instid0(VALU_DEP_3) | instskip(NEXT) | instid1(VALU_DEP_3)
	v_add_f32_e32 v9, v9, v45
	v_dual_add_f32 v11, v11, v13 :: v_dual_fma_f32 v17, v250, v162, -v17
	s_delay_alu instid0(VALU_DEP_3) | instskip(NEXT) | instid1(VALU_DEP_3)
	v_dual_fmac_f32 v49, v251, v162 :: v_dual_fmac_f32 v51, v253, v164
	v_add_f32_e32 v9, v9, v47
	s_delay_alu instid0(VALU_DEP_3)
	v_dual_add_f32 v11, v11, v15 :: v_dual_fma_f32 v19, v252, v164, -v19
	s_wait_loadcnt_dscnt 0x702
	s_set_vgpr_msb 1                        ;  msbs: dst=0 src0=1 src1=0 src2=0
	v_dual_mul_f32 v55, v0 /*v256*/, v169 :: v_dual_mul_f32 v57, v2 /*v258*/, v171
	s_set_vgpr_msb 0                        ;  msbs: dst=0 src0=0 src1=0 src2=0
	v_add_f32_e32 v9, v9, v49
	v_dual_add_f32 v11, v11, v17 :: v_dual_fma_f32 v21, v254, v166, -v21
	s_set_vgpr_msb 1                        ;  msbs: dst=0 src0=1 src1=0 src2=0
	v_dual_mul_f32 v23, v1 /*v257*/, v169 :: v_dual_mul_f32 v25, v3 /*v259*/, v171
	s_set_vgpr_msb 0                        ;  msbs: dst=0 src0=0 src1=0 src2=0
	v_dual_fmac_f32 v53, v255, v166 :: v_dual_add_f32 v9, v9, v51
	v_add_f32_e32 v11, v11, v19
	s_wait_loadcnt_dscnt 0x601
	s_set_vgpr_msb 1                        ;  msbs: dst=0 src0=1 src1=0 src2=0
	v_dual_mul_f32 v15, v9 /*v265*/, v177 :: v_dual_fma_f32 v19, v0 /*v256*/, v168, -v23
	v_dual_fmac_f32 v55, v1 /*v257*/, v168 :: v_dual_fmac_f32 v57, v3 /*v259*/, v170
	s_set_vgpr_msb 0                        ;  msbs: dst=0 src0=0 src1=0 src2=0
	v_add_f32_e32 v9, v9, v53
	v_add_f32_e32 v11, v11, v21
	s_set_vgpr_msb 1                        ;  msbs: dst=0 src0=1 src1=0 src2=0
	v_dual_mul_f32 v59, v4 /*v260*/, v173 :: v_dual_mul_f32 v61, v6 /*v262*/, v175
	v_dual_mul_f32 v27, v5 /*v261*/, v173 :: v_dual_mul_f32 v13, v7 /*v263*/, v175
	s_delay_alu instid0(VALU_DEP_2)
	v_dual_fma_f32 v21, v2 /*v258*/, v170, -v25 :: v_dual_fmac_f32 v59, v5 /*v261*/, v172
	s_set_vgpr_msb 0                        ;  msbs: dst=0 src0=0 src1=0 src2=0
	v_add_f32_e32 v9, v9, v55
	s_wait_loadcnt 0x4
	v_dual_add_f32 v11, v11, v19 :: v_dual_mov_b32 v126, v185
	v_dual_mul_f32 v17, v195, v179 :: v_dual_mov_b32 v122, v181
	s_set_vgpr_msb 1                        ;  msbs: dst=0 src0=1 src1=0 src2=0
	v_dual_fma_f32 v19, v4 /*v260*/, v172, -v27 :: v_dual_fmac_f32 v61, v7 /*v263*/, v174
	s_set_vgpr_msb 0                        ;  msbs: dst=0 src0=0 src1=0 src2=0
	v_add_f32_e32 v11, v11, v21
	v_add_f32_e32 v9, v9, v57
	s_set_vgpr_msb 0x41                     ;  msbs: dst=1 src0=1 src1=0 src2=0
	v_dual_mul_f32 v25 /*v281*/, v8 /*v264*/, v177 :: v_dual_fma_f32 v24 /*v280*/, v8 /*v264*/, v176, -v15
	s_set_vgpr_msb 1                        ;  msbs: dst=0 src0=1 src1=0 src2=0
	v_fma_f32 v13, v6 /*v262*/, v174, -v13
	s_set_vgpr_msb 0                        ;  msbs: dst=0 src0=0 src1=0 src2=0
	v_add_f32_e32 v11, v11, v19
	v_add_f32_e32 v9, v9, v59
	s_set_vgpr_msb 1                        ;  msbs: dst=0 src0=1 src1=0 src2=0
	v_pk_mul_f32 v[122:123], v[16:17] /*v[272:273]*/, v[122:123] op_sel_hi:[1,0]
	s_set_vgpr_msb 64                       ;  msbs: dst=1 src0=0 src1=0 src2=0
	v_dual_mul_f32 v27 /*v283*/, v194, v179 :: v_dual_fma_f32 v26 /*v282*/, v194, v178, -v17
	s_set_vgpr_msb 0x41                     ;  msbs: dst=1 src0=1 src1=0 src2=0
	v_fmac_f32_e32 v25 /*v281*/, v9 /*v265*/, v176
	s_wait_loadcnt 0x3
	s_set_vgpr_msb 0                        ;  msbs: dst=0 src0=0 src1=0 src2=0
	v_dual_add_f32 v130, v11, v13 :: v_dual_mov_b32 v132, v189
	v_pk_fma_f32 v[134:135], v[196:197], v[180:181], v[122:123] op_sel_hi:[1,0,1]
	v_add_f32_e32 v131, v9, v61
	v_pk_fma_f32 v[122:123], v[196:197], v[180:181], v[122:123] neg_lo:[0,0,1] neg_hi:[0,0,1]
	v_pk_mul_f32 v[124:125], v[198:199], v[182:183] op_sel:[1,1] op_sel_hi:[0,1]
	s_set_vgpr_msb 64                       ;  msbs: dst=1 src0=0 src1=0 src2=0
	v_fmac_f32_e32 v27 /*v283*/, v195, v178
	s_set_vgpr_msb 4                        ;  msbs: dst=0 src0=0 src1=1 src2=0
	v_mov_b32_e32 v123, v135
	v_pk_add_f32 v[130:131], v[130:131], v[24:25] /*v[280:281]*/
	s_set_vgpr_msb 1                        ;  msbs: dst=0 src0=1 src1=0 src2=0
	v_pk_mul_f32 v[126:127], v[18:19] /*v[274:275]*/, v[126:127] op_sel_hi:[1,0]
	s_set_vgpr_msb 0                        ;  msbs: dst=0 src0=0 src1=0 src2=0
	v_pk_fma_f32 v[136:137], v[198:199], v[182:183], v[124:125] op_sel_hi:[1,0,1]
	v_pk_fma_f32 v[124:125], v[198:199], v[182:183], v[124:125] neg_lo:[0,0,1] neg_hi:[0,0,1]
	v_pk_mul_f32 v[128:129], v[202:203], v[186:187] op_sel:[1,1] op_sel_hi:[0,1]
	s_set_vgpr_msb 4                        ;  msbs: dst=0 src0=0 src1=1 src2=0
	v_pk_add_f32 v[130:131], v[130:131], v[26:27] /*v[282:283]*/
	s_set_vgpr_msb 1                        ;  msbs: dst=0 src0=1 src1=0 src2=0
	v_pk_mul_f32 v[132:133], v[20:21] /*v[276:277]*/, v[132:133] op_sel_hi:[1,0]
	s_set_vgpr_msb 0                        ;  msbs: dst=0 src0=0 src1=0 src2=0
	v_mov_b32_e32 v125, v137
	v_pk_fma_f32 v[136:137], v[200:201], v[184:185], v[126:127] op_sel_hi:[1,0,1]
	v_pk_fma_f32 v[126:127], v[200:201], v[184:185], v[126:127] neg_lo:[0,0,1] neg_hi:[0,0,1]
	v_pk_add_f32 v[122:123], v[130:131], v[122:123]
	v_pk_fma_f32 v[130:131], v[202:203], v[186:187], v[128:129] op_sel_hi:[1,0,1]
	v_pk_fma_f32 v[128:129], v[202:203], v[186:187], v[128:129] neg_lo:[0,0,1] neg_hi:[0,0,1]
	v_mov_b32_e32 v127, v137
	s_wait_loadcnt 0x2
	v_pk_mul_f32 v[134:135], v[214:215], v[190:191] op_sel:[1,1] op_sel_hi:[0,1]
	v_pk_add_f32 v[122:123], v[122:123], v[124:125]
	v_dual_mov_b32 v124, v193 :: v_dual_mov_b32 v129, v131
	v_pk_fma_f32 v[130:131], v[204:205], v[188:189], v[132:133] op_sel_hi:[1,0,1]
	v_pk_fma_f32 v[132:133], v[204:205], v[188:189], v[132:133] neg_lo:[0,0,1] neg_hi:[0,0,1]
	s_delay_alu instid0(VALU_DEP_4)
	v_pk_add_f32 v[122:123], v[122:123], v[126:127]
	v_pk_fma_f32 v[126:127], v[214:215], v[190:191], v[134:135] op_sel_hi:[1,0,1]
	s_set_vgpr_msb 1                        ;  msbs: dst=0 src0=1 src1=0 src2=0
	v_pk_mul_f32 v[124:125], v[22:23] /*v[278:279]*/, v[124:125] op_sel_hi:[1,0]
	s_set_vgpr_msb 0                        ;  msbs: dst=0 src0=0 src1=0 src2=0
	v_mov_b32_e32 v133, v131
	s_wait_loadcnt_dscnt 0x100
	s_set_vgpr_msb 5                        ;  msbs: dst=0 src0=1 src1=1 src2=0
	v_pk_mul_f32 v[130:131], v[14:15] /*v[270:271]*/, v[10:11] /*v[266:267]*/ op_sel:[1,1] op_sel_hi:[0,1]
	s_set_vgpr_msb 0                        ;  msbs: dst=0 src0=0 src1=0 src2=0
	v_pk_add_f32 v[122:123], v[122:123], v[128:129]
	v_pk_fma_f32 v[128:129], v[214:215], v[190:191], v[134:135] neg_lo:[0,0,1] neg_hi:[0,0,1]
	v_mov_b32_e32 v129, v127
	v_pk_fma_f32 v[126:127], v[216:217], v[192:193], v[124:125] op_sel_hi:[1,0,1]
	v_pk_fma_f32 v[124:125], v[216:217], v[192:193], v[124:125] neg_lo:[0,0,1] neg_hi:[0,0,1]
	v_pk_add_f32 v[122:123], v[122:123], v[132:133]
	s_delay_alu instid0(VALU_DEP_3)
	v_mov_b32_e32 v125, v127
	s_set_vgpr_msb 5                        ;  msbs: dst=0 src0=1 src1=1 src2=0
	v_pk_fma_f32 v[126:127], v[14:15] /*v[270:271]*/, v[10:11] /*v[266:267]*/, v[130:131] op_sel_hi:[1,0,1]
	s_set_vgpr_msb 0                        ;  msbs: dst=0 src0=0 src1=0 src2=0
	v_pk_add_f32 v[122:123], v[122:123], v[128:129]
	s_set_vgpr_msb 5                        ;  msbs: dst=0 src0=1 src1=1 src2=0
	v_pk_fma_f32 v[128:129], v[14:15] /*v[270:271]*/, v[10:11] /*v[266:267]*/, v[130:131] neg_lo:[0,0,1] neg_hi:[0,0,1]
	s_set_vgpr_msb 0                        ;  msbs: dst=0 src0=0 src1=0 src2=0
	v_mov_b32_e32 v129, v127
	v_pk_add_f32 v[122:123], v[122:123], v[124:125]
	s_delay_alu instid0(VALU_DEP_1) | instskip(SKIP_2) | instid1(VALU_DEP_1)
	v_pk_add_f32 v[122:123], v[122:123], v[128:129]
	s_wait_loadcnt 0x0
	s_set_vgpr_msb 1                        ;  msbs: dst=0 src0=1 src1=0 src2=0
	v_pk_add_f32 v[122:123], v[12:13] /*v[268:269]*/, v[122:123] neg_lo:[0,1] neg_hi:[0,1]
	scratch_store_b64 off, v[122:123], off offset:176
	s_wait_xcnt 0x0
	v_cmpx_lt_u32_e32 21, v0
	s_set_vgpr_msb 0                        ;  msbs: dst=0 src0=0 src1=0 src2=0
	s_cbranch_execz .LBB59_331
; %bb.330:
	scratch_load_b64 v[122:123], off, off offset:168
	v_mov_b64_e32 v[124:125], 0
	scratch_store_b64 off, v[124:125], off offset:168
	s_wait_loadcnt 0x0
	ds_store_b64 v1, v[122:123]
.LBB59_331:
	s_wait_xcnt 0x0
	s_or_b32 exec_lo, exec_lo, s0
	s_wait_storecnt_dscnt 0x0
	s_barrier_signal -1
	s_barrier_wait -1
	ds_load_b128 v[122:125], v7 offset:656
	ds_load_b128 v[126:129], v7 offset:672
	ds_load_b128 v[130:133], v7 offset:688
	ds_load_b128 v[134:137], v7 offset:704
	s_clause 0xe
	scratch_load_b128 v[138:141], off, off offset:176
	scratch_load_b128 v[142:145], off, off offset:192
	;; [unrolled: 1-line block ×15, first 2 shown]
	ds_load_b128 v[154:157], v7 offset:720
	ds_load_b128 v[162:165], v7 offset:736
	;; [unrolled: 1-line block ×11, first 2 shown]
	s_clause 0x3
	scratch_load_b128 v[242:245], off, off offset:416
	scratch_load_b128 v[246:249], off, off offset:432
	;; [unrolled: 1-line block ×4, first 2 shown]
	s_mov_b32 s0, exec_lo
	s_wait_loadcnt_dscnt 0x120e
	v_dual_mul_f32 v9, v122, v139 :: v_dual_mul_f32 v11, v124, v141
	s_delay_alu instid0(VALU_DEP_1) | instskip(NEXT) | instid1(VALU_DEP_1)
	v_dual_fmac_f32 v9, v123, v138 :: v_dual_fmac_f32 v11, v125, v140
	v_add_f32_e32 v9, 0, v9
	s_wait_loadcnt_dscnt 0x408
	s_set_vgpr_msb 64                       ;  msbs: dst=1 src0=0 src1=0 src2=0
	v_dual_mul_f32 v5 /*v261*/, v234, v239 :: v_dual_mul_f32 v7 /*v263*/, v236, v241
	s_set_vgpr_msb 0                        ;  msbs: dst=0 src0=0 src1=0 src2=0
	v_add_f32_e32 v9, v9, v11
	v_mul_f32_e32 v11, v126, v143
	s_set_vgpr_msb 64                       ;  msbs: dst=1 src0=0 src1=0 src2=0
	v_dual_fmac_f32 v5 /*v261*/, v235, v238 :: v_dual_fmac_f32 v7 /*v263*/, v237, v240
	s_set_vgpr_msb 0                        ;  msbs: dst=0 src0=0 src1=0 src2=0
	s_delay_alu instid0(VALU_DEP_2) | instskip(NEXT) | instid1(VALU_DEP_1)
	v_fmac_f32_e32 v11, v127, v142
	v_dual_add_f32 v9, v9, v11 :: v_dual_mul_f32 v11, v128, v145
	s_delay_alu instid0(VALU_DEP_1) | instskip(NEXT) | instid1(VALU_DEP_1)
	v_fmac_f32_e32 v11, v129, v144
	v_add_f32_e32 v9, v9, v11
	v_mul_f32_e32 v11, v130, v147
	s_delay_alu instid0(VALU_DEP_1) | instskip(NEXT) | instid1(VALU_DEP_1)
	v_fmac_f32_e32 v11, v131, v146
	v_dual_add_f32 v9, v9, v11 :: v_dual_mul_f32 v11, v132, v149
	s_delay_alu instid0(VALU_DEP_1) | instskip(NEXT) | instid1(VALU_DEP_1)
	v_fmac_f32_e32 v11, v133, v148
	v_add_f32_e32 v9, v9, v11
	v_mul_f32_e32 v11, v134, v151
	s_delay_alu instid0(VALU_DEP_1) | instskip(NEXT) | instid1(VALU_DEP_1)
	;; [unrolled: 7-line block ×4, first 2 shown]
	v_fmac_f32_e32 v11, v163, v166
	v_dual_add_f32 v9, v9, v11 :: v_dual_mul_f32 v11, v164, v169
	s_delay_alu instid0(VALU_DEP_1) | instskip(NEXT) | instid1(VALU_DEP_1)
	v_fmac_f32_e32 v11, v165, v168
	v_add_f32_e32 v9, v9, v11
	s_wait_dscnt 0x7
	v_mul_f32_e32 v11, v170, v175
	s_delay_alu instid0(VALU_DEP_1) | instskip(NEXT) | instid1(VALU_DEP_1)
	v_fmac_f32_e32 v11, v171, v174
	v_dual_add_f32 v9, v9, v11 :: v_dual_mul_f32 v11, v172, v177
	s_delay_alu instid0(VALU_DEP_1) | instskip(NEXT) | instid1(VALU_DEP_1)
	v_fmac_f32_e32 v11, v173, v176
	v_add_f32_e32 v9, v9, v11
	s_wait_dscnt 0x6
	v_mul_f32_e32 v11, v178, v183
	s_delay_alu instid0(VALU_DEP_1) | instskip(NEXT) | instid1(VALU_DEP_1)
	;; [unrolled: 8-line block ×8, first 2 shown]
	v_fmac_f32_e32 v11, v227, v230
	v_dual_add_f32 v9, v9, v11 :: v_dual_mul_f32 v11, v228, v233
	s_delay_alu instid0(VALU_DEP_1) | instskip(SKIP_1) | instid1(VALU_DEP_1)
	v_fmac_f32_e32 v11, v229, v232
	s_set_vgpr_msb 64                       ;  msbs: dst=1 src0=0 src1=0 src2=0
	v_add_f32_e32 v3 /*v259*/, v9, v11
	s_set_vgpr_msb 0                        ;  msbs: dst=0 src0=0 src1=0 src2=0
	v_dual_mul_f32 v9, v123, v139 :: v_dual_mul_f32 v11, v125, v141
	s_delay_alu instid0(VALU_DEP_1) | instskip(NEXT) | instid1(VALU_DEP_1)
	v_dual_fma_f32 v9, v122, v138, -v9 :: v_dual_fma_f32 v11, v124, v140, -v11
	v_add_f32_e32 v9, 0, v9
	s_delay_alu instid0(VALU_DEP_1) | instskip(SKIP_1) | instid1(VALU_DEP_1)
	v_add_f32_e32 v9, v9, v11
	v_mul_f32_e32 v11, v127, v143
	v_fma_f32 v11, v126, v142, -v11
	s_delay_alu instid0(VALU_DEP_1) | instskip(SKIP_1) | instid1(VALU_DEP_1)
	v_add_f32_e32 v9, v9, v11
	v_mul_f32_e32 v11, v129, v145
	v_fma_f32 v11, v128, v144, -v11
	;; [unrolled: 4-line block ×6, first 2 shown]
	ds_load_b128 v[122:125], v7 offset:896
	ds_load_b128 v[126:129], v7 offset:912
	;; [unrolled: 1-line block ×4, first 2 shown]
	v_add_f32_e32 v9, v9, v11
	v_mul_f32_e32 v11, v155, v159
	s_delay_alu instid0(VALU_DEP_1) | instskip(NEXT) | instid1(VALU_DEP_1)
	v_fma_f32 v11, v154, v158, -v11
	v_add_f32_e32 v9, v9, v11
	v_mul_f32_e32 v11, v157, v161
	s_wait_loadcnt_dscnt 0x303
	v_pk_mul_f32 v[140:141], v[122:123], v[242:243] op_sel:[1,1] op_sel_hi:[0,1]
	s_delay_alu instid0(VALU_DEP_2) | instskip(NEXT) | instid1(VALU_DEP_2)
	v_fma_f32 v11, v156, v160, -v11
	v_pk_fma_f32 v[142:143], v[122:123], v[242:243], v[140:141] neg_lo:[0,0,1] neg_hi:[0,0,1]
	v_pk_fma_f32 v[122:123], v[122:123], v[242:243], v[140:141] op_sel_hi:[1,0,1]
	v_mov_b32_e32 v140, v245
	s_delay_alu instid0(VALU_DEP_4) | instskip(SKIP_1) | instid1(VALU_DEP_1)
	v_add_f32_e32 v9, v9, v11
	v_mul_f32_e32 v11, v163, v167
	v_dual_mov_b32 v143, v123 :: v_dual_fma_f32 v11, v162, v166, -v11
	s_delay_alu instid0(VALU_DEP_1) | instskip(SKIP_1) | instid1(VALU_DEP_1)
	v_add_f32_e32 v9, v9, v11
	v_mul_f32_e32 v11, v165, v169
	v_fma_f32 v11, v164, v168, -v11
	s_delay_alu instid0(VALU_DEP_1) | instskip(SKIP_1) | instid1(VALU_DEP_1)
	v_add_f32_e32 v9, v9, v11
	v_mul_f32_e32 v11, v171, v175
	v_fma_f32 v11, v170, v174, -v11
	;; [unrolled: 4-line block ×17, first 2 shown]
	s_set_vgpr_msb 64                       ;  msbs: dst=1 src0=0 src1=0 src2=0
	s_delay_alu instid0(VALU_DEP_1) | instskip(SKIP_3) | instid1(VALU_DEP_1)
	v_add_f32_e32 v2 /*v258*/, v9, v11
	s_set_vgpr_msb 0                        ;  msbs: dst=0 src0=0 src1=0 src2=0
	v_mul_f32_e32 v9, v235, v239
	s_set_vgpr_msb 64                       ;  msbs: dst=1 src0=0 src1=0 src2=0
	v_fma_f32 v4 /*v260*/, v234, v238, -v9
	s_set_vgpr_msb 0                        ;  msbs: dst=0 src0=0 src1=0 src2=0
	v_mul_f32_e32 v9, v237, v241
	s_set_vgpr_msb 5                        ;  msbs: dst=0 src0=1 src1=1 src2=0
	s_delay_alu instid0(VALU_DEP_2) | instskip(SKIP_1) | instid1(VALU_DEP_2)
	v_pk_add_f32 v[138:139], v[2:3] /*v[258:259]*/, v[4:5] /*v[260:261]*/
	s_set_vgpr_msb 64                       ;  msbs: dst=1 src0=0 src1=0 src2=0
	v_fma_f32 v6 /*v262*/, v236, v240, -v9
	s_set_vgpr_msb 4                        ;  msbs: dst=0 src0=0 src1=1 src2=0
	s_delay_alu instid0(VALU_DEP_1) | instskip(SKIP_1) | instid1(VALU_DEP_1)
	v_pk_add_f32 v[138:139], v[138:139], v[6:7] /*v[262:263]*/
	s_set_vgpr_msb 0                        ;  msbs: dst=0 src0=0 src1=0 src2=0
	v_pk_add_f32 v[122:123], v[138:139], v[142:143]
	v_dual_mov_b32 v138, v125 :: v_dual_mov_b32 v139, v124
	s_delay_alu instid0(VALU_DEP_1) | instskip(NEXT) | instid1(VALU_DEP_1)
	v_pk_mul_f32 v[138:139], v[138:139], v[140:141] op_sel_hi:[1,0]
	v_pk_fma_f32 v[140:141], v[124:125], v[244:245], v[138:139] neg_lo:[0,0,1] neg_hi:[0,0,1]
	v_pk_fma_f32 v[124:125], v[124:125], v[244:245], v[138:139] op_sel_hi:[1,0,1]
	s_delay_alu instid0(VALU_DEP_1) | instskip(SKIP_2) | instid1(VALU_DEP_2)
	v_mov_b32_e32 v141, v125
	s_wait_loadcnt_dscnt 0x202
	v_pk_mul_f32 v[124:125], v[126:127], v[246:247] op_sel:[1,1] op_sel_hi:[0,1]
	v_pk_add_f32 v[122:123], v[122:123], v[140:141]
	s_delay_alu instid0(VALU_DEP_2) | instskip(SKIP_2) | instid1(VALU_DEP_2)
	v_pk_fma_f32 v[138:139], v[126:127], v[246:247], v[124:125] neg_lo:[0,0,1] neg_hi:[0,0,1]
	v_pk_fma_f32 v[124:125], v[126:127], v[246:247], v[124:125] op_sel_hi:[1,0,1]
	v_dual_mov_b32 v124, v129 :: v_dual_mov_b32 v126, v249
	v_dual_mov_b32 v139, v125 :: v_dual_mov_b32 v125, v128
	s_delay_alu instid0(VALU_DEP_1) | instskip(NEXT) | instid1(VALU_DEP_2)
	v_pk_add_f32 v[122:123], v[122:123], v[138:139]
	v_pk_mul_f32 v[124:125], v[124:125], v[126:127] op_sel_hi:[1,0]
	s_delay_alu instid0(VALU_DEP_1) | instskip(SKIP_1) | instid1(VALU_DEP_1)
	v_pk_fma_f32 v[126:127], v[128:129], v[248:249], v[124:125] neg_lo:[0,0,1] neg_hi:[0,0,1]
	v_pk_fma_f32 v[124:125], v[128:129], v[248:249], v[124:125] op_sel_hi:[1,0,1]
	v_mov_b32_e32 v127, v125
	s_wait_loadcnt_dscnt 0x101
	v_pk_mul_f32 v[124:125], v[130:131], v[250:251] op_sel:[1,1] op_sel_hi:[0,1]
	s_delay_alu instid0(VALU_DEP_2) | instskip(NEXT) | instid1(VALU_DEP_2)
	v_pk_add_f32 v[122:123], v[122:123], v[126:127]
	v_pk_fma_f32 v[126:127], v[130:131], v[250:251], v[124:125] neg_lo:[0,0,1] neg_hi:[0,0,1]
	v_pk_fma_f32 v[124:125], v[130:131], v[250:251], v[124:125] op_sel_hi:[1,0,1]
	s_delay_alu instid0(VALU_DEP_1) | instskip(SKIP_1) | instid1(VALU_DEP_2)
	v_dual_mov_b32 v124, v133 :: v_dual_mov_b32 v127, v125
	v_mov_b32_e32 v125, v132
	v_pk_add_f32 v[122:123], v[122:123], v[126:127]
	v_mov_b32_e32 v126, v253
	s_delay_alu instid0(VALU_DEP_1) | instskip(NEXT) | instid1(VALU_DEP_1)
	v_pk_mul_f32 v[124:125], v[124:125], v[126:127] op_sel_hi:[1,0]
	v_pk_fma_f32 v[126:127], v[132:133], v[252:253], v[124:125] neg_lo:[0,0,1] neg_hi:[0,0,1]
	v_pk_fma_f32 v[124:125], v[132:133], v[252:253], v[124:125] op_sel_hi:[1,0,1]
	s_delay_alu instid0(VALU_DEP_1) | instskip(SKIP_2) | instid1(VALU_DEP_2)
	v_mov_b32_e32 v127, v125
	s_wait_loadcnt_dscnt 0x0
	v_pk_mul_f32 v[124:125], v[134:135], v[254:255] op_sel:[1,1] op_sel_hi:[0,1]
	v_pk_add_f32 v[122:123], v[122:123], v[126:127]
	s_delay_alu instid0(VALU_DEP_2) | instskip(SKIP_1) | instid1(VALU_DEP_1)
	v_pk_fma_f32 v[126:127], v[134:135], v[254:255], v[124:125] neg_lo:[0,0,1] neg_hi:[0,0,1]
	v_pk_fma_f32 v[124:125], v[134:135], v[254:255], v[124:125] op_sel_hi:[1,0,1]
	v_dual_mov_b32 v124, v137 :: v_dual_mov_b32 v127, v125
	v_mov_b32_e32 v125, v136
	s_delay_alu instid0(VALU_DEP_2) | instskip(SKIP_3) | instid1(VALU_DEP_1)
	v_pk_add_f32 v[122:123], v[122:123], v[126:127]
	s_set_vgpr_msb 1                        ;  msbs: dst=0 src0=1 src1=0 src2=0
	v_mov_b32_e32 v126, v1 /*v257*/
	s_set_vgpr_msb 0                        ;  msbs: dst=0 src0=0 src1=0 src2=0
	v_pk_mul_f32 v[124:125], v[124:125], v[126:127] op_sel_hi:[1,0]
	s_set_vgpr_msb 4                        ;  msbs: dst=0 src0=0 src1=1 src2=0
	s_delay_alu instid0(VALU_DEP_1) | instskip(SKIP_1) | instid1(VALU_DEP_1)
	v_pk_fma_f32 v[126:127], v[136:137], v[0:1] /*v[256:257]*/, v[124:125] neg_lo:[0,0,1] neg_hi:[0,0,1]
	v_pk_fma_f32 v[124:125], v[136:137], v[0:1] /*v[256:257]*/, v[124:125] op_sel_hi:[1,0,1]
	v_mov_b32_e32 v127, v125
	scratch_load_b64 v[124:125], off, off offset:168
	s_set_vgpr_msb 0                        ;  msbs: dst=0 src0=0 src1=0 src2=0
	v_pk_add_f32 v[122:123], v[122:123], v[126:127]
	s_wait_loadcnt 0x0
	s_delay_alu instid0(VALU_DEP_1)
	v_pk_add_f32 v[122:123], v[124:125], v[122:123] neg_lo:[0,1] neg_hi:[0,1]
	scratch_store_b64 off, v[122:123], off offset:168
	s_wait_xcnt 0x0
	v_cmpx_lt_u32_e32 20, v0
	s_cbranch_execz .LBB59_333
; %bb.332:
	scratch_load_b64 v[122:123], off, off offset:160
	v_mov_b64_e32 v[124:125], 0
	scratch_store_b64 off, v[124:125], off offset:160
	s_wait_loadcnt 0x0
	ds_store_b64 v1, v[122:123]
.LBB59_333:
	s_wait_xcnt 0x0
	s_or_b32 exec_lo, exec_lo, s0
	s_wait_storecnt_dscnt 0x0
	s_barrier_signal -1
	s_barrier_wait -1
	s_clause 0xf
	scratch_load_b128 v[126:129], off, off offset:168
	scratch_load_b128 v[134:137], off, off offset:184
	;; [unrolled: 1-line block ×16, first 2 shown]
	v_mov_b32_e32 v7, 0
	s_mov_b32 s0, exec_lo
	ds_load_2addr_b64 v[122:125], v7 offset0:81 offset1:82
	ds_load_2addr_b64 v[130:133], v7 offset0:83 offset1:84
	s_wait_loadcnt_dscnt 0xf01
	v_dual_mul_f32 v9, v122, v127 :: v_dual_mul_f32 v11, v124, v129
	ds_load_2addr_b64 v[138:141], v7 offset0:85 offset1:86
	ds_load_2addr_b64 v[146:149], v7 offset0:87 offset1:88
	;; [unrolled: 1-line block ×4, first 2 shown]
	v_dual_fmac_f32 v9, v123, v126 :: v_dual_fmac_f32 v11, v125, v128
	ds_load_2addr_b64 v[154:157], v7 offset0:89 offset1:90
	ds_load_2addr_b64 v[162:165], v7 offset0:91 offset1:92
	ds_load_2addr_b64 v[170:173], v7 offset0:93 offset1:94
	ds_load_2addr_b64 v[178:181], v7 offset0:95 offset1:96
	v_add_f32_e32 v9, 0, v9
	ds_load_2addr_b64 v[186:189], v7 offset0:97 offset1:98
	ds_load_2addr_b64 v[194:197], v7 offset0:99 offset1:100
	;; [unrolled: 1-line block ×4, first 2 shown]
	v_add_f32_e32 v9, v9, v11
	s_wait_loadcnt_dscnt 0xe0c
	v_mul_f32_e32 v11, v130, v135
	ds_load_2addr_b64 v[218:221], v7 offset0:105 offset1:106
	ds_load_2addr_b64 v[226:229], v7 offset0:107 offset1:108
	s_clause 0x4
	scratch_load_b128 v[250:253], off, off offset:424
	scratch_load_b128 v[254:257], off, off offset:440
	s_set_vgpr_msb 64                       ;  msbs: dst=1 src0=0 src1=0 src2=0
	scratch_load_b128 v[2:5] /*v[258:261]*/, off, off offset:456
	scratch_load_b64 v[12:13] /*v[268:269]*/, off, off offset:472
	s_set_vgpr_msb 0                        ;  msbs: dst=0 src0=0 src1=0 src2=0
	v_fmac_f32_e32 v11, v131, v134
	s_wait_loadcnt_dscnt 0x40a
	s_set_vgpr_msb 64                       ;  msbs: dst=1 src0=0 src1=0 src2=0
	v_dual_mul_f32 v9 /*v265*/, v236, v241 :: v_dual_mul_f32 v11 /*v267*/, v242, v247
	s_set_vgpr_msb 0                        ;  msbs: dst=0 src0=0 src1=0 src2=0
	v_dual_add_f32 v9, v9, v11 :: v_dual_mul_f32 v11, v132, v137
	s_set_vgpr_msb 64                       ;  msbs: dst=1 src0=0 src1=0 src2=0
	s_delay_alu instid0(VALU_DEP_2) | instskip(SKIP_1) | instid1(VALU_DEP_2)
	v_fmac_f32_e32 v9 /*v265*/, v237, v240
	s_set_vgpr_msb 0                        ;  msbs: dst=0 src0=0 src1=0 src2=0
	v_fmac_f32_e32 v11, v133, v136
	s_delay_alu instid0(VALU_DEP_1) | instskip(SKIP_1) | instid1(VALU_DEP_1)
	v_add_f32_e32 v9, v9, v11
	v_mul_f32_e32 v11, v138, v143
	v_fmac_f32_e32 v11, v139, v142
	s_delay_alu instid0(VALU_DEP_1) | instskip(NEXT) | instid1(VALU_DEP_1)
	v_dual_add_f32 v9, v9, v11 :: v_dual_mul_f32 v11, v140, v145
	v_fmac_f32_e32 v11, v141, v144
	s_delay_alu instid0(VALU_DEP_1) | instskip(SKIP_1) | instid1(VALU_DEP_1)
	v_add_f32_e32 v9, v9, v11
	v_mul_f32_e32 v11, v146, v151
	v_fmac_f32_e32 v11, v147, v150
	s_delay_alu instid0(VALU_DEP_1) | instskip(NEXT) | instid1(VALU_DEP_1)
	v_dual_add_f32 v9, v9, v11 :: v_dual_mul_f32 v11, v148, v153
	v_fmac_f32_e32 v11, v149, v152
	s_delay_alu instid0(VALU_DEP_1) | instskip(SKIP_2) | instid1(VALU_DEP_1)
	v_add_f32_e32 v9, v9, v11
	s_wait_dscnt 0x9
	v_mul_f32_e32 v11, v154, v159
	v_fmac_f32_e32 v11, v155, v158
	s_delay_alu instid0(VALU_DEP_1) | instskip(NEXT) | instid1(VALU_DEP_1)
	v_dual_add_f32 v9, v9, v11 :: v_dual_mul_f32 v11, v156, v161
	v_fmac_f32_e32 v11, v157, v160
	s_delay_alu instid0(VALU_DEP_1) | instskip(SKIP_2) | instid1(VALU_DEP_1)
	v_add_f32_e32 v9, v9, v11
	s_wait_dscnt 0x8
	;; [unrolled: 8-line block ×10, first 2 shown]
	v_mul_f32_e32 v11, v226, v231
	v_fmac_f32_e32 v11, v227, v230
	s_delay_alu instid0(VALU_DEP_1) | instskip(NEXT) | instid1(VALU_DEP_1)
	v_dual_add_f32 v9, v9, v11 :: v_dual_mul_f32 v11, v228, v233
	v_fmac_f32_e32 v11, v229, v232
	s_delay_alu instid0(VALU_DEP_1) | instskip(SKIP_1) | instid1(VALU_DEP_1)
	v_add_f32_e32 v9, v9, v11
	v_mul_f32_e32 v11, v234, v239
	v_fmac_f32_e32 v11, v235, v238
	s_set_vgpr_msb 64                       ;  msbs: dst=1 src0=0 src1=0 src2=0
	s_delay_alu instid0(VALU_DEP_1) | instskip(SKIP_2) | instid1(VALU_DEP_1)
	v_add_f32_e32 v7 /*v263*/, v9, v11
	s_set_vgpr_msb 0                        ;  msbs: dst=0 src0=0 src1=0 src2=0
	v_dual_mul_f32 v9, v123, v127 :: v_dual_mul_f32 v11, v125, v129
	v_dual_fma_f32 v9, v122, v126, -v9 :: v_dual_fma_f32 v11, v124, v128, -v11
	s_delay_alu instid0(VALU_DEP_1) | instskip(NEXT) | instid1(VALU_DEP_1)
	v_add_f32_e32 v9, 0, v9
	v_add_f32_e32 v9, v9, v11
	v_mul_f32_e32 v11, v131, v135
	s_delay_alu instid0(VALU_DEP_1) | instskip(NEXT) | instid1(VALU_DEP_1)
	v_fma_f32 v11, v130, v134, -v11
	v_add_f32_e32 v9, v9, v11
	v_mul_f32_e32 v11, v133, v137
	s_delay_alu instid0(VALU_DEP_1)
	v_fma_f32 v11, v132, v136, -v11
	ds_load_2addr_b64 v[122:125], v7 offset0:113 offset1:114
	ds_load_2addr_b64 v[126:129], v7 offset0:115 offset1:116
	;; [unrolled: 1-line block ×3, first 2 shown]
	ds_load_b64 v[134:135], v7 offset:952
	v_add_f32_e32 v9, v9, v11
	v_dual_mul_f32 v11, v139, v143 :: v_dual_mov_b32 v139, v244
	s_delay_alu instid0(VALU_DEP_1) | instskip(NEXT) | instid1(VALU_DEP_1)
	v_dual_fma_f32 v11, v138, v142, -v11 :: v_dual_mov_b32 v138, v245
	v_add_f32_e32 v9, v9, v11
	v_mul_f32_e32 v11, v141, v145
	s_delay_alu instid0(VALU_DEP_1) | instskip(NEXT) | instid1(VALU_DEP_1)
	v_dual_fma_f32 v11, v140, v144, -v11 :: v_dual_mov_b32 v140, v249
	v_add_f32_e32 v9, v9, v11
	v_mul_f32_e32 v11, v147, v151
	s_delay_alu instid0(VALU_DEP_3) | instskip(NEXT) | instid1(VALU_DEP_2)
	v_pk_mul_f32 v[138:139], v[138:139], v[140:141] op_sel_hi:[1,0]
	v_fma_f32 v11, v146, v150, -v11
	s_delay_alu instid0(VALU_DEP_2) | instskip(SKIP_1) | instid1(VALU_DEP_3)
	v_pk_fma_f32 v[140:141], v[244:245], v[248:249], v[138:139] neg_lo:[0,0,1] neg_hi:[0,0,1]
	v_pk_fma_f32 v[138:139], v[244:245], v[248:249], v[138:139] op_sel_hi:[1,0,1]
	v_add_f32_e32 v9, v9, v11
	s_delay_alu instid0(VALU_DEP_2) | instskip(SKIP_2) | instid1(VALU_DEP_2)
	v_dual_mul_f32 v11, v149, v153 :: v_dual_mov_b32 v141, v139
	s_wait_loadcnt_dscnt 0x303
	v_pk_mul_f32 v[138:139], v[122:123], v[250:251] op_sel:[1,1] op_sel_hi:[0,1]
	v_fma_f32 v11, v148, v152, -v11
	s_delay_alu instid0(VALU_DEP_1) | instskip(SKIP_1) | instid1(VALU_DEP_1)
	v_add_f32_e32 v9, v9, v11
	v_mul_f32_e32 v11, v155, v159
	v_fma_f32 v11, v154, v158, -v11
	s_delay_alu instid0(VALU_DEP_1) | instskip(SKIP_1) | instid1(VALU_DEP_1)
	v_add_f32_e32 v9, v9, v11
	v_mul_f32_e32 v11, v157, v161
	v_fma_f32 v11, v156, v160, -v11
	s_delay_alu instid0(VALU_DEP_1) | instskip(SKIP_1) | instid1(VALU_DEP_1)
	v_add_f32_e32 v9, v9, v11
	v_mul_f32_e32 v11, v163, v167
	v_fma_f32 v11, v162, v166, -v11
	s_delay_alu instid0(VALU_DEP_1) | instskip(SKIP_1) | instid1(VALU_DEP_1)
	v_add_f32_e32 v9, v9, v11
	v_mul_f32_e32 v11, v165, v169
	v_fma_f32 v11, v164, v168, -v11
	s_delay_alu instid0(VALU_DEP_1) | instskip(SKIP_1) | instid1(VALU_DEP_1)
	v_add_f32_e32 v9, v9, v11
	v_mul_f32_e32 v11, v171, v175
	v_fma_f32 v11, v170, v174, -v11
	s_delay_alu instid0(VALU_DEP_1) | instskip(SKIP_1) | instid1(VALU_DEP_1)
	v_add_f32_e32 v9, v9, v11
	v_mul_f32_e32 v11, v173, v177
	v_fma_f32 v11, v172, v176, -v11
	s_delay_alu instid0(VALU_DEP_1) | instskip(SKIP_1) | instid1(VALU_DEP_1)
	v_add_f32_e32 v9, v9, v11
	v_mul_f32_e32 v11, v179, v183
	v_fma_f32 v11, v178, v182, -v11
	s_delay_alu instid0(VALU_DEP_1) | instskip(SKIP_1) | instid1(VALU_DEP_1)
	v_add_f32_e32 v9, v9, v11
	v_mul_f32_e32 v11, v181, v185
	v_fma_f32 v11, v180, v184, -v11
	s_delay_alu instid0(VALU_DEP_1) | instskip(SKIP_1) | instid1(VALU_DEP_1)
	v_add_f32_e32 v9, v9, v11
	v_mul_f32_e32 v11, v187, v191
	v_fma_f32 v11, v186, v190, -v11
	s_delay_alu instid0(VALU_DEP_1) | instskip(SKIP_1) | instid1(VALU_DEP_1)
	v_add_f32_e32 v9, v9, v11
	v_mul_f32_e32 v11, v189, v193
	v_fma_f32 v11, v188, v192, -v11
	s_delay_alu instid0(VALU_DEP_1) | instskip(SKIP_1) | instid1(VALU_DEP_1)
	v_add_f32_e32 v9, v9, v11
	v_mul_f32_e32 v11, v195, v199
	v_fma_f32 v11, v194, v198, -v11
	s_delay_alu instid0(VALU_DEP_1) | instskip(SKIP_1) | instid1(VALU_DEP_1)
	v_add_f32_e32 v9, v9, v11
	v_mul_f32_e32 v11, v197, v201
	v_fma_f32 v11, v196, v200, -v11
	s_delay_alu instid0(VALU_DEP_1) | instskip(SKIP_1) | instid1(VALU_DEP_1)
	v_add_f32_e32 v9, v9, v11
	v_mul_f32_e32 v11, v203, v207
	v_fma_f32 v11, v202, v206, -v11
	s_delay_alu instid0(VALU_DEP_1) | instskip(SKIP_1) | instid1(VALU_DEP_1)
	v_add_f32_e32 v9, v9, v11
	v_mul_f32_e32 v11, v205, v209
	v_fma_f32 v11, v204, v208, -v11
	s_delay_alu instid0(VALU_DEP_1) | instskip(SKIP_1) | instid1(VALU_DEP_1)
	v_add_f32_e32 v9, v9, v11
	v_mul_f32_e32 v11, v211, v215
	v_fma_f32 v11, v210, v214, -v11
	s_delay_alu instid0(VALU_DEP_1) | instskip(SKIP_1) | instid1(VALU_DEP_1)
	v_add_f32_e32 v9, v9, v11
	v_mul_f32_e32 v11, v213, v217
	v_fma_f32 v11, v212, v216, -v11
	s_delay_alu instid0(VALU_DEP_1) | instskip(SKIP_1) | instid1(VALU_DEP_1)
	v_add_f32_e32 v9, v9, v11
	v_mul_f32_e32 v11, v219, v223
	v_fma_f32 v11, v218, v222, -v11
	s_delay_alu instid0(VALU_DEP_1) | instskip(SKIP_1) | instid1(VALU_DEP_1)
	v_add_f32_e32 v9, v9, v11
	v_mul_f32_e32 v11, v221, v225
	v_fma_f32 v11, v220, v224, -v11
	s_delay_alu instid0(VALU_DEP_1) | instskip(SKIP_1) | instid1(VALU_DEP_1)
	v_add_f32_e32 v9, v9, v11
	v_mul_f32_e32 v11, v227, v231
	v_fma_f32 v11, v226, v230, -v11
	s_delay_alu instid0(VALU_DEP_1) | instskip(SKIP_1) | instid1(VALU_DEP_1)
	v_add_f32_e32 v9, v9, v11
	v_mul_f32_e32 v11, v229, v233
	v_fma_f32 v11, v228, v232, -v11
	s_delay_alu instid0(VALU_DEP_1) | instskip(SKIP_1) | instid1(VALU_DEP_1)
	v_add_f32_e32 v9, v9, v11
	v_mul_f32_e32 v11, v235, v239
	v_fma_f32 v11, v234, v238, -v11
	s_set_vgpr_msb 64                       ;  msbs: dst=1 src0=0 src1=0 src2=0
	s_delay_alu instid0(VALU_DEP_1) | instskip(SKIP_3) | instid1(VALU_DEP_1)
	v_dual_fmac_f32 v11 /*v267*/, v243, v246 :: v_dual_add_f32 v6 /*v262*/, v9, v11
	s_set_vgpr_msb 0                        ;  msbs: dst=0 src0=0 src1=0 src2=0
	v_mul_f32_e32 v9, v237, v241
	s_set_vgpr_msb 64                       ;  msbs: dst=1 src0=0 src1=0 src2=0
	v_fma_f32 v8 /*v264*/, v236, v240, -v9
	s_set_vgpr_msb 0                        ;  msbs: dst=0 src0=0 src1=0 src2=0
	v_mul_f32_e32 v9, v243, v247
	s_set_vgpr_msb 64                       ;  msbs: dst=1 src0=0 src1=0 src2=0
	s_delay_alu instid0(VALU_DEP_1) | instskip(SKIP_3) | instid1(VALU_DEP_1)
	v_fma_f32 v10 /*v266*/, v242, v246, -v9
	s_set_vgpr_msb 5                        ;  msbs: dst=0 src0=1 src1=1 src2=0
	v_pk_add_f32 v[136:137], v[6:7] /*v[262:263]*/, v[8:9] /*v[264:265]*/
	s_set_vgpr_msb 4                        ;  msbs: dst=0 src0=0 src1=1 src2=0
	v_pk_add_f32 v[136:137], v[136:137], v[10:11] /*v[266:267]*/
	s_set_vgpr_msb 0                        ;  msbs: dst=0 src0=0 src1=0 src2=0
	s_delay_alu instid0(VALU_DEP_1) | instskip(SKIP_2) | instid1(VALU_DEP_1)
	v_pk_add_f32 v[136:137], v[136:137], v[140:141]
	v_pk_fma_f32 v[140:141], v[122:123], v[250:251], v[138:139] neg_lo:[0,0,1] neg_hi:[0,0,1]
	v_pk_fma_f32 v[122:123], v[122:123], v[250:251], v[138:139] op_sel_hi:[1,0,1]
	v_dual_mov_b32 v138, v253 :: v_dual_mov_b32 v141, v123
	s_delay_alu instid0(VALU_DEP_1) | instskip(SKIP_1) | instid1(VALU_DEP_1)
	v_pk_add_f32 v[122:123], v[136:137], v[140:141]
	v_dual_mov_b32 v136, v125 :: v_dual_mov_b32 v137, v124
	v_pk_mul_f32 v[136:137], v[136:137], v[138:139] op_sel_hi:[1,0]
	s_delay_alu instid0(VALU_DEP_1) | instskip(SKIP_1) | instid1(VALU_DEP_1)
	v_pk_fma_f32 v[138:139], v[124:125], v[252:253], v[136:137] neg_lo:[0,0,1] neg_hi:[0,0,1]
	v_pk_fma_f32 v[124:125], v[124:125], v[252:253], v[136:137] op_sel_hi:[1,0,1]
	v_mov_b32_e32 v139, v125
	s_wait_loadcnt_dscnt 0x202
	v_pk_mul_f32 v[124:125], v[126:127], v[254:255] op_sel:[1,1] op_sel_hi:[0,1]
	s_delay_alu instid0(VALU_DEP_2) | instskip(NEXT) | instid1(VALU_DEP_2)
	v_pk_add_f32 v[122:123], v[122:123], v[138:139]
	v_pk_fma_f32 v[136:137], v[126:127], v[254:255], v[124:125] neg_lo:[0,0,1] neg_hi:[0,0,1]
	v_pk_fma_f32 v[124:125], v[126:127], v[254:255], v[124:125] op_sel_hi:[1,0,1]
	v_mov_b32_e32 v124, v129
	s_set_vgpr_msb 1                        ;  msbs: dst=0 src0=1 src1=0 src2=0
	v_mov_b32_e32 v126, v1 /*v257*/
	s_set_vgpr_msb 0                        ;  msbs: dst=0 src0=0 src1=0 src2=0
	v_dual_mov_b32 v137, v125 :: v_dual_mov_b32 v125, v128
	s_delay_alu instid0(VALU_DEP_1) | instskip(NEXT) | instid1(VALU_DEP_2)
	v_pk_add_f32 v[122:123], v[122:123], v[136:137]
	v_pk_mul_f32 v[124:125], v[124:125], v[126:127] op_sel_hi:[1,0]
	s_set_vgpr_msb 4                        ;  msbs: dst=0 src0=0 src1=1 src2=0
	s_delay_alu instid0(VALU_DEP_1) | instskip(SKIP_1) | instid1(VALU_DEP_1)
	v_pk_fma_f32 v[126:127], v[128:129], v[0:1] /*v[256:257]*/, v[124:125] neg_lo:[0,0,1] neg_hi:[0,0,1]
	v_pk_fma_f32 v[124:125], v[128:129], v[0:1] /*v[256:257]*/, v[124:125] op_sel_hi:[1,0,1]
	v_mov_b32_e32 v127, v125
	s_wait_loadcnt_dscnt 0x101
	v_pk_mul_f32 v[124:125], v[130:131], v[2:3] /*v[258:259]*/ op_sel:[1,1] op_sel_hi:[0,1]
	s_set_vgpr_msb 0                        ;  msbs: dst=0 src0=0 src1=0 src2=0
	s_delay_alu instid0(VALU_DEP_2) | instskip(SKIP_1) | instid1(VALU_DEP_2)
	v_pk_add_f32 v[122:123], v[122:123], v[126:127]
	s_set_vgpr_msb 4                        ;  msbs: dst=0 src0=0 src1=1 src2=0
	v_pk_fma_f32 v[126:127], v[130:131], v[2:3] /*v[258:259]*/, v[124:125] neg_lo:[0,0,1] neg_hi:[0,0,1]
	v_pk_fma_f32 v[124:125], v[130:131], v[2:3] /*v[258:259]*/, v[124:125] op_sel_hi:[1,0,1]
	s_delay_alu instid0(VALU_DEP_1) | instskip(SKIP_2) | instid1(VALU_DEP_2)
	v_dual_mov_b32 v124, v133 :: v_dual_mov_b32 v127, v125
	v_mov_b32_e32 v125, v132
	s_set_vgpr_msb 0                        ;  msbs: dst=0 src0=0 src1=0 src2=0
	v_pk_add_f32 v[122:123], v[122:123], v[126:127]
	s_set_vgpr_msb 1                        ;  msbs: dst=0 src0=1 src1=0 src2=0
	v_mov_b32_e32 v126, v5 /*v261*/
	s_set_vgpr_msb 0                        ;  msbs: dst=0 src0=0 src1=0 src2=0
	s_delay_alu instid0(VALU_DEP_1) | instskip(SKIP_1) | instid1(VALU_DEP_1)
	v_pk_mul_f32 v[124:125], v[124:125], v[126:127] op_sel_hi:[1,0]
	s_set_vgpr_msb 4                        ;  msbs: dst=0 src0=0 src1=1 src2=0
	v_pk_fma_f32 v[126:127], v[132:133], v[4:5] /*v[260:261]*/, v[124:125] neg_lo:[0,0,1] neg_hi:[0,0,1]
	v_pk_fma_f32 v[124:125], v[132:133], v[4:5] /*v[260:261]*/, v[124:125] op_sel_hi:[1,0,1]
	s_delay_alu instid0(VALU_DEP_1) | instskip(SKIP_3) | instid1(VALU_DEP_2)
	v_mov_b32_e32 v127, v125
	s_wait_loadcnt_dscnt 0x0
	v_pk_mul_f32 v[124:125], v[134:135], v[12:13] /*v[268:269]*/ op_sel:[1,1] op_sel_hi:[0,1]
	s_set_vgpr_msb 0                        ;  msbs: dst=0 src0=0 src1=0 src2=0
	v_pk_add_f32 v[122:123], v[122:123], v[126:127]
	s_set_vgpr_msb 4                        ;  msbs: dst=0 src0=0 src1=1 src2=0
	s_delay_alu instid0(VALU_DEP_2) | instskip(SKIP_1) | instid1(VALU_DEP_1)
	v_pk_fma_f32 v[126:127], v[134:135], v[12:13] /*v[268:269]*/, v[124:125] neg_lo:[0,0,1] neg_hi:[0,0,1]
	v_pk_fma_f32 v[124:125], v[134:135], v[12:13] /*v[268:269]*/, v[124:125] op_sel_hi:[1,0,1]
	v_mov_b32_e32 v127, v125
	scratch_load_b64 v[124:125], off, off offset:160
	s_set_vgpr_msb 0                        ;  msbs: dst=0 src0=0 src1=0 src2=0
	v_pk_add_f32 v[122:123], v[122:123], v[126:127]
	s_wait_loadcnt 0x0
	s_delay_alu instid0(VALU_DEP_1)
	v_pk_add_f32 v[122:123], v[124:125], v[122:123] neg_lo:[0,1] neg_hi:[0,1]
	scratch_store_b64 off, v[122:123], off offset:160
	s_wait_xcnt 0x0
	v_cmpx_lt_u32_e32 19, v0
	s_cbranch_execz .LBB59_335
; %bb.334:
	scratch_load_b64 v[122:123], off, off offset:152
	v_mov_b64_e32 v[124:125], 0
	scratch_store_b64 off, v[124:125], off offset:152
	s_wait_loadcnt 0x0
	ds_store_b64 v1, v[122:123]
.LBB59_335:
	s_wait_xcnt 0x0
	s_or_b32 exec_lo, exec_lo, s0
	s_wait_storecnt_dscnt 0x0
	s_barrier_signal -1
	s_barrier_wait -1
	ds_load_b128 v[122:125], v7 offset:640
	ds_load_b128 v[126:129], v7 offset:656
	ds_load_b128 v[130:133], v7 offset:672
	ds_load_b128 v[134:137], v7 offset:688
	s_clause 0xf
	scratch_load_b128 v[138:141], off, off offset:160
	scratch_load_b128 v[142:145], off, off offset:176
	;; [unrolled: 1-line block ×16, first 2 shown]
	ds_load_b128 v[154:157], v7 offset:704
	ds_load_b128 v[162:165], v7 offset:720
	;; [unrolled: 1-line block ×12, first 2 shown]
	s_clause 0x4
	scratch_load_b128 v[250:253], off, off offset:416
	scratch_load_b128 v[254:257], off, off offset:432
	s_set_vgpr_msb 64                       ;  msbs: dst=1 src0=0 src1=0 src2=0
	scratch_load_b128 v[2:5] /*v[258:261]*/, off, off offset:448
	scratch_load_b128 v[6:9] /*v[262:265]*/, off, off offset:464
	s_mov_b32 s0, exec_lo
	s_wait_loadcnt_dscnt 0x130f
	s_set_vgpr_msb 0                        ;  msbs: dst=0 src0=0 src1=0 src2=0
	v_dual_mul_f32 v9, v122, v139 :: v_dual_mul_f32 v11, v124, v141
	s_delay_alu instid0(VALU_DEP_1) | instskip(NEXT) | instid1(VALU_DEP_1)
	v_dual_fmac_f32 v9, v123, v138 :: v_dual_fmac_f32 v11, v125, v140
	v_add_f32_e32 v9, 0, v9
	s_delay_alu instid0(VALU_DEP_1)
	v_add_f32_e32 v9, v9, v11
	s_wait_loadcnt_dscnt 0x120e
	v_mul_f32_e32 v11, v126, v143
	s_wait_loadcnt_dscnt 0x408
	s_set_vgpr_msb 64                       ;  msbs: dst=1 src0=0 src1=0 src2=0
	v_dual_mul_f32 v13 /*v269*/, v242, v247 :: v_dual_mul_f32 v15 /*v271*/, v244, v249
	s_set_vgpr_msb 0                        ;  msbs: dst=0 src0=0 src1=0 src2=0
	v_fmac_f32_e32 v11, v127, v142
	s_set_vgpr_msb 64                       ;  msbs: dst=1 src0=0 src1=0 src2=0
	s_delay_alu instid0(VALU_DEP_2) | instskip(SKIP_1) | instid1(VALU_DEP_2)
	v_dual_fmac_f32 v13 /*v269*/, v243, v246 :: v_dual_fmac_f32 v15 /*v271*/, v245, v248
	s_set_vgpr_msb 0                        ;  msbs: dst=0 src0=0 src1=0 src2=0
	v_dual_add_f32 v9, v9, v11 :: v_dual_mul_f32 v11, v128, v145
	s_delay_alu instid0(VALU_DEP_1) | instskip(NEXT) | instid1(VALU_DEP_1)
	v_fmac_f32_e32 v11, v129, v144
	v_add_f32_e32 v9, v9, v11
	v_mul_f32_e32 v11, v130, v147
	s_delay_alu instid0(VALU_DEP_1) | instskip(NEXT) | instid1(VALU_DEP_1)
	v_fmac_f32_e32 v11, v131, v146
	v_dual_add_f32 v9, v9, v11 :: v_dual_mul_f32 v11, v132, v149
	s_delay_alu instid0(VALU_DEP_1) | instskip(NEXT) | instid1(VALU_DEP_1)
	v_fmac_f32_e32 v11, v133, v148
	v_add_f32_e32 v9, v9, v11
	v_mul_f32_e32 v11, v134, v151
	s_delay_alu instid0(VALU_DEP_1) | instskip(NEXT) | instid1(VALU_DEP_1)
	v_fmac_f32_e32 v11, v135, v150
	;; [unrolled: 7-line block ×4, first 2 shown]
	v_dual_add_f32 v9, v9, v11 :: v_dual_mul_f32 v11, v164, v169
	s_delay_alu instid0(VALU_DEP_1) | instskip(NEXT) | instid1(VALU_DEP_1)
	v_fmac_f32_e32 v11, v165, v168
	v_add_f32_e32 v9, v9, v11
	s_wait_dscnt 0x7
	v_mul_f32_e32 v11, v170, v175
	s_delay_alu instid0(VALU_DEP_1) | instskip(NEXT) | instid1(VALU_DEP_1)
	v_fmac_f32_e32 v11, v171, v174
	v_dual_add_f32 v9, v9, v11 :: v_dual_mul_f32 v11, v172, v177
	s_delay_alu instid0(VALU_DEP_1) | instskip(NEXT) | instid1(VALU_DEP_1)
	v_fmac_f32_e32 v11, v173, v176
	v_add_f32_e32 v9, v9, v11
	s_wait_dscnt 0x6
	v_mul_f32_e32 v11, v178, v183
	s_delay_alu instid0(VALU_DEP_1) | instskip(NEXT) | instid1(VALU_DEP_1)
	v_fmac_f32_e32 v11, v179, v182
	;; [unrolled: 8-line block ×8, first 2 shown]
	v_dual_add_f32 v9, v9, v11 :: v_dual_mul_f32 v11, v228, v233
	s_delay_alu instid0(VALU_DEP_1) | instskip(NEXT) | instid1(VALU_DEP_1)
	v_fmac_f32_e32 v11, v229, v232
	v_add_f32_e32 v9, v9, v11
	v_mul_f32_e32 v11, v234, v239
	s_delay_alu instid0(VALU_DEP_1) | instskip(NEXT) | instid1(VALU_DEP_1)
	v_fmac_f32_e32 v11, v235, v238
	v_dual_add_f32 v9, v9, v11 :: v_dual_mul_f32 v11, v236, v241
	s_delay_alu instid0(VALU_DEP_1) | instskip(SKIP_1) | instid1(VALU_DEP_1)
	v_fmac_f32_e32 v11, v237, v240
	s_set_vgpr_msb 64                       ;  msbs: dst=1 src0=0 src1=0 src2=0
	v_add_f32_e32 v11 /*v267*/, v9, v11
	s_set_vgpr_msb 0                        ;  msbs: dst=0 src0=0 src1=0 src2=0
	v_dual_mul_f32 v9, v123, v139 :: v_dual_mul_f32 v11, v125, v141
	s_delay_alu instid0(VALU_DEP_1) | instskip(NEXT) | instid1(VALU_DEP_1)
	v_dual_fma_f32 v9, v122, v138, -v9 :: v_dual_fma_f32 v11, v124, v140, -v11
	v_add_f32_e32 v9, 0, v9
	s_delay_alu instid0(VALU_DEP_1) | instskip(SKIP_1) | instid1(VALU_DEP_1)
	v_add_f32_e32 v9, v9, v11
	v_mul_f32_e32 v11, v127, v143
	v_fma_f32 v11, v126, v142, -v11
	s_delay_alu instid0(VALU_DEP_1) | instskip(SKIP_1) | instid1(VALU_DEP_1)
	v_add_f32_e32 v9, v9, v11
	v_mul_f32_e32 v11, v129, v145
	v_fma_f32 v11, v128, v144, -v11
	;; [unrolled: 4-line block ×6, first 2 shown]
	ds_load_b128 v[122:125], v7 offset:896
	ds_load_b128 v[126:129], v7 offset:912
	;; [unrolled: 1-line block ×4, first 2 shown]
	v_add_f32_e32 v9, v9, v11
	v_mul_f32_e32 v11, v155, v159
	s_delay_alu instid0(VALU_DEP_1) | instskip(NEXT) | instid1(VALU_DEP_1)
	v_fma_f32 v11, v154, v158, -v11
	v_add_f32_e32 v9, v9, v11
	v_mul_f32_e32 v11, v157, v161
	s_wait_loadcnt_dscnt 0x303
	v_pk_mul_f32 v[140:141], v[122:123], v[250:251] op_sel:[1,1] op_sel_hi:[0,1]
	s_delay_alu instid0(VALU_DEP_2) | instskip(NEXT) | instid1(VALU_DEP_2)
	v_fma_f32 v11, v156, v160, -v11
	v_pk_fma_f32 v[142:143], v[122:123], v[250:251], v[140:141] neg_lo:[0,0,1] neg_hi:[0,0,1]
	v_pk_fma_f32 v[122:123], v[122:123], v[250:251], v[140:141] op_sel_hi:[1,0,1]
	v_mov_b32_e32 v140, v253
	s_delay_alu instid0(VALU_DEP_4) | instskip(SKIP_1) | instid1(VALU_DEP_1)
	v_add_f32_e32 v9, v9, v11
	v_mul_f32_e32 v11, v163, v167
	v_dual_mov_b32 v143, v123 :: v_dual_fma_f32 v11, v162, v166, -v11
	s_delay_alu instid0(VALU_DEP_1) | instskip(SKIP_1) | instid1(VALU_DEP_1)
	v_add_f32_e32 v9, v9, v11
	v_mul_f32_e32 v11, v165, v169
	v_fma_f32 v11, v164, v168, -v11
	s_delay_alu instid0(VALU_DEP_1) | instskip(SKIP_1) | instid1(VALU_DEP_1)
	v_add_f32_e32 v9, v9, v11
	v_mul_f32_e32 v11, v171, v175
	v_fma_f32 v11, v170, v174, -v11
	;; [unrolled: 4-line block ×19, first 2 shown]
	s_set_vgpr_msb 64                       ;  msbs: dst=1 src0=0 src1=0 src2=0
	s_delay_alu instid0(VALU_DEP_1) | instskip(SKIP_3) | instid1(VALU_DEP_1)
	v_add_f32_e32 v10 /*v266*/, v9, v11
	s_set_vgpr_msb 0                        ;  msbs: dst=0 src0=0 src1=0 src2=0
	v_mul_f32_e32 v9, v243, v247
	s_set_vgpr_msb 64                       ;  msbs: dst=1 src0=0 src1=0 src2=0
	v_fma_f32 v12 /*v268*/, v242, v246, -v9
	s_set_vgpr_msb 0                        ;  msbs: dst=0 src0=0 src1=0 src2=0
	v_mul_f32_e32 v9, v245, v249
	s_set_vgpr_msb 5                        ;  msbs: dst=0 src0=1 src1=1 src2=0
	s_delay_alu instid0(VALU_DEP_2) | instskip(SKIP_1) | instid1(VALU_DEP_2)
	v_pk_add_f32 v[138:139], v[10:11] /*v[266:267]*/, v[12:13] /*v[268:269]*/
	s_set_vgpr_msb 64                       ;  msbs: dst=1 src0=0 src1=0 src2=0
	v_fma_f32 v14 /*v270*/, v244, v248, -v9
	s_set_vgpr_msb 4                        ;  msbs: dst=0 src0=0 src1=1 src2=0
	s_delay_alu instid0(VALU_DEP_1) | instskip(SKIP_1) | instid1(VALU_DEP_1)
	v_pk_add_f32 v[138:139], v[138:139], v[14:15] /*v[270:271]*/
	s_set_vgpr_msb 0                        ;  msbs: dst=0 src0=0 src1=0 src2=0
	v_pk_add_f32 v[122:123], v[138:139], v[142:143]
	v_dual_mov_b32 v138, v125 :: v_dual_mov_b32 v139, v124
	s_delay_alu instid0(VALU_DEP_1) | instskip(NEXT) | instid1(VALU_DEP_1)
	v_pk_mul_f32 v[138:139], v[138:139], v[140:141] op_sel_hi:[1,0]
	v_pk_fma_f32 v[140:141], v[124:125], v[252:253], v[138:139] neg_lo:[0,0,1] neg_hi:[0,0,1]
	v_pk_fma_f32 v[124:125], v[124:125], v[252:253], v[138:139] op_sel_hi:[1,0,1]
	s_delay_alu instid0(VALU_DEP_1) | instskip(SKIP_2) | instid1(VALU_DEP_2)
	v_mov_b32_e32 v141, v125
	s_wait_loadcnt_dscnt 0x202
	v_pk_mul_f32 v[124:125], v[126:127], v[254:255] op_sel:[1,1] op_sel_hi:[0,1]
	v_pk_add_f32 v[122:123], v[122:123], v[140:141]
	s_delay_alu instid0(VALU_DEP_2)
	v_pk_fma_f32 v[138:139], v[126:127], v[254:255], v[124:125] neg_lo:[0,0,1] neg_hi:[0,0,1]
	v_pk_fma_f32 v[124:125], v[126:127], v[254:255], v[124:125] op_sel_hi:[1,0,1]
	v_mov_b32_e32 v124, v129
	s_set_vgpr_msb 1                        ;  msbs: dst=0 src0=1 src1=0 src2=0
	v_mov_b32_e32 v126, v1 /*v257*/
	s_set_vgpr_msb 0                        ;  msbs: dst=0 src0=0 src1=0 src2=0
	v_dual_mov_b32 v139, v125 :: v_dual_mov_b32 v125, v128
	s_delay_alu instid0(VALU_DEP_1) | instskip(NEXT) | instid1(VALU_DEP_2)
	v_pk_add_f32 v[122:123], v[122:123], v[138:139]
	v_pk_mul_f32 v[124:125], v[124:125], v[126:127] op_sel_hi:[1,0]
	s_set_vgpr_msb 4                        ;  msbs: dst=0 src0=0 src1=1 src2=0
	s_delay_alu instid0(VALU_DEP_1) | instskip(SKIP_1) | instid1(VALU_DEP_1)
	v_pk_fma_f32 v[126:127], v[128:129], v[0:1] /*v[256:257]*/, v[124:125] neg_lo:[0,0,1] neg_hi:[0,0,1]
	v_pk_fma_f32 v[124:125], v[128:129], v[0:1] /*v[256:257]*/, v[124:125] op_sel_hi:[1,0,1]
	v_mov_b32_e32 v127, v125
	s_wait_loadcnt_dscnt 0x101
	v_pk_mul_f32 v[124:125], v[130:131], v[2:3] /*v[258:259]*/ op_sel:[1,1] op_sel_hi:[0,1]
	s_set_vgpr_msb 0                        ;  msbs: dst=0 src0=0 src1=0 src2=0
	s_delay_alu instid0(VALU_DEP_2) | instskip(SKIP_1) | instid1(VALU_DEP_2)
	v_pk_add_f32 v[122:123], v[122:123], v[126:127]
	s_set_vgpr_msb 4                        ;  msbs: dst=0 src0=0 src1=1 src2=0
	v_pk_fma_f32 v[126:127], v[130:131], v[2:3] /*v[258:259]*/, v[124:125] neg_lo:[0,0,1] neg_hi:[0,0,1]
	v_pk_fma_f32 v[124:125], v[130:131], v[2:3] /*v[258:259]*/, v[124:125] op_sel_hi:[1,0,1]
	s_delay_alu instid0(VALU_DEP_1) | instskip(SKIP_2) | instid1(VALU_DEP_2)
	v_dual_mov_b32 v124, v133 :: v_dual_mov_b32 v127, v125
	v_mov_b32_e32 v125, v132
	s_set_vgpr_msb 0                        ;  msbs: dst=0 src0=0 src1=0 src2=0
	v_pk_add_f32 v[122:123], v[122:123], v[126:127]
	s_set_vgpr_msb 1                        ;  msbs: dst=0 src0=1 src1=0 src2=0
	v_mov_b32_e32 v126, v5 /*v261*/
	s_set_vgpr_msb 0                        ;  msbs: dst=0 src0=0 src1=0 src2=0
	s_delay_alu instid0(VALU_DEP_1) | instskip(SKIP_1) | instid1(VALU_DEP_1)
	v_pk_mul_f32 v[124:125], v[124:125], v[126:127] op_sel_hi:[1,0]
	s_set_vgpr_msb 4                        ;  msbs: dst=0 src0=0 src1=1 src2=0
	v_pk_fma_f32 v[126:127], v[132:133], v[4:5] /*v[260:261]*/, v[124:125] neg_lo:[0,0,1] neg_hi:[0,0,1]
	v_pk_fma_f32 v[124:125], v[132:133], v[4:5] /*v[260:261]*/, v[124:125] op_sel_hi:[1,0,1]
	s_delay_alu instid0(VALU_DEP_1) | instskip(SKIP_3) | instid1(VALU_DEP_2)
	v_mov_b32_e32 v127, v125
	s_wait_loadcnt_dscnt 0x0
	v_pk_mul_f32 v[124:125], v[134:135], v[6:7] /*v[262:263]*/ op_sel:[1,1] op_sel_hi:[0,1]
	s_set_vgpr_msb 0                        ;  msbs: dst=0 src0=0 src1=0 src2=0
	v_pk_add_f32 v[122:123], v[122:123], v[126:127]
	s_set_vgpr_msb 4                        ;  msbs: dst=0 src0=0 src1=1 src2=0
	s_delay_alu instid0(VALU_DEP_2) | instskip(SKIP_1) | instid1(VALU_DEP_1)
	v_pk_fma_f32 v[126:127], v[134:135], v[6:7] /*v[262:263]*/, v[124:125] neg_lo:[0,0,1] neg_hi:[0,0,1]
	v_pk_fma_f32 v[124:125], v[134:135], v[6:7] /*v[262:263]*/, v[124:125] op_sel_hi:[1,0,1]
	v_dual_mov_b32 v124, v137 :: v_dual_mov_b32 v127, v125
	v_mov_b32_e32 v125, v136
	s_set_vgpr_msb 0                        ;  msbs: dst=0 src0=0 src1=0 src2=0
	s_delay_alu instid0(VALU_DEP_2) | instskip(SKIP_3) | instid1(VALU_DEP_1)
	v_pk_add_f32 v[122:123], v[122:123], v[126:127]
	s_set_vgpr_msb 1                        ;  msbs: dst=0 src0=1 src1=0 src2=0
	v_mov_b32_e32 v126, v9 /*v265*/
	s_set_vgpr_msb 0                        ;  msbs: dst=0 src0=0 src1=0 src2=0
	v_pk_mul_f32 v[124:125], v[124:125], v[126:127] op_sel_hi:[1,0]
	s_set_vgpr_msb 4                        ;  msbs: dst=0 src0=0 src1=1 src2=0
	s_delay_alu instid0(VALU_DEP_1) | instskip(SKIP_1) | instid1(VALU_DEP_1)
	v_pk_fma_f32 v[126:127], v[136:137], v[8:9] /*v[264:265]*/, v[124:125] neg_lo:[0,0,1] neg_hi:[0,0,1]
	v_pk_fma_f32 v[124:125], v[136:137], v[8:9] /*v[264:265]*/, v[124:125] op_sel_hi:[1,0,1]
	v_mov_b32_e32 v127, v125
	scratch_load_b64 v[124:125], off, off offset:152
	s_set_vgpr_msb 0                        ;  msbs: dst=0 src0=0 src1=0 src2=0
	v_pk_add_f32 v[122:123], v[122:123], v[126:127]
	s_wait_loadcnt 0x0
	s_delay_alu instid0(VALU_DEP_1)
	v_pk_add_f32 v[122:123], v[124:125], v[122:123] neg_lo:[0,1] neg_hi:[0,1]
	scratch_store_b64 off, v[122:123], off offset:152
	s_wait_xcnt 0x0
	v_cmpx_lt_u32_e32 18, v0
	s_cbranch_execz .LBB59_337
; %bb.336:
	scratch_load_b64 v[122:123], off, off offset:144
	v_mov_b64_e32 v[124:125], 0
	scratch_store_b64 off, v[124:125], off offset:144
	s_wait_loadcnt 0x0
	ds_store_b64 v1, v[122:123]
.LBB59_337:
	s_wait_xcnt 0x0
	s_or_b32 exec_lo, exec_lo, s0
	s_wait_storecnt_dscnt 0x0
	s_barrier_signal -1
	s_barrier_wait -1
	s_clause 0xf
	scratch_load_b128 v[126:129], off, off offset:152
	scratch_load_b128 v[134:137], off, off offset:168
	scratch_load_b128 v[142:145], off, off offset:184
	scratch_load_b128 v[150:153], off, off offset:200
	scratch_load_b128 v[158:161], off, off offset:216
	scratch_load_b128 v[166:169], off, off offset:232
	scratch_load_b128 v[174:177], off, off offset:248
	scratch_load_b128 v[182:185], off, off offset:264
	scratch_load_b128 v[190:193], off, off offset:280
	scratch_load_b128 v[198:201], off, off offset:296
	scratch_load_b128 v[206:209], off, off offset:312
	scratch_load_b128 v[214:217], off, off offset:328
	scratch_load_b128 v[222:225], off, off offset:344
	scratch_load_b128 v[230:233], off, off offset:360
	scratch_load_b128 v[238:241], off, off offset:376
	scratch_load_b128 v[246:249], off, off offset:392
	v_mov_b32_e32 v7, 0
	scratch_load_b128 v[254:257], off, off offset:408
	s_mov_b32 s0, exec_lo
	ds_load_2addr_b64 v[122:125], v7 offset0:79 offset1:80
	ds_load_2addr_b64 v[130:133], v7 offset0:81 offset1:82
	s_wait_loadcnt_dscnt 0x1001
	v_dual_mul_f32 v9, v122, v127 :: v_dual_mul_f32 v11, v124, v129
	ds_load_2addr_b64 v[138:141], v7 offset0:83 offset1:84
	ds_load_2addr_b64 v[146:149], v7 offset0:85 offset1:86
	;; [unrolled: 1-line block ×4, first 2 shown]
	v_dual_fmac_f32 v9, v123, v126 :: v_dual_fmac_f32 v11, v125, v128
	ds_load_2addr_b64 v[154:157], v7 offset0:87 offset1:88
	ds_load_2addr_b64 v[162:165], v7 offset0:89 offset1:90
	;; [unrolled: 1-line block ×3, first 2 shown]
	v_add_f32_e32 v9, 0, v9
	ds_load_2addr_b64 v[170:173], v7 offset0:91 offset1:92
	ds_load_2addr_b64 v[178:181], v7 offset0:93 offset1:94
	;; [unrolled: 1-line block ×4, first 2 shown]
	v_add_f32_e32 v9, v9, v11
	s_wait_loadcnt_dscnt 0xf0b
	v_mul_f32_e32 v11, v130, v135
	ds_load_2addr_b64 v[202:205], v7 offset0:99 offset1:100
	ds_load_2addr_b64 v[210:213], v7 offset0:101 offset1:102
	;; [unrolled: 1-line block ×4, first 2 shown]
	v_fmac_f32_e32 v11, v131, v134
	s_set_vgpr_msb 64                       ;  msbs: dst=1 src0=0 src1=0 src2=0
	s_clause 0x3
	scratch_load_b128 v[2:5] /*v[258:261]*/, off, off offset:424
	scratch_load_b128 v[6:9] /*v[262:265]*/, off, off offset:440
	;; [unrolled: 1-line block ×3, first 2 shown]
	scratch_load_b64 v[20:21] /*v[276:277]*/, off, off offset:472
	s_wait_loadcnt_dscnt 0x50b
	v_mul_f32_e32 v17 /*v273*/, v244, v249
	s_set_vgpr_msb 0                        ;  msbs: dst=0 src0=0 src1=0 src2=0
	v_dual_add_f32 v9, v9, v11 :: v_dual_mul_f32 v11, v132, v137
	s_wait_loadcnt_dscnt 0x408
	s_set_vgpr_msb 64                       ;  msbs: dst=1 src0=0 src1=0 src2=0
	v_dual_fmac_f32 v17 /*v273*/, v245, v248 :: v_dual_mul_f32 v19 /*v275*/, v250, v255
	s_set_vgpr_msb 0                        ;  msbs: dst=0 src0=0 src1=0 src2=0
	v_fmac_f32_e32 v11, v133, v136
	s_delay_alu instid0(VALU_DEP_1) | instskip(SKIP_1) | instid1(VALU_DEP_1)
	v_add_f32_e32 v9, v9, v11
	v_mul_f32_e32 v11, v138, v143
	v_fmac_f32_e32 v11, v139, v142
	s_delay_alu instid0(VALU_DEP_1) | instskip(NEXT) | instid1(VALU_DEP_1)
	v_dual_add_f32 v9, v9, v11 :: v_dual_mul_f32 v11, v140, v145
	v_fmac_f32_e32 v11, v141, v144
	s_delay_alu instid0(VALU_DEP_1) | instskip(SKIP_1) | instid1(VALU_DEP_1)
	v_add_f32_e32 v9, v9, v11
	v_mul_f32_e32 v11, v146, v151
	v_fmac_f32_e32 v11, v147, v150
	s_delay_alu instid0(VALU_DEP_1) | instskip(NEXT) | instid1(VALU_DEP_1)
	v_dual_add_f32 v9, v9, v11 :: v_dual_mul_f32 v11, v148, v153
	;; [unrolled: 7-line block ×4, first 2 shown]
	v_fmac_f32_e32 v11, v165, v168
	s_delay_alu instid0(VALU_DEP_1) | instskip(SKIP_2) | instid1(VALU_DEP_1)
	v_add_f32_e32 v9, v9, v11
	s_wait_dscnt 0x7
	v_mul_f32_e32 v11, v170, v175
	v_fmac_f32_e32 v11, v171, v174
	s_delay_alu instid0(VALU_DEP_1) | instskip(NEXT) | instid1(VALU_DEP_1)
	v_dual_add_f32 v9, v9, v11 :: v_dual_mul_f32 v11, v172, v177
	v_fmac_f32_e32 v11, v173, v176
	s_delay_alu instid0(VALU_DEP_1) | instskip(SKIP_2) | instid1(VALU_DEP_1)
	v_add_f32_e32 v9, v9, v11
	s_wait_dscnt 0x6
	v_mul_f32_e32 v11, v178, v183
	v_fmac_f32_e32 v11, v179, v182
	s_delay_alu instid0(VALU_DEP_1) | instskip(NEXT) | instid1(VALU_DEP_1)
	v_dual_add_f32 v9, v9, v11 :: v_dual_mul_f32 v11, v180, v185
	v_fmac_f32_e32 v11, v181, v184
	s_delay_alu instid0(VALU_DEP_1) | instskip(SKIP_2) | instid1(VALU_DEP_1)
	v_add_f32_e32 v9, v9, v11
	s_wait_dscnt 0x5
	v_mul_f32_e32 v11, v186, v191
	v_fmac_f32_e32 v11, v187, v190
	s_delay_alu instid0(VALU_DEP_1) | instskip(NEXT) | instid1(VALU_DEP_1)
	v_dual_add_f32 v9, v9, v11 :: v_dual_mul_f32 v11, v188, v193
	v_fmac_f32_e32 v11, v189, v192
	s_delay_alu instid0(VALU_DEP_1) | instskip(SKIP_2) | instid1(VALU_DEP_1)
	v_add_f32_e32 v9, v9, v11
	s_wait_dscnt 0x4
	v_mul_f32_e32 v11, v194, v199
	v_fmac_f32_e32 v11, v195, v198
	s_delay_alu instid0(VALU_DEP_1) | instskip(NEXT) | instid1(VALU_DEP_1)
	v_dual_add_f32 v9, v9, v11 :: v_dual_mul_f32 v11, v196, v201
	v_fmac_f32_e32 v11, v197, v200
	s_delay_alu instid0(VALU_DEP_1) | instskip(SKIP_2) | instid1(VALU_DEP_1)
	v_add_f32_e32 v9, v9, v11
	s_wait_dscnt 0x3
	v_mul_f32_e32 v11, v202, v207
	v_fmac_f32_e32 v11, v203, v206
	s_delay_alu instid0(VALU_DEP_1) | instskip(NEXT) | instid1(VALU_DEP_1)
	v_dual_add_f32 v9, v9, v11 :: v_dual_mul_f32 v11, v204, v209
	v_fmac_f32_e32 v11, v205, v208
	s_delay_alu instid0(VALU_DEP_1) | instskip(SKIP_2) | instid1(VALU_DEP_1)
	v_add_f32_e32 v9, v9, v11
	s_wait_dscnt 0x2
	v_mul_f32_e32 v11, v210, v215
	v_fmac_f32_e32 v11, v211, v214
	s_delay_alu instid0(VALU_DEP_1) | instskip(NEXT) | instid1(VALU_DEP_1)
	v_dual_add_f32 v9, v9, v11 :: v_dual_mul_f32 v11, v212, v217
	v_fmac_f32_e32 v11, v213, v216
	s_delay_alu instid0(VALU_DEP_1) | instskip(SKIP_2) | instid1(VALU_DEP_1)
	v_add_f32_e32 v9, v9, v11
	s_wait_dscnt 0x1
	v_mul_f32_e32 v11, v218, v223
	v_fmac_f32_e32 v11, v219, v222
	s_delay_alu instid0(VALU_DEP_1) | instskip(NEXT) | instid1(VALU_DEP_1)
	v_dual_add_f32 v9, v9, v11 :: v_dual_mul_f32 v11, v220, v225
	v_fmac_f32_e32 v11, v221, v224
	s_delay_alu instid0(VALU_DEP_1) | instskip(SKIP_2) | instid1(VALU_DEP_1)
	v_add_f32_e32 v9, v9, v11
	s_wait_dscnt 0x0
	v_mul_f32_e32 v11, v226, v231
	v_fmac_f32_e32 v11, v227, v230
	s_delay_alu instid0(VALU_DEP_1) | instskip(NEXT) | instid1(VALU_DEP_1)
	v_dual_add_f32 v9, v9, v11 :: v_dual_mul_f32 v11, v228, v233
	v_fmac_f32_e32 v11, v229, v232
	s_delay_alu instid0(VALU_DEP_1) | instskip(SKIP_1) | instid1(VALU_DEP_1)
	v_add_f32_e32 v9, v9, v11
	v_mul_f32_e32 v11, v234, v239
	v_fmac_f32_e32 v11, v235, v238
	s_delay_alu instid0(VALU_DEP_1) | instskip(NEXT) | instid1(VALU_DEP_1)
	v_dual_add_f32 v9, v9, v11 :: v_dual_mul_f32 v11, v236, v241
	v_fmac_f32_e32 v11, v237, v240
	s_delay_alu instid0(VALU_DEP_1) | instskip(SKIP_1) | instid1(VALU_DEP_1)
	v_add_f32_e32 v9, v9, v11
	v_mul_f32_e32 v11, v242, v247
	v_fmac_f32_e32 v11, v243, v246
	s_set_vgpr_msb 64                       ;  msbs: dst=1 src0=0 src1=0 src2=0
	s_delay_alu instid0(VALU_DEP_1) | instskip(SKIP_2) | instid1(VALU_DEP_1)
	v_add_f32_e32 v15 /*v271*/, v9, v11
	s_set_vgpr_msb 0                        ;  msbs: dst=0 src0=0 src1=0 src2=0
	v_dual_mul_f32 v9, v123, v127 :: v_dual_mul_f32 v11, v125, v129
	v_dual_fma_f32 v9, v122, v126, -v9 :: v_dual_fma_f32 v11, v124, v128, -v11
	s_delay_alu instid0(VALU_DEP_1) | instskip(NEXT) | instid1(VALU_DEP_1)
	v_add_f32_e32 v9, 0, v9
	v_add_f32_e32 v9, v9, v11
	v_mul_f32_e32 v11, v131, v135
	s_delay_alu instid0(VALU_DEP_1) | instskip(NEXT) | instid1(VALU_DEP_1)
	v_fma_f32 v11, v130, v134, -v11
	v_add_f32_e32 v9, v9, v11
	v_mul_f32_e32 v11, v133, v137
	s_delay_alu instid0(VALU_DEP_1)
	v_fma_f32 v11, v132, v136, -v11
	ds_load_2addr_b64 v[122:125], v7 offset0:113 offset1:114
	ds_load_2addr_b64 v[126:129], v7 offset0:115 offset1:116
	;; [unrolled: 1-line block ×3, first 2 shown]
	ds_load_b64 v[134:135], v7 offset:952
	v_add_f32_e32 v9, v9, v11
	v_dual_mul_f32 v11, v139, v143 :: v_dual_mov_b32 v139, v252
	s_delay_alu instid0(VALU_DEP_1) | instskip(NEXT) | instid1(VALU_DEP_1)
	v_dual_fma_f32 v11, v138, v142, -v11 :: v_dual_mov_b32 v138, v253
	v_add_f32_e32 v9, v9, v11
	v_mul_f32_e32 v11, v141, v145
	s_delay_alu instid0(VALU_DEP_1) | instskip(SKIP_3) | instid1(VALU_DEP_2)
	v_fma_f32 v11, v140, v144, -v11
	s_set_vgpr_msb 1                        ;  msbs: dst=0 src0=1 src1=0 src2=0
	v_mov_b32_e32 v140, v1 /*v257*/
	s_set_vgpr_msb 0                        ;  msbs: dst=0 src0=0 src1=0 src2=0
	v_add_f32_e32 v9, v9, v11
	v_mul_f32_e32 v11, v147, v151
	s_delay_alu instid0(VALU_DEP_3) | instskip(NEXT) | instid1(VALU_DEP_2)
	v_pk_mul_f32 v[138:139], v[138:139], v[140:141] op_sel_hi:[1,0]
	v_fma_f32 v11, v146, v150, -v11
	s_set_vgpr_msb 4                        ;  msbs: dst=0 src0=0 src1=1 src2=0
	s_delay_alu instid0(VALU_DEP_2) | instskip(SKIP_3) | instid1(VALU_DEP_2)
	v_pk_fma_f32 v[140:141], v[252:253], v[0:1] /*v[256:257]*/, v[138:139] neg_lo:[0,0,1] neg_hi:[0,0,1]
	v_pk_fma_f32 v[138:139], v[252:253], v[0:1] /*v[256:257]*/, v[138:139] op_sel_hi:[1,0,1]
	s_set_vgpr_msb 0                        ;  msbs: dst=0 src0=0 src1=0 src2=0
	v_add_f32_e32 v9, v9, v11
	v_dual_mul_f32 v11, v149, v153 :: v_dual_mov_b32 v141, v139
	s_wait_loadcnt_dscnt 0x303
	s_set_vgpr_msb 4                        ;  msbs: dst=0 src0=0 src1=1 src2=0
	v_pk_mul_f32 v[138:139], v[122:123], v[2:3] /*v[258:259]*/ op_sel:[1,1] op_sel_hi:[0,1]
	s_set_vgpr_msb 0                        ;  msbs: dst=0 src0=0 src1=0 src2=0
	v_fma_f32 v11, v148, v152, -v11
	s_delay_alu instid0(VALU_DEP_1) | instskip(SKIP_1) | instid1(VALU_DEP_1)
	v_add_f32_e32 v9, v9, v11
	v_mul_f32_e32 v11, v155, v159
	v_fma_f32 v11, v154, v158, -v11
	s_delay_alu instid0(VALU_DEP_1) | instskip(SKIP_1) | instid1(VALU_DEP_1)
	v_add_f32_e32 v9, v9, v11
	v_mul_f32_e32 v11, v157, v161
	;; [unrolled: 4-line block ×23, first 2 shown]
	v_fma_f32 v11, v242, v246, -v11
	s_set_vgpr_msb 64                       ;  msbs: dst=1 src0=0 src1=0 src2=0
	s_delay_alu instid0(VALU_DEP_1) | instskip(SKIP_3) | instid1(VALU_DEP_1)
	v_dual_fmac_f32 v19 /*v275*/, v251, v254 :: v_dual_add_f32 v14 /*v270*/, v9, v11
	s_set_vgpr_msb 0                        ;  msbs: dst=0 src0=0 src1=0 src2=0
	v_mul_f32_e32 v9, v245, v249
	s_set_vgpr_msb 64                       ;  msbs: dst=1 src0=0 src1=0 src2=0
	v_fma_f32 v16 /*v272*/, v244, v248, -v9
	s_set_vgpr_msb 0                        ;  msbs: dst=0 src0=0 src1=0 src2=0
	v_mul_f32_e32 v9, v251, v255
	s_set_vgpr_msb 64                       ;  msbs: dst=1 src0=0 src1=0 src2=0
	s_delay_alu instid0(VALU_DEP_1) | instskip(SKIP_3) | instid1(VALU_DEP_1)
	v_fma_f32 v18 /*v274*/, v250, v254, -v9
	s_set_vgpr_msb 5                        ;  msbs: dst=0 src0=1 src1=1 src2=0
	v_pk_add_f32 v[136:137], v[14:15] /*v[270:271]*/, v[16:17] /*v[272:273]*/
	s_set_vgpr_msb 4                        ;  msbs: dst=0 src0=0 src1=1 src2=0
	v_pk_add_f32 v[136:137], v[136:137], v[18:19] /*v[274:275]*/
	s_set_vgpr_msb 0                        ;  msbs: dst=0 src0=0 src1=0 src2=0
	s_delay_alu instid0(VALU_DEP_1)
	v_pk_add_f32 v[136:137], v[136:137], v[140:141]
	s_set_vgpr_msb 4                        ;  msbs: dst=0 src0=0 src1=1 src2=0
	v_pk_fma_f32 v[140:141], v[122:123], v[2:3] /*v[258:259]*/, v[138:139] neg_lo:[0,0,1] neg_hi:[0,0,1]
	v_pk_fma_f32 v[122:123], v[122:123], v[2:3] /*v[258:259]*/, v[138:139] op_sel_hi:[1,0,1]
	s_set_vgpr_msb 1                        ;  msbs: dst=0 src0=1 src1=0 src2=0
	v_mov_b32_e32 v138, v5 /*v261*/
	s_set_vgpr_msb 0                        ;  msbs: dst=0 src0=0 src1=0 src2=0
	s_delay_alu instid0(VALU_DEP_2) | instskip(NEXT) | instid1(VALU_DEP_1)
	v_mov_b32_e32 v141, v123
	v_pk_add_f32 v[122:123], v[136:137], v[140:141]
	v_dual_mov_b32 v136, v125 :: v_dual_mov_b32 v137, v124
	s_delay_alu instid0(VALU_DEP_1) | instskip(SKIP_1) | instid1(VALU_DEP_1)
	v_pk_mul_f32 v[136:137], v[136:137], v[138:139] op_sel_hi:[1,0]
	s_set_vgpr_msb 4                        ;  msbs: dst=0 src0=0 src1=1 src2=0
	v_pk_fma_f32 v[138:139], v[124:125], v[4:5] /*v[260:261]*/, v[136:137] neg_lo:[0,0,1] neg_hi:[0,0,1]
	v_pk_fma_f32 v[124:125], v[124:125], v[4:5] /*v[260:261]*/, v[136:137] op_sel_hi:[1,0,1]
	s_delay_alu instid0(VALU_DEP_1) | instskip(SKIP_3) | instid1(VALU_DEP_2)
	v_mov_b32_e32 v139, v125
	s_wait_loadcnt_dscnt 0x202
	v_pk_mul_f32 v[124:125], v[126:127], v[6:7] /*v[262:263]*/ op_sel:[1,1] op_sel_hi:[0,1]
	s_set_vgpr_msb 0                        ;  msbs: dst=0 src0=0 src1=0 src2=0
	v_pk_add_f32 v[122:123], v[122:123], v[138:139]
	s_set_vgpr_msb 4                        ;  msbs: dst=0 src0=0 src1=1 src2=0
	s_delay_alu instid0(VALU_DEP_2)
	v_pk_fma_f32 v[136:137], v[126:127], v[6:7] /*v[262:263]*/, v[124:125] neg_lo:[0,0,1] neg_hi:[0,0,1]
	v_pk_fma_f32 v[124:125], v[126:127], v[6:7] /*v[262:263]*/, v[124:125] op_sel_hi:[1,0,1]
	v_mov_b32_e32 v124, v129
	s_set_vgpr_msb 1                        ;  msbs: dst=0 src0=1 src1=0 src2=0
	v_mov_b32_e32 v126, v9 /*v265*/
	s_set_vgpr_msb 0                        ;  msbs: dst=0 src0=0 src1=0 src2=0
	v_dual_mov_b32 v137, v125 :: v_dual_mov_b32 v125, v128
	s_delay_alu instid0(VALU_DEP_1) | instskip(NEXT) | instid1(VALU_DEP_2)
	v_pk_add_f32 v[122:123], v[122:123], v[136:137]
	v_pk_mul_f32 v[124:125], v[124:125], v[126:127] op_sel_hi:[1,0]
	s_set_vgpr_msb 4                        ;  msbs: dst=0 src0=0 src1=1 src2=0
	s_delay_alu instid0(VALU_DEP_1) | instskip(SKIP_1) | instid1(VALU_DEP_1)
	v_pk_fma_f32 v[126:127], v[128:129], v[8:9] /*v[264:265]*/, v[124:125] neg_lo:[0,0,1] neg_hi:[0,0,1]
	v_pk_fma_f32 v[124:125], v[128:129], v[8:9] /*v[264:265]*/, v[124:125] op_sel_hi:[1,0,1]
	v_mov_b32_e32 v127, v125
	s_wait_loadcnt_dscnt 0x101
	v_pk_mul_f32 v[124:125], v[130:131], v[10:11] /*v[266:267]*/ op_sel:[1,1] op_sel_hi:[0,1]
	s_set_vgpr_msb 0                        ;  msbs: dst=0 src0=0 src1=0 src2=0
	s_delay_alu instid0(VALU_DEP_2) | instskip(SKIP_1) | instid1(VALU_DEP_2)
	v_pk_add_f32 v[122:123], v[122:123], v[126:127]
	s_set_vgpr_msb 4                        ;  msbs: dst=0 src0=0 src1=1 src2=0
	v_pk_fma_f32 v[126:127], v[130:131], v[10:11] /*v[266:267]*/, v[124:125] neg_lo:[0,0,1] neg_hi:[0,0,1]
	v_pk_fma_f32 v[124:125], v[130:131], v[10:11] /*v[266:267]*/, v[124:125] op_sel_hi:[1,0,1]
	s_delay_alu instid0(VALU_DEP_1) | instskip(SKIP_2) | instid1(VALU_DEP_2)
	v_dual_mov_b32 v124, v133 :: v_dual_mov_b32 v127, v125
	v_mov_b32_e32 v125, v132
	s_set_vgpr_msb 0                        ;  msbs: dst=0 src0=0 src1=0 src2=0
	v_pk_add_f32 v[122:123], v[122:123], v[126:127]
	s_set_vgpr_msb 1                        ;  msbs: dst=0 src0=1 src1=0 src2=0
	v_mov_b32_e32 v126, v13 /*v269*/
	s_set_vgpr_msb 0                        ;  msbs: dst=0 src0=0 src1=0 src2=0
	s_delay_alu instid0(VALU_DEP_1) | instskip(SKIP_1) | instid1(VALU_DEP_1)
	v_pk_mul_f32 v[124:125], v[124:125], v[126:127] op_sel_hi:[1,0]
	s_set_vgpr_msb 4                        ;  msbs: dst=0 src0=0 src1=1 src2=0
	v_pk_fma_f32 v[126:127], v[132:133], v[12:13] /*v[268:269]*/, v[124:125] neg_lo:[0,0,1] neg_hi:[0,0,1]
	v_pk_fma_f32 v[124:125], v[132:133], v[12:13] /*v[268:269]*/, v[124:125] op_sel_hi:[1,0,1]
	s_delay_alu instid0(VALU_DEP_1) | instskip(SKIP_3) | instid1(VALU_DEP_2)
	v_mov_b32_e32 v127, v125
	s_wait_loadcnt_dscnt 0x0
	v_pk_mul_f32 v[124:125], v[134:135], v[20:21] /*v[276:277]*/ op_sel:[1,1] op_sel_hi:[0,1]
	s_set_vgpr_msb 0                        ;  msbs: dst=0 src0=0 src1=0 src2=0
	v_pk_add_f32 v[122:123], v[122:123], v[126:127]
	s_set_vgpr_msb 4                        ;  msbs: dst=0 src0=0 src1=1 src2=0
	s_delay_alu instid0(VALU_DEP_2) | instskip(SKIP_1) | instid1(VALU_DEP_1)
	v_pk_fma_f32 v[126:127], v[134:135], v[20:21] /*v[276:277]*/, v[124:125] neg_lo:[0,0,1] neg_hi:[0,0,1]
	v_pk_fma_f32 v[124:125], v[134:135], v[20:21] /*v[276:277]*/, v[124:125] op_sel_hi:[1,0,1]
	v_mov_b32_e32 v127, v125
	scratch_load_b64 v[124:125], off, off offset:144
	s_set_vgpr_msb 0                        ;  msbs: dst=0 src0=0 src1=0 src2=0
	v_pk_add_f32 v[122:123], v[122:123], v[126:127]
	s_wait_loadcnt 0x0
	s_delay_alu instid0(VALU_DEP_1)
	v_pk_add_f32 v[122:123], v[124:125], v[122:123] neg_lo:[0,1] neg_hi:[0,1]
	scratch_store_b64 off, v[122:123], off offset:144
	s_wait_xcnt 0x0
	v_cmpx_lt_u32_e32 17, v0
	s_cbranch_execz .LBB59_339
; %bb.338:
	scratch_load_b64 v[122:123], off, off offset:136
	v_mov_b64_e32 v[124:125], 0
	scratch_store_b64 off, v[124:125], off offset:136
	s_wait_loadcnt 0x0
	ds_store_b64 v1, v[122:123]
.LBB59_339:
	s_wait_xcnt 0x0
	s_or_b32 exec_lo, exec_lo, s0
	s_wait_storecnt_dscnt 0x0
	s_barrier_signal -1
	s_barrier_wait -1
	ds_load_b128 v[122:125], v7 offset:624
	ds_load_b128 v[126:129], v7 offset:640
	;; [unrolled: 1-line block ×4, first 2 shown]
	s_clause 0x10
	scratch_load_b128 v[138:141], off, off offset:144
	scratch_load_b128 v[142:145], off, off offset:160
	;; [unrolled: 1-line block ×17, first 2 shown]
	ds_load_b128 v[154:157], v7 offset:688
	ds_load_b128 v[162:165], v7 offset:704
	;; [unrolled: 1-line block ×13, first 2 shown]
	s_set_vgpr_msb 64                       ;  msbs: dst=1 src0=0 src1=0 src2=0
	s_clause 0x3
	scratch_load_b128 v[2:5] /*v[258:261]*/, off, off offset:416
	scratch_load_b128 v[6:9] /*v[262:265]*/, off, off offset:432
	;; [unrolled: 1-line block ×4, first 2 shown]
	s_mov_b32 s0, exec_lo
	s_wait_loadcnt_dscnt 0x1410
	s_set_vgpr_msb 0                        ;  msbs: dst=0 src0=0 src1=0 src2=0
	v_dual_mul_f32 v9, v122, v139 :: v_dual_mul_f32 v11, v124, v141
	s_delay_alu instid0(VALU_DEP_1) | instskip(NEXT) | instid1(VALU_DEP_1)
	v_dual_fmac_f32 v9, v123, v138 :: v_dual_fmac_f32 v11, v125, v140
	v_add_f32_e32 v9, 0, v9
	s_delay_alu instid0(VALU_DEP_1)
	v_add_f32_e32 v9, v9, v11
	s_wait_loadcnt_dscnt 0x130f
	v_mul_f32_e32 v11, v126, v143
	s_wait_loadcnt_dscnt 0x40a
	s_set_vgpr_msb 64                       ;  msbs: dst=1 src0=0 src1=0 src2=0
	v_mul_f32_e32 v21 /*v277*/, v250, v255
	s_set_vgpr_msb 0                        ;  msbs: dst=0 src0=0 src1=0 src2=0
	v_fmac_f32_e32 v11, v127, v142
	s_delay_alu instid0(VALU_DEP_1) | instskip(NEXT) | instid1(VALU_DEP_1)
	v_dual_add_f32 v9, v9, v11 :: v_dual_mul_f32 v11, v128, v145
	v_fmac_f32_e32 v11, v129, v144
	s_delay_alu instid0(VALU_DEP_1) | instskip(SKIP_1) | instid1(VALU_DEP_1)
	v_add_f32_e32 v9, v9, v11
	v_mul_f32_e32 v11, v130, v147
	v_fmac_f32_e32 v11, v131, v146
	s_delay_alu instid0(VALU_DEP_1) | instskip(NEXT) | instid1(VALU_DEP_1)
	v_dual_add_f32 v9, v9, v11 :: v_dual_mul_f32 v11, v132, v149
	v_fmac_f32_e32 v11, v133, v148
	s_delay_alu instid0(VALU_DEP_1) | instskip(SKIP_1) | instid1(VALU_DEP_1)
	v_add_f32_e32 v9, v9, v11
	v_mul_f32_e32 v11, v134, v151
	;; [unrolled: 7-line block ×4, first 2 shown]
	v_fmac_f32_e32 v11, v163, v166
	s_delay_alu instid0(VALU_DEP_1) | instskip(NEXT) | instid1(VALU_DEP_1)
	v_dual_add_f32 v9, v9, v11 :: v_dual_mul_f32 v11, v164, v169
	v_fmac_f32_e32 v11, v165, v168
	s_delay_alu instid0(VALU_DEP_1) | instskip(SKIP_2) | instid1(VALU_DEP_1)
	v_add_f32_e32 v9, v9, v11
	s_wait_dscnt 0x9
	v_mul_f32_e32 v11, v170, v175
	v_fmac_f32_e32 v11, v171, v174
	s_delay_alu instid0(VALU_DEP_1) | instskip(NEXT) | instid1(VALU_DEP_1)
	v_dual_add_f32 v9, v9, v11 :: v_dual_mul_f32 v11, v172, v177
	v_fmac_f32_e32 v11, v173, v176
	s_delay_alu instid0(VALU_DEP_1) | instskip(SKIP_2) | instid1(VALU_DEP_1)
	v_add_f32_e32 v9, v9, v11
	s_wait_dscnt 0x8
	v_mul_f32_e32 v11, v178, v183
	;; [unrolled: 8-line block ×10, first 2 shown]
	v_fmac_f32_e32 v11, v243, v246
	s_delay_alu instid0(VALU_DEP_1) | instskip(NEXT) | instid1(VALU_DEP_1)
	v_dual_add_f32 v9, v9, v11 :: v_dual_mul_f32 v11, v244, v249
	v_fmac_f32_e32 v11, v245, v248
	s_set_vgpr_msb 64                       ;  msbs: dst=1 src0=0 src1=0 src2=0
	s_delay_alu instid0(VALU_DEP_1) | instskip(SKIP_2) | instid1(VALU_DEP_1)
	v_add_f32_e32 v19 /*v275*/, v9, v11
	s_set_vgpr_msb 0                        ;  msbs: dst=0 src0=0 src1=0 src2=0
	v_dual_mul_f32 v9, v123, v139 :: v_dual_mul_f32 v11, v125, v141
	v_dual_fma_f32 v9, v122, v138, -v9 :: v_dual_fma_f32 v11, v124, v140, -v11
	s_delay_alu instid0(VALU_DEP_1) | instskip(NEXT) | instid1(VALU_DEP_1)
	v_add_f32_e32 v9, 0, v9
	v_add_f32_e32 v9, v9, v11
	v_mul_f32_e32 v11, v127, v143
	s_delay_alu instid0(VALU_DEP_1) | instskip(NEXT) | instid1(VALU_DEP_1)
	v_fma_f32 v11, v126, v142, -v11
	v_add_f32_e32 v9, v9, v11
	v_mul_f32_e32 v11, v129, v145
	s_delay_alu instid0(VALU_DEP_1) | instskip(NEXT) | instid1(VALU_DEP_1)
	v_fma_f32 v11, v128, v144, -v11
	;; [unrolled: 4-line block ×5, first 2 shown]
	v_add_f32_e32 v9, v9, v11
	v_mul_f32_e32 v11, v137, v153
	s_delay_alu instid0(VALU_DEP_1)
	v_fma_f32 v11, v136, v152, -v11
	ds_load_b128 v[122:125], v7 offset:896
	ds_load_b128 v[126:129], v7 offset:912
	;; [unrolled: 1-line block ×4, first 2 shown]
	v_add_f32_e32 v9, v9, v11
	v_mul_f32_e32 v11, v155, v159
	s_delay_alu instid0(VALU_DEP_1) | instskip(NEXT) | instid1(VALU_DEP_1)
	v_fma_f32 v11, v154, v158, -v11
	v_add_f32_e32 v9, v9, v11
	v_mul_f32_e32 v11, v157, v161
	s_wait_loadcnt_dscnt 0x303
	s_set_vgpr_msb 4                        ;  msbs: dst=0 src0=0 src1=1 src2=0
	v_pk_mul_f32 v[140:141], v[122:123], v[2:3] /*v[258:259]*/ op_sel:[1,1] op_sel_hi:[0,1]
	s_set_vgpr_msb 0                        ;  msbs: dst=0 src0=0 src1=0 src2=0
	v_fma_f32 v11, v156, v160, -v11
	s_set_vgpr_msb 4                        ;  msbs: dst=0 src0=0 src1=1 src2=0
	s_delay_alu instid0(VALU_DEP_2)
	v_pk_fma_f32 v[142:143], v[122:123], v[2:3] /*v[258:259]*/, v[140:141] neg_lo:[0,0,1] neg_hi:[0,0,1]
	v_pk_fma_f32 v[122:123], v[122:123], v[2:3] /*v[258:259]*/, v[140:141] op_sel_hi:[1,0,1]
	s_set_vgpr_msb 1                        ;  msbs: dst=0 src0=1 src1=0 src2=0
	v_mov_b32_e32 v140, v5 /*v261*/
	s_set_vgpr_msb 0                        ;  msbs: dst=0 src0=0 src1=0 src2=0
	v_add_f32_e32 v9, v9, v11
	v_mul_f32_e32 v11, v163, v167
	s_delay_alu instid0(VALU_DEP_1) | instskip(NEXT) | instid1(VALU_DEP_1)
	v_dual_mov_b32 v143, v123 :: v_dual_fma_f32 v11, v162, v166, -v11
	v_add_f32_e32 v9, v9, v11
	v_mul_f32_e32 v11, v165, v169
	s_delay_alu instid0(VALU_DEP_1) | instskip(NEXT) | instid1(VALU_DEP_1)
	v_fma_f32 v11, v164, v168, -v11
	v_add_f32_e32 v9, v9, v11
	v_mul_f32_e32 v11, v171, v175
	s_delay_alu instid0(VALU_DEP_1) | instskip(NEXT) | instid1(VALU_DEP_1)
	v_fma_f32 v11, v170, v174, -v11
	;; [unrolled: 4-line block ×20, first 2 shown]
	v_add_f32_e32 v9, v9, v11
	v_mul_f32_e32 v11, v245, v249
	s_delay_alu instid0(VALU_DEP_1) | instskip(SKIP_1) | instid1(VALU_DEP_1)
	v_fma_f32 v11, v244, v248, -v11
	s_set_vgpr_msb 64                       ;  msbs: dst=1 src0=0 src1=0 src2=0
	v_add_f32_e32 v18 /*v274*/, v9, v11
	s_set_vgpr_msb 0                        ;  msbs: dst=0 src0=0 src1=0 src2=0
	v_mul_f32_e32 v9, v251, v255
	s_set_vgpr_msb 64                       ;  msbs: dst=1 src0=0 src1=0 src2=0
	s_delay_alu instid0(VALU_DEP_1)
	v_fma_f32 v20 /*v276*/, v250, v254, -v9
	v_fmac_f32_e32 v21 /*v277*/, v251, v254
	s_set_vgpr_msb 4                        ;  msbs: dst=0 src0=0 src1=1 src2=0
	v_mul_f32_e32 v9, v253, v1 /*v257*/
	s_set_vgpr_msb 0x44                     ;  msbs: dst=1 src0=0 src1=1 src2=0
	v_mul_f32_e32 v23 /*v279*/, v252, v1 /*v257*/
	s_set_vgpr_msb 5                        ;  msbs: dst=0 src0=1 src1=1 src2=0
	v_pk_add_f32 v[138:139], v[18:19] /*v[274:275]*/, v[20:21] /*v[276:277]*/
	s_set_vgpr_msb 0x44                     ;  msbs: dst=1 src0=0 src1=1 src2=0
	v_fma_f32 v22 /*v278*/, v252, v0 /*v256*/, -v9
	v_fmac_f32_e32 v23 /*v279*/, v253, v0 /*v256*/
	s_set_vgpr_msb 4                        ;  msbs: dst=0 src0=0 src1=1 src2=0
	s_delay_alu instid0(VALU_DEP_1) | instskip(SKIP_1) | instid1(VALU_DEP_1)
	v_pk_add_f32 v[138:139], v[138:139], v[22:23] /*v[278:279]*/
	s_set_vgpr_msb 0                        ;  msbs: dst=0 src0=0 src1=0 src2=0
	v_pk_add_f32 v[122:123], v[138:139], v[142:143]
	v_dual_mov_b32 v138, v125 :: v_dual_mov_b32 v139, v124
	s_delay_alu instid0(VALU_DEP_1) | instskip(SKIP_1) | instid1(VALU_DEP_1)
	v_pk_mul_f32 v[138:139], v[138:139], v[140:141] op_sel_hi:[1,0]
	s_set_vgpr_msb 4                        ;  msbs: dst=0 src0=0 src1=1 src2=0
	v_pk_fma_f32 v[140:141], v[124:125], v[4:5] /*v[260:261]*/, v[138:139] neg_lo:[0,0,1] neg_hi:[0,0,1]
	v_pk_fma_f32 v[124:125], v[124:125], v[4:5] /*v[260:261]*/, v[138:139] op_sel_hi:[1,0,1]
	s_delay_alu instid0(VALU_DEP_1) | instskip(SKIP_3) | instid1(VALU_DEP_2)
	v_mov_b32_e32 v141, v125
	s_wait_loadcnt_dscnt 0x202
	v_pk_mul_f32 v[124:125], v[126:127], v[6:7] /*v[262:263]*/ op_sel:[1,1] op_sel_hi:[0,1]
	s_set_vgpr_msb 0                        ;  msbs: dst=0 src0=0 src1=0 src2=0
	v_pk_add_f32 v[122:123], v[122:123], v[140:141]
	s_set_vgpr_msb 4                        ;  msbs: dst=0 src0=0 src1=1 src2=0
	s_delay_alu instid0(VALU_DEP_2)
	v_pk_fma_f32 v[138:139], v[126:127], v[6:7] /*v[262:263]*/, v[124:125] neg_lo:[0,0,1] neg_hi:[0,0,1]
	v_pk_fma_f32 v[124:125], v[126:127], v[6:7] /*v[262:263]*/, v[124:125] op_sel_hi:[1,0,1]
	v_mov_b32_e32 v124, v129
	s_set_vgpr_msb 1                        ;  msbs: dst=0 src0=1 src1=0 src2=0
	v_mov_b32_e32 v126, v9 /*v265*/
	s_set_vgpr_msb 0                        ;  msbs: dst=0 src0=0 src1=0 src2=0
	v_dual_mov_b32 v139, v125 :: v_dual_mov_b32 v125, v128
	s_delay_alu instid0(VALU_DEP_1) | instskip(NEXT) | instid1(VALU_DEP_2)
	v_pk_add_f32 v[122:123], v[122:123], v[138:139]
	v_pk_mul_f32 v[124:125], v[124:125], v[126:127] op_sel_hi:[1,0]
	s_set_vgpr_msb 4                        ;  msbs: dst=0 src0=0 src1=1 src2=0
	s_delay_alu instid0(VALU_DEP_1) | instskip(SKIP_1) | instid1(VALU_DEP_1)
	v_pk_fma_f32 v[126:127], v[128:129], v[8:9] /*v[264:265]*/, v[124:125] neg_lo:[0,0,1] neg_hi:[0,0,1]
	v_pk_fma_f32 v[124:125], v[128:129], v[8:9] /*v[264:265]*/, v[124:125] op_sel_hi:[1,0,1]
	v_mov_b32_e32 v127, v125
	s_wait_loadcnt_dscnt 0x101
	v_pk_mul_f32 v[124:125], v[130:131], v[10:11] /*v[266:267]*/ op_sel:[1,1] op_sel_hi:[0,1]
	s_set_vgpr_msb 0                        ;  msbs: dst=0 src0=0 src1=0 src2=0
	s_delay_alu instid0(VALU_DEP_2) | instskip(SKIP_1) | instid1(VALU_DEP_2)
	v_pk_add_f32 v[122:123], v[122:123], v[126:127]
	s_set_vgpr_msb 4                        ;  msbs: dst=0 src0=0 src1=1 src2=0
	v_pk_fma_f32 v[126:127], v[130:131], v[10:11] /*v[266:267]*/, v[124:125] neg_lo:[0,0,1] neg_hi:[0,0,1]
	v_pk_fma_f32 v[124:125], v[130:131], v[10:11] /*v[266:267]*/, v[124:125] op_sel_hi:[1,0,1]
	s_delay_alu instid0(VALU_DEP_1) | instskip(SKIP_2) | instid1(VALU_DEP_2)
	v_dual_mov_b32 v124, v133 :: v_dual_mov_b32 v127, v125
	v_mov_b32_e32 v125, v132
	s_set_vgpr_msb 0                        ;  msbs: dst=0 src0=0 src1=0 src2=0
	v_pk_add_f32 v[122:123], v[122:123], v[126:127]
	s_set_vgpr_msb 1                        ;  msbs: dst=0 src0=1 src1=0 src2=0
	v_mov_b32_e32 v126, v13 /*v269*/
	s_set_vgpr_msb 0                        ;  msbs: dst=0 src0=0 src1=0 src2=0
	s_delay_alu instid0(VALU_DEP_1) | instskip(SKIP_1) | instid1(VALU_DEP_1)
	v_pk_mul_f32 v[124:125], v[124:125], v[126:127] op_sel_hi:[1,0]
	s_set_vgpr_msb 4                        ;  msbs: dst=0 src0=0 src1=1 src2=0
	v_pk_fma_f32 v[126:127], v[132:133], v[12:13] /*v[268:269]*/, v[124:125] neg_lo:[0,0,1] neg_hi:[0,0,1]
	v_pk_fma_f32 v[124:125], v[132:133], v[12:13] /*v[268:269]*/, v[124:125] op_sel_hi:[1,0,1]
	s_delay_alu instid0(VALU_DEP_1) | instskip(SKIP_3) | instid1(VALU_DEP_2)
	v_mov_b32_e32 v127, v125
	s_wait_loadcnt_dscnt 0x0
	v_pk_mul_f32 v[124:125], v[134:135], v[14:15] /*v[270:271]*/ op_sel:[1,1] op_sel_hi:[0,1]
	s_set_vgpr_msb 0                        ;  msbs: dst=0 src0=0 src1=0 src2=0
	v_pk_add_f32 v[122:123], v[122:123], v[126:127]
	s_set_vgpr_msb 4                        ;  msbs: dst=0 src0=0 src1=1 src2=0
	s_delay_alu instid0(VALU_DEP_2) | instskip(SKIP_1) | instid1(VALU_DEP_1)
	v_pk_fma_f32 v[126:127], v[134:135], v[14:15] /*v[270:271]*/, v[124:125] neg_lo:[0,0,1] neg_hi:[0,0,1]
	v_pk_fma_f32 v[124:125], v[134:135], v[14:15] /*v[270:271]*/, v[124:125] op_sel_hi:[1,0,1]
	v_dual_mov_b32 v124, v137 :: v_dual_mov_b32 v127, v125
	v_mov_b32_e32 v125, v136
	s_set_vgpr_msb 0                        ;  msbs: dst=0 src0=0 src1=0 src2=0
	s_delay_alu instid0(VALU_DEP_2) | instskip(SKIP_3) | instid1(VALU_DEP_1)
	v_pk_add_f32 v[122:123], v[122:123], v[126:127]
	s_set_vgpr_msb 1                        ;  msbs: dst=0 src0=1 src1=0 src2=0
	v_mov_b32_e32 v126, v17 /*v273*/
	s_set_vgpr_msb 0                        ;  msbs: dst=0 src0=0 src1=0 src2=0
	v_pk_mul_f32 v[124:125], v[124:125], v[126:127] op_sel_hi:[1,0]
	s_set_vgpr_msb 4                        ;  msbs: dst=0 src0=0 src1=1 src2=0
	s_delay_alu instid0(VALU_DEP_1) | instskip(SKIP_1) | instid1(VALU_DEP_1)
	v_pk_fma_f32 v[126:127], v[136:137], v[16:17] /*v[272:273]*/, v[124:125] neg_lo:[0,0,1] neg_hi:[0,0,1]
	v_pk_fma_f32 v[124:125], v[136:137], v[16:17] /*v[272:273]*/, v[124:125] op_sel_hi:[1,0,1]
	v_mov_b32_e32 v127, v125
	scratch_load_b64 v[124:125], off, off offset:136
	s_set_vgpr_msb 0                        ;  msbs: dst=0 src0=0 src1=0 src2=0
	v_pk_add_f32 v[122:123], v[122:123], v[126:127]
	s_wait_loadcnt 0x0
	s_delay_alu instid0(VALU_DEP_1)
	v_pk_add_f32 v[122:123], v[124:125], v[122:123] neg_lo:[0,1] neg_hi:[0,1]
	scratch_store_b64 off, v[122:123], off offset:136
	s_wait_xcnt 0x0
	v_cmpx_lt_u32_e32 16, v0
	s_cbranch_execz .LBB59_341
; %bb.340:
	scratch_load_b64 v[122:123], off, off offset:128
	v_mov_b64_e32 v[124:125], 0
	scratch_store_b64 off, v[124:125], off offset:128
	s_wait_loadcnt 0x0
	ds_store_b64 v1, v[122:123]
.LBB59_341:
	s_wait_xcnt 0x0
	s_or_b32 exec_lo, exec_lo, s0
	s_wait_storecnt_dscnt 0x0
	s_barrier_signal -1
	s_barrier_wait -1
	s_clause 0xf
	scratch_load_b128 v[126:129], off, off offset:136
	scratch_load_b128 v[134:137], off, off offset:152
	;; [unrolled: 1-line block ×16, first 2 shown]
	v_mov_b32_e32 v7, 0
	s_clause 0x2
	scratch_load_b128 v[254:257], off, off offset:392
	s_set_vgpr_msb 64                       ;  msbs: dst=1 src0=0 src1=0 src2=0
	scratch_load_b128 v[6:9] /*v[262:265]*/, off, off offset:408
	s_mov_b32 s0, exec_lo
	s_set_vgpr_msb 0                        ;  msbs: dst=0 src0=0 src1=0 src2=0
	ds_load_2addr_b64 v[122:125], v7 offset0:77 offset1:78
	ds_load_2addr_b64 v[130:133], v7 offset0:79 offset1:80
	s_wait_loadcnt_dscnt 0x1101
	v_dual_mul_f32 v9, v122, v127 :: v_dual_mul_f32 v11, v124, v129
	ds_load_2addr_b64 v[138:141], v7 offset0:81 offset1:82
	ds_load_2addr_b64 v[146:149], v7 offset0:83 offset1:84
	;; [unrolled: 1-line block ×4, first 2 shown]
	v_dual_fmac_f32 v9, v123, v126 :: v_dual_fmac_f32 v11, v125, v128
	ds_load_2addr_b64 v[170:173], v7 offset0:89 offset1:90
	ds_load_2addr_b64 v[178:181], v7 offset0:91 offset1:92
	;; [unrolled: 1-line block ×4, first 2 shown]
	v_add_f32_e32 v9, 0, v9
	ds_load_2addr_b64 v[202:205], v7 offset0:97 offset1:98
	ds_load_2addr_b64 v[210:213], v7 offset0:99 offset1:100
	;; [unrolled: 1-line block ×4, first 2 shown]
	v_add_f32_e32 v9, v9, v11
	s_wait_loadcnt_dscnt 0x100c
	v_mul_f32_e32 v11, v130, v135
	ds_load_2addr_b64 v[234:237], v7 offset0:105 offset1:106
	ds_load_2addr_b64 v[242:245], v7 offset0:107 offset1:108
	;; [unrolled: 1-line block ×3, first 2 shown]
	s_set_vgpr_msb 64                       ;  msbs: dst=1 src0=0 src1=0 src2=0
	ds_load_2addr_b64 v[2:5] /*v[258:261]*/, v7 offset0:111 offset1:112
	s_set_vgpr_msb 0                        ;  msbs: dst=0 src0=0 src1=0 src2=0
	v_fmac_f32_e32 v11, v131, v134
	s_set_vgpr_msb 64                       ;  msbs: dst=1 src0=0 src1=0 src2=0
	s_clause 0x3
	scratch_load_b128 v[10:13] /*v[266:269]*/, off, off offset:424
	scratch_load_b128 v[14:17] /*v[270:273]*/, off, off offset:440
	;; [unrolled: 1-line block ×3, first 2 shown]
	scratch_load_b64 v[28:29] /*v[284:285]*/, off, off offset:472
	s_set_vgpr_msb 0                        ;  msbs: dst=0 src0=0 src1=0 src2=0
	v_dual_add_f32 v9, v9, v11 :: v_dual_mul_f32 v11, v132, v137
	s_delay_alu instid0(VALU_DEP_1) | instskip(NEXT) | instid1(VALU_DEP_1)
	v_fmac_f32_e32 v11, v133, v136
	v_add_f32_e32 v9, v9, v11
	s_wait_loadcnt_dscnt 0x130f
	v_mul_f32_e32 v11, v138, v143
	s_delay_alu instid0(VALU_DEP_1) | instskip(NEXT) | instid1(VALU_DEP_1)
	v_fmac_f32_e32 v11, v139, v142
	v_dual_add_f32 v9, v9, v11 :: v_dual_mul_f32 v11, v140, v145
	s_delay_alu instid0(VALU_DEP_1) | instskip(NEXT) | instid1(VALU_DEP_1)
	v_fmac_f32_e32 v11, v141, v144
	v_add_f32_e32 v9, v9, v11
	s_wait_loadcnt_dscnt 0x120e
	v_mul_f32_e32 v11, v146, v151
	s_delay_alu instid0(VALU_DEP_1) | instskip(NEXT) | instid1(VALU_DEP_1)
	v_fmac_f32_e32 v11, v147, v150
	;; [unrolled: 8-line block ×14, first 2 shown]
	v_dual_add_f32 v9, v9, v11 :: v_dual_mul_f32 v11, v244, v249
	s_delay_alu instid0(VALU_DEP_1) | instskip(NEXT) | instid1(VALU_DEP_1)
	v_fmac_f32_e32 v11, v245, v248
	v_add_f32_e32 v9, v9, v11
	s_wait_loadcnt_dscnt 0x501
	v_mul_f32_e32 v11, v250, v255
	s_delay_alu instid0(VALU_DEP_1) | instskip(SKIP_1) | instid1(VALU_DEP_1)
	v_fmac_f32_e32 v11, v251, v254
	s_set_vgpr_msb 64                       ;  msbs: dst=1 src0=0 src1=0 src2=0
	v_add_f32_e32 v23 /*v279*/, v9, v11
	s_set_vgpr_msb 0                        ;  msbs: dst=0 src0=0 src1=0 src2=0
	v_dual_mul_f32 v9, v123, v127 :: v_dual_mul_f32 v11, v125, v129
	s_delay_alu instid0(VALU_DEP_1) | instskip(NEXT) | instid1(VALU_DEP_1)
	v_dual_fma_f32 v9, v122, v126, -v9 :: v_dual_fma_f32 v11, v124, v128, -v11
	v_add_f32_e32 v9, 0, v9
	s_delay_alu instid0(VALU_DEP_1) | instskip(SKIP_1) | instid1(VALU_DEP_1)
	v_add_f32_e32 v9, v9, v11
	v_mul_f32_e32 v11, v131, v135
	v_fma_f32 v11, v130, v134, -v11
	s_delay_alu instid0(VALU_DEP_1) | instskip(SKIP_1) | instid1(VALU_DEP_1)
	v_add_f32_e32 v9, v9, v11
	v_mul_f32_e32 v11, v133, v137
	v_fma_f32 v11, v132, v136, -v11
	ds_load_2addr_b64 v[122:125], v7 offset0:113 offset1:114
	ds_load_2addr_b64 v[126:129], v7 offset0:115 offset1:116
	;; [unrolled: 1-line block ×3, first 2 shown]
	ds_load_b64 v[134:135], v7 offset:952
	v_add_f32_e32 v9, v9, v11
	v_mul_f32_e32 v11, v139, v143
	s_wait_dscnt 0x4
	s_set_vgpr_msb 1                        ;  msbs: dst=0 src0=1 src1=0 src2=0
	v_mov_b32_e32 v139, v4 /*v260*/
	s_set_vgpr_msb 0                        ;  msbs: dst=0 src0=0 src1=0 src2=0
	v_fma_f32 v11, v138, v142, -v11
	s_set_vgpr_msb 1                        ;  msbs: dst=0 src0=1 src1=0 src2=0
	v_mov_b32_e32 v138, v5 /*v261*/
	s_set_vgpr_msb 0                        ;  msbs: dst=0 src0=0 src1=0 src2=0
	s_delay_alu instid0(VALU_DEP_2) | instskip(SKIP_1) | instid1(VALU_DEP_1)
	v_add_f32_e32 v9, v9, v11
	v_mul_f32_e32 v11, v141, v145
	v_fma_f32 v11, v140, v144, -v11
	s_wait_loadcnt 0x4
	s_set_vgpr_msb 1                        ;  msbs: dst=0 src0=1 src1=0 src2=0
	v_mov_b32_e32 v140, v9 /*v265*/
	s_set_vgpr_msb 0                        ;  msbs: dst=0 src0=0 src1=0 src2=0
	v_add_f32_e32 v9, v9, v11
	v_mul_f32_e32 v11, v147, v151
	s_delay_alu instid0(VALU_DEP_3) | instskip(NEXT) | instid1(VALU_DEP_2)
	v_pk_mul_f32 v[138:139], v[138:139], v[140:141] op_sel_hi:[1,0]
	v_fma_f32 v11, v146, v150, -v11
	s_set_vgpr_msb 5                        ;  msbs: dst=0 src0=1 src1=1 src2=0
	s_delay_alu instid0(VALU_DEP_2) | instskip(SKIP_3) | instid1(VALU_DEP_2)
	v_pk_fma_f32 v[140:141], v[4:5] /*v[260:261]*/, v[8:9] /*v[264:265]*/, v[138:139] neg_lo:[0,0,1] neg_hi:[0,0,1]
	v_pk_fma_f32 v[138:139], v[4:5] /*v[260:261]*/, v[8:9] /*v[264:265]*/, v[138:139] op_sel_hi:[1,0,1]
	s_set_vgpr_msb 0                        ;  msbs: dst=0 src0=0 src1=0 src2=0
	v_add_f32_e32 v9, v9, v11
	v_dual_mul_f32 v11, v149, v153 :: v_dual_mov_b32 v141, v139
	s_wait_loadcnt_dscnt 0x303
	s_set_vgpr_msb 4                        ;  msbs: dst=0 src0=0 src1=1 src2=0
	v_pk_mul_f32 v[138:139], v[122:123], v[10:11] /*v[266:267]*/ op_sel:[1,1] op_sel_hi:[0,1]
	s_set_vgpr_msb 0                        ;  msbs: dst=0 src0=0 src1=0 src2=0
	v_fma_f32 v11, v148, v152, -v11
	s_delay_alu instid0(VALU_DEP_1) | instskip(SKIP_1) | instid1(VALU_DEP_1)
	v_add_f32_e32 v9, v9, v11
	v_mul_f32_e32 v11, v155, v159
	v_fma_f32 v11, v154, v158, -v11
	s_delay_alu instid0(VALU_DEP_1) | instskip(SKIP_1) | instid1(VALU_DEP_1)
	v_add_f32_e32 v9, v9, v11
	v_mul_f32_e32 v11, v157, v161
	;; [unrolled: 4-line block ×25, first 2 shown]
	v_fma_f32 v11, v250, v254, -v11
	s_set_vgpr_msb 64                       ;  msbs: dst=1 src0=0 src1=0 src2=0
	s_delay_alu instid0(VALU_DEP_1) | instskip(SKIP_3) | instid1(VALU_DEP_1)
	v_add_f32_e32 v22 /*v278*/, v9, v11
	s_set_vgpr_msb 4                        ;  msbs: dst=0 src0=0 src1=1 src2=0
	v_mul_f32_e32 v9, v253, v1 /*v257*/
	s_set_vgpr_msb 0x44                     ;  msbs: dst=1 src0=0 src1=1 src2=0
	v_dual_mul_f32 v25 /*v281*/, v252, v1 /*v257*/ :: v_dual_fma_f32 v24 /*v280*/, v252, v0 /*v256*/, -v9
	s_set_vgpr_msb 5                        ;  msbs: dst=0 src0=1 src1=1 src2=0
	v_mul_f32_e32 v9, v3 /*v259*/, v7 /*v263*/
	s_set_vgpr_msb 0x44                     ;  msbs: dst=1 src0=0 src1=1 src2=0
	s_delay_alu instid0(VALU_DEP_2) | instskip(SKIP_1) | instid1(VALU_DEP_2)
	v_fmac_f32_e32 v25 /*v281*/, v253, v0 /*v256*/
	s_set_vgpr_msb 0x45                     ;  msbs: dst=1 src0=1 src1=1 src2=0
	v_dual_mul_f32 v27 /*v283*/, v2 /*v258*/, v7 /*v263*/ :: v_dual_fma_f32 v26 /*v282*/, v2 /*v258*/, v6 /*v262*/, -v9
	s_set_vgpr_msb 5                        ;  msbs: dst=0 src0=1 src1=1 src2=0
	s_delay_alu instid0(VALU_DEP_2) | instskip(SKIP_1) | instid1(VALU_DEP_2)
	v_pk_add_f32 v[136:137], v[22:23] /*v[278:279]*/, v[24:25] /*v[280:281]*/
	s_set_vgpr_msb 0x45                     ;  msbs: dst=1 src0=1 src1=1 src2=0
	v_fmac_f32_e32 v27 /*v283*/, v3 /*v259*/, v6 /*v262*/
	s_set_vgpr_msb 4                        ;  msbs: dst=0 src0=0 src1=1 src2=0
	s_delay_alu instid0(VALU_DEP_1) | instskip(SKIP_1) | instid1(VALU_DEP_1)
	v_pk_add_f32 v[136:137], v[136:137], v[26:27] /*v[282:283]*/
	s_set_vgpr_msb 0                        ;  msbs: dst=0 src0=0 src1=0 src2=0
	v_pk_add_f32 v[136:137], v[136:137], v[140:141]
	s_set_vgpr_msb 4                        ;  msbs: dst=0 src0=0 src1=1 src2=0
	v_pk_fma_f32 v[140:141], v[122:123], v[10:11] /*v[266:267]*/, v[138:139] neg_lo:[0,0,1] neg_hi:[0,0,1]
	v_pk_fma_f32 v[122:123], v[122:123], v[10:11] /*v[266:267]*/, v[138:139] op_sel_hi:[1,0,1]
	s_set_vgpr_msb 1                        ;  msbs: dst=0 src0=1 src1=0 src2=0
	v_mov_b32_e32 v138, v13 /*v269*/
	s_set_vgpr_msb 0                        ;  msbs: dst=0 src0=0 src1=0 src2=0
	s_delay_alu instid0(VALU_DEP_2) | instskip(NEXT) | instid1(VALU_DEP_1)
	v_mov_b32_e32 v141, v123
	v_pk_add_f32 v[122:123], v[136:137], v[140:141]
	v_dual_mov_b32 v136, v125 :: v_dual_mov_b32 v137, v124
	s_delay_alu instid0(VALU_DEP_1) | instskip(SKIP_1) | instid1(VALU_DEP_1)
	v_pk_mul_f32 v[136:137], v[136:137], v[138:139] op_sel_hi:[1,0]
	s_set_vgpr_msb 4                        ;  msbs: dst=0 src0=0 src1=1 src2=0
	v_pk_fma_f32 v[138:139], v[124:125], v[12:13] /*v[268:269]*/, v[136:137] neg_lo:[0,0,1] neg_hi:[0,0,1]
	v_pk_fma_f32 v[124:125], v[124:125], v[12:13] /*v[268:269]*/, v[136:137] op_sel_hi:[1,0,1]
	s_delay_alu instid0(VALU_DEP_1) | instskip(SKIP_3) | instid1(VALU_DEP_2)
	v_mov_b32_e32 v139, v125
	s_wait_loadcnt_dscnt 0x202
	v_pk_mul_f32 v[124:125], v[126:127], v[14:15] /*v[270:271]*/ op_sel:[1,1] op_sel_hi:[0,1]
	s_set_vgpr_msb 0                        ;  msbs: dst=0 src0=0 src1=0 src2=0
	v_pk_add_f32 v[122:123], v[122:123], v[138:139]
	s_set_vgpr_msb 4                        ;  msbs: dst=0 src0=0 src1=1 src2=0
	s_delay_alu instid0(VALU_DEP_2)
	v_pk_fma_f32 v[136:137], v[126:127], v[14:15] /*v[270:271]*/, v[124:125] neg_lo:[0,0,1] neg_hi:[0,0,1]
	v_pk_fma_f32 v[124:125], v[126:127], v[14:15] /*v[270:271]*/, v[124:125] op_sel_hi:[1,0,1]
	v_mov_b32_e32 v124, v129
	s_set_vgpr_msb 1                        ;  msbs: dst=0 src0=1 src1=0 src2=0
	v_mov_b32_e32 v126, v17 /*v273*/
	s_set_vgpr_msb 0                        ;  msbs: dst=0 src0=0 src1=0 src2=0
	v_dual_mov_b32 v137, v125 :: v_dual_mov_b32 v125, v128
	s_delay_alu instid0(VALU_DEP_1) | instskip(NEXT) | instid1(VALU_DEP_2)
	v_pk_add_f32 v[122:123], v[122:123], v[136:137]
	v_pk_mul_f32 v[124:125], v[124:125], v[126:127] op_sel_hi:[1,0]
	s_set_vgpr_msb 4                        ;  msbs: dst=0 src0=0 src1=1 src2=0
	s_delay_alu instid0(VALU_DEP_1) | instskip(SKIP_1) | instid1(VALU_DEP_1)
	v_pk_fma_f32 v[126:127], v[128:129], v[16:17] /*v[272:273]*/, v[124:125] neg_lo:[0,0,1] neg_hi:[0,0,1]
	v_pk_fma_f32 v[124:125], v[128:129], v[16:17] /*v[272:273]*/, v[124:125] op_sel_hi:[1,0,1]
	v_mov_b32_e32 v127, v125
	s_wait_loadcnt_dscnt 0x101
	v_pk_mul_f32 v[124:125], v[130:131], v[18:19] /*v[274:275]*/ op_sel:[1,1] op_sel_hi:[0,1]
	s_set_vgpr_msb 0                        ;  msbs: dst=0 src0=0 src1=0 src2=0
	s_delay_alu instid0(VALU_DEP_2) | instskip(SKIP_1) | instid1(VALU_DEP_2)
	v_pk_add_f32 v[122:123], v[122:123], v[126:127]
	s_set_vgpr_msb 4                        ;  msbs: dst=0 src0=0 src1=1 src2=0
	v_pk_fma_f32 v[126:127], v[130:131], v[18:19] /*v[274:275]*/, v[124:125] neg_lo:[0,0,1] neg_hi:[0,0,1]
	v_pk_fma_f32 v[124:125], v[130:131], v[18:19] /*v[274:275]*/, v[124:125] op_sel_hi:[1,0,1]
	s_delay_alu instid0(VALU_DEP_1) | instskip(SKIP_2) | instid1(VALU_DEP_2)
	v_dual_mov_b32 v124, v133 :: v_dual_mov_b32 v127, v125
	v_mov_b32_e32 v125, v132
	s_set_vgpr_msb 0                        ;  msbs: dst=0 src0=0 src1=0 src2=0
	v_pk_add_f32 v[122:123], v[122:123], v[126:127]
	s_set_vgpr_msb 1                        ;  msbs: dst=0 src0=1 src1=0 src2=0
	v_mov_b32_e32 v126, v21 /*v277*/
	s_set_vgpr_msb 0                        ;  msbs: dst=0 src0=0 src1=0 src2=0
	s_delay_alu instid0(VALU_DEP_1) | instskip(SKIP_1) | instid1(VALU_DEP_1)
	v_pk_mul_f32 v[124:125], v[124:125], v[126:127] op_sel_hi:[1,0]
	s_set_vgpr_msb 4                        ;  msbs: dst=0 src0=0 src1=1 src2=0
	v_pk_fma_f32 v[126:127], v[132:133], v[20:21] /*v[276:277]*/, v[124:125] neg_lo:[0,0,1] neg_hi:[0,0,1]
	v_pk_fma_f32 v[124:125], v[132:133], v[20:21] /*v[276:277]*/, v[124:125] op_sel_hi:[1,0,1]
	s_delay_alu instid0(VALU_DEP_1) | instskip(SKIP_3) | instid1(VALU_DEP_2)
	v_mov_b32_e32 v127, v125
	s_wait_loadcnt_dscnt 0x0
	v_pk_mul_f32 v[124:125], v[134:135], v[28:29] /*v[284:285]*/ op_sel:[1,1] op_sel_hi:[0,1]
	s_set_vgpr_msb 0                        ;  msbs: dst=0 src0=0 src1=0 src2=0
	v_pk_add_f32 v[122:123], v[122:123], v[126:127]
	s_set_vgpr_msb 4                        ;  msbs: dst=0 src0=0 src1=1 src2=0
	s_delay_alu instid0(VALU_DEP_2) | instskip(SKIP_1) | instid1(VALU_DEP_1)
	v_pk_fma_f32 v[126:127], v[134:135], v[28:29] /*v[284:285]*/, v[124:125] neg_lo:[0,0,1] neg_hi:[0,0,1]
	v_pk_fma_f32 v[124:125], v[134:135], v[28:29] /*v[284:285]*/, v[124:125] op_sel_hi:[1,0,1]
	v_mov_b32_e32 v127, v125
	scratch_load_b64 v[124:125], off, off offset:128
	s_set_vgpr_msb 0                        ;  msbs: dst=0 src0=0 src1=0 src2=0
	v_pk_add_f32 v[122:123], v[122:123], v[126:127]
	s_wait_loadcnt 0x0
	s_delay_alu instid0(VALU_DEP_1)
	v_pk_add_f32 v[122:123], v[124:125], v[122:123] neg_lo:[0,1] neg_hi:[0,1]
	scratch_store_b64 off, v[122:123], off offset:128
	s_wait_xcnt 0x0
	v_cmpx_lt_u32_e32 15, v0
	s_cbranch_execz .LBB59_343
; %bb.342:
	scratch_load_b64 v[122:123], off, off offset:120
	v_mov_b64_e32 v[124:125], 0
	scratch_store_b64 off, v[124:125], off offset:120
	s_wait_loadcnt 0x0
	ds_store_b64 v1, v[122:123]
.LBB59_343:
	s_wait_xcnt 0x0
	s_or_b32 exec_lo, exec_lo, s0
	s_wait_storecnt_dscnt 0x0
	s_barrier_signal -1
	s_barrier_wait -1
	ds_load_b128 v[122:125], v7 offset:608
	ds_load_b128 v[126:129], v7 offset:624
	;; [unrolled: 1-line block ×4, first 2 shown]
	s_clause 0x12
	scratch_load_b128 v[138:141], off, off offset:128
	scratch_load_b128 v[142:145], off, off offset:144
	scratch_load_b128 v[146:149], off, off offset:160
	scratch_load_b128 v[150:153], off, off offset:176
	scratch_load_b128 v[158:161], off, off offset:192
	scratch_load_b128 v[166:169], off, off offset:208
	scratch_load_b128 v[174:177], off, off offset:224
	scratch_load_b128 v[182:185], off, off offset:240
	scratch_load_b128 v[190:193], off, off offset:256
	scratch_load_b128 v[198:201], off, off offset:272
	scratch_load_b128 v[206:209], off, off offset:288
	scratch_load_b128 v[214:217], off, off offset:304
	scratch_load_b128 v[222:225], off, off offset:320
	scratch_load_b128 v[230:233], off, off offset:336
	scratch_load_b128 v[238:241], off, off offset:352
	scratch_load_b128 v[246:249], off, off offset:368
	scratch_load_b128 v[254:257], off, off offset:384
	s_set_vgpr_msb 64                       ;  msbs: dst=1 src0=0 src1=0 src2=0
	scratch_load_b128 v[6:9] /*v[262:265]*/, off, off offset:400
	s_set_vgpr_msb 0                        ;  msbs: dst=0 src0=0 src1=0 src2=0
	ds_load_b128 v[154:157], v7 offset:672
	ds_load_b128 v[162:165], v7 offset:688
	;; [unrolled: 1-line block ×13, first 2 shown]
	s_set_vgpr_msb 64                       ;  msbs: dst=1 src0=0 src1=0 src2=0
	ds_load_b128 v[2:5] /*v[258:261]*/, v7 offset:880
	s_clause 0x3
	scratch_load_b128 v[10:13] /*v[266:269]*/, off, off offset:416
	scratch_load_b128 v[14:17] /*v[270:273]*/, off, off offset:432
	;; [unrolled: 1-line block ×4, first 2 shown]
	s_mov_b32 s0, exec_lo
	s_wait_loadcnt_dscnt 0x1511
	s_set_vgpr_msb 0                        ;  msbs: dst=0 src0=0 src1=0 src2=0
	v_dual_mul_f32 v9, v122, v139 :: v_dual_mul_f32 v11, v124, v141
	s_delay_alu instid0(VALU_DEP_1) | instskip(NEXT) | instid1(VALU_DEP_1)
	v_dual_fmac_f32 v9, v123, v138 :: v_dual_fmac_f32 v11, v125, v140
	v_add_f32_e32 v9, 0, v9
	s_delay_alu instid0(VALU_DEP_1)
	v_add_f32_e32 v9, v9, v11
	s_wait_loadcnt_dscnt 0x1410
	v_mul_f32_e32 v11, v126, v143
	s_wait_loadcnt_dscnt 0x400
	s_set_vgpr_msb 0x45                     ;  msbs: dst=1 src0=1 src1=1 src2=0
	v_dual_mul_f32 v29 /*v285*/, v2 /*v258*/, v7 /*v263*/ :: v_dual_mul_f32 v31 /*v287*/, v4 /*v260*/, v9 /*v265*/
	s_set_vgpr_msb 0                        ;  msbs: dst=0 src0=0 src1=0 src2=0
	v_fmac_f32_e32 v11, v127, v142
	s_set_vgpr_msb 0x45                     ;  msbs: dst=1 src0=1 src1=1 src2=0
	s_delay_alu instid0(VALU_DEP_2) | instskip(SKIP_1) | instid1(VALU_DEP_2)
	v_dual_fmac_f32 v29 /*v285*/, v3 /*v259*/, v6 /*v262*/ :: v_dual_fmac_f32 v31 /*v287*/, v5 /*v261*/, v8 /*v264*/
	s_set_vgpr_msb 0                        ;  msbs: dst=0 src0=0 src1=0 src2=0
	v_dual_add_f32 v9, v9, v11 :: v_dual_mul_f32 v11, v128, v145
	s_delay_alu instid0(VALU_DEP_1) | instskip(NEXT) | instid1(VALU_DEP_1)
	v_fmac_f32_e32 v11, v129, v144
	v_add_f32_e32 v9, v9, v11
	v_mul_f32_e32 v11, v130, v147
	s_delay_alu instid0(VALU_DEP_1) | instskip(NEXT) | instid1(VALU_DEP_1)
	v_fmac_f32_e32 v11, v131, v146
	v_dual_add_f32 v9, v9, v11 :: v_dual_mul_f32 v11, v132, v149
	s_delay_alu instid0(VALU_DEP_1) | instskip(NEXT) | instid1(VALU_DEP_1)
	v_fmac_f32_e32 v11, v133, v148
	v_add_f32_e32 v9, v9, v11
	v_mul_f32_e32 v11, v134, v151
	s_delay_alu instid0(VALU_DEP_1) | instskip(NEXT) | instid1(VALU_DEP_1)
	v_fmac_f32_e32 v11, v135, v150
	;; [unrolled: 7-line block ×15, first 2 shown]
	v_add_f32_e32 v9, v9, v11
	s_set_vgpr_msb 4                        ;  msbs: dst=0 src0=0 src1=1 src2=0
	v_mul_f32_e32 v11, v252, v1 /*v257*/
	s_delay_alu instid0(VALU_DEP_1) | instskip(SKIP_1) | instid1(VALU_DEP_1)
	v_fmac_f32_e32 v11, v253, v0 /*v256*/
	s_set_vgpr_msb 64                       ;  msbs: dst=1 src0=0 src1=0 src2=0
	v_add_f32_e32 v27 /*v283*/, v9, v11
	s_set_vgpr_msb 0                        ;  msbs: dst=0 src0=0 src1=0 src2=0
	v_dual_mul_f32 v9, v123, v139 :: v_dual_mul_f32 v11, v125, v141
	s_delay_alu instid0(VALU_DEP_1) | instskip(NEXT) | instid1(VALU_DEP_1)
	v_dual_fma_f32 v9, v122, v138, -v9 :: v_dual_fma_f32 v11, v124, v140, -v11
	v_add_f32_e32 v9, 0, v9
	s_delay_alu instid0(VALU_DEP_1) | instskip(SKIP_1) | instid1(VALU_DEP_1)
	v_add_f32_e32 v9, v9, v11
	v_mul_f32_e32 v11, v127, v143
	v_fma_f32 v11, v126, v142, -v11
	s_delay_alu instid0(VALU_DEP_1) | instskip(SKIP_1) | instid1(VALU_DEP_1)
	v_add_f32_e32 v9, v9, v11
	v_mul_f32_e32 v11, v129, v145
	v_fma_f32 v11, v128, v144, -v11
	;; [unrolled: 4-line block ×6, first 2 shown]
	ds_load_b128 v[122:125], v7 offset:896
	ds_load_b128 v[126:129], v7 offset:912
	;; [unrolled: 1-line block ×4, first 2 shown]
	v_add_f32_e32 v9, v9, v11
	v_mul_f32_e32 v11, v155, v159
	s_delay_alu instid0(VALU_DEP_1) | instskip(NEXT) | instid1(VALU_DEP_1)
	v_fma_f32 v11, v154, v158, -v11
	v_add_f32_e32 v9, v9, v11
	v_mul_f32_e32 v11, v157, v161
	s_wait_loadcnt_dscnt 0x303
	s_set_vgpr_msb 4                        ;  msbs: dst=0 src0=0 src1=1 src2=0
	v_pk_mul_f32 v[140:141], v[122:123], v[10:11] /*v[266:267]*/ op_sel:[1,1] op_sel_hi:[0,1]
	s_set_vgpr_msb 0                        ;  msbs: dst=0 src0=0 src1=0 src2=0
	v_fma_f32 v11, v156, v160, -v11
	s_set_vgpr_msb 4                        ;  msbs: dst=0 src0=0 src1=1 src2=0
	s_delay_alu instid0(VALU_DEP_2)
	v_pk_fma_f32 v[142:143], v[122:123], v[10:11] /*v[266:267]*/, v[140:141] neg_lo:[0,0,1] neg_hi:[0,0,1]
	v_pk_fma_f32 v[122:123], v[122:123], v[10:11] /*v[266:267]*/, v[140:141] op_sel_hi:[1,0,1]
	s_set_vgpr_msb 1                        ;  msbs: dst=0 src0=1 src1=0 src2=0
	v_mov_b32_e32 v140, v13 /*v269*/
	s_set_vgpr_msb 0                        ;  msbs: dst=0 src0=0 src1=0 src2=0
	v_add_f32_e32 v9, v9, v11
	v_mul_f32_e32 v11, v163, v167
	s_delay_alu instid0(VALU_DEP_1) | instskip(NEXT) | instid1(VALU_DEP_1)
	v_dual_mov_b32 v143, v123 :: v_dual_fma_f32 v11, v162, v166, -v11
	v_add_f32_e32 v9, v9, v11
	v_mul_f32_e32 v11, v165, v169
	s_delay_alu instid0(VALU_DEP_1) | instskip(NEXT) | instid1(VALU_DEP_1)
	v_fma_f32 v11, v164, v168, -v11
	v_add_f32_e32 v9, v9, v11
	v_mul_f32_e32 v11, v171, v175
	s_delay_alu instid0(VALU_DEP_1) | instskip(NEXT) | instid1(VALU_DEP_1)
	v_fma_f32 v11, v170, v174, -v11
	;; [unrolled: 4-line block ×22, first 2 shown]
	v_add_f32_e32 v9, v9, v11
	s_set_vgpr_msb 4                        ;  msbs: dst=0 src0=0 src1=1 src2=0
	v_mul_f32_e32 v11, v253, v1 /*v257*/
	s_delay_alu instid0(VALU_DEP_1) | instskip(SKIP_1) | instid1(VALU_DEP_1)
	v_fma_f32 v11, v252, v0 /*v256*/, -v11
	s_set_vgpr_msb 64                       ;  msbs: dst=1 src0=0 src1=0 src2=0
	v_add_f32_e32 v26 /*v282*/, v9, v11
	s_set_vgpr_msb 5                        ;  msbs: dst=0 src0=1 src1=1 src2=0
	v_mul_f32_e32 v9, v3 /*v259*/, v7 /*v263*/
	s_set_vgpr_msb 0x45                     ;  msbs: dst=1 src0=1 src1=1 src2=0
	s_delay_alu instid0(VALU_DEP_1) | instskip(SKIP_3) | instid1(VALU_DEP_1)
	v_fma_f32 v28 /*v284*/, v2 /*v258*/, v6 /*v262*/, -v9
	s_set_vgpr_msb 5                        ;  msbs: dst=0 src0=1 src1=1 src2=0
	v_mul_f32_e32 v9, v5 /*v261*/, v9 /*v265*/
	s_set_vgpr_msb 0x45                     ;  msbs: dst=1 src0=1 src1=1 src2=0
	v_fma_f32 v30 /*v286*/, v4 /*v260*/, v8 /*v264*/, -v9
	s_set_vgpr_msb 5                        ;  msbs: dst=0 src0=1 src1=1 src2=0
	v_pk_add_f32 v[138:139], v[26:27] /*v[282:283]*/, v[28:29] /*v[284:285]*/
	s_set_vgpr_msb 4                        ;  msbs: dst=0 src0=0 src1=1 src2=0
	s_delay_alu instid0(VALU_DEP_1) | instskip(SKIP_1) | instid1(VALU_DEP_1)
	v_pk_add_f32 v[138:139], v[138:139], v[30:31] /*v[286:287]*/
	s_set_vgpr_msb 0                        ;  msbs: dst=0 src0=0 src1=0 src2=0
	v_pk_add_f32 v[122:123], v[138:139], v[142:143]
	v_dual_mov_b32 v138, v125 :: v_dual_mov_b32 v139, v124
	s_delay_alu instid0(VALU_DEP_1) | instskip(SKIP_1) | instid1(VALU_DEP_1)
	v_pk_mul_f32 v[138:139], v[138:139], v[140:141] op_sel_hi:[1,0]
	s_set_vgpr_msb 4                        ;  msbs: dst=0 src0=0 src1=1 src2=0
	v_pk_fma_f32 v[140:141], v[124:125], v[12:13] /*v[268:269]*/, v[138:139] neg_lo:[0,0,1] neg_hi:[0,0,1]
	v_pk_fma_f32 v[124:125], v[124:125], v[12:13] /*v[268:269]*/, v[138:139] op_sel_hi:[1,0,1]
	s_delay_alu instid0(VALU_DEP_1) | instskip(SKIP_3) | instid1(VALU_DEP_2)
	v_mov_b32_e32 v141, v125
	s_wait_loadcnt_dscnt 0x202
	v_pk_mul_f32 v[124:125], v[126:127], v[14:15] /*v[270:271]*/ op_sel:[1,1] op_sel_hi:[0,1]
	s_set_vgpr_msb 0                        ;  msbs: dst=0 src0=0 src1=0 src2=0
	v_pk_add_f32 v[122:123], v[122:123], v[140:141]
	s_set_vgpr_msb 4                        ;  msbs: dst=0 src0=0 src1=1 src2=0
	s_delay_alu instid0(VALU_DEP_2)
	v_pk_fma_f32 v[138:139], v[126:127], v[14:15] /*v[270:271]*/, v[124:125] neg_lo:[0,0,1] neg_hi:[0,0,1]
	v_pk_fma_f32 v[124:125], v[126:127], v[14:15] /*v[270:271]*/, v[124:125] op_sel_hi:[1,0,1]
	v_mov_b32_e32 v124, v129
	s_set_vgpr_msb 1                        ;  msbs: dst=0 src0=1 src1=0 src2=0
	v_mov_b32_e32 v126, v17 /*v273*/
	s_set_vgpr_msb 0                        ;  msbs: dst=0 src0=0 src1=0 src2=0
	v_dual_mov_b32 v139, v125 :: v_dual_mov_b32 v125, v128
	s_delay_alu instid0(VALU_DEP_1) | instskip(NEXT) | instid1(VALU_DEP_2)
	v_pk_add_f32 v[122:123], v[122:123], v[138:139]
	v_pk_mul_f32 v[124:125], v[124:125], v[126:127] op_sel_hi:[1,0]
	s_set_vgpr_msb 4                        ;  msbs: dst=0 src0=0 src1=1 src2=0
	s_delay_alu instid0(VALU_DEP_1) | instskip(SKIP_1) | instid1(VALU_DEP_1)
	v_pk_fma_f32 v[126:127], v[128:129], v[16:17] /*v[272:273]*/, v[124:125] neg_lo:[0,0,1] neg_hi:[0,0,1]
	v_pk_fma_f32 v[124:125], v[128:129], v[16:17] /*v[272:273]*/, v[124:125] op_sel_hi:[1,0,1]
	v_mov_b32_e32 v127, v125
	s_wait_loadcnt_dscnt 0x101
	v_pk_mul_f32 v[124:125], v[130:131], v[18:19] /*v[274:275]*/ op_sel:[1,1] op_sel_hi:[0,1]
	s_set_vgpr_msb 0                        ;  msbs: dst=0 src0=0 src1=0 src2=0
	s_delay_alu instid0(VALU_DEP_2) | instskip(SKIP_1) | instid1(VALU_DEP_2)
	v_pk_add_f32 v[122:123], v[122:123], v[126:127]
	s_set_vgpr_msb 4                        ;  msbs: dst=0 src0=0 src1=1 src2=0
	v_pk_fma_f32 v[126:127], v[130:131], v[18:19] /*v[274:275]*/, v[124:125] neg_lo:[0,0,1] neg_hi:[0,0,1]
	v_pk_fma_f32 v[124:125], v[130:131], v[18:19] /*v[274:275]*/, v[124:125] op_sel_hi:[1,0,1]
	s_delay_alu instid0(VALU_DEP_1) | instskip(SKIP_2) | instid1(VALU_DEP_2)
	v_dual_mov_b32 v124, v133 :: v_dual_mov_b32 v127, v125
	v_mov_b32_e32 v125, v132
	s_set_vgpr_msb 0                        ;  msbs: dst=0 src0=0 src1=0 src2=0
	v_pk_add_f32 v[122:123], v[122:123], v[126:127]
	s_set_vgpr_msb 1                        ;  msbs: dst=0 src0=1 src1=0 src2=0
	v_mov_b32_e32 v126, v21 /*v277*/
	s_set_vgpr_msb 0                        ;  msbs: dst=0 src0=0 src1=0 src2=0
	s_delay_alu instid0(VALU_DEP_1) | instskip(SKIP_1) | instid1(VALU_DEP_1)
	v_pk_mul_f32 v[124:125], v[124:125], v[126:127] op_sel_hi:[1,0]
	s_set_vgpr_msb 4                        ;  msbs: dst=0 src0=0 src1=1 src2=0
	v_pk_fma_f32 v[126:127], v[132:133], v[20:21] /*v[276:277]*/, v[124:125] neg_lo:[0,0,1] neg_hi:[0,0,1]
	v_pk_fma_f32 v[124:125], v[132:133], v[20:21] /*v[276:277]*/, v[124:125] op_sel_hi:[1,0,1]
	s_delay_alu instid0(VALU_DEP_1) | instskip(SKIP_3) | instid1(VALU_DEP_2)
	v_mov_b32_e32 v127, v125
	s_wait_loadcnt_dscnt 0x0
	v_pk_mul_f32 v[124:125], v[134:135], v[22:23] /*v[278:279]*/ op_sel:[1,1] op_sel_hi:[0,1]
	s_set_vgpr_msb 0                        ;  msbs: dst=0 src0=0 src1=0 src2=0
	v_pk_add_f32 v[122:123], v[122:123], v[126:127]
	s_set_vgpr_msb 4                        ;  msbs: dst=0 src0=0 src1=1 src2=0
	s_delay_alu instid0(VALU_DEP_2) | instskip(SKIP_1) | instid1(VALU_DEP_1)
	v_pk_fma_f32 v[126:127], v[134:135], v[22:23] /*v[278:279]*/, v[124:125] neg_lo:[0,0,1] neg_hi:[0,0,1]
	v_pk_fma_f32 v[124:125], v[134:135], v[22:23] /*v[278:279]*/, v[124:125] op_sel_hi:[1,0,1]
	v_dual_mov_b32 v124, v137 :: v_dual_mov_b32 v127, v125
	v_mov_b32_e32 v125, v136
	s_set_vgpr_msb 0                        ;  msbs: dst=0 src0=0 src1=0 src2=0
	s_delay_alu instid0(VALU_DEP_2) | instskip(SKIP_3) | instid1(VALU_DEP_1)
	v_pk_add_f32 v[122:123], v[122:123], v[126:127]
	s_set_vgpr_msb 1                        ;  msbs: dst=0 src0=1 src1=0 src2=0
	v_mov_b32_e32 v126, v25 /*v281*/
	s_set_vgpr_msb 0                        ;  msbs: dst=0 src0=0 src1=0 src2=0
	v_pk_mul_f32 v[124:125], v[124:125], v[126:127] op_sel_hi:[1,0]
	s_set_vgpr_msb 4                        ;  msbs: dst=0 src0=0 src1=1 src2=0
	s_delay_alu instid0(VALU_DEP_1) | instskip(SKIP_1) | instid1(VALU_DEP_1)
	v_pk_fma_f32 v[126:127], v[136:137], v[24:25] /*v[280:281]*/, v[124:125] neg_lo:[0,0,1] neg_hi:[0,0,1]
	v_pk_fma_f32 v[124:125], v[136:137], v[24:25] /*v[280:281]*/, v[124:125] op_sel_hi:[1,0,1]
	v_mov_b32_e32 v127, v125
	scratch_load_b64 v[124:125], off, off offset:120
	s_set_vgpr_msb 0                        ;  msbs: dst=0 src0=0 src1=0 src2=0
	v_pk_add_f32 v[122:123], v[122:123], v[126:127]
	s_wait_loadcnt 0x0
	s_delay_alu instid0(VALU_DEP_1)
	v_pk_add_f32 v[122:123], v[124:125], v[122:123] neg_lo:[0,1] neg_hi:[0,1]
	scratch_store_b64 off, v[122:123], off offset:120
	s_wait_xcnt 0x0
	v_cmpx_lt_u32_e32 14, v0
	s_cbranch_execz .LBB59_345
; %bb.344:
	scratch_load_b64 v[122:123], off, off offset:112
	v_mov_b64_e32 v[124:125], 0
	scratch_store_b64 off, v[124:125], off offset:112
	s_wait_loadcnt 0x0
	ds_store_b64 v1, v[122:123]
.LBB59_345:
	s_wait_xcnt 0x0
	s_or_b32 exec_lo, exec_lo, s0
	s_wait_storecnt_dscnt 0x0
	s_barrier_signal -1
	s_barrier_wait -1
	s_clause 0xf
	scratch_load_b128 v[126:129], off, off offset:120
	scratch_load_b128 v[134:137], off, off offset:136
	scratch_load_b128 v[142:145], off, off offset:152
	scratch_load_b128 v[150:153], off, off offset:168
	scratch_load_b128 v[158:161], off, off offset:184
	scratch_load_b128 v[166:169], off, off offset:200
	scratch_load_b128 v[174:177], off, off offset:216
	scratch_load_b128 v[182:185], off, off offset:232
	scratch_load_b128 v[190:193], off, off offset:248
	scratch_load_b128 v[198:201], off, off offset:264
	scratch_load_b128 v[206:209], off, off offset:280
	scratch_load_b128 v[214:217], off, off offset:296
	scratch_load_b128 v[222:225], off, off offset:312
	scratch_load_b128 v[230:233], off, off offset:328
	scratch_load_b128 v[238:241], off, off offset:344
	scratch_load_b128 v[246:249], off, off offset:360
	v_mov_b32_e32 v7, 0
	s_clause 0x3
	scratch_load_b128 v[254:257], off, off offset:376
	s_set_vgpr_msb 64                       ;  msbs: dst=1 src0=0 src1=0 src2=0
	scratch_load_b128 v[6:9] /*v[262:265]*/, off, off offset:392
	scratch_load_b128 v[14:17] /*v[270:273]*/, off, off offset:408
	s_mov_b32 s0, exec_lo
	s_set_vgpr_msb 0                        ;  msbs: dst=0 src0=0 src1=0 src2=0
	ds_load_2addr_b64 v[122:125], v7 offset0:75 offset1:76
	ds_load_2addr_b64 v[130:133], v7 offset0:77 offset1:78
	s_wait_loadcnt_dscnt 0x1201
	v_dual_mul_f32 v9, v122, v127 :: v_dual_mul_f32 v11, v124, v129
	ds_load_2addr_b64 v[138:141], v7 offset0:79 offset1:80
	ds_load_2addr_b64 v[146:149], v7 offset0:81 offset1:82
	;; [unrolled: 1-line block ×4, first 2 shown]
	v_dual_fmac_f32 v9, v123, v126 :: v_dual_fmac_f32 v11, v125, v128
	ds_load_2addr_b64 v[170:173], v7 offset0:87 offset1:88
	ds_load_2addr_b64 v[178:181], v7 offset0:89 offset1:90
	;; [unrolled: 1-line block ×4, first 2 shown]
	v_add_f32_e32 v9, 0, v9
	ds_load_2addr_b64 v[202:205], v7 offset0:95 offset1:96
	ds_load_2addr_b64 v[210:213], v7 offset0:97 offset1:98
	;; [unrolled: 1-line block ×4, first 2 shown]
	v_add_f32_e32 v9, v9, v11
	s_wait_loadcnt_dscnt 0x110c
	v_mul_f32_e32 v11, v130, v135
	ds_load_2addr_b64 v[234:237], v7 offset0:103 offset1:104
	ds_load_2addr_b64 v[242:245], v7 offset0:105 offset1:106
	;; [unrolled: 1-line block ×3, first 2 shown]
	s_set_vgpr_msb 64                       ;  msbs: dst=1 src0=0 src1=0 src2=0
	ds_load_2addr_b64 v[2:5] /*v[258:261]*/, v7 offset0:109 offset1:110
	s_set_vgpr_msb 0                        ;  msbs: dst=0 src0=0 src1=0 src2=0
	v_fmac_f32_e32 v11, v131, v134
	s_set_vgpr_msb 64                       ;  msbs: dst=1 src0=0 src1=0 src2=0
	ds_load_2addr_b64 v[10:13] /*v[266:269]*/, v7 offset0:111 offset1:112
	s_clause 0x3
	scratch_load_b128 v[18:21] /*v[274:277]*/, off, off offset:424
	scratch_load_b128 v[22:25] /*v[278:281]*/, off, off offset:440
	;; [unrolled: 1-line block ×3, first 2 shown]
	scratch_load_b64 v[36:37] /*v[292:293]*/, off, off offset:472
	s_set_vgpr_msb 0                        ;  msbs: dst=0 src0=0 src1=0 src2=0
	v_dual_add_f32 v9, v9, v11 :: v_dual_mul_f32 v11, v132, v137
	s_delay_alu instid0(VALU_DEP_1) | instskip(NEXT) | instid1(VALU_DEP_1)
	v_fmac_f32_e32 v11, v133, v136
	v_add_f32_e32 v9, v9, v11
	s_wait_loadcnt_dscnt 0x1410
	v_mul_f32_e32 v11, v138, v143
	s_wait_loadcnt_dscnt 0x400
	s_set_vgpr_msb 0x45                     ;  msbs: dst=1 src0=1 src1=1 src2=0
	v_dual_mul_f32 v33 /*v289*/, v4 /*v260*/, v9 /*v265*/ :: v_dual_mul_f32 v35 /*v291*/, v10 /*v266*/, v15 /*v271*/
	s_set_vgpr_msb 0                        ;  msbs: dst=0 src0=0 src1=0 src2=0
	v_fmac_f32_e32 v11, v139, v142
	s_set_vgpr_msb 0x45                     ;  msbs: dst=1 src0=1 src1=1 src2=0
	s_delay_alu instid0(VALU_DEP_2) | instskip(SKIP_1) | instid1(VALU_DEP_2)
	v_dual_fmac_f32 v33 /*v289*/, v5 /*v261*/, v8 /*v264*/ :: v_dual_fmac_f32 v35 /*v291*/, v11 /*v267*/, v14 /*v270*/
	s_set_vgpr_msb 0                        ;  msbs: dst=0 src0=0 src1=0 src2=0
	v_dual_add_f32 v9, v9, v11 :: v_dual_mul_f32 v11, v140, v145
	s_delay_alu instid0(VALU_DEP_1) | instskip(NEXT) | instid1(VALU_DEP_1)
	v_fmac_f32_e32 v11, v141, v144
	v_add_f32_e32 v9, v9, v11
	v_mul_f32_e32 v11, v146, v151
	s_delay_alu instid0(VALU_DEP_1) | instskip(NEXT) | instid1(VALU_DEP_1)
	v_fmac_f32_e32 v11, v147, v150
	v_dual_add_f32 v9, v9, v11 :: v_dual_mul_f32 v11, v148, v153
	s_delay_alu instid0(VALU_DEP_1) | instskip(NEXT) | instid1(VALU_DEP_1)
	v_fmac_f32_e32 v11, v149, v152
	v_add_f32_e32 v9, v9, v11
	v_mul_f32_e32 v11, v154, v159
	s_delay_alu instid0(VALU_DEP_1) | instskip(NEXT) | instid1(VALU_DEP_1)
	v_fmac_f32_e32 v11, v155, v158
	v_dual_add_f32 v9, v9, v11 :: v_dual_mul_f32 v11, v156, v161
	s_delay_alu instid0(VALU_DEP_1) | instskip(NEXT) | instid1(VALU_DEP_1)
	v_fmac_f32_e32 v11, v157, v160
	v_add_f32_e32 v9, v9, v11
	v_mul_f32_e32 v11, v162, v167
	s_delay_alu instid0(VALU_DEP_1) | instskip(NEXT) | instid1(VALU_DEP_1)
	v_fmac_f32_e32 v11, v163, v166
	v_dual_add_f32 v9, v9, v11 :: v_dual_mul_f32 v11, v164, v169
	s_delay_alu instid0(VALU_DEP_1) | instskip(NEXT) | instid1(VALU_DEP_1)
	v_fmac_f32_e32 v11, v165, v168
	v_add_f32_e32 v9, v9, v11
	v_mul_f32_e32 v11, v170, v175
	s_delay_alu instid0(VALU_DEP_1) | instskip(NEXT) | instid1(VALU_DEP_1)
	v_fmac_f32_e32 v11, v171, v174
	v_dual_add_f32 v9, v9, v11 :: v_dual_mul_f32 v11, v172, v177
	s_delay_alu instid0(VALU_DEP_1) | instskip(NEXT) | instid1(VALU_DEP_1)
	v_fmac_f32_e32 v11, v173, v176
	v_add_f32_e32 v9, v9, v11
	v_mul_f32_e32 v11, v178, v183
	s_delay_alu instid0(VALU_DEP_1) | instskip(NEXT) | instid1(VALU_DEP_1)
	v_fmac_f32_e32 v11, v179, v182
	v_dual_add_f32 v9, v9, v11 :: v_dual_mul_f32 v11, v180, v185
	s_delay_alu instid0(VALU_DEP_1) | instskip(NEXT) | instid1(VALU_DEP_1)
	v_fmac_f32_e32 v11, v181, v184
	v_add_f32_e32 v9, v9, v11
	v_mul_f32_e32 v11, v186, v191
	s_delay_alu instid0(VALU_DEP_1) | instskip(NEXT) | instid1(VALU_DEP_1)
	v_fmac_f32_e32 v11, v187, v190
	v_dual_add_f32 v9, v9, v11 :: v_dual_mul_f32 v11, v188, v193
	s_delay_alu instid0(VALU_DEP_1) | instskip(NEXT) | instid1(VALU_DEP_1)
	v_fmac_f32_e32 v11, v189, v192
	v_add_f32_e32 v9, v9, v11
	v_mul_f32_e32 v11, v194, v199
	s_delay_alu instid0(VALU_DEP_1) | instskip(NEXT) | instid1(VALU_DEP_1)
	v_fmac_f32_e32 v11, v195, v198
	v_dual_add_f32 v9, v9, v11 :: v_dual_mul_f32 v11, v196, v201
	s_delay_alu instid0(VALU_DEP_1) | instskip(NEXT) | instid1(VALU_DEP_1)
	v_fmac_f32_e32 v11, v197, v200
	v_add_f32_e32 v9, v9, v11
	v_mul_f32_e32 v11, v202, v207
	s_delay_alu instid0(VALU_DEP_1) | instskip(NEXT) | instid1(VALU_DEP_1)
	v_fmac_f32_e32 v11, v203, v206
	v_dual_add_f32 v9, v9, v11 :: v_dual_mul_f32 v11, v204, v209
	s_delay_alu instid0(VALU_DEP_1) | instskip(NEXT) | instid1(VALU_DEP_1)
	v_fmac_f32_e32 v11, v205, v208
	v_add_f32_e32 v9, v9, v11
	v_mul_f32_e32 v11, v210, v215
	s_delay_alu instid0(VALU_DEP_1) | instskip(NEXT) | instid1(VALU_DEP_1)
	v_fmac_f32_e32 v11, v211, v214
	v_dual_add_f32 v9, v9, v11 :: v_dual_mul_f32 v11, v212, v217
	s_delay_alu instid0(VALU_DEP_1) | instskip(NEXT) | instid1(VALU_DEP_1)
	v_fmac_f32_e32 v11, v213, v216
	v_add_f32_e32 v9, v9, v11
	v_mul_f32_e32 v11, v218, v223
	s_delay_alu instid0(VALU_DEP_1) | instskip(NEXT) | instid1(VALU_DEP_1)
	v_fmac_f32_e32 v11, v219, v222
	v_dual_add_f32 v9, v9, v11 :: v_dual_mul_f32 v11, v220, v225
	s_delay_alu instid0(VALU_DEP_1) | instskip(NEXT) | instid1(VALU_DEP_1)
	v_fmac_f32_e32 v11, v221, v224
	v_add_f32_e32 v9, v9, v11
	v_mul_f32_e32 v11, v226, v231
	s_delay_alu instid0(VALU_DEP_1) | instskip(NEXT) | instid1(VALU_DEP_1)
	v_fmac_f32_e32 v11, v227, v230
	v_dual_add_f32 v9, v9, v11 :: v_dual_mul_f32 v11, v228, v233
	s_delay_alu instid0(VALU_DEP_1) | instskip(NEXT) | instid1(VALU_DEP_1)
	v_fmac_f32_e32 v11, v229, v232
	v_add_f32_e32 v9, v9, v11
	v_mul_f32_e32 v11, v234, v239
	s_delay_alu instid0(VALU_DEP_1) | instskip(NEXT) | instid1(VALU_DEP_1)
	v_fmac_f32_e32 v11, v235, v238
	v_dual_add_f32 v9, v9, v11 :: v_dual_mul_f32 v11, v236, v241
	s_delay_alu instid0(VALU_DEP_1) | instskip(NEXT) | instid1(VALU_DEP_1)
	v_fmac_f32_e32 v11, v237, v240
	v_add_f32_e32 v9, v9, v11
	v_mul_f32_e32 v11, v242, v247
	s_delay_alu instid0(VALU_DEP_1) | instskip(NEXT) | instid1(VALU_DEP_1)
	v_fmac_f32_e32 v11, v243, v246
	v_dual_add_f32 v9, v9, v11 :: v_dual_mul_f32 v11, v244, v249
	s_delay_alu instid0(VALU_DEP_1) | instskip(NEXT) | instid1(VALU_DEP_1)
	v_fmac_f32_e32 v11, v245, v248
	v_add_f32_e32 v9, v9, v11
	v_mul_f32_e32 v11, v250, v255
	s_delay_alu instid0(VALU_DEP_1) | instskip(NEXT) | instid1(VALU_DEP_1)
	v_fmac_f32_e32 v11, v251, v254
	v_add_f32_e32 v9, v9, v11
	s_set_vgpr_msb 4                        ;  msbs: dst=0 src0=0 src1=1 src2=0
	v_mul_f32_e32 v11, v252, v1 /*v257*/
	s_delay_alu instid0(VALU_DEP_1) | instskip(SKIP_1) | instid1(VALU_DEP_1)
	v_fmac_f32_e32 v11, v253, v0 /*v256*/
	s_set_vgpr_msb 0                        ;  msbs: dst=0 src0=0 src1=0 src2=0
	v_add_f32_e32 v9, v9, v11
	s_set_vgpr_msb 5                        ;  msbs: dst=0 src0=1 src1=1 src2=0
	v_mul_f32_e32 v11, v2 /*v258*/, v7 /*v263*/
	s_delay_alu instid0(VALU_DEP_1) | instskip(SKIP_1) | instid1(VALU_DEP_1)
	v_fmac_f32_e32 v11, v3 /*v259*/, v6 /*v262*/
	s_set_vgpr_msb 64                       ;  msbs: dst=1 src0=0 src1=0 src2=0
	v_add_f32_e32 v31 /*v287*/, v9, v11
	s_set_vgpr_msb 0                        ;  msbs: dst=0 src0=0 src1=0 src2=0
	v_dual_mul_f32 v9, v123, v127 :: v_dual_mul_f32 v11, v125, v129
	s_delay_alu instid0(VALU_DEP_1) | instskip(NEXT) | instid1(VALU_DEP_1)
	v_dual_fma_f32 v9, v122, v126, -v9 :: v_dual_fma_f32 v11, v124, v128, -v11
	v_add_f32_e32 v9, 0, v9
	s_delay_alu instid0(VALU_DEP_1) | instskip(SKIP_1) | instid1(VALU_DEP_1)
	v_add_f32_e32 v9, v9, v11
	v_mul_f32_e32 v11, v131, v135
	v_fma_f32 v11, v130, v134, -v11
	s_delay_alu instid0(VALU_DEP_1) | instskip(SKIP_1) | instid1(VALU_DEP_1)
	v_add_f32_e32 v9, v9, v11
	v_mul_f32_e32 v11, v133, v137
	v_fma_f32 v11, v132, v136, -v11
	ds_load_2addr_b64 v[122:125], v7 offset0:113 offset1:114
	ds_load_2addr_b64 v[126:129], v7 offset0:115 offset1:116
	;; [unrolled: 1-line block ×3, first 2 shown]
	ds_load_b64 v[134:135], v7 offset:952
	v_add_f32_e32 v9, v9, v11
	v_mul_f32_e32 v11, v139, v143
	s_set_vgpr_msb 1                        ;  msbs: dst=0 src0=1 src1=0 src2=0
	v_mov_b32_e32 v139, v12 /*v268*/
	s_set_vgpr_msb 0                        ;  msbs: dst=0 src0=0 src1=0 src2=0
	s_delay_alu instid0(VALU_DEP_2) | instskip(SKIP_3) | instid1(VALU_DEP_2)
	v_fma_f32 v11, v138, v142, -v11
	s_set_vgpr_msb 1                        ;  msbs: dst=0 src0=1 src1=0 src2=0
	v_mov_b32_e32 v138, v13 /*v269*/
	s_set_vgpr_msb 0                        ;  msbs: dst=0 src0=0 src1=0 src2=0
	v_add_f32_e32 v9, v9, v11
	v_mul_f32_e32 v11, v141, v145
	s_delay_alu instid0(VALU_DEP_1) | instskip(SKIP_3) | instid1(VALU_DEP_2)
	v_fma_f32 v11, v140, v144, -v11
	s_set_vgpr_msb 1                        ;  msbs: dst=0 src0=1 src1=0 src2=0
	v_mov_b32_e32 v140, v17 /*v273*/
	s_set_vgpr_msb 0                        ;  msbs: dst=0 src0=0 src1=0 src2=0
	v_add_f32_e32 v9, v9, v11
	v_mul_f32_e32 v11, v147, v151
	s_delay_alu instid0(VALU_DEP_3) | instskip(NEXT) | instid1(VALU_DEP_2)
	v_pk_mul_f32 v[138:139], v[138:139], v[140:141] op_sel_hi:[1,0]
	v_fma_f32 v11, v146, v150, -v11
	s_set_vgpr_msb 5                        ;  msbs: dst=0 src0=1 src1=1 src2=0
	s_delay_alu instid0(VALU_DEP_2) | instskip(SKIP_3) | instid1(VALU_DEP_2)
	v_pk_fma_f32 v[140:141], v[12:13] /*v[268:269]*/, v[16:17] /*v[272:273]*/, v[138:139] neg_lo:[0,0,1] neg_hi:[0,0,1]
	v_pk_fma_f32 v[138:139], v[12:13] /*v[268:269]*/, v[16:17] /*v[272:273]*/, v[138:139] op_sel_hi:[1,0,1]
	s_set_vgpr_msb 0                        ;  msbs: dst=0 src0=0 src1=0 src2=0
	v_add_f32_e32 v9, v9, v11
	v_dual_mul_f32 v11, v149, v153 :: v_dual_mov_b32 v141, v139
	s_wait_loadcnt_dscnt 0x303
	s_set_vgpr_msb 4                        ;  msbs: dst=0 src0=0 src1=1 src2=0
	v_pk_mul_f32 v[138:139], v[122:123], v[18:19] /*v[274:275]*/ op_sel:[1,1] op_sel_hi:[0,1]
	s_set_vgpr_msb 0                        ;  msbs: dst=0 src0=0 src1=0 src2=0
	v_fma_f32 v11, v148, v152, -v11
	s_delay_alu instid0(VALU_DEP_1) | instskip(SKIP_1) | instid1(VALU_DEP_1)
	v_add_f32_e32 v9, v9, v11
	v_mul_f32_e32 v11, v155, v159
	v_fma_f32 v11, v154, v158, -v11
	s_delay_alu instid0(VALU_DEP_1) | instskip(SKIP_1) | instid1(VALU_DEP_1)
	v_add_f32_e32 v9, v9, v11
	v_mul_f32_e32 v11, v157, v161
	;; [unrolled: 4-line block ×25, first 2 shown]
	v_fma_f32 v11, v250, v254, -v11
	s_delay_alu instid0(VALU_DEP_1) | instskip(SKIP_2) | instid1(VALU_DEP_1)
	v_add_f32_e32 v9, v9, v11
	s_set_vgpr_msb 4                        ;  msbs: dst=0 src0=0 src1=1 src2=0
	v_mul_f32_e32 v11, v253, v1 /*v257*/
	v_fma_f32 v11, v252, v0 /*v256*/, -v11
	s_set_vgpr_msb 0                        ;  msbs: dst=0 src0=0 src1=0 src2=0
	s_delay_alu instid0(VALU_DEP_1) | instskip(SKIP_2) | instid1(VALU_DEP_1)
	v_add_f32_e32 v9, v9, v11
	s_set_vgpr_msb 5                        ;  msbs: dst=0 src0=1 src1=1 src2=0
	v_mul_f32_e32 v11, v3 /*v259*/, v7 /*v263*/
	v_fma_f32 v11, v2 /*v258*/, v6 /*v262*/, -v11
	s_set_vgpr_msb 64                       ;  msbs: dst=1 src0=0 src1=0 src2=0
	s_delay_alu instid0(VALU_DEP_1) | instskip(SKIP_3) | instid1(VALU_DEP_1)
	v_add_f32_e32 v30 /*v286*/, v9, v11
	s_set_vgpr_msb 5                        ;  msbs: dst=0 src0=1 src1=1 src2=0
	v_mul_f32_e32 v9, v5 /*v261*/, v9 /*v265*/
	s_set_vgpr_msb 0x45                     ;  msbs: dst=1 src0=1 src1=1 src2=0
	v_fma_f32 v32 /*v288*/, v4 /*v260*/, v8 /*v264*/, -v9
	s_set_vgpr_msb 5                        ;  msbs: dst=0 src0=1 src1=1 src2=0
	v_mul_f32_e32 v9, v11 /*v267*/, v15 /*v271*/
	s_set_vgpr_msb 0x45                     ;  msbs: dst=1 src0=1 src1=1 src2=0
	s_delay_alu instid0(VALU_DEP_1) | instskip(SKIP_3) | instid1(VALU_DEP_1)
	v_fma_f32 v34 /*v290*/, v10 /*v266*/, v14 /*v270*/, -v9
	s_set_vgpr_msb 5                        ;  msbs: dst=0 src0=1 src1=1 src2=0
	v_pk_add_f32 v[136:137], v[30:31] /*v[286:287]*/, v[32:33] /*v[288:289]*/
	s_set_vgpr_msb 4                        ;  msbs: dst=0 src0=0 src1=1 src2=0
	v_pk_add_f32 v[136:137], v[136:137], v[34:35] /*v[290:291]*/
	s_set_vgpr_msb 0                        ;  msbs: dst=0 src0=0 src1=0 src2=0
	s_delay_alu instid0(VALU_DEP_1)
	v_pk_add_f32 v[136:137], v[136:137], v[140:141]
	s_set_vgpr_msb 4                        ;  msbs: dst=0 src0=0 src1=1 src2=0
	v_pk_fma_f32 v[140:141], v[122:123], v[18:19] /*v[274:275]*/, v[138:139] neg_lo:[0,0,1] neg_hi:[0,0,1]
	v_pk_fma_f32 v[122:123], v[122:123], v[18:19] /*v[274:275]*/, v[138:139] op_sel_hi:[1,0,1]
	s_set_vgpr_msb 1                        ;  msbs: dst=0 src0=1 src1=0 src2=0
	v_mov_b32_e32 v138, v21 /*v277*/
	s_set_vgpr_msb 0                        ;  msbs: dst=0 src0=0 src1=0 src2=0
	s_delay_alu instid0(VALU_DEP_2) | instskip(NEXT) | instid1(VALU_DEP_1)
	v_mov_b32_e32 v141, v123
	v_pk_add_f32 v[122:123], v[136:137], v[140:141]
	v_dual_mov_b32 v136, v125 :: v_dual_mov_b32 v137, v124
	s_delay_alu instid0(VALU_DEP_1) | instskip(SKIP_1) | instid1(VALU_DEP_1)
	v_pk_mul_f32 v[136:137], v[136:137], v[138:139] op_sel_hi:[1,0]
	s_set_vgpr_msb 4                        ;  msbs: dst=0 src0=0 src1=1 src2=0
	v_pk_fma_f32 v[138:139], v[124:125], v[20:21] /*v[276:277]*/, v[136:137] neg_lo:[0,0,1] neg_hi:[0,0,1]
	v_pk_fma_f32 v[124:125], v[124:125], v[20:21] /*v[276:277]*/, v[136:137] op_sel_hi:[1,0,1]
	s_delay_alu instid0(VALU_DEP_1) | instskip(SKIP_3) | instid1(VALU_DEP_2)
	v_mov_b32_e32 v139, v125
	s_wait_loadcnt_dscnt 0x202
	v_pk_mul_f32 v[124:125], v[126:127], v[22:23] /*v[278:279]*/ op_sel:[1,1] op_sel_hi:[0,1]
	s_set_vgpr_msb 0                        ;  msbs: dst=0 src0=0 src1=0 src2=0
	v_pk_add_f32 v[122:123], v[122:123], v[138:139]
	s_set_vgpr_msb 4                        ;  msbs: dst=0 src0=0 src1=1 src2=0
	s_delay_alu instid0(VALU_DEP_2)
	v_pk_fma_f32 v[136:137], v[126:127], v[22:23] /*v[278:279]*/, v[124:125] neg_lo:[0,0,1] neg_hi:[0,0,1]
	v_pk_fma_f32 v[124:125], v[126:127], v[22:23] /*v[278:279]*/, v[124:125] op_sel_hi:[1,0,1]
	v_mov_b32_e32 v124, v129
	s_set_vgpr_msb 1                        ;  msbs: dst=0 src0=1 src1=0 src2=0
	v_mov_b32_e32 v126, v25 /*v281*/
	s_set_vgpr_msb 0                        ;  msbs: dst=0 src0=0 src1=0 src2=0
	v_dual_mov_b32 v137, v125 :: v_dual_mov_b32 v125, v128
	s_delay_alu instid0(VALU_DEP_1) | instskip(NEXT) | instid1(VALU_DEP_2)
	v_pk_add_f32 v[122:123], v[122:123], v[136:137]
	v_pk_mul_f32 v[124:125], v[124:125], v[126:127] op_sel_hi:[1,0]
	s_set_vgpr_msb 4                        ;  msbs: dst=0 src0=0 src1=1 src2=0
	s_delay_alu instid0(VALU_DEP_1) | instskip(SKIP_1) | instid1(VALU_DEP_1)
	v_pk_fma_f32 v[126:127], v[128:129], v[24:25] /*v[280:281]*/, v[124:125] neg_lo:[0,0,1] neg_hi:[0,0,1]
	v_pk_fma_f32 v[124:125], v[128:129], v[24:25] /*v[280:281]*/, v[124:125] op_sel_hi:[1,0,1]
	v_mov_b32_e32 v127, v125
	s_wait_loadcnt_dscnt 0x101
	v_pk_mul_f32 v[124:125], v[130:131], v[26:27] /*v[282:283]*/ op_sel:[1,1] op_sel_hi:[0,1]
	s_set_vgpr_msb 0                        ;  msbs: dst=0 src0=0 src1=0 src2=0
	s_delay_alu instid0(VALU_DEP_2) | instskip(SKIP_1) | instid1(VALU_DEP_2)
	v_pk_add_f32 v[122:123], v[122:123], v[126:127]
	s_set_vgpr_msb 4                        ;  msbs: dst=0 src0=0 src1=1 src2=0
	v_pk_fma_f32 v[126:127], v[130:131], v[26:27] /*v[282:283]*/, v[124:125] neg_lo:[0,0,1] neg_hi:[0,0,1]
	v_pk_fma_f32 v[124:125], v[130:131], v[26:27] /*v[282:283]*/, v[124:125] op_sel_hi:[1,0,1]
	s_delay_alu instid0(VALU_DEP_1) | instskip(SKIP_2) | instid1(VALU_DEP_2)
	v_dual_mov_b32 v124, v133 :: v_dual_mov_b32 v127, v125
	v_mov_b32_e32 v125, v132
	s_set_vgpr_msb 0                        ;  msbs: dst=0 src0=0 src1=0 src2=0
	v_pk_add_f32 v[122:123], v[122:123], v[126:127]
	s_set_vgpr_msb 1                        ;  msbs: dst=0 src0=1 src1=0 src2=0
	v_mov_b32_e32 v126, v29 /*v285*/
	s_set_vgpr_msb 0                        ;  msbs: dst=0 src0=0 src1=0 src2=0
	s_delay_alu instid0(VALU_DEP_1) | instskip(SKIP_1) | instid1(VALU_DEP_1)
	v_pk_mul_f32 v[124:125], v[124:125], v[126:127] op_sel_hi:[1,0]
	s_set_vgpr_msb 4                        ;  msbs: dst=0 src0=0 src1=1 src2=0
	v_pk_fma_f32 v[126:127], v[132:133], v[28:29] /*v[284:285]*/, v[124:125] neg_lo:[0,0,1] neg_hi:[0,0,1]
	v_pk_fma_f32 v[124:125], v[132:133], v[28:29] /*v[284:285]*/, v[124:125] op_sel_hi:[1,0,1]
	s_delay_alu instid0(VALU_DEP_1) | instskip(SKIP_3) | instid1(VALU_DEP_2)
	v_mov_b32_e32 v127, v125
	s_wait_loadcnt_dscnt 0x0
	v_pk_mul_f32 v[124:125], v[134:135], v[36:37] /*v[292:293]*/ op_sel:[1,1] op_sel_hi:[0,1]
	s_set_vgpr_msb 0                        ;  msbs: dst=0 src0=0 src1=0 src2=0
	v_pk_add_f32 v[122:123], v[122:123], v[126:127]
	s_set_vgpr_msb 4                        ;  msbs: dst=0 src0=0 src1=1 src2=0
	s_delay_alu instid0(VALU_DEP_2) | instskip(SKIP_1) | instid1(VALU_DEP_1)
	v_pk_fma_f32 v[126:127], v[134:135], v[36:37] /*v[292:293]*/, v[124:125] neg_lo:[0,0,1] neg_hi:[0,0,1]
	v_pk_fma_f32 v[124:125], v[134:135], v[36:37] /*v[292:293]*/, v[124:125] op_sel_hi:[1,0,1]
	v_mov_b32_e32 v127, v125
	scratch_load_b64 v[124:125], off, off offset:112
	s_set_vgpr_msb 0                        ;  msbs: dst=0 src0=0 src1=0 src2=0
	v_pk_add_f32 v[122:123], v[122:123], v[126:127]
	s_wait_loadcnt 0x0
	s_delay_alu instid0(VALU_DEP_1)
	v_pk_add_f32 v[122:123], v[124:125], v[122:123] neg_lo:[0,1] neg_hi:[0,1]
	scratch_store_b64 off, v[122:123], off offset:112
	s_wait_xcnt 0x0
	v_cmpx_lt_u32_e32 13, v0
	s_cbranch_execz .LBB59_347
; %bb.346:
	scratch_load_b64 v[122:123], off, off offset:104
	v_mov_b64_e32 v[124:125], 0
	scratch_store_b64 off, v[124:125], off offset:104
	s_wait_loadcnt 0x0
	ds_store_b64 v1, v[122:123]
.LBB59_347:
	s_wait_xcnt 0x0
	s_or_b32 exec_lo, exec_lo, s0
	s_wait_storecnt_dscnt 0x0
	s_barrier_signal -1
	s_barrier_wait -1
	ds_load_b128 v[122:125], v7 offset:592
	ds_load_b128 v[126:129], v7 offset:608
	ds_load_b128 v[130:133], v7 offset:624
	ds_load_b128 v[134:137], v7 offset:640
	s_clause 0x12
	scratch_load_b128 v[138:141], off, off offset:112
	scratch_load_b128 v[142:145], off, off offset:128
	;; [unrolled: 1-line block ×17, first 2 shown]
	s_set_vgpr_msb 64                       ;  msbs: dst=1 src0=0 src1=0 src2=0
	scratch_load_b128 v[6:9] /*v[262:265]*/, off, off offset:384
	s_set_vgpr_msb 0                        ;  msbs: dst=0 src0=0 src1=0 src2=0
	ds_load_b128 v[154:157], v7 offset:656
	ds_load_b128 v[162:165], v7 offset:672
	;; [unrolled: 1-line block ×13, first 2 shown]
	s_set_vgpr_msb 64                       ;  msbs: dst=1 src0=0 src1=0 src2=0
	ds_load_b128 v[2:5] /*v[258:261]*/, v7 offset:864
	ds_load_b128 v[10:13] /*v[266:269]*/, v7 offset:880
	s_clause 0x4
	scratch_load_b128 v[14:17] /*v[270:273]*/, off, off offset:400
	scratch_load_b128 v[18:21] /*v[274:277]*/, off, off offset:416
	;; [unrolled: 1-line block ×5, first 2 shown]
	s_mov_b32 s0, exec_lo
	s_wait_loadcnt_dscnt 0x1612
	s_set_vgpr_msb 0                        ;  msbs: dst=0 src0=0 src1=0 src2=0
	v_dual_mul_f32 v9, v122, v139 :: v_dual_mul_f32 v11, v124, v141
	s_delay_alu instid0(VALU_DEP_1) | instskip(NEXT) | instid1(VALU_DEP_1)
	v_dual_fmac_f32 v9, v123, v138 :: v_dual_fmac_f32 v11, v125, v140
	v_add_f32_e32 v9, 0, v9
	s_delay_alu instid0(VALU_DEP_1) | instskip(SKIP_2) | instid1(VALU_DEP_1)
	v_add_f32_e32 v9, v9, v11
	s_wait_loadcnt_dscnt 0x1511
	v_mul_f32_e32 v11, v126, v143
	v_fmac_f32_e32 v11, v127, v142
	s_delay_alu instid0(VALU_DEP_1) | instskip(NEXT) | instid1(VALU_DEP_1)
	v_dual_add_f32 v9, v9, v11 :: v_dual_mul_f32 v11, v128, v145
	v_fmac_f32_e32 v11, v129, v144
	s_wait_loadcnt_dscnt 0x400
	s_set_vgpr_msb 0x45                     ;  msbs: dst=1 src0=1 src1=1 src2=0
	v_dual_mul_f32 v37 /*v293*/, v10 /*v266*/, v15 /*v271*/ :: v_dual_mul_f32 v39 /*v295*/, v12 /*v268*/, v17 /*v273*/
	s_set_vgpr_msb 0                        ;  msbs: dst=0 src0=0 src1=0 src2=0
	v_add_f32_e32 v9, v9, v11
	v_mul_f32_e32 v11, v130, v147
	s_set_vgpr_msb 0x45                     ;  msbs: dst=1 src0=1 src1=1 src2=0
	v_dual_fmac_f32 v37 /*v293*/, v11 /*v267*/, v14 /*v270*/ :: v_dual_fmac_f32 v39 /*v295*/, v13 /*v269*/, v16 /*v272*/
	s_set_vgpr_msb 0                        ;  msbs: dst=0 src0=0 src1=0 src2=0
	s_delay_alu instid0(VALU_DEP_2) | instskip(NEXT) | instid1(VALU_DEP_1)
	v_fmac_f32_e32 v11, v131, v146
	v_dual_add_f32 v9, v9, v11 :: v_dual_mul_f32 v11, v132, v149
	s_delay_alu instid0(VALU_DEP_1) | instskip(NEXT) | instid1(VALU_DEP_1)
	v_fmac_f32_e32 v11, v133, v148
	v_add_f32_e32 v9, v9, v11
	v_mul_f32_e32 v11, v134, v151
	s_delay_alu instid0(VALU_DEP_1) | instskip(NEXT) | instid1(VALU_DEP_1)
	v_fmac_f32_e32 v11, v135, v150
	v_dual_add_f32 v9, v9, v11 :: v_dual_mul_f32 v11, v136, v153
	s_delay_alu instid0(VALU_DEP_1) | instskip(NEXT) | instid1(VALU_DEP_1)
	v_fmac_f32_e32 v11, v137, v152
	v_add_f32_e32 v9, v9, v11
	v_mul_f32_e32 v11, v154, v159
	s_delay_alu instid0(VALU_DEP_1) | instskip(NEXT) | instid1(VALU_DEP_1)
	;; [unrolled: 7-line block ×14, first 2 shown]
	v_fmac_f32_e32 v11, v251, v254
	v_add_f32_e32 v9, v9, v11
	s_set_vgpr_msb 4                        ;  msbs: dst=0 src0=0 src1=1 src2=0
	v_mul_f32_e32 v11, v252, v1 /*v257*/
	s_delay_alu instid0(VALU_DEP_1) | instskip(SKIP_1) | instid1(VALU_DEP_1)
	v_fmac_f32_e32 v11, v253, v0 /*v256*/
	s_set_vgpr_msb 0                        ;  msbs: dst=0 src0=0 src1=0 src2=0
	v_add_f32_e32 v9, v9, v11
	s_set_vgpr_msb 5                        ;  msbs: dst=0 src0=1 src1=1 src2=0
	v_mul_f32_e32 v11, v2 /*v258*/, v7 /*v263*/
	s_delay_alu instid0(VALU_DEP_1) | instskip(SKIP_1) | instid1(VALU_DEP_1)
	v_fmac_f32_e32 v11, v3 /*v259*/, v6 /*v262*/
	s_set_vgpr_msb 0                        ;  msbs: dst=0 src0=0 src1=0 src2=0
	v_add_f32_e32 v9, v9, v11
	s_set_vgpr_msb 5                        ;  msbs: dst=0 src0=1 src1=1 src2=0
	v_mul_f32_e32 v11, v4 /*v260*/, v9 /*v265*/
	s_delay_alu instid0(VALU_DEP_1) | instskip(SKIP_1) | instid1(VALU_DEP_1)
	v_fmac_f32_e32 v11, v5 /*v261*/, v8 /*v264*/
	s_set_vgpr_msb 64                       ;  msbs: dst=1 src0=0 src1=0 src2=0
	v_add_f32_e32 v35 /*v291*/, v9, v11
	s_set_vgpr_msb 0                        ;  msbs: dst=0 src0=0 src1=0 src2=0
	v_dual_mul_f32 v9, v123, v139 :: v_dual_mul_f32 v11, v125, v141
	s_delay_alu instid0(VALU_DEP_1) | instskip(NEXT) | instid1(VALU_DEP_1)
	v_dual_fma_f32 v9, v122, v138, -v9 :: v_dual_fma_f32 v11, v124, v140, -v11
	v_add_f32_e32 v9, 0, v9
	s_delay_alu instid0(VALU_DEP_1) | instskip(SKIP_1) | instid1(VALU_DEP_1)
	v_add_f32_e32 v9, v9, v11
	v_mul_f32_e32 v11, v127, v143
	v_fma_f32 v11, v126, v142, -v11
	s_delay_alu instid0(VALU_DEP_1) | instskip(SKIP_1) | instid1(VALU_DEP_1)
	v_add_f32_e32 v9, v9, v11
	v_mul_f32_e32 v11, v129, v145
	v_fma_f32 v11, v128, v144, -v11
	;; [unrolled: 4-line block ×6, first 2 shown]
	ds_load_b128 v[122:125], v7 offset:896
	ds_load_b128 v[126:129], v7 offset:912
	;; [unrolled: 1-line block ×4, first 2 shown]
	v_add_f32_e32 v9, v9, v11
	v_mul_f32_e32 v11, v155, v159
	s_delay_alu instid0(VALU_DEP_1) | instskip(NEXT) | instid1(VALU_DEP_1)
	v_fma_f32 v11, v154, v158, -v11
	v_add_f32_e32 v9, v9, v11
	v_mul_f32_e32 v11, v157, v161
	s_wait_loadcnt_dscnt 0x303
	s_set_vgpr_msb 4                        ;  msbs: dst=0 src0=0 src1=1 src2=0
	v_pk_mul_f32 v[140:141], v[122:123], v[18:19] /*v[274:275]*/ op_sel:[1,1] op_sel_hi:[0,1]
	s_set_vgpr_msb 0                        ;  msbs: dst=0 src0=0 src1=0 src2=0
	v_fma_f32 v11, v156, v160, -v11
	s_set_vgpr_msb 4                        ;  msbs: dst=0 src0=0 src1=1 src2=0
	s_delay_alu instid0(VALU_DEP_2)
	v_pk_fma_f32 v[142:143], v[122:123], v[18:19] /*v[274:275]*/, v[140:141] neg_lo:[0,0,1] neg_hi:[0,0,1]
	v_pk_fma_f32 v[122:123], v[122:123], v[18:19] /*v[274:275]*/, v[140:141] op_sel_hi:[1,0,1]
	s_set_vgpr_msb 1                        ;  msbs: dst=0 src0=1 src1=0 src2=0
	v_mov_b32_e32 v140, v21 /*v277*/
	s_set_vgpr_msb 0                        ;  msbs: dst=0 src0=0 src1=0 src2=0
	v_add_f32_e32 v9, v9, v11
	v_mul_f32_e32 v11, v163, v167
	s_delay_alu instid0(VALU_DEP_1) | instskip(NEXT) | instid1(VALU_DEP_1)
	v_dual_mov_b32 v143, v123 :: v_dual_fma_f32 v11, v162, v166, -v11
	v_add_f32_e32 v9, v9, v11
	v_mul_f32_e32 v11, v165, v169
	s_delay_alu instid0(VALU_DEP_1) | instskip(NEXT) | instid1(VALU_DEP_1)
	v_fma_f32 v11, v164, v168, -v11
	v_add_f32_e32 v9, v9, v11
	v_mul_f32_e32 v11, v171, v175
	s_delay_alu instid0(VALU_DEP_1) | instskip(NEXT) | instid1(VALU_DEP_1)
	v_fma_f32 v11, v170, v174, -v11
	;; [unrolled: 4-line block ×22, first 2 shown]
	v_add_f32_e32 v9, v9, v11
	s_set_vgpr_msb 4                        ;  msbs: dst=0 src0=0 src1=1 src2=0
	v_mul_f32_e32 v11, v253, v1 /*v257*/
	s_delay_alu instid0(VALU_DEP_1) | instskip(SKIP_1) | instid1(VALU_DEP_1)
	v_fma_f32 v11, v252, v0 /*v256*/, -v11
	s_set_vgpr_msb 0                        ;  msbs: dst=0 src0=0 src1=0 src2=0
	v_add_f32_e32 v9, v9, v11
	s_set_vgpr_msb 5                        ;  msbs: dst=0 src0=1 src1=1 src2=0
	v_mul_f32_e32 v11, v3 /*v259*/, v7 /*v263*/
	s_delay_alu instid0(VALU_DEP_1) | instskip(SKIP_1) | instid1(VALU_DEP_1)
	v_fma_f32 v11, v2 /*v258*/, v6 /*v262*/, -v11
	s_set_vgpr_msb 0                        ;  msbs: dst=0 src0=0 src1=0 src2=0
	v_add_f32_e32 v9, v9, v11
	s_set_vgpr_msb 5                        ;  msbs: dst=0 src0=1 src1=1 src2=0
	v_mul_f32_e32 v11, v5 /*v261*/, v9 /*v265*/
	s_delay_alu instid0(VALU_DEP_1) | instskip(SKIP_1) | instid1(VALU_DEP_1)
	v_fma_f32 v11, v4 /*v260*/, v8 /*v264*/, -v11
	s_set_vgpr_msb 64                       ;  msbs: dst=1 src0=0 src1=0 src2=0
	v_add_f32_e32 v34 /*v290*/, v9, v11
	s_set_vgpr_msb 5                        ;  msbs: dst=0 src0=1 src1=1 src2=0
	v_mul_f32_e32 v9, v11 /*v267*/, v15 /*v271*/
	s_set_vgpr_msb 0x45                     ;  msbs: dst=1 src0=1 src1=1 src2=0
	s_delay_alu instid0(VALU_DEP_1) | instskip(SKIP_3) | instid1(VALU_DEP_1)
	v_fma_f32 v36 /*v292*/, v10 /*v266*/, v14 /*v270*/, -v9
	s_set_vgpr_msb 5                        ;  msbs: dst=0 src0=1 src1=1 src2=0
	v_mul_f32_e32 v9, v13 /*v269*/, v17 /*v273*/
	s_set_vgpr_msb 0x45                     ;  msbs: dst=1 src0=1 src1=1 src2=0
	v_fma_f32 v38 /*v294*/, v12 /*v268*/, v16 /*v272*/, -v9
	s_set_vgpr_msb 5                        ;  msbs: dst=0 src0=1 src1=1 src2=0
	v_pk_add_f32 v[138:139], v[34:35] /*v[290:291]*/, v[36:37] /*v[292:293]*/
	s_set_vgpr_msb 4                        ;  msbs: dst=0 src0=0 src1=1 src2=0
	s_delay_alu instid0(VALU_DEP_1) | instskip(SKIP_1) | instid1(VALU_DEP_1)
	v_pk_add_f32 v[138:139], v[138:139], v[38:39] /*v[294:295]*/
	s_set_vgpr_msb 0                        ;  msbs: dst=0 src0=0 src1=0 src2=0
	v_pk_add_f32 v[122:123], v[138:139], v[142:143]
	v_dual_mov_b32 v138, v125 :: v_dual_mov_b32 v139, v124
	s_delay_alu instid0(VALU_DEP_1) | instskip(SKIP_1) | instid1(VALU_DEP_1)
	v_pk_mul_f32 v[138:139], v[138:139], v[140:141] op_sel_hi:[1,0]
	s_set_vgpr_msb 4                        ;  msbs: dst=0 src0=0 src1=1 src2=0
	v_pk_fma_f32 v[140:141], v[124:125], v[20:21] /*v[276:277]*/, v[138:139] neg_lo:[0,0,1] neg_hi:[0,0,1]
	v_pk_fma_f32 v[124:125], v[124:125], v[20:21] /*v[276:277]*/, v[138:139] op_sel_hi:[1,0,1]
	s_delay_alu instid0(VALU_DEP_1) | instskip(SKIP_3) | instid1(VALU_DEP_2)
	v_mov_b32_e32 v141, v125
	s_wait_loadcnt_dscnt 0x202
	v_pk_mul_f32 v[124:125], v[126:127], v[22:23] /*v[278:279]*/ op_sel:[1,1] op_sel_hi:[0,1]
	s_set_vgpr_msb 0                        ;  msbs: dst=0 src0=0 src1=0 src2=0
	v_pk_add_f32 v[122:123], v[122:123], v[140:141]
	s_set_vgpr_msb 4                        ;  msbs: dst=0 src0=0 src1=1 src2=0
	s_delay_alu instid0(VALU_DEP_2)
	v_pk_fma_f32 v[138:139], v[126:127], v[22:23] /*v[278:279]*/, v[124:125] neg_lo:[0,0,1] neg_hi:[0,0,1]
	v_pk_fma_f32 v[124:125], v[126:127], v[22:23] /*v[278:279]*/, v[124:125] op_sel_hi:[1,0,1]
	v_mov_b32_e32 v124, v129
	s_set_vgpr_msb 1                        ;  msbs: dst=0 src0=1 src1=0 src2=0
	v_mov_b32_e32 v126, v25 /*v281*/
	s_set_vgpr_msb 0                        ;  msbs: dst=0 src0=0 src1=0 src2=0
	v_dual_mov_b32 v139, v125 :: v_dual_mov_b32 v125, v128
	s_delay_alu instid0(VALU_DEP_1) | instskip(NEXT) | instid1(VALU_DEP_2)
	v_pk_add_f32 v[122:123], v[122:123], v[138:139]
	v_pk_mul_f32 v[124:125], v[124:125], v[126:127] op_sel_hi:[1,0]
	s_set_vgpr_msb 4                        ;  msbs: dst=0 src0=0 src1=1 src2=0
	s_delay_alu instid0(VALU_DEP_1) | instskip(SKIP_1) | instid1(VALU_DEP_1)
	v_pk_fma_f32 v[126:127], v[128:129], v[24:25] /*v[280:281]*/, v[124:125] neg_lo:[0,0,1] neg_hi:[0,0,1]
	v_pk_fma_f32 v[124:125], v[128:129], v[24:25] /*v[280:281]*/, v[124:125] op_sel_hi:[1,0,1]
	v_mov_b32_e32 v127, v125
	s_wait_loadcnt_dscnt 0x101
	v_pk_mul_f32 v[124:125], v[130:131], v[26:27] /*v[282:283]*/ op_sel:[1,1] op_sel_hi:[0,1]
	s_set_vgpr_msb 0                        ;  msbs: dst=0 src0=0 src1=0 src2=0
	s_delay_alu instid0(VALU_DEP_2) | instskip(SKIP_1) | instid1(VALU_DEP_2)
	v_pk_add_f32 v[122:123], v[122:123], v[126:127]
	s_set_vgpr_msb 4                        ;  msbs: dst=0 src0=0 src1=1 src2=0
	v_pk_fma_f32 v[126:127], v[130:131], v[26:27] /*v[282:283]*/, v[124:125] neg_lo:[0,0,1] neg_hi:[0,0,1]
	v_pk_fma_f32 v[124:125], v[130:131], v[26:27] /*v[282:283]*/, v[124:125] op_sel_hi:[1,0,1]
	s_delay_alu instid0(VALU_DEP_1) | instskip(SKIP_2) | instid1(VALU_DEP_2)
	v_dual_mov_b32 v124, v133 :: v_dual_mov_b32 v127, v125
	v_mov_b32_e32 v125, v132
	s_set_vgpr_msb 0                        ;  msbs: dst=0 src0=0 src1=0 src2=0
	v_pk_add_f32 v[122:123], v[122:123], v[126:127]
	s_set_vgpr_msb 1                        ;  msbs: dst=0 src0=1 src1=0 src2=0
	v_mov_b32_e32 v126, v29 /*v285*/
	s_set_vgpr_msb 0                        ;  msbs: dst=0 src0=0 src1=0 src2=0
	s_delay_alu instid0(VALU_DEP_1) | instskip(SKIP_1) | instid1(VALU_DEP_1)
	v_pk_mul_f32 v[124:125], v[124:125], v[126:127] op_sel_hi:[1,0]
	s_set_vgpr_msb 4                        ;  msbs: dst=0 src0=0 src1=1 src2=0
	v_pk_fma_f32 v[126:127], v[132:133], v[28:29] /*v[284:285]*/, v[124:125] neg_lo:[0,0,1] neg_hi:[0,0,1]
	v_pk_fma_f32 v[124:125], v[132:133], v[28:29] /*v[284:285]*/, v[124:125] op_sel_hi:[1,0,1]
	s_delay_alu instid0(VALU_DEP_1) | instskip(SKIP_3) | instid1(VALU_DEP_2)
	v_mov_b32_e32 v127, v125
	s_wait_loadcnt_dscnt 0x0
	v_pk_mul_f32 v[124:125], v[134:135], v[30:31] /*v[286:287]*/ op_sel:[1,1] op_sel_hi:[0,1]
	s_set_vgpr_msb 0                        ;  msbs: dst=0 src0=0 src1=0 src2=0
	v_pk_add_f32 v[122:123], v[122:123], v[126:127]
	s_set_vgpr_msb 4                        ;  msbs: dst=0 src0=0 src1=1 src2=0
	s_delay_alu instid0(VALU_DEP_2) | instskip(SKIP_1) | instid1(VALU_DEP_1)
	v_pk_fma_f32 v[126:127], v[134:135], v[30:31] /*v[286:287]*/, v[124:125] neg_lo:[0,0,1] neg_hi:[0,0,1]
	v_pk_fma_f32 v[124:125], v[134:135], v[30:31] /*v[286:287]*/, v[124:125] op_sel_hi:[1,0,1]
	v_dual_mov_b32 v124, v137 :: v_dual_mov_b32 v127, v125
	v_mov_b32_e32 v125, v136
	s_set_vgpr_msb 0                        ;  msbs: dst=0 src0=0 src1=0 src2=0
	s_delay_alu instid0(VALU_DEP_2) | instskip(SKIP_3) | instid1(VALU_DEP_1)
	v_pk_add_f32 v[122:123], v[122:123], v[126:127]
	s_set_vgpr_msb 1                        ;  msbs: dst=0 src0=1 src1=0 src2=0
	v_mov_b32_e32 v126, v33 /*v289*/
	s_set_vgpr_msb 0                        ;  msbs: dst=0 src0=0 src1=0 src2=0
	v_pk_mul_f32 v[124:125], v[124:125], v[126:127] op_sel_hi:[1,0]
	s_set_vgpr_msb 4                        ;  msbs: dst=0 src0=0 src1=1 src2=0
	s_delay_alu instid0(VALU_DEP_1) | instskip(SKIP_1) | instid1(VALU_DEP_1)
	v_pk_fma_f32 v[126:127], v[136:137], v[32:33] /*v[288:289]*/, v[124:125] neg_lo:[0,0,1] neg_hi:[0,0,1]
	v_pk_fma_f32 v[124:125], v[136:137], v[32:33] /*v[288:289]*/, v[124:125] op_sel_hi:[1,0,1]
	v_mov_b32_e32 v127, v125
	scratch_load_b64 v[124:125], off, off offset:104
	s_set_vgpr_msb 0                        ;  msbs: dst=0 src0=0 src1=0 src2=0
	v_pk_add_f32 v[122:123], v[122:123], v[126:127]
	s_wait_loadcnt 0x0
	s_delay_alu instid0(VALU_DEP_1)
	v_pk_add_f32 v[122:123], v[124:125], v[122:123] neg_lo:[0,1] neg_hi:[0,1]
	scratch_store_b64 off, v[122:123], off offset:104
	s_wait_xcnt 0x0
	v_cmpx_lt_u32_e32 12, v0
	s_cbranch_execz .LBB59_349
; %bb.348:
	scratch_load_b64 v[122:123], off, off offset:96
	v_mov_b64_e32 v[124:125], 0
	scratch_store_b64 off, v[124:125], off offset:96
	s_wait_loadcnt 0x0
	ds_store_b64 v1, v[122:123]
.LBB59_349:
	s_wait_xcnt 0x0
	s_or_b32 exec_lo, exec_lo, s0
	s_wait_storecnt_dscnt 0x0
	s_barrier_signal -1
	s_barrier_wait -1
	s_clause 0xf
	scratch_load_b128 v[126:129], off, off offset:104
	scratch_load_b128 v[134:137], off, off offset:120
	;; [unrolled: 1-line block ×16, first 2 shown]
	v_mov_b32_e32 v7, 0
	s_clause 0x4
	scratch_load_b128 v[254:257], off, off offset:360
	s_set_vgpr_msb 64                       ;  msbs: dst=1 src0=0 src1=0 src2=0
	scratch_load_b128 v[6:9] /*v[262:265]*/, off, off offset:376
	scratch_load_b128 v[14:17] /*v[270:273]*/, off, off offset:392
	;; [unrolled: 1-line block ×3, first 2 shown]
	s_set_vgpr_msb 0                        ;  msbs: dst=0 src0=0 src1=0 src2=0
	ds_load_2addr_b64 v[122:125], v7 offset0:73 offset1:74
	ds_load_2addr_b64 v[130:133], v7 offset0:75 offset1:76
	s_mov_b32 s0, exec_lo
	s_wait_loadcnt_dscnt 0x1301
	v_dual_mul_f32 v9, v122, v127 :: v_dual_mul_f32 v11, v124, v129
	ds_load_2addr_b64 v[138:141], v7 offset0:77 offset1:78
	ds_load_2addr_b64 v[146:149], v7 offset0:79 offset1:80
	;; [unrolled: 1-line block ×4, first 2 shown]
	v_dual_fmac_f32 v9, v123, v126 :: v_dual_fmac_f32 v11, v125, v128
	ds_load_2addr_b64 v[170:173], v7 offset0:85 offset1:86
	ds_load_2addr_b64 v[178:181], v7 offset0:87 offset1:88
	;; [unrolled: 1-line block ×4, first 2 shown]
	v_add_f32_e32 v9, 0, v9
	ds_load_2addr_b64 v[202:205], v7 offset0:93 offset1:94
	ds_load_2addr_b64 v[210:213], v7 offset0:95 offset1:96
	;; [unrolled: 1-line block ×4, first 2 shown]
	v_add_f32_e32 v9, v9, v11
	s_wait_loadcnt_dscnt 0x120c
	v_mul_f32_e32 v11, v130, v135
	ds_load_2addr_b64 v[234:237], v7 offset0:101 offset1:102
	ds_load_2addr_b64 v[242:245], v7 offset0:103 offset1:104
	;; [unrolled: 1-line block ×3, first 2 shown]
	s_set_vgpr_msb 64                       ;  msbs: dst=1 src0=0 src1=0 src2=0
	ds_load_2addr_b64 v[2:5] /*v[258:261]*/, v7 offset0:107 offset1:108
	s_set_vgpr_msb 0                        ;  msbs: dst=0 src0=0 src1=0 src2=0
	v_fmac_f32_e32 v11, v131, v134
	s_set_vgpr_msb 64                       ;  msbs: dst=1 src0=0 src1=0 src2=0
	ds_load_2addr_b64 v[10:13] /*v[266:269]*/, v7 offset0:109 offset1:110
	ds_load_2addr_b64 v[18:21] /*v[274:277]*/, v7 offset0:111 offset1:112
	s_clause 0x3
	scratch_load_b128 v[26:29] /*v[282:285]*/, off, off offset:424
	scratch_load_b128 v[30:33] /*v[286:289]*/, off, off offset:440
	;; [unrolled: 1-line block ×3, first 2 shown]
	scratch_load_b64 v[44:45] /*v[300:301]*/, off, off offset:472
	s_set_vgpr_msb 0                        ;  msbs: dst=0 src0=0 src1=0 src2=0
	v_dual_add_f32 v9, v9, v11 :: v_dual_mul_f32 v11, v132, v137
	s_delay_alu instid0(VALU_DEP_1) | instskip(NEXT) | instid1(VALU_DEP_1)
	v_fmac_f32_e32 v11, v133, v136
	v_add_f32_e32 v9, v9, v11
	s_wait_loadcnt_dscnt 0x1511
	v_mul_f32_e32 v11, v138, v143
	s_wait_loadcnt_dscnt 0x400
	s_set_vgpr_msb 0x45                     ;  msbs: dst=1 src0=1 src1=1 src2=0
	v_dual_mul_f32 v41 /*v297*/, v12 /*v268*/, v17 /*v273*/ :: v_dual_mul_f32 v43 /*v299*/, v18 /*v274*/, v23 /*v279*/
	s_set_vgpr_msb 0                        ;  msbs: dst=0 src0=0 src1=0 src2=0
	v_fmac_f32_e32 v11, v139, v142
	s_set_vgpr_msb 0x45                     ;  msbs: dst=1 src0=1 src1=1 src2=0
	s_delay_alu instid0(VALU_DEP_2) | instskip(SKIP_1) | instid1(VALU_DEP_2)
	v_dual_fmac_f32 v41 /*v297*/, v13 /*v269*/, v16 /*v272*/ :: v_dual_fmac_f32 v43 /*v299*/, v19 /*v275*/, v22 /*v278*/
	s_set_vgpr_msb 0                        ;  msbs: dst=0 src0=0 src1=0 src2=0
	v_dual_add_f32 v9, v9, v11 :: v_dual_mul_f32 v11, v140, v145
	s_delay_alu instid0(VALU_DEP_1) | instskip(NEXT) | instid1(VALU_DEP_1)
	v_fmac_f32_e32 v11, v141, v144
	v_add_f32_e32 v9, v9, v11
	v_mul_f32_e32 v11, v146, v151
	s_delay_alu instid0(VALU_DEP_1) | instskip(NEXT) | instid1(VALU_DEP_1)
	v_fmac_f32_e32 v11, v147, v150
	v_dual_add_f32 v9, v9, v11 :: v_dual_mul_f32 v11, v148, v153
	s_delay_alu instid0(VALU_DEP_1) | instskip(NEXT) | instid1(VALU_DEP_1)
	v_fmac_f32_e32 v11, v149, v152
	v_add_f32_e32 v9, v9, v11
	v_mul_f32_e32 v11, v154, v159
	s_delay_alu instid0(VALU_DEP_1) | instskip(NEXT) | instid1(VALU_DEP_1)
	v_fmac_f32_e32 v11, v155, v158
	;; [unrolled: 7-line block ×14, first 2 shown]
	v_add_f32_e32 v9, v9, v11
	s_set_vgpr_msb 4                        ;  msbs: dst=0 src0=0 src1=1 src2=0
	v_mul_f32_e32 v11, v252, v1 /*v257*/
	s_delay_alu instid0(VALU_DEP_1) | instskip(SKIP_1) | instid1(VALU_DEP_1)
	v_fmac_f32_e32 v11, v253, v0 /*v256*/
	s_set_vgpr_msb 0                        ;  msbs: dst=0 src0=0 src1=0 src2=0
	v_add_f32_e32 v9, v9, v11
	s_set_vgpr_msb 5                        ;  msbs: dst=0 src0=1 src1=1 src2=0
	v_mul_f32_e32 v11, v2 /*v258*/, v7 /*v263*/
	s_delay_alu instid0(VALU_DEP_1) | instskip(SKIP_1) | instid1(VALU_DEP_1)
	v_fmac_f32_e32 v11, v3 /*v259*/, v6 /*v262*/
	s_set_vgpr_msb 0                        ;  msbs: dst=0 src0=0 src1=0 src2=0
	v_add_f32_e32 v9, v9, v11
	s_set_vgpr_msb 5                        ;  msbs: dst=0 src0=1 src1=1 src2=0
	v_mul_f32_e32 v11, v4 /*v260*/, v9 /*v265*/
	s_delay_alu instid0(VALU_DEP_1) | instskip(SKIP_1) | instid1(VALU_DEP_1)
	v_fmac_f32_e32 v11, v5 /*v261*/, v8 /*v264*/
	;; [unrolled: 6-line block ×3, first 2 shown]
	s_set_vgpr_msb 64                       ;  msbs: dst=1 src0=0 src1=0 src2=0
	v_add_f32_e32 v39 /*v295*/, v9, v11
	s_set_vgpr_msb 0                        ;  msbs: dst=0 src0=0 src1=0 src2=0
	v_dual_mul_f32 v9, v123, v127 :: v_dual_mul_f32 v11, v125, v129
	s_delay_alu instid0(VALU_DEP_1) | instskip(NEXT) | instid1(VALU_DEP_1)
	v_dual_fma_f32 v9, v122, v126, -v9 :: v_dual_fma_f32 v11, v124, v128, -v11
	v_add_f32_e32 v9, 0, v9
	s_delay_alu instid0(VALU_DEP_1) | instskip(SKIP_1) | instid1(VALU_DEP_1)
	v_add_f32_e32 v9, v9, v11
	v_mul_f32_e32 v11, v131, v135
	v_fma_f32 v11, v130, v134, -v11
	s_delay_alu instid0(VALU_DEP_1) | instskip(SKIP_1) | instid1(VALU_DEP_1)
	v_add_f32_e32 v9, v9, v11
	v_mul_f32_e32 v11, v133, v137
	v_fma_f32 v11, v132, v136, -v11
	ds_load_2addr_b64 v[122:125], v7 offset0:113 offset1:114
	ds_load_2addr_b64 v[126:129], v7 offset0:115 offset1:116
	;; [unrolled: 1-line block ×3, first 2 shown]
	ds_load_b64 v[134:135], v7 offset:952
	v_add_f32_e32 v9, v9, v11
	v_mul_f32_e32 v11, v139, v143
	s_set_vgpr_msb 1                        ;  msbs: dst=0 src0=1 src1=0 src2=0
	v_mov_b32_e32 v139, v20 /*v276*/
	s_set_vgpr_msb 0                        ;  msbs: dst=0 src0=0 src1=0 src2=0
	s_delay_alu instid0(VALU_DEP_2) | instskip(SKIP_3) | instid1(VALU_DEP_2)
	v_fma_f32 v11, v138, v142, -v11
	s_set_vgpr_msb 1                        ;  msbs: dst=0 src0=1 src1=0 src2=0
	v_mov_b32_e32 v138, v21 /*v277*/
	s_set_vgpr_msb 0                        ;  msbs: dst=0 src0=0 src1=0 src2=0
	v_add_f32_e32 v9, v9, v11
	v_mul_f32_e32 v11, v141, v145
	s_delay_alu instid0(VALU_DEP_1) | instskip(SKIP_3) | instid1(VALU_DEP_2)
	v_fma_f32 v11, v140, v144, -v11
	s_set_vgpr_msb 1                        ;  msbs: dst=0 src0=1 src1=0 src2=0
	v_mov_b32_e32 v140, v25 /*v281*/
	s_set_vgpr_msb 0                        ;  msbs: dst=0 src0=0 src1=0 src2=0
	v_add_f32_e32 v9, v9, v11
	v_mul_f32_e32 v11, v147, v151
	s_delay_alu instid0(VALU_DEP_3) | instskip(NEXT) | instid1(VALU_DEP_2)
	v_pk_mul_f32 v[138:139], v[138:139], v[140:141] op_sel_hi:[1,0]
	v_fma_f32 v11, v146, v150, -v11
	s_set_vgpr_msb 5                        ;  msbs: dst=0 src0=1 src1=1 src2=0
	s_delay_alu instid0(VALU_DEP_2) | instskip(SKIP_3) | instid1(VALU_DEP_2)
	v_pk_fma_f32 v[140:141], v[20:21] /*v[276:277]*/, v[24:25] /*v[280:281]*/, v[138:139] neg_lo:[0,0,1] neg_hi:[0,0,1]
	v_pk_fma_f32 v[138:139], v[20:21] /*v[276:277]*/, v[24:25] /*v[280:281]*/, v[138:139] op_sel_hi:[1,0,1]
	s_set_vgpr_msb 0                        ;  msbs: dst=0 src0=0 src1=0 src2=0
	v_add_f32_e32 v9, v9, v11
	v_dual_mul_f32 v11, v149, v153 :: v_dual_mov_b32 v141, v139
	s_wait_loadcnt_dscnt 0x303
	s_set_vgpr_msb 4                        ;  msbs: dst=0 src0=0 src1=1 src2=0
	v_pk_mul_f32 v[138:139], v[122:123], v[26:27] /*v[282:283]*/ op_sel:[1,1] op_sel_hi:[0,1]
	s_set_vgpr_msb 0                        ;  msbs: dst=0 src0=0 src1=0 src2=0
	v_fma_f32 v11, v148, v152, -v11
	s_delay_alu instid0(VALU_DEP_1) | instskip(SKIP_1) | instid1(VALU_DEP_1)
	v_add_f32_e32 v9, v9, v11
	v_mul_f32_e32 v11, v155, v159
	v_fma_f32 v11, v154, v158, -v11
	s_delay_alu instid0(VALU_DEP_1) | instskip(SKIP_1) | instid1(VALU_DEP_1)
	v_add_f32_e32 v9, v9, v11
	v_mul_f32_e32 v11, v157, v161
	;; [unrolled: 4-line block ×25, first 2 shown]
	v_fma_f32 v11, v250, v254, -v11
	s_delay_alu instid0(VALU_DEP_1) | instskip(SKIP_2) | instid1(VALU_DEP_1)
	v_add_f32_e32 v9, v9, v11
	s_set_vgpr_msb 4                        ;  msbs: dst=0 src0=0 src1=1 src2=0
	v_mul_f32_e32 v11, v253, v1 /*v257*/
	v_fma_f32 v11, v252, v0 /*v256*/, -v11
	s_set_vgpr_msb 0                        ;  msbs: dst=0 src0=0 src1=0 src2=0
	s_delay_alu instid0(VALU_DEP_1) | instskip(SKIP_2) | instid1(VALU_DEP_1)
	v_add_f32_e32 v9, v9, v11
	s_set_vgpr_msb 5                        ;  msbs: dst=0 src0=1 src1=1 src2=0
	v_mul_f32_e32 v11, v3 /*v259*/, v7 /*v263*/
	v_fma_f32 v11, v2 /*v258*/, v6 /*v262*/, -v11
	s_set_vgpr_msb 0                        ;  msbs: dst=0 src0=0 src1=0 src2=0
	s_delay_alu instid0(VALU_DEP_1) | instskip(SKIP_2) | instid1(VALU_DEP_1)
	v_add_f32_e32 v9, v9, v11
	s_set_vgpr_msb 5                        ;  msbs: dst=0 src0=1 src1=1 src2=0
	v_mul_f32_e32 v11, v5 /*v261*/, v9 /*v265*/
	v_fma_f32 v11, v4 /*v260*/, v8 /*v264*/, -v11
	s_set_vgpr_msb 0                        ;  msbs: dst=0 src0=0 src1=0 src2=0
	s_delay_alu instid0(VALU_DEP_1) | instskip(SKIP_2) | instid1(VALU_DEP_1)
	v_add_f32_e32 v9, v9, v11
	s_set_vgpr_msb 5                        ;  msbs: dst=0 src0=1 src1=1 src2=0
	v_mul_f32_e32 v11, v11 /*v267*/, v15 /*v271*/
	v_fma_f32 v11, v10 /*v266*/, v14 /*v270*/, -v11
	s_set_vgpr_msb 64                       ;  msbs: dst=1 src0=0 src1=0 src2=0
	s_delay_alu instid0(VALU_DEP_1) | instskip(SKIP_3) | instid1(VALU_DEP_1)
	v_add_f32_e32 v38 /*v294*/, v9, v11
	s_set_vgpr_msb 5                        ;  msbs: dst=0 src0=1 src1=1 src2=0
	v_mul_f32_e32 v9, v13 /*v269*/, v17 /*v273*/
	s_set_vgpr_msb 0x45                     ;  msbs: dst=1 src0=1 src1=1 src2=0
	v_fma_f32 v40 /*v296*/, v12 /*v268*/, v16 /*v272*/, -v9
	s_set_vgpr_msb 5                        ;  msbs: dst=0 src0=1 src1=1 src2=0
	v_mul_f32_e32 v9, v19 /*v275*/, v23 /*v279*/
	s_set_vgpr_msb 0x45                     ;  msbs: dst=1 src0=1 src1=1 src2=0
	s_delay_alu instid0(VALU_DEP_1) | instskip(SKIP_3) | instid1(VALU_DEP_1)
	v_fma_f32 v42 /*v298*/, v18 /*v274*/, v22 /*v278*/, -v9
	s_set_vgpr_msb 5                        ;  msbs: dst=0 src0=1 src1=1 src2=0
	v_pk_add_f32 v[136:137], v[38:39] /*v[294:295]*/, v[40:41] /*v[296:297]*/
	s_set_vgpr_msb 4                        ;  msbs: dst=0 src0=0 src1=1 src2=0
	v_pk_add_f32 v[136:137], v[136:137], v[42:43] /*v[298:299]*/
	s_set_vgpr_msb 0                        ;  msbs: dst=0 src0=0 src1=0 src2=0
	s_delay_alu instid0(VALU_DEP_1)
	v_pk_add_f32 v[136:137], v[136:137], v[140:141]
	s_set_vgpr_msb 4                        ;  msbs: dst=0 src0=0 src1=1 src2=0
	v_pk_fma_f32 v[140:141], v[122:123], v[26:27] /*v[282:283]*/, v[138:139] neg_lo:[0,0,1] neg_hi:[0,0,1]
	v_pk_fma_f32 v[122:123], v[122:123], v[26:27] /*v[282:283]*/, v[138:139] op_sel_hi:[1,0,1]
	s_set_vgpr_msb 1                        ;  msbs: dst=0 src0=1 src1=0 src2=0
	v_mov_b32_e32 v138, v29 /*v285*/
	s_set_vgpr_msb 0                        ;  msbs: dst=0 src0=0 src1=0 src2=0
	s_delay_alu instid0(VALU_DEP_2) | instskip(NEXT) | instid1(VALU_DEP_1)
	v_mov_b32_e32 v141, v123
	v_pk_add_f32 v[122:123], v[136:137], v[140:141]
	v_dual_mov_b32 v136, v125 :: v_dual_mov_b32 v137, v124
	s_delay_alu instid0(VALU_DEP_1) | instskip(SKIP_1) | instid1(VALU_DEP_1)
	v_pk_mul_f32 v[136:137], v[136:137], v[138:139] op_sel_hi:[1,0]
	s_set_vgpr_msb 4                        ;  msbs: dst=0 src0=0 src1=1 src2=0
	v_pk_fma_f32 v[138:139], v[124:125], v[28:29] /*v[284:285]*/, v[136:137] neg_lo:[0,0,1] neg_hi:[0,0,1]
	v_pk_fma_f32 v[124:125], v[124:125], v[28:29] /*v[284:285]*/, v[136:137] op_sel_hi:[1,0,1]
	s_delay_alu instid0(VALU_DEP_1) | instskip(SKIP_3) | instid1(VALU_DEP_2)
	v_mov_b32_e32 v139, v125
	s_wait_loadcnt_dscnt 0x202
	v_pk_mul_f32 v[124:125], v[126:127], v[30:31] /*v[286:287]*/ op_sel:[1,1] op_sel_hi:[0,1]
	s_set_vgpr_msb 0                        ;  msbs: dst=0 src0=0 src1=0 src2=0
	v_pk_add_f32 v[122:123], v[122:123], v[138:139]
	s_set_vgpr_msb 4                        ;  msbs: dst=0 src0=0 src1=1 src2=0
	s_delay_alu instid0(VALU_DEP_2)
	v_pk_fma_f32 v[136:137], v[126:127], v[30:31] /*v[286:287]*/, v[124:125] neg_lo:[0,0,1] neg_hi:[0,0,1]
	v_pk_fma_f32 v[124:125], v[126:127], v[30:31] /*v[286:287]*/, v[124:125] op_sel_hi:[1,0,1]
	v_mov_b32_e32 v124, v129
	s_set_vgpr_msb 1                        ;  msbs: dst=0 src0=1 src1=0 src2=0
	v_mov_b32_e32 v126, v33 /*v289*/
	s_set_vgpr_msb 0                        ;  msbs: dst=0 src0=0 src1=0 src2=0
	v_dual_mov_b32 v137, v125 :: v_dual_mov_b32 v125, v128
	s_delay_alu instid0(VALU_DEP_1) | instskip(NEXT) | instid1(VALU_DEP_2)
	v_pk_add_f32 v[122:123], v[122:123], v[136:137]
	v_pk_mul_f32 v[124:125], v[124:125], v[126:127] op_sel_hi:[1,0]
	s_set_vgpr_msb 4                        ;  msbs: dst=0 src0=0 src1=1 src2=0
	s_delay_alu instid0(VALU_DEP_1) | instskip(SKIP_1) | instid1(VALU_DEP_1)
	v_pk_fma_f32 v[126:127], v[128:129], v[32:33] /*v[288:289]*/, v[124:125] neg_lo:[0,0,1] neg_hi:[0,0,1]
	v_pk_fma_f32 v[124:125], v[128:129], v[32:33] /*v[288:289]*/, v[124:125] op_sel_hi:[1,0,1]
	v_mov_b32_e32 v127, v125
	s_wait_loadcnt_dscnt 0x101
	v_pk_mul_f32 v[124:125], v[130:131], v[34:35] /*v[290:291]*/ op_sel:[1,1] op_sel_hi:[0,1]
	s_set_vgpr_msb 0                        ;  msbs: dst=0 src0=0 src1=0 src2=0
	s_delay_alu instid0(VALU_DEP_2) | instskip(SKIP_1) | instid1(VALU_DEP_2)
	v_pk_add_f32 v[122:123], v[122:123], v[126:127]
	s_set_vgpr_msb 4                        ;  msbs: dst=0 src0=0 src1=1 src2=0
	v_pk_fma_f32 v[126:127], v[130:131], v[34:35] /*v[290:291]*/, v[124:125] neg_lo:[0,0,1] neg_hi:[0,0,1]
	v_pk_fma_f32 v[124:125], v[130:131], v[34:35] /*v[290:291]*/, v[124:125] op_sel_hi:[1,0,1]
	s_delay_alu instid0(VALU_DEP_1) | instskip(SKIP_2) | instid1(VALU_DEP_2)
	v_dual_mov_b32 v124, v133 :: v_dual_mov_b32 v127, v125
	v_mov_b32_e32 v125, v132
	s_set_vgpr_msb 0                        ;  msbs: dst=0 src0=0 src1=0 src2=0
	v_pk_add_f32 v[122:123], v[122:123], v[126:127]
	s_set_vgpr_msb 1                        ;  msbs: dst=0 src0=1 src1=0 src2=0
	v_mov_b32_e32 v126, v37 /*v293*/
	s_set_vgpr_msb 0                        ;  msbs: dst=0 src0=0 src1=0 src2=0
	s_delay_alu instid0(VALU_DEP_1) | instskip(SKIP_1) | instid1(VALU_DEP_1)
	v_pk_mul_f32 v[124:125], v[124:125], v[126:127] op_sel_hi:[1,0]
	s_set_vgpr_msb 4                        ;  msbs: dst=0 src0=0 src1=1 src2=0
	v_pk_fma_f32 v[126:127], v[132:133], v[36:37] /*v[292:293]*/, v[124:125] neg_lo:[0,0,1] neg_hi:[0,0,1]
	v_pk_fma_f32 v[124:125], v[132:133], v[36:37] /*v[292:293]*/, v[124:125] op_sel_hi:[1,0,1]
	s_delay_alu instid0(VALU_DEP_1) | instskip(SKIP_3) | instid1(VALU_DEP_2)
	v_mov_b32_e32 v127, v125
	s_wait_loadcnt_dscnt 0x0
	v_pk_mul_f32 v[124:125], v[134:135], v[44:45] /*v[300:301]*/ op_sel:[1,1] op_sel_hi:[0,1]
	s_set_vgpr_msb 0                        ;  msbs: dst=0 src0=0 src1=0 src2=0
	v_pk_add_f32 v[122:123], v[122:123], v[126:127]
	s_set_vgpr_msb 4                        ;  msbs: dst=0 src0=0 src1=1 src2=0
	s_delay_alu instid0(VALU_DEP_2) | instskip(SKIP_1) | instid1(VALU_DEP_1)
	v_pk_fma_f32 v[126:127], v[134:135], v[44:45] /*v[300:301]*/, v[124:125] neg_lo:[0,0,1] neg_hi:[0,0,1]
	v_pk_fma_f32 v[124:125], v[134:135], v[44:45] /*v[300:301]*/, v[124:125] op_sel_hi:[1,0,1]
	v_mov_b32_e32 v127, v125
	scratch_load_b64 v[124:125], off, off offset:96
	s_set_vgpr_msb 0                        ;  msbs: dst=0 src0=0 src1=0 src2=0
	v_pk_add_f32 v[122:123], v[122:123], v[126:127]
	s_wait_loadcnt 0x0
	s_delay_alu instid0(VALU_DEP_1)
	v_pk_add_f32 v[122:123], v[124:125], v[122:123] neg_lo:[0,1] neg_hi:[0,1]
	scratch_store_b64 off, v[122:123], off offset:96
	s_wait_xcnt 0x0
	v_cmpx_lt_u32_e32 11, v0
	s_cbranch_execz .LBB59_351
; %bb.350:
	scratch_load_b64 v[122:123], off, off offset:88
	v_mov_b64_e32 v[124:125], 0
	scratch_store_b64 off, v[124:125], off offset:88
	s_wait_loadcnt 0x0
	ds_store_b64 v1, v[122:123]
.LBB59_351:
	s_wait_xcnt 0x0
	s_or_b32 exec_lo, exec_lo, s0
	s_wait_storecnt_dscnt 0x0
	s_barrier_signal -1
	s_barrier_wait -1
	s_clause 0x17
	scratch_load_b128 v[122:125], off, off offset:96
	scratch_load_b128 v[126:129], off, off offset:112
	;; [unrolled: 1-line block ×24, first 2 shown]
	ds_load_b128 v[218:221], v7 offset:576
	ds_load_b128 v[222:225], v7 offset:592
	;; [unrolled: 1-line block ×6, first 2 shown]
	s_set_vgpr_msb 64                       ;  msbs: dst=1 src0=0 src1=0 src2=0
	scratch_load_b64 v[58:59] /*v[314:315]*/, off, off offset:88
	s_set_vgpr_msb 0                        ;  msbs: dst=0 src0=0 src1=0 src2=0
	ds_load_b128 v[242:245], v7 offset:640
	ds_load_b128 v[246:249], v7 offset:656
	;; [unrolled: 1-line block ×4, first 2 shown]
	s_set_vgpr_msb 64                       ;  msbs: dst=1 src0=0 src1=0 src2=0
	ds_load_b128 v[2:5] /*v[258:261]*/, v7 offset:672
	ds_load_b128 v[6:9] /*v[262:265]*/, v7 offset:688
	ds_load_b128 v[10:13] /*v[266:269]*/, v7 offset:704
	ds_load_b128 v[14:17] /*v[270:273]*/, v7 offset:720
	ds_load_b128 v[18:21] /*v[274:277]*/, v7 offset:736
	ds_load_b128 v[22:25] /*v[278:281]*/, v7 offset:752
	ds_load_b128 v[26:29] /*v[282:285]*/, v7 offset:768
	ds_load_b128 v[30:33] /*v[286:289]*/, v7 offset:784
	ds_load_b128 v[34:37] /*v[290:293]*/, v7 offset:800
	ds_load_b128 v[38:41] /*v[294:297]*/, v7 offset:816
	ds_load_b128 v[42:45] /*v[298:301]*/, v7 offset:832
	ds_load_b128 v[46:49] /*v[302:305]*/, v7 offset:848
	ds_load_b128 v[50:53] /*v[306:309]*/, v7 offset:864
	ds_load_b128 v[54:57] /*v[310:313]*/, v7 offset:880
	s_mov_b32 s0, exec_lo
	s_wait_dscnt 0xf
	v_dual_mov_b32 v64 /*v320*/, v253 :: v_dual_mov_b32 v65 /*v321*/, v252
	s_wait_dscnt 0xe
	s_set_vgpr_msb 0x41                     ;  msbs: dst=1 src0=1 src1=0 src2=0
	v_dual_mov_b32 v66 /*v322*/, v1 /*v257*/ :: v_dual_mov_b32 v67 /*v323*/, v0 /*v256*/
	s_set_vgpr_msb 64                       ;  msbs: dst=1 src0=0 src1=0 src2=0
	v_dual_mov_b32 v60 /*v316*/, v237 :: v_dual_mov_b32 v61 /*v317*/, v236
	v_dual_mov_b32 v62 /*v318*/, v241 :: v_dual_mov_b32 v63 /*v319*/, v240
	s_wait_loadcnt 0x18
	s_set_vgpr_msb 0                        ;  msbs: dst=0 src0=0 src1=0 src2=0
	v_dual_mul_f32 v7, v218, v123 :: v_dual_mul_f32 v9, v220, v125
	v_dual_mul_f32 v83, v219, v123 :: v_dual_mul_f32 v85, v221, v125
	s_wait_loadcnt 0x17
	v_dual_mul_f32 v11, v222, v127 :: v_dual_mul_f32 v13, v224, v129
	s_delay_alu instid0(VALU_DEP_3) | instskip(SKIP_3) | instid1(VALU_DEP_3)
	v_dual_fmac_f32 v7, v219, v122 :: v_dual_fmac_f32 v9, v221, v124
	s_wait_loadcnt 0x15
	v_dual_fma_f32 v83, v218, v122, -v83 :: v_dual_mul_f32 v95, v231, v135
	v_dual_mul_f32 v87, v223, v127 :: v_dual_mul_f32 v89, v225, v129
	v_dual_fma_f32 v85, v220, v124, -v85 :: v_dual_add_f32 v7, 0, v7
	s_delay_alu instid0(VALU_DEP_3) | instskip(SKIP_1) | instid1(VALU_DEP_3)
	v_dual_add_f32 v83, 0, v83 :: v_dual_mul_f32 v97, v233, v137
	v_dual_fmac_f32 v11, v223, v126 :: v_dual_fmac_f32 v13, v225, v128
	v_dual_fma_f32 v87, v222, v126, -v87 :: v_dual_add_f32 v7, v7, v9
	s_delay_alu instid0(VALU_DEP_3) | instskip(SKIP_2) | instid1(VALU_DEP_4)
	v_dual_add_f32 v9, v83, v85 :: v_dual_fma_f32 v85, v224, v128, -v89
	v_dual_mul_f32 v15, v226, v131 :: v_dual_mul_f32 v17, v228, v133
	v_dual_mul_f32 v91, v227, v131 :: v_dual_mul_f32 v93, v229, v133
	v_add_f32_e32 v7, v7, v11
	s_delay_alu instid0(VALU_DEP_3) | instskip(NEXT) | instid1(VALU_DEP_3)
	v_dual_add_f32 v9, v9, v87 :: v_dual_fmac_f32 v15, v227, v130
	v_fma_f32 v87, v226, v130, -v91
	v_dual_mul_f32 v19, v230, v135 :: v_dual_mul_f32 v21, v232, v137
	s_delay_alu instid0(VALU_DEP_4) | instskip(SKIP_2) | instid1(VALU_DEP_2)
	v_dual_add_f32 v7, v7, v13 :: v_dual_fmac_f32 v17, v229, v132
	s_wait_loadcnt 0x13
	v_dual_add_f32 v9, v9, v85 :: v_dual_mul_f32 v13, v247, v143
	v_dual_fma_f32 v85, v228, v132, -v93 :: v_dual_add_f32 v7, v7, v15
	v_mul_f32_e32 v15, v249, v145
	s_delay_alu instid0(VALU_DEP_3) | instskip(NEXT) | instid1(VALU_DEP_3)
	v_dual_add_f32 v9, v9, v87 :: v_dual_fmac_f32 v19, v231, v134
	v_dual_fma_f32 v87, v230, v134, -v95 :: v_dual_add_f32 v7, v7, v17
	v_fmac_f32_e32 v21, v233, v136
	s_delay_alu instid0(VALU_DEP_3) | instskip(SKIP_3) | instid1(VALU_DEP_3)
	v_dual_add_f32 v9, v9, v85 :: v_dual_fma_f32 v85, v232, v136, -v97
	v_dual_mul_f32 v23, v242, v139 :: v_dual_mul_f32 v25, v244, v141
	v_dual_mul_f32 v83, v243, v139 :: v_dual_mul_f32 v11, v245, v141
	v_add_f32_e32 v7, v7, v19
	v_dual_add_f32 v9, v9, v87 :: v_dual_fmac_f32 v23, v243, v138
	s_delay_alu instid0(VALU_DEP_3) | instskip(SKIP_1) | instid1(VALU_DEP_4)
	v_fma_f32 v83, v242, v138, -v83
	v_dual_mul_f32 v27, v246, v143 :: v_dual_mul_f32 v29, v248, v145
	v_dual_add_f32 v7, v7, v21 :: v_dual_fmac_f32 v25, v245, v140
	s_delay_alu instid0(VALU_DEP_4) | instskip(NEXT) | instid1(VALU_DEP_3)
	v_dual_add_f32 v9, v9, v85 :: v_dual_fma_f32 v11, v244, v140, -v11
	v_fmac_f32_e32 v27, v247, v142
	s_delay_alu instid0(VALU_DEP_3) | instskip(NEXT) | instid1(VALU_DEP_3)
	v_dual_add_f32 v7, v7, v23 :: v_dual_fma_f32 v13, v246, v142, -v13
	v_add_f32_e32 v9, v9, v83
	s_wait_loadcnt_dscnt 0x120d
	s_set_vgpr_msb 1                        ;  msbs: dst=0 src0=1 src1=0 src2=0
	v_dual_mul_f32 v31, v2 /*v258*/, v147 :: v_dual_mul_f32 v33, v4 /*v260*/, v149
	s_set_vgpr_msb 0                        ;  msbs: dst=0 src0=0 src1=0 src2=0
	v_add_f32_e32 v7, v7, v25
	s_set_vgpr_msb 1                        ;  msbs: dst=0 src0=1 src1=0 src2=0
	v_dual_mul_f32 v17, v3 /*v259*/, v147 :: v_dual_mul_f32 v19, v5 /*v261*/, v149
	s_set_vgpr_msb 0                        ;  msbs: dst=0 src0=0 src1=0 src2=0
	v_add_f32_e32 v9, v9, v11
	v_dual_fmac_f32 v29, v249, v144 :: v_dual_fma_f32 v15, v248, v144, -v15
	v_add_f32_e32 v7, v7, v27
	s_set_vgpr_msb 1                        ;  msbs: dst=0 src0=1 src1=0 src2=0
	v_dual_fmac_f32 v31, v3 /*v259*/, v146 :: v_dual_fma_f32 v17, v2 /*v258*/, v146, -v17
	s_set_vgpr_msb 0                        ;  msbs: dst=0 src0=0 src1=0 src2=0
	v_add_f32_e32 v9, v9, v13
	s_wait_loadcnt_dscnt 0x110c
	s_set_vgpr_msb 1                        ;  msbs: dst=0 src0=1 src1=0 src2=0
	v_dual_mul_f32 v35, v6 /*v262*/, v151 :: v_dual_mul_f32 v37, v8 /*v264*/, v153
	s_set_vgpr_msb 0                        ;  msbs: dst=0 src0=0 src1=0 src2=0
	v_add_f32_e32 v7, v7, v29
	s_set_vgpr_msb 1                        ;  msbs: dst=0 src0=1 src1=0 src2=0
	v_dual_mul_f32 v21, v7 /*v263*/, v151 :: v_dual_mul_f32 v23, v9 /*v265*/, v153
	s_set_vgpr_msb 0                        ;  msbs: dst=0 src0=0 src1=0 src2=0
	v_add_f32_e32 v9, v9, v15
	s_wait_loadcnt_dscnt 0xf0a
	s_set_vgpr_msb 1                        ;  msbs: dst=0 src0=1 src1=0 src2=0
	v_dual_mul_f32 v15, v15 /*v271*/, v159 :: v_dual_fmac_f32 v33, v5 /*v261*/, v148
	v_fma_f32 v19, v4 /*v260*/, v148, -v19
	s_set_vgpr_msb 0                        ;  msbs: dst=0 src0=0 src1=0 src2=0
	v_dual_add_f32 v7, v7, v31 :: v_dual_add_f32 v9, v9, v17
	s_set_vgpr_msb 1                        ;  msbs: dst=0 src0=1 src1=0 src2=0
	v_dual_mul_f32 v17, v17 /*v273*/, v161 :: v_dual_fmac_f32 v35, v7 /*v263*/, v150
	v_fma_f32 v21, v6 /*v262*/, v150, -v21
	s_set_vgpr_msb 0                        ;  msbs: dst=0 src0=0 src1=0 src2=0
	v_dual_add_f32 v7, v7, v33 :: v_dual_add_f32 v9, v9, v19
	s_set_vgpr_msb 1                        ;  msbs: dst=0 src0=1 src1=0 src2=0
	v_dual_mul_f32 v11, v11 /*v267*/, v155 :: v_dual_mul_f32 v13, v13 /*v269*/, v157
	s_wait_loadcnt_dscnt 0xe09
	v_dual_mul_f32 v19, v19 /*v275*/, v163 :: v_dual_fmac_f32 v37, v9 /*v265*/, v152
	v_fma_f32 v23, v8 /*v264*/, v152, -v23
	s_set_vgpr_msb 0                        ;  msbs: dst=0 src0=0 src1=0 src2=0
	v_dual_add_f32 v7, v7, v35 :: v_dual_add_f32 v9, v9, v21
	s_set_vgpr_msb 1                        ;  msbs: dst=0 src0=1 src1=0 src2=0
	v_dual_mul_f32 v39, v10 /*v266*/, v155 :: v_dual_mul_f32 v41, v12 /*v268*/, v157
	v_dual_mul_f32 v21, v21 /*v277*/, v165 :: v_dual_fma_f32 v11, v10 /*v266*/, v154, -v11
	s_set_vgpr_msb 0                        ;  msbs: dst=0 src0=0 src1=0 src2=0
	v_dual_add_f32 v7, v7, v37 :: v_dual_add_f32 v9, v9, v23
	s_set_vgpr_msb 1                        ;  msbs: dst=0 src0=1 src1=0 src2=0
	v_dual_fmac_f32 v39, v11 /*v267*/, v154 :: v_dual_fmac_f32 v41, v13 /*v269*/, v156
	s_wait_loadcnt_dscnt 0xd08
	v_dual_mul_f32 v23, v23 /*v279*/, v167 :: v_dual_fma_f32 v13, v12 /*v268*/, v156, -v13
	s_set_vgpr_msb 0                        ;  msbs: dst=0 src0=0 src1=0 src2=0
	v_add_f32_e32 v9, v9, v11
	s_set_vgpr_msb 1                        ;  msbs: dst=0 src0=1 src1=0 src2=0
	v_dual_mul_f32 v43, v14 /*v270*/, v159 :: v_dual_mul_f32 v45, v16 /*v272*/, v161
	v_mul_f32_e32 v11, v25 /*v281*/, v169
	s_set_vgpr_msb 0                        ;  msbs: dst=0 src0=0 src1=0 src2=0
	v_dual_add_f32 v7, v7, v39 :: v_dual_add_f32 v9, v9, v13
	s_wait_loadcnt_dscnt 0xc07
	s_set_vgpr_msb 1                        ;  msbs: dst=0 src0=1 src1=0 src2=0
	v_dual_fma_f32 v15, v14 /*v270*/, v158, -v15 :: v_dual_mul_f32 v13, v27 /*v283*/, v171
	v_dual_fmac_f32 v43, v15 /*v271*/, v158 :: v_dual_fmac_f32 v45, v17 /*v273*/, v160
	s_set_vgpr_msb 0                        ;  msbs: dst=0 src0=0 src1=0 src2=0
	v_add_f32_e32 v7, v7, v41
	s_set_vgpr_msb 1                        ;  msbs: dst=0 src0=1 src1=0 src2=0
	v_fma_f32 v17, v16 /*v272*/, v160, -v17
	s_set_vgpr_msb 0                        ;  msbs: dst=0 src0=0 src1=0 src2=0
	v_add_f32_e32 v9, v9, v15
	s_set_vgpr_msb 1                        ;  msbs: dst=0 src0=1 src1=0 src2=0
	v_dual_mul_f32 v47, v18 /*v274*/, v163 :: v_dual_mul_f32 v49, v20 /*v276*/, v165
	v_mul_f32_e32 v15, v29 /*v285*/, v173
	s_set_vgpr_msb 0                        ;  msbs: dst=0 src0=0 src1=0 src2=0
	v_dual_add_f32 v7, v7, v43 :: v_dual_add_f32 v9, v9, v17
	s_wait_loadcnt_dscnt 0xb06
	s_set_vgpr_msb 1                        ;  msbs: dst=0 src0=1 src1=0 src2=0
	v_dual_fma_f32 v19, v18 /*v274*/, v162, -v19 :: v_dual_mul_f32 v17, v31 /*v287*/, v175
	v_dual_fmac_f32 v47, v19 /*v275*/, v162 :: v_dual_fmac_f32 v49, v21 /*v277*/, v164
	s_set_vgpr_msb 0                        ;  msbs: dst=0 src0=0 src1=0 src2=0
	v_add_f32_e32 v7, v7, v45
	s_set_vgpr_msb 1                        ;  msbs: dst=0 src0=1 src1=0 src2=0
	v_fma_f32 v21, v20 /*v276*/, v164, -v21
	s_set_vgpr_msb 0                        ;  msbs: dst=0 src0=0 src1=0 src2=0
	v_add_f32_e32 v9, v9, v19
	s_set_vgpr_msb 1                        ;  msbs: dst=0 src0=1 src1=0 src2=0
	v_dual_mul_f32 v51, v22 /*v278*/, v167 :: v_dual_mul_f32 v53, v24 /*v280*/, v169
	v_mul_f32_e32 v19, v33 /*v289*/, v177
	s_set_vgpr_msb 0                        ;  msbs: dst=0 src0=0 src1=0 src2=0
	v_dual_add_f32 v7, v7, v47 :: v_dual_add_f32 v9, v9, v21
	s_wait_loadcnt_dscnt 0xa05
	s_set_vgpr_msb 1                        ;  msbs: dst=0 src0=1 src1=0 src2=0
	v_dual_fma_f32 v23, v22 /*v278*/, v166, -v23 :: v_dual_mul_f32 v21, v35 /*v291*/, v179
	v_dual_mul_f32 v55, v26 /*v282*/, v171 :: v_dual_mul_f32 v57, v28 /*v284*/, v173
	v_dual_mul_f32 v59, v30 /*v286*/, v175 :: v_dual_mul_f32 v61, v32 /*v288*/, v177
	v_dual_fmac_f32 v51, v23 /*v279*/, v166 :: v_dual_fmac_f32 v53, v25 /*v281*/, v168
	v_fma_f32 v11, v24 /*v280*/, v168, -v11
	s_set_vgpr_msb 0                        ;  msbs: dst=0 src0=0 src1=0 src2=0
	v_dual_add_f32 v9, v9, v23 :: v_dual_add_f32 v7, v7, v49
	s_set_vgpr_msb 1                        ;  msbs: dst=0 src0=1 src1=0 src2=0
	v_dual_mul_f32 v23, v37 /*v293*/, v181 :: v_dual_fmac_f32 v55, v27 /*v283*/, v170
	v_fma_f32 v13, v26 /*v282*/, v170, -v13
	v_dual_fmac_f32 v57, v29 /*v285*/, v172 :: v_dual_fmac_f32 v59, v31 /*v287*/, v174
	s_set_vgpr_msb 0                        ;  msbs: dst=0 src0=0 src1=0 src2=0
	v_add_f32_e32 v9, v9, v11
	s_set_vgpr_msb 1                        ;  msbs: dst=0 src0=1 src1=0 src2=0
	v_dual_mul_f32 v63, v34 /*v290*/, v179 :: v_dual_mul_f32 v65, v36 /*v292*/, v181
	s_set_vgpr_msb 0                        ;  msbs: dst=0 src0=0 src1=0 src2=0
	v_add_f32_e32 v7, v7, v51
	s_wait_loadcnt_dscnt 0x904
	s_set_vgpr_msb 1                        ;  msbs: dst=0 src0=1 src1=0 src2=0
	v_dual_mul_f32 v11, v39 /*v295*/, v183 :: v_dual_fma_f32 v15, v28 /*v284*/, v172, -v15
	s_set_vgpr_msb 0                        ;  msbs: dst=0 src0=0 src1=0 src2=0
	v_add_f32_e32 v9, v9, v13
	s_set_vgpr_msb 1                        ;  msbs: dst=0 src0=1 src1=0 src2=0
	v_dual_mul_f32 v13, v41 /*v297*/, v185 :: v_dual_fma_f32 v17, v30 /*v286*/, v174, -v17
	s_set_vgpr_msb 0                        ;  msbs: dst=0 src0=0 src1=0 src2=0
	v_add_f32_e32 v7, v7, v53
	s_set_vgpr_msb 1                        ;  msbs: dst=0 src0=1 src1=0 src2=0
	v_dual_fmac_f32 v61, v33 /*v289*/, v176 :: v_dual_fmac_f32 v63, v35 /*v291*/, v178
	s_set_vgpr_msb 0                        ;  msbs: dst=0 src0=0 src1=0 src2=0
	v_add_f32_e32 v9, v9, v15
	s_set_vgpr_msb 1                        ;  msbs: dst=0 src0=1 src1=0 src2=0
	v_dual_mul_f32 v67, v38 /*v294*/, v183 :: v_dual_mul_f32 v69, v40 /*v296*/, v185
	s_set_vgpr_msb 0                        ;  msbs: dst=0 src0=0 src1=0 src2=0
	v_add_f32_e32 v7, v7, v55
	s_wait_loadcnt_dscnt 0x803
	s_set_vgpr_msb 1                        ;  msbs: dst=0 src0=1 src1=0 src2=0
	v_dual_mul_f32 v15, v43 /*v299*/, v187 :: v_dual_fma_f32 v19, v32 /*v288*/, v176, -v19
	s_set_vgpr_msb 0                        ;  msbs: dst=0 src0=0 src1=0 src2=0
	v_add_f32_e32 v9, v9, v17
	s_set_vgpr_msb 1                        ;  msbs: dst=0 src0=1 src1=0 src2=0
	v_dual_mul_f32 v17, v45 /*v301*/, v189 :: v_dual_fma_f32 v21, v34 /*v290*/, v178, -v21
	s_set_vgpr_msb 0                        ;  msbs: dst=0 src0=0 src1=0 src2=0
	v_add_f32_e32 v7, v7, v57
	s_set_vgpr_msb 1                        ;  msbs: dst=0 src0=1 src1=0 src2=0
	v_dual_fmac_f32 v65, v37 /*v293*/, v180 :: v_dual_fmac_f32 v67, v39 /*v295*/, v182
	s_set_vgpr_msb 0                        ;  msbs: dst=0 src0=0 src1=0 src2=0
	v_add_f32_e32 v9, v9, v19
	s_set_vgpr_msb 1                        ;  msbs: dst=0 src0=1 src1=0 src2=0
	v_dual_mul_f32 v71, v42 /*v298*/, v187 :: v_dual_mul_f32 v73, v44 /*v300*/, v189
	s_set_vgpr_msb 0                        ;  msbs: dst=0 src0=0 src1=0 src2=0
	v_add_f32_e32 v7, v7, v59
	s_wait_loadcnt_dscnt 0x702
	s_set_vgpr_msb 1                        ;  msbs: dst=0 src0=1 src1=0 src2=0
	v_dual_mul_f32 v19, v47 /*v303*/, v191 :: v_dual_fma_f32 v23, v36 /*v292*/, v180, -v23
	s_set_vgpr_msb 0                        ;  msbs: dst=0 src0=0 src1=0 src2=0
	v_add_f32_e32 v9, v9, v21
	s_set_vgpr_msb 1                        ;  msbs: dst=0 src0=1 src1=0 src2=0
	v_dual_mul_f32 v75, v46 /*v302*/, v191 :: v_dual_mul_f32 v77, v48 /*v304*/, v193
	s_set_vgpr_msb 0                        ;  msbs: dst=0 src0=0 src1=0 src2=0
	v_add_f32_e32 v7, v7, v61
	s_set_vgpr_msb 1                        ;  msbs: dst=0 src0=1 src1=0 src2=0
	v_dual_mul_f32 v21, v49 /*v305*/, v193 :: v_dual_fma_f32 v11, v38 /*v294*/, v182, -v11
	v_dual_fmac_f32 v69, v41 /*v297*/, v184 :: v_dual_fmac_f32 v71, v43 /*v299*/, v186
	s_set_vgpr_msb 0                        ;  msbs: dst=0 src0=0 src1=0 src2=0
	v_add_f32_e32 v9, v9, v23
	s_wait_loadcnt_dscnt 0x601
	s_set_vgpr_msb 1                        ;  msbs: dst=0 src0=1 src1=0 src2=0
	v_dual_mul_f32 v23, v51 /*v307*/, v195 :: v_dual_fma_f32 v13, v40 /*v296*/, v184, -v13
	v_dual_fmac_f32 v73, v45 /*v301*/, v188 :: v_dual_fmac_f32 v75, v47 /*v303*/, v190
	s_set_vgpr_msb 0                        ;  msbs: dst=0 src0=0 src1=0 src2=0
	v_add_f32_e32 v9, v9, v11
	v_add_f32_e32 v7, v7, v63
	s_set_vgpr_msb 1                        ;  msbs: dst=0 src0=1 src1=0 src2=0
	v_dual_mul_f32 v79, v50 /*v306*/, v195 :: v_dual_mul_f32 v81, v52 /*v308*/, v197
	v_dual_mul_f32 v11, v53 /*v309*/, v197 :: v_dual_fma_f32 v15, v42 /*v298*/, v186, -v15
	s_set_vgpr_msb 0                        ;  msbs: dst=0 src0=0 src1=0 src2=0
	v_add_f32_e32 v9, v9, v13
	v_add_f32_e32 v7, v7, v65
	s_wait_loadcnt_dscnt 0x500
	s_set_vgpr_msb 1                        ;  msbs: dst=0 src0=1 src1=0 src2=0
	v_dual_mul_f32 v13, v55 /*v311*/, v199 :: v_dual_fma_f32 v17, v44 /*v300*/, v188, -v17
	v_dual_fmac_f32 v77, v49 /*v305*/, v192 :: v_dual_fmac_f32 v79, v51 /*v307*/, v194
	s_set_vgpr_msb 0                        ;  msbs: dst=0 src0=0 src1=0 src2=0
	v_add_f32_e32 v9, v9, v15
	v_add_f32_e32 v7, v7, v67
	s_set_vgpr_msb 1                        ;  msbs: dst=0 src0=1 src1=0 src2=0
	v_dual_mul_f32 v15, v57 /*v313*/, v201 :: v_dual_fma_f32 v19, v46 /*v302*/, v190, -v19
	s_wait_loadcnt 0x4
	s_set_vgpr_msb 0                        ;  msbs: dst=0 src0=0 src1=0 src2=0
	v_mov_b32_e32 v124, v205
	v_add_f32_e32 v9, v9, v17
	v_add_f32_e32 v7, v7, v69
	s_set_vgpr_msb 1                        ;  msbs: dst=0 src0=1 src1=0 src2=0
	v_fma_f32 v17, v48 /*v304*/, v192, -v21
	v_dual_fmac_f32 v81, v53 /*v309*/, v196 :: v_dual_fma_f32 v11, v52 /*v308*/, v196, -v11
	s_set_vgpr_msb 0                        ;  msbs: dst=0 src0=0 src1=0 src2=0
	v_add_f32_e32 v9, v9, v19
	v_add_f32_e32 v7, v7, v71
	s_set_vgpr_msb 1                        ;  msbs: dst=0 src0=1 src1=0 src2=0
	v_fma_f32 v19, v50 /*v306*/, v194, -v23
	s_set_vgpr_msb 0x41                     ;  msbs: dst=1 src0=1 src1=0 src2=0
	v_dual_mul_f32 v69 /*v325*/, v54 /*v310*/, v199 :: v_dual_mul_f32 v71 /*v327*/, v56 /*v312*/, v201
	s_set_vgpr_msb 0                        ;  msbs: dst=0 src0=0 src1=0 src2=0
	v_add_f32_e32 v9, v9, v17
	v_add_f32_e32 v7, v7, v73
	v_pk_mul_f32 v[122:123], v[234:235], v[202:203] op_sel:[1,1] op_sel_hi:[0,1]
	s_wait_loadcnt 0x3
	v_mov_b32_e32 v128, v209
	s_set_vgpr_msb 0x41                     ;  msbs: dst=1 src0=1 src1=0 src2=0
	v_dual_fmac_f32 v69 /*v325*/, v55 /*v311*/, v198 :: v_dual_fmac_f32 v71 /*v327*/, v57 /*v313*/, v200
	s_set_vgpr_msb 0                        ;  msbs: dst=0 src0=0 src1=0 src2=0
	v_add_f32_e32 v7, v7, v75
	v_add_f32_e32 v9, v9, v19
	s_set_vgpr_msb 0x41                     ;  msbs: dst=1 src0=1 src1=0 src2=0
	v_dual_fma_f32 v68 /*v324*/, v54 /*v310*/, v198, -v13 :: v_dual_fma_f32 v70 /*v326*/, v56 /*v312*/, v200, -v15
	s_set_vgpr_msb 0                        ;  msbs: dst=0 src0=0 src1=0 src2=0
	v_pk_fma_f32 v[132:133], v[234:235], v[202:203], v[122:123] op_sel_hi:[1,0,1]
	v_dual_add_f32 v7, v7, v77 :: v_dual_add_f32 v130, v9, v11
	s_set_vgpr_msb 1                        ;  msbs: dst=0 src0=1 src1=0 src2=0
	v_pk_mul_f32 v[124:125], v[60:61] /*v[316:317]*/, v[124:125] op_sel_hi:[1,0]
	s_set_vgpr_msb 0                        ;  msbs: dst=0 src0=0 src1=0 src2=0
	v_pk_fma_f32 v[122:123], v[234:235], v[202:203], v[122:123] neg_lo:[0,0,1] neg_hi:[0,0,1]
	v_pk_mul_f32 v[126:127], v[238:239], v[206:207] op_sel:[1,1] op_sel_hi:[0,1]
	v_dual_add_f32 v7, v7, v79 :: v_dual_mov_b32 v123, v133
	v_pk_fma_f32 v[132:133], v[236:237], v[204:205], v[124:125] op_sel_hi:[1,0,1]
	v_pk_fma_f32 v[124:125], v[236:237], v[204:205], v[124:125] neg_lo:[0,0,1] neg_hi:[0,0,1]
	s_delay_alu instid0(VALU_DEP_4) | instskip(NEXT) | instid1(VALU_DEP_4)
	v_pk_fma_f32 v[136:137], v[238:239], v[206:207], v[126:127] op_sel_hi:[1,0,1]
	v_add_f32_e32 v131, v7, v81
	s_set_vgpr_msb 1                        ;  msbs: dst=0 src0=1 src1=0 src2=0
	v_pk_mul_f32 v[128:129], v[62:63] /*v[318:319]*/, v[128:129] op_sel_hi:[1,0]
	s_set_vgpr_msb 0                        ;  msbs: dst=0 src0=0 src1=0 src2=0
	v_mov_b32_e32 v125, v133
	s_wait_loadcnt 0x2
	v_pk_mul_f32 v[134:135], v[250:251], v[210:211] op_sel:[1,1] op_sel_hi:[0,1]
	v_pk_fma_f32 v[126:127], v[238:239], v[206:207], v[126:127] neg_lo:[0,0,1] neg_hi:[0,0,1]
	s_set_vgpr_msb 4                        ;  msbs: dst=0 src0=0 src1=1 src2=0
	v_pk_add_f32 v[130:131], v[130:131], v[68:69] /*v[324:325]*/
	v_mov_b32_e32 v127, v137
	s_set_vgpr_msb 0                        ;  msbs: dst=0 src0=0 src1=0 src2=0
	v_pk_fma_f32 v[132:133], v[240:241], v[208:209], v[128:129] op_sel_hi:[1,0,1]
	v_pk_fma_f32 v[128:129], v[240:241], v[208:209], v[128:129] neg_lo:[0,0,1] neg_hi:[0,0,1]
	s_set_vgpr_msb 4                        ;  msbs: dst=0 src0=0 src1=1 src2=0
	v_pk_add_f32 v[130:131], v[130:131], v[70:71] /*v[326:327]*/
	s_set_vgpr_msb 0                        ;  msbs: dst=0 src0=0 src1=0 src2=0
	s_delay_alu instid0(VALU_DEP_1) | instskip(SKIP_1) | instid1(VALU_DEP_2)
	v_pk_add_f32 v[122:123], v[130:131], v[122:123]
	v_mov_b32_e32 v130, v213
	v_pk_add_f32 v[122:123], v[122:123], v[124:125]
	v_pk_fma_f32 v[124:125], v[250:251], v[210:211], v[134:135] op_sel_hi:[1,0,1]
	s_set_vgpr_msb 1                        ;  msbs: dst=0 src0=1 src1=0 src2=0
	s_delay_alu instid0(VALU_DEP_3)
	v_pk_mul_f32 v[130:131], v[64:65] /*v[320:321]*/, v[130:131] op_sel_hi:[1,0]
	s_set_vgpr_msb 0                        ;  msbs: dst=0 src0=0 src1=0 src2=0
	v_mov_b32_e32 v129, v133
	v_pk_fma_f32 v[132:133], v[250:251], v[210:211], v[134:135] neg_lo:[0,0,1] neg_hi:[0,0,1]
	v_pk_add_f32 v[122:123], v[122:123], v[126:127]
	v_mov_b32_e32 v133, v125
	v_pk_fma_f32 v[124:125], v[252:253], v[212:213], v[130:131] op_sel_hi:[1,0,1]
	s_wait_loadcnt 0x1
	v_pk_mul_f32 v[126:127], v[254:255], v[214:215] op_sel:[1,1] op_sel_hi:[0,1]
	v_mov_b32_e32 v124, v217
	v_pk_add_f32 v[122:123], v[122:123], v[128:129]
	v_pk_fma_f32 v[130:131], v[252:253], v[212:213], v[130:131] neg_lo:[0,0,1] neg_hi:[0,0,1]
	v_mov_b32_e32 v131, v125
	v_pk_fma_f32 v[128:129], v[254:255], v[214:215], v[126:127] op_sel_hi:[1,0,1]
	s_set_vgpr_msb 1                        ;  msbs: dst=0 src0=1 src1=0 src2=0
	v_pk_mul_f32 v[124:125], v[66:67] /*v[322:323]*/, v[124:125] op_sel_hi:[1,0]
	s_set_vgpr_msb 0                        ;  msbs: dst=0 src0=0 src1=0 src2=0
	v_pk_add_f32 v[122:123], v[122:123], v[132:133]
	v_pk_fma_f32 v[126:127], v[254:255], v[214:215], v[126:127] neg_lo:[0,0,1] neg_hi:[0,0,1]
	v_mov_b32_e32 v127, v129
	s_set_vgpr_msb 1                        ;  msbs: dst=0 src0=1 src1=0 src2=0
	v_pk_fma_f32 v[128:129], v[0:1] /*v[256:257]*/, v[216:217], v[124:125] op_sel_hi:[1,0,1]
	s_set_vgpr_msb 0                        ;  msbs: dst=0 src0=0 src1=0 src2=0
	v_pk_add_f32 v[122:123], v[122:123], v[130:131]
	s_set_vgpr_msb 1                        ;  msbs: dst=0 src0=1 src1=0 src2=0
	v_pk_fma_f32 v[124:125], v[0:1] /*v[256:257]*/, v[216:217], v[124:125] neg_lo:[0,0,1] neg_hi:[0,0,1]
	s_set_vgpr_msb 0                        ;  msbs: dst=0 src0=0 src1=0 src2=0
	v_mov_b32_e32 v125, v129
	v_pk_add_f32 v[122:123], v[122:123], v[126:127]
	s_delay_alu instid0(VALU_DEP_1) | instskip(SKIP_2) | instid1(VALU_DEP_1)
	v_pk_add_f32 v[122:123], v[122:123], v[124:125]
	s_wait_loadcnt 0x0
	s_set_vgpr_msb 1                        ;  msbs: dst=0 src0=1 src1=0 src2=0
	v_pk_add_f32 v[122:123], v[58:59] /*v[314:315]*/, v[122:123] neg_lo:[0,1] neg_hi:[0,1]
	scratch_store_b64 off, v[122:123], off offset:88
	s_wait_xcnt 0x0
	v_cmpx_lt_u32_e32 10, v0
	s_set_vgpr_msb 0                        ;  msbs: dst=0 src0=0 src1=0 src2=0
	s_cbranch_execz .LBB59_353
; %bb.352:
	scratch_load_b64 v[122:123], off, off offset:80
	v_mov_b64_e32 v[124:125], 0
	scratch_store_b64 off, v[124:125], off offset:80
	s_wait_loadcnt 0x0
	ds_store_b64 v1, v[122:123]
.LBB59_353:
	s_wait_xcnt 0x0
	s_or_b32 exec_lo, exec_lo, s0
	s_wait_storecnt_dscnt 0x0
	s_barrier_signal -1
	s_barrier_wait -1
	s_clause 0x1a
	scratch_load_b128 v[122:125], off, off offset:88
	scratch_load_b128 v[126:129], off, off offset:104
	;; [unrolled: 1-line block ×24, first 2 shown]
	s_set_vgpr_msb 64                       ;  msbs: dst=1 src0=0 src1=0 src2=0
	scratch_load_b64 v[58:59] /*v[314:315]*/, off, off offset:472
	scratch_load_b64 v[60:61] /*v[316:317]*/, off, off offset:80
	s_set_vgpr_msb 0                        ;  msbs: dst=0 src0=0 src1=0 src2=0
	v_mov_b32_e32 v7, 0
	ds_load_2addr_b64 v[218:221], v7 offset0:71 offset1:72
	ds_load_2addr_b64 v[222:225], v7 offset0:73 offset1:74
	;; [unrolled: 1-line block ×10, first 2 shown]
	s_set_vgpr_msb 64                       ;  msbs: dst=1 src0=0 src1=0 src2=0
	ds_load_2addr_b64 v[2:5] /*v[258:261]*/, v7 offset0:85 offset1:86
	ds_load_2addr_b64 v[6:9] /*v[262:265]*/, v7 offset0:117 offset1:118
	;; [unrolled: 1-line block ×14, first 2 shown]
	ds_load_b64 v[62:63] /*v[318:319]*/, v7 offset:952
	s_wait_dscnt 0x14
	v_dual_mov_b32 v64 /*v320*/, v237 :: v_dual_mov_b32 v65 /*v321*/, v236
	s_wait_dscnt 0x11
	v_dual_mov_b32 v66 /*v322*/, v249 :: v_dual_mov_b32 v67 /*v323*/, v248
	;; [unrolled: 2-line block ×3, first 2 shown]
	s_wait_dscnt 0xd
	s_set_vgpr_msb 0x41                     ;  msbs: dst=1 src0=1 src1=0 src2=0
	v_dual_mov_b32 v70 /*v326*/, v9 /*v265*/ :: v_dual_mov_b32 v71 /*v327*/, v8 /*v264*/
	s_mov_b32 s0, exec_lo
	s_wait_loadcnt 0x19
	s_set_vgpr_msb 0                        ;  msbs: dst=0 src0=0 src1=0 src2=0
	v_dual_mul_f32 v9, v218, v123 :: v_dual_mul_f32 v87, v219, v123
	v_dual_mul_f32 v89, v221, v125 :: v_dual_mul_f32 v11, v220, v125
	s_wait_loadcnt 0x18
	v_mul_f32_e32 v13, v222, v127
	s_wait_loadcnt 0x16
	v_dual_mul_f32 v99, v231, v135 :: v_dual_fma_f32 v87, v218, v122, -v87
	v_dual_fmac_f32 v9, v219, v122 :: v_dual_mul_f32 v101, v233, v137
	v_dual_mul_f32 v91, v223, v127 :: v_dual_mul_f32 v93, v225, v129
	v_dual_fmac_f32 v11, v221, v124 :: v_dual_fma_f32 v89, v220, v124, -v89
	s_delay_alu instid0(VALU_DEP_3) | instskip(SKIP_3) | instid1(VALU_DEP_3)
	v_dual_add_f32 v9, 0, v9 :: v_dual_add_f32 v87, 0, v87
	v_dual_mul_f32 v15, v224, v129 :: v_dual_mul_f32 v17, v226, v131
	s_wait_loadcnt 0x15
	v_dual_mul_f32 v103, v239, v139 :: v_dual_fma_f32 v91, v222, v126, -v91
	v_dual_fmac_f32 v13, v223, v126 :: v_dual_add_f32 v9, v9, v11
	s_delay_alu instid0(VALU_DEP_3) | instskip(SKIP_2) | instid1(VALU_DEP_3)
	v_dual_add_f32 v11, v87, v89 :: v_dual_fmac_f32 v15, v225, v128
	v_dual_mul_f32 v95, v227, v131 :: v_dual_mul_f32 v97, v229, v133
	v_dual_mul_f32 v87, v241, v141 :: v_dual_fma_f32 v89, v224, v128, -v93
	v_dual_add_f32 v9, v9, v13 :: v_dual_add_f32 v11, v11, v91
	v_dual_mul_f32 v19, v228, v133 :: v_dual_mul_f32 v21, v230, v135
	s_wait_loadcnt 0x14
	v_dual_mul_f32 v13, v243, v143 :: v_dual_fma_f32 v91, v226, v130, -v95
	s_delay_alu instid0(VALU_DEP_3) | instskip(NEXT) | instid1(VALU_DEP_3)
	v_dual_fmac_f32 v17, v227, v130 :: v_dual_add_f32 v9, v9, v15
	v_dual_add_f32 v11, v11, v89 :: v_dual_fmac_f32 v19, v229, v132
	v_dual_mul_f32 v15, v245, v145 :: v_dual_fma_f32 v89, v228, v132, -v97
	s_delay_alu instid0(VALU_DEP_2) | instskip(SKIP_3) | instid1(VALU_DEP_3)
	v_dual_add_f32 v9, v9, v17 :: v_dual_add_f32 v11, v11, v91
	v_dual_mul_f32 v23, v232, v137 :: v_dual_mul_f32 v25, v238, v139
	s_wait_loadcnt 0x13
	v_dual_mul_f32 v17, v255, v147 :: v_dual_fma_f32 v91, v230, v134, -v99
	v_dual_fmac_f32 v21, v231, v134 :: v_dual_add_f32 v9, v9, v19
	s_delay_alu instid0(VALU_DEP_3) | instskip(SKIP_2) | instid1(VALU_DEP_3)
	v_dual_add_f32 v11, v11, v89 :: v_dual_fmac_f32 v23, v233, v136
	v_fma_f32 v89, v232, v136, -v101
	v_dual_mul_f32 v27, v240, v141 :: v_dual_mul_f32 v29, v242, v143
	v_dual_add_f32 v9, v9, v21 :: v_dual_add_f32 v11, v11, v91
	v_dual_fma_f32 v91, v238, v138, -v103 :: v_dual_fmac_f32 v25, v239, v138
	s_delay_alu instid0(VALU_DEP_3) | instskip(NEXT) | instid1(VALU_DEP_3)
	v_fmac_f32_e32 v27, v241, v140
	v_dual_add_f32 v9, v9, v23 :: v_dual_add_f32 v11, v11, v89
	v_fma_f32 v87, v240, v140, -v87
	v_dual_mul_f32 v31, v244, v145 :: v_dual_mul_f32 v33, v254, v147
	s_delay_alu instid0(VALU_DEP_3) | instskip(SKIP_1) | instid1(VALU_DEP_3)
	v_dual_add_f32 v9, v9, v25 :: v_dual_add_f32 v11, v11, v91
	v_fma_f32 v13, v242, v142, -v13
	v_dual_fmac_f32 v29, v243, v142 :: v_dual_fmac_f32 v31, v245, v144
	s_delay_alu instid0(VALU_DEP_3) | instskip(NEXT) | instid1(VALU_DEP_4)
	v_add_f32_e32 v9, v9, v27
	v_dual_add_f32 v11, v11, v87 :: v_dual_fma_f32 v15, v244, v144, -v15
	s_wait_loadcnt 0x12
	s_set_vgpr_msb 1                        ;  msbs: dst=0 src0=1 src1=0 src2=0
	v_dual_mul_f32 v35, v0 /*v256*/, v149 :: v_dual_mul_f32 v37, v2 /*v258*/, v151
	s_set_vgpr_msb 0                        ;  msbs: dst=0 src0=0 src1=0 src2=0
	v_add_f32_e32 v9, v9, v29
	v_dual_add_f32 v11, v11, v13 :: v_dual_fma_f32 v17, v254, v146, -v17
	s_set_vgpr_msb 1                        ;  msbs: dst=0 src0=1 src1=0 src2=0
	v_dual_mul_f32 v19, v1 /*v257*/, v149 :: v_dual_mul_f32 v21, v3 /*v259*/, v151
	s_set_vgpr_msb 0                        ;  msbs: dst=0 src0=0 src1=0 src2=0
	v_dual_fmac_f32 v33, v255, v146 :: v_dual_add_f32 v9, v9, v31
	v_add_f32_e32 v11, v11, v15
	s_wait_loadcnt_dscnt 0x100b
	s_set_vgpr_msb 1                        ;  msbs: dst=0 src0=1 src1=0 src2=0
	v_dual_mul_f32 v15, v17 /*v273*/, v161 :: v_dual_fma_f32 v19, v0 /*v256*/, v148, -v19
	v_fmac_f32_e32 v35, v1 /*v257*/, v148
	s_set_vgpr_msb 0                        ;  msbs: dst=0 src0=0 src1=0 src2=0
	v_add_f32_e32 v9, v9, v33
	v_add_f32_e32 v11, v11, v17
	s_set_vgpr_msb 1                        ;  msbs: dst=0 src0=1 src1=0 src2=0
	v_dual_mul_f32 v39, v4 /*v260*/, v153 :: v_dual_mul_f32 v41, v10 /*v266*/, v155
	v_dual_mul_f32 v23, v5 /*v261*/, v153 :: v_dual_mul_f32 v25, v11 /*v267*/, v155
	s_wait_loadcnt_dscnt 0xf0a
	v_mul_f32_e32 v17, v19 /*v275*/, v163
	v_fmac_f32_e32 v37, v3 /*v259*/, v150
	v_dual_fma_f32 v21, v2 /*v258*/, v150, -v21 :: v_dual_fmac_f32 v39, v5 /*v261*/, v152
	s_set_vgpr_msb 0                        ;  msbs: dst=0 src0=0 src1=0 src2=0
	v_add_f32_e32 v9, v9, v35
	v_add_f32_e32 v11, v11, v19
	s_set_vgpr_msb 1                        ;  msbs: dst=0 src0=1 src1=0 src2=0
	v_dual_mul_f32 v19, v21 /*v277*/, v165 :: v_dual_fma_f32 v23, v4 /*v260*/, v152, -v23
	v_dual_mul_f32 v43, v12 /*v268*/, v157 :: v_dual_mul_f32 v45, v14 /*v270*/, v159
	s_set_vgpr_msb 0                        ;  msbs: dst=0 src0=0 src1=0 src2=0
	v_add_f32_e32 v9, v9, v37
	v_add_f32_e32 v11, v11, v21
	s_set_vgpr_msb 1                        ;  msbs: dst=0 src0=1 src1=0 src2=0
	v_dual_mul_f32 v27, v13 /*v269*/, v157 :: v_dual_mul_f32 v13, v15 /*v271*/, v159
	s_wait_loadcnt_dscnt 0xe09
	v_mul_f32_e32 v21, v23 /*v279*/, v167
	v_fmac_f32_e32 v41, v11 /*v267*/, v154
	v_dual_fma_f32 v25, v10 /*v266*/, v154, -v25 :: v_dual_fmac_f32 v43, v13 /*v269*/, v156
	s_set_vgpr_msb 0                        ;  msbs: dst=0 src0=0 src1=0 src2=0
	v_add_f32_e32 v9, v9, v39
	v_add_f32_e32 v11, v11, v23
	s_set_vgpr_msb 1                        ;  msbs: dst=0 src0=1 src1=0 src2=0
	v_dual_mul_f32 v23, v25 /*v281*/, v169 :: v_dual_fma_f32 v27, v12 /*v268*/, v156, -v27
	v_dual_mul_f32 v47, v16 /*v272*/, v161 :: v_dual_mul_f32 v49, v18 /*v274*/, v163
	s_set_vgpr_msb 0                        ;  msbs: dst=0 src0=0 src1=0 src2=0
	v_add_f32_e32 v9, v9, v41
	v_add_f32_e32 v11, v11, v25
	s_wait_loadcnt_dscnt 0xd08
	s_set_vgpr_msb 1                        ;  msbs: dst=0 src0=1 src1=0 src2=0
	v_mul_f32_e32 v25, v27 /*v283*/, v171
	v_fmac_f32_e32 v45, v15 /*v271*/, v158
	v_dual_fma_f32 v13, v14 /*v270*/, v158, -v13 :: v_dual_fmac_f32 v47, v17 /*v273*/, v160
	s_set_vgpr_msb 0                        ;  msbs: dst=0 src0=0 src1=0 src2=0
	v_add_f32_e32 v9, v9, v43
	v_add_f32_e32 v11, v11, v27
	s_set_vgpr_msb 1                        ;  msbs: dst=0 src0=1 src1=0 src2=0
	v_dual_mul_f32 v27, v29 /*v285*/, v173 :: v_dual_fma_f32 v15, v16 /*v272*/, v160, -v15
	v_dual_mul_f32 v51, v20 /*v276*/, v165 :: v_dual_mul_f32 v53, v22 /*v278*/, v167
	s_set_vgpr_msb 0                        ;  msbs: dst=0 src0=0 src1=0 src2=0
	v_add_f32_e32 v9, v9, v45
	v_add_f32_e32 v11, v11, v13
	s_wait_loadcnt_dscnt 0xc07
	s_set_vgpr_msb 1                        ;  msbs: dst=0 src0=1 src1=0 src2=0
	v_mul_f32_e32 v13, v31 /*v287*/, v175
	v_fmac_f32_e32 v49, v19 /*v275*/, v162
	v_dual_fma_f32 v17, v18 /*v274*/, v162, -v17 :: v_dual_fmac_f32 v51, v21 /*v277*/, v164
	s_set_vgpr_msb 0                        ;  msbs: dst=0 src0=0 src1=0 src2=0
	v_add_f32_e32 v9, v9, v47
	v_add_f32_e32 v11, v11, v15
	s_set_vgpr_msb 1                        ;  msbs: dst=0 src0=1 src1=0 src2=0
	v_dual_mul_f32 v15, v33 /*v289*/, v177 :: v_dual_fma_f32 v19, v20 /*v276*/, v164, -v19
	v_dual_mul_f32 v55, v24 /*v280*/, v169 :: v_dual_mul_f32 v57, v26 /*v282*/, v171
	s_set_vgpr_msb 0                        ;  msbs: dst=0 src0=0 src1=0 src2=0
	v_add_f32_e32 v9, v9, v49
	v_add_f32_e32 v11, v11, v17
	s_wait_loadcnt_dscnt 0xb06
	s_set_vgpr_msb 1                        ;  msbs: dst=0 src0=1 src1=0 src2=0
	v_mul_f32_e32 v17, v35 /*v291*/, v179
	v_fmac_f32_e32 v53, v23 /*v279*/, v166
	v_dual_fma_f32 v21, v22 /*v278*/, v166, -v21 :: v_dual_fmac_f32 v55, v25 /*v281*/, v168
	s_set_vgpr_msb 0                        ;  msbs: dst=0 src0=0 src1=0 src2=0
	v_add_f32_e32 v9, v9, v51
	v_add_f32_e32 v11, v11, v19
	s_set_vgpr_msb 1                        ;  msbs: dst=0 src0=1 src1=0 src2=0
	v_dual_mul_f32 v19, v37 /*v293*/, v181 :: v_dual_fma_f32 v23, v24 /*v280*/, v168, -v23
	v_dual_mul_f32 v59, v28 /*v284*/, v173 :: v_dual_mul_f32 v61, v30 /*v286*/, v175
	s_set_vgpr_msb 0                        ;  msbs: dst=0 src0=0 src1=0 src2=0
	v_add_f32_e32 v9, v9, v53
	v_add_f32_e32 v11, v11, v21
	s_wait_loadcnt_dscnt 0xa05
	s_set_vgpr_msb 1                        ;  msbs: dst=0 src0=1 src1=0 src2=0
	v_mul_f32_e32 v21, v39 /*v295*/, v183
	v_fmac_f32_e32 v57, v27 /*v283*/, v170
	v_dual_fma_f32 v25, v26 /*v282*/, v170, -v25 :: v_dual_fmac_f32 v59, v29 /*v285*/, v172
	s_set_vgpr_msb 0                        ;  msbs: dst=0 src0=0 src1=0 src2=0
	v_add_f32_e32 v9, v9, v55
	v_add_f32_e32 v11, v11, v23
	s_set_vgpr_msb 1                        ;  msbs: dst=0 src0=1 src1=0 src2=0
	v_dual_mul_f32 v23, v41 /*v297*/, v185 :: v_dual_fma_f32 v27, v28 /*v284*/, v172, -v27
	v_dual_mul_f32 v63, v32 /*v288*/, v177 :: v_dual_mul_f32 v65, v34 /*v290*/, v179
	s_set_vgpr_msb 0                        ;  msbs: dst=0 src0=0 src1=0 src2=0
	v_add_f32_e32 v9, v9, v57
	v_add_f32_e32 v11, v11, v25
	s_wait_loadcnt_dscnt 0x904
	s_set_vgpr_msb 1                        ;  msbs: dst=0 src0=1 src1=0 src2=0
	v_mul_f32_e32 v25, v43 /*v299*/, v187
	v_fmac_f32_e32 v61, v31 /*v287*/, v174
	v_dual_fma_f32 v13, v30 /*v286*/, v174, -v13 :: v_dual_fmac_f32 v63, v33 /*v289*/, v176
	s_set_vgpr_msb 0                        ;  msbs: dst=0 src0=0 src1=0 src2=0
	v_add_f32_e32 v9, v9, v59
	v_add_f32_e32 v11, v11, v27
	s_set_vgpr_msb 1                        ;  msbs: dst=0 src0=1 src1=0 src2=0
	v_dual_mul_f32 v27, v45 /*v301*/, v189 :: v_dual_fma_f32 v15, v32 /*v288*/, v176, -v15
	v_dual_mul_f32 v67, v36 /*v292*/, v181 :: v_dual_mul_f32 v69, v38 /*v294*/, v183
	s_set_vgpr_msb 0                        ;  msbs: dst=0 src0=0 src1=0 src2=0
	v_add_f32_e32 v9, v9, v61
	v_add_f32_e32 v11, v11, v13
	s_wait_loadcnt_dscnt 0x803
	s_set_vgpr_msb 1                        ;  msbs: dst=0 src0=1 src1=0 src2=0
	v_mul_f32_e32 v13, v47 /*v303*/, v191
	v_fmac_f32_e32 v65, v35 /*v291*/, v178
	v_dual_fma_f32 v17, v34 /*v290*/, v178, -v17 :: v_dual_fmac_f32 v67, v37 /*v293*/, v180
	s_set_vgpr_msb 0                        ;  msbs: dst=0 src0=0 src1=0 src2=0
	v_add_f32_e32 v9, v9, v63
	v_add_f32_e32 v11, v11, v15
	s_set_vgpr_msb 1                        ;  msbs: dst=0 src0=1 src1=0 src2=0
	v_dual_mul_f32 v15, v49 /*v305*/, v193 :: v_dual_fma_f32 v19, v36 /*v292*/, v180, -v19
	v_dual_mul_f32 v71, v40 /*v296*/, v185 :: v_dual_mul_f32 v73, v42 /*v298*/, v187
	s_set_vgpr_msb 0                        ;  msbs: dst=0 src0=0 src1=0 src2=0
	v_add_f32_e32 v9, v9, v65
	v_add_f32_e32 v11, v11, v17
	s_wait_loadcnt_dscnt 0x702
	s_set_vgpr_msb 1                        ;  msbs: dst=0 src0=1 src1=0 src2=0
	v_mul_f32_e32 v17, v51 /*v307*/, v195
	v_fmac_f32_e32 v69, v39 /*v295*/, v182
	v_dual_fma_f32 v21, v38 /*v294*/, v182, -v21 :: v_dual_fmac_f32 v71, v41 /*v297*/, v184
	s_set_vgpr_msb 0                        ;  msbs: dst=0 src0=0 src1=0 src2=0
	v_add_f32_e32 v9, v9, v67
	v_add_f32_e32 v11, v11, v19
	s_set_vgpr_msb 1                        ;  msbs: dst=0 src0=1 src1=0 src2=0
	v_dual_mul_f32 v19, v53 /*v309*/, v197 :: v_dual_fma_f32 v23, v40 /*v296*/, v184, -v23
	v_dual_mul_f32 v75, v44 /*v300*/, v189 :: v_dual_mul_f32 v77, v46 /*v302*/, v191
	s_set_vgpr_msb 0                        ;  msbs: dst=0 src0=0 src1=0 src2=0
	v_add_f32_e32 v9, v9, v69
	v_add_f32_e32 v11, v11, v21
	s_wait_loadcnt_dscnt 0x601
	s_set_vgpr_msb 1                        ;  msbs: dst=0 src0=1 src1=0 src2=0
	v_mul_f32_e32 v21, v55 /*v311*/, v199
	v_fmac_f32_e32 v73, v43 /*v299*/, v186
	v_dual_fma_f32 v25, v42 /*v298*/, v186, -v25 :: v_dual_fmac_f32 v75, v45 /*v301*/, v188
	s_set_vgpr_msb 0                        ;  msbs: dst=0 src0=0 src1=0 src2=0
	v_add_f32_e32 v9, v9, v71
	v_add_f32_e32 v11, v11, v23
	s_set_vgpr_msb 1                        ;  msbs: dst=0 src0=1 src1=0 src2=0
	v_dual_mul_f32 v23, v57 /*v313*/, v201 :: v_dual_fma_f32 v27, v44 /*v300*/, v188, -v27
	v_fmac_f32_e32 v77, v47 /*v303*/, v190
	s_set_vgpr_msb 0                        ;  msbs: dst=0 src0=0 src1=0 src2=0
	v_add_f32_e32 v9, v9, v73
	v_add_f32_e32 v11, v11, v25
	s_set_vgpr_msb 1                        ;  msbs: dst=0 src0=1 src1=0 src2=0
	v_dual_mul_f32 v79, v48 /*v304*/, v193 :: v_dual_mul_f32 v81, v50 /*v306*/, v195
	v_fma_f32 v13, v46 /*v302*/, v190, -v13
	s_set_vgpr_msb 0                        ;  msbs: dst=0 src0=0 src1=0 src2=0
	v_add_f32_e32 v9, v9, v75
	v_add_f32_e32 v11, v11, v27
	s_set_vgpr_msb 1                        ;  msbs: dst=0 src0=1 src1=0 src2=0
	v_fmac_f32_e32 v79, v49 /*v305*/, v192
	v_dual_fma_f32 v15, v48 /*v304*/, v192, -v15 :: v_dual_fmac_f32 v81, v51 /*v307*/, v194
	s_set_vgpr_msb 0                        ;  msbs: dst=0 src0=0 src1=0 src2=0
	v_add_f32_e32 v9, v9, v77
	v_add_f32_e32 v11, v11, v13
	s_set_vgpr_msb 1                        ;  msbs: dst=0 src0=1 src1=0 src2=0
	v_dual_mul_f32 v83, v52 /*v308*/, v197 :: v_dual_mul_f32 v85, v54 /*v310*/, v199
	v_fma_f32 v13, v50 /*v306*/, v194, -v17
	s_set_vgpr_msb 0                        ;  msbs: dst=0 src0=0 src1=0 src2=0
	v_add_f32_e32 v9, v9, v79
	s_wait_loadcnt 0x4
	v_dual_add_f32 v11, v11, v15 :: v_dual_mov_b32 v126, v209
	v_dual_mul_f32 v25, v235, v203 :: v_dual_mov_b32 v122, v205
	s_set_vgpr_msb 1                        ;  msbs: dst=0 src0=1 src1=0 src2=0
	v_fmac_f32_e32 v83, v53 /*v309*/, v196
	v_dual_fma_f32 v15, v52 /*v308*/, v196, -v19 :: v_dual_fmac_f32 v85, v55 /*v311*/, v198
	s_set_vgpr_msb 0                        ;  msbs: dst=0 src0=0 src1=0 src2=0
	v_add_f32_e32 v11, v11, v13
	v_add_f32_e32 v9, v9, v81
	s_set_vgpr_msb 0x41                     ;  msbs: dst=1 src0=1 src1=0 src2=0
	v_dual_mul_f32 v73 /*v329*/, v56 /*v312*/, v201 :: v_dual_fma_f32 v72 /*v328*/, v56 /*v312*/, v200, -v23
	s_set_vgpr_msb 1                        ;  msbs: dst=0 src0=1 src1=0 src2=0
	v_fma_f32 v13, v54 /*v310*/, v198, -v21
	s_set_vgpr_msb 0                        ;  msbs: dst=0 src0=0 src1=0 src2=0
	v_add_f32_e32 v11, v11, v15
	v_add_f32_e32 v9, v9, v83
	s_set_vgpr_msb 1                        ;  msbs: dst=0 src0=1 src1=0 src2=0
	v_pk_mul_f32 v[122:123], v[64:65] /*v[320:321]*/, v[122:123] op_sel_hi:[1,0]
	s_set_vgpr_msb 64                       ;  msbs: dst=1 src0=0 src1=0 src2=0
	v_dual_mul_f32 v75 /*v331*/, v234, v203 :: v_dual_fma_f32 v74 /*v330*/, v234, v202, -v25
	s_set_vgpr_msb 0x41                     ;  msbs: dst=1 src0=1 src1=0 src2=0
	v_fmac_f32_e32 v73 /*v329*/, v57 /*v313*/, v200
	s_wait_loadcnt 0x3
	s_set_vgpr_msb 0                        ;  msbs: dst=0 src0=0 src1=0 src2=0
	v_dual_add_f32 v130, v11, v13 :: v_dual_mov_b32 v132, v213
	v_pk_fma_f32 v[134:135], v[236:237], v[204:205], v[122:123] op_sel_hi:[1,0,1]
	v_add_f32_e32 v131, v9, v85
	v_pk_fma_f32 v[122:123], v[236:237], v[204:205], v[122:123] neg_lo:[0,0,1] neg_hi:[0,0,1]
	v_pk_mul_f32 v[124:125], v[246:247], v[206:207] op_sel:[1,1] op_sel_hi:[0,1]
	s_set_vgpr_msb 64                       ;  msbs: dst=1 src0=0 src1=0 src2=0
	v_fmac_f32_e32 v75 /*v331*/, v235, v202
	s_set_vgpr_msb 4                        ;  msbs: dst=0 src0=0 src1=1 src2=0
	v_mov_b32_e32 v123, v135
	v_pk_add_f32 v[130:131], v[130:131], v[72:73] /*v[328:329]*/
	s_set_vgpr_msb 1                        ;  msbs: dst=0 src0=1 src1=0 src2=0
	v_pk_mul_f32 v[126:127], v[66:67] /*v[322:323]*/, v[126:127] op_sel_hi:[1,0]
	s_set_vgpr_msb 0                        ;  msbs: dst=0 src0=0 src1=0 src2=0
	v_pk_fma_f32 v[136:137], v[246:247], v[206:207], v[124:125] op_sel_hi:[1,0,1]
	v_pk_fma_f32 v[124:125], v[246:247], v[206:207], v[124:125] neg_lo:[0,0,1] neg_hi:[0,0,1]
	v_pk_mul_f32 v[128:129], v[250:251], v[210:211] op_sel:[1,1] op_sel_hi:[0,1]
	s_set_vgpr_msb 4                        ;  msbs: dst=0 src0=0 src1=1 src2=0
	v_pk_add_f32 v[130:131], v[130:131], v[74:75] /*v[330:331]*/
	s_set_vgpr_msb 1                        ;  msbs: dst=0 src0=1 src1=0 src2=0
	v_pk_mul_f32 v[132:133], v[68:69] /*v[324:325]*/, v[132:133] op_sel_hi:[1,0]
	s_set_vgpr_msb 0                        ;  msbs: dst=0 src0=0 src1=0 src2=0
	v_mov_b32_e32 v125, v137
	v_pk_fma_f32 v[136:137], v[248:249], v[208:209], v[126:127] op_sel_hi:[1,0,1]
	v_pk_fma_f32 v[126:127], v[248:249], v[208:209], v[126:127] neg_lo:[0,0,1] neg_hi:[0,0,1]
	v_pk_add_f32 v[122:123], v[130:131], v[122:123]
	v_pk_fma_f32 v[130:131], v[250:251], v[210:211], v[128:129] op_sel_hi:[1,0,1]
	v_pk_fma_f32 v[128:129], v[250:251], v[210:211], v[128:129] neg_lo:[0,0,1] neg_hi:[0,0,1]
	v_mov_b32_e32 v127, v137
	s_wait_loadcnt 0x2
	s_set_vgpr_msb 1                        ;  msbs: dst=0 src0=1 src1=0 src2=0
	v_pk_mul_f32 v[134:135], v[6:7] /*v[262:263]*/, v[214:215] op_sel:[1,1] op_sel_hi:[0,1]
	s_set_vgpr_msb 0                        ;  msbs: dst=0 src0=0 src1=0 src2=0
	v_pk_add_f32 v[122:123], v[122:123], v[124:125]
	v_dual_mov_b32 v124, v217 :: v_dual_mov_b32 v129, v131
	v_pk_fma_f32 v[130:131], v[252:253], v[212:213], v[132:133] op_sel_hi:[1,0,1]
	v_pk_fma_f32 v[132:133], v[252:253], v[212:213], v[132:133] neg_lo:[0,0,1] neg_hi:[0,0,1]
	s_delay_alu instid0(VALU_DEP_4)
	v_pk_add_f32 v[122:123], v[122:123], v[126:127]
	s_set_vgpr_msb 1                        ;  msbs: dst=0 src0=1 src1=0 src2=0
	v_pk_fma_f32 v[126:127], v[6:7] /*v[262:263]*/, v[214:215], v[134:135] op_sel_hi:[1,0,1]
	v_pk_mul_f32 v[124:125], v[70:71] /*v[326:327]*/, v[124:125] op_sel_hi:[1,0]
	s_set_vgpr_msb 0                        ;  msbs: dst=0 src0=0 src1=0 src2=0
	v_mov_b32_e32 v133, v131
	s_wait_loadcnt_dscnt 0x100
	s_set_vgpr_msb 5                        ;  msbs: dst=0 src0=1 src1=1 src2=0
	v_pk_mul_f32 v[130:131], v[62:63] /*v[318:319]*/, v[58:59] /*v[314:315]*/ op_sel:[1,1] op_sel_hi:[0,1]
	s_set_vgpr_msb 0                        ;  msbs: dst=0 src0=0 src1=0 src2=0
	v_pk_add_f32 v[122:123], v[122:123], v[128:129]
	s_set_vgpr_msb 1                        ;  msbs: dst=0 src0=1 src1=0 src2=0
	v_pk_fma_f32 v[128:129], v[6:7] /*v[262:263]*/, v[214:215], v[134:135] neg_lo:[0,0,1] neg_hi:[0,0,1]
	s_set_vgpr_msb 0                        ;  msbs: dst=0 src0=0 src1=0 src2=0
	v_mov_b32_e32 v129, v127
	s_set_vgpr_msb 1                        ;  msbs: dst=0 src0=1 src1=0 src2=0
	v_pk_fma_f32 v[126:127], v[8:9] /*v[264:265]*/, v[216:217], v[124:125] op_sel_hi:[1,0,1]
	v_pk_fma_f32 v[124:125], v[8:9] /*v[264:265]*/, v[216:217], v[124:125] neg_lo:[0,0,1] neg_hi:[0,0,1]
	s_set_vgpr_msb 0                        ;  msbs: dst=0 src0=0 src1=0 src2=0
	v_pk_add_f32 v[122:123], v[122:123], v[132:133]
	s_delay_alu instid0(VALU_DEP_3)
	v_mov_b32_e32 v125, v127
	s_set_vgpr_msb 5                        ;  msbs: dst=0 src0=1 src1=1 src2=0
	v_pk_fma_f32 v[126:127], v[62:63] /*v[318:319]*/, v[58:59] /*v[314:315]*/, v[130:131] op_sel_hi:[1,0,1]
	s_set_vgpr_msb 0                        ;  msbs: dst=0 src0=0 src1=0 src2=0
	v_pk_add_f32 v[122:123], v[122:123], v[128:129]
	s_set_vgpr_msb 5                        ;  msbs: dst=0 src0=1 src1=1 src2=0
	v_pk_fma_f32 v[128:129], v[62:63] /*v[318:319]*/, v[58:59] /*v[314:315]*/, v[130:131] neg_lo:[0,0,1] neg_hi:[0,0,1]
	s_set_vgpr_msb 0                        ;  msbs: dst=0 src0=0 src1=0 src2=0
	v_mov_b32_e32 v129, v127
	v_pk_add_f32 v[122:123], v[122:123], v[124:125]
	s_delay_alu instid0(VALU_DEP_1) | instskip(SKIP_2) | instid1(VALU_DEP_1)
	v_pk_add_f32 v[122:123], v[122:123], v[128:129]
	s_wait_loadcnt 0x0
	s_set_vgpr_msb 1                        ;  msbs: dst=0 src0=1 src1=0 src2=0
	v_pk_add_f32 v[122:123], v[60:61] /*v[316:317]*/, v[122:123] neg_lo:[0,1] neg_hi:[0,1]
	scratch_store_b64 off, v[122:123], off offset:80
	s_wait_xcnt 0x0
	v_cmpx_lt_u32_e32 9, v0
	s_set_vgpr_msb 0                        ;  msbs: dst=0 src0=0 src1=0 src2=0
	s_cbranch_execz .LBB59_355
; %bb.354:
	scratch_load_b64 v[122:123], off, off offset:72
	v_mov_b64_e32 v[124:125], 0
	scratch_store_b64 off, v[124:125], off offset:72
	s_wait_loadcnt 0x0
	ds_store_b64 v1, v[122:123]
.LBB59_355:
	s_wait_xcnt 0x0
	s_or_b32 exec_lo, exec_lo, s0
	s_wait_storecnt_dscnt 0x0
	s_barrier_signal -1
	s_barrier_wait -1
	s_clause 0x18
	scratch_load_b128 v[122:125], off, off offset:80
	scratch_load_b128 v[126:129], off, off offset:96
	;; [unrolled: 1-line block ×25, first 2 shown]
	ds_load_b128 v[222:225], v7 offset:560
	ds_load_b128 v[226:229], v7 offset:576
	;; [unrolled: 1-line block ×9, first 2 shown]
	s_set_vgpr_msb 64                       ;  msbs: dst=1 src0=0 src1=0 src2=0
	ds_load_b128 v[2:5] /*v[258:261]*/, v7 offset:928
	ds_load_b128 v[6:9] /*v[262:265]*/, v7 offset:656
	;; [unrolled: 1-line block ×10, first 2 shown]
	scratch_load_b64 v[66:67] /*v[322:323]*/, off, off offset:72
	ds_load_b128 v[42:45] /*v[298:301]*/, v7 offset:784
	ds_load_b128 v[46:49] /*v[302:305]*/, v7 offset:800
	;; [unrolled: 1-line block ×6, first 2 shown]
	s_mov_b32 s0, exec_lo
	s_wait_dscnt 0x13
	v_dual_mov_b32 v68 /*v324*/, v245 :: v_dual_mov_b32 v69 /*v325*/, v244
	s_wait_dscnt 0x10
	s_set_vgpr_msb 0x41                     ;  msbs: dst=1 src0=1 src1=0 src2=0
	v_dual_mov_b32 v70 /*v326*/, v1 /*v257*/ :: v_dual_mov_b32 v71 /*v327*/, v0 /*v256*/
	s_wait_dscnt 0xf
	v_dual_mov_b32 v72 /*v328*/, v5 /*v261*/ :: v_dual_mov_b32 v73 /*v329*/, v4 /*v260*/
	s_wait_dscnt 0xc
	v_dual_mov_b32 v74 /*v330*/, v17 /*v273*/ :: v_dual_mov_b32 v75 /*v331*/, v16 /*v272*/
	s_wait_loadcnt 0x19
	s_set_vgpr_msb 0                        ;  msbs: dst=0 src0=0 src1=0 src2=0
	v_dual_mul_f32 v7, v222, v123 :: v_dual_mul_f32 v9, v224, v125
	v_dual_mul_f32 v87, v223, v123 :: v_dual_mul_f32 v89, v225, v125
	s_wait_loadcnt 0x18
	v_dual_mul_f32 v11, v226, v127 :: v_dual_mul_f32 v13, v228, v129
	s_delay_alu instid0(VALU_DEP_3) | instskip(SKIP_3) | instid1(VALU_DEP_3)
	v_dual_fmac_f32 v7, v223, v122 :: v_dual_fmac_f32 v9, v225, v124
	s_wait_loadcnt 0x16
	v_dual_fma_f32 v87, v222, v122, -v87 :: v_dual_mul_f32 v99, v235, v135
	v_dual_mul_f32 v91, v227, v127 :: v_dual_mul_f32 v93, v229, v129
	v_dual_fma_f32 v89, v224, v124, -v89 :: v_dual_add_f32 v7, 0, v7
	s_delay_alu instid0(VALU_DEP_3) | instskip(SKIP_1) | instid1(VALU_DEP_3)
	v_dual_add_f32 v87, 0, v87 :: v_dual_mul_f32 v101, v237, v137
	v_dual_fmac_f32 v11, v227, v126 :: v_dual_fmac_f32 v13, v229, v128
	v_dual_fma_f32 v91, v226, v126, -v91 :: v_dual_add_f32 v7, v7, v9
	s_delay_alu instid0(VALU_DEP_3) | instskip(SKIP_2) | instid1(VALU_DEP_4)
	v_dual_add_f32 v9, v87, v89 :: v_dual_fma_f32 v89, v228, v128, -v93
	v_dual_mul_f32 v15, v230, v131 :: v_dual_mul_f32 v17, v232, v133
	v_dual_mul_f32 v95, v231, v131 :: v_dual_mul_f32 v97, v233, v133
	v_add_f32_e32 v7, v7, v11
	s_delay_alu instid0(VALU_DEP_3) | instskip(NEXT) | instid1(VALU_DEP_3)
	v_dual_add_f32 v9, v9, v91 :: v_dual_fmac_f32 v15, v231, v130
	v_fma_f32 v91, v230, v130, -v95
	v_dual_mul_f32 v19, v234, v135 :: v_dual_mul_f32 v21, v236, v137
	s_delay_alu instid0(VALU_DEP_4) | instskip(SKIP_2) | instid1(VALU_DEP_2)
	v_dual_add_f32 v7, v7, v13 :: v_dual_fmac_f32 v17, v233, v132
	s_wait_loadcnt 0x14
	v_dual_add_f32 v9, v9, v89 :: v_dual_mul_f32 v13, v251, v143
	v_dual_fma_f32 v89, v232, v132, -v97 :: v_dual_add_f32 v7, v7, v15
	v_mul_f32_e32 v15, v253, v145
	s_delay_alu instid0(VALU_DEP_3) | instskip(NEXT) | instid1(VALU_DEP_3)
	v_dual_add_f32 v9, v9, v91 :: v_dual_fmac_f32 v19, v235, v134
	v_dual_fma_f32 v91, v234, v134, -v99 :: v_dual_add_f32 v7, v7, v17
	v_fmac_f32_e32 v21, v237, v136
	s_delay_alu instid0(VALU_DEP_3) | instskip(SKIP_3) | instid1(VALU_DEP_3)
	v_dual_add_f32 v9, v9, v89 :: v_dual_fma_f32 v89, v236, v136, -v101
	v_dual_mul_f32 v23, v246, v139 :: v_dual_mul_f32 v25, v248, v141
	v_dual_mul_f32 v87, v247, v139 :: v_dual_mul_f32 v11, v249, v141
	v_add_f32_e32 v7, v7, v19
	v_dual_add_f32 v9, v9, v91 :: v_dual_fmac_f32 v23, v247, v138
	s_delay_alu instid0(VALU_DEP_3) | instskip(SKIP_1) | instid1(VALU_DEP_4)
	v_fma_f32 v87, v246, v138, -v87
	v_dual_mul_f32 v27, v250, v143 :: v_dual_mul_f32 v29, v252, v145
	v_dual_add_f32 v7, v7, v21 :: v_dual_fmac_f32 v25, v249, v140
	s_delay_alu instid0(VALU_DEP_4) | instskip(NEXT) | instid1(VALU_DEP_3)
	v_dual_add_f32 v9, v9, v89 :: v_dual_fma_f32 v11, v248, v140, -v11
	v_fmac_f32_e32 v27, v251, v142
	s_delay_alu instid0(VALU_DEP_3) | instskip(NEXT) | instid1(VALU_DEP_3)
	v_dual_add_f32 v7, v7, v23 :: v_dual_fma_f32 v13, v250, v142, -v13
	v_add_f32_e32 v9, v9, v87
	s_wait_loadcnt 0x13
	s_set_vgpr_msb 1                        ;  msbs: dst=0 src0=1 src1=0 src2=0
	v_dual_mul_f32 v31, v6 /*v262*/, v147 :: v_dual_mul_f32 v33, v8 /*v264*/, v149
	s_set_vgpr_msb 0                        ;  msbs: dst=0 src0=0 src1=0 src2=0
	v_add_f32_e32 v7, v7, v25
	s_set_vgpr_msb 1                        ;  msbs: dst=0 src0=1 src1=0 src2=0
	v_dual_mul_f32 v17, v7 /*v263*/, v147 :: v_dual_mul_f32 v19, v9 /*v265*/, v149
	s_set_vgpr_msb 0                        ;  msbs: dst=0 src0=0 src1=0 src2=0
	v_add_f32_e32 v9, v9, v11
	v_dual_fmac_f32 v29, v253, v144 :: v_dual_fma_f32 v15, v252, v144, -v15
	v_add_f32_e32 v7, v7, v27
	s_set_vgpr_msb 1                        ;  msbs: dst=0 src0=1 src1=0 src2=0
	v_dual_fmac_f32 v31, v7 /*v263*/, v146 :: v_dual_fma_f32 v17, v6 /*v262*/, v146, -v17
	s_set_vgpr_msb 0                        ;  msbs: dst=0 src0=0 src1=0 src2=0
	v_add_f32_e32 v9, v9, v13
	s_wait_loadcnt 0x12
	s_set_vgpr_msb 1                        ;  msbs: dst=0 src0=1 src1=0 src2=0
	v_dual_mul_f32 v35, v10 /*v266*/, v151 :: v_dual_mul_f32 v37, v12 /*v268*/, v153
	s_set_vgpr_msb 0                        ;  msbs: dst=0 src0=0 src1=0 src2=0
	v_add_f32_e32 v7, v7, v29
	s_set_vgpr_msb 1                        ;  msbs: dst=0 src0=1 src1=0 src2=0
	v_dual_mul_f32 v21, v11 /*v267*/, v151 :: v_dual_mul_f32 v23, v13 /*v269*/, v153
	s_set_vgpr_msb 0                        ;  msbs: dst=0 src0=0 src1=0 src2=0
	v_add_f32_e32 v9, v9, v15
	s_wait_loadcnt_dscnt 0x100a
	s_set_vgpr_msb 1                        ;  msbs: dst=0 src0=1 src1=0 src2=0
	v_dual_mul_f32 v15, v23 /*v279*/, v159 :: v_dual_fmac_f32 v33, v9 /*v265*/, v148
	v_fma_f32 v19, v8 /*v264*/, v148, -v19
	s_set_vgpr_msb 0                        ;  msbs: dst=0 src0=0 src1=0 src2=0
	v_dual_add_f32 v7, v7, v31 :: v_dual_add_f32 v9, v9, v17
	s_set_vgpr_msb 1                        ;  msbs: dst=0 src0=1 src1=0 src2=0
	v_dual_mul_f32 v17, v25 /*v281*/, v161 :: v_dual_fmac_f32 v35, v11 /*v267*/, v150
	v_fma_f32 v21, v10 /*v266*/, v150, -v21
	s_set_vgpr_msb 0                        ;  msbs: dst=0 src0=0 src1=0 src2=0
	v_dual_add_f32 v7, v7, v33 :: v_dual_add_f32 v9, v9, v19
	s_set_vgpr_msb 1                        ;  msbs: dst=0 src0=1 src1=0 src2=0
	v_dual_mul_f32 v11, v19 /*v275*/, v155 :: v_dual_mul_f32 v13, v21 /*v277*/, v157
	s_wait_loadcnt_dscnt 0xf09
	v_dual_mul_f32 v19, v27 /*v283*/, v163 :: v_dual_fmac_f32 v37, v13 /*v269*/, v152
	v_fma_f32 v23, v12 /*v268*/, v152, -v23
	s_set_vgpr_msb 0                        ;  msbs: dst=0 src0=0 src1=0 src2=0
	v_dual_add_f32 v7, v7, v35 :: v_dual_add_f32 v9, v9, v21
	s_set_vgpr_msb 1                        ;  msbs: dst=0 src0=1 src1=0 src2=0
	v_dual_mul_f32 v39, v18 /*v274*/, v155 :: v_dual_mul_f32 v41, v20 /*v276*/, v157
	v_dual_mul_f32 v21, v29 /*v285*/, v165 :: v_dual_fma_f32 v11, v18 /*v274*/, v154, -v11
	s_set_vgpr_msb 0                        ;  msbs: dst=0 src0=0 src1=0 src2=0
	v_dual_add_f32 v7, v7, v37 :: v_dual_add_f32 v9, v9, v23
	s_set_vgpr_msb 1                        ;  msbs: dst=0 src0=1 src1=0 src2=0
	v_dual_fmac_f32 v39, v19 /*v275*/, v154 :: v_dual_fmac_f32 v41, v21 /*v277*/, v156
	s_wait_loadcnt_dscnt 0xe08
	v_dual_mul_f32 v23, v31 /*v287*/, v167 :: v_dual_fma_f32 v13, v20 /*v276*/, v156, -v13
	s_set_vgpr_msb 0                        ;  msbs: dst=0 src0=0 src1=0 src2=0
	v_add_f32_e32 v9, v9, v11
	s_set_vgpr_msb 1                        ;  msbs: dst=0 src0=1 src1=0 src2=0
	v_dual_mul_f32 v43, v22 /*v278*/, v159 :: v_dual_mul_f32 v45, v24 /*v280*/, v161
	v_mul_f32_e32 v11, v33 /*v289*/, v169
	s_set_vgpr_msb 0                        ;  msbs: dst=0 src0=0 src1=0 src2=0
	v_dual_add_f32 v7, v7, v39 :: v_dual_add_f32 v9, v9, v13
	s_wait_loadcnt_dscnt 0xd07
	s_set_vgpr_msb 1                        ;  msbs: dst=0 src0=1 src1=0 src2=0
	v_dual_fma_f32 v15, v22 /*v278*/, v158, -v15 :: v_dual_mul_f32 v13, v35 /*v291*/, v171
	v_dual_fmac_f32 v43, v23 /*v279*/, v158 :: v_dual_fmac_f32 v45, v25 /*v281*/, v160
	s_set_vgpr_msb 0                        ;  msbs: dst=0 src0=0 src1=0 src2=0
	v_add_f32_e32 v7, v7, v41
	s_set_vgpr_msb 1                        ;  msbs: dst=0 src0=1 src1=0 src2=0
	v_fma_f32 v17, v24 /*v280*/, v160, -v17
	s_set_vgpr_msb 0                        ;  msbs: dst=0 src0=0 src1=0 src2=0
	v_add_f32_e32 v9, v9, v15
	s_set_vgpr_msb 1                        ;  msbs: dst=0 src0=1 src1=0 src2=0
	v_dual_mul_f32 v47, v26 /*v282*/, v163 :: v_dual_mul_f32 v49, v28 /*v284*/, v165
	v_mul_f32_e32 v15, v37 /*v293*/, v173
	s_set_vgpr_msb 0                        ;  msbs: dst=0 src0=0 src1=0 src2=0
	v_dual_add_f32 v7, v7, v43 :: v_dual_add_f32 v9, v9, v17
	s_wait_loadcnt_dscnt 0xc06
	s_set_vgpr_msb 1                        ;  msbs: dst=0 src0=1 src1=0 src2=0
	v_dual_fma_f32 v19, v26 /*v282*/, v162, -v19 :: v_dual_mul_f32 v17, v39 /*v295*/, v175
	v_dual_fmac_f32 v47, v27 /*v283*/, v162 :: v_dual_fmac_f32 v49, v29 /*v285*/, v164
	s_set_vgpr_msb 0                        ;  msbs: dst=0 src0=0 src1=0 src2=0
	v_add_f32_e32 v7, v7, v45
	s_set_vgpr_msb 1                        ;  msbs: dst=0 src0=1 src1=0 src2=0
	v_fma_f32 v21, v28 /*v284*/, v164, -v21
	s_set_vgpr_msb 0                        ;  msbs: dst=0 src0=0 src1=0 src2=0
	v_add_f32_e32 v9, v9, v19
	s_set_vgpr_msb 1                        ;  msbs: dst=0 src0=1 src1=0 src2=0
	v_dual_mul_f32 v51, v30 /*v286*/, v167 :: v_dual_mul_f32 v53, v32 /*v288*/, v169
	v_mul_f32_e32 v19, v41 /*v297*/, v177
	s_set_vgpr_msb 0                        ;  msbs: dst=0 src0=0 src1=0 src2=0
	v_dual_add_f32 v7, v7, v47 :: v_dual_add_f32 v9, v9, v21
	s_wait_loadcnt_dscnt 0xb05
	s_set_vgpr_msb 1                        ;  msbs: dst=0 src0=1 src1=0 src2=0
	v_dual_fma_f32 v23, v30 /*v286*/, v166, -v23 :: v_dual_mul_f32 v21, v43 /*v299*/, v179
	v_dual_mul_f32 v55, v34 /*v290*/, v171 :: v_dual_mul_f32 v57, v36 /*v292*/, v173
	v_dual_mul_f32 v59, v38 /*v294*/, v175 :: v_dual_mul_f32 v61, v40 /*v296*/, v177
	v_dual_fmac_f32 v51, v31 /*v287*/, v166 :: v_dual_fmac_f32 v53, v33 /*v289*/, v168
	v_fma_f32 v11, v32 /*v288*/, v168, -v11
	s_set_vgpr_msb 0                        ;  msbs: dst=0 src0=0 src1=0 src2=0
	v_dual_add_f32 v9, v9, v23 :: v_dual_add_f32 v7, v7, v49
	s_set_vgpr_msb 1                        ;  msbs: dst=0 src0=1 src1=0 src2=0
	v_dual_mul_f32 v23, v45 /*v301*/, v181 :: v_dual_fmac_f32 v55, v35 /*v291*/, v170
	v_fma_f32 v13, v34 /*v290*/, v170, -v13
	v_dual_fmac_f32 v57, v37 /*v293*/, v172 :: v_dual_fmac_f32 v59, v39 /*v295*/, v174
	s_set_vgpr_msb 0                        ;  msbs: dst=0 src0=0 src1=0 src2=0
	v_add_f32_e32 v9, v9, v11
	s_set_vgpr_msb 1                        ;  msbs: dst=0 src0=1 src1=0 src2=0
	v_dual_mul_f32 v63, v42 /*v298*/, v179 :: v_dual_mul_f32 v65, v44 /*v300*/, v181
	s_set_vgpr_msb 0                        ;  msbs: dst=0 src0=0 src1=0 src2=0
	v_add_f32_e32 v7, v7, v51
	s_wait_loadcnt_dscnt 0xa04
	s_set_vgpr_msb 1                        ;  msbs: dst=0 src0=1 src1=0 src2=0
	v_dual_mul_f32 v11, v47 /*v303*/, v183 :: v_dual_fma_f32 v15, v36 /*v292*/, v172, -v15
	s_set_vgpr_msb 0                        ;  msbs: dst=0 src0=0 src1=0 src2=0
	v_add_f32_e32 v9, v9, v13
	s_set_vgpr_msb 1                        ;  msbs: dst=0 src0=1 src1=0 src2=0
	v_dual_mul_f32 v13, v49 /*v305*/, v185 :: v_dual_fma_f32 v17, v38 /*v294*/, v174, -v17
	s_set_vgpr_msb 0                        ;  msbs: dst=0 src0=0 src1=0 src2=0
	v_add_f32_e32 v7, v7, v53
	s_set_vgpr_msb 1                        ;  msbs: dst=0 src0=1 src1=0 src2=0
	v_dual_fmac_f32 v61, v41 /*v297*/, v176 :: v_dual_fmac_f32 v63, v43 /*v299*/, v178
	s_set_vgpr_msb 0                        ;  msbs: dst=0 src0=0 src1=0 src2=0
	v_add_f32_e32 v9, v9, v15
	s_set_vgpr_msb 1                        ;  msbs: dst=0 src0=1 src1=0 src2=0
	v_dual_mul_f32 v67, v46 /*v302*/, v183 :: v_dual_mul_f32 v69, v48 /*v304*/, v185
	s_set_vgpr_msb 0                        ;  msbs: dst=0 src0=0 src1=0 src2=0
	v_add_f32_e32 v7, v7, v55
	s_wait_loadcnt_dscnt 0x903
	s_set_vgpr_msb 1                        ;  msbs: dst=0 src0=1 src1=0 src2=0
	v_dual_mul_f32 v15, v51 /*v307*/, v187 :: v_dual_fma_f32 v19, v40 /*v296*/, v176, -v19
	s_set_vgpr_msb 0                        ;  msbs: dst=0 src0=0 src1=0 src2=0
	v_add_f32_e32 v9, v9, v17
	s_set_vgpr_msb 1                        ;  msbs: dst=0 src0=1 src1=0 src2=0
	v_dual_mul_f32 v17, v53 /*v309*/, v189 :: v_dual_fma_f32 v21, v42 /*v298*/, v178, -v21
	s_set_vgpr_msb 0                        ;  msbs: dst=0 src0=0 src1=0 src2=0
	v_add_f32_e32 v7, v7, v57
	s_set_vgpr_msb 1                        ;  msbs: dst=0 src0=1 src1=0 src2=0
	v_dual_fmac_f32 v65, v45 /*v301*/, v180 :: v_dual_fmac_f32 v67, v47 /*v303*/, v182
	s_set_vgpr_msb 0                        ;  msbs: dst=0 src0=0 src1=0 src2=0
	v_add_f32_e32 v9, v9, v19
	s_set_vgpr_msb 1                        ;  msbs: dst=0 src0=1 src1=0 src2=0
	v_dual_mul_f32 v71, v50 /*v306*/, v187 :: v_dual_mul_f32 v73, v52 /*v308*/, v189
	s_set_vgpr_msb 0                        ;  msbs: dst=0 src0=0 src1=0 src2=0
	v_add_f32_e32 v7, v7, v59
	s_wait_loadcnt_dscnt 0x802
	s_set_vgpr_msb 1                        ;  msbs: dst=0 src0=1 src1=0 src2=0
	v_dual_mul_f32 v19, v55 /*v311*/, v191 :: v_dual_fma_f32 v23, v44 /*v300*/, v180, -v23
	s_set_vgpr_msb 0                        ;  msbs: dst=0 src0=0 src1=0 src2=0
	v_add_f32_e32 v9, v9, v21
	s_set_vgpr_msb 1                        ;  msbs: dst=0 src0=1 src1=0 src2=0
	v_dual_mul_f32 v75, v54 /*v310*/, v191 :: v_dual_mul_f32 v77, v56 /*v312*/, v193
	s_set_vgpr_msb 0                        ;  msbs: dst=0 src0=0 src1=0 src2=0
	v_add_f32_e32 v7, v7, v61
	s_set_vgpr_msb 1                        ;  msbs: dst=0 src0=1 src1=0 src2=0
	v_dual_mul_f32 v21, v57 /*v313*/, v193 :: v_dual_fma_f32 v11, v46 /*v302*/, v182, -v11
	v_dual_fmac_f32 v69, v49 /*v305*/, v184 :: v_dual_fmac_f32 v71, v51 /*v307*/, v186
	s_set_vgpr_msb 0                        ;  msbs: dst=0 src0=0 src1=0 src2=0
	v_add_f32_e32 v9, v9, v23
	s_wait_loadcnt_dscnt 0x701
	s_set_vgpr_msb 1                        ;  msbs: dst=0 src0=1 src1=0 src2=0
	v_dual_mul_f32 v23, v59 /*v315*/, v195 :: v_dual_fma_f32 v13, v48 /*v304*/, v184, -v13
	v_dual_fmac_f32 v73, v53 /*v309*/, v188 :: v_dual_fmac_f32 v75, v55 /*v311*/, v190
	s_set_vgpr_msb 0                        ;  msbs: dst=0 src0=0 src1=0 src2=0
	v_add_f32_e32 v9, v9, v11
	v_add_f32_e32 v7, v7, v63
	s_set_vgpr_msb 1                        ;  msbs: dst=0 src0=1 src1=0 src2=0
	v_dual_mul_f32 v79, v58 /*v314*/, v195 :: v_dual_mul_f32 v81, v60 /*v316*/, v197
	v_dual_mul_f32 v11, v61 /*v317*/, v197 :: v_dual_fma_f32 v15, v50 /*v306*/, v186, -v15
	s_set_vgpr_msb 0                        ;  msbs: dst=0 src0=0 src1=0 src2=0
	v_add_f32_e32 v9, v9, v13
	v_add_f32_e32 v7, v7, v65
	s_wait_loadcnt_dscnt 0x600
	s_set_vgpr_msb 1                        ;  msbs: dst=0 src0=1 src1=0 src2=0
	v_dual_mul_f32 v13, v63 /*v319*/, v199 :: v_dual_fma_f32 v17, v52 /*v308*/, v188, -v17
	v_dual_fmac_f32 v77, v57 /*v313*/, v192 :: v_dual_fmac_f32 v79, v59 /*v315*/, v194
	s_set_vgpr_msb 0                        ;  msbs: dst=0 src0=0 src1=0 src2=0
	v_add_f32_e32 v9, v9, v15
	v_add_f32_e32 v7, v7, v67
	s_set_vgpr_msb 1                        ;  msbs: dst=0 src0=1 src1=0 src2=0
	v_dual_mul_f32 v15, v65 /*v321*/, v201 :: v_dual_fma_f32 v19, v54 /*v310*/, v190, -v19
	v_dual_fmac_f32 v81, v61 /*v317*/, v196 :: v_dual_fma_f32 v11, v60 /*v316*/, v196, -v11
	s_set_vgpr_msb 0                        ;  msbs: dst=0 src0=0 src1=0 src2=0
	v_add_f32_e32 v9, v9, v17
	v_add_f32_e32 v7, v7, v69
	s_set_vgpr_msb 1                        ;  msbs: dst=0 src0=1 src1=0 src2=0
	v_dual_mul_f32 v83, v62 /*v318*/, v199 :: v_dual_mul_f32 v85, v64 /*v320*/, v201
	s_wait_loadcnt 0x4
	s_set_vgpr_msb 0                        ;  msbs: dst=0 src0=0 src1=0 src2=0
	v_mov_b32_e32 v124, v209
	v_add_f32_e32 v9, v9, v19
	v_dual_add_f32 v7, v7, v71 :: v_dual_mul_f32 v19, v241, v205
	s_set_vgpr_msb 1                        ;  msbs: dst=0 src0=1 src1=0 src2=0
	v_dual_fma_f32 v21, v56 /*v312*/, v192, -v21 :: v_dual_fma_f32 v23, v58 /*v314*/, v194, -v23
	v_dual_fmac_f32 v83, v63 /*v319*/, v198 :: v_dual_fma_f32 v13, v62 /*v318*/, v198, -v13
	s_set_vgpr_msb 0                        ;  msbs: dst=0 src0=0 src1=0 src2=0
	v_add_f32_e32 v7, v7, v73
	s_set_vgpr_msb 1                        ;  msbs: dst=0 src0=1 src1=0 src2=0
	v_fmac_f32_e32 v85, v65 /*v321*/, v200
	s_wait_loadcnt 0x3
	s_set_vgpr_msb 0                        ;  msbs: dst=0 src0=0 src1=0 src2=0
	v_mov_b32_e32 v128, v213
	s_set_vgpr_msb 64                       ;  msbs: dst=1 src0=0 src1=0 src2=0
	v_dual_mul_f32 v77 /*v333*/, v238, v203 :: v_dual_mul_f32 v79 /*v335*/, v240, v205
	s_set_vgpr_msb 0                        ;  msbs: dst=0 src0=0 src1=0 src2=0
	v_add_f32_e32 v7, v7, v75
	v_pk_mul_f32 v[122:123], v[242:243], v[206:207] op_sel:[1,1] op_sel_hi:[0,1]
	s_set_vgpr_msb 64                       ;  msbs: dst=1 src0=0 src1=0 src2=0
	v_fma_f32 v78 /*v334*/, v240, v204, -v19
	v_dual_fmac_f32 v77 /*v333*/, v239, v202 :: v_dual_fmac_f32 v79 /*v335*/, v241, v204
	s_set_vgpr_msb 0                        ;  msbs: dst=0 src0=0 src1=0 src2=0
	v_add_f32_e32 v7, v7, v77
	v_pk_fma_f32 v[132:133], v[242:243], v[206:207], v[122:123] op_sel_hi:[1,0,1]
	s_set_vgpr_msb 1                        ;  msbs: dst=0 src0=1 src1=0 src2=0
	v_pk_mul_f32 v[124:125], v[68:69] /*v[324:325]*/, v[124:125] op_sel_hi:[1,0]
	s_set_vgpr_msb 0                        ;  msbs: dst=0 src0=0 src1=0 src2=0
	v_pk_fma_f32 v[122:123], v[242:243], v[206:207], v[122:123] neg_lo:[0,0,1] neg_hi:[0,0,1]
	v_pk_mul_f32 v[126:127], v[254:255], v[210:211] op_sel:[1,1] op_sel_hi:[0,1]
	v_dual_add_f32 v7, v7, v79 :: v_dual_mov_b32 v123, v133
	v_pk_fma_f32 v[132:133], v[244:245], v[208:209], v[124:125] op_sel_hi:[1,0,1]
	v_pk_fma_f32 v[124:125], v[244:245], v[208:209], v[124:125] neg_lo:[0,0,1] neg_hi:[0,0,1]
	s_delay_alu instid0(VALU_DEP_4) | instskip(NEXT) | instid1(VALU_DEP_4)
	v_pk_fma_f32 v[136:137], v[254:255], v[210:211], v[126:127] op_sel_hi:[1,0,1]
	v_add_f32_e32 v7, v7, v81
	v_dual_mul_f32 v17, v239, v203 :: v_dual_add_f32 v9, v9, v21
	s_set_vgpr_msb 1                        ;  msbs: dst=0 src0=1 src1=0 src2=0
	v_pk_mul_f32 v[128:129], v[70:71] /*v[326:327]*/, v[128:129] op_sel_hi:[1,0]
	s_set_vgpr_msb 0                        ;  msbs: dst=0 src0=0 src1=0 src2=0
	v_dual_mov_b32 v125, v133 :: v_dual_add_f32 v7, v7, v83
	s_set_vgpr_msb 64                       ;  msbs: dst=1 src0=0 src1=0 src2=0
	v_fma_f32 v76 /*v332*/, v238, v202, -v17
	s_set_vgpr_msb 0                        ;  msbs: dst=0 src0=0 src1=0 src2=0
	v_add_f32_e32 v9, v9, v23
	s_wait_loadcnt 0x2
	s_set_vgpr_msb 1                        ;  msbs: dst=0 src0=1 src1=0 src2=0
	v_pk_mul_f32 v[134:135], v[2:3] /*v[258:259]*/, v[214:215] op_sel:[1,1] op_sel_hi:[0,1]
	s_set_vgpr_msb 0                        ;  msbs: dst=0 src0=0 src1=0 src2=0
	v_pk_fma_f32 v[126:127], v[254:255], v[210:211], v[126:127] neg_lo:[0,0,1] neg_hi:[0,0,1]
	v_dual_add_f32 v131, v7, v85 :: v_dual_mov_b32 v127, v137
	v_add_f32_e32 v9, v9, v11
	s_set_vgpr_msb 1                        ;  msbs: dst=0 src0=1 src1=0 src2=0
	v_fma_f32 v11, v64 /*v320*/, v200, -v15
	v_pk_fma_f32 v[132:133], v[0:1] /*v[256:257]*/, v[212:213], v[128:129] op_sel_hi:[1,0,1]
	v_pk_fma_f32 v[128:129], v[0:1] /*v[256:257]*/, v[212:213], v[128:129] neg_lo:[0,0,1] neg_hi:[0,0,1]
	s_set_vgpr_msb 0                        ;  msbs: dst=0 src0=0 src1=0 src2=0
	v_add_f32_e32 v9, v9, v13
	s_delay_alu instid0(VALU_DEP_1) | instskip(SKIP_1) | instid1(VALU_DEP_1)
	v_add_f32_e32 v130, v9, v11
	s_set_vgpr_msb 4                        ;  msbs: dst=0 src0=0 src1=1 src2=0
	v_pk_add_f32 v[130:131], v[130:131], v[76:77] /*v[332:333]*/
	s_delay_alu instid0(VALU_DEP_1) | instskip(SKIP_1) | instid1(VALU_DEP_1)
	v_pk_add_f32 v[130:131], v[130:131], v[78:79] /*v[334:335]*/
	s_set_vgpr_msb 0                        ;  msbs: dst=0 src0=0 src1=0 src2=0
	v_pk_add_f32 v[122:123], v[130:131], v[122:123]
	v_mov_b32_e32 v130, v217
	s_delay_alu instid0(VALU_DEP_2) | instskip(SKIP_2) | instid1(VALU_DEP_3)
	v_pk_add_f32 v[122:123], v[122:123], v[124:125]
	s_set_vgpr_msb 1                        ;  msbs: dst=0 src0=1 src1=0 src2=0
	v_pk_fma_f32 v[124:125], v[2:3] /*v[258:259]*/, v[214:215], v[134:135] op_sel_hi:[1,0,1]
	v_pk_mul_f32 v[130:131], v[72:73] /*v[328:329]*/, v[130:131] op_sel_hi:[1,0]
	s_set_vgpr_msb 0                        ;  msbs: dst=0 src0=0 src1=0 src2=0
	v_mov_b32_e32 v129, v133
	s_set_vgpr_msb 1                        ;  msbs: dst=0 src0=1 src1=0 src2=0
	v_pk_fma_f32 v[132:133], v[2:3] /*v[258:259]*/, v[214:215], v[134:135] neg_lo:[0,0,1] neg_hi:[0,0,1]
	s_set_vgpr_msb 0                        ;  msbs: dst=0 src0=0 src1=0 src2=0
	v_pk_add_f32 v[122:123], v[122:123], v[126:127]
	v_mov_b32_e32 v133, v125
	s_set_vgpr_msb 1                        ;  msbs: dst=0 src0=1 src1=0 src2=0
	v_pk_fma_f32 v[124:125], v[4:5] /*v[260:261]*/, v[216:217], v[130:131] op_sel_hi:[1,0,1]
	s_wait_loadcnt 0x1
	v_pk_mul_f32 v[126:127], v[14:15] /*v[270:271]*/, v[218:219] op_sel:[1,1] op_sel_hi:[0,1]
	s_set_vgpr_msb 0                        ;  msbs: dst=0 src0=0 src1=0 src2=0
	v_mov_b32_e32 v124, v221
	v_pk_add_f32 v[122:123], v[122:123], v[128:129]
	s_set_vgpr_msb 1                        ;  msbs: dst=0 src0=1 src1=0 src2=0
	v_pk_fma_f32 v[130:131], v[4:5] /*v[260:261]*/, v[216:217], v[130:131] neg_lo:[0,0,1] neg_hi:[0,0,1]
	s_set_vgpr_msb 0                        ;  msbs: dst=0 src0=0 src1=0 src2=0
	v_mov_b32_e32 v131, v125
	s_set_vgpr_msb 1                        ;  msbs: dst=0 src0=1 src1=0 src2=0
	v_pk_fma_f32 v[128:129], v[14:15] /*v[270:271]*/, v[218:219], v[126:127] op_sel_hi:[1,0,1]
	v_pk_mul_f32 v[124:125], v[74:75] /*v[330:331]*/, v[124:125] op_sel_hi:[1,0]
	s_set_vgpr_msb 0                        ;  msbs: dst=0 src0=0 src1=0 src2=0
	v_pk_add_f32 v[122:123], v[122:123], v[132:133]
	s_set_vgpr_msb 1                        ;  msbs: dst=0 src0=1 src1=0 src2=0
	v_pk_fma_f32 v[126:127], v[14:15] /*v[270:271]*/, v[218:219], v[126:127] neg_lo:[0,0,1] neg_hi:[0,0,1]
	s_set_vgpr_msb 0                        ;  msbs: dst=0 src0=0 src1=0 src2=0
	v_mov_b32_e32 v127, v129
	s_set_vgpr_msb 1                        ;  msbs: dst=0 src0=1 src1=0 src2=0
	v_pk_fma_f32 v[128:129], v[16:17] /*v[272:273]*/, v[220:221], v[124:125] op_sel_hi:[1,0,1]
	s_set_vgpr_msb 0                        ;  msbs: dst=0 src0=0 src1=0 src2=0
	v_pk_add_f32 v[122:123], v[122:123], v[130:131]
	s_set_vgpr_msb 1                        ;  msbs: dst=0 src0=1 src1=0 src2=0
	v_pk_fma_f32 v[124:125], v[16:17] /*v[272:273]*/, v[220:221], v[124:125] neg_lo:[0,0,1] neg_hi:[0,0,1]
	s_set_vgpr_msb 0                        ;  msbs: dst=0 src0=0 src1=0 src2=0
	v_mov_b32_e32 v125, v129
	v_pk_add_f32 v[122:123], v[122:123], v[126:127]
	s_delay_alu instid0(VALU_DEP_1) | instskip(SKIP_2) | instid1(VALU_DEP_1)
	v_pk_add_f32 v[122:123], v[122:123], v[124:125]
	s_wait_loadcnt 0x0
	s_set_vgpr_msb 1                        ;  msbs: dst=0 src0=1 src1=0 src2=0
	v_pk_add_f32 v[122:123], v[66:67] /*v[322:323]*/, v[122:123] neg_lo:[0,1] neg_hi:[0,1]
	scratch_store_b64 off, v[122:123], off offset:72
	s_wait_xcnt 0x0
	v_cmpx_lt_u32_e32 8, v0
	s_set_vgpr_msb 0                        ;  msbs: dst=0 src0=0 src1=0 src2=0
	s_cbranch_execz .LBB59_357
; %bb.356:
	scratch_load_b64 v[122:123], off, off offset:64
	v_mov_b64_e32 v[124:125], 0
	scratch_store_b64 off, v[124:125], off offset:64
	s_wait_loadcnt 0x0
	ds_store_b64 v1, v[122:123]
.LBB59_357:
	s_wait_xcnt 0x0
	s_or_b32 exec_lo, exec_lo, s0
	s_wait_storecnt_dscnt 0x0
	s_barrier_signal -1
	s_barrier_wait -1
	s_clause 0x1b
	scratch_load_b128 v[122:125], off, off offset:72
	scratch_load_b128 v[126:129], off, off offset:88
	;; [unrolled: 1-line block ×25, first 2 shown]
	s_set_vgpr_msb 64                       ;  msbs: dst=1 src0=0 src1=0 src2=0
	scratch_load_b64 v[66:67] /*v[322:323]*/, off, off offset:472
	scratch_load_b64 v[68:69] /*v[324:325]*/, off, off offset:64
	s_set_vgpr_msb 0                        ;  msbs: dst=0 src0=0 src1=0 src2=0
	v_mov_b32_e32 v7, 0
	ds_load_2addr_b64 v[222:225], v7 offset0:69 offset1:70
	ds_load_2addr_b64 v[226:229], v7 offset0:71 offset1:72
	;; [unrolled: 1-line block ×9, first 2 shown]
	s_set_vgpr_msb 64                       ;  msbs: dst=1 src0=0 src1=0 src2=0
	ds_load_2addr_b64 v[2:5] /*v[258:261]*/, v7 offset0:115 offset1:116
	ds_load_2addr_b64 v[6:9] /*v[262:265]*/, v7 offset0:81 offset1:82
	;; [unrolled: 1-line block ×16, first 2 shown]
	ds_load_b64 v[70:71] /*v[326:327]*/, v7 offset:952
	s_wait_dscnt 0x14
	v_dual_mov_b32 v72 /*v328*/, v245 :: v_dual_mov_b32 v73 /*v329*/, v244
	s_wait_dscnt 0x11
	s_set_vgpr_msb 0x41                     ;  msbs: dst=1 src0=1 src1=0 src2=0
	v_dual_mov_b32 v74 /*v330*/, v1 /*v257*/ :: v_dual_mov_b32 v75 /*v331*/, v0 /*v256*/
	s_wait_dscnt 0x10
	v_dual_mov_b32 v76 /*v332*/, v5 /*v261*/ :: v_dual_mov_b32 v77 /*v333*/, v4 /*v260*/
	s_wait_dscnt 0xd
	v_dual_mov_b32 v78 /*v334*/, v17 /*v273*/ :: v_dual_mov_b32 v79 /*v335*/, v16 /*v272*/
	s_mov_b32 s0, exec_lo
	s_wait_loadcnt 0x1a
	s_set_vgpr_msb 0                        ;  msbs: dst=0 src0=0 src1=0 src2=0
	v_dual_mul_f32 v9, v222, v123 :: v_dual_mul_f32 v75, v223, v123
	s_wait_loadcnt 0x19
	v_dual_mul_f32 v11, v224, v125 :: v_dual_mul_f32 v13, v226, v127
	v_dual_mul_f32 v77, v225, v125 :: v_dual_mul_f32 v91, v227, v127
	s_wait_loadcnt 0x15
	v_dual_mul_f32 v31, v252, v145 :: v_dual_mul_f32 v103, v235, v135
	v_dual_fma_f32 v75, v222, v122, -v75 :: v_dual_fmac_f32 v9, v223, v122
	v_mul_f32_e32 v105, v237, v137
	v_dual_fmac_f32 v11, v225, v124 :: v_dual_fma_f32 v77, v224, v124, -v77
	s_delay_alu instid0(VALU_DEP_3) | instskip(SKIP_3) | instid1(VALU_DEP_4)
	v_dual_add_f32 v75, 0, v75 :: v_dual_add_f32 v9, 0, v9
	v_dual_mul_f32 v15, v228, v129 :: v_dual_mul_f32 v17, v230, v131
	v_dual_mul_f32 v93, v229, v129 :: v_dual_mul_f32 v107, v247, v139
	v_dual_fma_f32 v91, v226, v126, -v91 :: v_dual_fmac_f32 v13, v227, v126
	v_dual_add_f32 v9, v9, v11 :: v_dual_add_f32 v11, v75, v77
	s_wait_loadcnt 0x6
	v_dual_fmac_f32 v15, v229, v128 :: v_dual_mul_f32 v97, v238, v203
	v_dual_mul_f32 v99, v231, v131 :: v_dual_mul_f32 v101, v233, v133
	v_dual_mul_f32 v75, v249, v141 :: v_dual_fma_f32 v77, v228, v128, -v93
	v_dual_add_f32 v9, v9, v13 :: v_dual_add_f32 v11, v11, v91
	v_dual_mul_f32 v19, v232, v133 :: v_dual_mul_f32 v21, v234, v135
	s_delay_alu instid0(VALU_DEP_4) | instskip(NEXT) | instid1(VALU_DEP_3)
	v_dual_mul_f32 v13, v251, v143 :: v_dual_fma_f32 v91, v230, v130, -v99
	v_dual_fmac_f32 v17, v231, v130 :: v_dual_add_f32 v9, v9, v15
	s_delay_alu instid0(VALU_DEP_3) | instskip(SKIP_1) | instid1(VALU_DEP_2)
	v_dual_add_f32 v11, v11, v77 :: v_dual_fmac_f32 v19, v233, v132
	v_dual_mul_f32 v15, v253, v145 :: v_dual_fma_f32 v77, v232, v132, -v101
	v_dual_add_f32 v9, v9, v17 :: v_dual_add_f32 v11, v11, v91
	v_dual_mul_f32 v23, v236, v137 :: v_dual_mul_f32 v25, v246, v139
	v_dual_fmac_f32 v21, v235, v134 :: v_dual_fma_f32 v91, v234, v134, -v103
	s_delay_alu instid0(VALU_DEP_3) | instskip(NEXT) | instid1(VALU_DEP_3)
	v_dual_add_f32 v9, v9, v19 :: v_dual_add_f32 v11, v11, v77
	v_dual_fmac_f32 v23, v237, v136 :: v_dual_fma_f32 v77, v236, v136, -v105
	v_dual_mul_f32 v27, v248, v141 :: v_dual_mul_f32 v29, v250, v143
	s_delay_alu instid0(VALU_DEP_3)
	v_dual_add_f32 v9, v9, v21 :: v_dual_add_f32 v11, v11, v91
	v_dual_fmac_f32 v25, v247, v138 :: v_dual_fma_f32 v91, v246, v138, -v107
	s_set_vgpr_msb 1                        ;  msbs: dst=0 src0=1 src1=0 src2=0
	v_dual_mul_f32 v33, v6 /*v262*/, v147 :: v_dual_mul_f32 v35, v8 /*v264*/, v149
	s_set_vgpr_msb 0                        ;  msbs: dst=0 src0=0 src1=0 src2=0
	v_dual_add_f32 v9, v9, v23 :: v_dual_add_f32 v11, v11, v77
	v_fmac_f32_e32 v27, v249, v140
	v_fma_f32 v75, v248, v140, -v75
	s_set_vgpr_msb 1                        ;  msbs: dst=0 src0=1 src1=0 src2=0
	v_dual_mul_f32 v17, v7 /*v263*/, v147 :: v_dual_mul_f32 v19, v9 /*v265*/, v149
	s_set_vgpr_msb 0                        ;  msbs: dst=0 src0=0 src1=0 src2=0
	v_dual_add_f32 v9, v9, v25 :: v_dual_add_f32 v11, v11, v91
	v_fmac_f32_e32 v29, v251, v142
	v_fma_f32 v13, v250, v142, -v13
	s_set_vgpr_msb 1                        ;  msbs: dst=0 src0=1 src1=0 src2=0
	v_fmac_f32_e32 v33, v7 /*v263*/, v146
	s_set_vgpr_msb 0                        ;  msbs: dst=0 src0=0 src1=0 src2=0
	v_add_f32_e32 v9, v9, v27
	v_dual_add_f32 v11, v11, v75 :: v_dual_fmac_f32 v31, v253, v144
	v_fma_f32 v15, v252, v144, -v15
	s_set_vgpr_msb 1                        ;  msbs: dst=0 src0=1 src1=0 src2=0
	v_fma_f32 v17, v6 /*v262*/, v146, -v17
	s_set_vgpr_msb 0                        ;  msbs: dst=0 src0=0 src1=0 src2=0
	v_add_f32_e32 v9, v9, v29
	v_add_f32_e32 v11, v11, v13
	s_wait_dscnt 0xb
	s_set_vgpr_msb 1                        ;  msbs: dst=0 src0=1 src1=0 src2=0
	v_mul_f32_e32 v13, v23 /*v279*/, v159
	v_dual_mul_f32 v37, v10 /*v266*/, v151 :: v_dual_mul_f32 v39, v12 /*v268*/, v153
	v_dual_mul_f32 v21, v11 /*v267*/, v151 :: v_dual_mul_f32 v23, v13 /*v269*/, v153
	s_set_vgpr_msb 0                        ;  msbs: dst=0 src0=0 src1=0 src2=0
	v_add_f32_e32 v11, v11, v15
	v_add_f32_e32 v9, v9, v31
	s_set_vgpr_msb 1                        ;  msbs: dst=0 src0=1 src1=0 src2=0
	v_mul_f32_e32 v15, v25 /*v281*/, v161
	v_fmac_f32_e32 v35, v9 /*v265*/, v148
	v_dual_fma_f32 v19, v8 /*v264*/, v148, -v19 :: v_dual_fmac_f32 v37, v11 /*v267*/, v150
	s_set_vgpr_msb 0                        ;  msbs: dst=0 src0=0 src1=0 src2=0
	v_add_f32_e32 v11, v11, v17
	v_add_f32_e32 v9, v9, v33
	s_wait_dscnt 0xa
	s_set_vgpr_msb 1                        ;  msbs: dst=0 src0=1 src1=0 src2=0
	v_dual_mul_f32 v17, v27 /*v283*/, v163 :: v_dual_fma_f32 v21, v10 /*v266*/, v150, -v21
	v_dual_mul_f32 v41, v18 /*v274*/, v155 :: v_dual_mul_f32 v43, v20 /*v276*/, v157
	s_set_vgpr_msb 0                        ;  msbs: dst=0 src0=0 src1=0 src2=0
	v_add_f32_e32 v11, v11, v19
	s_set_vgpr_msb 1                        ;  msbs: dst=0 src0=1 src1=0 src2=0
	v_mul_f32_e32 v19, v29 /*v285*/, v165
	s_set_vgpr_msb 0                        ;  msbs: dst=0 src0=0 src1=0 src2=0
	v_add_f32_e32 v9, v9, v35
	s_set_vgpr_msb 1                        ;  msbs: dst=0 src0=1 src1=0 src2=0
	v_dual_mul_f32 v25, v19 /*v275*/, v155 :: v_dual_mul_f32 v27, v21 /*v277*/, v157
	v_fmac_f32_e32 v39, v13 /*v269*/, v152
	v_dual_fma_f32 v23, v12 /*v268*/, v152, -v23 :: v_dual_fmac_f32 v41, v19 /*v275*/, v154
	s_set_vgpr_msb 0                        ;  msbs: dst=0 src0=0 src1=0 src2=0
	v_add_f32_e32 v11, v11, v21
	v_add_f32_e32 v9, v9, v37
	s_wait_dscnt 0x9
	s_set_vgpr_msb 1                        ;  msbs: dst=0 src0=1 src1=0 src2=0
	v_dual_mul_f32 v21, v31 /*v287*/, v167 :: v_dual_fma_f32 v25, v18 /*v274*/, v154, -v25
	v_dual_mul_f32 v45, v22 /*v278*/, v159 :: v_dual_mul_f32 v47, v24 /*v280*/, v161
	s_set_vgpr_msb 0                        ;  msbs: dst=0 src0=0 src1=0 src2=0
	v_add_f32_e32 v11, v11, v23
	s_set_vgpr_msb 1                        ;  msbs: dst=0 src0=1 src1=0 src2=0
	v_mul_f32_e32 v23, v33 /*v289*/, v169
	s_set_vgpr_msb 0                        ;  msbs: dst=0 src0=0 src1=0 src2=0
	v_add_f32_e32 v9, v9, v39
	s_set_vgpr_msb 1                        ;  msbs: dst=0 src0=1 src1=0 src2=0
	v_fmac_f32_e32 v43, v21 /*v277*/, v156
	v_dual_fma_f32 v27, v20 /*v276*/, v156, -v27 :: v_dual_fmac_f32 v45, v23 /*v279*/, v158
	s_set_vgpr_msb 0                        ;  msbs: dst=0 src0=0 src1=0 src2=0
	v_add_f32_e32 v11, v11, v25
	v_add_f32_e32 v9, v9, v41
	s_wait_dscnt 0x8
	s_set_vgpr_msb 1                        ;  msbs: dst=0 src0=1 src1=0 src2=0
	v_dual_mul_f32 v25, v35 /*v291*/, v171 :: v_dual_fma_f32 v13, v22 /*v278*/, v158, -v13
	v_dual_mul_f32 v49, v26 /*v282*/, v163 :: v_dual_mul_f32 v51, v28 /*v284*/, v165
	s_set_vgpr_msb 0                        ;  msbs: dst=0 src0=0 src1=0 src2=0
	v_add_f32_e32 v11, v11, v27
	s_set_vgpr_msb 1                        ;  msbs: dst=0 src0=1 src1=0 src2=0
	v_mul_f32_e32 v27, v37 /*v293*/, v173
	s_set_vgpr_msb 0                        ;  msbs: dst=0 src0=0 src1=0 src2=0
	v_add_f32_e32 v9, v9, v43
	s_set_vgpr_msb 1                        ;  msbs: dst=0 src0=1 src1=0 src2=0
	;; [unrolled: 16-line block ×9, first 2 shown]
	v_dual_fmac_f32 v79, v53 /*v309*/, v188 :: v_dual_fmac_f32 v81, v55 /*v311*/, v190
	v_dual_fma_f32 v27, v52 /*v308*/, v188, -v27 :: v_dual_fma_f32 v13, v54 /*v310*/, v190, -v13
	s_set_vgpr_msb 0                        ;  msbs: dst=0 src0=0 src1=0 src2=0
	v_add_f32_e32 v11, v11, v25
	v_add_f32_e32 v9, v9, v73
	s_set_vgpr_msb 1                        ;  msbs: dst=0 src0=1 src1=0 src2=0
	v_dual_mul_f32 v85, v58 /*v314*/, v195 :: v_dual_mul_f32 v87, v60 /*v316*/, v197
	v_fmac_f32_e32 v83, v57 /*v313*/, v192
	s_set_vgpr_msb 0                        ;  msbs: dst=0 src0=0 src1=0 src2=0
	v_add_f32_e32 v11, v11, v27
	v_add_f32_e32 v9, v9, v79
	s_set_vgpr_msb 1                        ;  msbs: dst=0 src0=1 src1=0 src2=0
	v_dual_fma_f32 v15, v56 /*v312*/, v192, -v15 :: v_dual_fma_f32 v17, v58 /*v314*/, v194, -v17
	v_fmac_f32_e32 v85, v59 /*v315*/, v194
	s_set_vgpr_msb 0                        ;  msbs: dst=0 src0=0 src1=0 src2=0
	v_add_f32_e32 v11, v11, v13
	v_add_f32_e32 v9, v9, v81
	s_set_vgpr_msb 1                        ;  msbs: dst=0 src0=1 src1=0 src2=0
	v_dual_mul_f32 v89, v62 /*v318*/, v199 :: v_dual_mul_f32 v95, v64 /*v320*/, v201
	v_fmac_f32_e32 v87, v61 /*v317*/, v196
	s_set_vgpr_msb 0                        ;  msbs: dst=0 src0=0 src1=0 src2=0
	v_add_f32_e32 v11, v11, v15
	v_add_f32_e32 v9, v9, v83
	s_set_vgpr_msb 1                        ;  msbs: dst=0 src0=1 src1=0 src2=0
	v_dual_fma_f32 v15, v60 /*v316*/, v196, -v19 :: v_dual_fmac_f32 v89, v63 /*v319*/, v198
	s_wait_loadcnt 0x4
	s_set_vgpr_msb 0                        ;  msbs: dst=0 src0=0 src1=0 src2=0
	v_dual_mov_b32 v128, v213 :: v_dual_add_f32 v11, v11, v17
	v_add_f32_e32 v9, v9, v85
	s_set_vgpr_msb 1                        ;  msbs: dst=0 src0=1 src1=0 src2=0
	v_fma_f32 v17, v62 /*v318*/, v198, -v21
	s_set_vgpr_msb 0                        ;  msbs: dst=0 src0=0 src1=0 src2=0
	v_dual_mul_f32 v25, v239, v203 :: v_dual_mul_f32 v27, v241, v205
	v_add_f32_e32 v11, v11, v15
	v_add_f32_e32 v9, v9, v87
	s_set_vgpr_msb 1                        ;  msbs: dst=0 src0=1 src1=0 src2=0
	v_fmac_f32_e32 v95, v65 /*v321*/, v200
	v_fma_f32 v15, v64 /*v320*/, v200, -v23
	s_set_vgpr_msb 0                        ;  msbs: dst=0 src0=0 src1=0 src2=0
	v_dual_mul_f32 v123, v240, v205 :: v_dual_mul_f32 v125, v242, v207
	v_add_f32_e32 v11, v11, v17
	v_dual_add_f32 v9, v9, v89 :: v_dual_fmac_f32 v97, v239, v202
	v_dual_mul_f32 v13, v243, v207 :: v_dual_mov_b32 v124, v209
	s_delay_alu instid0(VALU_DEP_2) | instskip(NEXT) | instid1(VALU_DEP_4)
	v_dual_fma_f32 v17, v238, v202, -v25 :: v_dual_add_f32 v9, v9, v95
	v_dual_add_f32 v11, v11, v15 :: v_dual_fmac_f32 v123, v241, v204
	v_fma_f32 v122, v240, v204, -v27
	s_set_vgpr_msb 1                        ;  msbs: dst=0 src0=1 src1=0 src2=0
	v_pk_mul_f32 v[132:133], v[72:73] /*v[328:329]*/, v[124:125] op_sel_hi:[1,0]
	s_set_vgpr_msb 0                        ;  msbs: dst=0 src0=0 src1=0 src2=0
	v_add_f32_e32 v135, v9, v97
	s_wait_loadcnt 0x3
	v_dual_add_f32 v134, v11, v17 :: v_dual_mov_b32 v136, v217
	v_pk_mul_f32 v[126:127], v[254:255], v[210:211] op_sel:[1,1] op_sel_hi:[0,1]
	v_fmac_f32_e32 v125, v243, v206
	v_pk_fma_f32 v[138:139], v[244:245], v[208:209], v[132:133] op_sel_hi:[1,0,1]
	v_fma_f32 v124, v242, v206, -v13
	v_pk_add_f32 v[122:123], v[134:135], v[122:123]
	v_pk_fma_f32 v[132:133], v[244:245], v[208:209], v[132:133] neg_lo:[0,0,1] neg_hi:[0,0,1]
	v_pk_fma_f32 v[134:135], v[254:255], v[210:211], v[126:127] op_sel_hi:[1,0,1]
	s_set_vgpr_msb 1                        ;  msbs: dst=0 src0=1 src1=0 src2=0
	v_pk_mul_f32 v[128:129], v[74:75] /*v[330:331]*/, v[128:129] op_sel_hi:[1,0]
	s_set_vgpr_msb 0                        ;  msbs: dst=0 src0=0 src1=0 src2=0
	v_mov_b32_e32 v133, v139
	v_pk_add_f32 v[122:123], v[122:123], v[124:125]
	v_pk_fma_f32 v[126:127], v[254:255], v[210:211], v[126:127] neg_lo:[0,0,1] neg_hi:[0,0,1]
	s_set_vgpr_msb 1                        ;  msbs: dst=0 src0=1 src1=0 src2=0
	v_pk_mul_f32 v[130:131], v[2:3] /*v[258:259]*/, v[214:215] op_sel:[1,1] op_sel_hi:[0,1]
	s_set_vgpr_msb 0                        ;  msbs: dst=0 src0=0 src1=0 src2=0
	v_mov_b32_e32 v127, v135
	s_set_vgpr_msb 1                        ;  msbs: dst=0 src0=1 src1=0 src2=0
	v_pk_fma_f32 v[134:135], v[0:1] /*v[256:257]*/, v[212:213], v[128:129] op_sel_hi:[1,0,1]
	s_set_vgpr_msb 0                        ;  msbs: dst=0 src0=0 src1=0 src2=0
	v_pk_add_f32 v[122:123], v[122:123], v[132:133]
	s_set_vgpr_msb 1                        ;  msbs: dst=0 src0=1 src1=0 src2=0
	v_pk_fma_f32 v[128:129], v[0:1] /*v[256:257]*/, v[212:213], v[128:129] neg_lo:[0,0,1] neg_hi:[0,0,1]
	v_pk_fma_f32 v[132:133], v[2:3] /*v[258:259]*/, v[214:215], v[130:131] op_sel_hi:[1,0,1]
	v_pk_mul_f32 v[136:137], v[76:77] /*v[332:333]*/, v[136:137] op_sel_hi:[1,0]
	s_set_vgpr_msb 0                        ;  msbs: dst=0 src0=0 src1=0 src2=0
	v_mov_b32_e32 v129, v135
	v_pk_add_f32 v[122:123], v[122:123], v[126:127]
	s_set_vgpr_msb 1                        ;  msbs: dst=0 src0=1 src1=0 src2=0
	v_pk_fma_f32 v[130:131], v[2:3] /*v[258:259]*/, v[214:215], v[130:131] neg_lo:[0,0,1] neg_hi:[0,0,1]
	s_wait_loadcnt 0x2
	v_pk_mul_f32 v[124:125], v[14:15] /*v[270:271]*/, v[218:219] op_sel:[1,1] op_sel_hi:[0,1]
	s_set_vgpr_msb 0                        ;  msbs: dst=0 src0=0 src1=0 src2=0
	v_dual_mov_b32 v126, v221 :: v_dual_mov_b32 v131, v133
	s_set_vgpr_msb 1                        ;  msbs: dst=0 src0=1 src1=0 src2=0
	v_pk_fma_f32 v[132:133], v[4:5] /*v[260:261]*/, v[216:217], v[136:137] op_sel_hi:[1,0,1]
	s_set_vgpr_msb 0                        ;  msbs: dst=0 src0=0 src1=0 src2=0
	v_pk_add_f32 v[122:123], v[122:123], v[128:129]
	s_set_vgpr_msb 1                        ;  msbs: dst=0 src0=1 src1=0 src2=0
	v_pk_fma_f32 v[134:135], v[4:5] /*v[260:261]*/, v[216:217], v[136:137] neg_lo:[0,0,1] neg_hi:[0,0,1]
	v_pk_fma_f32 v[128:129], v[14:15] /*v[270:271]*/, v[218:219], v[124:125] op_sel_hi:[1,0,1]
	v_pk_mul_f32 v[126:127], v[78:79] /*v[334:335]*/, v[126:127] op_sel_hi:[1,0]
	s_set_vgpr_msb 0                        ;  msbs: dst=0 src0=0 src1=0 src2=0
	v_mov_b32_e32 v135, v133
	v_pk_add_f32 v[122:123], v[122:123], v[130:131]
	s_set_vgpr_msb 1                        ;  msbs: dst=0 src0=1 src1=0 src2=0
	v_pk_fma_f32 v[124:125], v[14:15] /*v[270:271]*/, v[218:219], v[124:125] neg_lo:[0,0,1] neg_hi:[0,0,1]
	s_set_vgpr_msb 0                        ;  msbs: dst=0 src0=0 src1=0 src2=0
	v_mov_b32_e32 v125, v129
	s_set_vgpr_msb 1                        ;  msbs: dst=0 src0=1 src1=0 src2=0
	v_pk_fma_f32 v[128:129], v[16:17] /*v[272:273]*/, v[220:221], v[126:127] op_sel_hi:[1,0,1]
	s_wait_loadcnt_dscnt 0x100
	s_set_vgpr_msb 5                        ;  msbs: dst=0 src0=1 src1=1 src2=0
	v_pk_mul_f32 v[130:131], v[70:71] /*v[326:327]*/, v[66:67] /*v[322:323]*/ op_sel:[1,1] op_sel_hi:[0,1]
	s_set_vgpr_msb 0                        ;  msbs: dst=0 src0=0 src1=0 src2=0
	v_pk_add_f32 v[122:123], v[122:123], v[134:135]
	s_set_vgpr_msb 1                        ;  msbs: dst=0 src0=1 src1=0 src2=0
	v_pk_fma_f32 v[126:127], v[16:17] /*v[272:273]*/, v[220:221], v[126:127] neg_lo:[0,0,1] neg_hi:[0,0,1]
	s_set_vgpr_msb 0                        ;  msbs: dst=0 src0=0 src1=0 src2=0
	v_mov_b32_e32 v127, v129
	s_set_vgpr_msb 5                        ;  msbs: dst=0 src0=1 src1=1 src2=0
	v_pk_fma_f32 v[128:129], v[70:71] /*v[326:327]*/, v[66:67] /*v[322:323]*/, v[130:131] neg_lo:[0,0,1] neg_hi:[0,0,1]
	s_set_vgpr_msb 0                        ;  msbs: dst=0 src0=0 src1=0 src2=0
	v_pk_add_f32 v[122:123], v[122:123], v[124:125]
	s_set_vgpr_msb 5                        ;  msbs: dst=0 src0=1 src1=1 src2=0
	v_pk_fma_f32 v[124:125], v[70:71] /*v[326:327]*/, v[66:67] /*v[322:323]*/, v[130:131] op_sel_hi:[1,0,1]
	s_set_vgpr_msb 0                        ;  msbs: dst=0 src0=0 src1=0 src2=0
	s_delay_alu instid0(VALU_DEP_2) | instskip(NEXT) | instid1(VALU_DEP_2)
	v_pk_add_f32 v[122:123], v[122:123], v[126:127]
	v_mov_b32_e32 v129, v125
	s_delay_alu instid0(VALU_DEP_1) | instskip(SKIP_2) | instid1(VALU_DEP_1)
	v_pk_add_f32 v[122:123], v[122:123], v[128:129]
	s_wait_loadcnt 0x0
	s_set_vgpr_msb 1                        ;  msbs: dst=0 src0=1 src1=0 src2=0
	v_pk_add_f32 v[122:123], v[68:69] /*v[324:325]*/, v[122:123] neg_lo:[0,1] neg_hi:[0,1]
	scratch_store_b64 off, v[122:123], off offset:64
	s_wait_xcnt 0x0
	v_cmpx_lt_u32_e32 7, v0
	s_set_vgpr_msb 0                        ;  msbs: dst=0 src0=0 src1=0 src2=0
	s_cbranch_execz .LBB59_359
; %bb.358:
	scratch_load_b64 v[122:123], off, off offset:56
	v_mov_b64_e32 v[124:125], 0
	scratch_store_b64 off, v[124:125], off offset:56
	s_wait_loadcnt 0x0
	ds_store_b64 v1, v[122:123]
.LBB59_359:
	s_wait_xcnt 0x0
	s_or_b32 exec_lo, exec_lo, s0
	s_wait_storecnt_dscnt 0x0
	s_barrier_signal -1
	s_barrier_wait -1
	s_clause 0x18
	scratch_load_b128 v[122:125], off, off offset:64
	scratch_load_b128 v[126:129], off, off offset:80
	;; [unrolled: 1-line block ×25, first 2 shown]
	ds_load_b128 v[222:225], v7 offset:544
	ds_load_b128 v[226:229], v7 offset:560
	scratch_load_b128 v[230:233], off, off offset:464
	ds_load_b128 v[234:237], v7 offset:576
	ds_load_b128 v[238:241], v7 offset:592
	;; [unrolled: 1-line block ×6, first 2 shown]
	s_set_vgpr_msb 64                       ;  msbs: dst=1 src0=0 src1=0 src2=0
	ds_load_b128 v[2:5] /*v[258:261]*/, v7 offset:656
	ds_load_b128 v[6:9] /*v[262:265]*/, v7 offset:912
	;; [unrolled: 1-line block ×18, first 2 shown]
	scratch_load_b64 v[74:75] /*v[330:331]*/, off, off offset:56
	s_wait_dscnt 0x13
	v_dual_mov_b32 v76 /*v332*/, v253 :: v_dual_mov_b32 v77 /*v333*/, v252
	s_wait_dscnt 0x10
	s_set_vgpr_msb 0x41                     ;  msbs: dst=1 src0=1 src1=0 src2=0
	v_dual_mov_b32 v78 /*v334*/, v9 /*v265*/ :: v_dual_mov_b32 v79 /*v335*/, v8 /*v264*/
	s_wait_dscnt 0xf
	v_dual_mov_b32 v80 /*v336*/, v13 /*v269*/ :: v_dual_mov_b32 v81 /*v337*/, v12 /*v268*/
	s_wait_dscnt 0xc
	v_dual_mov_b32 v82 /*v338*/, v25 /*v281*/ :: v_dual_mov_b32 v83 /*v339*/, v24 /*v280*/
	s_mov_b32 s0, exec_lo
	s_wait_loadcnt 0x1a
	s_set_vgpr_msb 0                        ;  msbs: dst=0 src0=0 src1=0 src2=0
	v_dual_mul_f32 v7, v222, v123 :: v_dual_mul_f32 v9, v224, v125
	s_wait_loadcnt 0x19
	v_dual_mul_f32 v91, v223, v123 :: v_dual_mul_f32 v97, v229, v129
	v_dual_mul_f32 v11, v226, v127 :: v_dual_mul_f32 v13, v228, v129
	s_delay_alu instid0(VALU_DEP_3) | instskip(SKIP_4) | instid1(VALU_DEP_3)
	v_dual_fmac_f32 v7, v223, v122 :: v_dual_fmac_f32 v9, v225, v124
	s_wait_loadcnt 0x14
	v_dual_mul_f32 v31, v254, v147 :: v_dual_mul_f32 v93, v225, v125
	v_dual_mul_f32 v95, v227, v127 :: v_dual_mul_f32 v101, v237, v133
	v_dual_mul_f32 v99, v235, v131 :: v_dual_fma_f32 v91, v222, v122, -v91
	v_dual_mul_f32 v103, v239, v135 :: v_dual_fma_f32 v93, v224, v124, -v93
	v_dual_add_f32 v7, 0, v7 :: v_dual_fmac_f32 v11, v227, v126
	s_delay_alu instid0(VALU_DEP_3)
	v_dual_fmac_f32 v13, v229, v128 :: v_dual_add_f32 v91, 0, v91
	v_mul_f32_e32 v105, v241, v137
	s_wait_loadcnt_dscnt 0x601
	s_set_vgpr_msb 1                        ;  msbs: dst=0 src0=1 src1=0 src2=0
	v_mul_f32_e32 v89, v68 /*v324*/, v205
	s_set_vgpr_msb 0                        ;  msbs: dst=0 src0=0 src1=0 src2=0
	v_dual_fma_f32 v95, v226, v126, -v95 :: v_dual_add_f32 v7, v7, v9
	v_dual_mul_f32 v15, v234, v131 :: v_dual_mul_f32 v17, v236, v133
	v_dual_add_f32 v9, v91, v93 :: v_dual_fma_f32 v93, v228, v128, -v97
	s_delay_alu instid0(VALU_DEP_3) | instskip(NEXT) | instid1(VALU_DEP_3)
	v_add_f32_e32 v7, v7, v11
	v_dual_fmac_f32 v15, v235, v130 :: v_dual_mul_f32 v19, v238, v135
	s_delay_alu instid0(VALU_DEP_3) | instskip(NEXT) | instid1(VALU_DEP_3)
	v_dual_mul_f32 v21, v240, v137 :: v_dual_add_f32 v9, v9, v95
	v_dual_fma_f32 v95, v234, v130, -v99 :: v_dual_add_f32 v7, v7, v13
	v_dual_fmac_f32 v17, v237, v132 :: v_dual_mul_f32 v13, v247, v143
	s_delay_alu instid0(VALU_DEP_3) | instskip(NEXT) | instid1(VALU_DEP_3)
	v_dual_add_f32 v9, v9, v93 :: v_dual_fma_f32 v93, v236, v132, -v101
	v_add_f32_e32 v7, v7, v15
	v_dual_fmac_f32 v19, v239, v134 :: v_dual_mul_f32 v23, v242, v139
	s_delay_alu instid0(VALU_DEP_3) | instskip(NEXT) | instid1(VALU_DEP_3)
	v_dual_mul_f32 v25, v244, v141 :: v_dual_add_f32 v9, v9, v95
	v_dual_add_f32 v7, v7, v17 :: v_dual_fmac_f32 v21, v241, v136
	v_dual_mul_f32 v91, v243, v139 :: v_dual_mul_f32 v11, v245, v141
	v_dual_mul_f32 v15, v249, v145 :: v_dual_fma_f32 v95, v238, v134, -v103
	s_delay_alu instid0(VALU_DEP_4) | instskip(NEXT) | instid1(VALU_DEP_4)
	v_dual_add_f32 v9, v9, v93 :: v_dual_mul_f32 v17, v255, v147
	v_dual_fma_f32 v93, v240, v136, -v105 :: v_dual_add_f32 v7, v7, v19
	s_delay_alu instid0(VALU_DEP_2) | instskip(SKIP_2) | instid1(VALU_DEP_4)
	v_dual_fmac_f32 v23, v243, v138 :: v_dual_add_f32 v9, v9, v95
	v_fma_f32 v91, v242, v138, -v91
	v_dual_mul_f32 v27, v246, v143 :: v_dual_mul_f32 v29, v248, v145
	v_add_f32_e32 v7, v7, v21
	s_delay_alu instid0(VALU_DEP_4) | instskip(NEXT) | instid1(VALU_DEP_3)
	v_dual_add_f32 v9, v9, v93 :: v_dual_fma_f32 v11, v244, v140, -v11
	v_dual_fmac_f32 v25, v245, v140 :: v_dual_fmac_f32 v27, v247, v142
	s_delay_alu instid0(VALU_DEP_3) | instskip(NEXT) | instid1(VALU_DEP_3)
	v_add_f32_e32 v7, v7, v23
	v_dual_add_f32 v9, v9, v91 :: v_dual_fma_f32 v13, v246, v142, -v13
	s_set_vgpr_msb 1                        ;  msbs: dst=0 src0=1 src1=0 src2=0
	v_dual_mul_f32 v33, v0 /*v256*/, v149 :: v_dual_mul_f32 v35, v2 /*v258*/, v151
	s_set_vgpr_msb 0                        ;  msbs: dst=0 src0=0 src1=0 src2=0
	s_delay_alu instid0(VALU_DEP_2)
	v_dual_add_f32 v7, v7, v25 :: v_dual_add_f32 v9, v9, v11
	v_dual_fma_f32 v15, v248, v144, -v15 :: v_dual_fmac_f32 v29, v249, v144
	s_set_vgpr_msb 1                        ;  msbs: dst=0 src0=1 src1=0 src2=0
	v_dual_mul_f32 v19, v1 /*v257*/, v149 :: v_dual_mul_f32 v21, v3 /*v259*/, v151
	s_set_vgpr_msb 0                        ;  msbs: dst=0 src0=0 src1=0 src2=0
	v_dual_add_f32 v7, v7, v27 :: v_dual_add_f32 v9, v9, v13
	v_dual_fmac_f32 v31, v255, v146 :: v_dual_fma_f32 v17, v254, v146, -v17
	s_set_vgpr_msb 1                        ;  msbs: dst=0 src0=1 src1=0 src2=0
	v_dual_fmac_f32 v33, v1 /*v257*/, v148 :: v_dual_fma_f32 v19, v0 /*v256*/, v148, -v19
	s_set_vgpr_msb 0                        ;  msbs: dst=0 src0=0 src1=0 src2=0
	v_add_f32_e32 v7, v7, v29
	s_set_vgpr_msb 1                        ;  msbs: dst=0 src0=1 src1=0 src2=0
	v_dual_mul_f32 v37, v4 /*v260*/, v153 :: v_dual_mul_f32 v39, v14 /*v270*/, v155
	v_dual_mul_f32 v23, v5 /*v261*/, v153 :: v_dual_mul_f32 v11, v15 /*v271*/, v155
	s_set_vgpr_msb 0                        ;  msbs: dst=0 src0=0 src1=0 src2=0
	v_add_f32_e32 v7, v7, v31
	v_add_f32_e32 v9, v9, v15
	s_set_vgpr_msb 1                        ;  msbs: dst=0 src0=1 src1=0 src2=0
	v_dual_fmac_f32 v35, v3 /*v259*/, v150 :: v_dual_fma_f32 v21, v2 /*v258*/, v150, -v21
	v_dual_fmac_f32 v37, v5 /*v261*/, v152 :: v_dual_fma_f32 v23, v4 /*v260*/, v152, -v23
	s_set_vgpr_msb 0                        ;  msbs: dst=0 src0=0 src1=0 src2=0
	v_add_f32_e32 v7, v7, v33
	v_add_f32_e32 v9, v9, v17
	s_set_vgpr_msb 1                        ;  msbs: dst=0 src0=1 src1=0 src2=0
	v_mul_f32_e32 v17, v21 /*v277*/, v161
	v_dual_mul_f32 v41, v16 /*v272*/, v157 :: v_dual_mul_f32 v43, v18 /*v274*/, v159
	s_set_vgpr_msb 0                        ;  msbs: dst=0 src0=0 src1=0 src2=0
	v_add_f32_e32 v7, v7, v35
	v_add_f32_e32 v9, v9, v19
	s_set_vgpr_msb 1                        ;  msbs: dst=0 src0=1 src1=0 src2=0
	v_dual_mul_f32 v13, v17 /*v273*/, v157 :: v_dual_mul_f32 v15, v19 /*v275*/, v159
	v_mul_f32_e32 v19, v27 /*v283*/, v163
	v_fmac_f32_e32 v39, v15 /*v271*/, v154
	s_set_vgpr_msb 0                        ;  msbs: dst=0 src0=0 src1=0 src2=0
	v_add_f32_e32 v7, v7, v37
	v_add_f32_e32 v9, v9, v21
	s_set_vgpr_msb 1                        ;  msbs: dst=0 src0=1 src1=0 src2=0
	v_mul_f32_e32 v21, v29 /*v285*/, v165
	v_dual_fmac_f32 v41, v17 /*v273*/, v156 :: v_dual_fmac_f32 v43, v19 /*v275*/, v158
	v_fma_f32 v13, v16 /*v272*/, v156, -v13
	s_set_vgpr_msb 0                        ;  msbs: dst=0 src0=0 src1=0 src2=0
	v_add_f32_e32 v7, v7, v39
	s_set_vgpr_msb 1                        ;  msbs: dst=0 src0=1 src1=0 src2=0
	v_dual_mul_f32 v45, v20 /*v276*/, v161 :: v_dual_mul_f32 v47, v26 /*v282*/, v163
	s_set_vgpr_msb 0                        ;  msbs: dst=0 src0=0 src1=0 src2=0
	v_add_f32_e32 v9, v9, v23
	s_set_vgpr_msb 1                        ;  msbs: dst=0 src0=1 src1=0 src2=0
	v_dual_fma_f32 v11, v14 /*v270*/, v154, -v11 :: v_dual_mul_f32 v23, v31 /*v287*/, v167
	s_set_vgpr_msb 0                        ;  msbs: dst=0 src0=0 src1=0 src2=0
	v_add_f32_e32 v7, v7, v41
	s_set_vgpr_msb 1                        ;  msbs: dst=0 src0=1 src1=0 src2=0
	v_dual_fmac_f32 v45, v21 /*v277*/, v160 :: v_dual_fmac_f32 v47, v27 /*v283*/, v162
	v_fma_f32 v17, v20 /*v276*/, v160, -v17
	v_dual_mul_f32 v49, v28 /*v284*/, v165 :: v_dual_mul_f32 v51, v30 /*v286*/, v167
	s_set_vgpr_msb 0                        ;  msbs: dst=0 src0=0 src1=0 src2=0
	v_add_f32_e32 v7, v7, v43
	v_add_f32_e32 v9, v9, v11
	s_set_vgpr_msb 1                        ;  msbs: dst=0 src0=1 src1=0 src2=0
	v_dual_mul_f32 v11, v33 /*v289*/, v169 :: v_dual_fma_f32 v15, v18 /*v274*/, v158, -v15
	v_dual_fmac_f32 v49, v29 /*v285*/, v164 :: v_dual_fmac_f32 v51, v31 /*v287*/, v166
	s_set_vgpr_msb 0                        ;  msbs: dst=0 src0=0 src1=0 src2=0
	v_add_f32_e32 v7, v7, v45
	v_add_f32_e32 v9, v9, v13
	s_set_vgpr_msb 1                        ;  msbs: dst=0 src0=1 src1=0 src2=0
	v_fma_f32 v21, v28 /*v284*/, v164, -v21
	v_dual_mul_f32 v53, v32 /*v288*/, v169 :: v_dual_mul_f32 v55, v34 /*v290*/, v171
	s_set_vgpr_msb 0                        ;  msbs: dst=0 src0=0 src1=0 src2=0
	v_add_f32_e32 v7, v7, v47
	s_set_vgpr_msb 1                        ;  msbs: dst=0 src0=1 src1=0 src2=0
	v_mul_f32_e32 v13, v35 /*v291*/, v171
	s_set_vgpr_msb 0                        ;  msbs: dst=0 src0=0 src1=0 src2=0
	v_add_f32_e32 v9, v9, v15
	s_set_vgpr_msb 1                        ;  msbs: dst=0 src0=1 src1=0 src2=0
	v_dual_mul_f32 v15, v37 /*v293*/, v173 :: v_dual_fma_f32 v19, v26 /*v282*/, v162, -v19
	s_set_vgpr_msb 0                        ;  msbs: dst=0 src0=0 src1=0 src2=0
	v_add_f32_e32 v7, v7, v49
	s_set_vgpr_msb 1                        ;  msbs: dst=0 src0=1 src1=0 src2=0
	v_dual_fmac_f32 v53, v33 /*v289*/, v168 :: v_dual_fma_f32 v11, v32 /*v288*/, v168, -v11
	s_set_vgpr_msb 0                        ;  msbs: dst=0 src0=0 src1=0 src2=0
	v_add_f32_e32 v9, v9, v17
	s_set_vgpr_msb 1                        ;  msbs: dst=0 src0=1 src1=0 src2=0
	v_dual_fmac_f32 v55, v35 /*v291*/, v170 :: v_dual_fma_f32 v13, v34 /*v290*/, v170, -v13
	s_set_vgpr_msb 0                        ;  msbs: dst=0 src0=0 src1=0 src2=0
	v_add_f32_e32 v7, v7, v51
	s_set_vgpr_msb 1                        ;  msbs: dst=0 src0=1 src1=0 src2=0
	v_dual_mul_f32 v57, v36 /*v292*/, v173 :: v_dual_mul_f32 v59, v38 /*v294*/, v175
	v_mul_f32_e32 v17, v39 /*v295*/, v175
	s_set_vgpr_msb 0                        ;  msbs: dst=0 src0=0 src1=0 src2=0
	v_dual_add_f32 v9, v9, v19 :: v_dual_add_f32 v7, v7, v53
	s_set_vgpr_msb 1                        ;  msbs: dst=0 src0=1 src1=0 src2=0
	v_dual_mul_f32 v19, v41 /*v297*/, v177 :: v_dual_fma_f32 v23, v30 /*v286*/, v166, -v23
	v_dual_fmac_f32 v57, v37 /*v293*/, v172 :: v_dual_fma_f32 v15, v36 /*v292*/, v172, -v15
	s_set_vgpr_msb 0                        ;  msbs: dst=0 src0=0 src1=0 src2=0
	v_add_f32_e32 v9, v9, v21
	s_set_vgpr_msb 1                        ;  msbs: dst=0 src0=1 src1=0 src2=0
	v_dual_fmac_f32 v59, v39 /*v295*/, v174 :: v_dual_fma_f32 v17, v38 /*v294*/, v174, -v17
	s_set_vgpr_msb 0                        ;  msbs: dst=0 src0=0 src1=0 src2=0
	v_add_f32_e32 v7, v7, v55
	s_set_vgpr_msb 1                        ;  msbs: dst=0 src0=1 src1=0 src2=0
	v_dual_mul_f32 v61, v40 /*v296*/, v177 :: v_dual_mul_f32 v63, v42 /*v298*/, v179
	v_mul_f32_e32 v21, v43 /*v299*/, v179
	s_set_vgpr_msb 0                        ;  msbs: dst=0 src0=0 src1=0 src2=0
	v_dual_add_f32 v9, v9, v23 :: v_dual_add_f32 v7, v7, v57
	s_set_vgpr_msb 1                        ;  msbs: dst=0 src0=1 src1=0 src2=0
	v_dual_fmac_f32 v61, v41 /*v297*/, v176 :: v_dual_fma_f32 v19, v40 /*v296*/, v176, -v19
	v_dual_fmac_f32 v63, v43 /*v299*/, v178 :: v_dual_fma_f32 v21, v42 /*v298*/, v178, -v21
	s_set_vgpr_msb 0                        ;  msbs: dst=0 src0=0 src1=0 src2=0
	v_add_f32_e32 v7, v7, v59
	v_add_f32_e32 v9, v9, v11
	s_set_vgpr_msb 1                        ;  msbs: dst=0 src0=1 src1=0 src2=0
	v_dual_mul_f32 v65, v44 /*v300*/, v181 :: v_dual_mul_f32 v67, v46 /*v302*/, v183
	v_dual_mul_f32 v23, v45 /*v301*/, v181 :: v_dual_mul_f32 v11, v47 /*v303*/, v183
	s_set_vgpr_msb 0                        ;  msbs: dst=0 src0=0 src1=0 src2=0
	v_add_f32_e32 v7, v7, v61
	v_add_f32_e32 v9, v9, v13
	s_set_vgpr_msb 1                        ;  msbs: dst=0 src0=1 src1=0 src2=0
	v_dual_fmac_f32 v65, v45 /*v301*/, v180 :: v_dual_fma_f32 v23, v44 /*v300*/, v180, -v23
	v_dual_mul_f32 v69, v48 /*v304*/, v185 :: v_dual_mul_f32 v71, v50 /*v306*/, v187
	s_set_vgpr_msb 0                        ;  msbs: dst=0 src0=0 src1=0 src2=0
	v_add_f32_e32 v7, v7, v63
	v_add_f32_e32 v9, v9, v15
	s_set_vgpr_msb 1                        ;  msbs: dst=0 src0=1 src1=0 src2=0
	v_dual_fmac_f32 v67, v47 /*v303*/, v182 :: v_dual_fmac_f32 v69, v49 /*v305*/, v184
	v_dual_mul_f32 v73, v52 /*v308*/, v189 :: v_dual_mul_f32 v75, v54 /*v310*/, v191
	s_set_vgpr_msb 0                        ;  msbs: dst=0 src0=0 src1=0 src2=0
	v_add_f32_e32 v7, v7, v65
	v_add_f32_e32 v9, v9, v17
	s_set_vgpr_msb 1                        ;  msbs: dst=0 src0=1 src1=0 src2=0
	v_dual_mul_f32 v77, v56 /*v312*/, v193 :: v_dual_mul_f32 v79, v58 /*v314*/, v195
	v_dual_fmac_f32 v71, v51 /*v307*/, v186 :: v_dual_fmac_f32 v73, v53 /*v309*/, v188
	s_set_vgpr_msb 0                        ;  msbs: dst=0 src0=0 src1=0 src2=0
	v_add_f32_e32 v7, v7, v67
	v_add_f32_e32 v9, v9, v19
	s_set_vgpr_msb 1                        ;  msbs: dst=0 src0=1 src1=0 src2=0
	v_fma_f32 v11, v46 /*v302*/, v182, -v11
	v_dual_fmac_f32 v79, v59 /*v315*/, v194 :: v_dual_mul_f32 v13, v49 /*v305*/, v185
	v_mul_f32_e32 v15, v51 /*v307*/, v187
	s_set_vgpr_msb 0                        ;  msbs: dst=0 src0=0 src1=0 src2=0
	v_add_f32_e32 v7, v7, v69
	v_add_f32_e32 v9, v9, v21
	s_set_vgpr_msb 1                        ;  msbs: dst=0 src0=1 src1=0 src2=0
	v_dual_mul_f32 v21, v57 /*v313*/, v193 :: v_dual_fmac_f32 v75, v55 /*v311*/, v190
	v_fmac_f32_e32 v77, v57 /*v313*/, v192
	v_fma_f32 v13, v48 /*v304*/, v184, -v13
	v_dual_mul_f32 v81, v60 /*v316*/, v197 :: v_dual_mul_f32 v83, v62 /*v318*/, v199
	s_delay_alu instid0(VALU_DEP_4)
	v_fma_f32 v21, v56 /*v312*/, v192, -v21
	s_set_vgpr_msb 0                        ;  msbs: dst=0 src0=0 src1=0 src2=0
	v_add_f32_e32 v7, v7, v71
	v_add_f32_e32 v9, v9, v23
	s_set_vgpr_msb 1                        ;  msbs: dst=0 src0=1 src1=0 src2=0
	v_dual_mul_f32 v23, v59 /*v315*/, v195 :: v_dual_mul_f32 v17, v53 /*v309*/, v189
	v_mul_f32_e32 v19, v55 /*v311*/, v191
	s_set_vgpr_msb 0                        ;  msbs: dst=0 src0=0 src1=0 src2=0
	v_add_f32_e32 v7, v7, v73
	s_set_vgpr_msb 1                        ;  msbs: dst=0 src0=1 src1=0 src2=0
	v_fma_f32 v15, v50 /*v306*/, v186, -v15
	s_wait_loadcnt 0x4
	s_set_vgpr_msb 0                        ;  msbs: dst=0 src0=0 src1=0 src2=0
	v_mov_b32_e32 v124, v213
	s_set_vgpr_msb 1                        ;  msbs: dst=0 src0=1 src1=0 src2=0
	v_fma_f32 v17, v52 /*v308*/, v188, -v17
	v_dual_mul_f32 v85, v64 /*v320*/, v201 :: v_dual_mul_f32 v87, v66 /*v322*/, v203
	s_set_vgpr_msb 0                        ;  msbs: dst=0 src0=0 src1=0 src2=0
	v_add_f32_e32 v7, v7, v75
	v_add_f32_e32 v9, v9, v11
	s_set_vgpr_msb 1                        ;  msbs: dst=0 src0=1 src1=0 src2=0
	v_dual_mul_f32 v11, v61 /*v317*/, v197 :: v_dual_fmac_f32 v81, v61 /*v317*/, v196
	v_fma_f32 v19, v54 /*v310*/, v190, -v19
	s_set_vgpr_msb 0                        ;  msbs: dst=0 src0=0 src1=0 src2=0
	v_add_f32_e32 v7, v7, v77
	v_add_f32_e32 v9, v9, v13
	s_set_vgpr_msb 1                        ;  msbs: dst=0 src0=1 src1=0 src2=0
	v_dual_mul_f32 v13, v63 /*v319*/, v199 :: v_dual_fma_f32 v11, v60 /*v316*/, v196, -v11
	v_dual_fmac_f32 v83, v63 /*v319*/, v198 :: v_dual_fmac_f32 v85, v65 /*v321*/, v200
	s_set_vgpr_msb 0                        ;  msbs: dst=0 src0=0 src1=0 src2=0
	v_add_f32_e32 v7, v7, v79
	v_add_f32_e32 v9, v9, v15
	s_set_vgpr_msb 1                        ;  msbs: dst=0 src0=1 src1=0 src2=0
	v_dual_mul_f32 v15, v65 /*v321*/, v201 :: v_dual_fma_f32 v23, v58 /*v314*/, v194, -v23
	v_dual_fmac_f32 v87, v67 /*v323*/, v202 :: v_dual_fmac_f32 v89, v69 /*v325*/, v204
	s_set_vgpr_msb 0                        ;  msbs: dst=0 src0=0 src1=0 src2=0
	v_add_f32_e32 v7, v7, v81
	v_add_f32_e32 v9, v9, v17
	s_wait_loadcnt 0x3
	v_mov_b32_e32 v128, v217
	s_set_vgpr_msb 1                        ;  msbs: dst=0 src0=1 src1=0 src2=0
	v_dual_fma_f32 v13, v62 /*v318*/, v198, -v13 :: v_dual_mul_f32 v17, v67 /*v323*/, v203
	s_set_vgpr_msb 0                        ;  msbs: dst=0 src0=0 src1=0 src2=0
	v_add_f32_e32 v7, v7, v83
	v_add_f32_e32 v9, v9, v19
	s_set_vgpr_msb 1                        ;  msbs: dst=0 src0=1 src1=0 src2=0
	v_mul_f32_e32 v19, v69 /*v325*/, v205
	s_wait_dscnt 0x0
	s_set_vgpr_msb 0x41                     ;  msbs: dst=1 src0=1 src1=0 src2=0
	v_dual_mul_f32 v85 /*v341*/, v70 /*v326*/, v207 :: v_dual_mul_f32 v87 /*v343*/, v72 /*v328*/, v209
	s_set_vgpr_msb 0                        ;  msbs: dst=0 src0=0 src1=0 src2=0
	v_add_f32_e32 v7, v7, v85
	v_add_f32_e32 v9, v9, v21
	s_set_vgpr_msb 1                        ;  msbs: dst=0 src0=1 src1=0 src2=0
	v_mul_f32_e32 v21, v71 /*v327*/, v207
	s_set_vgpr_msb 0                        ;  msbs: dst=0 src0=0 src1=0 src2=0
	v_pk_mul_f32 v[122:123], v[250:251], v[210:211] op_sel:[1,1] op_sel_hi:[0,1]
	s_set_vgpr_msb 0x41                     ;  msbs: dst=1 src0=1 src1=0 src2=0
	v_dual_fmac_f32 v85 /*v341*/, v71 /*v327*/, v206 :: v_dual_fmac_f32 v87 /*v343*/, v73 /*v329*/, v208
	s_set_vgpr_msb 0                        ;  msbs: dst=0 src0=0 src1=0 src2=0
	v_add_f32_e32 v7, v7, v87
	v_add_f32_e32 v9, v9, v23
	s_set_vgpr_msb 1                        ;  msbs: dst=0 src0=1 src1=0 src2=0
	v_mul_f32_e32 v23, v73 /*v329*/, v209
	s_set_vgpr_msb 0x41                     ;  msbs: dst=1 src0=1 src1=0 src2=0
	v_fma_f32 v84 /*v340*/, v70 /*v326*/, v206, -v21
	s_set_vgpr_msb 0                        ;  msbs: dst=0 src0=0 src1=0 src2=0
	v_pk_fma_f32 v[132:133], v[250:251], v[210:211], v[122:123] op_sel_hi:[1,0,1]
	v_dual_add_f32 v131, v7, v89 :: v_dual_add_f32 v9, v9, v11
	s_set_vgpr_msb 1                        ;  msbs: dst=0 src0=1 src1=0 src2=0
	v_fma_f32 v11, v64 /*v320*/, v200, -v15
	s_set_vgpr_msb 0x41                     ;  msbs: dst=1 src0=1 src1=0 src2=0
	v_fma_f32 v86 /*v342*/, v72 /*v328*/, v208, -v23
	s_set_vgpr_msb 1                        ;  msbs: dst=0 src0=1 src1=0 src2=0
	v_pk_mul_f32 v[124:125], v[76:77] /*v[332:333]*/, v[124:125] op_sel_hi:[1,0]
	s_set_vgpr_msb 0                        ;  msbs: dst=0 src0=0 src1=0 src2=0
	v_pk_fma_f32 v[122:123], v[250:251], v[210:211], v[122:123] neg_lo:[0,0,1] neg_hi:[0,0,1]
	v_add_f32_e32 v9, v9, v13
	s_set_vgpr_msb 1                        ;  msbs: dst=0 src0=1 src1=0 src2=0
	v_fma_f32 v13, v66 /*v322*/, v202, -v17
	v_pk_mul_f32 v[126:127], v[6:7] /*v[262:263]*/, v[214:215] op_sel:[1,1] op_sel_hi:[0,1]
	s_set_vgpr_msb 0                        ;  msbs: dst=0 src0=0 src1=0 src2=0
	v_mov_b32_e32 v123, v133
	v_pk_fma_f32 v[132:133], v[252:253], v[212:213], v[124:125] op_sel_hi:[1,0,1]
	v_add_f32_e32 v9, v9, v11
	s_set_vgpr_msb 1                        ;  msbs: dst=0 src0=1 src1=0 src2=0
	v_fma_f32 v11, v68 /*v324*/, v204, -v19
	s_set_vgpr_msb 0                        ;  msbs: dst=0 src0=0 src1=0 src2=0
	v_pk_fma_f32 v[124:125], v[252:253], v[212:213], v[124:125] neg_lo:[0,0,1] neg_hi:[0,0,1]
	s_set_vgpr_msb 1                        ;  msbs: dst=0 src0=1 src1=0 src2=0
	v_pk_fma_f32 v[136:137], v[6:7] /*v[262:263]*/, v[214:215], v[126:127] op_sel_hi:[1,0,1]
	v_pk_mul_f32 v[128:129], v[78:79] /*v[334:335]*/, v[128:129] op_sel_hi:[1,0]
	s_set_vgpr_msb 0                        ;  msbs: dst=0 src0=0 src1=0 src2=0
	v_add_f32_e32 v9, v9, v13
	v_mov_b32_e32 v125, v133
	s_wait_loadcnt 0x2
	s_set_vgpr_msb 1                        ;  msbs: dst=0 src0=1 src1=0 src2=0
	v_pk_mul_f32 v[134:135], v[10:11] /*v[266:267]*/, v[218:219] op_sel:[1,1] op_sel_hi:[0,1]
	v_pk_fma_f32 v[126:127], v[6:7] /*v[262:263]*/, v[214:215], v[126:127] neg_lo:[0,0,1] neg_hi:[0,0,1]
	s_set_vgpr_msb 0                        ;  msbs: dst=0 src0=0 src1=0 src2=0
	v_mov_b32_e32 v127, v137
	v_add_f32_e32 v130, v9, v11
	s_set_vgpr_msb 1                        ;  msbs: dst=0 src0=1 src1=0 src2=0
	v_pk_fma_f32 v[132:133], v[8:9] /*v[264:265]*/, v[216:217], v[128:129] op_sel_hi:[1,0,1]
	v_pk_fma_f32 v[128:129], v[8:9] /*v[264:265]*/, v[216:217], v[128:129] neg_lo:[0,0,1] neg_hi:[0,0,1]
	s_set_vgpr_msb 4                        ;  msbs: dst=0 src0=0 src1=1 src2=0
	v_pk_add_f32 v[130:131], v[130:131], v[84:85] /*v[340:341]*/
	s_delay_alu instid0(VALU_DEP_1) | instskip(SKIP_1) | instid1(VALU_DEP_1)
	v_pk_add_f32 v[130:131], v[130:131], v[86:87] /*v[342:343]*/
	s_set_vgpr_msb 0                        ;  msbs: dst=0 src0=0 src1=0 src2=0
	v_pk_add_f32 v[122:123], v[130:131], v[122:123]
	v_mov_b32_e32 v130, v221
	s_delay_alu instid0(VALU_DEP_2) | instskip(SKIP_2) | instid1(VALU_DEP_3)
	v_pk_add_f32 v[122:123], v[122:123], v[124:125]
	s_set_vgpr_msb 1                        ;  msbs: dst=0 src0=1 src1=0 src2=0
	v_pk_fma_f32 v[124:125], v[10:11] /*v[266:267]*/, v[218:219], v[134:135] op_sel_hi:[1,0,1]
	v_pk_mul_f32 v[130:131], v[80:81] /*v[336:337]*/, v[130:131] op_sel_hi:[1,0]
	s_set_vgpr_msb 0                        ;  msbs: dst=0 src0=0 src1=0 src2=0
	v_mov_b32_e32 v129, v133
	s_set_vgpr_msb 1                        ;  msbs: dst=0 src0=1 src1=0 src2=0
	v_pk_fma_f32 v[132:133], v[10:11] /*v[266:267]*/, v[218:219], v[134:135] neg_lo:[0,0,1] neg_hi:[0,0,1]
	s_set_vgpr_msb 0                        ;  msbs: dst=0 src0=0 src1=0 src2=0
	v_pk_add_f32 v[122:123], v[122:123], v[126:127]
	v_mov_b32_e32 v133, v125
	s_set_vgpr_msb 1                        ;  msbs: dst=0 src0=1 src1=0 src2=0
	v_pk_fma_f32 v[124:125], v[12:13] /*v[268:269]*/, v[220:221], v[130:131] op_sel_hi:[1,0,1]
	s_wait_loadcnt 0x1
	v_pk_mul_f32 v[126:127], v[22:23] /*v[278:279]*/, v[230:231] op_sel:[1,1] op_sel_hi:[0,1]
	s_set_vgpr_msb 0                        ;  msbs: dst=0 src0=0 src1=0 src2=0
	v_mov_b32_e32 v124, v233
	v_pk_add_f32 v[122:123], v[122:123], v[128:129]
	s_set_vgpr_msb 1                        ;  msbs: dst=0 src0=1 src1=0 src2=0
	v_pk_fma_f32 v[130:131], v[12:13] /*v[268:269]*/, v[220:221], v[130:131] neg_lo:[0,0,1] neg_hi:[0,0,1]
	s_set_vgpr_msb 0                        ;  msbs: dst=0 src0=0 src1=0 src2=0
	v_mov_b32_e32 v131, v125
	s_set_vgpr_msb 1                        ;  msbs: dst=0 src0=1 src1=0 src2=0
	v_pk_fma_f32 v[128:129], v[22:23] /*v[278:279]*/, v[230:231], v[126:127] op_sel_hi:[1,0,1]
	v_pk_mul_f32 v[124:125], v[82:83] /*v[338:339]*/, v[124:125] op_sel_hi:[1,0]
	s_set_vgpr_msb 0                        ;  msbs: dst=0 src0=0 src1=0 src2=0
	v_pk_add_f32 v[122:123], v[122:123], v[132:133]
	s_set_vgpr_msb 1                        ;  msbs: dst=0 src0=1 src1=0 src2=0
	v_pk_fma_f32 v[126:127], v[22:23] /*v[278:279]*/, v[230:231], v[126:127] neg_lo:[0,0,1] neg_hi:[0,0,1]
	s_set_vgpr_msb 0                        ;  msbs: dst=0 src0=0 src1=0 src2=0
	v_mov_b32_e32 v127, v129
	s_set_vgpr_msb 1                        ;  msbs: dst=0 src0=1 src1=0 src2=0
	v_pk_fma_f32 v[128:129], v[24:25] /*v[280:281]*/, v[232:233], v[124:125] op_sel_hi:[1,0,1]
	s_set_vgpr_msb 0                        ;  msbs: dst=0 src0=0 src1=0 src2=0
	v_pk_add_f32 v[122:123], v[122:123], v[130:131]
	s_set_vgpr_msb 1                        ;  msbs: dst=0 src0=1 src1=0 src2=0
	v_pk_fma_f32 v[124:125], v[24:25] /*v[280:281]*/, v[232:233], v[124:125] neg_lo:[0,0,1] neg_hi:[0,0,1]
	s_set_vgpr_msb 0                        ;  msbs: dst=0 src0=0 src1=0 src2=0
	v_mov_b32_e32 v125, v129
	v_pk_add_f32 v[122:123], v[122:123], v[126:127]
	s_delay_alu instid0(VALU_DEP_1) | instskip(SKIP_2) | instid1(VALU_DEP_1)
	v_pk_add_f32 v[122:123], v[122:123], v[124:125]
	s_wait_loadcnt 0x0
	s_set_vgpr_msb 1                        ;  msbs: dst=0 src0=1 src1=0 src2=0
	v_pk_add_f32 v[122:123], v[74:75] /*v[330:331]*/, v[122:123] neg_lo:[0,1] neg_hi:[0,1]
	scratch_store_b64 off, v[122:123], off offset:56
	s_wait_xcnt 0x0
	v_cmpx_lt_u32_e32 6, v0
	s_set_vgpr_msb 0                        ;  msbs: dst=0 src0=0 src1=0 src2=0
	s_cbranch_execz .LBB59_361
; %bb.360:
	scratch_load_b64 v[122:123], off, off offset:48
	v_mov_b64_e32 v[124:125], 0
	scratch_store_b64 off, v[124:125], off offset:48
	s_wait_loadcnt 0x0
	ds_store_b64 v1, v[122:123]
.LBB59_361:
	s_wait_xcnt 0x0
	s_or_b32 exec_lo, exec_lo, s0
	s_wait_storecnt_dscnt 0x0
	s_barrier_signal -1
	s_barrier_wait -1
	s_clause 0x1c
	scratch_load_b128 v[122:125], off, off offset:56
	scratch_load_b128 v[126:129], off, off offset:72
	;; [unrolled: 1-line block ×26, first 2 shown]
	s_set_vgpr_msb 64                       ;  msbs: dst=1 src0=0 src1=0 src2=0
	scratch_load_b64 v[74:75] /*v[330:331]*/, off, off offset:472
	scratch_load_b64 v[76:77] /*v[332:333]*/, off, off offset:48
	s_set_vgpr_msb 0                        ;  msbs: dst=0 src0=0 src1=0 src2=0
	v_mov_b32_e32 v7, 0
	ds_load_2addr_b64 v[226:229], v7 offset0:67 offset1:68
	ds_load_2addr_b64 v[230:233], v7 offset0:69 offset1:70
	;; [unrolled: 1-line block ×8, first 2 shown]
	s_set_vgpr_msb 64                       ;  msbs: dst=1 src0=0 src1=0 src2=0
	ds_load_2addr_b64 v[2:5] /*v[258:261]*/, v7 offset0:81 offset1:82
	ds_load_2addr_b64 v[6:9] /*v[262:265]*/, v7 offset0:113 offset1:114
	ds_load_2addr_b64 v[10:13] /*v[266:269]*/, v7 offset0:115 offset1:116
	ds_load_2addr_b64 v[14:17] /*v[270:273]*/, v7 offset0:83 offset1:84
	ds_load_2addr_b64 v[18:21] /*v[274:277]*/, v7 offset0:85 offset1:86
	ds_load_2addr_b64 v[22:25] /*v[278:281]*/, v7 offset0:117 offset1:118
	ds_load_2addr_b64 v[26:29] /*v[282:285]*/, v7 offset0:87 offset1:88
	ds_load_2addr_b64 v[30:33] /*v[286:289]*/, v7 offset0:89 offset1:90
	ds_load_2addr_b64 v[34:37] /*v[290:293]*/, v7 offset0:91 offset1:92
	ds_load_2addr_b64 v[38:41] /*v[294:297]*/, v7 offset0:93 offset1:94
	ds_load_2addr_b64 v[42:45] /*v[298:301]*/, v7 offset0:95 offset1:96
	ds_load_2addr_b64 v[46:49] /*v[302:305]*/, v7 offset0:97 offset1:98
	ds_load_2addr_b64 v[50:53] /*v[306:309]*/, v7 offset0:99 offset1:100
	ds_load_2addr_b64 v[54:57] /*v[310:313]*/, v7 offset0:101 offset1:102
	ds_load_2addr_b64 v[58:61] /*v[314:317]*/, v7 offset0:103 offset1:104
	ds_load_2addr_b64 v[62:65] /*v[318:321]*/, v7 offset0:105 offset1:106
	ds_load_2addr_b64 v[66:69] /*v[322:325]*/, v7 offset0:107 offset1:108
	ds_load_2addr_b64 v[70:73] /*v[326:329]*/, v7 offset0:109 offset1:110
	ds_load_b64 v[78:79] /*v[334:335]*/, v7 offset:952
	s_wait_dscnt 0x14
	v_dual_mov_b32 v80 /*v336*/, v253 :: v_dual_mov_b32 v81 /*v337*/, v252
	s_wait_dscnt 0x11
	s_set_vgpr_msb 0x41                     ;  msbs: dst=1 src0=1 src1=0 src2=0
	v_dual_mov_b32 v82 /*v338*/, v9 /*v265*/ :: v_dual_mov_b32 v83 /*v339*/, v8 /*v264*/
	s_wait_dscnt 0x10
	v_dual_mov_b32 v84 /*v340*/, v13 /*v269*/ :: v_dual_mov_b32 v85 /*v341*/, v12 /*v268*/
	s_wait_dscnt 0xd
	v_dual_mov_b32 v86 /*v342*/, v25 /*v281*/ :: v_dual_mov_b32 v87 /*v343*/, v24 /*v280*/
	s_mov_b32 s0, exec_lo
	s_wait_loadcnt 0x1b
	s_set_vgpr_msb 0                        ;  msbs: dst=0 src0=0 src1=0 src2=0
	v_dual_mul_f32 v9, v226, v123 :: v_dual_mul_f32 v95, v227, v123
	v_dual_mul_f32 v97, v229, v125 :: v_dual_mul_f32 v11, v228, v125
	s_wait_loadcnt 0x1a
	v_mul_f32_e32 v13, v230, v127
	s_wait_loadcnt 0x18
	v_dual_mul_f32 v107, v239, v135 :: v_dual_fma_f32 v95, v226, v122, -v95
	v_dual_fmac_f32 v9, v227, v122 :: v_dual_mul_f32 v109, v241, v137
	v_dual_mul_f32 v99, v231, v127 :: v_dual_mul_f32 v101, v233, v129
	v_dual_fmac_f32 v11, v229, v124 :: v_dual_fma_f32 v97, v228, v124, -v97
	s_delay_alu instid0(VALU_DEP_3) | instskip(SKIP_3) | instid1(VALU_DEP_3)
	v_dual_add_f32 v9, 0, v9 :: v_dual_add_f32 v95, 0, v95
	v_dual_mul_f32 v15, v232, v129 :: v_dual_mul_f32 v17, v234, v131
	s_wait_loadcnt 0x17
	v_dual_mul_f32 v111, v243, v139 :: v_dual_fma_f32 v99, v230, v126, -v99
	v_dual_fmac_f32 v13, v231, v126 :: v_dual_add_f32 v9, v9, v11
	s_delay_alu instid0(VALU_DEP_3) | instskip(SKIP_2) | instid1(VALU_DEP_3)
	v_dual_add_f32 v11, v95, v97 :: v_dual_fmac_f32 v15, v233, v128
	v_dual_mul_f32 v103, v235, v131 :: v_dual_mul_f32 v105, v237, v133
	v_dual_mul_f32 v95, v245, v141 :: v_dual_fma_f32 v97, v232, v128, -v101
	v_dual_add_f32 v9, v9, v13 :: v_dual_add_f32 v11, v11, v99
	v_dual_mul_f32 v19, v236, v133 :: v_dual_mul_f32 v21, v238, v135
	s_wait_loadcnt 0x16
	v_dual_mul_f32 v13, v247, v143 :: v_dual_fma_f32 v99, v234, v130, -v103
	s_delay_alu instid0(VALU_DEP_3) | instskip(NEXT) | instid1(VALU_DEP_3)
	v_dual_fmac_f32 v17, v235, v130 :: v_dual_add_f32 v9, v9, v15
	v_dual_add_f32 v11, v11, v97 :: v_dual_fmac_f32 v19, v237, v132
	v_dual_mul_f32 v15, v249, v145 :: v_dual_fma_f32 v97, v236, v132, -v105
	s_delay_alu instid0(VALU_DEP_2) | instskip(SKIP_3) | instid1(VALU_DEP_3)
	v_dual_add_f32 v9, v9, v17 :: v_dual_add_f32 v11, v11, v99
	v_dual_mul_f32 v23, v240, v137 :: v_dual_mul_f32 v25, v242, v139
	s_wait_loadcnt 0x15
	v_dual_mul_f32 v17, v255, v147 :: v_dual_fma_f32 v99, v238, v134, -v107
	v_dual_fmac_f32 v21, v239, v134 :: v_dual_add_f32 v9, v9, v19
	s_delay_alu instid0(VALU_DEP_3) | instskip(SKIP_2) | instid1(VALU_DEP_3)
	v_dual_add_f32 v11, v11, v97 :: v_dual_fmac_f32 v23, v241, v136
	v_fma_f32 v97, v240, v136, -v109
	v_dual_mul_f32 v27, v244, v141 :: v_dual_mul_f32 v29, v246, v143
	v_dual_add_f32 v9, v9, v21 :: v_dual_add_f32 v11, v11, v99
	v_dual_fma_f32 v99, v242, v138, -v111 :: v_dual_fmac_f32 v25, v243, v138
	s_delay_alu instid0(VALU_DEP_3) | instskip(NEXT) | instid1(VALU_DEP_3)
	v_fmac_f32_e32 v27, v245, v140
	v_dual_add_f32 v9, v9, v23 :: v_dual_add_f32 v11, v11, v97
	v_fma_f32 v95, v244, v140, -v95
	v_dual_mul_f32 v31, v248, v145 :: v_dual_mul_f32 v33, v254, v147
	s_delay_alu instid0(VALU_DEP_3) | instskip(SKIP_1) | instid1(VALU_DEP_3)
	v_dual_add_f32 v9, v9, v25 :: v_dual_add_f32 v11, v11, v99
	v_fma_f32 v13, v246, v142, -v13
	v_dual_fmac_f32 v29, v247, v142 :: v_dual_fmac_f32 v31, v249, v144
	s_delay_alu instid0(VALU_DEP_3) | instskip(NEXT) | instid1(VALU_DEP_4)
	v_add_f32_e32 v9, v9, v27
	v_dual_add_f32 v11, v11, v95 :: v_dual_fma_f32 v15, v248, v144, -v15
	s_wait_loadcnt 0x14
	s_set_vgpr_msb 1                        ;  msbs: dst=0 src0=1 src1=0 src2=0
	v_dual_mul_f32 v35, v0 /*v256*/, v149 :: v_dual_mul_f32 v37, v2 /*v258*/, v151
	s_set_vgpr_msb 0                        ;  msbs: dst=0 src0=0 src1=0 src2=0
	v_add_f32_e32 v9, v9, v29
	v_dual_add_f32 v11, v11, v13 :: v_dual_fma_f32 v17, v254, v146, -v17
	s_set_vgpr_msb 1                        ;  msbs: dst=0 src0=1 src1=0 src2=0
	v_dual_mul_f32 v19, v1 /*v257*/, v149 :: v_dual_mul_f32 v21, v3 /*v259*/, v151
	s_set_vgpr_msb 0                        ;  msbs: dst=0 src0=0 src1=0 src2=0
	v_dual_fmac_f32 v33, v255, v146 :: v_dual_add_f32 v9, v9, v31
	v_add_f32_e32 v11, v11, v15
	s_wait_loadcnt 0x12
	s_set_vgpr_msb 1                        ;  msbs: dst=0 src0=1 src1=0 src2=0
	v_dual_mul_f32 v15, v21 /*v277*/, v161 :: v_dual_fma_f32 v19, v0 /*v256*/, v148, -v19
	v_fmac_f32_e32 v35, v1 /*v257*/, v148
	s_set_vgpr_msb 0                        ;  msbs: dst=0 src0=0 src1=0 src2=0
	v_add_f32_e32 v9, v9, v33
	v_add_f32_e32 v11, v11, v17
	s_set_vgpr_msb 1                        ;  msbs: dst=0 src0=1 src1=0 src2=0
	v_dual_mul_f32 v39, v4 /*v260*/, v153 :: v_dual_mul_f32 v41, v14 /*v270*/, v155
	v_dual_mul_f32 v23, v5 /*v261*/, v153 :: v_dual_mul_f32 v25, v15 /*v271*/, v155
	s_wait_loadcnt_dscnt 0x110c
	v_mul_f32_e32 v17, v27 /*v283*/, v163
	v_fmac_f32_e32 v37, v3 /*v259*/, v150
	v_dual_fma_f32 v21, v2 /*v258*/, v150, -v21 :: v_dual_fmac_f32 v39, v5 /*v261*/, v152
	s_set_vgpr_msb 0                        ;  msbs: dst=0 src0=0 src1=0 src2=0
	v_add_f32_e32 v9, v9, v35
	v_add_f32_e32 v11, v11, v19
	s_set_vgpr_msb 1                        ;  msbs: dst=0 src0=1 src1=0 src2=0
	v_dual_mul_f32 v19, v29 /*v285*/, v165 :: v_dual_fma_f32 v23, v4 /*v260*/, v152, -v23
	v_dual_mul_f32 v43, v16 /*v272*/, v157 :: v_dual_mul_f32 v45, v18 /*v274*/, v159
	s_set_vgpr_msb 0                        ;  msbs: dst=0 src0=0 src1=0 src2=0
	v_add_f32_e32 v9, v9, v37
	v_add_f32_e32 v11, v11, v21
	s_set_vgpr_msb 1                        ;  msbs: dst=0 src0=1 src1=0 src2=0
	v_dual_mul_f32 v27, v17 /*v273*/, v157 :: v_dual_mul_f32 v13, v19 /*v275*/, v159
	s_wait_loadcnt_dscnt 0x100b
	v_mul_f32_e32 v21, v31 /*v287*/, v167
	v_fmac_f32_e32 v41, v15 /*v271*/, v154
	v_dual_fma_f32 v25, v14 /*v270*/, v154, -v25 :: v_dual_fmac_f32 v43, v17 /*v273*/, v156
	s_set_vgpr_msb 0                        ;  msbs: dst=0 src0=0 src1=0 src2=0
	v_add_f32_e32 v9, v9, v39
	v_add_f32_e32 v11, v11, v23
	s_set_vgpr_msb 1                        ;  msbs: dst=0 src0=1 src1=0 src2=0
	v_dual_mul_f32 v23, v33 /*v289*/, v169 :: v_dual_fma_f32 v27, v16 /*v272*/, v156, -v27
	v_dual_mul_f32 v47, v20 /*v276*/, v161 :: v_dual_mul_f32 v49, v26 /*v282*/, v163
	s_set_vgpr_msb 0                        ;  msbs: dst=0 src0=0 src1=0 src2=0
	v_add_f32_e32 v9, v9, v41
	v_add_f32_e32 v11, v11, v25
	s_wait_loadcnt_dscnt 0xf0a
	s_set_vgpr_msb 1                        ;  msbs: dst=0 src0=1 src1=0 src2=0
	v_mul_f32_e32 v25, v35 /*v291*/, v171
	v_fmac_f32_e32 v45, v19 /*v275*/, v158
	v_dual_fma_f32 v13, v18 /*v274*/, v158, -v13 :: v_dual_fmac_f32 v47, v21 /*v277*/, v160
	s_set_vgpr_msb 0                        ;  msbs: dst=0 src0=0 src1=0 src2=0
	v_add_f32_e32 v9, v9, v43
	v_add_f32_e32 v11, v11, v27
	s_set_vgpr_msb 1                        ;  msbs: dst=0 src0=1 src1=0 src2=0
	v_dual_mul_f32 v27, v37 /*v293*/, v173 :: v_dual_fma_f32 v15, v20 /*v276*/, v160, -v15
	v_dual_mul_f32 v51, v28 /*v284*/, v165 :: v_dual_mul_f32 v53, v30 /*v286*/, v167
	s_set_vgpr_msb 0                        ;  msbs: dst=0 src0=0 src1=0 src2=0
	v_add_f32_e32 v9, v9, v45
	v_add_f32_e32 v11, v11, v13
	s_wait_loadcnt_dscnt 0xe09
	s_set_vgpr_msb 1                        ;  msbs: dst=0 src0=1 src1=0 src2=0
	;; [unrolled: 14-line block ×10, first 2 shown]
	v_mul_f32_e32 v13, v71 /*v327*/, v207
	v_fmac_f32_e32 v81, v59 /*v315*/, v194
	v_dual_fma_f32 v17, v58 /*v314*/, v194, -v17 :: v_dual_fmac_f32 v83, v61 /*v317*/, v196
	s_set_vgpr_msb 0                        ;  msbs: dst=0 src0=0 src1=0 src2=0
	v_add_f32_e32 v9, v9, v79
	v_add_f32_e32 v11, v11, v15
	s_set_vgpr_msb 1                        ;  msbs: dst=0 src0=1 src1=0 src2=0
	v_dual_mul_f32 v15, v73 /*v329*/, v209 :: v_dual_fma_f32 v19, v60 /*v316*/, v196, -v19
	v_fmac_f32_e32 v85, v63 /*v319*/, v198
	s_set_vgpr_msb 0                        ;  msbs: dst=0 src0=0 src1=0 src2=0
	v_add_f32_e32 v9, v9, v81
	v_add_f32_e32 v11, v11, v17
	s_set_vgpr_msb 1                        ;  msbs: dst=0 src0=1 src1=0 src2=0
	v_dual_mul_f32 v87, v64 /*v320*/, v201 :: v_dual_mul_f32 v89, v66 /*v322*/, v203
	v_fma_f32 v21, v62 /*v318*/, v198, -v21
	s_set_vgpr_msb 0                        ;  msbs: dst=0 src0=0 src1=0 src2=0
	v_add_f32_e32 v9, v9, v83
	v_add_f32_e32 v11, v11, v19
	s_set_vgpr_msb 1                        ;  msbs: dst=0 src0=1 src1=0 src2=0
	v_fmac_f32_e32 v87, v65 /*v321*/, v200
	v_dual_fma_f32 v19, v64 /*v320*/, v200, -v23 :: v_dual_fmac_f32 v89, v67 /*v323*/, v202
	s_set_vgpr_msb 0                        ;  msbs: dst=0 src0=0 src1=0 src2=0
	v_add_f32_e32 v9, v9, v85
	v_add_f32_e32 v11, v11, v21
	s_set_vgpr_msb 1                        ;  msbs: dst=0 src0=1 src1=0 src2=0
	v_dual_mul_f32 v91, v68 /*v324*/, v205 :: v_dual_mul_f32 v93, v70 /*v326*/, v207
	v_fma_f32 v21, v66 /*v322*/, v202, -v25
	s_set_vgpr_msb 0                        ;  msbs: dst=0 src0=0 src1=0 src2=0
	v_add_f32_e32 v9, v9, v87
	s_wait_loadcnt 0x4
	v_dual_add_f32 v11, v11, v19 :: v_dual_mov_b32 v126, v217
	v_dual_mul_f32 v17, v251, v211 :: v_dual_mov_b32 v122, v213
	s_set_vgpr_msb 1                        ;  msbs: dst=0 src0=1 src1=0 src2=0
	v_fmac_f32_e32 v91, v69 /*v325*/, v204
	v_dual_fma_f32 v19, v68 /*v324*/, v204, -v27 :: v_dual_fmac_f32 v93, v71 /*v327*/, v206
	s_set_vgpr_msb 0                        ;  msbs: dst=0 src0=0 src1=0 src2=0
	v_add_f32_e32 v11, v11, v21
	v_add_f32_e32 v9, v9, v89
	s_set_vgpr_msb 0x41                     ;  msbs: dst=1 src0=1 src1=0 src2=0
	v_dual_mul_f32 v89 /*v345*/, v72 /*v328*/, v209 :: v_dual_fma_f32 v88 /*v344*/, v72 /*v328*/, v208, -v15
	s_set_vgpr_msb 1                        ;  msbs: dst=0 src0=1 src1=0 src2=0
	v_fma_f32 v13, v70 /*v326*/, v206, -v13
	s_set_vgpr_msb 0                        ;  msbs: dst=0 src0=0 src1=0 src2=0
	v_add_f32_e32 v11, v11, v19
	v_add_f32_e32 v9, v9, v91
	s_set_vgpr_msb 1                        ;  msbs: dst=0 src0=1 src1=0 src2=0
	v_pk_mul_f32 v[122:123], v[80:81] /*v[336:337]*/, v[122:123] op_sel_hi:[1,0]
	s_set_vgpr_msb 64                       ;  msbs: dst=1 src0=0 src1=0 src2=0
	v_dual_mul_f32 v91 /*v347*/, v250, v211 :: v_dual_fma_f32 v90 /*v346*/, v250, v210, -v17
	s_set_vgpr_msb 0x41                     ;  msbs: dst=1 src0=1 src1=0 src2=0
	v_fmac_f32_e32 v89 /*v345*/, v73 /*v329*/, v208
	s_wait_loadcnt 0x3
	s_set_vgpr_msb 0                        ;  msbs: dst=0 src0=0 src1=0 src2=0
	v_dual_add_f32 v130, v11, v13 :: v_dual_mov_b32 v132, v221
	v_pk_fma_f32 v[134:135], v[252:253], v[212:213], v[122:123] op_sel_hi:[1,0,1]
	v_add_f32_e32 v131, v9, v93
	v_pk_fma_f32 v[122:123], v[252:253], v[212:213], v[122:123] neg_lo:[0,0,1] neg_hi:[0,0,1]
	s_set_vgpr_msb 1                        ;  msbs: dst=0 src0=1 src1=0 src2=0
	v_pk_mul_f32 v[124:125], v[6:7] /*v[262:263]*/, v[214:215] op_sel:[1,1] op_sel_hi:[0,1]
	s_set_vgpr_msb 64                       ;  msbs: dst=1 src0=0 src1=0 src2=0
	v_fmac_f32_e32 v91 /*v347*/, v251, v210
	s_set_vgpr_msb 4                        ;  msbs: dst=0 src0=0 src1=1 src2=0
	v_mov_b32_e32 v123, v135
	v_pk_add_f32 v[130:131], v[130:131], v[88:89] /*v[344:345]*/
	s_set_vgpr_msb 1                        ;  msbs: dst=0 src0=1 src1=0 src2=0
	v_pk_mul_f32 v[126:127], v[82:83] /*v[338:339]*/, v[126:127] op_sel_hi:[1,0]
	v_pk_fma_f32 v[136:137], v[6:7] /*v[262:263]*/, v[214:215], v[124:125] op_sel_hi:[1,0,1]
	v_pk_fma_f32 v[124:125], v[6:7] /*v[262:263]*/, v[214:215], v[124:125] neg_lo:[0,0,1] neg_hi:[0,0,1]
	v_pk_mul_f32 v[128:129], v[10:11] /*v[266:267]*/, v[218:219] op_sel:[1,1] op_sel_hi:[0,1]
	s_set_vgpr_msb 4                        ;  msbs: dst=0 src0=0 src1=1 src2=0
	v_pk_add_f32 v[130:131], v[130:131], v[90:91] /*v[346:347]*/
	s_set_vgpr_msb 1                        ;  msbs: dst=0 src0=1 src1=0 src2=0
	v_pk_mul_f32 v[132:133], v[84:85] /*v[340:341]*/, v[132:133] op_sel_hi:[1,0]
	s_set_vgpr_msb 0                        ;  msbs: dst=0 src0=0 src1=0 src2=0
	v_mov_b32_e32 v125, v137
	s_set_vgpr_msb 1                        ;  msbs: dst=0 src0=1 src1=0 src2=0
	v_pk_fma_f32 v[136:137], v[8:9] /*v[264:265]*/, v[216:217], v[126:127] op_sel_hi:[1,0,1]
	v_pk_fma_f32 v[126:127], v[8:9] /*v[264:265]*/, v[216:217], v[126:127] neg_lo:[0,0,1] neg_hi:[0,0,1]
	s_set_vgpr_msb 0                        ;  msbs: dst=0 src0=0 src1=0 src2=0
	v_pk_add_f32 v[122:123], v[130:131], v[122:123]
	s_set_vgpr_msb 1                        ;  msbs: dst=0 src0=1 src1=0 src2=0
	v_pk_fma_f32 v[130:131], v[10:11] /*v[266:267]*/, v[218:219], v[128:129] op_sel_hi:[1,0,1]
	v_pk_fma_f32 v[128:129], v[10:11] /*v[266:267]*/, v[218:219], v[128:129] neg_lo:[0,0,1] neg_hi:[0,0,1]
	s_set_vgpr_msb 0                        ;  msbs: dst=0 src0=0 src1=0 src2=0
	v_mov_b32_e32 v127, v137
	s_wait_loadcnt 0x2
	s_set_vgpr_msb 1                        ;  msbs: dst=0 src0=1 src1=0 src2=0
	v_pk_mul_f32 v[134:135], v[22:23] /*v[278:279]*/, v[222:223] op_sel:[1,1] op_sel_hi:[0,1]
	s_set_vgpr_msb 0                        ;  msbs: dst=0 src0=0 src1=0 src2=0
	v_pk_add_f32 v[122:123], v[122:123], v[124:125]
	v_dual_mov_b32 v124, v225 :: v_dual_mov_b32 v129, v131
	s_set_vgpr_msb 1                        ;  msbs: dst=0 src0=1 src1=0 src2=0
	v_pk_fma_f32 v[130:131], v[12:13] /*v[268:269]*/, v[220:221], v[132:133] op_sel_hi:[1,0,1]
	v_pk_fma_f32 v[132:133], v[12:13] /*v[268:269]*/, v[220:221], v[132:133] neg_lo:[0,0,1] neg_hi:[0,0,1]
	s_set_vgpr_msb 0                        ;  msbs: dst=0 src0=0 src1=0 src2=0
	v_pk_add_f32 v[122:123], v[122:123], v[126:127]
	s_set_vgpr_msb 1                        ;  msbs: dst=0 src0=1 src1=0 src2=0
	v_pk_fma_f32 v[126:127], v[22:23] /*v[278:279]*/, v[222:223], v[134:135] op_sel_hi:[1,0,1]
	v_pk_mul_f32 v[124:125], v[86:87] /*v[342:343]*/, v[124:125] op_sel_hi:[1,0]
	s_set_vgpr_msb 0                        ;  msbs: dst=0 src0=0 src1=0 src2=0
	v_mov_b32_e32 v133, v131
	s_wait_loadcnt_dscnt 0x100
	s_set_vgpr_msb 5                        ;  msbs: dst=0 src0=1 src1=1 src2=0
	v_pk_mul_f32 v[130:131], v[78:79] /*v[334:335]*/, v[74:75] /*v[330:331]*/ op_sel:[1,1] op_sel_hi:[0,1]
	s_set_vgpr_msb 0                        ;  msbs: dst=0 src0=0 src1=0 src2=0
	v_pk_add_f32 v[122:123], v[122:123], v[128:129]
	s_set_vgpr_msb 1                        ;  msbs: dst=0 src0=1 src1=0 src2=0
	v_pk_fma_f32 v[128:129], v[22:23] /*v[278:279]*/, v[222:223], v[134:135] neg_lo:[0,0,1] neg_hi:[0,0,1]
	s_set_vgpr_msb 0                        ;  msbs: dst=0 src0=0 src1=0 src2=0
	v_mov_b32_e32 v129, v127
	s_set_vgpr_msb 1                        ;  msbs: dst=0 src0=1 src1=0 src2=0
	v_pk_fma_f32 v[126:127], v[24:25] /*v[280:281]*/, v[224:225], v[124:125] op_sel_hi:[1,0,1]
	v_pk_fma_f32 v[124:125], v[24:25] /*v[280:281]*/, v[224:225], v[124:125] neg_lo:[0,0,1] neg_hi:[0,0,1]
	s_set_vgpr_msb 0                        ;  msbs: dst=0 src0=0 src1=0 src2=0
	v_pk_add_f32 v[122:123], v[122:123], v[132:133]
	s_delay_alu instid0(VALU_DEP_3)
	v_mov_b32_e32 v125, v127
	s_set_vgpr_msb 5                        ;  msbs: dst=0 src0=1 src1=1 src2=0
	v_pk_fma_f32 v[126:127], v[78:79] /*v[334:335]*/, v[74:75] /*v[330:331]*/, v[130:131] op_sel_hi:[1,0,1]
	s_set_vgpr_msb 0                        ;  msbs: dst=0 src0=0 src1=0 src2=0
	v_pk_add_f32 v[122:123], v[122:123], v[128:129]
	s_set_vgpr_msb 5                        ;  msbs: dst=0 src0=1 src1=1 src2=0
	v_pk_fma_f32 v[128:129], v[78:79] /*v[334:335]*/, v[74:75] /*v[330:331]*/, v[130:131] neg_lo:[0,0,1] neg_hi:[0,0,1]
	s_set_vgpr_msb 0                        ;  msbs: dst=0 src0=0 src1=0 src2=0
	v_mov_b32_e32 v129, v127
	v_pk_add_f32 v[122:123], v[122:123], v[124:125]
	s_delay_alu instid0(VALU_DEP_1) | instskip(SKIP_2) | instid1(VALU_DEP_1)
	v_pk_add_f32 v[122:123], v[122:123], v[128:129]
	s_wait_loadcnt 0x0
	s_set_vgpr_msb 1                        ;  msbs: dst=0 src0=1 src1=0 src2=0
	v_pk_add_f32 v[122:123], v[76:77] /*v[332:333]*/, v[122:123] neg_lo:[0,1] neg_hi:[0,1]
	scratch_store_b64 off, v[122:123], off offset:48
	s_wait_xcnt 0x0
	v_cmpx_lt_u32_e32 5, v0
	s_set_vgpr_msb 0                        ;  msbs: dst=0 src0=0 src1=0 src2=0
	s_cbranch_execz .LBB59_363
; %bb.362:
	scratch_load_b64 v[122:123], off, off offset:40
	v_mov_b64_e32 v[124:125], 0
	scratch_store_b64 off, v[124:125], off offset:40
	s_wait_loadcnt 0x0
	ds_store_b64 v1, v[122:123]
.LBB59_363:
	s_wait_xcnt 0x0
	s_or_b32 exec_lo, exec_lo, s0
	s_wait_storecnt_dscnt 0x0
	s_barrier_signal -1
	s_barrier_wait -1
	ds_load_b128 v[122:125], v7 offset:528
	ds_load_b128 v[126:129], v7 offset:544
	;; [unrolled: 1-line block ×4, first 2 shown]
	s_clause 0x14
	scratch_load_b128 v[138:141], off, off offset:48
	scratch_load_b128 v[142:145], off, off offset:64
	;; [unrolled: 1-line block ×17, first 2 shown]
	s_set_vgpr_msb 64                       ;  msbs: dst=1 src0=0 src1=0 src2=0
	scratch_load_b128 v[6:9] /*v[262:265]*/, off, off offset:320
	scratch_load_b128 v[14:17] /*v[270:273]*/, off, off offset:336
	;; [unrolled: 1-line block ×3, first 2 shown]
	s_set_vgpr_msb 0                        ;  msbs: dst=0 src0=0 src1=0 src2=0
	ds_load_b128 v[154:157], v7 offset:592
	ds_load_b128 v[162:165], v7 offset:608
	s_set_vgpr_msb 64                       ;  msbs: dst=1 src0=0 src1=0 src2=0
	s_clause 0x1
	scratch_load_b128 v[30:33] /*v[286:289]*/, off, off offset:368
	scratch_load_b128 v[38:41] /*v[294:297]*/, off, off offset:384
	s_set_vgpr_msb 0                        ;  msbs: dst=0 src0=0 src1=0 src2=0
	ds_load_b128 v[170:173], v7 offset:624
	ds_load_b128 v[178:181], v7 offset:640
	;; [unrolled: 1-line block ×11, first 2 shown]
	s_set_vgpr_msb 64                       ;  msbs: dst=1 src0=0 src1=0 src2=0
	ds_load_b128 v[2:5] /*v[258:261]*/, v7 offset:800
	ds_load_b128 v[10:13] /*v[266:269]*/, v7 offset:816
	;; [unrolled: 1-line block ×4, first 2 shown]
	scratch_load_b128 v[46:49] /*v[302:305]*/, off, off offset:400
	ds_load_b128 v[26:29] /*v[282:285]*/, v7 offset:848
	ds_load_b128 v[34:37] /*v[290:293]*/, v7 offset:864
	s_clause 0x3
	scratch_load_b128 v[50:53] /*v[306:309]*/, off, off offset:416
	scratch_load_b128 v[54:57] /*v[310:313]*/, off, off offset:432
	;; [unrolled: 1-line block ×4, first 2 shown]
	s_mov_b32 s0, exec_lo
	s_wait_loadcnt_dscnt 0x1a16
	s_set_vgpr_msb 0                        ;  msbs: dst=0 src0=0 src1=0 src2=0
	v_dual_mul_f32 v9, v122, v139 :: v_dual_mul_f32 v11, v124, v141
	s_delay_alu instid0(VALU_DEP_1) | instskip(NEXT) | instid1(VALU_DEP_1)
	v_dual_fmac_f32 v9, v123, v138 :: v_dual_fmac_f32 v11, v125, v140
	v_add_f32_e32 v9, 0, v9
	s_delay_alu instid0(VALU_DEP_1) | instskip(SKIP_2) | instid1(VALU_DEP_1)
	v_add_f32_e32 v9, v9, v11
	s_wait_loadcnt_dscnt 0x1915
	v_mul_f32_e32 v11, v126, v143
	v_fmac_f32_e32 v11, v127, v142
	s_delay_alu instid0(VALU_DEP_1) | instskip(NEXT) | instid1(VALU_DEP_1)
	v_dual_add_f32 v9, v9, v11 :: v_dual_mul_f32 v11, v128, v145
	v_fmac_f32_e32 v11, v129, v144
	s_delay_alu instid0(VALU_DEP_1)
	v_add_f32_e32 v9, v9, v11
	s_wait_loadcnt_dscnt 0x1814
	v_mul_f32_e32 v11, v130, v147
	s_wait_loadcnt_dscnt 0x402
	s_set_vgpr_msb 0x45                     ;  msbs: dst=1 src0=1 src1=1 src2=0
	v_dual_mul_f32 v69 /*v325*/, v42 /*v298*/, v47 /*v303*/ :: v_dual_mul_f32 v71 /*v327*/, v44 /*v300*/, v49 /*v305*/
	s_set_vgpr_msb 0                        ;  msbs: dst=0 src0=0 src1=0 src2=0
	v_fmac_f32_e32 v11, v131, v146
	s_set_vgpr_msb 0x45                     ;  msbs: dst=1 src0=1 src1=1 src2=0
	s_delay_alu instid0(VALU_DEP_2) | instskip(SKIP_1) | instid1(VALU_DEP_2)
	v_dual_fmac_f32 v69 /*v325*/, v43 /*v299*/, v46 /*v302*/ :: v_dual_fmac_f32 v71 /*v327*/, v45 /*v301*/, v48 /*v304*/
	s_set_vgpr_msb 0                        ;  msbs: dst=0 src0=0 src1=0 src2=0
	v_dual_add_f32 v9, v9, v11 :: v_dual_mul_f32 v11, v132, v149
	s_delay_alu instid0(VALU_DEP_1) | instskip(NEXT) | instid1(VALU_DEP_1)
	v_fmac_f32_e32 v11, v133, v148
	v_add_f32_e32 v9, v9, v11
	v_mul_f32_e32 v11, v134, v151
	s_delay_alu instid0(VALU_DEP_1) | instskip(NEXT) | instid1(VALU_DEP_1)
	v_fmac_f32_e32 v11, v135, v150
	v_dual_add_f32 v9, v9, v11 :: v_dual_mul_f32 v11, v136, v153
	s_delay_alu instid0(VALU_DEP_1) | instskip(NEXT) | instid1(VALU_DEP_1)
	v_fmac_f32_e32 v11, v137, v152
	v_add_f32_e32 v9, v9, v11
	v_mul_f32_e32 v11, v154, v159
	s_delay_alu instid0(VALU_DEP_1) | instskip(NEXT) | instid1(VALU_DEP_1)
	v_fmac_f32_e32 v11, v155, v158
	;; [unrolled: 7-line block ×14, first 2 shown]
	v_add_f32_e32 v9, v9, v11
	s_set_vgpr_msb 4                        ;  msbs: dst=0 src0=0 src1=1 src2=0
	v_mul_f32_e32 v11, v252, v1 /*v257*/
	s_delay_alu instid0(VALU_DEP_1) | instskip(SKIP_1) | instid1(VALU_DEP_1)
	v_fmac_f32_e32 v11, v253, v0 /*v256*/
	s_set_vgpr_msb 0                        ;  msbs: dst=0 src0=0 src1=0 src2=0
	v_add_f32_e32 v9, v9, v11
	s_set_vgpr_msb 5                        ;  msbs: dst=0 src0=1 src1=1 src2=0
	v_mul_f32_e32 v11, v2 /*v258*/, v7 /*v263*/
	s_delay_alu instid0(VALU_DEP_1) | instskip(SKIP_1) | instid1(VALU_DEP_1)
	v_fmac_f32_e32 v11, v3 /*v259*/, v6 /*v262*/
	s_set_vgpr_msb 0                        ;  msbs: dst=0 src0=0 src1=0 src2=0
	v_add_f32_e32 v9, v9, v11
	s_set_vgpr_msb 5                        ;  msbs: dst=0 src0=1 src1=1 src2=0
	v_mul_f32_e32 v11, v4 /*v260*/, v9 /*v265*/
	s_delay_alu instid0(VALU_DEP_1) | instskip(SKIP_1) | instid1(VALU_DEP_1)
	v_fmac_f32_e32 v11, v5 /*v261*/, v8 /*v264*/
	;; [unrolled: 6-line block ×6, first 2 shown]
	s_set_vgpr_msb 0                        ;  msbs: dst=0 src0=0 src1=0 src2=0
	v_add_f32_e32 v9, v9, v11
	s_wait_dscnt 0x1
	s_set_vgpr_msb 5                        ;  msbs: dst=0 src0=1 src1=1 src2=0
	v_mul_f32_e32 v11, v26 /*v282*/, v31 /*v287*/
	s_delay_alu instid0(VALU_DEP_1) | instskip(SKIP_1) | instid1(VALU_DEP_1)
	v_fmac_f32_e32 v11, v27 /*v283*/, v30 /*v286*/
	s_set_vgpr_msb 0                        ;  msbs: dst=0 src0=0 src1=0 src2=0
	v_add_f32_e32 v9, v9, v11
	s_set_vgpr_msb 5                        ;  msbs: dst=0 src0=1 src1=1 src2=0
	v_mul_f32_e32 v11, v28 /*v284*/, v33 /*v289*/
	s_delay_alu instid0(VALU_DEP_1) | instskip(SKIP_1) | instid1(VALU_DEP_1)
	v_fmac_f32_e32 v11, v29 /*v285*/, v32 /*v288*/
	s_set_vgpr_msb 0                        ;  msbs: dst=0 src0=0 src1=0 src2=0
	v_add_f32_e32 v9, v9, v11
	s_wait_dscnt 0x0
	s_set_vgpr_msb 5                        ;  msbs: dst=0 src0=1 src1=1 src2=0
	v_mul_f32_e32 v11, v34 /*v290*/, v39 /*v295*/
	s_delay_alu instid0(VALU_DEP_1) | instskip(SKIP_1) | instid1(VALU_DEP_1)
	v_fmac_f32_e32 v11, v35 /*v291*/, v38 /*v294*/
	s_set_vgpr_msb 0                        ;  msbs: dst=0 src0=0 src1=0 src2=0
	v_add_f32_e32 v9, v9, v11
	s_set_vgpr_msb 5                        ;  msbs: dst=0 src0=1 src1=1 src2=0
	v_mul_f32_e32 v11, v36 /*v292*/, v41 /*v297*/
	s_delay_alu instid0(VALU_DEP_1) | instskip(SKIP_1) | instid1(VALU_DEP_1)
	v_fmac_f32_e32 v11, v37 /*v293*/, v40 /*v296*/
	s_set_vgpr_msb 64                       ;  msbs: dst=1 src0=0 src1=0 src2=0
	v_add_f32_e32 v67 /*v323*/, v9, v11
	s_set_vgpr_msb 0                        ;  msbs: dst=0 src0=0 src1=0 src2=0
	v_dual_mul_f32 v9, v123, v139 :: v_dual_mul_f32 v11, v125, v141
	s_delay_alu instid0(VALU_DEP_1) | instskip(NEXT) | instid1(VALU_DEP_1)
	v_dual_fma_f32 v9, v122, v138, -v9 :: v_dual_fma_f32 v11, v124, v140, -v11
	v_add_f32_e32 v9, 0, v9
	s_delay_alu instid0(VALU_DEP_1) | instskip(SKIP_1) | instid1(VALU_DEP_1)
	v_add_f32_e32 v9, v9, v11
	v_mul_f32_e32 v11, v127, v143
	v_fma_f32 v11, v126, v142, -v11
	s_delay_alu instid0(VALU_DEP_1) | instskip(SKIP_1) | instid1(VALU_DEP_1)
	v_add_f32_e32 v9, v9, v11
	v_mul_f32_e32 v11, v129, v145
	v_fma_f32 v11, v128, v144, -v11
	s_delay_alu instid0(VALU_DEP_1) | instskip(SKIP_1) | instid1(VALU_DEP_1)
	v_add_f32_e32 v9, v9, v11
	v_mul_f32_e32 v11, v131, v147
	v_fma_f32 v11, v130, v146, -v11
	s_delay_alu instid0(VALU_DEP_1) | instskip(SKIP_1) | instid1(VALU_DEP_1)
	v_add_f32_e32 v9, v9, v11
	v_mul_f32_e32 v11, v133, v149
	v_fma_f32 v11, v132, v148, -v11
	s_delay_alu instid0(VALU_DEP_1) | instskip(SKIP_1) | instid1(VALU_DEP_1)
	v_add_f32_e32 v9, v9, v11
	v_mul_f32_e32 v11, v135, v151
	v_fma_f32 v11, v134, v150, -v11
	s_delay_alu instid0(VALU_DEP_1) | instskip(SKIP_1) | instid1(VALU_DEP_1)
	v_add_f32_e32 v9, v9, v11
	v_mul_f32_e32 v11, v137, v153
	v_fma_f32 v11, v136, v152, -v11
	ds_load_b128 v[122:125], v7 offset:896
	ds_load_b128 v[126:129], v7 offset:912
	;; [unrolled: 1-line block ×4, first 2 shown]
	v_add_f32_e32 v9, v9, v11
	v_mul_f32_e32 v11, v155, v159
	s_delay_alu instid0(VALU_DEP_1) | instskip(NEXT) | instid1(VALU_DEP_1)
	v_fma_f32 v11, v154, v158, -v11
	v_add_f32_e32 v9, v9, v11
	v_mul_f32_e32 v11, v157, v161
	s_wait_loadcnt_dscnt 0x303
	s_set_vgpr_msb 4                        ;  msbs: dst=0 src0=0 src1=1 src2=0
	v_pk_mul_f32 v[140:141], v[122:123], v[50:51] /*v[306:307]*/ op_sel:[1,1] op_sel_hi:[0,1]
	s_set_vgpr_msb 0                        ;  msbs: dst=0 src0=0 src1=0 src2=0
	v_fma_f32 v11, v156, v160, -v11
	s_set_vgpr_msb 4                        ;  msbs: dst=0 src0=0 src1=1 src2=0
	s_delay_alu instid0(VALU_DEP_2)
	v_pk_fma_f32 v[142:143], v[122:123], v[50:51] /*v[306:307]*/, v[140:141] neg_lo:[0,0,1] neg_hi:[0,0,1]
	v_pk_fma_f32 v[122:123], v[122:123], v[50:51] /*v[306:307]*/, v[140:141] op_sel_hi:[1,0,1]
	s_set_vgpr_msb 1                        ;  msbs: dst=0 src0=1 src1=0 src2=0
	v_mov_b32_e32 v140, v53 /*v309*/
	s_set_vgpr_msb 0                        ;  msbs: dst=0 src0=0 src1=0 src2=0
	v_add_f32_e32 v9, v9, v11
	v_mul_f32_e32 v11, v163, v167
	s_delay_alu instid0(VALU_DEP_1) | instskip(NEXT) | instid1(VALU_DEP_1)
	v_dual_mov_b32 v143, v123 :: v_dual_fma_f32 v11, v162, v166, -v11
	v_add_f32_e32 v9, v9, v11
	v_mul_f32_e32 v11, v165, v169
	s_delay_alu instid0(VALU_DEP_1) | instskip(NEXT) | instid1(VALU_DEP_1)
	v_fma_f32 v11, v164, v168, -v11
	v_add_f32_e32 v9, v9, v11
	v_mul_f32_e32 v11, v171, v175
	s_delay_alu instid0(VALU_DEP_1) | instskip(NEXT) | instid1(VALU_DEP_1)
	v_fma_f32 v11, v170, v174, -v11
	;; [unrolled: 4-line block ×22, first 2 shown]
	v_add_f32_e32 v9, v9, v11
	s_set_vgpr_msb 4                        ;  msbs: dst=0 src0=0 src1=1 src2=0
	v_mul_f32_e32 v11, v253, v1 /*v257*/
	s_delay_alu instid0(VALU_DEP_1) | instskip(SKIP_1) | instid1(VALU_DEP_1)
	v_fma_f32 v11, v252, v0 /*v256*/, -v11
	s_set_vgpr_msb 0                        ;  msbs: dst=0 src0=0 src1=0 src2=0
	v_add_f32_e32 v9, v9, v11
	s_set_vgpr_msb 5                        ;  msbs: dst=0 src0=1 src1=1 src2=0
	v_mul_f32_e32 v11, v3 /*v259*/, v7 /*v263*/
	s_delay_alu instid0(VALU_DEP_1) | instskip(SKIP_1) | instid1(VALU_DEP_1)
	v_fma_f32 v11, v2 /*v258*/, v6 /*v262*/, -v11
	s_set_vgpr_msb 0                        ;  msbs: dst=0 src0=0 src1=0 src2=0
	v_add_f32_e32 v9, v9, v11
	s_set_vgpr_msb 5                        ;  msbs: dst=0 src0=1 src1=1 src2=0
	v_mul_f32_e32 v11, v5 /*v261*/, v9 /*v265*/
	s_delay_alu instid0(VALU_DEP_1) | instskip(SKIP_1) | instid1(VALU_DEP_1)
	v_fma_f32 v11, v4 /*v260*/, v8 /*v264*/, -v11
	s_set_vgpr_msb 0                        ;  msbs: dst=0 src0=0 src1=0 src2=0
	v_add_f32_e32 v9, v9, v11
	s_set_vgpr_msb 5                        ;  msbs: dst=0 src0=1 src1=1 src2=0
	v_mul_f32_e32 v11, v11 /*v267*/, v15 /*v271*/
	s_delay_alu instid0(VALU_DEP_1) | instskip(SKIP_1) | instid1(VALU_DEP_1)
	v_fma_f32 v11, v10 /*v266*/, v14 /*v270*/, -v11
	s_set_vgpr_msb 0                        ;  msbs: dst=0 src0=0 src1=0 src2=0
	v_add_f32_e32 v9, v9, v11
	s_set_vgpr_msb 5                        ;  msbs: dst=0 src0=1 src1=1 src2=0
	v_mul_f32_e32 v11, v13 /*v269*/, v17 /*v273*/
	s_delay_alu instid0(VALU_DEP_1) | instskip(SKIP_1) | instid1(VALU_DEP_1)
	v_fma_f32 v11, v12 /*v268*/, v16 /*v272*/, -v11
	s_set_vgpr_msb 0                        ;  msbs: dst=0 src0=0 src1=0 src2=0
	v_add_f32_e32 v9, v9, v11
	s_set_vgpr_msb 5                        ;  msbs: dst=0 src0=1 src1=1 src2=0
	v_mul_f32_e32 v11, v19 /*v275*/, v23 /*v279*/
	s_delay_alu instid0(VALU_DEP_1) | instskip(SKIP_1) | instid1(VALU_DEP_1)
	v_fma_f32 v11, v18 /*v274*/, v22 /*v278*/, -v11
	s_set_vgpr_msb 0                        ;  msbs: dst=0 src0=0 src1=0 src2=0
	v_add_f32_e32 v9, v9, v11
	s_set_vgpr_msb 5                        ;  msbs: dst=0 src0=1 src1=1 src2=0
	v_mul_f32_e32 v11, v21 /*v277*/, v25 /*v281*/
	s_delay_alu instid0(VALU_DEP_1) | instskip(SKIP_1) | instid1(VALU_DEP_1)
	v_fma_f32 v11, v20 /*v276*/, v24 /*v280*/, -v11
	s_set_vgpr_msb 0                        ;  msbs: dst=0 src0=0 src1=0 src2=0
	v_add_f32_e32 v9, v9, v11
	s_set_vgpr_msb 5                        ;  msbs: dst=0 src0=1 src1=1 src2=0
	v_mul_f32_e32 v11, v27 /*v283*/, v31 /*v287*/
	s_delay_alu instid0(VALU_DEP_1) | instskip(SKIP_1) | instid1(VALU_DEP_1)
	v_fma_f32 v11, v26 /*v282*/, v30 /*v286*/, -v11
	s_set_vgpr_msb 0                        ;  msbs: dst=0 src0=0 src1=0 src2=0
	v_add_f32_e32 v9, v9, v11
	s_set_vgpr_msb 5                        ;  msbs: dst=0 src0=1 src1=1 src2=0
	v_mul_f32_e32 v11, v29 /*v285*/, v33 /*v289*/
	s_delay_alu instid0(VALU_DEP_1) | instskip(SKIP_1) | instid1(VALU_DEP_1)
	v_fma_f32 v11, v28 /*v284*/, v32 /*v288*/, -v11
	s_set_vgpr_msb 0                        ;  msbs: dst=0 src0=0 src1=0 src2=0
	v_add_f32_e32 v9, v9, v11
	s_set_vgpr_msb 5                        ;  msbs: dst=0 src0=1 src1=1 src2=0
	v_mul_f32_e32 v11, v35 /*v291*/, v39 /*v295*/
	s_delay_alu instid0(VALU_DEP_1) | instskip(SKIP_1) | instid1(VALU_DEP_1)
	v_fma_f32 v11, v34 /*v290*/, v38 /*v294*/, -v11
	s_set_vgpr_msb 0                        ;  msbs: dst=0 src0=0 src1=0 src2=0
	v_add_f32_e32 v9, v9, v11
	s_set_vgpr_msb 5                        ;  msbs: dst=0 src0=1 src1=1 src2=0
	v_mul_f32_e32 v11, v37 /*v293*/, v41 /*v297*/
	s_delay_alu instid0(VALU_DEP_1) | instskip(SKIP_1) | instid1(VALU_DEP_1)
	v_fma_f32 v11, v36 /*v292*/, v40 /*v296*/, -v11
	s_set_vgpr_msb 64                       ;  msbs: dst=1 src0=0 src1=0 src2=0
	v_add_f32_e32 v66 /*v322*/, v9, v11
	s_set_vgpr_msb 5                        ;  msbs: dst=0 src0=1 src1=1 src2=0
	v_mul_f32_e32 v9, v43 /*v299*/, v47 /*v303*/
	s_set_vgpr_msb 0x45                     ;  msbs: dst=1 src0=1 src1=1 src2=0
	s_delay_alu instid0(VALU_DEP_1) | instskip(SKIP_3) | instid1(VALU_DEP_1)
	v_fma_f32 v68 /*v324*/, v42 /*v298*/, v46 /*v302*/, -v9
	s_set_vgpr_msb 5                        ;  msbs: dst=0 src0=1 src1=1 src2=0
	v_mul_f32_e32 v9, v45 /*v301*/, v49 /*v305*/
	s_set_vgpr_msb 0x45                     ;  msbs: dst=1 src0=1 src1=1 src2=0
	v_fma_f32 v70 /*v326*/, v44 /*v300*/, v48 /*v304*/, -v9
	s_set_vgpr_msb 5                        ;  msbs: dst=0 src0=1 src1=1 src2=0
	v_pk_add_f32 v[138:139], v[66:67] /*v[322:323]*/, v[68:69] /*v[324:325]*/
	s_set_vgpr_msb 4                        ;  msbs: dst=0 src0=0 src1=1 src2=0
	s_delay_alu instid0(VALU_DEP_1) | instskip(SKIP_1) | instid1(VALU_DEP_1)
	v_pk_add_f32 v[138:139], v[138:139], v[70:71] /*v[326:327]*/
	s_set_vgpr_msb 0                        ;  msbs: dst=0 src0=0 src1=0 src2=0
	v_pk_add_f32 v[122:123], v[138:139], v[142:143]
	v_dual_mov_b32 v138, v125 :: v_dual_mov_b32 v139, v124
	s_delay_alu instid0(VALU_DEP_1) | instskip(SKIP_1) | instid1(VALU_DEP_1)
	v_pk_mul_f32 v[138:139], v[138:139], v[140:141] op_sel_hi:[1,0]
	s_set_vgpr_msb 4                        ;  msbs: dst=0 src0=0 src1=1 src2=0
	v_pk_fma_f32 v[140:141], v[124:125], v[52:53] /*v[308:309]*/, v[138:139] neg_lo:[0,0,1] neg_hi:[0,0,1]
	v_pk_fma_f32 v[124:125], v[124:125], v[52:53] /*v[308:309]*/, v[138:139] op_sel_hi:[1,0,1]
	s_delay_alu instid0(VALU_DEP_1) | instskip(SKIP_3) | instid1(VALU_DEP_2)
	v_mov_b32_e32 v141, v125
	s_wait_loadcnt_dscnt 0x202
	v_pk_mul_f32 v[124:125], v[126:127], v[54:55] /*v[310:311]*/ op_sel:[1,1] op_sel_hi:[0,1]
	s_set_vgpr_msb 0                        ;  msbs: dst=0 src0=0 src1=0 src2=0
	v_pk_add_f32 v[122:123], v[122:123], v[140:141]
	s_set_vgpr_msb 4                        ;  msbs: dst=0 src0=0 src1=1 src2=0
	s_delay_alu instid0(VALU_DEP_2)
	v_pk_fma_f32 v[138:139], v[126:127], v[54:55] /*v[310:311]*/, v[124:125] neg_lo:[0,0,1] neg_hi:[0,0,1]
	v_pk_fma_f32 v[124:125], v[126:127], v[54:55] /*v[310:311]*/, v[124:125] op_sel_hi:[1,0,1]
	v_mov_b32_e32 v124, v129
	s_set_vgpr_msb 1                        ;  msbs: dst=0 src0=1 src1=0 src2=0
	v_mov_b32_e32 v126, v57 /*v313*/
	s_set_vgpr_msb 0                        ;  msbs: dst=0 src0=0 src1=0 src2=0
	v_dual_mov_b32 v139, v125 :: v_dual_mov_b32 v125, v128
	s_delay_alu instid0(VALU_DEP_1) | instskip(NEXT) | instid1(VALU_DEP_2)
	v_pk_add_f32 v[122:123], v[122:123], v[138:139]
	v_pk_mul_f32 v[124:125], v[124:125], v[126:127] op_sel_hi:[1,0]
	s_set_vgpr_msb 4                        ;  msbs: dst=0 src0=0 src1=1 src2=0
	s_delay_alu instid0(VALU_DEP_1) | instskip(SKIP_1) | instid1(VALU_DEP_1)
	v_pk_fma_f32 v[126:127], v[128:129], v[56:57] /*v[312:313]*/, v[124:125] neg_lo:[0,0,1] neg_hi:[0,0,1]
	v_pk_fma_f32 v[124:125], v[128:129], v[56:57] /*v[312:313]*/, v[124:125] op_sel_hi:[1,0,1]
	v_mov_b32_e32 v127, v125
	s_wait_loadcnt_dscnt 0x101
	v_pk_mul_f32 v[124:125], v[130:131], v[58:59] /*v[314:315]*/ op_sel:[1,1] op_sel_hi:[0,1]
	s_set_vgpr_msb 0                        ;  msbs: dst=0 src0=0 src1=0 src2=0
	s_delay_alu instid0(VALU_DEP_2) | instskip(SKIP_1) | instid1(VALU_DEP_2)
	v_pk_add_f32 v[122:123], v[122:123], v[126:127]
	s_set_vgpr_msb 4                        ;  msbs: dst=0 src0=0 src1=1 src2=0
	v_pk_fma_f32 v[126:127], v[130:131], v[58:59] /*v[314:315]*/, v[124:125] neg_lo:[0,0,1] neg_hi:[0,0,1]
	v_pk_fma_f32 v[124:125], v[130:131], v[58:59] /*v[314:315]*/, v[124:125] op_sel_hi:[1,0,1]
	s_delay_alu instid0(VALU_DEP_1) | instskip(SKIP_2) | instid1(VALU_DEP_2)
	v_dual_mov_b32 v124, v133 :: v_dual_mov_b32 v127, v125
	v_mov_b32_e32 v125, v132
	s_set_vgpr_msb 0                        ;  msbs: dst=0 src0=0 src1=0 src2=0
	v_pk_add_f32 v[122:123], v[122:123], v[126:127]
	s_set_vgpr_msb 1                        ;  msbs: dst=0 src0=1 src1=0 src2=0
	v_mov_b32_e32 v126, v61 /*v317*/
	s_set_vgpr_msb 0                        ;  msbs: dst=0 src0=0 src1=0 src2=0
	s_delay_alu instid0(VALU_DEP_1) | instskip(SKIP_1) | instid1(VALU_DEP_1)
	v_pk_mul_f32 v[124:125], v[124:125], v[126:127] op_sel_hi:[1,0]
	s_set_vgpr_msb 4                        ;  msbs: dst=0 src0=0 src1=1 src2=0
	v_pk_fma_f32 v[126:127], v[132:133], v[60:61] /*v[316:317]*/, v[124:125] neg_lo:[0,0,1] neg_hi:[0,0,1]
	v_pk_fma_f32 v[124:125], v[132:133], v[60:61] /*v[316:317]*/, v[124:125] op_sel_hi:[1,0,1]
	s_delay_alu instid0(VALU_DEP_1) | instskip(SKIP_3) | instid1(VALU_DEP_2)
	v_mov_b32_e32 v127, v125
	s_wait_loadcnt_dscnt 0x0
	v_pk_mul_f32 v[124:125], v[134:135], v[62:63] /*v[318:319]*/ op_sel:[1,1] op_sel_hi:[0,1]
	s_set_vgpr_msb 0                        ;  msbs: dst=0 src0=0 src1=0 src2=0
	v_pk_add_f32 v[122:123], v[122:123], v[126:127]
	s_set_vgpr_msb 4                        ;  msbs: dst=0 src0=0 src1=1 src2=0
	s_delay_alu instid0(VALU_DEP_2) | instskip(SKIP_1) | instid1(VALU_DEP_1)
	v_pk_fma_f32 v[126:127], v[134:135], v[62:63] /*v[318:319]*/, v[124:125] neg_lo:[0,0,1] neg_hi:[0,0,1]
	v_pk_fma_f32 v[124:125], v[134:135], v[62:63] /*v[318:319]*/, v[124:125] op_sel_hi:[1,0,1]
	v_dual_mov_b32 v124, v137 :: v_dual_mov_b32 v127, v125
	v_mov_b32_e32 v125, v136
	s_set_vgpr_msb 0                        ;  msbs: dst=0 src0=0 src1=0 src2=0
	s_delay_alu instid0(VALU_DEP_2) | instskip(SKIP_3) | instid1(VALU_DEP_1)
	v_pk_add_f32 v[122:123], v[122:123], v[126:127]
	s_set_vgpr_msb 1                        ;  msbs: dst=0 src0=1 src1=0 src2=0
	v_mov_b32_e32 v126, v65 /*v321*/
	s_set_vgpr_msb 0                        ;  msbs: dst=0 src0=0 src1=0 src2=0
	v_pk_mul_f32 v[124:125], v[124:125], v[126:127] op_sel_hi:[1,0]
	s_set_vgpr_msb 4                        ;  msbs: dst=0 src0=0 src1=1 src2=0
	s_delay_alu instid0(VALU_DEP_1) | instskip(SKIP_1) | instid1(VALU_DEP_1)
	v_pk_fma_f32 v[126:127], v[136:137], v[64:65] /*v[320:321]*/, v[124:125] neg_lo:[0,0,1] neg_hi:[0,0,1]
	v_pk_fma_f32 v[124:125], v[136:137], v[64:65] /*v[320:321]*/, v[124:125] op_sel_hi:[1,0,1]
	v_mov_b32_e32 v127, v125
	scratch_load_b64 v[124:125], off, off offset:40
	s_set_vgpr_msb 0                        ;  msbs: dst=0 src0=0 src1=0 src2=0
	v_pk_add_f32 v[122:123], v[122:123], v[126:127]
	s_wait_loadcnt 0x0
	s_delay_alu instid0(VALU_DEP_1)
	v_pk_add_f32 v[122:123], v[124:125], v[122:123] neg_lo:[0,1] neg_hi:[0,1]
	scratch_store_b64 off, v[122:123], off offset:40
	s_wait_xcnt 0x0
	v_cmpx_lt_u32_e32 4, v0
	s_cbranch_execz .LBB59_365
; %bb.364:
	scratch_load_b64 v[122:123], off, off offset:32
	v_mov_b64_e32 v[124:125], 0
	scratch_store_b64 off, v[124:125], off offset:32
	s_wait_loadcnt 0x0
	ds_store_b64 v1, v[122:123]
.LBB59_365:
	s_wait_xcnt 0x0
	s_or_b32 exec_lo, exec_lo, s0
	s_wait_storecnt_dscnt 0x0
	s_barrier_signal -1
	s_barrier_wait -1
	s_clause 0xf
	scratch_load_b128 v[126:129], off, off offset:40
	scratch_load_b128 v[134:137], off, off offset:56
	scratch_load_b128 v[142:145], off, off offset:72
	scratch_load_b128 v[150:153], off, off offset:88
	scratch_load_b128 v[158:161], off, off offset:104
	scratch_load_b128 v[166:169], off, off offset:120
	scratch_load_b128 v[174:177], off, off offset:136
	scratch_load_b128 v[182:185], off, off offset:152
	scratch_load_b128 v[190:193], off, off offset:168
	scratch_load_b128 v[198:201], off, off offset:184
	scratch_load_b128 v[206:209], off, off offset:200
	scratch_load_b128 v[214:217], off, off offset:216
	scratch_load_b128 v[222:225], off, off offset:232
	scratch_load_b128 v[230:233], off, off offset:248
	scratch_load_b128 v[238:241], off, off offset:264
	scratch_load_b128 v[246:249], off, off offset:280
	v_mov_b32_e32 v7, 0
	s_clause 0x4
	scratch_load_b128 v[254:257], off, off offset:296
	s_set_vgpr_msb 64                       ;  msbs: dst=1 src0=0 src1=0 src2=0
	scratch_load_b128 v[6:9] /*v[262:265]*/, off, off offset:312
	scratch_load_b128 v[14:17] /*v[270:273]*/, off, off offset:328
	scratch_load_b128 v[22:25] /*v[278:281]*/, off, off offset:344
	s_set_vgpr_msb 0                        ;  msbs: dst=0 src0=0 src1=0 src2=0
	ds_load_2addr_b64 v[122:125], v7 offset0:65 offset1:66
	ds_load_2addr_b64 v[130:133], v7 offset0:67 offset1:68
	s_set_vgpr_msb 64                       ;  msbs: dst=1 src0=0 src1=0 src2=0
	s_clause 0x3
	scratch_load_b128 v[30:33] /*v[286:289]*/, off, off offset:360
	scratch_load_b128 v[38:41] /*v[294:297]*/, off, off offset:376
	scratch_load_b128 v[46:49] /*v[302:305]*/, off, off offset:392
	scratch_load_b128 v[54:57] /*v[310:313]*/, off, off offset:408
	s_mov_b32 s0, exec_lo
	s_wait_loadcnt_dscnt 0x1701
	s_set_vgpr_msb 0                        ;  msbs: dst=0 src0=0 src1=0 src2=0
	v_dual_mul_f32 v9, v122, v127 :: v_dual_mul_f32 v11, v124, v129
	ds_load_2addr_b64 v[138:141], v7 offset0:69 offset1:70
	ds_load_2addr_b64 v[146:149], v7 offset0:71 offset1:72
	;; [unrolled: 1-line block ×4, first 2 shown]
	v_dual_fmac_f32 v9, v123, v126 :: v_dual_fmac_f32 v11, v125, v128
	ds_load_2addr_b64 v[170:173], v7 offset0:77 offset1:78
	ds_load_2addr_b64 v[178:181], v7 offset0:79 offset1:80
	;; [unrolled: 1-line block ×4, first 2 shown]
	v_add_f32_e32 v9, 0, v9
	ds_load_2addr_b64 v[202:205], v7 offset0:85 offset1:86
	ds_load_2addr_b64 v[210:213], v7 offset0:87 offset1:88
	ds_load_2addr_b64 v[218:221], v7 offset0:89 offset1:90
	ds_load_2addr_b64 v[226:229], v7 offset0:91 offset1:92
	v_add_f32_e32 v9, v9, v11
	s_wait_loadcnt_dscnt 0x160c
	v_mul_f32_e32 v11, v130, v135
	ds_load_2addr_b64 v[234:237], v7 offset0:93 offset1:94
	ds_load_2addr_b64 v[242:245], v7 offset0:95 offset1:96
	;; [unrolled: 1-line block ×3, first 2 shown]
	s_set_vgpr_msb 64                       ;  msbs: dst=1 src0=0 src1=0 src2=0
	ds_load_2addr_b64 v[2:5] /*v[258:261]*/, v7 offset0:99 offset1:100
	s_set_vgpr_msb 0                        ;  msbs: dst=0 src0=0 src1=0 src2=0
	v_fmac_f32_e32 v11, v131, v134
	s_set_vgpr_msb 64                       ;  msbs: dst=1 src0=0 src1=0 src2=0
	ds_load_2addr_b64 v[10:13] /*v[266:269]*/, v7 offset0:101 offset1:102
	ds_load_2addr_b64 v[18:21] /*v[274:277]*/, v7 offset0:103 offset1:104
	;; [unrolled: 1-line block ×4, first 2 shown]
	s_set_vgpr_msb 0                        ;  msbs: dst=0 src0=0 src1=0 src2=0
	v_dual_add_f32 v9, v9, v11 :: v_dual_mul_f32 v11, v132, v137
	s_set_vgpr_msb 64                       ;  msbs: dst=1 src0=0 src1=0 src2=0
	ds_load_2addr_b64 v[26:29] /*v[282:285]*/, v7 offset0:105 offset1:106
	ds_load_2addr_b64 v[34:37] /*v[290:293]*/, v7 offset0:107 offset1:108
	s_clause 0x3
	scratch_load_b128 v[58:61] /*v[314:317]*/, off, off offset:424
	scratch_load_b128 v[62:65] /*v[318:321]*/, off, off offset:440
	;; [unrolled: 1-line block ×3, first 2 shown]
	scratch_load_b64 v[76:77] /*v[332:333]*/, off, off offset:472
	s_set_vgpr_msb 0                        ;  msbs: dst=0 src0=0 src1=0 src2=0
	v_fmac_f32_e32 v11, v133, v136
	s_delay_alu instid0(VALU_DEP_1) | instskip(SKIP_2) | instid1(VALU_DEP_1)
	v_add_f32_e32 v9, v9, v11
	s_wait_loadcnt_dscnt 0x1915
	v_mul_f32_e32 v11, v138, v143
	v_fmac_f32_e32 v11, v139, v142
	s_wait_loadcnt_dscnt 0x402
	s_set_vgpr_msb 0x45                     ;  msbs: dst=1 src0=1 src1=1 src2=0
	v_dual_mul_f32 v73 /*v329*/, v44 /*v300*/, v49 /*v305*/ :: v_dual_mul_f32 v75 /*v331*/, v50 /*v306*/, v55 /*v311*/
	s_set_vgpr_msb 0                        ;  msbs: dst=0 src0=0 src1=0 src2=0
	v_dual_add_f32 v9, v9, v11 :: v_dual_mul_f32 v11, v140, v145
	s_set_vgpr_msb 0x45                     ;  msbs: dst=1 src0=1 src1=1 src2=0
	s_delay_alu instid0(VALU_DEP_2) | instskip(SKIP_1) | instid1(VALU_DEP_2)
	v_dual_fmac_f32 v73 /*v329*/, v45 /*v301*/, v48 /*v304*/ :: v_dual_fmac_f32 v75 /*v331*/, v51 /*v307*/, v54 /*v310*/
	s_set_vgpr_msb 0                        ;  msbs: dst=0 src0=0 src1=0 src2=0
	v_fmac_f32_e32 v11, v141, v144
	s_delay_alu instid0(VALU_DEP_1) | instskip(SKIP_1) | instid1(VALU_DEP_1)
	v_add_f32_e32 v9, v9, v11
	v_mul_f32_e32 v11, v146, v151
	v_fmac_f32_e32 v11, v147, v150
	s_delay_alu instid0(VALU_DEP_1) | instskip(NEXT) | instid1(VALU_DEP_1)
	v_dual_add_f32 v9, v9, v11 :: v_dual_mul_f32 v11, v148, v153
	v_fmac_f32_e32 v11, v149, v152
	s_delay_alu instid0(VALU_DEP_1) | instskip(SKIP_1) | instid1(VALU_DEP_1)
	v_add_f32_e32 v9, v9, v11
	v_mul_f32_e32 v11, v154, v159
	v_fmac_f32_e32 v11, v155, v158
	s_delay_alu instid0(VALU_DEP_1) | instskip(NEXT) | instid1(VALU_DEP_1)
	v_dual_add_f32 v9, v9, v11 :: v_dual_mul_f32 v11, v156, v161
	;; [unrolled: 7-line block ×13, first 2 shown]
	v_fmac_f32_e32 v11, v245, v248
	s_delay_alu instid0(VALU_DEP_1) | instskip(SKIP_1) | instid1(VALU_DEP_1)
	v_add_f32_e32 v9, v9, v11
	v_mul_f32_e32 v11, v250, v255
	v_fmac_f32_e32 v11, v251, v254
	s_delay_alu instid0(VALU_DEP_1) | instskip(SKIP_2) | instid1(VALU_DEP_1)
	v_add_f32_e32 v9, v9, v11
	s_set_vgpr_msb 4                        ;  msbs: dst=0 src0=0 src1=1 src2=0
	v_mul_f32_e32 v11, v252, v1 /*v257*/
	v_fmac_f32_e32 v11, v253, v0 /*v256*/
	s_set_vgpr_msb 0                        ;  msbs: dst=0 src0=0 src1=0 src2=0
	s_delay_alu instid0(VALU_DEP_1) | instskip(SKIP_2) | instid1(VALU_DEP_1)
	v_add_f32_e32 v9, v9, v11
	s_set_vgpr_msb 5                        ;  msbs: dst=0 src0=1 src1=1 src2=0
	v_mul_f32_e32 v11, v2 /*v258*/, v7 /*v263*/
	v_fmac_f32_e32 v11, v3 /*v259*/, v6 /*v262*/
	s_set_vgpr_msb 0                        ;  msbs: dst=0 src0=0 src1=0 src2=0
	s_delay_alu instid0(VALU_DEP_1) | instskip(SKIP_2) | instid1(VALU_DEP_1)
	v_add_f32_e32 v9, v9, v11
	s_set_vgpr_msb 5                        ;  msbs: dst=0 src0=1 src1=1 src2=0
	v_mul_f32_e32 v11, v4 /*v260*/, v9 /*v265*/
	v_fmac_f32_e32 v11, v5 /*v261*/, v8 /*v264*/
	;; [unrolled: 6-line block ×6, first 2 shown]
	s_set_vgpr_msb 0                        ;  msbs: dst=0 src0=0 src1=0 src2=0
	s_delay_alu instid0(VALU_DEP_1) | instskip(SKIP_3) | instid1(VALU_DEP_1)
	v_add_f32_e32 v9, v9, v11
	s_wait_dscnt 0x1
	s_set_vgpr_msb 5                        ;  msbs: dst=0 src0=1 src1=1 src2=0
	v_mul_f32_e32 v11, v26 /*v282*/, v31 /*v287*/
	v_fmac_f32_e32 v11, v27 /*v283*/, v30 /*v286*/
	s_set_vgpr_msb 0                        ;  msbs: dst=0 src0=0 src1=0 src2=0
	s_delay_alu instid0(VALU_DEP_1) | instskip(SKIP_2) | instid1(VALU_DEP_1)
	v_add_f32_e32 v9, v9, v11
	s_set_vgpr_msb 5                        ;  msbs: dst=0 src0=1 src1=1 src2=0
	v_mul_f32_e32 v11, v28 /*v284*/, v33 /*v289*/
	v_fmac_f32_e32 v11, v29 /*v285*/, v32 /*v288*/
	s_set_vgpr_msb 0                        ;  msbs: dst=0 src0=0 src1=0 src2=0
	s_delay_alu instid0(VALU_DEP_1) | instskip(SKIP_3) | instid1(VALU_DEP_1)
	v_add_f32_e32 v9, v9, v11
	s_wait_dscnt 0x0
	s_set_vgpr_msb 5                        ;  msbs: dst=0 src0=1 src1=1 src2=0
	v_mul_f32_e32 v11, v34 /*v290*/, v39 /*v295*/
	v_fmac_f32_e32 v11, v35 /*v291*/, v38 /*v294*/
	s_set_vgpr_msb 0                        ;  msbs: dst=0 src0=0 src1=0 src2=0
	s_delay_alu instid0(VALU_DEP_1) | instskip(SKIP_2) | instid1(VALU_DEP_1)
	v_add_f32_e32 v9, v9, v11
	s_set_vgpr_msb 5                        ;  msbs: dst=0 src0=1 src1=1 src2=0
	v_mul_f32_e32 v11, v36 /*v292*/, v41 /*v297*/
	v_fmac_f32_e32 v11, v37 /*v293*/, v40 /*v296*/
	s_set_vgpr_msb 0                        ;  msbs: dst=0 src0=0 src1=0 src2=0
	s_delay_alu instid0(VALU_DEP_1) | instskip(SKIP_2) | instid1(VALU_DEP_1)
	v_add_f32_e32 v9, v9, v11
	s_set_vgpr_msb 5                        ;  msbs: dst=0 src0=1 src1=1 src2=0
	v_mul_f32_e32 v11, v42 /*v298*/, v47 /*v303*/
	v_fmac_f32_e32 v11, v43 /*v299*/, v46 /*v302*/
	s_set_vgpr_msb 64                       ;  msbs: dst=1 src0=0 src1=0 src2=0
	s_delay_alu instid0(VALU_DEP_1) | instskip(SKIP_2) | instid1(VALU_DEP_1)
	v_add_f32_e32 v71 /*v327*/, v9, v11
	s_set_vgpr_msb 0                        ;  msbs: dst=0 src0=0 src1=0 src2=0
	v_dual_mul_f32 v9, v123, v127 :: v_dual_mul_f32 v11, v125, v129
	v_dual_fma_f32 v9, v122, v126, -v9 :: v_dual_fma_f32 v11, v124, v128, -v11
	s_delay_alu instid0(VALU_DEP_1) | instskip(NEXT) | instid1(VALU_DEP_1)
	v_add_f32_e32 v9, 0, v9
	v_add_f32_e32 v9, v9, v11
	v_mul_f32_e32 v11, v131, v135
	s_delay_alu instid0(VALU_DEP_1) | instskip(NEXT) | instid1(VALU_DEP_1)
	v_fma_f32 v11, v130, v134, -v11
	v_add_f32_e32 v9, v9, v11
	v_mul_f32_e32 v11, v133, v137
	s_delay_alu instid0(VALU_DEP_1)
	v_fma_f32 v11, v132, v136, -v11
	ds_load_2addr_b64 v[122:125], v7 offset0:113 offset1:114
	ds_load_2addr_b64 v[126:129], v7 offset0:115 offset1:116
	;; [unrolled: 1-line block ×3, first 2 shown]
	ds_load_b64 v[134:135], v7 offset:952
	v_add_f32_e32 v9, v9, v11
	v_mul_f32_e32 v11, v139, v143
	s_set_vgpr_msb 1                        ;  msbs: dst=0 src0=1 src1=0 src2=0
	v_mov_b32_e32 v139, v52 /*v308*/
	s_set_vgpr_msb 0                        ;  msbs: dst=0 src0=0 src1=0 src2=0
	s_delay_alu instid0(VALU_DEP_2) | instskip(SKIP_3) | instid1(VALU_DEP_2)
	v_fma_f32 v11, v138, v142, -v11
	s_set_vgpr_msb 1                        ;  msbs: dst=0 src0=1 src1=0 src2=0
	v_mov_b32_e32 v138, v53 /*v309*/
	s_set_vgpr_msb 0                        ;  msbs: dst=0 src0=0 src1=0 src2=0
	v_add_f32_e32 v9, v9, v11
	v_mul_f32_e32 v11, v141, v145
	s_delay_alu instid0(VALU_DEP_1) | instskip(SKIP_3) | instid1(VALU_DEP_2)
	v_fma_f32 v11, v140, v144, -v11
	s_set_vgpr_msb 1                        ;  msbs: dst=0 src0=1 src1=0 src2=0
	v_mov_b32_e32 v140, v57 /*v313*/
	s_set_vgpr_msb 0                        ;  msbs: dst=0 src0=0 src1=0 src2=0
	v_add_f32_e32 v9, v9, v11
	v_mul_f32_e32 v11, v147, v151
	s_delay_alu instid0(VALU_DEP_3) | instskip(NEXT) | instid1(VALU_DEP_2)
	v_pk_mul_f32 v[138:139], v[138:139], v[140:141] op_sel_hi:[1,0]
	v_fma_f32 v11, v146, v150, -v11
	s_set_vgpr_msb 5                        ;  msbs: dst=0 src0=1 src1=1 src2=0
	s_delay_alu instid0(VALU_DEP_2) | instskip(SKIP_3) | instid1(VALU_DEP_2)
	v_pk_fma_f32 v[140:141], v[52:53] /*v[308:309]*/, v[56:57] /*v[312:313]*/, v[138:139] neg_lo:[0,0,1] neg_hi:[0,0,1]
	v_pk_fma_f32 v[138:139], v[52:53] /*v[308:309]*/, v[56:57] /*v[312:313]*/, v[138:139] op_sel_hi:[1,0,1]
	s_set_vgpr_msb 0                        ;  msbs: dst=0 src0=0 src1=0 src2=0
	v_add_f32_e32 v9, v9, v11
	v_dual_mul_f32 v11, v149, v153 :: v_dual_mov_b32 v141, v139
	s_wait_loadcnt_dscnt 0x303
	s_set_vgpr_msb 4                        ;  msbs: dst=0 src0=0 src1=1 src2=0
	v_pk_mul_f32 v[138:139], v[122:123], v[58:59] /*v[314:315]*/ op_sel:[1,1] op_sel_hi:[0,1]
	s_set_vgpr_msb 0                        ;  msbs: dst=0 src0=0 src1=0 src2=0
	v_fma_f32 v11, v148, v152, -v11
	s_delay_alu instid0(VALU_DEP_1) | instskip(SKIP_1) | instid1(VALU_DEP_1)
	v_add_f32_e32 v9, v9, v11
	v_mul_f32_e32 v11, v155, v159
	v_fma_f32 v11, v154, v158, -v11
	s_delay_alu instid0(VALU_DEP_1) | instskip(SKIP_1) | instid1(VALU_DEP_1)
	v_add_f32_e32 v9, v9, v11
	v_mul_f32_e32 v11, v157, v161
	;; [unrolled: 4-line block ×25, first 2 shown]
	v_fma_f32 v11, v250, v254, -v11
	s_delay_alu instid0(VALU_DEP_1) | instskip(SKIP_2) | instid1(VALU_DEP_1)
	v_add_f32_e32 v9, v9, v11
	s_set_vgpr_msb 4                        ;  msbs: dst=0 src0=0 src1=1 src2=0
	v_mul_f32_e32 v11, v253, v1 /*v257*/
	v_fma_f32 v11, v252, v0 /*v256*/, -v11
	s_set_vgpr_msb 0                        ;  msbs: dst=0 src0=0 src1=0 src2=0
	s_delay_alu instid0(VALU_DEP_1) | instskip(SKIP_2) | instid1(VALU_DEP_1)
	v_add_f32_e32 v9, v9, v11
	s_set_vgpr_msb 5                        ;  msbs: dst=0 src0=1 src1=1 src2=0
	v_mul_f32_e32 v11, v3 /*v259*/, v7 /*v263*/
	v_fma_f32 v11, v2 /*v258*/, v6 /*v262*/, -v11
	s_set_vgpr_msb 0                        ;  msbs: dst=0 src0=0 src1=0 src2=0
	s_delay_alu instid0(VALU_DEP_1) | instskip(SKIP_2) | instid1(VALU_DEP_1)
	v_add_f32_e32 v9, v9, v11
	s_set_vgpr_msb 5                        ;  msbs: dst=0 src0=1 src1=1 src2=0
	v_mul_f32_e32 v11, v5 /*v261*/, v9 /*v265*/
	v_fma_f32 v11, v4 /*v260*/, v8 /*v264*/, -v11
	;; [unrolled: 6-line block ×11, first 2 shown]
	s_set_vgpr_msb 64                       ;  msbs: dst=1 src0=0 src1=0 src2=0
	s_delay_alu instid0(VALU_DEP_1) | instskip(SKIP_3) | instid1(VALU_DEP_1)
	v_add_f32_e32 v70 /*v326*/, v9, v11
	s_set_vgpr_msb 5                        ;  msbs: dst=0 src0=1 src1=1 src2=0
	v_mul_f32_e32 v9, v45 /*v301*/, v49 /*v305*/
	s_set_vgpr_msb 0x45                     ;  msbs: dst=1 src0=1 src1=1 src2=0
	v_fma_f32 v72 /*v328*/, v44 /*v300*/, v48 /*v304*/, -v9
	s_set_vgpr_msb 5                        ;  msbs: dst=0 src0=1 src1=1 src2=0
	v_mul_f32_e32 v9, v51 /*v307*/, v55 /*v311*/
	s_set_vgpr_msb 0x45                     ;  msbs: dst=1 src0=1 src1=1 src2=0
	s_delay_alu instid0(VALU_DEP_1) | instskip(SKIP_3) | instid1(VALU_DEP_1)
	v_fma_f32 v74 /*v330*/, v50 /*v306*/, v54 /*v310*/, -v9
	s_set_vgpr_msb 5                        ;  msbs: dst=0 src0=1 src1=1 src2=0
	v_pk_add_f32 v[136:137], v[70:71] /*v[326:327]*/, v[72:73] /*v[328:329]*/
	s_set_vgpr_msb 4                        ;  msbs: dst=0 src0=0 src1=1 src2=0
	v_pk_add_f32 v[136:137], v[136:137], v[74:75] /*v[330:331]*/
	s_set_vgpr_msb 0                        ;  msbs: dst=0 src0=0 src1=0 src2=0
	s_delay_alu instid0(VALU_DEP_1)
	v_pk_add_f32 v[136:137], v[136:137], v[140:141]
	s_set_vgpr_msb 4                        ;  msbs: dst=0 src0=0 src1=1 src2=0
	v_pk_fma_f32 v[140:141], v[122:123], v[58:59] /*v[314:315]*/, v[138:139] neg_lo:[0,0,1] neg_hi:[0,0,1]
	v_pk_fma_f32 v[122:123], v[122:123], v[58:59] /*v[314:315]*/, v[138:139] op_sel_hi:[1,0,1]
	s_set_vgpr_msb 1                        ;  msbs: dst=0 src0=1 src1=0 src2=0
	v_mov_b32_e32 v138, v61 /*v317*/
	s_set_vgpr_msb 0                        ;  msbs: dst=0 src0=0 src1=0 src2=0
	s_delay_alu instid0(VALU_DEP_2) | instskip(NEXT) | instid1(VALU_DEP_1)
	v_mov_b32_e32 v141, v123
	v_pk_add_f32 v[122:123], v[136:137], v[140:141]
	v_dual_mov_b32 v136, v125 :: v_dual_mov_b32 v137, v124
	s_delay_alu instid0(VALU_DEP_1) | instskip(SKIP_1) | instid1(VALU_DEP_1)
	v_pk_mul_f32 v[136:137], v[136:137], v[138:139] op_sel_hi:[1,0]
	s_set_vgpr_msb 4                        ;  msbs: dst=0 src0=0 src1=1 src2=0
	v_pk_fma_f32 v[138:139], v[124:125], v[60:61] /*v[316:317]*/, v[136:137] neg_lo:[0,0,1] neg_hi:[0,0,1]
	v_pk_fma_f32 v[124:125], v[124:125], v[60:61] /*v[316:317]*/, v[136:137] op_sel_hi:[1,0,1]
	s_delay_alu instid0(VALU_DEP_1) | instskip(SKIP_3) | instid1(VALU_DEP_2)
	v_mov_b32_e32 v139, v125
	s_wait_loadcnt_dscnt 0x202
	v_pk_mul_f32 v[124:125], v[126:127], v[62:63] /*v[318:319]*/ op_sel:[1,1] op_sel_hi:[0,1]
	s_set_vgpr_msb 0                        ;  msbs: dst=0 src0=0 src1=0 src2=0
	v_pk_add_f32 v[122:123], v[122:123], v[138:139]
	s_set_vgpr_msb 4                        ;  msbs: dst=0 src0=0 src1=1 src2=0
	s_delay_alu instid0(VALU_DEP_2)
	v_pk_fma_f32 v[136:137], v[126:127], v[62:63] /*v[318:319]*/, v[124:125] neg_lo:[0,0,1] neg_hi:[0,0,1]
	v_pk_fma_f32 v[124:125], v[126:127], v[62:63] /*v[318:319]*/, v[124:125] op_sel_hi:[1,0,1]
	v_mov_b32_e32 v124, v129
	s_set_vgpr_msb 1                        ;  msbs: dst=0 src0=1 src1=0 src2=0
	v_mov_b32_e32 v126, v65 /*v321*/
	s_set_vgpr_msb 0                        ;  msbs: dst=0 src0=0 src1=0 src2=0
	v_dual_mov_b32 v137, v125 :: v_dual_mov_b32 v125, v128
	s_delay_alu instid0(VALU_DEP_1) | instskip(NEXT) | instid1(VALU_DEP_2)
	v_pk_add_f32 v[122:123], v[122:123], v[136:137]
	v_pk_mul_f32 v[124:125], v[124:125], v[126:127] op_sel_hi:[1,0]
	s_set_vgpr_msb 4                        ;  msbs: dst=0 src0=0 src1=1 src2=0
	s_delay_alu instid0(VALU_DEP_1) | instskip(SKIP_1) | instid1(VALU_DEP_1)
	v_pk_fma_f32 v[126:127], v[128:129], v[64:65] /*v[320:321]*/, v[124:125] neg_lo:[0,0,1] neg_hi:[0,0,1]
	v_pk_fma_f32 v[124:125], v[128:129], v[64:65] /*v[320:321]*/, v[124:125] op_sel_hi:[1,0,1]
	v_mov_b32_e32 v127, v125
	s_wait_loadcnt_dscnt 0x101
	v_pk_mul_f32 v[124:125], v[130:131], v[66:67] /*v[322:323]*/ op_sel:[1,1] op_sel_hi:[0,1]
	s_set_vgpr_msb 0                        ;  msbs: dst=0 src0=0 src1=0 src2=0
	s_delay_alu instid0(VALU_DEP_2) | instskip(SKIP_1) | instid1(VALU_DEP_2)
	v_pk_add_f32 v[122:123], v[122:123], v[126:127]
	s_set_vgpr_msb 4                        ;  msbs: dst=0 src0=0 src1=1 src2=0
	v_pk_fma_f32 v[126:127], v[130:131], v[66:67] /*v[322:323]*/, v[124:125] neg_lo:[0,0,1] neg_hi:[0,0,1]
	v_pk_fma_f32 v[124:125], v[130:131], v[66:67] /*v[322:323]*/, v[124:125] op_sel_hi:[1,0,1]
	s_delay_alu instid0(VALU_DEP_1) | instskip(SKIP_2) | instid1(VALU_DEP_2)
	v_dual_mov_b32 v124, v133 :: v_dual_mov_b32 v127, v125
	v_mov_b32_e32 v125, v132
	s_set_vgpr_msb 0                        ;  msbs: dst=0 src0=0 src1=0 src2=0
	v_pk_add_f32 v[122:123], v[122:123], v[126:127]
	s_set_vgpr_msb 1                        ;  msbs: dst=0 src0=1 src1=0 src2=0
	v_mov_b32_e32 v126, v69 /*v325*/
	s_set_vgpr_msb 0                        ;  msbs: dst=0 src0=0 src1=0 src2=0
	s_delay_alu instid0(VALU_DEP_1) | instskip(SKIP_1) | instid1(VALU_DEP_1)
	v_pk_mul_f32 v[124:125], v[124:125], v[126:127] op_sel_hi:[1,0]
	s_set_vgpr_msb 4                        ;  msbs: dst=0 src0=0 src1=1 src2=0
	v_pk_fma_f32 v[126:127], v[132:133], v[68:69] /*v[324:325]*/, v[124:125] neg_lo:[0,0,1] neg_hi:[0,0,1]
	v_pk_fma_f32 v[124:125], v[132:133], v[68:69] /*v[324:325]*/, v[124:125] op_sel_hi:[1,0,1]
	s_delay_alu instid0(VALU_DEP_1) | instskip(SKIP_3) | instid1(VALU_DEP_2)
	v_mov_b32_e32 v127, v125
	s_wait_loadcnt_dscnt 0x0
	v_pk_mul_f32 v[124:125], v[134:135], v[76:77] /*v[332:333]*/ op_sel:[1,1] op_sel_hi:[0,1]
	s_set_vgpr_msb 0                        ;  msbs: dst=0 src0=0 src1=0 src2=0
	v_pk_add_f32 v[122:123], v[122:123], v[126:127]
	s_set_vgpr_msb 4                        ;  msbs: dst=0 src0=0 src1=1 src2=0
	s_delay_alu instid0(VALU_DEP_2) | instskip(SKIP_1) | instid1(VALU_DEP_1)
	v_pk_fma_f32 v[126:127], v[134:135], v[76:77] /*v[332:333]*/, v[124:125] neg_lo:[0,0,1] neg_hi:[0,0,1]
	v_pk_fma_f32 v[124:125], v[134:135], v[76:77] /*v[332:333]*/, v[124:125] op_sel_hi:[1,0,1]
	v_mov_b32_e32 v127, v125
	scratch_load_b64 v[124:125], off, off offset:32
	s_set_vgpr_msb 0                        ;  msbs: dst=0 src0=0 src1=0 src2=0
	v_pk_add_f32 v[122:123], v[122:123], v[126:127]
	s_wait_loadcnt 0x0
	s_delay_alu instid0(VALU_DEP_1)
	v_pk_add_f32 v[122:123], v[124:125], v[122:123] neg_lo:[0,1] neg_hi:[0,1]
	scratch_store_b64 off, v[122:123], off offset:32
	s_wait_xcnt 0x0
	v_cmpx_lt_u32_e32 3, v0
	s_cbranch_execz .LBB59_367
; %bb.366:
	scratch_load_b64 v[122:123], off, off offset:24
	v_mov_b64_e32 v[124:125], 0
	scratch_store_b64 off, v[124:125], off offset:24
	s_wait_loadcnt 0x0
	ds_store_b64 v1, v[122:123]
.LBB59_367:
	s_wait_xcnt 0x0
	s_or_b32 exec_lo, exec_lo, s0
	s_wait_storecnt_dscnt 0x0
	s_barrier_signal -1
	s_barrier_wait -1
	ds_load_b128 v[122:125], v7 offset:512
	ds_load_b128 v[126:129], v7 offset:528
	;; [unrolled: 1-line block ×4, first 2 shown]
	s_clause 0x14
	scratch_load_b128 v[138:141], off, off offset:32
	scratch_load_b128 v[142:145], off, off offset:48
	scratch_load_b128 v[146:149], off, off offset:64
	scratch_load_b128 v[150:153], off, off offset:80
	scratch_load_b128 v[158:161], off, off offset:96
	scratch_load_b128 v[166:169], off, off offset:112
	scratch_load_b128 v[174:177], off, off offset:128
	scratch_load_b128 v[182:185], off, off offset:144
	scratch_load_b128 v[190:193], off, off offset:160
	scratch_load_b128 v[198:201], off, off offset:176
	scratch_load_b128 v[206:209], off, off offset:192
	scratch_load_b128 v[214:217], off, off offset:208
	scratch_load_b128 v[222:225], off, off offset:224
	scratch_load_b128 v[230:233], off, off offset:240
	scratch_load_b128 v[238:241], off, off offset:256
	scratch_load_b128 v[246:249], off, off offset:272
	scratch_load_b128 v[254:257], off, off offset:288
	s_set_vgpr_msb 64                       ;  msbs: dst=1 src0=0 src1=0 src2=0
	scratch_load_b128 v[6:9] /*v[262:265]*/, off, off offset:304
	scratch_load_b128 v[14:17] /*v[270:273]*/, off, off offset:320
	;; [unrolled: 1-line block ×3, first 2 shown]
	s_set_vgpr_msb 0                        ;  msbs: dst=0 src0=0 src1=0 src2=0
	ds_load_b128 v[154:157], v7 offset:576
	ds_load_b128 v[162:165], v7 offset:592
	s_set_vgpr_msb 64                       ;  msbs: dst=1 src0=0 src1=0 src2=0
	s_clause 0x1
	scratch_load_b128 v[30:33] /*v[286:289]*/, off, off offset:352
	scratch_load_b128 v[38:41] /*v[294:297]*/, off, off offset:368
	s_set_vgpr_msb 0                        ;  msbs: dst=0 src0=0 src1=0 src2=0
	ds_load_b128 v[170:173], v7 offset:608
	ds_load_b128 v[178:181], v7 offset:624
	s_set_vgpr_msb 64                       ;  msbs: dst=1 src0=0 src1=0 src2=0
	s_clause 0x1
	scratch_load_b128 v[46:49] /*v[302:305]*/, off, off offset:384
	scratch_load_b128 v[54:57] /*v[310:313]*/, off, off offset:400
	s_set_vgpr_msb 0                        ;  msbs: dst=0 src0=0 src1=0 src2=0
	ds_load_b128 v[186:189], v7 offset:640
	ds_load_b128 v[194:197], v7 offset:656
	;; [unrolled: 1-line block ×9, first 2 shown]
	s_set_vgpr_msb 64                       ;  msbs: dst=1 src0=0 src1=0 src2=0
	ds_load_b128 v[2:5] /*v[258:261]*/, v7 offset:784
	ds_load_b128 v[10:13] /*v[266:269]*/, v7 offset:800
	;; [unrolled: 1-line block ×7, first 2 shown]
	s_clause 0x3
	scratch_load_b128 v[58:61] /*v[314:317]*/, off, off offset:416
	scratch_load_b128 v[62:65] /*v[318:321]*/, off, off offset:432
	;; [unrolled: 1-line block ×4, first 2 shown]
	s_mov_b32 s0, exec_lo
	s_wait_loadcnt_dscnt 0x1b17
	s_set_vgpr_msb 0                        ;  msbs: dst=0 src0=0 src1=0 src2=0
	v_dual_mul_f32 v9, v122, v139 :: v_dual_mul_f32 v11, v124, v141
	s_delay_alu instid0(VALU_DEP_1) | instskip(NEXT) | instid1(VALU_DEP_1)
	v_dual_fmac_f32 v9, v123, v138 :: v_dual_fmac_f32 v11, v125, v140
	v_add_f32_e32 v9, 0, v9
	s_delay_alu instid0(VALU_DEP_1) | instskip(SKIP_2) | instid1(VALU_DEP_1)
	v_add_f32_e32 v9, v9, v11
	s_wait_loadcnt_dscnt 0x1a16
	v_mul_f32_e32 v11, v126, v143
	v_fmac_f32_e32 v11, v127, v142
	s_delay_alu instid0(VALU_DEP_1)
	v_dual_add_f32 v9, v9, v11 :: v_dual_mul_f32 v11, v128, v145
	s_wait_loadcnt_dscnt 0x402
	s_set_vgpr_msb 0x45                     ;  msbs: dst=1 src0=1 src1=1 src2=0
	v_dual_mul_f32 v77 /*v333*/, v50 /*v306*/, v55 /*v311*/ :: v_dual_mul_f32 v79 /*v335*/, v52 /*v308*/, v57 /*v313*/
	s_set_vgpr_msb 0                        ;  msbs: dst=0 src0=0 src1=0 src2=0
	v_fmac_f32_e32 v11, v129, v144
	s_set_vgpr_msb 0x45                     ;  msbs: dst=1 src0=1 src1=1 src2=0
	s_delay_alu instid0(VALU_DEP_2) | instskip(SKIP_1) | instid1(VALU_DEP_2)
	v_dual_fmac_f32 v77 /*v333*/, v51 /*v307*/, v54 /*v310*/ :: v_dual_fmac_f32 v79 /*v335*/, v53 /*v309*/, v56 /*v312*/
	s_set_vgpr_msb 0                        ;  msbs: dst=0 src0=0 src1=0 src2=0
	v_add_f32_e32 v9, v9, v11
	v_mul_f32_e32 v11, v130, v147
	s_delay_alu instid0(VALU_DEP_1) | instskip(NEXT) | instid1(VALU_DEP_1)
	v_fmac_f32_e32 v11, v131, v146
	v_dual_add_f32 v9, v9, v11 :: v_dual_mul_f32 v11, v132, v149
	s_delay_alu instid0(VALU_DEP_1) | instskip(NEXT) | instid1(VALU_DEP_1)
	v_fmac_f32_e32 v11, v133, v148
	v_add_f32_e32 v9, v9, v11
	v_mul_f32_e32 v11, v134, v151
	s_delay_alu instid0(VALU_DEP_1) | instskip(NEXT) | instid1(VALU_DEP_1)
	v_fmac_f32_e32 v11, v135, v150
	v_dual_add_f32 v9, v9, v11 :: v_dual_mul_f32 v11, v136, v153
	s_delay_alu instid0(VALU_DEP_1) | instskip(NEXT) | instid1(VALU_DEP_1)
	v_fmac_f32_e32 v11, v137, v152
	;; [unrolled: 7-line block ×14, first 2 shown]
	v_add_f32_e32 v9, v9, v11
	v_mul_f32_e32 v11, v250, v255
	s_delay_alu instid0(VALU_DEP_1) | instskip(NEXT) | instid1(VALU_DEP_1)
	v_fmac_f32_e32 v11, v251, v254
	v_add_f32_e32 v9, v9, v11
	s_set_vgpr_msb 4                        ;  msbs: dst=0 src0=0 src1=1 src2=0
	v_mul_f32_e32 v11, v252, v1 /*v257*/
	s_delay_alu instid0(VALU_DEP_1) | instskip(SKIP_1) | instid1(VALU_DEP_1)
	v_fmac_f32_e32 v11, v253, v0 /*v256*/
	s_set_vgpr_msb 0                        ;  msbs: dst=0 src0=0 src1=0 src2=0
	v_add_f32_e32 v9, v9, v11
	s_set_vgpr_msb 5                        ;  msbs: dst=0 src0=1 src1=1 src2=0
	v_mul_f32_e32 v11, v2 /*v258*/, v7 /*v263*/
	s_delay_alu instid0(VALU_DEP_1) | instskip(SKIP_1) | instid1(VALU_DEP_1)
	v_fmac_f32_e32 v11, v3 /*v259*/, v6 /*v262*/
	s_set_vgpr_msb 0                        ;  msbs: dst=0 src0=0 src1=0 src2=0
	v_add_f32_e32 v9, v9, v11
	s_set_vgpr_msb 5                        ;  msbs: dst=0 src0=1 src1=1 src2=0
	v_mul_f32_e32 v11, v4 /*v260*/, v9 /*v265*/
	s_delay_alu instid0(VALU_DEP_1) | instskip(SKIP_1) | instid1(VALU_DEP_1)
	v_fmac_f32_e32 v11, v5 /*v261*/, v8 /*v264*/
	s_set_vgpr_msb 0                        ;  msbs: dst=0 src0=0 src1=0 src2=0
	v_add_f32_e32 v9, v9, v11
	s_set_vgpr_msb 5                        ;  msbs: dst=0 src0=1 src1=1 src2=0
	v_mul_f32_e32 v11, v10 /*v266*/, v15 /*v271*/
	s_delay_alu instid0(VALU_DEP_1) | instskip(SKIP_1) | instid1(VALU_DEP_1)
	v_fmac_f32_e32 v11, v11 /*v267*/, v14 /*v270*/
	s_set_vgpr_msb 0                        ;  msbs: dst=0 src0=0 src1=0 src2=0
	v_add_f32_e32 v9, v9, v11
	s_set_vgpr_msb 5                        ;  msbs: dst=0 src0=1 src1=1 src2=0
	v_mul_f32_e32 v11, v12 /*v268*/, v17 /*v273*/
	s_delay_alu instid0(VALU_DEP_1) | instskip(SKIP_1) | instid1(VALU_DEP_1)
	v_fmac_f32_e32 v11, v13 /*v269*/, v16 /*v272*/
	s_set_vgpr_msb 0                        ;  msbs: dst=0 src0=0 src1=0 src2=0
	v_add_f32_e32 v9, v9, v11
	s_set_vgpr_msb 5                        ;  msbs: dst=0 src0=1 src1=1 src2=0
	v_mul_f32_e32 v11, v18 /*v274*/, v23 /*v279*/
	s_delay_alu instid0(VALU_DEP_1) | instskip(SKIP_1) | instid1(VALU_DEP_1)
	v_fmac_f32_e32 v11, v19 /*v275*/, v22 /*v278*/
	s_set_vgpr_msb 0                        ;  msbs: dst=0 src0=0 src1=0 src2=0
	v_add_f32_e32 v9, v9, v11
	s_set_vgpr_msb 5                        ;  msbs: dst=0 src0=1 src1=1 src2=0
	v_mul_f32_e32 v11, v20 /*v276*/, v25 /*v281*/
	s_delay_alu instid0(VALU_DEP_1) | instskip(SKIP_1) | instid1(VALU_DEP_1)
	v_fmac_f32_e32 v11, v21 /*v277*/, v24 /*v280*/
	s_set_vgpr_msb 0                        ;  msbs: dst=0 src0=0 src1=0 src2=0
	v_add_f32_e32 v9, v9, v11
	s_wait_dscnt 0x1
	s_set_vgpr_msb 5                        ;  msbs: dst=0 src0=1 src1=1 src2=0
	v_mul_f32_e32 v11, v26 /*v282*/, v31 /*v287*/
	s_delay_alu instid0(VALU_DEP_1) | instskip(SKIP_1) | instid1(VALU_DEP_1)
	v_fmac_f32_e32 v11, v27 /*v283*/, v30 /*v286*/
	s_set_vgpr_msb 0                        ;  msbs: dst=0 src0=0 src1=0 src2=0
	v_add_f32_e32 v9, v9, v11
	s_set_vgpr_msb 5                        ;  msbs: dst=0 src0=1 src1=1 src2=0
	v_mul_f32_e32 v11, v28 /*v284*/, v33 /*v289*/
	s_delay_alu instid0(VALU_DEP_1) | instskip(SKIP_1) | instid1(VALU_DEP_1)
	v_fmac_f32_e32 v11, v29 /*v285*/, v32 /*v288*/
	s_set_vgpr_msb 0                        ;  msbs: dst=0 src0=0 src1=0 src2=0
	v_add_f32_e32 v9, v9, v11
	s_wait_dscnt 0x0
	s_set_vgpr_msb 5                        ;  msbs: dst=0 src0=1 src1=1 src2=0
	v_mul_f32_e32 v11, v34 /*v290*/, v39 /*v295*/
	s_delay_alu instid0(VALU_DEP_1) | instskip(SKIP_1) | instid1(VALU_DEP_1)
	v_fmac_f32_e32 v11, v35 /*v291*/, v38 /*v294*/
	s_set_vgpr_msb 0                        ;  msbs: dst=0 src0=0 src1=0 src2=0
	v_add_f32_e32 v9, v9, v11
	s_set_vgpr_msb 5                        ;  msbs: dst=0 src0=1 src1=1 src2=0
	v_mul_f32_e32 v11, v36 /*v292*/, v41 /*v297*/
	s_delay_alu instid0(VALU_DEP_1) | instskip(SKIP_1) | instid1(VALU_DEP_1)
	v_fmac_f32_e32 v11, v37 /*v293*/, v40 /*v296*/
	s_set_vgpr_msb 0                        ;  msbs: dst=0 src0=0 src1=0 src2=0
	v_add_f32_e32 v9, v9, v11
	;; [unrolled: 6-line block ×3, first 2 shown]
	s_set_vgpr_msb 5                        ;  msbs: dst=0 src0=1 src1=1 src2=0
	v_mul_f32_e32 v11, v44 /*v300*/, v49 /*v305*/
	s_delay_alu instid0(VALU_DEP_1) | instskip(SKIP_1) | instid1(VALU_DEP_1)
	v_fmac_f32_e32 v11, v45 /*v301*/, v48 /*v304*/
	s_set_vgpr_msb 64                       ;  msbs: dst=1 src0=0 src1=0 src2=0
	v_add_f32_e32 v75 /*v331*/, v9, v11
	s_set_vgpr_msb 0                        ;  msbs: dst=0 src0=0 src1=0 src2=0
	v_dual_mul_f32 v9, v123, v139 :: v_dual_mul_f32 v11, v125, v141
	s_delay_alu instid0(VALU_DEP_1) | instskip(NEXT) | instid1(VALU_DEP_1)
	v_dual_fma_f32 v9, v122, v138, -v9 :: v_dual_fma_f32 v11, v124, v140, -v11
	v_add_f32_e32 v9, 0, v9
	s_delay_alu instid0(VALU_DEP_1) | instskip(SKIP_1) | instid1(VALU_DEP_1)
	v_add_f32_e32 v9, v9, v11
	v_mul_f32_e32 v11, v127, v143
	v_fma_f32 v11, v126, v142, -v11
	s_delay_alu instid0(VALU_DEP_1) | instskip(SKIP_1) | instid1(VALU_DEP_1)
	v_add_f32_e32 v9, v9, v11
	v_mul_f32_e32 v11, v129, v145
	v_fma_f32 v11, v128, v144, -v11
	;; [unrolled: 4-line block ×6, first 2 shown]
	ds_load_b128 v[122:125], v7 offset:896
	ds_load_b128 v[126:129], v7 offset:912
	;; [unrolled: 1-line block ×4, first 2 shown]
	v_add_f32_e32 v9, v9, v11
	v_mul_f32_e32 v11, v155, v159
	s_delay_alu instid0(VALU_DEP_1) | instskip(NEXT) | instid1(VALU_DEP_1)
	v_fma_f32 v11, v154, v158, -v11
	v_add_f32_e32 v9, v9, v11
	v_mul_f32_e32 v11, v157, v161
	s_wait_loadcnt_dscnt 0x303
	s_set_vgpr_msb 4                        ;  msbs: dst=0 src0=0 src1=1 src2=0
	v_pk_mul_f32 v[140:141], v[122:123], v[58:59] /*v[314:315]*/ op_sel:[1,1] op_sel_hi:[0,1]
	s_set_vgpr_msb 0                        ;  msbs: dst=0 src0=0 src1=0 src2=0
	v_fma_f32 v11, v156, v160, -v11
	s_set_vgpr_msb 4                        ;  msbs: dst=0 src0=0 src1=1 src2=0
	s_delay_alu instid0(VALU_DEP_2)
	v_pk_fma_f32 v[142:143], v[122:123], v[58:59] /*v[314:315]*/, v[140:141] neg_lo:[0,0,1] neg_hi:[0,0,1]
	v_pk_fma_f32 v[122:123], v[122:123], v[58:59] /*v[314:315]*/, v[140:141] op_sel_hi:[1,0,1]
	s_set_vgpr_msb 1                        ;  msbs: dst=0 src0=1 src1=0 src2=0
	v_mov_b32_e32 v140, v61 /*v317*/
	s_set_vgpr_msb 0                        ;  msbs: dst=0 src0=0 src1=0 src2=0
	v_add_f32_e32 v9, v9, v11
	v_mul_f32_e32 v11, v163, v167
	s_delay_alu instid0(VALU_DEP_1) | instskip(NEXT) | instid1(VALU_DEP_1)
	v_dual_mov_b32 v143, v123 :: v_dual_fma_f32 v11, v162, v166, -v11
	v_add_f32_e32 v9, v9, v11
	v_mul_f32_e32 v11, v165, v169
	s_delay_alu instid0(VALU_DEP_1) | instskip(NEXT) | instid1(VALU_DEP_1)
	v_fma_f32 v11, v164, v168, -v11
	v_add_f32_e32 v9, v9, v11
	v_mul_f32_e32 v11, v171, v175
	s_delay_alu instid0(VALU_DEP_1) | instskip(NEXT) | instid1(VALU_DEP_1)
	v_fma_f32 v11, v170, v174, -v11
	;; [unrolled: 4-line block ×22, first 2 shown]
	v_add_f32_e32 v9, v9, v11
	s_set_vgpr_msb 4                        ;  msbs: dst=0 src0=0 src1=1 src2=0
	v_mul_f32_e32 v11, v253, v1 /*v257*/
	s_delay_alu instid0(VALU_DEP_1) | instskip(SKIP_1) | instid1(VALU_DEP_1)
	v_fma_f32 v11, v252, v0 /*v256*/, -v11
	s_set_vgpr_msb 0                        ;  msbs: dst=0 src0=0 src1=0 src2=0
	v_add_f32_e32 v9, v9, v11
	s_set_vgpr_msb 5                        ;  msbs: dst=0 src0=1 src1=1 src2=0
	v_mul_f32_e32 v11, v3 /*v259*/, v7 /*v263*/
	s_delay_alu instid0(VALU_DEP_1) | instskip(SKIP_1) | instid1(VALU_DEP_1)
	v_fma_f32 v11, v2 /*v258*/, v6 /*v262*/, -v11
	s_set_vgpr_msb 0                        ;  msbs: dst=0 src0=0 src1=0 src2=0
	v_add_f32_e32 v9, v9, v11
	s_set_vgpr_msb 5                        ;  msbs: dst=0 src0=1 src1=1 src2=0
	v_mul_f32_e32 v11, v5 /*v261*/, v9 /*v265*/
	s_delay_alu instid0(VALU_DEP_1) | instskip(SKIP_1) | instid1(VALU_DEP_1)
	v_fma_f32 v11, v4 /*v260*/, v8 /*v264*/, -v11
	;; [unrolled: 6-line block ×12, first 2 shown]
	s_set_vgpr_msb 64                       ;  msbs: dst=1 src0=0 src1=0 src2=0
	v_add_f32_e32 v74 /*v330*/, v9, v11
	s_set_vgpr_msb 5                        ;  msbs: dst=0 src0=1 src1=1 src2=0
	v_mul_f32_e32 v9, v51 /*v307*/, v55 /*v311*/
	s_set_vgpr_msb 0x45                     ;  msbs: dst=1 src0=1 src1=1 src2=0
	s_delay_alu instid0(VALU_DEP_1) | instskip(SKIP_3) | instid1(VALU_DEP_1)
	v_fma_f32 v76 /*v332*/, v50 /*v306*/, v54 /*v310*/, -v9
	s_set_vgpr_msb 5                        ;  msbs: dst=0 src0=1 src1=1 src2=0
	v_mul_f32_e32 v9, v53 /*v309*/, v57 /*v313*/
	s_set_vgpr_msb 0x45                     ;  msbs: dst=1 src0=1 src1=1 src2=0
	v_fma_f32 v78 /*v334*/, v52 /*v308*/, v56 /*v312*/, -v9
	s_set_vgpr_msb 5                        ;  msbs: dst=0 src0=1 src1=1 src2=0
	v_pk_add_f32 v[138:139], v[74:75] /*v[330:331]*/, v[76:77] /*v[332:333]*/
	s_set_vgpr_msb 4                        ;  msbs: dst=0 src0=0 src1=1 src2=0
	s_delay_alu instid0(VALU_DEP_1) | instskip(SKIP_1) | instid1(VALU_DEP_1)
	v_pk_add_f32 v[138:139], v[138:139], v[78:79] /*v[334:335]*/
	s_set_vgpr_msb 0                        ;  msbs: dst=0 src0=0 src1=0 src2=0
	v_pk_add_f32 v[122:123], v[138:139], v[142:143]
	v_dual_mov_b32 v138, v125 :: v_dual_mov_b32 v139, v124
	s_delay_alu instid0(VALU_DEP_1) | instskip(SKIP_1) | instid1(VALU_DEP_1)
	v_pk_mul_f32 v[138:139], v[138:139], v[140:141] op_sel_hi:[1,0]
	s_set_vgpr_msb 4                        ;  msbs: dst=0 src0=0 src1=1 src2=0
	v_pk_fma_f32 v[140:141], v[124:125], v[60:61] /*v[316:317]*/, v[138:139] neg_lo:[0,0,1] neg_hi:[0,0,1]
	v_pk_fma_f32 v[124:125], v[124:125], v[60:61] /*v[316:317]*/, v[138:139] op_sel_hi:[1,0,1]
	s_delay_alu instid0(VALU_DEP_1) | instskip(SKIP_3) | instid1(VALU_DEP_2)
	v_mov_b32_e32 v141, v125
	s_wait_loadcnt_dscnt 0x202
	v_pk_mul_f32 v[124:125], v[126:127], v[62:63] /*v[318:319]*/ op_sel:[1,1] op_sel_hi:[0,1]
	s_set_vgpr_msb 0                        ;  msbs: dst=0 src0=0 src1=0 src2=0
	v_pk_add_f32 v[122:123], v[122:123], v[140:141]
	s_set_vgpr_msb 4                        ;  msbs: dst=0 src0=0 src1=1 src2=0
	s_delay_alu instid0(VALU_DEP_2)
	v_pk_fma_f32 v[138:139], v[126:127], v[62:63] /*v[318:319]*/, v[124:125] neg_lo:[0,0,1] neg_hi:[0,0,1]
	v_pk_fma_f32 v[124:125], v[126:127], v[62:63] /*v[318:319]*/, v[124:125] op_sel_hi:[1,0,1]
	v_mov_b32_e32 v124, v129
	s_set_vgpr_msb 1                        ;  msbs: dst=0 src0=1 src1=0 src2=0
	v_mov_b32_e32 v126, v65 /*v321*/
	s_set_vgpr_msb 0                        ;  msbs: dst=0 src0=0 src1=0 src2=0
	v_dual_mov_b32 v139, v125 :: v_dual_mov_b32 v125, v128
	s_delay_alu instid0(VALU_DEP_1) | instskip(NEXT) | instid1(VALU_DEP_2)
	v_pk_add_f32 v[122:123], v[122:123], v[138:139]
	v_pk_mul_f32 v[124:125], v[124:125], v[126:127] op_sel_hi:[1,0]
	s_set_vgpr_msb 4                        ;  msbs: dst=0 src0=0 src1=1 src2=0
	s_delay_alu instid0(VALU_DEP_1) | instskip(SKIP_1) | instid1(VALU_DEP_1)
	v_pk_fma_f32 v[126:127], v[128:129], v[64:65] /*v[320:321]*/, v[124:125] neg_lo:[0,0,1] neg_hi:[0,0,1]
	v_pk_fma_f32 v[124:125], v[128:129], v[64:65] /*v[320:321]*/, v[124:125] op_sel_hi:[1,0,1]
	v_mov_b32_e32 v127, v125
	s_wait_loadcnt_dscnt 0x101
	v_pk_mul_f32 v[124:125], v[130:131], v[66:67] /*v[322:323]*/ op_sel:[1,1] op_sel_hi:[0,1]
	s_set_vgpr_msb 0                        ;  msbs: dst=0 src0=0 src1=0 src2=0
	s_delay_alu instid0(VALU_DEP_2) | instskip(SKIP_1) | instid1(VALU_DEP_2)
	v_pk_add_f32 v[122:123], v[122:123], v[126:127]
	s_set_vgpr_msb 4                        ;  msbs: dst=0 src0=0 src1=1 src2=0
	v_pk_fma_f32 v[126:127], v[130:131], v[66:67] /*v[322:323]*/, v[124:125] neg_lo:[0,0,1] neg_hi:[0,0,1]
	v_pk_fma_f32 v[124:125], v[130:131], v[66:67] /*v[322:323]*/, v[124:125] op_sel_hi:[1,0,1]
	s_delay_alu instid0(VALU_DEP_1) | instskip(SKIP_2) | instid1(VALU_DEP_2)
	v_dual_mov_b32 v124, v133 :: v_dual_mov_b32 v127, v125
	v_mov_b32_e32 v125, v132
	s_set_vgpr_msb 0                        ;  msbs: dst=0 src0=0 src1=0 src2=0
	v_pk_add_f32 v[122:123], v[122:123], v[126:127]
	s_set_vgpr_msb 1                        ;  msbs: dst=0 src0=1 src1=0 src2=0
	v_mov_b32_e32 v126, v69 /*v325*/
	s_set_vgpr_msb 0                        ;  msbs: dst=0 src0=0 src1=0 src2=0
	s_delay_alu instid0(VALU_DEP_1) | instskip(SKIP_1) | instid1(VALU_DEP_1)
	v_pk_mul_f32 v[124:125], v[124:125], v[126:127] op_sel_hi:[1,0]
	s_set_vgpr_msb 4                        ;  msbs: dst=0 src0=0 src1=1 src2=0
	v_pk_fma_f32 v[126:127], v[132:133], v[68:69] /*v[324:325]*/, v[124:125] neg_lo:[0,0,1] neg_hi:[0,0,1]
	v_pk_fma_f32 v[124:125], v[132:133], v[68:69] /*v[324:325]*/, v[124:125] op_sel_hi:[1,0,1]
	s_delay_alu instid0(VALU_DEP_1) | instskip(SKIP_3) | instid1(VALU_DEP_2)
	v_mov_b32_e32 v127, v125
	s_wait_loadcnt_dscnt 0x0
	v_pk_mul_f32 v[124:125], v[134:135], v[70:71] /*v[326:327]*/ op_sel:[1,1] op_sel_hi:[0,1]
	s_set_vgpr_msb 0                        ;  msbs: dst=0 src0=0 src1=0 src2=0
	v_pk_add_f32 v[122:123], v[122:123], v[126:127]
	s_set_vgpr_msb 4                        ;  msbs: dst=0 src0=0 src1=1 src2=0
	s_delay_alu instid0(VALU_DEP_2) | instskip(SKIP_1) | instid1(VALU_DEP_1)
	v_pk_fma_f32 v[126:127], v[134:135], v[70:71] /*v[326:327]*/, v[124:125] neg_lo:[0,0,1] neg_hi:[0,0,1]
	v_pk_fma_f32 v[124:125], v[134:135], v[70:71] /*v[326:327]*/, v[124:125] op_sel_hi:[1,0,1]
	v_dual_mov_b32 v124, v137 :: v_dual_mov_b32 v127, v125
	v_mov_b32_e32 v125, v136
	s_set_vgpr_msb 0                        ;  msbs: dst=0 src0=0 src1=0 src2=0
	s_delay_alu instid0(VALU_DEP_2) | instskip(SKIP_3) | instid1(VALU_DEP_1)
	v_pk_add_f32 v[122:123], v[122:123], v[126:127]
	s_set_vgpr_msb 1                        ;  msbs: dst=0 src0=1 src1=0 src2=0
	v_mov_b32_e32 v126, v73 /*v329*/
	s_set_vgpr_msb 0                        ;  msbs: dst=0 src0=0 src1=0 src2=0
	v_pk_mul_f32 v[124:125], v[124:125], v[126:127] op_sel_hi:[1,0]
	s_set_vgpr_msb 4                        ;  msbs: dst=0 src0=0 src1=1 src2=0
	s_delay_alu instid0(VALU_DEP_1) | instskip(SKIP_1) | instid1(VALU_DEP_1)
	v_pk_fma_f32 v[126:127], v[136:137], v[72:73] /*v[328:329]*/, v[124:125] neg_lo:[0,0,1] neg_hi:[0,0,1]
	v_pk_fma_f32 v[124:125], v[136:137], v[72:73] /*v[328:329]*/, v[124:125] op_sel_hi:[1,0,1]
	v_mov_b32_e32 v127, v125
	scratch_load_b64 v[124:125], off, off offset:24
	s_set_vgpr_msb 0                        ;  msbs: dst=0 src0=0 src1=0 src2=0
	v_pk_add_f32 v[122:123], v[122:123], v[126:127]
	s_wait_loadcnt 0x0
	s_delay_alu instid0(VALU_DEP_1)
	v_pk_add_f32 v[122:123], v[124:125], v[122:123] neg_lo:[0,1] neg_hi:[0,1]
	scratch_store_b64 off, v[122:123], off offset:24
	s_wait_xcnt 0x0
	v_cmpx_lt_u32_e32 2, v0
	s_cbranch_execz .LBB59_369
; %bb.368:
	scratch_load_b64 v[122:123], off, off offset:16
	v_mov_b64_e32 v[124:125], 0
	scratch_store_b64 off, v[124:125], off offset:16
	s_wait_loadcnt 0x0
	ds_store_b64 v1, v[122:123]
.LBB59_369:
	s_wait_xcnt 0x0
	s_or_b32 exec_lo, exec_lo, s0
	s_wait_storecnt_dscnt 0x0
	s_barrier_signal -1
	s_barrier_wait -1
	s_clause 0xf
	scratch_load_b128 v[126:129], off, off offset:24
	scratch_load_b128 v[134:137], off, off offset:40
	;; [unrolled: 1-line block ×16, first 2 shown]
	v_mov_b32_e32 v101, 0
	s_clause 0x4
	scratch_load_b128 v[254:257], off, off offset:280
	s_set_vgpr_msb 64                       ;  msbs: dst=1 src0=0 src1=0 src2=0
	scratch_load_b128 v[6:9] /*v[262:265]*/, off, off offset:296
	scratch_load_b128 v[14:17] /*v[270:273]*/, off, off offset:312
	;; [unrolled: 1-line block ×3, first 2 shown]
	s_set_vgpr_msb 0                        ;  msbs: dst=0 src0=0 src1=0 src2=0
	ds_load_2addr_b64 v[122:125], v101 offset0:63 offset1:64
	ds_load_2addr_b64 v[130:133], v101 offset0:65 offset1:66
	s_set_vgpr_msb 64                       ;  msbs: dst=1 src0=0 src1=0 src2=0
	s_clause 0x4
	scratch_load_b128 v[30:33] /*v[286:289]*/, off, off offset:344
	scratch_load_b128 v[38:41] /*v[294:297]*/, off, off offset:360
	;; [unrolled: 1-line block ×5, first 2 shown]
	s_mov_b32 s0, exec_lo
	s_wait_loadcnt_dscnt 0x1801
	s_set_vgpr_msb 0                        ;  msbs: dst=0 src0=0 src1=0 src2=0
	v_dual_mul_f32 v7, v122, v127 :: v_dual_mul_f32 v9, v124, v129
	ds_load_2addr_b64 v[138:141], v101 offset0:67 offset1:68
	ds_load_2addr_b64 v[146:149], v101 offset0:69 offset1:70
	;; [unrolled: 1-line block ×4, first 2 shown]
	v_dual_fmac_f32 v7, v123, v126 :: v_dual_fmac_f32 v9, v125, v128
	ds_load_2addr_b64 v[170:173], v101 offset0:75 offset1:76
	ds_load_2addr_b64 v[178:181], v101 offset0:77 offset1:78
	;; [unrolled: 1-line block ×4, first 2 shown]
	v_add_f32_e32 v7, 0, v7
	ds_load_2addr_b64 v[202:205], v101 offset0:83 offset1:84
	ds_load_2addr_b64 v[210:213], v101 offset0:85 offset1:86
	;; [unrolled: 1-line block ×4, first 2 shown]
	s_wait_loadcnt_dscnt 0x170c
	v_dual_add_f32 v7, v7, v9 :: v_dual_mul_f32 v9, v130, v135
	ds_load_2addr_b64 v[234:237], v101 offset0:91 offset1:92
	ds_load_2addr_b64 v[242:245], v101 offset0:93 offset1:94
	;; [unrolled: 1-line block ×3, first 2 shown]
	s_set_vgpr_msb 64                       ;  msbs: dst=1 src0=0 src1=0 src2=0
	ds_load_2addr_b64 v[2:5] /*v[258:261]*/, v101 offset0:97 offset1:98
	s_set_vgpr_msb 0                        ;  msbs: dst=0 src0=0 src1=0 src2=0
	v_fmac_f32_e32 v9, v131, v134
	s_set_vgpr_msb 64                       ;  msbs: dst=1 src0=0 src1=0 src2=0
	ds_load_2addr_b64 v[10:13] /*v[266:269]*/, v101 offset0:99 offset1:100
	ds_load_2addr_b64 v[18:21] /*v[274:277]*/, v101 offset0:101 offset1:102
	;; [unrolled: 1-line block ×4, first 2 shown]
	s_set_vgpr_msb 0                        ;  msbs: dst=0 src0=0 src1=0 src2=0
	v_add_f32_e32 v7, v7, v9
	v_mul_f32_e32 v9, v132, v137
	s_set_vgpr_msb 64                       ;  msbs: dst=1 src0=0 src1=0 src2=0
	ds_load_2addr_b64 v[58:61] /*v[314:317]*/, v101 offset0:111 offset1:112
	ds_load_2addr_b64 v[26:29] /*v[282:285]*/, v101 offset0:103 offset1:104
	;; [unrolled: 1-line block ×3, first 2 shown]
	s_clause 0x3
	scratch_load_b128 v[66:69] /*v[322:325]*/, off, off offset:424
	scratch_load_b128 v[70:73] /*v[326:329]*/, off, off offset:440
	;; [unrolled: 1-line block ×3, first 2 shown]
	scratch_load_b64 v[84:85] /*v[340:341]*/, off, off offset:472
	s_set_vgpr_msb 0                        ;  msbs: dst=0 src0=0 src1=0 src2=0
	v_fmac_f32_e32 v9, v133, v136
	s_wait_loadcnt_dscnt 0x1a16
	s_delay_alu instid0(VALU_DEP_1) | instskip(NEXT) | instid1(VALU_DEP_1)
	v_dual_add_f32 v7, v7, v9 :: v_dual_mul_f32 v9, v138, v143
	v_fmac_f32_e32 v9, v139, v142
	s_wait_loadcnt_dscnt 0x402
	s_set_vgpr_msb 0x45                     ;  msbs: dst=1 src0=1 src1=1 src2=0
	v_dual_mul_f32 v81 /*v337*/, v52 /*v308*/, v57 /*v313*/ :: v_dual_mul_f32 v83 /*v339*/, v58 /*v314*/, v63 /*v319*/
	s_set_vgpr_msb 0                        ;  msbs: dst=0 src0=0 src1=0 src2=0
	v_add_f32_e32 v7, v7, v9
	v_mul_f32_e32 v9, v140, v145
	s_set_vgpr_msb 0x45                     ;  msbs: dst=1 src0=1 src1=1 src2=0
	v_dual_fmac_f32 v81 /*v337*/, v53 /*v309*/, v56 /*v312*/ :: v_dual_fmac_f32 v83 /*v339*/, v59 /*v315*/, v62 /*v318*/
	s_set_vgpr_msb 0                        ;  msbs: dst=0 src0=0 src1=0 src2=0
	s_delay_alu instid0(VALU_DEP_2) | instskip(NEXT) | instid1(VALU_DEP_1)
	v_fmac_f32_e32 v9, v141, v144
	v_dual_add_f32 v7, v7, v9 :: v_dual_mul_f32 v9, v146, v151
	s_delay_alu instid0(VALU_DEP_1) | instskip(NEXT) | instid1(VALU_DEP_1)
	v_fmac_f32_e32 v9, v147, v150
	v_add_f32_e32 v7, v7, v9
	v_mul_f32_e32 v9, v148, v153
	s_delay_alu instid0(VALU_DEP_1) | instskip(NEXT) | instid1(VALU_DEP_1)
	v_fmac_f32_e32 v9, v149, v152
	v_dual_add_f32 v7, v7, v9 :: v_dual_mul_f32 v9, v154, v159
	s_delay_alu instid0(VALU_DEP_1) | instskip(NEXT) | instid1(VALU_DEP_1)
	v_fmac_f32_e32 v9, v155, v158
	v_add_f32_e32 v7, v7, v9
	v_mul_f32_e32 v9, v156, v161
	s_delay_alu instid0(VALU_DEP_1) | instskip(NEXT) | instid1(VALU_DEP_1)
	;; [unrolled: 7-line block ×13, first 2 shown]
	v_fmac_f32_e32 v9, v245, v248
	v_dual_add_f32 v7, v7, v9 :: v_dual_mul_f32 v9, v250, v255
	s_delay_alu instid0(VALU_DEP_1) | instskip(NEXT) | instid1(VALU_DEP_1)
	v_fmac_f32_e32 v9, v251, v254
	v_add_f32_e32 v7, v7, v9
	s_set_vgpr_msb 4                        ;  msbs: dst=0 src0=0 src1=1 src2=0
	v_mul_f32_e32 v9, v252, v1 /*v257*/
	s_delay_alu instid0(VALU_DEP_1) | instskip(SKIP_1) | instid1(VALU_DEP_1)
	v_fmac_f32_e32 v9, v253, v0 /*v256*/
	s_set_vgpr_msb 0                        ;  msbs: dst=0 src0=0 src1=0 src2=0
	v_add_f32_e32 v7, v7, v9
	s_set_vgpr_msb 5                        ;  msbs: dst=0 src0=1 src1=1 src2=0
	v_mul_f32_e32 v9, v2 /*v258*/, v7 /*v263*/
	s_delay_alu instid0(VALU_DEP_1) | instskip(SKIP_1) | instid1(VALU_DEP_1)
	v_fmac_f32_e32 v9, v3 /*v259*/, v6 /*v262*/
	s_set_vgpr_msb 0                        ;  msbs: dst=0 src0=0 src1=0 src2=0
	v_add_f32_e32 v7, v7, v9
	s_set_vgpr_msb 5                        ;  msbs: dst=0 src0=1 src1=1 src2=0
	v_mul_f32_e32 v9, v4 /*v260*/, v9 /*v265*/
	s_delay_alu instid0(VALU_DEP_1) | instskip(SKIP_1) | instid1(VALU_DEP_1)
	v_fmac_f32_e32 v9, v5 /*v261*/, v8 /*v264*/
	;; [unrolled: 6-line block ×6, first 2 shown]
	s_set_vgpr_msb 0                        ;  msbs: dst=0 src0=0 src1=0 src2=0
	v_add_f32_e32 v7, v7, v9
	s_wait_dscnt 0x1
	s_set_vgpr_msb 5                        ;  msbs: dst=0 src0=1 src1=1 src2=0
	v_mul_f32_e32 v9, v26 /*v282*/, v31 /*v287*/
	s_delay_alu instid0(VALU_DEP_1) | instskip(SKIP_1) | instid1(VALU_DEP_1)
	v_fmac_f32_e32 v9, v27 /*v283*/, v30 /*v286*/
	s_set_vgpr_msb 0                        ;  msbs: dst=0 src0=0 src1=0 src2=0
	v_add_f32_e32 v7, v7, v9
	s_set_vgpr_msb 5                        ;  msbs: dst=0 src0=1 src1=1 src2=0
	v_mul_f32_e32 v9, v28 /*v284*/, v33 /*v289*/
	s_delay_alu instid0(VALU_DEP_1) | instskip(SKIP_1) | instid1(VALU_DEP_1)
	v_fmac_f32_e32 v9, v29 /*v285*/, v32 /*v288*/
	s_set_vgpr_msb 0                        ;  msbs: dst=0 src0=0 src1=0 src2=0
	v_add_f32_e32 v7, v7, v9
	s_wait_dscnt 0x0
	s_set_vgpr_msb 5                        ;  msbs: dst=0 src0=1 src1=1 src2=0
	v_mul_f32_e32 v9, v34 /*v290*/, v39 /*v295*/
	s_delay_alu instid0(VALU_DEP_1) | instskip(SKIP_1) | instid1(VALU_DEP_1)
	v_fmac_f32_e32 v9, v35 /*v291*/, v38 /*v294*/
	s_set_vgpr_msb 0                        ;  msbs: dst=0 src0=0 src1=0 src2=0
	v_add_f32_e32 v7, v7, v9
	s_set_vgpr_msb 5                        ;  msbs: dst=0 src0=1 src1=1 src2=0
	v_mul_f32_e32 v9, v36 /*v292*/, v41 /*v297*/
	s_delay_alu instid0(VALU_DEP_1) | instskip(SKIP_1) | instid1(VALU_DEP_1)
	v_fmac_f32_e32 v9, v37 /*v293*/, v40 /*v296*/
	s_set_vgpr_msb 0                        ;  msbs: dst=0 src0=0 src1=0 src2=0
	v_add_f32_e32 v7, v7, v9
	;; [unrolled: 6-line block ×4, first 2 shown]
	s_set_vgpr_msb 5                        ;  msbs: dst=0 src0=1 src1=1 src2=0
	v_mul_f32_e32 v9, v50 /*v306*/, v55 /*v311*/
	s_delay_alu instid0(VALU_DEP_1) | instskip(SKIP_1) | instid1(VALU_DEP_1)
	v_fmac_f32_e32 v9, v51 /*v307*/, v54 /*v310*/
	s_set_vgpr_msb 64                       ;  msbs: dst=1 src0=0 src1=0 src2=0
	v_add_f32_e32 v79 /*v335*/, v7, v9
	s_set_vgpr_msb 0                        ;  msbs: dst=0 src0=0 src1=0 src2=0
	v_dual_mul_f32 v7, v123, v127 :: v_dual_mul_f32 v9, v125, v129
	s_delay_alu instid0(VALU_DEP_1) | instskip(NEXT) | instid1(VALU_DEP_1)
	v_dual_fma_f32 v7, v122, v126, -v7 :: v_dual_fma_f32 v9, v124, v128, -v9
	v_add_f32_e32 v7, 0, v7
	s_delay_alu instid0(VALU_DEP_1) | instskip(SKIP_1) | instid1(VALU_DEP_1)
	v_add_f32_e32 v7, v7, v9
	v_mul_f32_e32 v9, v131, v135
	v_fma_f32 v9, v130, v134, -v9
	s_delay_alu instid0(VALU_DEP_1) | instskip(SKIP_1) | instid1(VALU_DEP_1)
	v_add_f32_e32 v7, v7, v9
	v_mul_f32_e32 v9, v133, v137
	v_fma_f32 v9, v132, v136, -v9
	ds_load_2addr_b64 v[122:125], v101 offset0:113 offset1:114
	ds_load_2addr_b64 v[126:129], v101 offset0:115 offset1:116
	;; [unrolled: 1-line block ×3, first 2 shown]
	ds_load_b64 v[134:135], v101 offset:952
	v_add_f32_e32 v7, v7, v9
	v_mul_f32_e32 v9, v139, v143
	s_set_vgpr_msb 1                        ;  msbs: dst=0 src0=1 src1=0 src2=0
	v_mov_b32_e32 v139, v60 /*v316*/
	s_set_vgpr_msb 0                        ;  msbs: dst=0 src0=0 src1=0 src2=0
	s_delay_alu instid0(VALU_DEP_2) | instskip(SKIP_3) | instid1(VALU_DEP_2)
	v_fma_f32 v9, v138, v142, -v9
	s_set_vgpr_msb 1                        ;  msbs: dst=0 src0=1 src1=0 src2=0
	v_mov_b32_e32 v138, v61 /*v317*/
	s_set_vgpr_msb 0                        ;  msbs: dst=0 src0=0 src1=0 src2=0
	v_add_f32_e32 v7, v7, v9
	v_mul_f32_e32 v9, v141, v145
	s_delay_alu instid0(VALU_DEP_1) | instskip(SKIP_3) | instid1(VALU_DEP_2)
	v_fma_f32 v9, v140, v144, -v9
	s_set_vgpr_msb 1                        ;  msbs: dst=0 src0=1 src1=0 src2=0
	v_mov_b32_e32 v140, v65 /*v321*/
	s_set_vgpr_msb 0                        ;  msbs: dst=0 src0=0 src1=0 src2=0
	v_add_f32_e32 v7, v7, v9
	v_mul_f32_e32 v9, v147, v151
	s_delay_alu instid0(VALU_DEP_3) | instskip(NEXT) | instid1(VALU_DEP_2)
	v_pk_mul_f32 v[138:139], v[138:139], v[140:141] op_sel_hi:[1,0]
	v_fma_f32 v9, v146, v150, -v9
	s_set_vgpr_msb 5                        ;  msbs: dst=0 src0=1 src1=1 src2=0
	s_delay_alu instid0(VALU_DEP_2) | instskip(SKIP_3) | instid1(VALU_DEP_2)
	v_pk_fma_f32 v[140:141], v[60:61] /*v[316:317]*/, v[64:65] /*v[320:321]*/, v[138:139] neg_lo:[0,0,1] neg_hi:[0,0,1]
	v_pk_fma_f32 v[138:139], v[60:61] /*v[316:317]*/, v[64:65] /*v[320:321]*/, v[138:139] op_sel_hi:[1,0,1]
	s_set_vgpr_msb 0                        ;  msbs: dst=0 src0=0 src1=0 src2=0
	v_add_f32_e32 v7, v7, v9
	v_dual_mul_f32 v9, v149, v153 :: v_dual_mov_b32 v141, v139
	s_wait_loadcnt_dscnt 0x303
	s_set_vgpr_msb 4                        ;  msbs: dst=0 src0=0 src1=1 src2=0
	v_pk_mul_f32 v[138:139], v[122:123], v[66:67] /*v[322:323]*/ op_sel:[1,1] op_sel_hi:[0,1]
	s_set_vgpr_msb 0                        ;  msbs: dst=0 src0=0 src1=0 src2=0
	v_fma_f32 v9, v148, v152, -v9
	s_delay_alu instid0(VALU_DEP_1) | instskip(SKIP_1) | instid1(VALU_DEP_1)
	v_add_f32_e32 v7, v7, v9
	v_mul_f32_e32 v9, v155, v159
	v_fma_f32 v9, v154, v158, -v9
	s_delay_alu instid0(VALU_DEP_1) | instskip(SKIP_1) | instid1(VALU_DEP_1)
	v_add_f32_e32 v7, v7, v9
	v_mul_f32_e32 v9, v157, v161
	;; [unrolled: 4-line block ×25, first 2 shown]
	v_fma_f32 v9, v250, v254, -v9
	s_delay_alu instid0(VALU_DEP_1) | instskip(SKIP_2) | instid1(VALU_DEP_1)
	v_add_f32_e32 v7, v7, v9
	s_set_vgpr_msb 4                        ;  msbs: dst=0 src0=0 src1=1 src2=0
	v_mul_f32_e32 v9, v253, v1 /*v257*/
	v_fma_f32 v9, v252, v0 /*v256*/, -v9
	s_set_vgpr_msb 0                        ;  msbs: dst=0 src0=0 src1=0 src2=0
	s_delay_alu instid0(VALU_DEP_1) | instskip(SKIP_2) | instid1(VALU_DEP_1)
	v_add_f32_e32 v7, v7, v9
	s_set_vgpr_msb 5                        ;  msbs: dst=0 src0=1 src1=1 src2=0
	v_mul_f32_e32 v9, v3 /*v259*/, v7 /*v263*/
	v_fma_f32 v9, v2 /*v258*/, v6 /*v262*/, -v9
	s_set_vgpr_msb 0                        ;  msbs: dst=0 src0=0 src1=0 src2=0
	s_delay_alu instid0(VALU_DEP_1) | instskip(SKIP_2) | instid1(VALU_DEP_1)
	v_add_f32_e32 v7, v7, v9
	s_set_vgpr_msb 5                        ;  msbs: dst=0 src0=1 src1=1 src2=0
	v_mul_f32_e32 v9, v5 /*v261*/, v9 /*v265*/
	v_fma_f32 v9, v4 /*v260*/, v8 /*v264*/, -v9
	s_set_vgpr_msb 0                        ;  msbs: dst=0 src0=0 src1=0 src2=0
	s_delay_alu instid0(VALU_DEP_1) | instskip(SKIP_2) | instid1(VALU_DEP_1)
	v_add_f32_e32 v7, v7, v9
	s_set_vgpr_msb 5                        ;  msbs: dst=0 src0=1 src1=1 src2=0
	v_mul_f32_e32 v9, v11 /*v267*/, v15 /*v271*/
	v_fma_f32 v9, v10 /*v266*/, v14 /*v270*/, -v9
	s_set_vgpr_msb 0                        ;  msbs: dst=0 src0=0 src1=0 src2=0
	s_delay_alu instid0(VALU_DEP_1) | instskip(SKIP_2) | instid1(VALU_DEP_1)
	v_add_f32_e32 v7, v7, v9
	s_set_vgpr_msb 5                        ;  msbs: dst=0 src0=1 src1=1 src2=0
	v_mul_f32_e32 v9, v13 /*v269*/, v17 /*v273*/
	v_fma_f32 v9, v12 /*v268*/, v16 /*v272*/, -v9
	s_set_vgpr_msb 0                        ;  msbs: dst=0 src0=0 src1=0 src2=0
	s_delay_alu instid0(VALU_DEP_1) | instskip(SKIP_2) | instid1(VALU_DEP_1)
	v_add_f32_e32 v7, v7, v9
	s_set_vgpr_msb 5                        ;  msbs: dst=0 src0=1 src1=1 src2=0
	v_mul_f32_e32 v9, v19 /*v275*/, v23 /*v279*/
	v_fma_f32 v9, v18 /*v274*/, v22 /*v278*/, -v9
	s_set_vgpr_msb 0                        ;  msbs: dst=0 src0=0 src1=0 src2=0
	s_delay_alu instid0(VALU_DEP_1) | instskip(SKIP_2) | instid1(VALU_DEP_1)
	v_add_f32_e32 v7, v7, v9
	s_set_vgpr_msb 5                        ;  msbs: dst=0 src0=1 src1=1 src2=0
	v_mul_f32_e32 v9, v21 /*v277*/, v25 /*v281*/
	v_fma_f32 v9, v20 /*v276*/, v24 /*v280*/, -v9
	s_set_vgpr_msb 0                        ;  msbs: dst=0 src0=0 src1=0 src2=0
	s_delay_alu instid0(VALU_DEP_1) | instskip(SKIP_2) | instid1(VALU_DEP_1)
	v_add_f32_e32 v7, v7, v9
	s_set_vgpr_msb 5                        ;  msbs: dst=0 src0=1 src1=1 src2=0
	v_mul_f32_e32 v9, v27 /*v283*/, v31 /*v287*/
	v_fma_f32 v9, v26 /*v282*/, v30 /*v286*/, -v9
	s_set_vgpr_msb 0                        ;  msbs: dst=0 src0=0 src1=0 src2=0
	s_delay_alu instid0(VALU_DEP_1) | instskip(SKIP_2) | instid1(VALU_DEP_1)
	v_add_f32_e32 v7, v7, v9
	s_set_vgpr_msb 5                        ;  msbs: dst=0 src0=1 src1=1 src2=0
	v_mul_f32_e32 v9, v29 /*v285*/, v33 /*v289*/
	v_fma_f32 v9, v28 /*v284*/, v32 /*v288*/, -v9
	s_set_vgpr_msb 0                        ;  msbs: dst=0 src0=0 src1=0 src2=0
	s_delay_alu instid0(VALU_DEP_1) | instskip(SKIP_2) | instid1(VALU_DEP_1)
	v_add_f32_e32 v7, v7, v9
	s_set_vgpr_msb 5                        ;  msbs: dst=0 src0=1 src1=1 src2=0
	v_mul_f32_e32 v9, v35 /*v291*/, v39 /*v295*/
	v_fma_f32 v9, v34 /*v290*/, v38 /*v294*/, -v9
	s_set_vgpr_msb 0                        ;  msbs: dst=0 src0=0 src1=0 src2=0
	s_delay_alu instid0(VALU_DEP_1) | instskip(SKIP_2) | instid1(VALU_DEP_1)
	v_add_f32_e32 v7, v7, v9
	s_set_vgpr_msb 5                        ;  msbs: dst=0 src0=1 src1=1 src2=0
	v_mul_f32_e32 v9, v37 /*v293*/, v41 /*v297*/
	v_fma_f32 v9, v36 /*v292*/, v40 /*v296*/, -v9
	s_set_vgpr_msb 0                        ;  msbs: dst=0 src0=0 src1=0 src2=0
	s_delay_alu instid0(VALU_DEP_1) | instskip(SKIP_2) | instid1(VALU_DEP_1)
	v_add_f32_e32 v7, v7, v9
	s_set_vgpr_msb 5                        ;  msbs: dst=0 src0=1 src1=1 src2=0
	v_mul_f32_e32 v9, v43 /*v299*/, v47 /*v303*/
	v_fma_f32 v9, v42 /*v298*/, v46 /*v302*/, -v9
	s_set_vgpr_msb 0                        ;  msbs: dst=0 src0=0 src1=0 src2=0
	s_delay_alu instid0(VALU_DEP_1) | instskip(SKIP_2) | instid1(VALU_DEP_1)
	v_add_f32_e32 v7, v7, v9
	s_set_vgpr_msb 5                        ;  msbs: dst=0 src0=1 src1=1 src2=0
	v_mul_f32_e32 v9, v45 /*v301*/, v49 /*v305*/
	v_fma_f32 v9, v44 /*v300*/, v48 /*v304*/, -v9
	s_set_vgpr_msb 0                        ;  msbs: dst=0 src0=0 src1=0 src2=0
	s_delay_alu instid0(VALU_DEP_1) | instskip(SKIP_2) | instid1(VALU_DEP_1)
	v_add_f32_e32 v7, v7, v9
	s_set_vgpr_msb 5                        ;  msbs: dst=0 src0=1 src1=1 src2=0
	v_mul_f32_e32 v9, v51 /*v307*/, v55 /*v311*/
	v_fma_f32 v9, v50 /*v306*/, v54 /*v310*/, -v9
	s_set_vgpr_msb 64                       ;  msbs: dst=1 src0=0 src1=0 src2=0
	s_delay_alu instid0(VALU_DEP_1) | instskip(SKIP_3) | instid1(VALU_DEP_1)
	v_add_f32_e32 v78 /*v334*/, v7, v9
	s_set_vgpr_msb 5                        ;  msbs: dst=0 src0=1 src1=1 src2=0
	v_mul_f32_e32 v7, v53 /*v309*/, v57 /*v313*/
	s_set_vgpr_msb 0x45                     ;  msbs: dst=1 src0=1 src1=1 src2=0
	v_fma_f32 v80 /*v336*/, v52 /*v308*/, v56 /*v312*/, -v7
	s_set_vgpr_msb 5                        ;  msbs: dst=0 src0=1 src1=1 src2=0
	v_mul_f32_e32 v7, v59 /*v315*/, v63 /*v319*/
	s_set_vgpr_msb 0x45                     ;  msbs: dst=1 src0=1 src1=1 src2=0
	s_delay_alu instid0(VALU_DEP_1) | instskip(SKIP_3) | instid1(VALU_DEP_1)
	v_fma_f32 v82 /*v338*/, v58 /*v314*/, v62 /*v318*/, -v7
	s_set_vgpr_msb 5                        ;  msbs: dst=0 src0=1 src1=1 src2=0
	v_pk_add_f32 v[136:137], v[78:79] /*v[334:335]*/, v[80:81] /*v[336:337]*/
	s_set_vgpr_msb 4                        ;  msbs: dst=0 src0=0 src1=1 src2=0
	v_pk_add_f32 v[136:137], v[136:137], v[82:83] /*v[338:339]*/
	s_set_vgpr_msb 0                        ;  msbs: dst=0 src0=0 src1=0 src2=0
	s_delay_alu instid0(VALU_DEP_1)
	v_pk_add_f32 v[136:137], v[136:137], v[140:141]
	s_set_vgpr_msb 4                        ;  msbs: dst=0 src0=0 src1=1 src2=0
	v_pk_fma_f32 v[140:141], v[122:123], v[66:67] /*v[322:323]*/, v[138:139] neg_lo:[0,0,1] neg_hi:[0,0,1]
	v_pk_fma_f32 v[122:123], v[122:123], v[66:67] /*v[322:323]*/, v[138:139] op_sel_hi:[1,0,1]
	s_set_vgpr_msb 1                        ;  msbs: dst=0 src0=1 src1=0 src2=0
	v_mov_b32_e32 v138, v69 /*v325*/
	s_set_vgpr_msb 0                        ;  msbs: dst=0 src0=0 src1=0 src2=0
	s_delay_alu instid0(VALU_DEP_2) | instskip(NEXT) | instid1(VALU_DEP_1)
	v_mov_b32_e32 v141, v123
	v_pk_add_f32 v[122:123], v[136:137], v[140:141]
	v_dual_mov_b32 v136, v125 :: v_dual_mov_b32 v137, v124
	s_delay_alu instid0(VALU_DEP_1) | instskip(SKIP_1) | instid1(VALU_DEP_1)
	v_pk_mul_f32 v[136:137], v[136:137], v[138:139] op_sel_hi:[1,0]
	s_set_vgpr_msb 4                        ;  msbs: dst=0 src0=0 src1=1 src2=0
	v_pk_fma_f32 v[138:139], v[124:125], v[68:69] /*v[324:325]*/, v[136:137] neg_lo:[0,0,1] neg_hi:[0,0,1]
	v_pk_fma_f32 v[124:125], v[124:125], v[68:69] /*v[324:325]*/, v[136:137] op_sel_hi:[1,0,1]
	s_delay_alu instid0(VALU_DEP_1) | instskip(SKIP_3) | instid1(VALU_DEP_2)
	v_mov_b32_e32 v139, v125
	s_wait_loadcnt_dscnt 0x202
	v_pk_mul_f32 v[124:125], v[126:127], v[70:71] /*v[326:327]*/ op_sel:[1,1] op_sel_hi:[0,1]
	s_set_vgpr_msb 0                        ;  msbs: dst=0 src0=0 src1=0 src2=0
	v_pk_add_f32 v[122:123], v[122:123], v[138:139]
	s_set_vgpr_msb 4                        ;  msbs: dst=0 src0=0 src1=1 src2=0
	s_delay_alu instid0(VALU_DEP_2)
	v_pk_fma_f32 v[136:137], v[126:127], v[70:71] /*v[326:327]*/, v[124:125] neg_lo:[0,0,1] neg_hi:[0,0,1]
	v_pk_fma_f32 v[124:125], v[126:127], v[70:71] /*v[326:327]*/, v[124:125] op_sel_hi:[1,0,1]
	v_mov_b32_e32 v124, v129
	s_set_vgpr_msb 1                        ;  msbs: dst=0 src0=1 src1=0 src2=0
	v_mov_b32_e32 v126, v73 /*v329*/
	s_set_vgpr_msb 0                        ;  msbs: dst=0 src0=0 src1=0 src2=0
	v_dual_mov_b32 v137, v125 :: v_dual_mov_b32 v125, v128
	s_delay_alu instid0(VALU_DEP_1) | instskip(NEXT) | instid1(VALU_DEP_2)
	v_pk_add_f32 v[122:123], v[122:123], v[136:137]
	v_pk_mul_f32 v[124:125], v[124:125], v[126:127] op_sel_hi:[1,0]
	s_set_vgpr_msb 4                        ;  msbs: dst=0 src0=0 src1=1 src2=0
	s_delay_alu instid0(VALU_DEP_1) | instskip(SKIP_1) | instid1(VALU_DEP_1)
	v_pk_fma_f32 v[126:127], v[128:129], v[72:73] /*v[328:329]*/, v[124:125] neg_lo:[0,0,1] neg_hi:[0,0,1]
	v_pk_fma_f32 v[124:125], v[128:129], v[72:73] /*v[328:329]*/, v[124:125] op_sel_hi:[1,0,1]
	v_mov_b32_e32 v127, v125
	s_wait_loadcnt_dscnt 0x101
	v_pk_mul_f32 v[124:125], v[130:131], v[74:75] /*v[330:331]*/ op_sel:[1,1] op_sel_hi:[0,1]
	s_set_vgpr_msb 0                        ;  msbs: dst=0 src0=0 src1=0 src2=0
	s_delay_alu instid0(VALU_DEP_2) | instskip(SKIP_1) | instid1(VALU_DEP_2)
	v_pk_add_f32 v[122:123], v[122:123], v[126:127]
	s_set_vgpr_msb 4                        ;  msbs: dst=0 src0=0 src1=1 src2=0
	v_pk_fma_f32 v[126:127], v[130:131], v[74:75] /*v[330:331]*/, v[124:125] neg_lo:[0,0,1] neg_hi:[0,0,1]
	v_pk_fma_f32 v[124:125], v[130:131], v[74:75] /*v[330:331]*/, v[124:125] op_sel_hi:[1,0,1]
	s_delay_alu instid0(VALU_DEP_1) | instskip(SKIP_2) | instid1(VALU_DEP_2)
	v_dual_mov_b32 v124, v133 :: v_dual_mov_b32 v127, v125
	v_mov_b32_e32 v125, v132
	s_set_vgpr_msb 0                        ;  msbs: dst=0 src0=0 src1=0 src2=0
	v_pk_add_f32 v[122:123], v[122:123], v[126:127]
	s_set_vgpr_msb 1                        ;  msbs: dst=0 src0=1 src1=0 src2=0
	v_mov_b32_e32 v126, v77 /*v333*/
	s_set_vgpr_msb 0                        ;  msbs: dst=0 src0=0 src1=0 src2=0
	s_delay_alu instid0(VALU_DEP_1) | instskip(SKIP_1) | instid1(VALU_DEP_1)
	v_pk_mul_f32 v[124:125], v[124:125], v[126:127] op_sel_hi:[1,0]
	s_set_vgpr_msb 4                        ;  msbs: dst=0 src0=0 src1=1 src2=0
	v_pk_fma_f32 v[126:127], v[132:133], v[76:77] /*v[332:333]*/, v[124:125] neg_lo:[0,0,1] neg_hi:[0,0,1]
	v_pk_fma_f32 v[124:125], v[132:133], v[76:77] /*v[332:333]*/, v[124:125] op_sel_hi:[1,0,1]
	s_delay_alu instid0(VALU_DEP_1) | instskip(SKIP_3) | instid1(VALU_DEP_2)
	v_mov_b32_e32 v127, v125
	s_wait_loadcnt_dscnt 0x0
	v_pk_mul_f32 v[124:125], v[134:135], v[84:85] /*v[340:341]*/ op_sel:[1,1] op_sel_hi:[0,1]
	s_set_vgpr_msb 0                        ;  msbs: dst=0 src0=0 src1=0 src2=0
	v_pk_add_f32 v[122:123], v[122:123], v[126:127]
	s_set_vgpr_msb 4                        ;  msbs: dst=0 src0=0 src1=1 src2=0
	s_delay_alu instid0(VALU_DEP_2) | instskip(SKIP_1) | instid1(VALU_DEP_1)
	v_pk_fma_f32 v[126:127], v[134:135], v[84:85] /*v[340:341]*/, v[124:125] neg_lo:[0,0,1] neg_hi:[0,0,1]
	v_pk_fma_f32 v[124:125], v[134:135], v[84:85] /*v[340:341]*/, v[124:125] op_sel_hi:[1,0,1]
	v_mov_b32_e32 v127, v125
	scratch_load_b64 v[124:125], off, off offset:16
	s_set_vgpr_msb 0                        ;  msbs: dst=0 src0=0 src1=0 src2=0
	v_pk_add_f32 v[122:123], v[122:123], v[126:127]
	s_wait_loadcnt 0x0
	s_delay_alu instid0(VALU_DEP_1)
	v_pk_add_f32 v[122:123], v[124:125], v[122:123] neg_lo:[0,1] neg_hi:[0,1]
	scratch_store_b64 off, v[122:123], off offset:16
	s_wait_xcnt 0x0
	v_cmpx_lt_u32_e32 1, v0
	s_cbranch_execz .LBB59_371
; %bb.370:
	scratch_load_b64 v[122:123], off, off offset:8
	v_mov_b64_e32 v[124:125], 0
	scratch_store_b64 off, v[124:125], off offset:8
	s_wait_loadcnt 0x0
	ds_store_b64 v1, v[122:123]
.LBB59_371:
	s_wait_xcnt 0x0
	s_or_b32 exec_lo, exec_lo, s0
	s_wait_storecnt_dscnt 0x0
	s_barrier_signal -1
	s_barrier_wait -1
	s_clause 0x19
	scratch_load_b128 v[122:125], off, off offset:16
	scratch_load_b128 v[126:129], off, off offset:32
	;; [unrolled: 1-line block ×26, first 2 shown]
	ds_load_b128 v[226:229], v101 offset:496
	ds_load_b128 v[230:233], v101 offset:512
	;; [unrolled: 1-line block ×8, first 2 shown]
	v_ashrrev_i32_e32 v99, 31, v98
	s_set_vgpr_msb 64                       ;  msbs: dst=1 src0=0 src1=0 src2=0
	scratch_load_b128 v[2:5] /*v[258:261]*/, off, off offset:432
	ds_load_b128 v[6:9] /*v[262:265]*/, v101 offset:624
	ds_load_b128 v[10:13] /*v[266:269]*/, v101 offset:640
	;; [unrolled: 1-line block ×15, first 2 shown]
	scratch_load_b128 v[66:69] /*v[322:325]*/, off, off offset:448
	ds_load_b128 v[70:73] /*v[326:329]*/, v101 offset:784
	ds_load_b128 v[74:77] /*v[330:333]*/, v101 offset:800
	;; [unrolled: 1-line block ×4, first 2 shown]
	s_clause 0x1
	scratch_load_b128 v[86:89] /*v[342:345]*/, off, off offset:464
	scratch_load_b64 v[98:99] /*v[354:355]*/, off, off offset:8
	ds_load_b128 v[90:93] /*v[346:349]*/, v101 offset:848
	ds_load_b128 v[94:97] /*v[350:353]*/, v101 offset:864
	s_set_vgpr_msb 0                        ;  msbs: dst=0 src0=0 src1=0 src2=0
	v_dual_ashrrev_i32 v7, 31, v6 :: v_dual_ashrrev_i32 v9, 31, v8
	v_dual_ashrrev_i32 v11, 31, v10 :: v_dual_ashrrev_i32 v13, 31, v12
	s_wait_dscnt 0x11
	s_set_vgpr_msb 0x41                     ;  msbs: dst=1 src0=1 src1=0 src2=0
	v_dual_mov_b32 v100 /*v356*/, v21 /*v277*/ :: v_dual_mov_b32 v101 /*v357*/, v20 /*v276*/
	s_set_vgpr_msb 0                        ;  msbs: dst=0 src0=0 src1=0 src2=0
	v_dual_ashrrev_i32 v15, 31, v14 :: v_dual_ashrrev_i32 v17, 31, v16
	s_wait_dscnt 0xe
	s_set_vgpr_msb 0x41                     ;  msbs: dst=1 src0=1 src1=0 src2=0
	v_dual_mov_b32 v102 /*v358*/, v33 /*v289*/ :: v_dual_mov_b32 v103 /*v359*/, v32 /*v288*/
	s_wait_dscnt 0xd
	v_dual_mov_b32 v104 /*v360*/, v37 /*v293*/ :: v_dual_mov_b32 v105 /*v361*/, v36 /*v292*/
	s_wait_dscnt 0xa
	v_dual_mov_b32 v106 /*v362*/, v49 /*v305*/ :: v_dual_mov_b32 v107 /*v363*/, v48 /*v304*/
	s_set_vgpr_msb 0                        ;  msbs: dst=0 src0=0 src1=0 src2=0
	v_dual_ashrrev_i32 v19, 31, v18 :: v_dual_ashrrev_i32 v21, 31, v20
	v_dual_ashrrev_i32 v23, 31, v22 :: v_dual_ashrrev_i32 v25, 31, v24
	;; [unrolled: 1-line block ×20, first 2 shown]
	s_mov_b32 s0, exec_lo
	s_wait_loadcnt 0x1d
	v_dual_mul_f32 v101, v226, v123 :: v_dual_mul_f32 v103, v228, v125
	s_wait_loadcnt 0x1c
	v_dual_mul_f32 v105, v230, v127 :: v_dual_mul_f32 v107, v232, v129
	v_dual_mul_f32 v109, v227, v123 :: v_dual_mul_f32 v111, v229, v125
	v_mul_f32_e32 v113, v231, v127
	v_dual_fmac_f32 v101, v227, v122 :: v_dual_fmac_f32 v103, v229, v124
	s_wait_loadcnt 0x16
	s_set_vgpr_msb 64                       ;  msbs: dst=1 src0=0 src1=0 src2=0
	v_dual_mul_f32 v110 /*v366*/, v252, v149 :: v_dual_mul_f32 v111 /*v367*/, v254, v151
	s_set_vgpr_msb 0                        ;  msbs: dst=0 src0=0 src1=0 src2=0
	v_dual_mul_f32 v151, v255, v151 :: v_dual_fma_f32 v109, v226, v122, -v109
	v_dual_fma_f32 v111, v228, v124, -v111 :: v_dual_add_f32 v101, 0, v101
	v_dual_mul_f32 v115, v233, v129 :: v_dual_mul_f32 v117, v234, v131
	s_delay_alu instid0(VALU_DEP_3) | instskip(NEXT) | instid1(VALU_DEP_3)
	v_dual_add_f32 v109, 0, v109 :: v_dual_fmac_f32 v105, v231, v126
	v_dual_fma_f32 v113, v230, v126, -v113 :: v_dual_add_f32 v101, v101, v103
	v_dual_mul_f32 v123, v240, v137 :: v_dual_mul_f32 v125, v235, v131
	s_delay_alu instid0(VALU_DEP_3) | instskip(SKIP_1) | instid1(VALU_DEP_4)
	v_dual_add_f32 v103, v109, v111 :: v_dual_fma_f32 v111, v232, v128, -v115
	v_fmac_f32_e32 v107, v233, v128
	v_dual_add_f32 v101, v101, v105 :: v_dual_fmac_f32 v117, v235, v130
	v_dual_mul_f32 v119, v236, v133 :: v_dual_mul_f32 v121, v238, v135
	v_dual_mul_f32 v127, v237, v133 :: v_dual_mul_f32 v129, v239, v135
	v_dual_add_f32 v103, v103, v113 :: v_dual_fma_f32 v113, v234, v130, -v125
	s_delay_alu instid0(VALU_DEP_4) | instskip(NEXT) | instid1(VALU_DEP_4)
	v_add_f32_e32 v101, v101, v107
	v_fmac_f32_e32 v119, v237, v132
	v_dual_mul_f32 v131, v241, v137 :: v_dual_mul_f32 v133, v242, v139
	s_delay_alu instid0(VALU_DEP_4) | instskip(NEXT) | instid1(VALU_DEP_4)
	v_dual_add_f32 v103, v103, v111 :: v_dual_fma_f32 v111, v236, v132, -v127
	v_dual_add_f32 v101, v101, v117 :: v_dual_fmac_f32 v121, v239, v134
	s_delay_alu instid0(VALU_DEP_2) | instskip(SKIP_1) | instid1(VALU_DEP_3)
	v_dual_fma_f32 v115, v238, v134, -v129 :: v_dual_add_f32 v103, v103, v113
	v_fmac_f32_e32 v123, v241, v136
	v_dual_add_f32 v101, v101, v119 :: v_dual_fma_f32 v117, v240, v136, -v131
	v_dual_mul_f32 v135, v244, v141 :: v_dual_mul_f32 v137, v243, v139
	s_delay_alu instid0(VALU_DEP_2) | instskip(SKIP_2) | instid1(VALU_DEP_3)
	v_dual_add_f32 v103, v103, v111 :: v_dual_add_f32 v101, v101, v121
	v_dual_mul_f32 v139, v245, v141 :: v_dual_mul_f32 v141, v246, v143
	v_fmac_f32_e32 v133, v243, v138
	v_dual_add_f32 v103, v103, v115 :: v_dual_fma_f32 v119, v242, v138, -v137
	s_delay_alu instid0(VALU_DEP_4) | instskip(SKIP_1) | instid1(VALU_DEP_3)
	v_add_f32_e32 v101, v101, v123
	v_fmac_f32_e32 v135, v245, v140
	v_dual_fma_f32 v121, v244, v140, -v139 :: v_dual_add_f32 v103, v103, v117
	s_set_vgpr_msb 64                       ;  msbs: dst=1 src0=0 src1=0 src2=0
	v_dual_mul_f32 v108 /*v364*/, v248, v145 :: v_dual_mul_f32 v109 /*v365*/, v250, v147
	s_set_vgpr_msb 0                        ;  msbs: dst=0 src0=0 src1=0 src2=0
	v_dual_add_f32 v101, v101, v133 :: v_dual_fmac_f32 v141, v247, v142
	v_dual_mul_f32 v147, v251, v147 :: v_dual_mul_f32 v149, v253, v149
	s_set_vgpr_msb 64                       ;  msbs: dst=1 src0=0 src1=0 src2=0
	v_dual_fmac_f32 v108 /*v364*/, v249, v144 :: v_dual_fmac_f32 v109 /*v365*/, v251, v146
	s_set_vgpr_msb 0                        ;  msbs: dst=0 src0=0 src1=0 src2=0
	s_delay_alu instid0(VALU_DEP_2)
	v_dual_add_f32 v101, v101, v135 :: v_dual_fma_f32 v126, v250, v146, -v147
	s_set_vgpr_msb 64                       ;  msbs: dst=1 src0=0 src1=0 src2=0
	v_dual_fmac_f32 v110 /*v366*/, v253, v148 :: v_dual_fmac_f32 v111 /*v367*/, v255, v150
	s_wait_loadcnt 0x15
	s_set_vgpr_msb 0x41                     ;  msbs: dst=1 src0=1 src1=0 src2=0
	v_dual_mul_f32 v112 /*v368*/, v0 /*v256*/, v153 :: v_dual_mul_f32 v113 /*v369*/, v6 /*v262*/, v155
	s_set_vgpr_msb 0                        ;  msbs: dst=0 src0=0 src1=0 src2=0
	v_add_f32_e32 v101, v101, v141
	s_wait_loadcnt_dscnt 0xa04
	s_set_vgpr_msb 0x41                     ;  msbs: dst=1 src0=1 src1=0 src2=0
	v_mul_f32_e32 v136 /*v392*/, v76 /*v332*/, v201
	v_dual_mul_f32 v114 /*v370*/, v8 /*v264*/, v157 :: v_dual_mul_f32 v115 /*v371*/, v10 /*v266*/, v159
	v_fmac_f32_e32 v112 /*v368*/, v1 /*v257*/, v152
	s_set_vgpr_msb 4                        ;  msbs: dst=0 src0=0 src1=1 src2=0
	v_add_f32_e32 v101, v101, v108 /*v364*/
	s_set_vgpr_msb 0x41                     ;  msbs: dst=1 src0=1 src1=0 src2=0
	v_dual_fmac_f32 v113 /*v369*/, v7 /*v263*/, v154 :: v_dual_fmac_f32 v114 /*v370*/, v9 /*v265*/, v156
	v_dual_mul_f32 v116 /*v372*/, v12 /*v268*/, v161 :: v_dual_mul_f32 v117 /*v373*/, v22 /*v278*/, v163
	s_set_vgpr_msb 4                        ;  msbs: dst=0 src0=0 src1=1 src2=0
	v_add_f32_e32 v101, v101, v109 /*v365*/
	s_set_vgpr_msb 0x41                     ;  msbs: dst=1 src0=1 src1=0 src2=0
	v_dual_fmac_f32 v115 /*v371*/, v11 /*v267*/, v158 :: v_dual_mul_f32 v118 /*v374*/, v24 /*v280*/, v165
	v_dual_mul_f32 v119 /*v375*/, v26 /*v282*/, v167 :: v_dual_fmac_f32 v116 /*v372*/, v13 /*v269*/, v160
	s_set_vgpr_msb 4                        ;  msbs: dst=0 src0=0 src1=1 src2=0
	v_add_f32_e32 v101, v101, v110 /*v366*/
	s_set_vgpr_msb 0x41                     ;  msbs: dst=1 src0=1 src1=0 src2=0
	v_dual_fmac_f32 v117 /*v373*/, v23 /*v279*/, v162 :: v_dual_fmac_f32 v118 /*v374*/, v25 /*v281*/, v164
	v_dual_mul_f32 v120 /*v376*/, v28 /*v284*/, v169 :: v_dual_mul_f32 v121 /*v377*/, v38 /*v294*/, v171
	s_set_vgpr_msb 4                        ;  msbs: dst=0 src0=0 src1=1 src2=0
	v_add_f32_e32 v101, v101, v111 /*v367*/
	s_set_vgpr_msb 0x41                     ;  msbs: dst=1 src0=1 src1=0 src2=0
	v_dual_fmac_f32 v119 /*v375*/, v27 /*v283*/, v166 :: v_dual_mul_f32 v122 /*v378*/, v40 /*v296*/, v173
	v_dual_mul_f32 v123 /*v379*/, v42 /*v298*/, v175 :: v_dual_fmac_f32 v120 /*v376*/, v29 /*v285*/, v168
	;; [unrolled: 10-line block ×5, first 2 shown]
	s_set_vgpr_msb 4                        ;  msbs: dst=0 src0=0 src1=1 src2=0
	v_add_f32_e32 v101, v101, v118 /*v374*/
	s_set_vgpr_msb 0x41                     ;  msbs: dst=1 src0=1 src1=0 src2=0
	v_dual_fmac_f32 v133 /*v389*/, v71 /*v327*/, v194 :: v_dual_fmac_f32 v134 /*v390*/, v73 /*v329*/, v196
	s_set_vgpr_msb 0                        ;  msbs: dst=0 src0=0 src1=0 src2=0
	v_dual_mul_f32 v143, v247, v143 :: v_dual_mul_f32 v145, v249, v145
	s_set_vgpr_msb 4                        ;  msbs: dst=0 src0=0 src1=1 src2=0
	v_add_f32_e32 v101, v101, v119 /*v375*/
	s_set_vgpr_msb 0                        ;  msbs: dst=0 src0=0 src1=0 src2=0
	v_add_f32_e32 v103, v103, v119
	s_set_vgpr_msb 0x41                     ;  msbs: dst=1 src0=1 src1=0 src2=0
	v_dual_fmac_f32 v135 /*v391*/, v75 /*v331*/, v198 :: v_dual_fmac_f32 v136 /*v392*/, v77 /*v333*/, v200
	s_set_vgpr_msb 0                        ;  msbs: dst=0 src0=0 src1=0 src2=0
	v_fma_f32 v125, v246, v142, -v143
	s_set_vgpr_msb 4                        ;  msbs: dst=0 src0=0 src1=1 src2=0
	v_add_f32_e32 v101, v101, v120 /*v376*/
	s_set_vgpr_msb 0                        ;  msbs: dst=0 src0=0 src1=0 src2=0
	v_dual_add_f32 v103, v103, v121 :: v_dual_fma_f32 v121, v248, v144, -v145
	s_wait_loadcnt_dscnt 0x903
	s_set_vgpr_msb 1                        ;  msbs: dst=0 src0=1 src1=0 src2=0
	v_dual_mul_f32 v124, v9 /*v265*/, v157 :: v_dual_mul_f32 v109, v78 /*v334*/, v203
	s_set_vgpr_msb 4                        ;  msbs: dst=0 src0=0 src1=1 src2=0
	v_add_f32_e32 v101, v101, v121 /*v377*/
	s_set_vgpr_msb 0                        ;  msbs: dst=0 src0=0 src1=0 src2=0
	v_dual_add_f32 v103, v103, v125 :: v_dual_fma_f32 v127, v252, v148, -v149
	s_wait_loadcnt_dscnt 0x802
	s_set_vgpr_msb 1                        ;  msbs: dst=0 src0=1 src1=0 src2=0
	v_dual_mul_f32 v105, v80 /*v336*/, v205 :: v_dual_mul_f32 v107, v82 /*v338*/, v207
	s_set_vgpr_msb 4                        ;  msbs: dst=0 src0=0 src1=1 src2=0
	v_add_f32_e32 v101, v101, v122 /*v378*/
	s_set_vgpr_msb 0                        ;  msbs: dst=0 src0=0 src1=0 src2=0
	v_dual_add_f32 v103, v103, v121 :: v_dual_fma_f32 v128, v254, v150, -v151
	s_set_vgpr_msb 1                        ;  msbs: dst=0 src0=1 src1=0 src2=0
	v_fmac_f32_e32 v109, v79 /*v335*/, v202
	v_dual_fmac_f32 v105, v81 /*v337*/, v204 :: v_dual_fmac_f32 v107, v83 /*v339*/, v206
	s_set_vgpr_msb 4                        ;  msbs: dst=0 src0=0 src1=1 src2=0
	v_add_f32_e32 v101, v101, v123 /*v379*/
	s_set_vgpr_msb 1                        ;  msbs: dst=0 src0=1 src1=0 src2=0
	v_dual_mul_f32 v153, v1 /*v257*/, v153 :: v_dual_mul_f32 v122, v7 /*v263*/, v155
	s_wait_loadcnt_dscnt 0x701
	v_dual_mul_f32 v113, v84 /*v340*/, v209 :: v_dual_mul_f32 v111, v90 /*v346*/, v211
	s_set_vgpr_msb 4                        ;  msbs: dst=0 src0=0 src1=1 src2=0
	v_add_f32_e32 v101, v101, v124 /*v380*/
	s_set_vgpr_msb 1                        ;  msbs: dst=0 src0=1 src1=0 src2=0
	v_fma_f32 v129, v0 /*v256*/, v152, -v153
	s_wait_loadcnt_dscnt 0x600
	v_dual_mul_f32 v115, v92 /*v348*/, v213 :: v_dual_mul_f32 v117, v94 /*v350*/, v215
	v_fma_f32 v122, v6 /*v262*/, v154, -v122
	s_set_vgpr_msb 4                        ;  msbs: dst=0 src0=0 src1=1 src2=0
	v_add_f32_e32 v101, v101, v125 /*v381*/
	s_wait_loadcnt 0x5
	s_set_vgpr_msb 1                        ;  msbs: dst=0 src0=1 src1=0 src2=0
	v_dual_fmac_f32 v111, v91 /*v347*/, v210 :: v_dual_mul_f32 v125, v16 /*v272*/, v221
	v_dual_mul_f32 v121, v11 /*v267*/, v159 :: v_dual_fma_f32 v124, v8 /*v264*/, v156, -v124
	s_set_vgpr_msb 4                        ;  msbs: dst=0 src0=0 src1=1 src2=0
	v_add_f32_e32 v101, v101, v126 /*v382*/
	s_set_vgpr_msb 1                        ;  msbs: dst=0 src0=1 src1=0 src2=0
	v_dual_fmac_f32 v115, v93 /*v349*/, v212 :: v_dual_mul_f32 v119, v96 /*v352*/, v217
	v_mul_f32_e32 v123, v14 /*v270*/, v219
	v_fma_f32 v121, v10 /*v266*/, v158, -v121
	s_set_vgpr_msb 4                        ;  msbs: dst=0 src0=0 src1=1 src2=0
	v_add_f32_e32 v101, v101, v127 /*v383*/
	s_set_vgpr_msb 1                        ;  msbs: dst=0 src0=1 src1=0 src2=0
	v_dual_fmac_f32 v117, v95 /*v351*/, v214 :: v_dual_fmac_f32 v119, v97 /*v353*/, v216
	v_fmac_f32_e32 v125, v17 /*v273*/, v220
	s_wait_loadcnt 0x3
	s_set_vgpr_msb 5                        ;  msbs: dst=0 src0=1 src1=1 src2=0
	v_pk_mul_f32 v[130:131], v[30:31] /*v[286:287]*/, v[2:3] /*v[258:259]*/ op_sel:[1,1] op_sel_hi:[0,1]
	s_set_vgpr_msb 4                        ;  msbs: dst=0 src0=0 src1=1 src2=0
	v_add_f32_e32 v101, v101, v128 /*v384*/
	s_set_vgpr_msb 1                        ;  msbs: dst=0 src0=1 src1=0 src2=0
	v_fmac_f32_e32 v113, v85 /*v341*/, v208
	v_dual_mov_b32 v132, v5 /*v261*/ :: v_dual_fmac_f32 v123, v15 /*v271*/, v218
	s_set_vgpr_msb 4                        ;  msbs: dst=0 src0=0 src1=1 src2=0
	v_add_f32_e32 v101, v101, v129 /*v385*/
	s_set_vgpr_msb 1                        ;  msbs: dst=0 src0=1 src1=0 src2=0
	s_delay_alu instid0(VALU_DEP_2) | instskip(SKIP_1) | instid1(VALU_DEP_2)
	v_pk_mul_f32 v[132:133], v[102:103] /*v[358:359]*/, v[132:133] op_sel_hi:[1,0]
	s_set_vgpr_msb 4                        ;  msbs: dst=0 src0=0 src1=1 src2=0
	v_add_f32_e32 v101, v101, v130 /*v386*/
	s_delay_alu instid0(VALU_DEP_1) | instskip(NEXT) | instid1(VALU_DEP_1)
	v_add_f32_e32 v101, v101, v131 /*v387*/
	v_add_f32_e32 v101, v101, v132 /*v388*/
	s_delay_alu instid0(VALU_DEP_1) | instskip(NEXT) | instid1(VALU_DEP_1)
	v_add_f32_e32 v101, v101, v133 /*v389*/
	;; [unrolled: 3-line block ×3, first 2 shown]
	v_add_f32_e32 v101, v101, v136 /*v392*/
	s_set_vgpr_msb 0                        ;  msbs: dst=0 src0=0 src1=0 src2=0
	v_add_f32_e32 v103, v103, v126
	s_set_vgpr_msb 1                        ;  msbs: dst=0 src0=1 src1=0 src2=0
	v_mul_f32_e32 v126, v13 /*v269*/, v161
	s_set_vgpr_msb 0                        ;  msbs: dst=0 src0=0 src1=0 src2=0
	s_delay_alu instid0(VALU_DEP_2) | instskip(SKIP_1) | instid1(VALU_DEP_2)
	v_dual_add_f32 v101, v101, v109 :: v_dual_add_f32 v103, v103, v127
	s_set_vgpr_msb 1                        ;  msbs: dst=0 src0=1 src1=0 src2=0
	v_dual_mul_f32 v127, v23 /*v279*/, v163 :: v_dual_fma_f32 v126, v12 /*v268*/, v160, -v126
	s_set_vgpr_msb 0                        ;  msbs: dst=0 src0=0 src1=0 src2=0
	s_delay_alu instid0(VALU_DEP_2)
	v_dual_add_f32 v101, v101, v105 :: v_dual_add_f32 v103, v103, v128
	s_set_vgpr_msb 1                        ;  msbs: dst=0 src0=1 src1=0 src2=0
	v_dual_mul_f32 v105, v15 /*v271*/, v219 :: v_dual_mul_f32 v128, v25 /*v281*/, v165
	v_fma_f32 v127, v22 /*v278*/, v162, -v127
	s_set_vgpr_msb 0                        ;  msbs: dst=0 src0=0 src1=0 src2=0
	v_add_f32_e32 v101, v101, v107
	s_set_vgpr_msb 1                        ;  msbs: dst=0 src0=1 src1=0 src2=0
	v_dual_mul_f32 v107, v17 /*v273*/, v221 :: v_dual_fma_f32 v128, v24 /*v280*/, v164, -v128
	s_set_vgpr_msb 0                        ;  msbs: dst=0 src0=0 src1=0 src2=0
	s_delay_alu instid0(VALU_DEP_2) | instskip(SKIP_4) | instid1(VALU_DEP_2)
	v_add_f32_e32 v101, v101, v113
	v_add_f32_e32 v103, v103, v129
	s_set_vgpr_msb 1                        ;  msbs: dst=0 src0=1 src1=0 src2=0
	v_mul_f32_e32 v129, v27 /*v283*/, v167
	s_set_vgpr_msb 0                        ;  msbs: dst=0 src0=0 src1=0 src2=0
	v_dual_add_f32 v101, v101, v111 :: v_dual_add_f32 v103, v103, v122
	s_set_vgpr_msb 1                        ;  msbs: dst=0 src0=1 src1=0 src2=0
	s_delay_alu instid0(VALU_DEP_2) | instskip(SKIP_1) | instid1(VALU_DEP_2)
	v_dual_mul_f32 v122, v29 /*v285*/, v169 :: v_dual_fma_f32 v129, v26 /*v282*/, v166, -v129
	s_set_vgpr_msb 0                        ;  msbs: dst=0 src0=0 src1=0 src2=0
	v_dual_add_f32 v101, v101, v115 :: v_dual_add_f32 v103, v103, v124
	s_set_vgpr_msb 1                        ;  msbs: dst=0 src0=1 src1=0 src2=0
	s_delay_alu instid0(VALU_DEP_2) | instskip(SKIP_1) | instid1(VALU_DEP_2)
	v_dual_mul_f32 v124, v39 /*v295*/, v171 :: v_dual_fma_f32 v122, v28 /*v284*/, v168, -v122
	s_set_vgpr_msb 0                        ;  msbs: dst=0 src0=0 src1=0 src2=0
	v_dual_ashrrev_i32 v115, 31, v114 :: v_dual_add_f32 v101, v101, v117
	v_add_f32_e32 v103, v103, v121
	s_set_vgpr_msb 1                        ;  msbs: dst=0 src0=1 src1=0 src2=0
	v_dual_mul_f32 v121, v41 /*v297*/, v173 :: v_dual_fma_f32 v124, v38 /*v294*/, v170, -v124
	s_set_vgpr_msb 0                        ;  msbs: dst=0 src0=0 src1=0 src2=0
	v_dual_ashrrev_i32 v117, 31, v116 :: v_dual_add_f32 v135, v101, v119
	v_add_f32_e32 v103, v103, v126
	s_set_vgpr_msb 1                        ;  msbs: dst=0 src0=1 src1=0 src2=0
	v_dual_mul_f32 v126, v43 /*v299*/, v175 :: v_dual_fma_f32 v121, v40 /*v296*/, v172, -v121
	v_dual_ashrrev_i32 v101, 31, v100 :: v_dual_ashrrev_i32 v119, 31, v118
	s_set_vgpr_msb 0                        ;  msbs: dst=0 src0=0 src1=0 src2=0
	v_add_f32_e32 v103, v103, v127
	s_set_vgpr_msb 1                        ;  msbs: dst=0 src0=1 src1=0 src2=0
	v_dual_mul_f32 v127, v45 /*v301*/, v177 :: v_dual_fma_f32 v126, v42 /*v298*/, v174, -v126
	s_set_vgpr_msb 0                        ;  msbs: dst=0 src0=0 src1=0 src2=0
	s_delay_alu instid0(VALU_DEP_2) | instskip(SKIP_1) | instid1(VALU_DEP_2)
	v_add_f32_e32 v103, v103, v128
	s_set_vgpr_msb 1                        ;  msbs: dst=0 src0=1 src1=0 src2=0
	v_dual_mul_f32 v128, v51 /*v307*/, v179 :: v_dual_fma_f32 v127, v44 /*v300*/, v176, -v127
	s_set_vgpr_msb 0                        ;  msbs: dst=0 src0=0 src1=0 src2=0
	s_delay_alu instid0(VALU_DEP_2) | instskip(SKIP_1) | instid1(VALU_DEP_2)
	;; [unrolled: 5-line block ×15, first 2 shown]
	v_add_f32_e32 v103, v103, v128
	s_set_vgpr_msb 1                        ;  msbs: dst=0 src0=1 src1=0 src2=0
	v_dual_mul_f32 v128, v83 /*v339*/, v207 :: v_dual_fma_f32 v127, v80 /*v336*/, v204, -v127
	v_mul_f32_e32 v109, v97 /*v353*/, v217
	s_set_vgpr_msb 0                        ;  msbs: dst=0 src0=0 src1=0 src2=0
	v_add_f32_e32 v103, v103, v129
	s_set_vgpr_msb 1                        ;  msbs: dst=0 src0=1 src1=0 src2=0
	v_mul_f32_e32 v129, v85 /*v341*/, v209
	s_set_vgpr_msb 0                        ;  msbs: dst=0 src0=0 src1=0 src2=0
	s_delay_alu instid0(VALU_DEP_2) | instskip(SKIP_3) | instid1(VALU_DEP_2)
	v_add_f32_e32 v103, v103, v122
	s_set_vgpr_msb 1                        ;  msbs: dst=0 src0=1 src1=0 src2=0
	v_mul_f32_e32 v122, v91 /*v347*/, v211
	s_set_vgpr_msb 0                        ;  msbs: dst=0 src0=0 src1=0 src2=0
	v_add_f32_e32 v103, v103, v124
	s_set_vgpr_msb 1                        ;  msbs: dst=0 src0=1 src1=0 src2=0
	s_delay_alu instid0(VALU_DEP_2) | instskip(SKIP_1) | instid1(VALU_DEP_2)
	v_dual_mul_f32 v124, v93 /*v349*/, v213 :: v_dual_fma_f32 v122, v90 /*v346*/, v210, -v122
	s_set_vgpr_msb 0                        ;  msbs: dst=0 src0=0 src1=0 src2=0
	v_add_f32_e32 v103, v103, v121
	s_set_vgpr_msb 1                        ;  msbs: dst=0 src0=1 src1=0 src2=0
	s_delay_alu instid0(VALU_DEP_2)
	v_dual_mul_f32 v121, v95 /*v351*/, v215 :: v_dual_fma_f32 v113, v92 /*v348*/, v212, -v124
	v_dual_fma_f32 v124, v16 /*v272*/, v220, -v107 :: v_dual_ashrrev_i32 v107, 31, v106
	s_set_vgpr_msb 0                        ;  msbs: dst=0 src0=0 src1=0 src2=0
	v_add_f32_e32 v103, v103, v126
	s_set_vgpr_msb 1                        ;  msbs: dst=0 src0=1 src1=0 src2=0
	v_fma_f32 v126, v82 /*v338*/, v206, -v128
	v_fma_f32 v111, v94 /*v350*/, v214, -v121
	;; [unrolled: 1-line block ×3, first 2 shown]
	s_set_vgpr_msb 0                        ;  msbs: dst=0 src0=0 src1=0 src2=0
	v_dual_mov_b32 v128, v225 :: v_dual_add_f32 v103, v103, v127
	s_set_vgpr_msb 1                        ;  msbs: dst=0 src0=1 src1=0 src2=0
	v_fma_f32 v127, v84 /*v340*/, v208, -v129
	v_ashrrev_i32_e32 v121, 31, v120
	s_delay_alu instid0(VALU_DEP_3) | instskip(SKIP_2) | instid1(VALU_DEP_1)
	v_pk_mul_f32 v[128:129], v[100:101] /*v[356:357]*/, v[128:129] op_sel_hi:[1,0]
	s_set_vgpr_msb 0                        ;  msbs: dst=0 src0=0 src1=0 src2=0
	v_add_f32_e32 v103, v103, v126
	v_add_f32_e32 v103, v103, v127
	s_set_vgpr_msb 1                        ;  msbs: dst=0 src0=1 src1=0 src2=0
	v_pk_mul_f32 v[126:127], v[18:19] /*v[274:275]*/, v[222:223] op_sel:[1,1] op_sel_hi:[0,1]
	s_set_vgpr_msb 0                        ;  msbs: dst=0 src0=0 src1=0 src2=0
	s_delay_alu instid0(VALU_DEP_2)
	v_add_f32_e32 v103, v103, v122
	s_set_vgpr_msb 1                        ;  msbs: dst=0 src0=1 src1=0 src2=0
	v_fma_f32 v122, v14 /*v270*/, v218, -v105
	v_pk_fma_f32 v[136:137], v[18:19] /*v[274:275]*/, v[222:223], v[126:127] op_sel_hi:[1,0,1]
	v_pk_fma_f32 v[126:127], v[18:19] /*v[274:275]*/, v[222:223], v[126:127] neg_lo:[0,0,1] neg_hi:[0,0,1]
	s_set_vgpr_msb 0                        ;  msbs: dst=0 src0=0 src1=0 src2=0
	v_dual_ashrrev_i32 v105, 31, v104 :: v_dual_add_f32 v103, v103, v113
	s_delay_alu instid0(VALU_DEP_3)
	v_dual_ashrrev_i32 v113, 31, v112 :: v_dual_mov_b32 v127, v137
	s_set_vgpr_msb 1                        ;  msbs: dst=0 src0=1 src1=0 src2=0
	v_pk_fma_f32 v[136:137], v[20:21] /*v[276:277]*/, v[224:225], v[128:129] op_sel_hi:[1,0,1]
	v_pk_fma_f32 v[128:129], v[20:21] /*v[276:277]*/, v[224:225], v[128:129] neg_lo:[0,0,1] neg_hi:[0,0,1]
	s_set_vgpr_msb 0                        ;  msbs: dst=0 src0=0 src1=0 src2=0
	v_dual_add_f32 v103, v103, v111 :: v_dual_ashrrev_i32 v111, 31, v110
	s_delay_alu instid0(VALU_DEP_1) | instskip(SKIP_1) | instid1(VALU_DEP_2)
	v_dual_mov_b32 v129, v137 :: v_dual_add_f32 v134, v103, v109
	v_dual_ashrrev_i32 v103, 31, v102 :: v_dual_ashrrev_i32 v109, 31, v108
	v_pk_add_f32 v[122:123], v[134:135], v[122:123]
	s_wait_loadcnt 0x2
	s_set_vgpr_msb 5                        ;  msbs: dst=0 src0=1 src1=1 src2=0
	v_pk_mul_f32 v[134:135], v[34:35] /*v[290:291]*/, v[66:67] /*v[322:323]*/ op_sel:[1,1] op_sel_hi:[0,1]
	s_set_vgpr_msb 0                        ;  msbs: dst=0 src0=0 src1=0 src2=0
	v_pk_add_f32 v[122:123], v[122:123], v[124:125]
	s_set_vgpr_msb 5                        ;  msbs: dst=0 src0=1 src1=1 src2=0
	v_pk_fma_f32 v[124:125], v[30:31] /*v[286:287]*/, v[2:3] /*v[258:259]*/, v[130:131] op_sel_hi:[1,0,1]
	v_mov_b32_e32 v124, v69 /*v325*/
	s_set_vgpr_msb 0                        ;  msbs: dst=0 src0=0 src1=0 src2=0
	v_pk_add_f32 v[122:123], v[122:123], v[126:127]
	s_set_vgpr_msb 5                        ;  msbs: dst=0 src0=1 src1=1 src2=0
	v_pk_fma_f32 v[126:127], v[30:31] /*v[286:287]*/, v[2:3] /*v[258:259]*/, v[130:131] neg_lo:[0,0,1] neg_hi:[0,0,1]
	s_set_vgpr_msb 0                        ;  msbs: dst=0 src0=0 src1=0 src2=0
	v_mov_b32_e32 v127, v125
	s_set_vgpr_msb 5                        ;  msbs: dst=0 src0=1 src1=1 src2=0
	v_pk_fma_f32 v[130:131], v[32:33] /*v[288:289]*/, v[4:5] /*v[260:261]*/, v[132:133] op_sel_hi:[1,0,1]
	s_set_vgpr_msb 1                        ;  msbs: dst=0 src0=1 src1=0 src2=0
	v_pk_mul_f32 v[124:125], v[104:105] /*v[360:361]*/, v[124:125] op_sel_hi:[1,0]
	s_set_vgpr_msb 0                        ;  msbs: dst=0 src0=0 src1=0 src2=0
	v_pk_add_f32 v[122:123], v[122:123], v[128:129]
	s_set_vgpr_msb 5                        ;  msbs: dst=0 src0=1 src1=1 src2=0
	v_pk_fma_f32 v[128:129], v[34:35] /*v[290:291]*/, v[66:67] /*v[322:323]*/, v[134:135] op_sel_hi:[1,0,1]
	v_pk_fma_f32 v[132:133], v[32:33] /*v[288:289]*/, v[4:5] /*v[260:261]*/, v[132:133] neg_lo:[0,0,1] neg_hi:[0,0,1]
	s_set_vgpr_msb 0                        ;  msbs: dst=0 src0=0 src1=0 src2=0
	v_mov_b32_e32 v133, v131
	s_set_vgpr_msb 5                        ;  msbs: dst=0 src0=1 src1=1 src2=0
	v_pk_fma_f32 v[130:131], v[34:35] /*v[290:291]*/, v[66:67] /*v[322:323]*/, v[134:135] neg_lo:[0,0,1] neg_hi:[0,0,1]
	s_set_vgpr_msb 0                        ;  msbs: dst=0 src0=0 src1=0 src2=0
	v_pk_add_f32 v[122:123], v[122:123], v[126:127]
	v_mov_b32_e32 v131, v129
	s_set_vgpr_msb 5                        ;  msbs: dst=0 src0=1 src1=1 src2=0
	v_pk_fma_f32 v[128:129], v[36:37] /*v[292:293]*/, v[68:69] /*v[324:325]*/, v[124:125] op_sel_hi:[1,0,1]
	s_wait_loadcnt 0x1
	v_pk_mul_f32 v[126:127], v[46:47] /*v[302:303]*/, v[86:87] /*v[342:343]*/ op_sel:[1,1] op_sel_hi:[0,1]
	v_mov_b32_e32 v128, v89 /*v345*/
	s_set_vgpr_msb 0                        ;  msbs: dst=0 src0=0 src1=0 src2=0
	v_pk_add_f32 v[122:123], v[122:123], v[132:133]
	s_set_vgpr_msb 5                        ;  msbs: dst=0 src0=1 src1=1 src2=0
	v_pk_fma_f32 v[124:125], v[36:37] /*v[292:293]*/, v[68:69] /*v[324:325]*/, v[124:125] neg_lo:[0,0,1] neg_hi:[0,0,1]
	s_set_vgpr_msb 0                        ;  msbs: dst=0 src0=0 src1=0 src2=0
	v_mov_b32_e32 v125, v129
	s_set_vgpr_msb 5                        ;  msbs: dst=0 src0=1 src1=1 src2=0
	v_pk_fma_f32 v[132:133], v[46:47] /*v[302:303]*/, v[86:87] /*v[342:343]*/, v[126:127] op_sel_hi:[1,0,1]
	s_set_vgpr_msb 1                        ;  msbs: dst=0 src0=1 src1=0 src2=0
	v_pk_mul_f32 v[128:129], v[106:107] /*v[362:363]*/, v[128:129] op_sel_hi:[1,0]
	s_set_vgpr_msb 0                        ;  msbs: dst=0 src0=0 src1=0 src2=0
	v_pk_add_f32 v[122:123], v[122:123], v[130:131]
	s_set_vgpr_msb 5                        ;  msbs: dst=0 src0=1 src1=1 src2=0
	v_pk_fma_f32 v[126:127], v[46:47] /*v[302:303]*/, v[86:87] /*v[342:343]*/, v[126:127] neg_lo:[0,0,1] neg_hi:[0,0,1]
	s_set_vgpr_msb 0                        ;  msbs: dst=0 src0=0 src1=0 src2=0
	v_mov_b32_e32 v127, v133
	v_pk_add_f32 v[122:123], v[122:123], v[124:125]
	s_set_vgpr_msb 5                        ;  msbs: dst=0 src0=1 src1=1 src2=0
	v_pk_fma_f32 v[124:125], v[48:49] /*v[304:305]*/, v[88:89] /*v[344:345]*/, v[128:129] op_sel_hi:[1,0,1]
	v_pk_fma_f32 v[128:129], v[48:49] /*v[304:305]*/, v[88:89] /*v[344:345]*/, v[128:129] neg_lo:[0,0,1] neg_hi:[0,0,1]
	s_set_vgpr_msb 0                        ;  msbs: dst=0 src0=0 src1=0 src2=0
	v_pk_add_f32 v[122:123], v[122:123], v[126:127]
	s_delay_alu instid0(VALU_DEP_3) | instskip(NEXT) | instid1(VALU_DEP_1)
	v_mov_b32_e32 v129, v125
	v_pk_add_f32 v[122:123], v[122:123], v[128:129]
	s_wait_loadcnt 0x0
	s_set_vgpr_msb 1                        ;  msbs: dst=0 src0=1 src1=0 src2=0
	s_delay_alu instid0(VALU_DEP_1)
	v_pk_add_f32 v[122:123], v[98:99] /*v[354:355]*/, v[122:123] neg_lo:[0,1] neg_hi:[0,1]
	scratch_store_b64 off, v[122:123], off offset:8
	s_wait_xcnt 0x0
	v_cmpx_ne_u32_e32 0, v0
	s_set_vgpr_msb 0                        ;  msbs: dst=0 src0=0 src1=0 src2=0
	s_cbranch_execz .LBB59_373
; %bb.372:
	scratch_load_b64 v[122:123], off, off
	v_mov_b64_e32 v[124:125], 0
	scratch_store_b64 off, v[124:125], off
	s_wait_loadcnt 0x0
	ds_store_b64 v1, v[122:123]
.LBB59_373:
	s_wait_xcnt 0x0
	s_or_b32 exec_lo, exec_lo, s0
	s_wait_storecnt_dscnt 0x0
	s_barrier_signal -1
	s_barrier_wait -1
	s_clause 0x19
	scratch_load_b128 v[124:127], off, off offset:8
	scratch_load_b128 v[128:131], off, off offset:24
	;; [unrolled: 1-line block ×26, first 2 shown]
	v_mov_b32_e32 v122, 0
	s_clause 0x5
	scratch_load_b128 v[228:231], off, off offset:424
	scratch_load_b128 v[232:235], off, off offset:440
	;; [unrolled: 1-line block ×3, first 2 shown]
	scratch_load_b64 v[0:1], off, off offset:472
	s_set_vgpr_msb 64                       ;  msbs: dst=1 src0=0 src1=0 src2=0
	scratch_load_b64 v[100:101] /*v[356:357]*/, off, off
	s_set_vgpr_msb 0                        ;  msbs: dst=0 src0=0 src1=0 src2=0
	ds_load_2addr_b64 v[240:243], v122 offset0:61 offset1:62
	ds_load_2addr_b64 v[244:247], v122 offset0:63 offset1:64
	;; [unrolled: 1-line block ×4, first 2 shown]
	s_set_vgpr_msb 64                       ;  msbs: dst=1 src0=0 src1=0 src2=0
	ds_load_2addr_b64 v[0:3] /*v[256:259]*/, v122 offset0:69 offset1:70
	ds_load_2addr_b64 v[4:7] /*v[260:263]*/, v122 offset0:71 offset1:72
	;; [unrolled: 1-line block ×25, first 2 shown]
	ds_load_b64 v[102:103] /*v[358:359]*/, v122 offset:952
	s_wait_dscnt 0x14
	s_set_vgpr_msb 0x41                     ;  msbs: dst=1 src0=1 src1=0 src2=0
	v_dual_mov_b32 v104 /*v360*/, v23 /*v279*/ :: v_dual_mov_b32 v105 /*v361*/, v22 /*v278*/
	s_wait_dscnt 0x11
	v_dual_mov_b32 v106 /*v362*/, v35 /*v291*/ :: v_dual_mov_b32 v107 /*v363*/, v34 /*v290*/
	s_wait_dscnt 0x10
	;; [unrolled: 2-line block ×3, first 2 shown]
	v_dual_mov_b32 v110 /*v366*/, v51 /*v307*/ :: v_dual_mov_b32 v111 /*v367*/, v50 /*v306*/
	s_and_b32 vcc_lo, exec_lo, s18
	s_wait_loadcnt 0x1e
	s_set_vgpr_msb 0                        ;  msbs: dst=0 src0=0 src1=0 src2=0
	v_dual_mul_f32 v123, v240, v125 :: v_dual_mul_f32 v125, v241, v125
	s_wait_loadcnt 0x1d
	s_set_vgpr_msb 64                       ;  msbs: dst=1 src0=0 src1=0 src2=0
	v_dual_mul_f32 v112 /*v368*/, v242, v127 :: v_dual_mul_f32 v114 /*v370*/, v244, v129
	s_wait_loadcnt 0x1b
	v_dual_mul_f32 v118 /*v374*/, v250, v135 :: v_dual_mul_f32 v119 /*v375*/, v252, v137
	s_set_vgpr_msb 0                        ;  msbs: dst=0 src0=0 src1=0 src2=0
	v_dual_mul_f32 v127, v243, v127 :: v_dual_mul_f32 v137, v253, v137
	v_dual_fmac_f32 v123, v241, v124 :: v_dual_fma_f32 v124, v240, v124, -v125
	s_set_vgpr_msb 64                       ;  msbs: dst=1 src0=0 src1=0 src2=0
	v_dual_mul_f32 v120 /*v376*/, v254, v139 :: v_dual_fmac_f32 v112 /*v368*/, v243, v126
	s_set_vgpr_msb 0                        ;  msbs: dst=0 src0=0 src1=0 src2=0
	v_dual_mul_f32 v129, v245, v129 :: v_dual_mul_f32 v125, v255, v139
	v_dual_fma_f32 v126, v242, v126, -v127 :: v_dual_add_f32 v123, 0, v123
	s_wait_loadcnt 0x1a
	s_set_vgpr_msb 1                        ;  msbs: dst=0 src0=1 src1=0 src2=0
	v_dual_add_f32 v124, 0, v124 :: v_dual_mul_f32 v127, v1 /*v257*/, v141
	s_set_vgpr_msb 64                       ;  msbs: dst=1 src0=0 src1=0 src2=0
	v_dual_mul_f32 v116 /*v372*/, v246, v131 :: v_dual_mul_f32 v117 /*v373*/, v248, v133
	s_set_vgpr_msb 0                        ;  msbs: dst=0 src0=0 src1=0 src2=0
	v_mul_f32_e32 v131, v247, v131
	s_set_vgpr_msb 64                       ;  msbs: dst=1 src0=0 src1=0 src2=0
	v_fmac_f32_e32 v114 /*v370*/, v245, v128
	s_set_vgpr_msb 0                        ;  msbs: dst=0 src0=0 src1=0 src2=0
	v_fma_f32 v128, v244, v128, -v129
	v_dual_add_f32 v124, v124, v126 :: v_dual_mul_f32 v133, v249, v133
	v_dual_mul_f32 v135, v251, v135 :: v_dual_fma_f32 v129, v246, v130, -v131
	s_set_vgpr_msb 64                       ;  msbs: dst=1 src0=0 src1=0 src2=0
	v_fmac_f32_e32 v116 /*v372*/, v247, v130
	s_set_vgpr_msb 0                        ;  msbs: dst=0 src0=0 src1=0 src2=0
	v_add_f32_e32 v124, v124, v128
	v_dual_fma_f32 v130, v248, v132, -v133 :: v_dual_fma_f32 v131, v250, v134, -v135
	v_fma_f32 v125, v254, v138, -v125
	s_set_vgpr_msb 64                       ;  msbs: dst=1 src0=0 src1=0 src2=0
	v_dual_fmac_f32 v117 /*v373*/, v249, v132 :: v_dual_fmac_f32 v118 /*v374*/, v251, v134
	s_set_vgpr_msb 0                        ;  msbs: dst=0 src0=0 src1=0 src2=0
	v_add_f32_e32 v124, v124, v129
	v_fma_f32 v132, v252, v136, -v137
	s_wait_loadcnt 0x19
	s_set_vgpr_msb 1                        ;  msbs: dst=0 src0=1 src1=0 src2=0
	v_dual_mul_f32 v126, v3 /*v259*/, v143 :: v_dual_mul_f32 v128, v5 /*v261*/, v145
	v_fma_f32 v127, v0 /*v256*/, v140, -v127
	s_set_vgpr_msb 0                        ;  msbs: dst=0 src0=0 src1=0 src2=0
	v_add_f32_e32 v124, v124, v130
	s_wait_loadcnt 0x18
	s_set_vgpr_msb 1                        ;  msbs: dst=0 src0=1 src1=0 src2=0
	v_dual_mul_f32 v129, v7 /*v263*/, v147 :: v_dual_mul_f32 v130, v9 /*v265*/, v149
	v_dual_fma_f32 v126, v2 /*v258*/, v142, -v126 :: v_dual_fma_f32 v128, v4 /*v260*/, v144, -v128
	s_set_vgpr_msb 0                        ;  msbs: dst=0 src0=0 src1=0 src2=0
	v_add_f32_e32 v124, v124, v131
	s_set_vgpr_msb 1                        ;  msbs: dst=0 src0=1 src1=0 src2=0
	v_dual_fma_f32 v129, v6 /*v262*/, v146, -v129 :: v_dual_mul_f32 v131, v11 /*v267*/, v151
	v_fma_f32 v130, v8 /*v264*/, v148, -v130
	s_set_vgpr_msb 64                       ;  msbs: dst=1 src0=0 src1=0 src2=0
	v_dual_fmac_f32 v119 /*v375*/, v253, v136 :: v_dual_fmac_f32 v120 /*v376*/, v255, v138
	s_set_vgpr_msb 0                        ;  msbs: dst=0 src0=0 src1=0 src2=0
	v_add_f32_e32 v124, v124, v132
	s_wait_loadcnt 0x17
	s_set_vgpr_msb 1                        ;  msbs: dst=0 src0=1 src1=0 src2=0
	v_dual_mul_f32 v132, v13 /*v269*/, v153 :: v_dual_fma_f32 v131, v10 /*v266*/, v150, -v131
	s_set_vgpr_msb 0x41                     ;  msbs: dst=1 src0=1 src1=0 src2=0
	v_dual_mul_f32 v121 /*v377*/, v0 /*v256*/, v141 :: v_dual_mul_f32 v122 /*v378*/, v2 /*v258*/, v143
	s_set_vgpr_msb 0                        ;  msbs: dst=0 src0=0 src1=0 src2=0
	v_add_f32_e32 v124, v124, v125
	s_set_vgpr_msb 1                        ;  msbs: dst=0 src0=1 src1=0 src2=0
	v_dual_mul_f32 v125, v15 /*v271*/, v155 :: v_dual_fma_f32 v132, v12 /*v268*/, v152, -v132
	s_wait_loadcnt 0x5
	s_set_vgpr_msb 0x41                     ;  msbs: dst=1 src0=1 src1=0 src2=0
	v_dual_mul_f32 v115 /*v371*/, v20 /*v276*/, v225 :: v_dual_fmac_f32 v121 /*v377*/, v1 /*v257*/, v140
	s_set_vgpr_msb 0                        ;  msbs: dst=0 src0=0 src1=0 src2=0
	v_add_f32_e32 v124, v124, v127
	s_set_vgpr_msb 1                        ;  msbs: dst=0 src0=1 src1=0 src2=0
	v_dual_mul_f32 v127, v25 /*v281*/, v157 :: v_dual_fma_f32 v125, v14 /*v270*/, v154, -v125
	s_set_vgpr_msb 0x41                     ;  msbs: dst=1 src0=1 src1=0 src2=0
	v_dual_mul_f32 v123 /*v379*/, v4 /*v260*/, v145 :: v_dual_mul_f32 v124 /*v380*/, v6 /*v262*/, v147
	s_set_vgpr_msb 0                        ;  msbs: dst=0 src0=0 src1=0 src2=0
	v_add_f32_e32 v124, v124, v126
	s_set_vgpr_msb 1                        ;  msbs: dst=0 src0=1 src1=0 src2=0
	v_dual_mul_f32 v126, v27 /*v283*/, v159 :: v_dual_fma_f32 v127, v24 /*v280*/, v156, -v127
	s_set_vgpr_msb 0x41                     ;  msbs: dst=1 src0=1 src1=0 src2=0
	v_dual_fmac_f32 v122 /*v378*/, v3 /*v259*/, v142 :: v_dual_fmac_f32 v123 /*v379*/, v5 /*v261*/, v144
	s_set_vgpr_msb 0                        ;  msbs: dst=0 src0=0 src1=0 src2=0
	v_add_f32_e32 v124, v124, v128
	s_set_vgpr_msb 1                        ;  msbs: dst=0 src0=1 src1=0 src2=0
	v_dual_mul_f32 v128, v29 /*v285*/, v161 :: v_dual_fma_f32 v126, v26 /*v282*/, v158, -v126
	s_set_vgpr_msb 0x41                     ;  msbs: dst=1 src0=1 src1=0 src2=0
	v_dual_mul_f32 v125 /*v381*/, v8 /*v264*/, v149 :: v_dual_mul_f32 v126 /*v382*/, v10 /*v266*/, v151
	s_set_vgpr_msb 0                        ;  msbs: dst=0 src0=0 src1=0 src2=0
	v_add_f32_e32 v124, v124, v129
	s_set_vgpr_msb 1                        ;  msbs: dst=0 src0=1 src1=0 src2=0
	v_dual_mul_f32 v129, v31 /*v287*/, v163 :: v_dual_fma_f32 v128, v28 /*v284*/, v160, -v128
	s_set_vgpr_msb 0x41                     ;  msbs: dst=1 src0=1 src1=0 src2=0
	v_dual_fmac_f32 v124 /*v380*/, v7 /*v263*/, v146 :: v_dual_fmac_f32 v125 /*v381*/, v9 /*v265*/, v148
	;; [unrolled: 12-line block ×4, first 2 shown]
	s_set_vgpr_msb 0                        ;  msbs: dst=0 src0=0 src1=0 src2=0
	v_add_f32_e32 v124, v124, v127
	s_wait_dscnt 0xc
	s_set_vgpr_msb 1                        ;  msbs: dst=0 src0=1 src1=0 src2=0
	v_dual_mul_f32 v127, v53 /*v309*/, v173 :: v_dual_fma_f32 v125, v46 /*v302*/, v170, -v125
	s_set_vgpr_msb 0x41                     ;  msbs: dst=1 src0=1 src1=0 src2=0
	v_dual_mul_f32 v131 /*v387*/, v28 /*v284*/, v161 :: v_dual_mul_f32 v132 /*v388*/, v30 /*v286*/, v163
	s_set_vgpr_msb 0                        ;  msbs: dst=0 src0=0 src1=0 src2=0
	v_add_f32_e32 v124, v124, v126
	s_set_vgpr_msb 1                        ;  msbs: dst=0 src0=1 src1=0 src2=0
	v_dual_mul_f32 v126, v55 /*v311*/, v175 :: v_dual_fma_f32 v127, v52 /*v308*/, v172, -v127
	s_set_vgpr_msb 0x41                     ;  msbs: dst=1 src0=1 src1=0 src2=0
	v_dual_fmac_f32 v130 /*v386*/, v27 /*v283*/, v158 :: v_dual_fmac_f32 v131 /*v387*/, v29 /*v285*/, v160
	s_set_vgpr_msb 0                        ;  msbs: dst=0 src0=0 src1=0 src2=0
	v_add_f32_e32 v124, v124, v128
	s_wait_dscnt 0xb
	s_set_vgpr_msb 1                        ;  msbs: dst=0 src0=1 src1=0 src2=0
	v_dual_mul_f32 v128, v57 /*v313*/, v177 :: v_dual_fma_f32 v126, v54 /*v310*/, v174, -v126
	s_set_vgpr_msb 0x41                     ;  msbs: dst=1 src0=1 src1=0 src2=0
	v_dual_mul_f32 v133 /*v389*/, v40 /*v296*/, v165 :: v_dual_mul_f32 v134 /*v390*/, v42 /*v298*/, v167
	s_set_vgpr_msb 0                        ;  msbs: dst=0 src0=0 src1=0 src2=0
	v_add_f32_e32 v124, v124, v129
	s_set_vgpr_msb 1                        ;  msbs: dst=0 src0=1 src1=0 src2=0
	v_dual_mul_f32 v129, v59 /*v315*/, v179 :: v_dual_fma_f32 v128, v56 /*v312*/, v176, -v128
	s_set_vgpr_msb 0x41                     ;  msbs: dst=1 src0=1 src1=0 src2=0
	v_dual_fmac_f32 v132 /*v388*/, v31 /*v287*/, v162 :: v_dual_fmac_f32 v133 /*v389*/, v41 /*v297*/, v164
	;; [unrolled: 13-line block ×7, first 2 shown]
	s_set_vgpr_msb 0                        ;  msbs: dst=0 src0=0 src1=0 src2=0
	v_add_f32_e32 v124, v124, v132
	s_wait_dscnt 0x5
	s_set_vgpr_msb 1                        ;  msbs: dst=0 src0=1 src1=0 src2=0
	v_dual_mul_f32 v132, v81 /*v337*/, v201 :: v_dual_fma_f32 v131, v78 /*v334*/, v198, -v131
	s_set_vgpr_msb 0x41                     ;  msbs: dst=1 src0=1 src1=0 src2=0
	v_dual_mul_f32 v145 /*v401*/, v68 /*v324*/, v189 :: v_dual_mul_f32 v146 /*v402*/, v70 /*v326*/, v191
	s_set_vgpr_msb 0                        ;  msbs: dst=0 src0=0 src1=0 src2=0
	v_add_f32_e32 v124, v124, v125
	s_set_vgpr_msb 1                        ;  msbs: dst=0 src0=1 src1=0 src2=0
	v_dual_mul_f32 v125, v83 /*v339*/, v203 :: v_dual_fma_f32 v132, v80 /*v336*/, v200, -v132
	v_mul_f32_e32 v133, v17 /*v273*/, v221
	s_set_vgpr_msb 0x41                     ;  msbs: dst=1 src0=1 src1=0 src2=0
	v_dual_fmac_f32 v144 /*v400*/, v67 /*v323*/, v186 :: v_dual_fmac_f32 v145 /*v401*/, v69 /*v325*/, v188
	s_set_vgpr_msb 0                        ;  msbs: dst=0 src0=0 src1=0 src2=0
	v_add_f32_e32 v124, v124, v127
	s_wait_dscnt 0x4
	s_set_vgpr_msb 1                        ;  msbs: dst=0 src0=1 src1=0 src2=0
	v_dual_mul_f32 v127, v85 /*v341*/, v205 :: v_dual_fma_f32 v125, v82 /*v338*/, v202, -v125
	s_set_vgpr_msb 0x41                     ;  msbs: dst=1 src0=1 src1=0 src2=0
	v_dual_mul_f32 v147 /*v403*/, v72 /*v328*/, v193 :: v_dual_mul_f32 v148 /*v404*/, v74 /*v330*/, v195
	s_set_vgpr_msb 0                        ;  msbs: dst=0 src0=0 src1=0 src2=0
	v_add_f32_e32 v124, v124, v126
	s_set_vgpr_msb 1                        ;  msbs: dst=0 src0=1 src1=0 src2=0
	v_dual_mul_f32 v126, v87 /*v343*/, v207 :: v_dual_fma_f32 v127, v84 /*v340*/, v204, -v127
	s_set_vgpr_msb 0x41                     ;  msbs: dst=1 src0=1 src1=0 src2=0
	v_dual_fmac_f32 v146 /*v402*/, v71 /*v327*/, v190 :: v_dual_fmac_f32 v147 /*v403*/, v73 /*v329*/, v192
	s_set_vgpr_msb 0                        ;  msbs: dst=0 src0=0 src1=0 src2=0
	v_add_f32_e32 v124, v124, v128
	s_wait_dscnt 0x3
	s_set_vgpr_msb 1                        ;  msbs: dst=0 src0=1 src1=0 src2=0
	v_dual_mul_f32 v128, v89 /*v345*/, v209 :: v_dual_fma_f32 v126, v86 /*v342*/, v206, -v126
	s_set_vgpr_msb 0x41                     ;  msbs: dst=1 src0=1 src1=0 src2=0
	v_dual_mul_f32 v149 /*v405*/, v76 /*v332*/, v197 :: v_dual_mul_f32 v150 /*v406*/, v78 /*v334*/, v199
	s_set_vgpr_msb 0                        ;  msbs: dst=0 src0=0 src1=0 src2=0
	v_add_f32_e32 v124, v124, v129
	s_set_vgpr_msb 1                        ;  msbs: dst=0 src0=1 src1=0 src2=0
	v_mul_f32_e32 v129, v91 /*v347*/, v211
	s_set_vgpr_msb 0x41                     ;  msbs: dst=1 src0=1 src1=0 src2=0
	v_dual_fmac_f32 v148 /*v404*/, v75 /*v331*/, v194 :: v_dual_fmac_f32 v149 /*v405*/, v77 /*v333*/, v196
	v_dual_mul_f32 v151 /*v407*/, v80 /*v336*/, v201 :: v_dual_mul_f32 v152 /*v408*/, v82 /*v338*/, v203
	s_set_vgpr_msb 0                        ;  msbs: dst=0 src0=0 src1=0 src2=0
	v_add_f32_e32 v124, v124, v130
	s_wait_dscnt 0x2
	s_set_vgpr_msb 1                        ;  msbs: dst=0 src0=1 src1=0 src2=0
	v_mul_f32_e32 v130, v93 /*v349*/, v213
	s_set_vgpr_msb 0x41                     ;  msbs: dst=1 src0=1 src1=0 src2=0
	v_dual_fmac_f32 v150 /*v406*/, v79 /*v335*/, v198 :: v_dual_fmac_f32 v151 /*v407*/, v81 /*v337*/, v200
	s_set_vgpr_msb 1                        ;  msbs: dst=0 src0=1 src1=0 src2=0
	v_mul_f32_e32 v134, v19 /*v275*/, v223
	s_set_vgpr_msb 0                        ;  msbs: dst=0 src0=0 src1=0 src2=0
	v_add_f32_e32 v124, v124, v131
	s_set_vgpr_msb 1                        ;  msbs: dst=0 src0=1 src1=0 src2=0
	v_mul_f32_e32 v131, v95 /*v351*/, v215
	s_set_vgpr_msb 0x41                     ;  msbs: dst=1 src0=1 src1=0 src2=0
	v_dual_mul_f32 v153 /*v409*/, v84 /*v340*/, v205 :: v_dual_mul_f32 v154 /*v410*/, v86 /*v342*/, v207
	v_fmac_f32_e32 v152 /*v408*/, v83 /*v339*/, v202
	s_set_vgpr_msb 0                        ;  msbs: dst=0 src0=0 src1=0 src2=0
	v_add_f32_e32 v124, v124, v132
	s_wait_dscnt 0x1
	s_set_vgpr_msb 1                        ;  msbs: dst=0 src0=1 src1=0 src2=0
	v_mul_f32_e32 v132, v97 /*v353*/, v217
	s_set_vgpr_msb 0x41                     ;  msbs: dst=1 src0=1 src1=0 src2=0
	v_dual_fmac_f32 v153 /*v409*/, v85 /*v341*/, v204 :: v_dual_mul_f32 v155 /*v411*/, v88 /*v344*/, v209
	v_mul_f32_e32 v156 /*v412*/, v90 /*v346*/, v211
	s_set_vgpr_msb 0                        ;  msbs: dst=0 src0=0 src1=0 src2=0
	v_add_f32_e32 v124, v124, v125
	s_set_vgpr_msb 1                        ;  msbs: dst=0 src0=1 src1=0 src2=0
	v_mul_f32_e32 v125, v99 /*v355*/, v219
	s_set_vgpr_msb 0x41                     ;  msbs: dst=1 src0=1 src1=0 src2=0
	v_dual_fmac_f32 v154 /*v410*/, v87 /*v343*/, v206 :: v_dual_fmac_f32 v155 /*v411*/, v89 /*v345*/, v208
	v_dual_mul_f32 v157 /*v413*/, v92 /*v348*/, v213 :: v_dual_mul_f32 v158 /*v414*/, v94 /*v350*/, v215
	s_set_vgpr_msb 0                        ;  msbs: dst=0 src0=0 src1=0 src2=0
	v_add_f32_e32 v124, v124, v127
	s_set_vgpr_msb 1                        ;  msbs: dst=0 src0=1 src1=0 src2=0
	v_dual_fma_f32 v127, v88 /*v344*/, v208, -v128 :: v_dual_fma_f32 v128, v94 /*v350*/, v214, -v131
	v_dual_fma_f32 v131, v96 /*v352*/, v216, -v132 :: v_dual_fma_f32 v125, v98 /*v354*/, v218, -v125
	s_set_vgpr_msb 0                        ;  msbs: dst=0 src0=0 src1=0 src2=0
	v_add_f32_e32 v124, v124, v126
	s_set_vgpr_msb 1                        ;  msbs: dst=0 src0=1 src1=0 src2=0
	v_dual_fma_f32 v126, v90 /*v346*/, v210, -v129 :: v_dual_mul_f32 v129, v21 /*v277*/, v225
	s_set_vgpr_msb 0x41                     ;  msbs: dst=1 src0=1 src1=0 src2=0
	v_dual_fmac_f32 v156 /*v412*/, v91 /*v347*/, v210 :: v_dual_fmac_f32 v157 /*v413*/, v93 /*v349*/, v212
	s_set_vgpr_msb 0                        ;  msbs: dst=0 src0=0 src1=0 src2=0
	v_add_f32_e32 v124, v124, v127
	s_set_vgpr_msb 1                        ;  msbs: dst=0 src0=1 src1=0 src2=0
	v_fma_f32 v127, v92 /*v348*/, v212, -v130
	s_set_vgpr_msb 0x41                     ;  msbs: dst=1 src0=1 src1=0 src2=0
	v_dual_mul_f32 v159 /*v415*/, v96 /*v352*/, v217 :: v_dual_mul_f32 v160 /*v416*/, v98 /*v354*/, v219
	v_fmac_f32_e32 v158 /*v414*/, v95 /*v351*/, v214
	s_set_vgpr_msb 0                        ;  msbs: dst=0 src0=0 src1=0 src2=0
	v_dual_add_f32 v126, v124, v126 :: v_dual_mov_b32 v124, v227
	s_set_vgpr_msb 0x41                     ;  msbs: dst=1 src0=1 src1=0 src2=0
	v_dual_fmac_f32 v159 /*v415*/, v97 /*v353*/, v216 :: v_dual_mul_f32 v161 /*v417*/, v16 /*v272*/, v221
	v_mul_f32_e32 v113 /*v369*/, v18 /*v274*/, v223
	s_set_vgpr_msb 0                        ;  msbs: dst=0 src0=0 src1=0 src2=0
	v_add_f32_e32 v130, v126, v127
	s_set_vgpr_msb 0x41                     ;  msbs: dst=1 src0=1 src1=0 src2=0
	v_fmac_f32_e32 v160 /*v416*/, v99 /*v355*/, v218
	s_set_vgpr_msb 1                        ;  msbs: dst=0 src0=1 src1=0 src2=0
	v_fma_f32 v135, v16 /*v272*/, v220, -v133
	s_set_vgpr_msb 0x41                     ;  msbs: dst=1 src0=1 src1=0 src2=0
	v_fmac_f32_e32 v161 /*v417*/, v17 /*v273*/, v220
	v_dual_fmac_f32 v113 /*v369*/, v19 /*v275*/, v222 :: v_dual_fmac_f32 v115 /*v371*/, v21 /*v277*/, v224
	s_set_vgpr_msb 0                        ;  msbs: dst=0 src0=0 src1=0 src2=0
	v_add_f32_e32 v130, v130, v128
	s_wait_loadcnt 0x4
	s_set_vgpr_msb 1                        ;  msbs: dst=0 src0=1 src1=0 src2=0
	v_pk_mul_f32 v[126:127], v[32:33] /*v[288:289]*/, v[228:229] op_sel:[1,1] op_sel_hi:[0,1]
	s_set_vgpr_msb 0                        ;  msbs: dst=0 src0=0 src1=0 src2=0
	v_dual_mov_b32 v128, v231 :: v_dual_add_f32 v132, v130, v131
	s_set_vgpr_msb 1                        ;  msbs: dst=0 src0=1 src1=0 src2=0
	s_delay_alu instid0(VALU_DEP_2)
	v_pk_fma_f32 v[138:139], v[32:33] /*v[288:289]*/, v[228:229], v[126:127] op_sel_hi:[1,0,1]
	v_pk_fma_f32 v[126:127], v[32:33] /*v[288:289]*/, v[228:229], v[126:127] neg_lo:[0,0,1] neg_hi:[0,0,1]
	s_wait_loadcnt 0x3
	v_pk_mul_f32 v[130:131], v[36:37] /*v[292:293]*/, v[232:233] op_sel:[1,1] op_sel_hi:[0,1]
	s_set_vgpr_msb 0                        ;  msbs: dst=0 src0=0 src1=0 src2=0
	v_add_f32_e32 v132, v132, v125
	s_set_vgpr_msb 1                        ;  msbs: dst=0 src0=1 src1=0 src2=0
	v_pk_mul_f32 v[124:125], v[104:105] /*v[360:361]*/, v[124:125] op_sel_hi:[1,0]
	s_set_vgpr_msb 0                        ;  msbs: dst=0 src0=0 src1=0 src2=0
	s_delay_alu instid0(VALU_DEP_2) | instskip(SKIP_1) | instid1(VALU_DEP_2)
	v_dual_mov_b32 v127, v139 :: v_dual_add_f32 v132, v132, v135
	s_set_vgpr_msb 1                        ;  msbs: dst=0 src0=1 src1=0 src2=0
	v_pk_fma_f32 v[136:137], v[22:23] /*v[278:279]*/, v[226:227], v[124:125] op_sel_hi:[1,0,1]
	s_set_vgpr_msb 4                        ;  msbs: dst=0 src0=0 src1=1 src2=0
	v_add_f32_e32 v123, v123, v112 /*v368*/
	s_set_vgpr_msb 1                        ;  msbs: dst=0 src0=1 src1=0 src2=0
	v_pk_fma_f32 v[124:125], v[22:23] /*v[278:279]*/, v[226:227], v[124:125] neg_lo:[0,0,1] neg_hi:[0,0,1]
	s_set_vgpr_msb 0x41                     ;  msbs: dst=1 src0=1 src1=0 src2=0
	v_fma_f32 v112 /*v368*/, v18 /*v274*/, v222, -v134
	s_set_vgpr_msb 4                        ;  msbs: dst=0 src0=0 src1=1 src2=0
	v_dual_mov_b32 v134, v235 :: v_dual_mov_b32 v125, v137
	v_add_f32_e32 v123, v123, v114 /*v370*/
	s_set_vgpr_msb 0x41                     ;  msbs: dst=1 src0=1 src1=0 src2=0
	v_fma_f32 v114 /*v370*/, v20 /*v276*/, v224, -v129
	s_set_vgpr_msb 1                        ;  msbs: dst=0 src0=1 src1=0 src2=0
	v_pk_mul_f32 v[128:129], v[106:107] /*v[362:363]*/, v[128:129] op_sel_hi:[1,0]
	v_pk_mul_f32 v[134:135], v[108:109] /*v[364:365]*/, v[134:135] op_sel_hi:[1,0]
	s_wait_loadcnt 0x2
	v_pk_mul_f32 v[136:137], v[48:49] /*v[304:305]*/, v[236:237] op_sel:[1,1] op_sel_hi:[0,1]
	s_set_vgpr_msb 4                        ;  msbs: dst=0 src0=0 src1=1 src2=0
	v_add_f32_e32 v123, v123, v116 /*v372*/
	s_set_vgpr_msb 1                        ;  msbs: dst=0 src0=1 src1=0 src2=0
	v_pk_fma_f32 v[138:139], v[34:35] /*v[290:291]*/, v[230:231], v[128:129] op_sel_hi:[1,0,1]
	v_pk_fma_f32 v[128:129], v[34:35] /*v[290:291]*/, v[230:231], v[128:129] neg_lo:[0,0,1] neg_hi:[0,0,1]
	s_set_vgpr_msb 4                        ;  msbs: dst=0 src0=0 src1=1 src2=0
	v_add_f32_e32 v123, v123, v117 /*v373*/
	s_delay_alu instid0(VALU_DEP_3) | instskip(NEXT) | instid1(VALU_DEP_2)
	v_mov_b32_e32 v129, v139
	v_add_f32_e32 v123, v123, v118 /*v374*/
	s_delay_alu instid0(VALU_DEP_1) | instskip(NEXT) | instid1(VALU_DEP_1)
	v_add_f32_e32 v123, v123, v119 /*v375*/
	v_add_f32_e32 v123, v123, v120 /*v376*/
	s_delay_alu instid0(VALU_DEP_1) | instskip(NEXT) | instid1(VALU_DEP_1)
	v_add_f32_e32 v123, v123, v121 /*v377*/
	;; [unrolled: 3-line block ×22, first 2 shown]
	v_pk_add_f32 v[132:133], v[132:133], v[112:113] /*v[368:369]*/
	s_delay_alu instid0(VALU_DEP_1) | instskip(SKIP_1) | instid1(VALU_DEP_1)
	v_pk_add_f32 v[132:133], v[132:133], v[114:115] /*v[370:371]*/
	s_set_vgpr_msb 0                        ;  msbs: dst=0 src0=0 src1=0 src2=0
	v_pk_add_f32 v[124:125], v[132:133], v[124:125]
	s_set_vgpr_msb 1                        ;  msbs: dst=0 src0=1 src1=0 src2=0
	v_pk_fma_f32 v[132:133], v[36:37] /*v[292:293]*/, v[232:233], v[130:131] op_sel_hi:[1,0,1]
	v_pk_fma_f32 v[130:131], v[36:37] /*v[292:293]*/, v[232:233], v[130:131] neg_lo:[0,0,1] neg_hi:[0,0,1]
	s_set_vgpr_msb 0                        ;  msbs: dst=0 src0=0 src1=0 src2=0
	v_pk_add_f32 v[124:125], v[124:125], v[126:127]
	s_delay_alu instid0(VALU_DEP_3)
	v_dual_mov_b32 v126, v239 :: v_dual_mov_b32 v131, v133
	s_set_vgpr_msb 1                        ;  msbs: dst=0 src0=1 src1=0 src2=0
	v_pk_fma_f32 v[132:133], v[38:39] /*v[294:295]*/, v[234:235], v[134:135] op_sel_hi:[1,0,1]
	v_pk_fma_f32 v[134:135], v[38:39] /*v[294:295]*/, v[234:235], v[134:135] neg_lo:[0,0,1] neg_hi:[0,0,1]
	s_set_vgpr_msb 0                        ;  msbs: dst=0 src0=0 src1=0 src2=0
	v_pk_add_f32 v[124:125], v[124:125], v[128:129]
	s_set_vgpr_msb 1                        ;  msbs: dst=0 src0=1 src1=0 src2=0
	v_pk_fma_f32 v[128:129], v[48:49] /*v[304:305]*/, v[236:237], v[136:137] op_sel_hi:[1,0,1]
	v_pk_mul_f32 v[126:127], v[110:111] /*v[366:367]*/, v[126:127] op_sel_hi:[1,0]
	s_set_vgpr_msb 0                        ;  msbs: dst=0 src0=0 src1=0 src2=0
	v_mov_b32_e32 v135, v133
	s_set_vgpr_msb 1                        ;  msbs: dst=0 src0=1 src1=0 src2=0
	v_pk_fma_f32 v[132:133], v[48:49] /*v[304:305]*/, v[236:237], v[136:137] neg_lo:[0,0,1] neg_hi:[0,0,1]
	s_set_vgpr_msb 0                        ;  msbs: dst=0 src0=0 src1=0 src2=0
	v_pk_add_f32 v[124:125], v[124:125], v[130:131]
	s_wait_loadcnt_dscnt 0x100
	s_set_vgpr_msb 1                        ;  msbs: dst=0 src0=1 src1=0 src2=0
	v_pk_mul_f32 v[130:131], v[102:103] /*v[358:359]*/, v[0:1] op_sel:[1,1] op_sel_hi:[0,1]
	s_set_vgpr_msb 0                        ;  msbs: dst=0 src0=0 src1=0 src2=0
	v_mov_b32_e32 v133, v129
	s_set_vgpr_msb 1                        ;  msbs: dst=0 src0=1 src1=0 src2=0
	v_pk_fma_f32 v[128:129], v[50:51] /*v[306:307]*/, v[238:239], v[126:127] op_sel_hi:[1,0,1]
	v_pk_fma_f32 v[126:127], v[50:51] /*v[306:307]*/, v[238:239], v[126:127] neg_lo:[0,0,1] neg_hi:[0,0,1]
	s_set_vgpr_msb 0                        ;  msbs: dst=0 src0=0 src1=0 src2=0
	v_pk_add_f32 v[124:125], v[124:125], v[134:135]
	s_set_vgpr_msb 1                        ;  msbs: dst=0 src0=1 src1=0 src2=0
	v_pk_fma_f32 v[134:135], v[102:103] /*v[358:359]*/, v[0:1], v[130:131] op_sel_hi:[1,0,1]
	v_pk_fma_f32 v[0:1], v[102:103] /*v[358:359]*/, v[0:1], v[130:131] neg_lo:[0,0,1] neg_hi:[0,0,1]
	s_set_vgpr_msb 0                        ;  msbs: dst=0 src0=0 src1=0 src2=0
	v_mov_b32_e32 v127, v129
	v_pk_add_f32 v[124:125], v[124:125], v[132:133]
	v_mov_b32_e32 v1, v135
	s_delay_alu instid0(VALU_DEP_2) | instskip(NEXT) | instid1(VALU_DEP_1)
	v_pk_add_f32 v[124:125], v[124:125], v[126:127]
	v_pk_add_f32 v[0:1], v[124:125], v[0:1]
	s_wait_loadcnt 0x0
	s_set_vgpr_msb 1                        ;  msbs: dst=0 src0=1 src1=0 src2=0
	s_delay_alu instid0(VALU_DEP_1)
	v_pk_add_f32 v[0:1], v[100:101] /*v[356:357]*/, v[0:1] neg_lo:[0,1] neg_hi:[0,1]
	scratch_store_b64 off, v[0:1], off
	s_set_vgpr_msb 0                        ;  msbs: dst=0 src0=0 src1=0 src2=0
	s_cbranch_vccz .LBB59_492
; %bb.374:
	global_load_b32 v0, v122, s[2:3] offset:232
	s_wait_loadcnt 0x0
	v_cmp_ne_u32_e32 vcc_lo, 59, v0
	s_cbranch_vccz .LBB59_376
; %bb.375:
	v_lshlrev_b32_e32 v0, 3, v0
	s_delay_alu instid0(VALU_DEP_1)
	v_mov_b32_e32 v124, v0
	scratch_load_b64 v[0:1], v124, off offset:-8
	scratch_load_b64 v[122:123], off, off offset:464
	s_wait_loadcnt 0x1
	scratch_store_b64 off, v[0:1], off offset:464
	s_wait_loadcnt 0x0
	scratch_store_b64 v124, v[122:123], off offset:-8
.LBB59_376:
	s_wait_xcnt 0x1
	v_mov_b32_e32 v0, 0
	global_load_b32 v1, v0, s[2:3] offset:228
	s_wait_loadcnt 0x0
	v_cmp_eq_u32_e32 vcc_lo, 58, v1
	s_cbranch_vccnz .LBB59_378
; %bb.377:
	v_lshlrev_b32_e32 v1, 3, v1
	scratch_load_b64 v[122:123], v1, off offset:-8
	scratch_load_b64 v[124:125], off, off offset:456
	s_wait_loadcnt 0x1
	scratch_store_b64 off, v[122:123], off offset:456
	s_wait_loadcnt 0x0
	scratch_store_b64 v1, v[124:125], off offset:-8
.LBB59_378:
	global_load_b32 v0, v0, s[2:3] offset:224
	s_wait_loadcnt 0x0
	v_cmp_eq_u32_e32 vcc_lo, 57, v0
	s_cbranch_vccnz .LBB59_380
; %bb.379:
	s_wait_xcnt 0x0
	v_lshlrev_b32_e32 v0, 3, v0
	s_delay_alu instid0(VALU_DEP_1)
	v_mov_b32_e32 v124, v0
	scratch_load_b64 v[0:1], v124, off offset:-8
	scratch_load_b64 v[122:123], off, off offset:448
	s_wait_loadcnt 0x1
	scratch_store_b64 off, v[0:1], off offset:448
	s_wait_loadcnt 0x0
	scratch_store_b64 v124, v[122:123], off offset:-8
.LBB59_380:
	s_wait_xcnt 0x0
	v_mov_b32_e32 v0, 0
	global_load_b32 v1, v0, s[2:3] offset:220
	s_wait_loadcnt 0x0
	v_cmp_eq_u32_e32 vcc_lo, 56, v1
	s_cbranch_vccnz .LBB59_382
; %bb.381:
	v_lshlrev_b32_e32 v1, 3, v1
	scratch_load_b64 v[122:123], v1, off offset:-8
	scratch_load_b64 v[124:125], off, off offset:440
	s_wait_loadcnt 0x1
	scratch_store_b64 off, v[122:123], off offset:440
	s_wait_loadcnt 0x0
	scratch_store_b64 v1, v[124:125], off offset:-8
.LBB59_382:
	global_load_b32 v0, v0, s[2:3] offset:216
	s_wait_loadcnt 0x0
	v_cmp_eq_u32_e32 vcc_lo, 55, v0
	s_cbranch_vccnz .LBB59_384
; %bb.383:
	s_wait_xcnt 0x0
	v_lshlrev_b32_e32 v0, 3, v0
	s_delay_alu instid0(VALU_DEP_1)
	v_mov_b32_e32 v124, v0
	scratch_load_b64 v[0:1], v124, off offset:-8
	scratch_load_b64 v[122:123], off, off offset:432
	s_wait_loadcnt 0x1
	scratch_store_b64 off, v[0:1], off offset:432
	s_wait_loadcnt 0x0
	scratch_store_b64 v124, v[122:123], off offset:-8
.LBB59_384:
	;; [unrolled: 31-line block ×28, first 2 shown]
	s_wait_xcnt 0x0
	v_mov_b32_e32 v0, 0
	global_load_b32 v1, v0, s[2:3] offset:4
	s_wait_loadcnt 0x0
	v_cmp_eq_u32_e32 vcc_lo, 2, v1
	s_cbranch_vccnz .LBB59_490
; %bb.489:
	v_lshlrev_b32_e32 v1, 3, v1
	scratch_load_b64 v[122:123], v1, off offset:-8
	scratch_load_b64 v[124:125], off, off offset:8
	s_wait_loadcnt 0x1
	scratch_store_b64 off, v[122:123], off offset:8
	s_wait_loadcnt 0x0
	scratch_store_b64 v1, v[124:125], off offset:-8
.LBB59_490:
	global_load_b32 v122, v0, s[2:3]
	scratch_load_b64 v[0:1], off, off
	s_wait_loadcnt 0x1
	v_cmp_eq_u32_e32 vcc_lo, 1, v122
	s_cbranch_vccnz .LBB59_492
; %bb.491:
	v_lshlrev_b32_e32 v122, 3, v122
	s_delay_alu instid0(VALU_DEP_1)
	v_mov_b32_e32 v124, v122
	scratch_load_b64 v[122:123], v124, off offset:-8
	s_wait_loadcnt 0x0
	scratch_store_b64 off, v[122:123], off
	scratch_store_b64 v124, v[0:1], off offset:-8
	scratch_load_b64 v[0:1], off, off
.LBB59_492:
	s_clause 0x1d
	scratch_load_b128 v[122:125], off, off offset:8
	scratch_load_b128 v[126:129], off, off offset:24
	;; [unrolled: 1-line block ×29, first 2 shown]
	scratch_load_b64 v[238:239], off, off offset:472
	v_lshl_add_u64 v[6:7], v[6:7], 3, s[4:5]
	v_lshl_add_u64 v[8:9], v[8:9], 3, s[4:5]
	;; [unrolled: 1-line block ×58, first 2 shown]
	s_wait_loadcnt 0x1e
	global_store_b64 v[2:3], v[0:1], off
	s_wait_loadcnt 0x1d
	s_clause 0x1
	global_store_b64 v[4:5], v[122:123], off
	global_store_b64 v[6:7], v[124:125], off
	s_wait_loadcnt 0x1c
	s_clause 0x1
	global_store_b64 v[8:9], v[126:127], off
	;; [unrolled: 4-line block ×29, first 2 shown]
	global_store_b64 v[118:119], v[236:237], off
	s_wait_loadcnt 0x0
	global_store_b64 v[120:121], v[238:239], off
	s_sendmsg sendmsg(MSG_DEALLOC_VGPRS)
	s_endpgm
	.section	.rodata,"a",@progbits
	.p2align	6, 0x0
	.amdhsa_kernel _ZN9rocsolver6v33100L18getri_kernel_smallILi60E19rocblas_complex_numIfEPS3_EEvT1_iilPiilS6_bb
		.amdhsa_group_segment_fixed_size 964
		.amdhsa_private_segment_fixed_size 496
		.amdhsa_kernarg_size 60
		.amdhsa_user_sgpr_count 2
		.amdhsa_user_sgpr_dispatch_ptr 0
		.amdhsa_user_sgpr_queue_ptr 0
		.amdhsa_user_sgpr_kernarg_segment_ptr 1
		.amdhsa_user_sgpr_dispatch_id 0
		.amdhsa_user_sgpr_kernarg_preload_length 0
		.amdhsa_user_sgpr_kernarg_preload_offset 0
		.amdhsa_user_sgpr_private_segment_size 0
		.amdhsa_wavefront_size32 1
		.amdhsa_uses_dynamic_stack 0
		.amdhsa_enable_private_segment 1
		.amdhsa_system_sgpr_workgroup_id_x 1
		.amdhsa_system_sgpr_workgroup_id_y 0
		.amdhsa_system_sgpr_workgroup_id_z 0
		.amdhsa_system_sgpr_workgroup_info 0
		.amdhsa_system_vgpr_workitem_id 0
		.amdhsa_next_free_vgpr 418
		.amdhsa_next_free_sgpr 19
		.amdhsa_named_barrier_count 0
		.amdhsa_reserve_vcc 1
		.amdhsa_float_round_mode_32 0
		.amdhsa_float_round_mode_16_64 0
		.amdhsa_float_denorm_mode_32 3
		.amdhsa_float_denorm_mode_16_64 3
		.amdhsa_fp16_overflow 0
		.amdhsa_memory_ordered 1
		.amdhsa_forward_progress 1
		.amdhsa_inst_pref_size 255
		.amdhsa_round_robin_scheduling 0
		.amdhsa_exception_fp_ieee_invalid_op 0
		.amdhsa_exception_fp_denorm_src 0
		.amdhsa_exception_fp_ieee_div_zero 0
		.amdhsa_exception_fp_ieee_overflow 0
		.amdhsa_exception_fp_ieee_underflow 0
		.amdhsa_exception_fp_ieee_inexact 0
		.amdhsa_exception_int_div_zero 0
	.end_amdhsa_kernel
	.section	.text._ZN9rocsolver6v33100L18getri_kernel_smallILi60E19rocblas_complex_numIfEPS3_EEvT1_iilPiilS6_bb,"axG",@progbits,_ZN9rocsolver6v33100L18getri_kernel_smallILi60E19rocblas_complex_numIfEPS3_EEvT1_iilPiilS6_bb,comdat
.Lfunc_end59:
	.size	_ZN9rocsolver6v33100L18getri_kernel_smallILi60E19rocblas_complex_numIfEPS3_EEvT1_iilPiilS6_bb, .Lfunc_end59-_ZN9rocsolver6v33100L18getri_kernel_smallILi60E19rocblas_complex_numIfEPS3_EEvT1_iilPiilS6_bb
                                        ; -- End function
	.set _ZN9rocsolver6v33100L18getri_kernel_smallILi60E19rocblas_complex_numIfEPS3_EEvT1_iilPiilS6_bb.num_vgpr, 418
	.set _ZN9rocsolver6v33100L18getri_kernel_smallILi60E19rocblas_complex_numIfEPS3_EEvT1_iilPiilS6_bb.num_agpr, 0
	.set _ZN9rocsolver6v33100L18getri_kernel_smallILi60E19rocblas_complex_numIfEPS3_EEvT1_iilPiilS6_bb.numbered_sgpr, 19
	.set _ZN9rocsolver6v33100L18getri_kernel_smallILi60E19rocblas_complex_numIfEPS3_EEvT1_iilPiilS6_bb.num_named_barrier, 0
	.set _ZN9rocsolver6v33100L18getri_kernel_smallILi60E19rocblas_complex_numIfEPS3_EEvT1_iilPiilS6_bb.private_seg_size, 496
	.set _ZN9rocsolver6v33100L18getri_kernel_smallILi60E19rocblas_complex_numIfEPS3_EEvT1_iilPiilS6_bb.uses_vcc, 1
	.set _ZN9rocsolver6v33100L18getri_kernel_smallILi60E19rocblas_complex_numIfEPS3_EEvT1_iilPiilS6_bb.uses_flat_scratch, 1
	.set _ZN9rocsolver6v33100L18getri_kernel_smallILi60E19rocblas_complex_numIfEPS3_EEvT1_iilPiilS6_bb.has_dyn_sized_stack, 0
	.set _ZN9rocsolver6v33100L18getri_kernel_smallILi60E19rocblas_complex_numIfEPS3_EEvT1_iilPiilS6_bb.has_recursion, 0
	.set _ZN9rocsolver6v33100L18getri_kernel_smallILi60E19rocblas_complex_numIfEPS3_EEvT1_iilPiilS6_bb.has_indirect_call, 0
	.section	.AMDGPU.csdata,"",@progbits
; Kernel info:
; codeLenInByte = 130728
; TotalNumSgprs: 21
; NumVgprs: 418
; ScratchSize: 496
; MemoryBound: 0
; FloatMode: 240
; IeeeMode: 1
; LDSByteSize: 964 bytes/workgroup (compile time only)
; SGPRBlocks: 0
; VGPRBlocks: 26
; NumSGPRsForWavesPerEU: 21
; NumVGPRsForWavesPerEU: 418
; NamedBarCnt: 0
; Occupancy: 2
; WaveLimiterHint : 1
; COMPUTE_PGM_RSRC2:SCRATCH_EN: 1
; COMPUTE_PGM_RSRC2:USER_SGPR: 2
; COMPUTE_PGM_RSRC2:TRAP_HANDLER: 0
; COMPUTE_PGM_RSRC2:TGID_X_EN: 1
; COMPUTE_PGM_RSRC2:TGID_Y_EN: 0
; COMPUTE_PGM_RSRC2:TGID_Z_EN: 0
; COMPUTE_PGM_RSRC2:TIDIG_COMP_CNT: 0
	.section	.text._ZN9rocsolver6v33100L18getri_kernel_smallILi61E19rocblas_complex_numIfEPS3_EEvT1_iilPiilS6_bb,"axG",@progbits,_ZN9rocsolver6v33100L18getri_kernel_smallILi61E19rocblas_complex_numIfEPS3_EEvT1_iilPiilS6_bb,comdat
	.globl	_ZN9rocsolver6v33100L18getri_kernel_smallILi61E19rocblas_complex_numIfEPS3_EEvT1_iilPiilS6_bb ; -- Begin function _ZN9rocsolver6v33100L18getri_kernel_smallILi61E19rocblas_complex_numIfEPS3_EEvT1_iilPiilS6_bb
	.p2align	8
	.type	_ZN9rocsolver6v33100L18getri_kernel_smallILi61E19rocblas_complex_numIfEPS3_EEvT1_iilPiilS6_bb,@function
_ZN9rocsolver6v33100L18getri_kernel_smallILi61E19rocblas_complex_numIfEPS3_EEvT1_iilPiilS6_bb: ; @_ZN9rocsolver6v33100L18getri_kernel_smallILi61E19rocblas_complex_numIfEPS3_EEvT1_iilPiilS6_bb
; %bb.0:
	s_mov_b32 s2, exec_lo
	v_cmpx_gt_u32_e32 61, v0
	s_cbranch_execz .LBB60_258
; %bb.1:
	s_clause 0x2
	s_load_b32 s2, s[0:1], 0x38
	s_load_b128 s[12:15], s[0:1], 0x10
	s_load_b128 s[4:7], s[0:1], 0x28
	s_getreg_b32 s9, hwreg(HW_REG_IB_STS2, 6, 4)
	s_wait_kmcnt 0x0
	s_bitcmp1_b32 s2, 8
	s_cselect_b32 s18, -1, 0
	s_bfe_u32 s3, ttmp6, 0x4000c
	s_and_b32 s8, ttmp6, 15
	s_add_co_i32 s3, s3, 1
	s_delay_alu instid0(SALU_CYCLE_1) | instskip(NEXT) | instid1(SALU_CYCLE_1)
	s_mul_i32 s3, ttmp9, s3
	s_add_co_i32 s8, s8, s3
	s_cmp_eq_u32 s9, 0
	s_cselect_b32 s16, ttmp9, s8
	s_bfe_u32 s2, s2, 0x10008
	s_ashr_i32 s17, s16, 31
	s_cmp_eq_u32 s2, 0
                                        ; implicit-def: $sgpr2_sgpr3
	s_cbranch_scc1 .LBB60_3
; %bb.2:
	s_load_b32 s2, s[0:1], 0x20
	s_mul_u64 s[4:5], s[4:5], s[16:17]
	s_delay_alu instid0(SALU_CYCLE_1) | instskip(NEXT) | instid1(SALU_CYCLE_1)
	s_lshl_b64 s[4:5], s[4:5], 2
	s_add_nc_u64 s[4:5], s[14:15], s[4:5]
	s_wait_kmcnt 0x0
	s_ashr_i32 s3, s2, 31
	s_delay_alu instid0(SALU_CYCLE_1) | instskip(NEXT) | instid1(SALU_CYCLE_1)
	s_lshl_b64 s[2:3], s[2:3], 2
	s_add_nc_u64 s[2:3], s[4:5], s[2:3]
.LBB60_3:
	s_clause 0x1
	s_load_b128 s[8:11], s[0:1], 0x0
	s_load_b32 s14, s[0:1], 0x38
	s_wait_xcnt 0x0
	s_mul_u64 s[0:1], s[12:13], s[16:17]
	v_lshlrev_b32_e32 v124, 3, v0
	s_lshl_b64 s[0:1], s[0:1], 3
	v_mov_b32_e32 v125, 0
	s_wait_kmcnt 0x0
	v_add3_u32 v6, s11, s11, v0
	s_ashr_i32 s5, s10, 31
	s_mov_b32 s4, s10
	s_add_nc_u64 s[0:1], s[8:9], s[0:1]
	s_lshl_b64 s[4:5], s[4:5], 3
	v_add_nc_u32_e32 v8, s11, v6
	s_add_nc_u64 s[4:5], s[0:1], s[4:5]
	s_ashr_i32 s1, s11, 31
	s_mov_b32 s0, s11
	s_bitcmp0_b32 s14, 0
	v_add_nc_u32_e32 v10, s11, v8
	v_add_nc_u64_e32 v[2:3], s[4:5], v[124:125]
	s_delay_alu instid0(VALU_DEP_2) | instskip(NEXT) | instid1(VALU_DEP_2)
	v_add_nc_u32_e32 v12, s11, v10
	v_lshl_add_u64 v[4:5], s[0:1], 3, v[2:3]
	s_mov_b32 s1, -1
	s_delay_alu instid0(VALU_DEP_2) | instskip(SKIP_4) | instid1(VALU_DEP_1)
	v_add_nc_u32_e32 v14, s11, v12
	s_clause 0x1
	global_load_b64 v[126:127], v0, s[4:5] scale_offset
	global_load_b64 v[128:129], v[4:5], off
	v_add_nc_u32_e32 v16, s11, v14
	v_add_nc_u32_e32 v18, s11, v16
	s_clause 0x3
	global_load_b64 v[130:131], v6, s[4:5] scale_offset
	global_load_b64 v[132:133], v8, s[4:5] scale_offset
	global_load_b64 v[134:135], v10, s[4:5] scale_offset
	global_load_b64 v[136:137], v12, s[4:5] scale_offset
	v_add_nc_u32_e32 v20, s11, v18
	s_delay_alu instid0(VALU_DEP_1) | instskip(NEXT) | instid1(VALU_DEP_1)
	v_add_nc_u32_e32 v22, s11, v20
	v_add_nc_u32_e32 v24, s11, v22
	s_delay_alu instid0(VALU_DEP_1)
	v_add_nc_u32_e32 v26, s11, v24
	s_clause 0x3
	global_load_b64 v[138:139], v14, s[4:5] scale_offset
	global_load_b64 v[140:141], v16, s[4:5] scale_offset
	global_load_b64 v[142:143], v18, s[4:5] scale_offset
	global_load_b64 v[144:145], v20, s[4:5] scale_offset
	v_add_nc_u32_e32 v28, s11, v26
	s_delay_alu instid0(VALU_DEP_1)
	v_add_nc_u32_e32 v30, s11, v28
	s_clause 0x3
	global_load_b64 v[146:147], v22, s[4:5] scale_offset
	global_load_b64 v[148:149], v24, s[4:5] scale_offset
	global_load_b64 v[150:151], v26, s[4:5] scale_offset
	global_load_b64 v[152:153], v28, s[4:5] scale_offset
	v_add_nc_u32_e32 v32, s11, v30
	s_delay_alu instid0(VALU_DEP_1) | instskip(NEXT) | instid1(VALU_DEP_1)
	v_add_nc_u32_e32 v34, s11, v32
	v_add_nc_u32_e32 v36, s11, v34
	s_delay_alu instid0(VALU_DEP_1) | instskip(NEXT) | instid1(VALU_DEP_1)
	v_add_nc_u32_e32 v38, s11, v36
	v_add_nc_u32_e32 v40, s11, v38
	s_delay_alu instid0(VALU_DEP_1)
	v_add_nc_u32_e32 v42, s11, v40
	s_clause 0x3
	global_load_b64 v[154:155], v30, s[4:5] scale_offset
	global_load_b64 v[156:157], v32, s[4:5] scale_offset
	global_load_b64 v[158:159], v34, s[4:5] scale_offset
	global_load_b64 v[160:161], v36, s[4:5] scale_offset
	v_add_nc_u32_e32 v44, s11, v42
	s_delay_alu instid0(VALU_DEP_1) | instskip(NEXT) | instid1(VALU_DEP_1)
	v_add_nc_u32_e32 v46, s11, v44
	v_add_nc_u32_e32 v48, s11, v46
	s_delay_alu instid0(VALU_DEP_1)
	v_add_nc_u32_e32 v50, s11, v48
	s_clause 0x3
	global_load_b64 v[162:163], v38, s[4:5] scale_offset
	global_load_b64 v[164:165], v40, s[4:5] scale_offset
	global_load_b64 v[166:167], v42, s[4:5] scale_offset
	global_load_b64 v[168:169], v44, s[4:5] scale_offset
	v_add_nc_u32_e32 v52, s11, v50
	s_delay_alu instid0(VALU_DEP_1)
	v_add_nc_u32_e32 v54, s11, v52
	s_clause 0x3
	global_load_b64 v[170:171], v46, s[4:5] scale_offset
	global_load_b64 v[172:173], v48, s[4:5] scale_offset
	global_load_b64 v[174:175], v50, s[4:5] scale_offset
	global_load_b64 v[176:177], v52, s[4:5] scale_offset
	v_add_nc_u32_e32 v56, s11, v54
	s_delay_alu instid0(VALU_DEP_1) | instskip(NEXT) | instid1(VALU_DEP_1)
	v_add_nc_u32_e32 v58, s11, v56
	v_add_nc_u32_e32 v60, s11, v58
	s_delay_alu instid0(VALU_DEP_1) | instskip(NEXT) | instid1(VALU_DEP_1)
	v_add_nc_u32_e32 v62, s11, v60
	v_add_nc_u32_e32 v64, s11, v62
	s_delay_alu instid0(VALU_DEP_1)
	;; [unrolled: 33-line block ×3, first 2 shown]
	v_add_nc_u32_e32 v90, s11, v88
	s_clause 0x3
	global_load_b64 v[202:203], v78, s[4:5] scale_offset
	global_load_b64 v[204:205], v80, s[4:5] scale_offset
	;; [unrolled: 1-line block ×4, first 2 shown]
	v_add_nc_u32_e32 v92, s11, v90
	s_delay_alu instid0(VALU_DEP_1)
	v_add_nc_u32_e32 v94, s11, v92
	s_clause 0x3
	global_load_b64 v[210:211], v86, s[4:5] scale_offset
	global_load_b64 v[212:213], v88, s[4:5] scale_offset
	;; [unrolled: 1-line block ×4, first 2 shown]
	v_add_nc_u32_e32 v96, s11, v94
	s_delay_alu instid0(VALU_DEP_1) | instskip(NEXT) | instid1(VALU_DEP_1)
	v_add_nc_u32_e32 v98, s11, v96
	v_add_nc_u32_e32 v100, s11, v98
	s_delay_alu instid0(VALU_DEP_1) | instskip(NEXT) | instid1(VALU_DEP_1)
	v_add_nc_u32_e32 v102, s11, v100
	v_add_nc_u32_e32 v104, s11, v102
	s_delay_alu instid0(VALU_DEP_1)
	v_add_nc_u32_e32 v106, s11, v104
	s_clause 0x3
	global_load_b64 v[218:219], v94, s[4:5] scale_offset
	global_load_b64 v[220:221], v96, s[4:5] scale_offset
	;; [unrolled: 1-line block ×4, first 2 shown]
	v_add_nc_u32_e32 v108, s11, v106
	s_delay_alu instid0(VALU_DEP_1) | instskip(NEXT) | instid1(VALU_DEP_1)
	v_add_nc_u32_e32 v110, s11, v108
	v_add_nc_u32_e32 v112, s11, v110
	s_delay_alu instid0(VALU_DEP_1)
	v_add_nc_u32_e32 v114, s11, v112
	s_clause 0x3
	global_load_b64 v[226:227], v102, s[4:5] scale_offset
	global_load_b64 v[228:229], v104, s[4:5] scale_offset
	;; [unrolled: 1-line block ×4, first 2 shown]
	v_add_nc_u32_e32 v116, s11, v114
	s_delay_alu instid0(VALU_DEP_1)
	v_add_nc_u32_e32 v118, s11, v116
	s_clause 0x3
	global_load_b64 v[234:235], v110, s[4:5] scale_offset
	global_load_b64 v[236:237], v112, s[4:5] scale_offset
	;; [unrolled: 1-line block ×4, first 2 shown]
	v_add_nc_u32_e32 v120, s11, v118
	s_delay_alu instid0(VALU_DEP_1)
	v_add_nc_u32_e32 v122, s11, v120
	s_clause 0x2
	global_load_b64 v[242:243], v118, s[4:5] scale_offset
	global_load_b64 v[244:245], v120, s[4:5] scale_offset
	;; [unrolled: 1-line block ×3, first 2 shown]
	s_wait_loadcnt 0x3b
	scratch_store_b128 off, v[126:129], off
	s_wait_loadcnt 0x39
	scratch_store_b128 off, v[130:133], off offset:16
	s_wait_loadcnt 0x37
	scratch_store_b128 off, v[134:137], off offset:32
	;; [unrolled: 2-line block ×29, first 2 shown]
	s_wait_loadcnt 0x0
	scratch_store_b64 off, v[246:247], off offset:480
	s_cbranch_scc1 .LBB60_256
; %bb.4:
	v_cmp_eq_u32_e64 s0, 0, v0
	s_wait_xcnt 0x0
	s_and_saveexec_b32 s1, s0
; %bb.5:
	v_mov_b32_e32 v1, 0
	ds_store_b32 v1, v1 offset:488
; %bb.6:
	s_or_b32 exec_lo, exec_lo, s1
	s_wait_storecnt_dscnt 0x0
	s_barrier_signal -1
	s_barrier_wait -1
	scratch_load_b64 v[126:127], v0, off scale_offset
	s_wait_loadcnt 0x0
	v_cmp_eq_f32_e32 vcc_lo, 0, v126
	v_cmp_eq_f32_e64 s1, 0, v127
	s_and_b32 s1, vcc_lo, s1
	s_delay_alu instid0(SALU_CYCLE_1)
	s_and_saveexec_b32 s8, s1
	s_cbranch_execz .LBB60_10
; %bb.7:
	v_mov_b32_e32 v1, 0
	s_mov_b32 s9, 0
	ds_load_b32 v7, v1 offset:488
	s_wait_dscnt 0x0
	v_readfirstlane_b32 s1, v7
	v_add_nc_u32_e32 v7, 1, v0
	s_cmp_eq_u32 s1, 0
	s_delay_alu instid0(VALU_DEP_1) | instskip(SKIP_1) | instid1(SALU_CYCLE_1)
	v_cmp_gt_i32_e32 vcc_lo, s1, v7
	s_cselect_b32 s10, -1, 0
	s_or_b32 s10, s10, vcc_lo
	s_delay_alu instid0(SALU_CYCLE_1)
	s_and_b32 exec_lo, exec_lo, s10
	s_cbranch_execz .LBB60_10
; %bb.8:
	v_mov_b32_e32 v9, s1
.LBB60_9:                               ; =>This Inner Loop Header: Depth=1
	ds_cmpstore_rtn_b32 v9, v1, v7, v9 offset:488
	s_wait_dscnt 0x0
	v_cmp_ne_u32_e32 vcc_lo, 0, v9
	v_cmp_le_i32_e64 s1, v9, v7
	s_and_b32 s1, vcc_lo, s1
	s_delay_alu instid0(SALU_CYCLE_1) | instskip(NEXT) | instid1(SALU_CYCLE_1)
	s_and_b32 s1, exec_lo, s1
	s_or_b32 s9, s1, s9
	s_delay_alu instid0(SALU_CYCLE_1)
	s_and_not1_b32 exec_lo, exec_lo, s9
	s_cbranch_execnz .LBB60_9
.LBB60_10:
	s_or_b32 exec_lo, exec_lo, s8
	v_mov_b32_e32 v1, 0
	s_barrier_signal -1
	s_barrier_wait -1
	ds_load_b32 v7, v1 offset:488
	s_and_saveexec_b32 s1, s0
	s_cbranch_execz .LBB60_12
; %bb.11:
	s_lshl_b64 s[8:9], s[16:17], 2
	s_delay_alu instid0(SALU_CYCLE_1)
	s_add_nc_u64 s[8:9], s[6:7], s[8:9]
	s_wait_dscnt 0x0
	global_store_b32 v1, v7, s[8:9]
.LBB60_12:
	s_wait_xcnt 0x0
	s_or_b32 exec_lo, exec_lo, s1
	s_wait_dscnt 0x0
	v_cmp_ne_u32_e32 vcc_lo, 0, v7
	s_mov_b32 s1, 0
	s_cbranch_vccnz .LBB60_256
; %bb.13:
	v_lshl_add_u32 v7, v0, 3, 0
                                        ; implicit-def: $vgpr129
                                        ; implicit-def: $vgpr130
	scratch_load_b64 v[126:127], v7, off
	s_wait_loadcnt 0x0
	v_cmp_ngt_f32_e64 s1, |v126|, |v127|
	s_wait_xcnt 0x0
	s_and_saveexec_b32 s8, s1
	s_delay_alu instid0(SALU_CYCLE_1)
	s_xor_b32 s1, exec_lo, s8
	s_cbranch_execz .LBB60_15
; %bb.14:
	v_div_scale_f32 v1, null, v127, v127, v126
	v_div_scale_f32 v13, vcc_lo, v126, v127, v126
	s_delay_alu instid0(VALU_DEP_2) | instskip(SKIP_1) | instid1(TRANS32_DEP_1)
	v_rcp_f32_e32 v9, v1
	v_nop
	v_fma_f32 v11, -v1, v9, 1.0
	s_delay_alu instid0(VALU_DEP_1) | instskip(NEXT) | instid1(VALU_DEP_1)
	v_fmac_f32_e32 v9, v11, v9
	v_mul_f32_e32 v11, v13, v9
	s_delay_alu instid0(VALU_DEP_1) | instskip(NEXT) | instid1(VALU_DEP_1)
	v_fma_f32 v15, -v1, v11, v13
	v_fmac_f32_e32 v11, v15, v9
	s_delay_alu instid0(VALU_DEP_1) | instskip(NEXT) | instid1(VALU_DEP_1)
	v_fma_f32 v1, -v1, v11, v13
	v_div_fmas_f32 v1, v1, v9, v11
	s_delay_alu instid0(VALU_DEP_1) | instskip(NEXT) | instid1(VALU_DEP_1)
	v_div_fixup_f32 v1, v1, v127, v126
	v_fmac_f32_e32 v127, v126, v1
	s_delay_alu instid0(VALU_DEP_1) | instskip(NEXT) | instid1(VALU_DEP_1)
	v_div_scale_f32 v9, null, v127, v127, -1.0
	v_rcp_f32_e32 v11, v9
	v_nop
	s_delay_alu instid0(TRANS32_DEP_1) | instskip(NEXT) | instid1(VALU_DEP_1)
	v_fma_f32 v13, -v9, v11, 1.0
	v_fmac_f32_e32 v11, v13, v11
	v_div_scale_f32 v13, vcc_lo, -1.0, v127, -1.0
	s_delay_alu instid0(VALU_DEP_1) | instskip(NEXT) | instid1(VALU_DEP_1)
	v_mul_f32_e32 v15, v13, v11
	v_fma_f32 v17, -v9, v15, v13
	s_delay_alu instid0(VALU_DEP_1) | instskip(NEXT) | instid1(VALU_DEP_1)
	v_fmac_f32_e32 v15, v17, v11
	v_fma_f32 v9, -v9, v15, v13
	s_delay_alu instid0(VALU_DEP_1) | instskip(NEXT) | instid1(VALU_DEP_1)
	v_div_fmas_f32 v9, v9, v11, v15
	v_div_fixup_f32 v129, v9, v127, -1.0
                                        ; implicit-def: $vgpr126_vgpr127
	s_delay_alu instid0(VALU_DEP_1) | instskip(NEXT) | instid1(VALU_DEP_1)
	v_mul_f32_e32 v130, v1, v129
	v_xor_b32_e32 v128, 0x80000000, v130
.LBB60_15:
	s_and_not1_saveexec_b32 s1, s1
	s_cbranch_execz .LBB60_17
; %bb.16:
	v_div_scale_f32 v1, null, v126, v126, v127
	v_div_scale_f32 v13, vcc_lo, v127, v126, v127
	s_delay_alu instid0(VALU_DEP_2) | instskip(SKIP_1) | instid1(TRANS32_DEP_1)
	v_rcp_f32_e32 v9, v1
	v_nop
	v_fma_f32 v11, -v1, v9, 1.0
	s_delay_alu instid0(VALU_DEP_1) | instskip(NEXT) | instid1(VALU_DEP_1)
	v_fmac_f32_e32 v9, v11, v9
	v_mul_f32_e32 v11, v13, v9
	s_delay_alu instid0(VALU_DEP_1) | instskip(NEXT) | instid1(VALU_DEP_1)
	v_fma_f32 v15, -v1, v11, v13
	v_fmac_f32_e32 v11, v15, v9
	s_delay_alu instid0(VALU_DEP_1) | instskip(NEXT) | instid1(VALU_DEP_1)
	v_fma_f32 v1, -v1, v11, v13
	v_div_fmas_f32 v1, v1, v9, v11
	s_delay_alu instid0(VALU_DEP_1) | instskip(NEXT) | instid1(VALU_DEP_1)
	v_div_fixup_f32 v1, v1, v126, v127
	v_fmac_f32_e32 v126, v127, v1
	s_delay_alu instid0(VALU_DEP_1) | instskip(SKIP_1) | instid1(VALU_DEP_2)
	v_div_scale_f32 v9, null, v126, v126, 1.0
	v_div_scale_f32 v15, vcc_lo, 1.0, v126, 1.0
	v_rcp_f32_e32 v11, v9
	v_nop
	s_delay_alu instid0(TRANS32_DEP_1) | instskip(NEXT) | instid1(VALU_DEP_1)
	v_fma_f32 v13, -v9, v11, 1.0
	v_fmac_f32_e32 v11, v13, v11
	s_delay_alu instid0(VALU_DEP_1) | instskip(NEXT) | instid1(VALU_DEP_1)
	v_mul_f32_e32 v13, v15, v11
	v_fma_f32 v17, -v9, v13, v15
	s_delay_alu instid0(VALU_DEP_1) | instskip(NEXT) | instid1(VALU_DEP_1)
	v_fmac_f32_e32 v13, v17, v11
	v_fma_f32 v9, -v9, v13, v15
	s_delay_alu instid0(VALU_DEP_1) | instskip(NEXT) | instid1(VALU_DEP_1)
	v_div_fmas_f32 v9, v9, v11, v13
	v_div_fixup_f32 v128, v9, v126, 1.0
	s_delay_alu instid0(VALU_DEP_1)
	v_xor_b32_e32 v130, 0x80000000, v128
	v_mul_f32_e64 v129, v1, -v128
.LBB60_17:
	s_or_b32 exec_lo, exec_lo, s1
	scratch_store_b64 v7, v[128:129], off
	scratch_load_b64 v[126:127], off, off offset:8
	v_xor_b32_e32 v131, 0x80000000, v129
	v_add_nc_u32_e32 v1, 0x1f0, v124
	s_wait_loadcnt 0x0
	ds_store_2addr_b64 v124, v[130:131], v[126:127] offset1:62
	s_wait_storecnt_dscnt 0x0
	s_barrier_signal -1
	s_barrier_wait -1
	s_wait_xcnt 0x0
	s_and_saveexec_b32 s1, s0
	s_cbranch_execz .LBB60_19
; %bb.18:
	scratch_load_b64 v[126:127], v7, off
	ds_load_b64 v[128:129], v1
	s_wait_loadcnt_dscnt 0x0
	v_pk_mul_f32 v[132:133], v[128:129], v[126:127] op_sel:[1,1] op_sel_hi:[0,1]
	s_delay_alu instid0(VALU_DEP_1) | instskip(SKIP_2) | instid1(VALU_DEP_3)
	v_pk_fma_f32 v[134:135], v[128:129], v[126:127], v[132:133] op_sel_hi:[1,0,1]
	v_mov_b32_e32 v9, 0
	v_pk_fma_f32 v[126:127], v[128:129], v[126:127], v[132:133] neg_lo:[0,0,1] neg_hi:[0,0,1]
	v_mov_b32_e32 v127, v135
	ds_load_b64 v[130:131], v9 offset:8
	v_pk_add_f32 v[126:127], v[126:127], 0 op_sel_hi:[1,0]
	s_wait_dscnt 0x0
	s_delay_alu instid0(VALU_DEP_1) | instskip(NEXT) | instid1(VALU_DEP_1)
	v_pk_mul_f32 v[128:129], v[126:127], v[130:131] op_sel:[1,1] op_sel_hi:[0,1]
	v_pk_fma_f32 v[132:133], v[126:127], v[130:131], v[128:129] op_sel_hi:[1,0,1]
	v_pk_fma_f32 v[126:127], v[126:127], v[130:131], v[128:129] neg_lo:[0,0,1] neg_hi:[0,0,1]
	s_delay_alu instid0(VALU_DEP_2)
	v_mov_b32_e32 v127, v133
	scratch_store_b64 off, v[126:127], off offset:8
.LBB60_19:
	s_wait_xcnt 0x0
	s_or_b32 exec_lo, exec_lo, s1
	s_wait_storecnt 0x0
	s_barrier_signal -1
	s_barrier_wait -1
	scratch_load_b64 v[126:127], off, off offset:16
	s_mov_b32 s1, exec_lo
	s_wait_loadcnt 0x0
	ds_store_b64 v1, v[126:127]
	s_wait_dscnt 0x0
	s_barrier_signal -1
	s_barrier_wait -1
	v_cmpx_gt_u32_e32 2, v0
	s_cbranch_execz .LBB60_23
; %bb.20:
	scratch_load_b64 v[126:127], v7, off
	ds_load_b64 v[128:129], v1
	s_wait_loadcnt_dscnt 0x0
	v_pk_mul_f32 v[130:131], v[128:129], v[126:127] op_sel:[1,1] op_sel_hi:[0,1]
	s_delay_alu instid0(VALU_DEP_1) | instskip(SKIP_1) | instid1(VALU_DEP_2)
	v_pk_fma_f32 v[132:133], v[128:129], v[126:127], v[130:131] op_sel_hi:[1,0,1]
	v_pk_fma_f32 v[126:127], v[128:129], v[126:127], v[130:131] neg_lo:[0,0,1] neg_hi:[0,0,1]
	v_mov_b32_e32 v127, v133
	s_delay_alu instid0(VALU_DEP_1)
	v_pk_add_f32 v[126:127], v[126:127], 0 op_sel_hi:[1,0]
	s_and_saveexec_b32 s8, s0
	s_cbranch_execz .LBB60_22
; %bb.21:
	scratch_load_b64 v[128:129], off, off offset:8
	v_mov_b32_e32 v7, 0
	ds_load_b64 v[130:131], v7 offset:504
	s_wait_loadcnt_dscnt 0x0
	v_pk_mul_f32 v[132:133], v[130:131], v[128:129] op_sel:[1,1] op_sel_hi:[0,1]
	s_delay_alu instid0(VALU_DEP_1) | instskip(SKIP_1) | instid1(VALU_DEP_2)
	v_pk_fma_f32 v[134:135], v[130:131], v[128:129], v[132:133] op_sel_hi:[1,0,1]
	v_pk_fma_f32 v[128:129], v[130:131], v[128:129], v[132:133] neg_lo:[0,0,1] neg_hi:[0,0,1]
	v_mov_b32_e32 v129, v135
	s_delay_alu instid0(VALU_DEP_1)
	v_pk_add_f32 v[126:127], v[126:127], v[128:129]
.LBB60_22:
	s_or_b32 exec_lo, exec_lo, s8
	v_mov_b32_e32 v7, 0
	ds_load_b64 v[128:129], v7 offset:16
	s_wait_dscnt 0x0
	v_pk_mul_f32 v[130:131], v[126:127], v[128:129] op_sel:[1,1] op_sel_hi:[0,1]
	s_delay_alu instid0(VALU_DEP_1) | instskip(SKIP_1) | instid1(VALU_DEP_2)
	v_pk_fma_f32 v[132:133], v[126:127], v[128:129], v[130:131] op_sel_hi:[1,0,1]
	v_pk_fma_f32 v[126:127], v[126:127], v[128:129], v[130:131] neg_lo:[0,0,1] neg_hi:[0,0,1]
	v_mov_b32_e32 v127, v133
	scratch_store_b64 off, v[126:127], off offset:16
.LBB60_23:
	s_wait_xcnt 0x0
	s_or_b32 exec_lo, exec_lo, s1
	s_wait_storecnt 0x0
	s_barrier_signal -1
	s_barrier_wait -1
	scratch_load_b64 v[126:127], off, off offset:24
	v_add_nc_u32_e32 v7, -1, v0
	s_mov_b32 s0, exec_lo
	s_wait_loadcnt 0x0
	ds_store_b64 v1, v[126:127]
	s_wait_dscnt 0x0
	s_barrier_signal -1
	s_barrier_wait -1
	v_cmpx_gt_u32_e32 3, v0
	s_cbranch_execz .LBB60_27
; %bb.24:
	v_dual_mov_b32 v126, 0 :: v_dual_add_nc_u32 v9, -1, v0
	v_add_nc_u32_e32 v11, 0x1f0, v124
	v_mov_b32_e32 v13, v124
	s_mov_b32 s1, 0
	s_delay_alu instid0(VALU_DEP_3)
	v_mov_b32_e32 v127, v126
.LBB60_25:                              ; =>This Inner Loop Header: Depth=1
	scratch_load_b64 v[128:129], v13, off
	ds_load_b64 v[130:131], v11
	s_wait_xcnt 0x0
	v_dual_add_nc_u32 v11, 8, v11 :: v_dual_add_nc_u32 v13, 8, v13
	s_wait_loadcnt_dscnt 0x0
	v_pk_mul_f32 v[132:133], v[130:131], v[128:129] op_sel:[1,1] op_sel_hi:[0,1]
	s_delay_alu instid0(VALU_DEP_1) | instskip(SKIP_2) | instid1(VALU_DEP_3)
	v_pk_fma_f32 v[134:135], v[130:131], v[128:129], v[132:133] op_sel_hi:[1,0,1]
	v_add_nc_u32_e32 v9, 1, v9
	v_pk_fma_f32 v[128:129], v[130:131], v[128:129], v[132:133] neg_lo:[0,0,1] neg_hi:[0,0,1]
	v_mov_b32_e32 v129, v135
	s_delay_alu instid0(VALU_DEP_3) | instskip(NEXT) | instid1(VALU_DEP_2)
	v_cmp_lt_u32_e32 vcc_lo, 1, v9
	v_pk_add_f32 v[126:127], v[126:127], v[128:129]
	s_or_b32 s1, vcc_lo, s1
	s_delay_alu instid0(SALU_CYCLE_1)
	s_and_not1_b32 exec_lo, exec_lo, s1
	s_cbranch_execnz .LBB60_25
; %bb.26:
	s_or_b32 exec_lo, exec_lo, s1
	v_mov_b32_e32 v9, 0
	ds_load_b64 v[128:129], v9 offset:24
	s_wait_dscnt 0x0
	v_pk_mul_f32 v[130:131], v[126:127], v[128:129] op_sel:[1,1] op_sel_hi:[0,1]
	s_delay_alu instid0(VALU_DEP_1) | instskip(SKIP_1) | instid1(VALU_DEP_2)
	v_pk_fma_f32 v[132:133], v[126:127], v[128:129], v[130:131] op_sel_hi:[1,0,1]
	v_pk_fma_f32 v[126:127], v[126:127], v[128:129], v[130:131] neg_lo:[0,0,1] neg_hi:[0,0,1]
	v_mov_b32_e32 v127, v133
	scratch_store_b64 off, v[126:127], off offset:24
.LBB60_27:
	s_wait_xcnt 0x0
	s_or_b32 exec_lo, exec_lo, s0
	s_wait_storecnt 0x0
	s_barrier_signal -1
	s_barrier_wait -1
	scratch_load_b64 v[126:127], off, off offset:32
	s_mov_b32 s0, exec_lo
	s_wait_loadcnt 0x0
	ds_store_b64 v1, v[126:127]
	s_wait_dscnt 0x0
	s_barrier_signal -1
	s_barrier_wait -1
	v_cmpx_gt_u32_e32 4, v0
	s_cbranch_execz .LBB60_31
; %bb.28:
	v_dual_mov_b32 v126, 0 :: v_dual_add_nc_u32 v9, -1, v0
	v_add_nc_u32_e32 v11, 0x1f0, v124
	v_mov_b32_e32 v13, v124
	s_mov_b32 s1, 0
	s_delay_alu instid0(VALU_DEP_3)
	v_mov_b32_e32 v127, v126
.LBB60_29:                              ; =>This Inner Loop Header: Depth=1
	scratch_load_b64 v[128:129], v13, off
	ds_load_b64 v[130:131], v11
	s_wait_xcnt 0x0
	v_dual_add_nc_u32 v11, 8, v11 :: v_dual_add_nc_u32 v13, 8, v13
	s_wait_loadcnt_dscnt 0x0
	v_pk_mul_f32 v[132:133], v[130:131], v[128:129] op_sel:[1,1] op_sel_hi:[0,1]
	s_delay_alu instid0(VALU_DEP_1) | instskip(SKIP_2) | instid1(VALU_DEP_3)
	v_pk_fma_f32 v[134:135], v[130:131], v[128:129], v[132:133] op_sel_hi:[1,0,1]
	v_add_nc_u32_e32 v9, 1, v9
	v_pk_fma_f32 v[128:129], v[130:131], v[128:129], v[132:133] neg_lo:[0,0,1] neg_hi:[0,0,1]
	v_mov_b32_e32 v129, v135
	s_delay_alu instid0(VALU_DEP_3) | instskip(NEXT) | instid1(VALU_DEP_2)
	v_cmp_lt_u32_e32 vcc_lo, 2, v9
	v_pk_add_f32 v[126:127], v[126:127], v[128:129]
	s_or_b32 s1, vcc_lo, s1
	s_delay_alu instid0(SALU_CYCLE_1)
	s_and_not1_b32 exec_lo, exec_lo, s1
	s_cbranch_execnz .LBB60_29
; %bb.30:
	s_or_b32 exec_lo, exec_lo, s1
	v_mov_b32_e32 v9, 0
	ds_load_b64 v[128:129], v9 offset:32
	s_wait_dscnt 0x0
	v_pk_mul_f32 v[130:131], v[126:127], v[128:129] op_sel:[1,1] op_sel_hi:[0,1]
	s_delay_alu instid0(VALU_DEP_1) | instskip(SKIP_1) | instid1(VALU_DEP_2)
	v_pk_fma_f32 v[132:133], v[126:127], v[128:129], v[130:131] op_sel_hi:[1,0,1]
	v_pk_fma_f32 v[126:127], v[126:127], v[128:129], v[130:131] neg_lo:[0,0,1] neg_hi:[0,0,1]
	v_mov_b32_e32 v127, v133
	scratch_store_b64 off, v[126:127], off offset:32
.LBB60_31:
	s_wait_xcnt 0x0
	s_or_b32 exec_lo, exec_lo, s0
	s_wait_storecnt 0x0
	s_barrier_signal -1
	s_barrier_wait -1
	scratch_load_b64 v[126:127], off, off offset:40
	;; [unrolled: 52-line block ×19, first 2 shown]
	s_mov_b32 s0, exec_lo
	s_wait_loadcnt 0x0
	ds_store_b64 v1, v[126:127]
	s_wait_dscnt 0x0
	s_barrier_signal -1
	s_barrier_wait -1
	v_cmpx_gt_u32_e32 22, v0
	s_cbranch_execz .LBB60_103
; %bb.100:
	v_dual_mov_b32 v126, 0 :: v_dual_add_nc_u32 v9, -1, v0
	v_add_nc_u32_e32 v11, 0x1f0, v124
	v_mov_b32_e32 v13, v124
	s_mov_b32 s1, 0
	s_delay_alu instid0(VALU_DEP_3)
	v_mov_b32_e32 v127, v126
.LBB60_101:                             ; =>This Inner Loop Header: Depth=1
	scratch_load_b64 v[128:129], v13, off
	ds_load_b64 v[130:131], v11
	s_wait_xcnt 0x0
	v_dual_add_nc_u32 v11, 8, v11 :: v_dual_add_nc_u32 v13, 8, v13
	s_wait_loadcnt_dscnt 0x0
	v_pk_mul_f32 v[132:133], v[130:131], v[128:129] op_sel:[1,1] op_sel_hi:[0,1]
	s_delay_alu instid0(VALU_DEP_1) | instskip(SKIP_2) | instid1(VALU_DEP_3)
	v_pk_fma_f32 v[134:135], v[130:131], v[128:129], v[132:133] op_sel_hi:[1,0,1]
	v_add_nc_u32_e32 v9, 1, v9
	v_pk_fma_f32 v[128:129], v[130:131], v[128:129], v[132:133] neg_lo:[0,0,1] neg_hi:[0,0,1]
	v_mov_b32_e32 v129, v135
	s_delay_alu instid0(VALU_DEP_3) | instskip(NEXT) | instid1(VALU_DEP_2)
	v_cmp_lt_u32_e32 vcc_lo, 20, v9
	v_pk_add_f32 v[126:127], v[126:127], v[128:129]
	s_or_b32 s1, vcc_lo, s1
	s_delay_alu instid0(SALU_CYCLE_1)
	s_and_not1_b32 exec_lo, exec_lo, s1
	s_cbranch_execnz .LBB60_101
; %bb.102:
	s_or_b32 exec_lo, exec_lo, s1
	v_mov_b32_e32 v9, 0
	ds_load_b64 v[128:129], v9 offset:176
	s_wait_dscnt 0x0
	v_pk_mul_f32 v[130:131], v[126:127], v[128:129] op_sel:[1,1] op_sel_hi:[0,1]
	s_delay_alu instid0(VALU_DEP_1) | instskip(SKIP_1) | instid1(VALU_DEP_2)
	v_pk_fma_f32 v[132:133], v[126:127], v[128:129], v[130:131] op_sel_hi:[1,0,1]
	v_pk_fma_f32 v[126:127], v[126:127], v[128:129], v[130:131] neg_lo:[0,0,1] neg_hi:[0,0,1]
	v_mov_b32_e32 v127, v133
	scratch_store_b64 off, v[126:127], off offset:176
.LBB60_103:
	s_wait_xcnt 0x0
	s_or_b32 exec_lo, exec_lo, s0
	s_wait_storecnt 0x0
	s_barrier_signal -1
	s_barrier_wait -1
	scratch_load_b64 v[126:127], off, off offset:184
	s_mov_b32 s0, exec_lo
	s_wait_loadcnt 0x0
	ds_store_b64 v1, v[126:127]
	s_wait_dscnt 0x0
	s_barrier_signal -1
	s_barrier_wait -1
	v_cmpx_gt_u32_e32 23, v0
	s_cbranch_execz .LBB60_107
; %bb.104:
	v_dual_mov_b32 v126, 0 :: v_dual_add_nc_u32 v9, -1, v0
	v_add_nc_u32_e32 v11, 0x1f0, v124
	v_mov_b32_e32 v13, v124
	s_mov_b32 s1, 0
	s_delay_alu instid0(VALU_DEP_3)
	v_mov_b32_e32 v127, v126
.LBB60_105:                             ; =>This Inner Loop Header: Depth=1
	scratch_load_b64 v[128:129], v13, off
	ds_load_b64 v[130:131], v11
	s_wait_xcnt 0x0
	v_dual_add_nc_u32 v11, 8, v11 :: v_dual_add_nc_u32 v13, 8, v13
	s_wait_loadcnt_dscnt 0x0
	v_pk_mul_f32 v[132:133], v[130:131], v[128:129] op_sel:[1,1] op_sel_hi:[0,1]
	s_delay_alu instid0(VALU_DEP_1) | instskip(SKIP_2) | instid1(VALU_DEP_3)
	v_pk_fma_f32 v[134:135], v[130:131], v[128:129], v[132:133] op_sel_hi:[1,0,1]
	v_add_nc_u32_e32 v9, 1, v9
	v_pk_fma_f32 v[128:129], v[130:131], v[128:129], v[132:133] neg_lo:[0,0,1] neg_hi:[0,0,1]
	v_mov_b32_e32 v129, v135
	s_delay_alu instid0(VALU_DEP_3) | instskip(NEXT) | instid1(VALU_DEP_2)
	v_cmp_lt_u32_e32 vcc_lo, 21, v9
	v_pk_add_f32 v[126:127], v[126:127], v[128:129]
	s_or_b32 s1, vcc_lo, s1
	s_delay_alu instid0(SALU_CYCLE_1)
	s_and_not1_b32 exec_lo, exec_lo, s1
	s_cbranch_execnz .LBB60_105
; %bb.106:
	s_or_b32 exec_lo, exec_lo, s1
	v_mov_b32_e32 v9, 0
	ds_load_b64 v[128:129], v9 offset:184
	s_wait_dscnt 0x0
	v_pk_mul_f32 v[130:131], v[126:127], v[128:129] op_sel:[1,1] op_sel_hi:[0,1]
	s_delay_alu instid0(VALU_DEP_1) | instskip(SKIP_1) | instid1(VALU_DEP_2)
	v_pk_fma_f32 v[132:133], v[126:127], v[128:129], v[130:131] op_sel_hi:[1,0,1]
	v_pk_fma_f32 v[126:127], v[126:127], v[128:129], v[130:131] neg_lo:[0,0,1] neg_hi:[0,0,1]
	v_mov_b32_e32 v127, v133
	scratch_store_b64 off, v[126:127], off offset:184
.LBB60_107:
	s_wait_xcnt 0x0
	s_or_b32 exec_lo, exec_lo, s0
	s_wait_storecnt 0x0
	s_barrier_signal -1
	s_barrier_wait -1
	scratch_load_b64 v[126:127], off, off offset:192
	;; [unrolled: 52-line block ×38, first 2 shown]
	s_mov_b32 s0, exec_lo
	s_wait_loadcnt 0x0
	ds_store_b64 v1, v[126:127]
	s_wait_dscnt 0x0
	s_barrier_signal -1
	s_barrier_wait -1
	v_cmpx_ne_u32_e32 60, v0
	s_cbranch_execz .LBB60_255
; %bb.252:
	v_dual_mov_b32 v126, 0 :: v_dual_mov_b32 v9, v124
	s_mov_b32 s1, 0
	s_delay_alu instid0(VALU_DEP_1)
	v_mov_b32_e32 v127, v126
.LBB60_253:                             ; =>This Inner Loop Header: Depth=1
	scratch_load_b64 v[124:125], v9, off
	ds_load_b64 v[128:129], v1
	v_add_nc_u32_e32 v1, 8, v1
	s_wait_xcnt 0x0
	v_add_nc_u32_e32 v9, 8, v9
	s_wait_loadcnt_dscnt 0x0
	v_pk_mul_f32 v[130:131], v[128:129], v[124:125] op_sel:[1,1] op_sel_hi:[0,1]
	s_delay_alu instid0(VALU_DEP_1) | instskip(SKIP_2) | instid1(VALU_DEP_3)
	v_pk_fma_f32 v[132:133], v[128:129], v[124:125], v[130:131] op_sel_hi:[1,0,1]
	v_add_nc_u32_e32 v7, 1, v7
	v_pk_fma_f32 v[124:125], v[128:129], v[124:125], v[130:131] neg_lo:[0,0,1] neg_hi:[0,0,1]
	v_mov_b32_e32 v125, v133
	s_delay_alu instid0(VALU_DEP_3) | instskip(NEXT) | instid1(VALU_DEP_2)
	v_cmp_lt_u32_e32 vcc_lo, 58, v7
	v_pk_add_f32 v[126:127], v[126:127], v[124:125]
	s_or_b32 s1, vcc_lo, s1
	s_delay_alu instid0(SALU_CYCLE_1)
	s_and_not1_b32 exec_lo, exec_lo, s1
	s_cbranch_execnz .LBB60_253
; %bb.254:
	s_or_b32 exec_lo, exec_lo, s1
	v_mov_b32_e32 v1, 0
	ds_load_b64 v[124:125], v1 offset:480
	s_wait_dscnt 0x0
	v_pk_mul_f32 v[128:129], v[126:127], v[124:125] op_sel:[1,1] op_sel_hi:[0,1]
	s_delay_alu instid0(VALU_DEP_1) | instskip(SKIP_1) | instid1(VALU_DEP_2)
	v_pk_fma_f32 v[130:131], v[126:127], v[124:125], v[128:129] op_sel_hi:[1,0,1]
	v_pk_fma_f32 v[124:125], v[126:127], v[124:125], v[128:129] neg_lo:[0,0,1] neg_hi:[0,0,1]
	v_mov_b32_e32 v125, v131
	scratch_store_b64 off, v[124:125], off offset:480
.LBB60_255:
	s_wait_xcnt 0x0
	s_or_b32 exec_lo, exec_lo, s0
	s_mov_b32 s1, -1
	s_wait_storecnt 0x0
	s_barrier_signal -1
	s_barrier_wait -1
.LBB60_256:
	s_and_b32 vcc_lo, exec_lo, s1
	s_cbranch_vccz .LBB60_258
; %bb.257:
	v_mov_b32_e32 v1, 0
	s_lshl_b64 s[0:1], s[16:17], 2
	s_delay_alu instid0(SALU_CYCLE_1)
	s_add_nc_u64 s[0:1], s[6:7], s[0:1]
	global_load_b32 v1, v1, s[0:1]
	s_wait_loadcnt 0x0
	v_cmp_ne_u32_e32 vcc_lo, 0, v1
	s_cbranch_vccz .LBB60_259
.LBB60_258:
	s_sendmsg sendmsg(MSG_DEALLOC_VGPRS)
	s_endpgm
.LBB60_259:
	s_wait_xcnt 0x0
	v_lshl_add_u32 v1, v0, 3, 0x1f0
	s_mov_b32 s0, exec_lo
	v_cmpx_eq_u32_e32 60, v0
	s_cbranch_execz .LBB60_261
; %bb.260:
	scratch_load_b64 v[124:125], off, off offset:472
	v_mov_b64_e32 v[126:127], 0
	scratch_store_b64 off, v[126:127], off offset:472
	s_wait_loadcnt 0x0
	ds_store_b64 v1, v[124:125]
.LBB60_261:
	s_wait_xcnt 0x0
	s_or_b32 exec_lo, exec_lo, s0
	s_wait_storecnt_dscnt 0x0
	s_barrier_signal -1
	s_barrier_wait -1
	s_clause 0x1
	scratch_load_b64 v[124:125], off, off offset:480
	scratch_load_b64 v[126:127], off, off offset:472
	v_mov_b32_e32 v7, 0
	s_mov_b32 s0, exec_lo
	ds_load_b64 v[128:129], v7 offset:976
	s_wait_loadcnt_dscnt 0x100
	v_pk_mul_f32 v[130:131], v[128:129], v[124:125] op_sel:[1,1] op_sel_hi:[0,1]
	s_delay_alu instid0(VALU_DEP_1) | instskip(SKIP_1) | instid1(VALU_DEP_2)
	v_pk_fma_f32 v[132:133], v[128:129], v[124:125], v[130:131] op_sel_hi:[1,0,1]
	v_pk_fma_f32 v[124:125], v[128:129], v[124:125], v[130:131] neg_lo:[0,0,1] neg_hi:[0,0,1]
	v_mov_b32_e32 v125, v133
	s_delay_alu instid0(VALU_DEP_1) | instskip(SKIP_1) | instid1(VALU_DEP_1)
	v_pk_add_f32 v[124:125], v[124:125], 0 op_sel_hi:[1,0]
	s_wait_loadcnt 0x0
	v_pk_add_f32 v[124:125], v[126:127], v[124:125] neg_lo:[0,1] neg_hi:[0,1]
	scratch_store_b64 off, v[124:125], off offset:472
	s_wait_xcnt 0x0
	v_cmpx_lt_u32_e32 58, v0
	s_cbranch_execz .LBB60_263
; %bb.262:
	scratch_load_b64 v[124:125], off, off offset:464
	v_mov_b64_e32 v[126:127], 0
	scratch_store_b64 off, v[126:127], off offset:464
	s_wait_loadcnt 0x0
	ds_store_b64 v1, v[124:125]
.LBB60_263:
	s_wait_xcnt 0x0
	s_or_b32 exec_lo, exec_lo, s0
	s_wait_storecnt_dscnt 0x0
	s_barrier_signal -1
	s_barrier_wait -1
	s_clause 0x1
	scratch_load_b128 v[124:127], off, off offset:472
	scratch_load_b64 v[132:133], off, off offset:464
	ds_load_2addr_b64 v[128:131], v7 offset0:121 offset1:122
	s_mov_b32 s0, exec_lo
	s_wait_dscnt 0x0
	v_dual_mov_b32 v134, v131 :: v_dual_mov_b32 v135, v130
	s_wait_loadcnt 0x1
	v_pk_mul_f32 v[136:137], v[128:129], v[124:125] op_sel:[1,1] op_sel_hi:[0,1]
	s_delay_alu instid0(VALU_DEP_1) | instskip(SKIP_2) | instid1(VALU_DEP_3)
	v_pk_fma_f32 v[140:141], v[128:129], v[124:125], v[136:137] op_sel_hi:[1,0,1]
	v_mov_b32_e32 v138, v127
	v_pk_fma_f32 v[124:125], v[128:129], v[124:125], v[136:137] neg_lo:[0,0,1] neg_hi:[0,0,1]
	v_mov_b32_e32 v125, v141
	s_delay_alu instid0(VALU_DEP_3) | instskip(NEXT) | instid1(VALU_DEP_2)
	v_pk_mul_f32 v[134:135], v[134:135], v[138:139] op_sel_hi:[1,0]
	v_pk_add_f32 v[124:125], v[124:125], 0 op_sel_hi:[1,0]
	s_delay_alu instid0(VALU_DEP_2) | instskip(SKIP_1) | instid1(VALU_DEP_2)
	v_pk_fma_f32 v[128:129], v[130:131], v[126:127], v[134:135] op_sel_hi:[1,0,1]
	v_pk_fma_f32 v[126:127], v[130:131], v[126:127], v[134:135] neg_lo:[0,0,1] neg_hi:[0,0,1]
	v_mov_b32_e32 v127, v129
	s_delay_alu instid0(VALU_DEP_1) | instskip(SKIP_1) | instid1(VALU_DEP_1)
	v_pk_add_f32 v[124:125], v[124:125], v[126:127]
	s_wait_loadcnt 0x0
	v_pk_add_f32 v[124:125], v[132:133], v[124:125] neg_lo:[0,1] neg_hi:[0,1]
	scratch_store_b64 off, v[124:125], off offset:464
	s_wait_xcnt 0x0
	v_cmpx_lt_u32_e32 57, v0
	s_cbranch_execz .LBB60_265
; %bb.264:
	scratch_load_b64 v[124:125], off, off offset:456
	v_mov_b64_e32 v[126:127], 0
	scratch_store_b64 off, v[126:127], off offset:456
	s_wait_loadcnt 0x0
	ds_store_b64 v1, v[124:125]
.LBB60_265:
	s_wait_xcnt 0x0
	s_or_b32 exec_lo, exec_lo, s0
	s_wait_storecnt_dscnt 0x0
	s_barrier_signal -1
	s_barrier_wait -1
	s_clause 0x2
	scratch_load_b128 v[124:127], off, off offset:464
	scratch_load_b64 v[132:133], off, off offset:480
	scratch_load_b64 v[134:135], off, off offset:456
	v_mov_b32_e32 v7, 0
	ds_load_b128 v[128:131], v7 offset:960
	ds_load_b64 v[136:137], v7 offset:976
	s_mov_b32 s0, exec_lo
	s_wait_dscnt 0x1
	v_dual_mov_b32 v138, v131 :: v_dual_mov_b32 v139, v130
	s_wait_loadcnt 0x2
	v_mov_b32_e32 v142, v127
	v_pk_mul_f32 v[140:141], v[128:129], v[124:125] op_sel:[1,1] op_sel_hi:[0,1]
	s_delay_alu instid0(VALU_DEP_2) | instskip(NEXT) | instid1(VALU_DEP_2)
	v_pk_mul_f32 v[138:139], v[138:139], v[142:143] op_sel_hi:[1,0]
	v_pk_fma_f32 v[144:145], v[128:129], v[124:125], v[140:141] op_sel_hi:[1,0,1]
	v_pk_fma_f32 v[124:125], v[128:129], v[124:125], v[140:141] neg_lo:[0,0,1] neg_hi:[0,0,1]
	s_wait_loadcnt_dscnt 0x100
	v_pk_mul_f32 v[140:141], v[136:137], v[132:133] op_sel:[1,1] op_sel_hi:[0,1]
	v_pk_fma_f32 v[128:129], v[130:131], v[126:127], v[138:139] op_sel_hi:[1,0,1]
	v_mov_b32_e32 v125, v145
	v_pk_fma_f32 v[126:127], v[130:131], v[126:127], v[138:139] neg_lo:[0,0,1] neg_hi:[0,0,1]
	s_delay_alu instid0(VALU_DEP_4) | instskip(NEXT) | instid1(VALU_DEP_4)
	v_pk_fma_f32 v[130:131], v[136:137], v[132:133], v[140:141] neg_lo:[0,0,1] neg_hi:[0,0,1]
	v_mov_b32_e32 v127, v129
	s_delay_alu instid0(VALU_DEP_4) | instskip(SKIP_1) | instid1(VALU_DEP_2)
	v_pk_add_f32 v[124:125], v[124:125], 0 op_sel_hi:[1,0]
	v_pk_fma_f32 v[128:129], v[136:137], v[132:133], v[140:141] op_sel_hi:[1,0,1]
	v_pk_add_f32 v[124:125], v[124:125], v[126:127]
	s_delay_alu instid0(VALU_DEP_2) | instskip(NEXT) | instid1(VALU_DEP_1)
	v_mov_b32_e32 v131, v129
	v_pk_add_f32 v[124:125], v[124:125], v[130:131]
	s_wait_loadcnt 0x0
	s_delay_alu instid0(VALU_DEP_1)
	v_pk_add_f32 v[124:125], v[134:135], v[124:125] neg_lo:[0,1] neg_hi:[0,1]
	scratch_store_b64 off, v[124:125], off offset:456
	s_wait_xcnt 0x0
	v_cmpx_lt_u32_e32 56, v0
	s_cbranch_execz .LBB60_267
; %bb.266:
	scratch_load_b64 v[124:125], off, off offset:448
	v_mov_b64_e32 v[126:127], 0
	scratch_store_b64 off, v[126:127], off offset:448
	s_wait_loadcnt 0x0
	ds_store_b64 v1, v[124:125]
.LBB60_267:
	s_wait_xcnt 0x0
	s_or_b32 exec_lo, exec_lo, s0
	s_wait_storecnt_dscnt 0x0
	s_barrier_signal -1
	s_barrier_wait -1
	s_clause 0x2
	scratch_load_b128 v[124:127], off, off offset:456
	scratch_load_b128 v[128:131], off, off offset:472
	scratch_load_b64 v[140:141], off, off offset:448
	ds_load_2addr_b64 v[132:135], v7 offset0:119 offset1:120
	ds_load_2addr_b64 v[136:139], v7 offset0:121 offset1:122
	s_mov_b32 s0, exec_lo
	s_wait_dscnt 0x1
	v_dual_mov_b32 v142, v135 :: v_dual_mov_b32 v143, v134
	s_wait_loadcnt_dscnt 0x200
	v_dual_mov_b32 v148, v139 :: v_dual_mov_b32 v146, v127
	v_pk_mul_f32 v[144:145], v[132:133], v[124:125] op_sel:[1,1] op_sel_hi:[0,1]
	s_delay_alu instid0(VALU_DEP_2) | instskip(NEXT) | instid1(VALU_DEP_2)
	v_pk_mul_f32 v[142:143], v[142:143], v[146:147] op_sel_hi:[1,0]
	v_pk_fma_f32 v[150:151], v[132:133], v[124:125], v[144:145] op_sel_hi:[1,0,1]
	v_pk_fma_f32 v[124:125], v[132:133], v[124:125], v[144:145] neg_lo:[0,0,1] neg_hi:[0,0,1]
	v_mov_b32_e32 v149, v138
	s_wait_loadcnt 0x1
	v_pk_mul_f32 v[146:147], v[136:137], v[128:129] op_sel:[1,1] op_sel_hi:[0,1]
	v_pk_fma_f32 v[132:133], v[134:135], v[126:127], v[142:143] op_sel_hi:[1,0,1]
	v_dual_mov_b32 v125, v151 :: v_dual_mov_b32 v132, v131
	v_pk_fma_f32 v[126:127], v[134:135], v[126:127], v[142:143] neg_lo:[0,0,1] neg_hi:[0,0,1]
	s_delay_alu instid0(VALU_DEP_4) | instskip(NEXT) | instid1(VALU_DEP_4)
	v_pk_fma_f32 v[144:145], v[136:137], v[128:129], v[146:147] op_sel_hi:[1,0,1]
	v_mov_b32_e32 v127, v133
	s_delay_alu instid0(VALU_DEP_4) | instskip(SKIP_2) | instid1(VALU_DEP_3)
	v_pk_add_f32 v[124:125], v[124:125], 0 op_sel_hi:[1,0]
	v_pk_mul_f32 v[132:133], v[148:149], v[132:133] op_sel_hi:[1,0]
	v_pk_fma_f32 v[128:129], v[136:137], v[128:129], v[146:147] neg_lo:[0,0,1] neg_hi:[0,0,1]
	v_pk_add_f32 v[124:125], v[124:125], v[126:127]
	s_delay_alu instid0(VALU_DEP_3) | instskip(SKIP_2) | instid1(VALU_DEP_3)
	v_pk_fma_f32 v[126:127], v[138:139], v[130:131], v[132:133] op_sel_hi:[1,0,1]
	v_mov_b32_e32 v129, v145
	v_pk_fma_f32 v[130:131], v[138:139], v[130:131], v[132:133] neg_lo:[0,0,1] neg_hi:[0,0,1]
	v_mov_b32_e32 v131, v127
	s_delay_alu instid0(VALU_DEP_3) | instskip(NEXT) | instid1(VALU_DEP_1)
	v_pk_add_f32 v[124:125], v[124:125], v[128:129]
	v_pk_add_f32 v[124:125], v[124:125], v[130:131]
	s_wait_loadcnt 0x0
	s_delay_alu instid0(VALU_DEP_1)
	v_pk_add_f32 v[124:125], v[140:141], v[124:125] neg_lo:[0,1] neg_hi:[0,1]
	scratch_store_b64 off, v[124:125], off offset:448
	s_wait_xcnt 0x0
	v_cmpx_lt_u32_e32 55, v0
	s_cbranch_execz .LBB60_269
; %bb.268:
	scratch_load_b64 v[124:125], off, off offset:440
	v_mov_b64_e32 v[126:127], 0
	scratch_store_b64 off, v[126:127], off offset:440
	s_wait_loadcnt 0x0
	ds_store_b64 v1, v[124:125]
.LBB60_269:
	s_wait_xcnt 0x0
	s_or_b32 exec_lo, exec_lo, s0
	s_wait_storecnt_dscnt 0x0
	s_barrier_signal -1
	s_barrier_wait -1
	s_clause 0x3
	scratch_load_b128 v[124:127], off, off offset:448
	scratch_load_b128 v[128:131], off, off offset:464
	scratch_load_b64 v[140:141], off, off offset:480
	scratch_load_b64 v[142:143], off, off offset:440
	v_mov_b32_e32 v7, 0
	ds_load_b128 v[132:135], v7 offset:944
	ds_load_b128 v[136:139], v7 offset:960
	s_mov_b32 s0, exec_lo
	s_wait_dscnt 0x1
	v_dual_mov_b32 v144, v135 :: v_dual_mov_b32 v145, v134
	ds_load_b64 v[150:151], v7 offset:976
	s_wait_dscnt 0x1
	v_dual_mov_b32 v152, v139 :: v_dual_mov_b32 v153, v138
	s_wait_loadcnt 0x3
	v_pk_mul_f32 v[146:147], v[132:133], v[124:125] op_sel:[1,1] op_sel_hi:[0,1]
	v_mov_b32_e32 v148, v127
	s_delay_alu instid0(VALU_DEP_2) | instskip(NEXT) | instid1(VALU_DEP_2)
	v_pk_fma_f32 v[154:155], v[132:133], v[124:125], v[146:147] op_sel_hi:[1,0,1]
	v_pk_mul_f32 v[144:145], v[144:145], v[148:149] op_sel_hi:[1,0]
	v_pk_fma_f32 v[124:125], v[132:133], v[124:125], v[146:147] neg_lo:[0,0,1] neg_hi:[0,0,1]
	s_wait_loadcnt 0x2
	v_pk_mul_f32 v[148:149], v[136:137], v[128:129] op_sel:[1,1] op_sel_hi:[0,1]
	v_dual_mov_b32 v154, v131 :: v_dual_mov_b32 v125, v155
	v_pk_fma_f32 v[132:133], v[134:135], v[126:127], v[144:145] op_sel_hi:[1,0,1]
	v_pk_fma_f32 v[126:127], v[134:135], v[126:127], v[144:145] neg_lo:[0,0,1] neg_hi:[0,0,1]
	s_delay_alu instid0(VALU_DEP_4) | instskip(NEXT) | instid1(VALU_DEP_4)
	v_pk_fma_f32 v[146:147], v[136:137], v[128:129], v[148:149] op_sel_hi:[1,0,1]
	v_pk_mul_f32 v[152:153], v[152:153], v[154:155] op_sel_hi:[1,0]
	v_pk_add_f32 v[124:125], v[124:125], 0 op_sel_hi:[1,0]
	v_mov_b32_e32 v127, v133
	v_pk_fma_f32 v[128:129], v[136:137], v[128:129], v[148:149] neg_lo:[0,0,1] neg_hi:[0,0,1]
	v_mov_b32_e32 v129, v147
	v_pk_fma_f32 v[132:133], v[138:139], v[130:131], v[152:153] op_sel_hi:[1,0,1]
	v_pk_fma_f32 v[130:131], v[138:139], v[130:131], v[152:153] neg_lo:[0,0,1] neg_hi:[0,0,1]
	v_pk_add_f32 v[124:125], v[124:125], v[126:127]
	s_wait_loadcnt_dscnt 0x100
	v_pk_mul_f32 v[126:127], v[150:151], v[140:141] op_sel:[1,1] op_sel_hi:[0,1]
	s_delay_alu instid0(VALU_DEP_2) | instskip(NEXT) | instid1(VALU_DEP_2)
	v_pk_add_f32 v[124:125], v[124:125], v[128:129]
	v_pk_fma_f32 v[128:129], v[150:151], v[140:141], v[126:127] op_sel_hi:[1,0,1]
	v_mov_b32_e32 v131, v133
	v_pk_fma_f32 v[126:127], v[150:151], v[140:141], v[126:127] neg_lo:[0,0,1] neg_hi:[0,0,1]
	s_delay_alu instid0(VALU_DEP_3) | instskip(NEXT) | instid1(VALU_DEP_3)
	v_mov_b32_e32 v127, v129
	v_pk_add_f32 v[124:125], v[124:125], v[130:131]
	s_delay_alu instid0(VALU_DEP_1) | instskip(SKIP_1) | instid1(VALU_DEP_1)
	v_pk_add_f32 v[124:125], v[124:125], v[126:127]
	s_wait_loadcnt 0x0
	v_pk_add_f32 v[124:125], v[142:143], v[124:125] neg_lo:[0,1] neg_hi:[0,1]
	scratch_store_b64 off, v[124:125], off offset:440
	s_wait_xcnt 0x0
	v_cmpx_lt_u32_e32 54, v0
	s_cbranch_execz .LBB60_271
; %bb.270:
	scratch_load_b64 v[124:125], off, off offset:432
	v_mov_b64_e32 v[126:127], 0
	scratch_store_b64 off, v[126:127], off offset:432
	s_wait_loadcnt 0x0
	ds_store_b64 v1, v[124:125]
.LBB60_271:
	s_wait_xcnt 0x0
	s_or_b32 exec_lo, exec_lo, s0
	s_wait_storecnt_dscnt 0x0
	s_barrier_signal -1
	s_barrier_wait -1
	s_clause 0x3
	scratch_load_b128 v[124:127], off, off offset:440
	scratch_load_b128 v[128:131], off, off offset:456
	scratch_load_b128 v[132:135], off, off offset:472
	scratch_load_b64 v[148:149], off, off offset:432
	ds_load_2addr_b64 v[136:139], v7 offset0:117 offset1:118
	ds_load_2addr_b64 v[140:143], v7 offset0:119 offset1:120
	;; [unrolled: 1-line block ×3, first 2 shown]
	s_mov_b32 s0, exec_lo
	s_wait_dscnt 0x2
	v_dual_mov_b32 v150, v139 :: v_dual_mov_b32 v151, v138
	s_wait_dscnt 0x1
	v_dual_mov_b32 v152, v143 :: v_dual_mov_b32 v153, v142
	;; [unrolled: 2-line block ×3, first 2 shown]
	s_wait_loadcnt 0x3
	v_pk_mul_f32 v[154:155], v[136:137], v[124:125] op_sel:[1,1] op_sel_hi:[0,1]
	v_mov_b32_e32 v156, v127
	s_delay_alu instid0(VALU_DEP_2) | instskip(NEXT) | instid1(VALU_DEP_2)
	v_pk_fma_f32 v[160:161], v[136:137], v[124:125], v[154:155] op_sel_hi:[1,0,1]
	v_pk_mul_f32 v[150:151], v[150:151], v[156:157] op_sel_hi:[1,0]
	v_pk_fma_f32 v[124:125], v[136:137], v[124:125], v[154:155] neg_lo:[0,0,1] neg_hi:[0,0,1]
	s_wait_loadcnt 0x2
	v_pk_mul_f32 v[156:157], v[140:141], v[128:129] op_sel:[1,1] op_sel_hi:[0,1]
	v_mov_b32_e32 v160, v131
	v_pk_fma_f32 v[136:137], v[138:139], v[126:127], v[150:151] op_sel_hi:[1,0,1]
	v_mov_b32_e32 v125, v161
	v_pk_fma_f32 v[126:127], v[138:139], v[126:127], v[150:151] neg_lo:[0,0,1] neg_hi:[0,0,1]
	v_pk_fma_f32 v[154:155], v[140:141], v[128:129], v[156:157] op_sel_hi:[1,0,1]
	v_pk_mul_f32 v[152:153], v[152:153], v[160:161] op_sel_hi:[1,0]
	v_mov_b32_e32 v127, v137
	v_pk_add_f32 v[124:125], v[124:125], 0 op_sel_hi:[1,0]
	v_pk_fma_f32 v[128:129], v[140:141], v[128:129], v[156:157] neg_lo:[0,0,1] neg_hi:[0,0,1]
	s_wait_loadcnt 0x1
	v_pk_mul_f32 v[136:137], v[144:145], v[132:133] op_sel:[1,1] op_sel_hi:[0,1]
	v_mov_b32_e32 v129, v155
	v_pk_fma_f32 v[138:139], v[142:143], v[130:131], v[152:153] op_sel_hi:[1,0,1]
	v_pk_add_f32 v[124:125], v[124:125], v[126:127]
	v_mov_b32_e32 v126, v135
	v_pk_fma_f32 v[130:131], v[142:143], v[130:131], v[152:153] neg_lo:[0,0,1] neg_hi:[0,0,1]
	v_pk_fma_f32 v[140:141], v[144:145], v[132:133], v[136:137] op_sel_hi:[1,0,1]
	v_mov_b32_e32 v131, v139
	v_pk_add_f32 v[124:125], v[124:125], v[128:129]
	v_pk_mul_f32 v[126:127], v[158:159], v[126:127] op_sel_hi:[1,0]
	v_pk_fma_f32 v[128:129], v[144:145], v[132:133], v[136:137] neg_lo:[0,0,1] neg_hi:[0,0,1]
	v_mov_b32_e32 v129, v141
	s_delay_alu instid0(VALU_DEP_4) | instskip(NEXT) | instid1(VALU_DEP_4)
	v_pk_add_f32 v[124:125], v[124:125], v[130:131]
	v_pk_fma_f32 v[130:131], v[146:147], v[134:135], v[126:127] op_sel_hi:[1,0,1]
	v_pk_fma_f32 v[126:127], v[146:147], v[134:135], v[126:127] neg_lo:[0,0,1] neg_hi:[0,0,1]
	s_delay_alu instid0(VALU_DEP_3) | instskip(NEXT) | instid1(VALU_DEP_3)
	v_pk_add_f32 v[124:125], v[124:125], v[128:129]
	v_mov_b32_e32 v127, v131
	s_delay_alu instid0(VALU_DEP_1) | instskip(SKIP_1) | instid1(VALU_DEP_1)
	v_pk_add_f32 v[124:125], v[124:125], v[126:127]
	s_wait_loadcnt 0x0
	v_pk_add_f32 v[124:125], v[148:149], v[124:125] neg_lo:[0,1] neg_hi:[0,1]
	scratch_store_b64 off, v[124:125], off offset:432
	s_wait_xcnt 0x0
	v_cmpx_lt_u32_e32 53, v0
	s_cbranch_execz .LBB60_273
; %bb.272:
	scratch_load_b64 v[124:125], off, off offset:424
	v_mov_b64_e32 v[126:127], 0
	scratch_store_b64 off, v[126:127], off offset:424
	s_wait_loadcnt 0x0
	ds_store_b64 v1, v[124:125]
.LBB60_273:
	s_wait_xcnt 0x0
	s_or_b32 exec_lo, exec_lo, s0
	s_wait_storecnt_dscnt 0x0
	s_barrier_signal -1
	s_barrier_wait -1
	s_clause 0x4
	scratch_load_b128 v[124:127], off, off offset:432
	scratch_load_b128 v[128:131], off, off offset:448
	;; [unrolled: 1-line block ×3, first 2 shown]
	scratch_load_b64 v[148:149], off, off offset:480
	scratch_load_b64 v[150:151], off, off offset:424
	v_mov_b32_e32 v7, 0
	ds_load_b128 v[136:139], v7 offset:928
	ds_load_b128 v[140:143], v7 offset:944
	;; [unrolled: 1-line block ×3, first 2 shown]
	ds_load_b64 v[152:153], v7 offset:976
	s_mov_b32 s0, exec_lo
	s_wait_dscnt 0x3
	v_dual_mov_b32 v154, v139 :: v_dual_mov_b32 v155, v138
	s_wait_dscnt 0x2
	v_dual_mov_b32 v156, v143 :: v_dual_mov_b32 v157, v142
	;; [unrolled: 2-line block ×3, first 2 shown]
	s_wait_loadcnt 0x4
	v_pk_mul_f32 v[158:159], v[136:137], v[124:125] op_sel:[1,1] op_sel_hi:[0,1]
	v_mov_b32_e32 v160, v127
	s_wait_loadcnt 0x3
	v_pk_mul_f32 v[164:165], v[140:141], v[128:129] op_sel:[1,1] op_sel_hi:[0,1]
	s_wait_loadcnt 0x2
	v_pk_mul_f32 v[168:169], v[144:145], v[132:133] op_sel:[1,1] op_sel_hi:[0,1]
	v_pk_fma_f32 v[166:167], v[136:137], v[124:125], v[158:159] op_sel_hi:[1,0,1]
	v_pk_mul_f32 v[154:155], v[154:155], v[160:161] op_sel_hi:[1,0]
	v_pk_fma_f32 v[124:125], v[136:137], v[124:125], v[158:159] neg_lo:[0,0,1] neg_hi:[0,0,1]
	v_mov_b32_e32 v160, v131
	v_pk_fma_f32 v[158:159], v[140:141], v[128:129], v[164:165] op_sel_hi:[1,0,1]
	v_mov_b32_e32 v125, v167
	v_pk_fma_f32 v[136:137], v[138:139], v[126:127], v[154:155] op_sel_hi:[1,0,1]
	v_pk_fma_f32 v[126:127], v[138:139], v[126:127], v[154:155] neg_lo:[0,0,1] neg_hi:[0,0,1]
	v_pk_mul_f32 v[156:157], v[156:157], v[160:161] op_sel_hi:[1,0]
	v_pk_fma_f32 v[128:129], v[140:141], v[128:129], v[164:165] neg_lo:[0,0,1] neg_hi:[0,0,1]
	v_pk_add_f32 v[124:125], v[124:125], 0 op_sel_hi:[1,0]
	v_dual_mov_b32 v127, v137 :: v_dual_mov_b32 v136, v135
	s_delay_alu instid0(VALU_DEP_4) | instskip(SKIP_2) | instid1(VALU_DEP_4)
	v_pk_fma_f32 v[138:139], v[142:143], v[130:131], v[156:157] op_sel_hi:[1,0,1]
	v_mov_b32_e32 v129, v159
	v_pk_fma_f32 v[130:131], v[142:143], v[130:131], v[156:157] neg_lo:[0,0,1] neg_hi:[0,0,1]
	v_pk_add_f32 v[124:125], v[124:125], v[126:127]
	v_pk_fma_f32 v[126:127], v[144:145], v[132:133], v[168:169] op_sel_hi:[1,0,1]
	v_pk_mul_f32 v[136:137], v[162:163], v[136:137] op_sel_hi:[1,0]
	v_mov_b32_e32 v131, v139
	s_delay_alu instid0(VALU_DEP_4)
	v_pk_add_f32 v[124:125], v[124:125], v[128:129]
	v_pk_fma_f32 v[128:129], v[144:145], v[132:133], v[168:169] neg_lo:[0,0,1] neg_hi:[0,0,1]
	v_mov_b32_e32 v129, v127
	v_pk_fma_f32 v[126:127], v[146:147], v[134:135], v[136:137] op_sel_hi:[1,0,1]
	v_pk_fma_f32 v[132:133], v[146:147], v[134:135], v[136:137] neg_lo:[0,0,1] neg_hi:[0,0,1]
	v_pk_add_f32 v[124:125], v[124:125], v[130:131]
	s_wait_loadcnt_dscnt 0x100
	v_pk_mul_f32 v[130:131], v[152:153], v[148:149] op_sel:[1,1] op_sel_hi:[0,1]
	v_mov_b32_e32 v133, v127
	s_delay_alu instid0(VALU_DEP_3) | instskip(NEXT) | instid1(VALU_DEP_3)
	v_pk_add_f32 v[124:125], v[124:125], v[128:129]
	v_pk_fma_f32 v[126:127], v[152:153], v[148:149], v[130:131] op_sel_hi:[1,0,1]
	v_pk_fma_f32 v[128:129], v[152:153], v[148:149], v[130:131] neg_lo:[0,0,1] neg_hi:[0,0,1]
	s_delay_alu instid0(VALU_DEP_3) | instskip(NEXT) | instid1(VALU_DEP_3)
	v_pk_add_f32 v[124:125], v[124:125], v[132:133]
	v_mov_b32_e32 v129, v127
	s_delay_alu instid0(VALU_DEP_1) | instskip(SKIP_1) | instid1(VALU_DEP_1)
	v_pk_add_f32 v[124:125], v[124:125], v[128:129]
	s_wait_loadcnt 0x0
	v_pk_add_f32 v[124:125], v[150:151], v[124:125] neg_lo:[0,1] neg_hi:[0,1]
	scratch_store_b64 off, v[124:125], off offset:424
	s_wait_xcnt 0x0
	v_cmpx_lt_u32_e32 52, v0
	s_cbranch_execz .LBB60_275
; %bb.274:
	scratch_load_b64 v[124:125], off, off offset:416
	v_mov_b64_e32 v[126:127], 0
	scratch_store_b64 off, v[126:127], off offset:416
	s_wait_loadcnt 0x0
	ds_store_b64 v1, v[124:125]
.LBB60_275:
	s_wait_xcnt 0x0
	s_or_b32 exec_lo, exec_lo, s0
	s_wait_storecnt_dscnt 0x0
	s_barrier_signal -1
	s_barrier_wait -1
	s_clause 0x4
	scratch_load_b128 v[124:127], off, off offset:424
	scratch_load_b128 v[128:131], off, off offset:440
	;; [unrolled: 1-line block ×4, first 2 shown]
	scratch_load_b64 v[156:157], off, off offset:416
	ds_load_2addr_b64 v[140:143], v7 offset0:115 offset1:116
	ds_load_2addr_b64 v[144:147], v7 offset0:117 offset1:118
	;; [unrolled: 1-line block ×4, first 2 shown]
	s_mov_b32 s0, exec_lo
	s_wait_dscnt 0x3
	v_dual_mov_b32 v158, v143 :: v_dual_mov_b32 v159, v142
	s_wait_dscnt 0x2
	v_dual_mov_b32 v160, v147 :: v_dual_mov_b32 v161, v146
	;; [unrolled: 2-line block ×3, first 2 shown]
	v_dual_mov_b32 v163, v150 :: v_dual_mov_b32 v168, v155
	s_wait_loadcnt 0x4
	v_mov_b32_e32 v166, v127
	v_pk_mul_f32 v[164:165], v[140:141], v[124:125] op_sel:[1,1] op_sel_hi:[0,1]
	s_wait_loadcnt 0x3
	v_pk_mul_f32 v[170:171], v[144:145], v[128:129] op_sel:[1,1] op_sel_hi:[0,1]
	s_wait_loadcnt 0x2
	v_pk_mul_f32 v[174:175], v[148:149], v[132:133] op_sel:[1,1] op_sel_hi:[0,1]
	v_pk_mul_f32 v[158:159], v[158:159], v[166:167] op_sel_hi:[1,0]
	v_pk_fma_f32 v[172:173], v[140:141], v[124:125], v[164:165] op_sel_hi:[1,0,1]
	v_pk_fma_f32 v[124:125], v[140:141], v[124:125], v[164:165] neg_lo:[0,0,1] neg_hi:[0,0,1]
	v_mov_b32_e32 v166, v131
	v_pk_fma_f32 v[164:165], v[144:145], v[128:129], v[170:171] op_sel_hi:[1,0,1]
	v_pk_fma_f32 v[140:141], v[142:143], v[126:127], v[158:159] op_sel_hi:[1,0,1]
	v_mov_b32_e32 v125, v173
	v_pk_fma_f32 v[126:127], v[142:143], v[126:127], v[158:159] neg_lo:[0,0,1] neg_hi:[0,0,1]
	v_pk_mul_f32 v[160:161], v[160:161], v[166:167] op_sel_hi:[1,0]
	s_delay_alu instid0(VALU_DEP_4) | instskip(NEXT) | instid1(VALU_DEP_4)
	v_dual_mov_b32 v140, v135 :: v_dual_mov_b32 v127, v141
	v_pk_add_f32 v[124:125], v[124:125], 0 op_sel_hi:[1,0]
	v_pk_fma_f32 v[128:129], v[144:145], v[128:129], v[170:171] neg_lo:[0,0,1] neg_hi:[0,0,1]
	v_mov_b32_e32 v129, v165
	v_pk_fma_f32 v[142:143], v[146:147], v[130:131], v[160:161] op_sel_hi:[1,0,1]
	v_pk_mul_f32 v[140:141], v[162:163], v[140:141] op_sel_hi:[1,0]
	v_pk_add_f32 v[124:125], v[124:125], v[126:127]
	v_pk_fma_f32 v[126:127], v[148:149], v[132:133], v[174:175] op_sel_hi:[1,0,1]
	v_pk_fma_f32 v[130:131], v[146:147], v[130:131], v[160:161] neg_lo:[0,0,1] neg_hi:[0,0,1]
	v_mov_b32_e32 v131, v143
	v_pk_fma_f32 v[132:133], v[148:149], v[132:133], v[174:175] neg_lo:[0,0,1] neg_hi:[0,0,1]
	v_pk_add_f32 v[124:125], v[124:125], v[128:129]
	v_mov_b32_e32 v133, v127
	v_pk_fma_f32 v[126:127], v[150:151], v[134:135], v[140:141] op_sel_hi:[1,0,1]
	s_wait_loadcnt 0x1
	v_pk_mul_f32 v[128:129], v[152:153], v[136:137] op_sel:[1,1] op_sel_hi:[0,1]
	v_mov_b32_e32 v126, v139
	v_pk_add_f32 v[124:125], v[124:125], v[130:131]
	v_pk_fma_f32 v[134:135], v[150:151], v[134:135], v[140:141] neg_lo:[0,0,1] neg_hi:[0,0,1]
	v_mov_b32_e32 v135, v127
	v_pk_fma_f32 v[130:131], v[152:153], v[136:137], v[128:129] op_sel_hi:[1,0,1]
	v_pk_mul_f32 v[126:127], v[168:169], v[126:127] op_sel_hi:[1,0]
	v_pk_add_f32 v[124:125], v[124:125], v[132:133]
	v_pk_fma_f32 v[128:129], v[152:153], v[136:137], v[128:129] neg_lo:[0,0,1] neg_hi:[0,0,1]
	s_delay_alu instid0(VALU_DEP_4) | instskip(NEXT) | instid1(VALU_DEP_4)
	v_mov_b32_e32 v129, v131
	v_pk_fma_f32 v[130:131], v[154:155], v[138:139], v[126:127] op_sel_hi:[1,0,1]
	s_delay_alu instid0(VALU_DEP_4) | instskip(SKIP_1) | instid1(VALU_DEP_3)
	v_pk_add_f32 v[124:125], v[124:125], v[134:135]
	v_pk_fma_f32 v[126:127], v[154:155], v[138:139], v[126:127] neg_lo:[0,0,1] neg_hi:[0,0,1]
	v_mov_b32_e32 v127, v131
	s_delay_alu instid0(VALU_DEP_3) | instskip(NEXT) | instid1(VALU_DEP_1)
	v_pk_add_f32 v[124:125], v[124:125], v[128:129]
	v_pk_add_f32 v[124:125], v[124:125], v[126:127]
	s_wait_loadcnt 0x0
	s_delay_alu instid0(VALU_DEP_1)
	v_pk_add_f32 v[124:125], v[156:157], v[124:125] neg_lo:[0,1] neg_hi:[0,1]
	scratch_store_b64 off, v[124:125], off offset:416
	s_wait_xcnt 0x0
	v_cmpx_lt_u32_e32 51, v0
	s_cbranch_execz .LBB60_277
; %bb.276:
	scratch_load_b64 v[124:125], off, off offset:408
	v_mov_b64_e32 v[126:127], 0
	scratch_store_b64 off, v[126:127], off offset:408
	s_wait_loadcnt 0x0
	ds_store_b64 v1, v[124:125]
.LBB60_277:
	s_wait_xcnt 0x0
	s_or_b32 exec_lo, exec_lo, s0
	s_wait_storecnt_dscnt 0x0
	s_barrier_signal -1
	s_barrier_wait -1
	s_clause 0x5
	scratch_load_b128 v[124:127], off, off offset:416
	scratch_load_b128 v[128:131], off, off offset:432
	;; [unrolled: 1-line block ×4, first 2 shown]
	scratch_load_b64 v[156:157], off, off offset:480
	scratch_load_b64 v[158:159], off, off offset:408
	v_mov_b32_e32 v7, 0
	ds_load_b128 v[140:143], v7 offset:912
	ds_load_b128 v[144:147], v7 offset:928
	;; [unrolled: 1-line block ×4, first 2 shown]
	ds_load_b64 v[160:161], v7 offset:976
	s_mov_b32 s0, exec_lo
	s_wait_dscnt 0x4
	v_dual_mov_b32 v162, v143 :: v_dual_mov_b32 v163, v142
	s_wait_dscnt 0x1
	v_dual_mov_b32 v164, v147 :: v_dual_mov_b32 v169, v154
	v_dual_mov_b32 v165, v146 :: v_dual_mov_b32 v166, v151
	;; [unrolled: 1-line block ×3, first 2 shown]
	s_wait_loadcnt 0x5
	v_dual_mov_b32 v170, v127 :: v_dual_mul_f32 v171, v140, v125
	v_mul_f32_e32 v9, v141, v125
	s_wait_loadcnt 0x4
	v_pk_mul_f32 v[172:173], v[144:145], v[128:129] op_sel:[1,1] op_sel_hi:[0,1]
	v_mov_b32_e32 v174, v131
	s_wait_loadcnt 0x3
	v_pk_mul_f32 v[176:177], v[148:149], v[132:133] op_sel:[1,1] op_sel_hi:[0,1]
	v_pk_mul_f32 v[162:163], v[162:163], v[170:171] op_sel_hi:[1,0]
	v_dual_fmac_f32 v171, v141, v124 :: v_dual_fma_f32 v170, v140, v124, -v9
	v_mov_b32_e32 v124, v135
	v_pk_fma_f32 v[178:179], v[144:145], v[128:129], v[172:173] op_sel_hi:[1,0,1]
	s_delay_alu instid0(VALU_DEP_4)
	v_pk_fma_f32 v[140:141], v[142:143], v[126:127], v[162:163] op_sel_hi:[1,0,1]
	v_pk_fma_f32 v[126:127], v[142:143], v[126:127], v[162:163] neg_lo:[0,0,1] neg_hi:[0,0,1]
	v_pk_mul_f32 v[164:165], v[164:165], v[174:175] op_sel_hi:[1,0]
	v_pk_add_f32 v[170:171], v[170:171], 0 op_sel_hi:[1,0]
	v_pk_fma_f32 v[128:129], v[144:145], v[128:129], v[172:173] neg_lo:[0,0,1] neg_hi:[0,0,1]
	v_dual_mov_b32 v127, v141 :: v_dual_mov_b32 v129, v179
	s_delay_alu instid0(VALU_DEP_4) | instskip(SKIP_2) | instid1(VALU_DEP_4)
	v_pk_fma_f32 v[142:143], v[146:147], v[130:131], v[164:165] op_sel_hi:[1,0,1]
	v_pk_fma_f32 v[130:131], v[146:147], v[130:131], v[164:165] neg_lo:[0,0,1] neg_hi:[0,0,1]
	v_pk_fma_f32 v[144:145], v[148:149], v[132:133], v[176:177] op_sel_hi:[1,0,1]
	v_pk_add_f32 v[126:127], v[170:171], v[126:127]
	v_pk_mul_f32 v[124:125], v[166:167], v[124:125] op_sel_hi:[1,0]
	v_mov_b32_e32 v131, v143
	v_pk_fma_f32 v[132:133], v[148:149], v[132:133], v[176:177] neg_lo:[0,0,1] neg_hi:[0,0,1]
	s_wait_loadcnt 0x2
	v_pk_mul_f32 v[140:141], v[152:153], v[136:137] op_sel:[1,1] op_sel_hi:[0,1]
	v_pk_add_f32 v[126:127], v[126:127], v[128:129]
	v_mov_b32_e32 v128, v139
	v_pk_fma_f32 v[142:143], v[150:151], v[134:135], v[124:125] op_sel_hi:[1,0,1]
	v_mov_b32_e32 v133, v145
	v_pk_fma_f32 v[124:125], v[150:151], v[134:135], v[124:125] neg_lo:[0,0,1] neg_hi:[0,0,1]
	v_pk_add_f32 v[126:127], v[126:127], v[130:131]
	v_pk_fma_f32 v[130:131], v[152:153], v[136:137], v[140:141] op_sel_hi:[1,0,1]
	v_pk_mul_f32 v[128:129], v[168:169], v[128:129] op_sel_hi:[1,0]
	v_mov_b32_e32 v125, v143
	s_delay_alu instid0(VALU_DEP_4)
	v_pk_add_f32 v[126:127], v[126:127], v[132:133]
	v_pk_fma_f32 v[132:133], v[152:153], v[136:137], v[140:141] neg_lo:[0,0,1] neg_hi:[0,0,1]
	v_mov_b32_e32 v133, v131
	v_pk_fma_f32 v[130:131], v[154:155], v[138:139], v[128:129] op_sel_hi:[1,0,1]
	v_pk_fma_f32 v[128:129], v[154:155], v[138:139], v[128:129] neg_lo:[0,0,1] neg_hi:[0,0,1]
	v_pk_add_f32 v[124:125], v[126:127], v[124:125]
	s_wait_loadcnt_dscnt 0x100
	v_pk_mul_f32 v[126:127], v[160:161], v[156:157] op_sel:[1,1] op_sel_hi:[0,1]
	v_mov_b32_e32 v129, v131
	s_delay_alu instid0(VALU_DEP_3) | instskip(NEXT) | instid1(VALU_DEP_3)
	v_pk_add_f32 v[124:125], v[124:125], v[132:133]
	v_pk_fma_f32 v[130:131], v[160:161], v[156:157], v[126:127] op_sel_hi:[1,0,1]
	v_pk_fma_f32 v[126:127], v[160:161], v[156:157], v[126:127] neg_lo:[0,0,1] neg_hi:[0,0,1]
	s_delay_alu instid0(VALU_DEP_3) | instskip(NEXT) | instid1(VALU_DEP_3)
	v_pk_add_f32 v[124:125], v[124:125], v[128:129]
	v_mov_b32_e32 v127, v131
	s_delay_alu instid0(VALU_DEP_1) | instskip(SKIP_1) | instid1(VALU_DEP_1)
	v_pk_add_f32 v[124:125], v[124:125], v[126:127]
	s_wait_loadcnt 0x0
	v_pk_add_f32 v[124:125], v[158:159], v[124:125] neg_lo:[0,1] neg_hi:[0,1]
	scratch_store_b64 off, v[124:125], off offset:408
	s_wait_xcnt 0x0
	v_cmpx_lt_u32_e32 50, v0
	s_cbranch_execz .LBB60_279
; %bb.278:
	scratch_load_b64 v[124:125], off, off offset:400
	v_mov_b64_e32 v[126:127], 0
	scratch_store_b64 off, v[126:127], off offset:400
	s_wait_loadcnt 0x0
	ds_store_b64 v1, v[124:125]
.LBB60_279:
	s_wait_xcnt 0x0
	s_or_b32 exec_lo, exec_lo, s0
	s_wait_storecnt_dscnt 0x0
	s_barrier_signal -1
	s_barrier_wait -1
	s_clause 0x5
	scratch_load_b128 v[124:127], off, off offset:408
	scratch_load_b128 v[128:131], off, off offset:424
	;; [unrolled: 1-line block ×5, first 2 shown]
	scratch_load_b64 v[164:165], off, off offset:400
	ds_load_2addr_b64 v[144:147], v7 offset0:115 offset1:116
	ds_load_2addr_b64 v[148:151], v7 offset0:117 offset1:118
	;; [unrolled: 1-line block ×5, first 2 shown]
	s_mov_b32 s0, exec_lo
	s_wait_dscnt 0x4
	v_dual_mov_b32 v166, v147 :: v_dual_mov_b32 v167, v146
	s_wait_dscnt 0x3
	v_dual_mov_b32 v168, v151 :: v_dual_mov_b32 v169, v150
	;; [unrolled: 2-line block ×4, first 2 shown]
	s_wait_loadcnt_dscnt 0x500
	v_dual_mul_f32 v175, v160, v125 :: v_dual_mul_f32 v177, v162, v127
	v_dual_mul_f32 v7, v161, v125 :: v_dual_mul_f32 v9, v163, v127
	s_wait_loadcnt 0x4
	v_pk_mul_f32 v[178:179], v[144:145], v[128:129] op_sel:[1,1] op_sel_hi:[0,1]
	s_wait_loadcnt 0x3
	v_dual_mov_b32 v180, v131 :: v_dual_mov_b32 v184, v135
	v_dual_fmac_f32 v175, v161, v124 :: v_dual_fmac_f32 v177, v163, v126
	v_dual_fma_f32 v174, v160, v124, -v7 :: v_dual_fma_f32 v176, v162, v126, -v9
	v_pk_fma_f32 v[124:125], v[144:145], v[128:129], v[178:179] op_sel_hi:[1,0,1]
	s_delay_alu instid0(VALU_DEP_4) | instskip(SKIP_1) | instid1(VALU_DEP_4)
	v_pk_mul_f32 v[126:127], v[166:167], v[180:181] op_sel_hi:[1,0]
	v_pk_fma_f32 v[128:129], v[144:145], v[128:129], v[178:179] neg_lo:[0,0,1] neg_hi:[0,0,1]
	v_pk_add_f32 v[160:161], v[174:175], 0 op_sel_hi:[1,0]
	v_pk_mul_f32 v[182:183], v[148:149], v[132:133] op_sel:[1,1] op_sel_hi:[0,1]
	v_mov_b32_e32 v129, v125
	v_pk_fma_f32 v[124:125], v[146:147], v[130:131], v[126:127] op_sel_hi:[1,0,1]
	v_pk_fma_f32 v[126:127], v[146:147], v[130:131], v[126:127] neg_lo:[0,0,1] neg_hi:[0,0,1]
	v_pk_add_f32 v[144:145], v[160:161], v[176:177]
	v_pk_fma_f32 v[160:161], v[148:149], v[132:133], v[182:183] op_sel_hi:[1,0,1]
	v_pk_mul_f32 v[166:167], v[168:169], v[184:185] op_sel_hi:[1,0]
	v_mov_b32_e32 v127, v125
	s_wait_loadcnt 0x2
	v_pk_mul_f32 v[162:163], v[152:153], v[136:137] op_sel:[1,1] op_sel_hi:[0,1]
	v_pk_add_f32 v[124:125], v[144:145], v[128:129]
	v_mov_b32_e32 v128, v139
	v_pk_fma_f32 v[130:131], v[148:149], v[132:133], v[182:183] neg_lo:[0,0,1] neg_hi:[0,0,1]
	v_mov_b32_e32 v131, v161
	v_pk_fma_f32 v[132:133], v[150:151], v[134:135], v[166:167] op_sel_hi:[1,0,1]
	v_pk_add_f32 v[124:125], v[124:125], v[126:127]
	v_pk_fma_f32 v[126:127], v[152:153], v[136:137], v[162:163] op_sel_hi:[1,0,1]
	v_pk_mul_f32 v[128:129], v[170:171], v[128:129] op_sel_hi:[1,0]
	v_pk_fma_f32 v[134:135], v[150:151], v[134:135], v[166:167] neg_lo:[0,0,1] neg_hi:[0,0,1]
	v_mov_b32_e32 v135, v133
	v_pk_add_f32 v[124:125], v[124:125], v[130:131]
	v_pk_fma_f32 v[132:133], v[152:153], v[136:137], v[162:163] neg_lo:[0,0,1] neg_hi:[0,0,1]
	v_mov_b32_e32 v133, v127
	v_pk_fma_f32 v[126:127], v[154:155], v[138:139], v[128:129] op_sel_hi:[1,0,1]
	s_wait_loadcnt 0x1
	v_pk_mul_f32 v[130:131], v[156:157], v[140:141] op_sel:[1,1] op_sel_hi:[0,1]
	v_pk_add_f32 v[124:125], v[124:125], v[134:135]
	v_mov_b32_e32 v126, v143
	v_pk_fma_f32 v[128:129], v[154:155], v[138:139], v[128:129] neg_lo:[0,0,1] neg_hi:[0,0,1]
	v_mov_b32_e32 v129, v127
	v_pk_fma_f32 v[134:135], v[156:157], v[140:141], v[130:131] op_sel_hi:[1,0,1]
	v_pk_add_f32 v[124:125], v[124:125], v[132:133]
	v_pk_mul_f32 v[126:127], v[172:173], v[126:127] op_sel_hi:[1,0]
	v_pk_fma_f32 v[130:131], v[156:157], v[140:141], v[130:131] neg_lo:[0,0,1] neg_hi:[0,0,1]
	s_delay_alu instid0(VALU_DEP_3) | instskip(NEXT) | instid1(VALU_DEP_3)
	v_pk_add_f32 v[124:125], v[124:125], v[128:129]
	v_pk_fma_f32 v[128:129], v[158:159], v[142:143], v[126:127] op_sel_hi:[1,0,1]
	v_mov_b32_e32 v131, v135
	v_pk_fma_f32 v[126:127], v[158:159], v[142:143], v[126:127] neg_lo:[0,0,1] neg_hi:[0,0,1]
	s_delay_alu instid0(VALU_DEP_3) | instskip(NEXT) | instid1(VALU_DEP_3)
	v_mov_b32_e32 v127, v129
	v_pk_add_f32 v[124:125], v[124:125], v[130:131]
	s_delay_alu instid0(VALU_DEP_1) | instskip(SKIP_1) | instid1(VALU_DEP_1)
	v_pk_add_f32 v[124:125], v[124:125], v[126:127]
	s_wait_loadcnt 0x0
	v_pk_add_f32 v[124:125], v[164:165], v[124:125] neg_lo:[0,1] neg_hi:[0,1]
	scratch_store_b64 off, v[124:125], off offset:400
	s_wait_xcnt 0x0
	v_cmpx_lt_u32_e32 49, v0
	s_cbranch_execz .LBB60_281
; %bb.280:
	scratch_load_b64 v[124:125], off, off offset:392
	v_mov_b64_e32 v[126:127], 0
	scratch_store_b64 off, v[126:127], off offset:392
	s_wait_loadcnt 0x0
	ds_store_b64 v1, v[124:125]
.LBB60_281:
	s_wait_xcnt 0x0
	s_or_b32 exec_lo, exec_lo, s0
	s_wait_storecnt_dscnt 0x0
	s_barrier_signal -1
	s_barrier_wait -1
	s_clause 0x6
	scratch_load_b128 v[124:127], off, off offset:400
	scratch_load_b128 v[128:131], off, off offset:416
	;; [unrolled: 1-line block ×5, first 2 shown]
	scratch_load_b64 v[164:165], off, off offset:480
	scratch_load_b64 v[166:167], off, off offset:392
	v_mov_b32_e32 v7, 0
	ds_load_b128 v[144:147], v7 offset:912
	ds_load_b128 v[148:151], v7 offset:928
	;; [unrolled: 1-line block ×5, first 2 shown]
	ds_load_b64 v[168:169], v7 offset:976
	s_mov_b32 s0, exec_lo
	s_wait_dscnt 0x5
	v_dual_mov_b32 v170, v147 :: v_dual_mov_b32 v171, v146
	s_wait_dscnt 0x2
	v_dual_mov_b32 v172, v151 :: v_dual_mov_b32 v177, v158
	v_dual_mov_b32 v173, v150 :: v_dual_mov_b32 v174, v155
	;; [unrolled: 1-line block ×3, first 2 shown]
	s_wait_loadcnt_dscnt 0x601
	v_dual_mul_f32 v9, v160, v125 :: v_dual_mul_f32 v11, v161, v125
	v_dual_mul_f32 v13, v163, v127 :: v_dual_mul_f32 v179, v162, v127
	s_wait_loadcnt 0x5
	v_dual_mul_f32 v181, v144, v129 :: v_dual_mul_f32 v15, v145, v129
	s_wait_loadcnt 0x4
	v_dual_mov_b32 v180, v131 :: v_dual_mov_b32 v184, v135
	v_dual_fmac_f32 v9, v161, v124 :: v_dual_fma_f32 v11, v160, v124, -v11
	v_dual_fma_f32 v178, v162, v126, -v13 :: v_dual_fmac_f32 v179, v163, v126
	s_delay_alu instid0(VALU_DEP_3) | instskip(NEXT) | instid1(VALU_DEP_3)
	v_pk_mul_f32 v[124:125], v[170:171], v[180:181] op_sel_hi:[1,0]
	v_dual_add_f32 v127, 0, v9 :: v_dual_add_f32 v126, 0, v11
	s_wait_loadcnt 0x3
	v_mov_b32_e32 v160, v139
	v_pk_mul_f32 v[182:183], v[148:149], v[132:133] op_sel:[1,1] op_sel_hi:[0,1]
	v_dual_fmac_f32 v181, v145, v128 :: v_dual_fma_f32 v180, v144, v128, -v15
	v_pk_fma_f32 v[128:129], v[146:147], v[130:131], v[124:125] op_sel_hi:[1,0,1]
	v_pk_add_f32 v[126:127], v[126:127], v[178:179]
	v_pk_fma_f32 v[124:125], v[146:147], v[130:131], v[124:125] neg_lo:[0,0,1] neg_hi:[0,0,1]
	v_pk_fma_f32 v[144:145], v[148:149], v[132:133], v[182:183] op_sel_hi:[1,0,1]
	v_pk_mul_f32 v[162:163], v[172:173], v[184:185] op_sel_hi:[1,0]
	v_mov_b32_e32 v125, v129
	v_pk_add_f32 v[126:127], v[126:127], v[180:181]
	v_pk_fma_f32 v[130:131], v[148:149], v[132:133], v[182:183] neg_lo:[0,0,1] neg_hi:[0,0,1]
	v_pk_mul_f32 v[186:187], v[152:153], v[136:137] op_sel:[1,1] op_sel_hi:[0,1]
	v_mov_b32_e32 v131, v145
	v_pk_fma_f32 v[132:133], v[150:151], v[134:135], v[162:163] op_sel_hi:[1,0,1]
	v_pk_add_f32 v[124:125], v[126:127], v[124:125]
	v_pk_fma_f32 v[134:135], v[150:151], v[134:135], v[162:163] neg_lo:[0,0,1] neg_hi:[0,0,1]
	v_pk_fma_f32 v[126:127], v[152:153], v[136:137], v[186:187] op_sel_hi:[1,0,1]
	v_pk_mul_f32 v[144:145], v[174:175], v[160:161] op_sel_hi:[1,0]
	s_wait_loadcnt 0x2
	v_dual_mov_b32 v135, v133 :: v_dual_mov_b32 v126, v143
	v_pk_add_f32 v[124:125], v[124:125], v[130:131]
	v_pk_fma_f32 v[130:131], v[152:153], v[136:137], v[186:187] neg_lo:[0,0,1] neg_hi:[0,0,1]
	v_pk_mul_f32 v[128:129], v[156:157], v[140:141] op_sel:[1,1] op_sel_hi:[0,1]
	v_pk_fma_f32 v[132:133], v[154:155], v[138:139], v[144:145] op_sel_hi:[1,0,1]
	v_mov_b32_e32 v131, v127
	v_pk_add_f32 v[124:125], v[124:125], v[134:135]
	v_pk_fma_f32 v[136:137], v[154:155], v[138:139], v[144:145] neg_lo:[0,0,1] neg_hi:[0,0,1]
	v_pk_fma_f32 v[134:135], v[156:157], v[140:141], v[128:129] op_sel_hi:[1,0,1]
	v_pk_mul_f32 v[126:127], v[176:177], v[126:127] op_sel_hi:[1,0]
	v_mov_b32_e32 v137, v133
	v_pk_add_f32 v[124:125], v[124:125], v[130:131]
	v_pk_fma_f32 v[128:129], v[156:157], v[140:141], v[128:129] neg_lo:[0,0,1] neg_hi:[0,0,1]
	s_wait_loadcnt_dscnt 0x100
	v_pk_mul_f32 v[132:133], v[168:169], v[164:165] op_sel:[1,1] op_sel_hi:[0,1]
	v_pk_fma_f32 v[130:131], v[158:159], v[142:143], v[126:127] op_sel_hi:[1,0,1]
	v_mov_b32_e32 v129, v135
	v_pk_add_f32 v[124:125], v[124:125], v[136:137]
	v_pk_fma_f32 v[126:127], v[158:159], v[142:143], v[126:127] neg_lo:[0,0,1] neg_hi:[0,0,1]
	s_delay_alu instid0(VALU_DEP_4) | instskip(SKIP_1) | instid1(VALU_DEP_4)
	v_mov_b32_e32 v127, v131
	v_pk_fma_f32 v[130:131], v[168:169], v[164:165], v[132:133] neg_lo:[0,0,1] neg_hi:[0,0,1]
	v_pk_add_f32 v[124:125], v[124:125], v[128:129]
	v_pk_fma_f32 v[128:129], v[168:169], v[164:165], v[132:133] op_sel_hi:[1,0,1]
	s_delay_alu instid0(VALU_DEP_2) | instskip(NEXT) | instid1(VALU_DEP_2)
	v_pk_add_f32 v[124:125], v[124:125], v[126:127]
	v_mov_b32_e32 v131, v129
	s_delay_alu instid0(VALU_DEP_1) | instskip(SKIP_1) | instid1(VALU_DEP_1)
	v_pk_add_f32 v[124:125], v[124:125], v[130:131]
	s_wait_loadcnt 0x0
	v_pk_add_f32 v[124:125], v[166:167], v[124:125] neg_lo:[0,1] neg_hi:[0,1]
	scratch_store_b64 off, v[124:125], off offset:392
	s_wait_xcnt 0x0
	v_cmpx_lt_u32_e32 48, v0
	s_cbranch_execz .LBB60_283
; %bb.282:
	scratch_load_b64 v[124:125], off, off offset:384
	v_mov_b64_e32 v[126:127], 0
	scratch_store_b64 off, v[126:127], off offset:384
	s_wait_loadcnt 0x0
	ds_store_b64 v1, v[124:125]
.LBB60_283:
	s_wait_xcnt 0x0
	s_or_b32 exec_lo, exec_lo, s0
	s_wait_storecnt_dscnt 0x0
	s_barrier_signal -1
	s_barrier_wait -1
	s_clause 0x6
	scratch_load_b128 v[124:127], off, off offset:392
	scratch_load_b128 v[128:131], off, off offset:408
	;; [unrolled: 1-line block ×6, first 2 shown]
	scratch_load_b64 v[172:173], off, off offset:384
	ds_load_2addr_b64 v[148:151], v7 offset0:115 offset1:116
	ds_load_2addr_b64 v[152:155], v7 offset0:117 offset1:118
	;; [unrolled: 1-line block ×6, first 2 shown]
	s_mov_b32 s0, exec_lo
	s_wait_dscnt 0x5
	v_dual_mov_b32 v174, v151 :: v_dual_mov_b32 v175, v150
	s_wait_dscnt 0x4
	v_dual_mov_b32 v176, v155 :: v_dual_mov_b32 v177, v154
	;; [unrolled: 2-line block ×4, first 2 shown]
	s_wait_loadcnt_dscnt 0x601
	v_dual_mul_f32 v7, v164, v125 :: v_dual_mul_f32 v9, v166, v127
	v_dual_mul_f32 v11, v165, v125 :: v_dual_mul_f32 v13, v167, v127
	s_wait_loadcnt 0x4
	s_delay_alu instid0(VALU_DEP_2)
	v_dual_mov_b32 v188, v135 :: v_dual_fmac_f32 v7, v165, v124
	s_wait_dscnt 0x0
	v_dual_mul_f32 v183, v168, v129 :: v_dual_mul_f32 v185, v170, v131
	v_dual_fma_f32 v11, v164, v124, -v11 :: v_dual_fmac_f32 v9, v167, v126
	v_dual_mul_f32 v15, v169, v129 :: v_dual_mul_f32 v17, v171, v131
	v_dual_fma_f32 v13, v166, v126, -v13 :: v_dual_add_f32 v7, 0, v7
	s_wait_loadcnt 0x3
	s_delay_alu instid0(VALU_DEP_3) | instskip(SKIP_3) | instid1(VALU_DEP_4)
	v_dual_add_f32 v11, 0, v11 :: v_dual_mov_b32 v126, v139
	v_pk_mul_f32 v[186:187], v[148:149], v[132:133] op_sel:[1,1] op_sel_hi:[0,1]
	v_pk_mul_f32 v[124:125], v[152:153], v[136:137] op_sel:[1,1] op_sel_hi:[0,1]
	v_dual_fmac_f32 v183, v169, v128 :: v_dual_add_f32 v129, v7, v9
	v_dual_fma_f32 v182, v168, v128, -v15 :: v_dual_add_f32 v128, v11, v13
	v_fmac_f32_e32 v185, v171, v130
	v_fma_f32 v184, v170, v130, -v17
	v_pk_fma_f32 v[130:131], v[148:149], v[132:133], v[186:187] op_sel_hi:[1,0,1]
	v_pk_mul_f32 v[164:165], v[174:175], v[188:189] op_sel_hi:[1,0]
	v_pk_add_f32 v[128:129], v[128:129], v[182:183]
	v_pk_fma_f32 v[132:133], v[148:149], v[132:133], v[186:187] neg_lo:[0,0,1] neg_hi:[0,0,1]
	v_pk_fma_f32 v[148:149], v[152:153], v[136:137], v[124:125] op_sel_hi:[1,0,1]
	v_pk_fma_f32 v[124:125], v[152:153], v[136:137], v[124:125] neg_lo:[0,0,1] neg_hi:[0,0,1]
	v_mov_b32_e32 v133, v131
	v_pk_fma_f32 v[130:131], v[150:151], v[134:135], v[164:165] op_sel_hi:[1,0,1]
	v_pk_fma_f32 v[134:135], v[150:151], v[134:135], v[164:165] neg_lo:[0,0,1] neg_hi:[0,0,1]
	v_mov_b32_e32 v125, v149
	v_pk_add_f32 v[128:129], v[128:129], v[184:185]
	v_pk_mul_f32 v[126:127], v[176:177], v[126:127] op_sel_hi:[1,0]
	s_wait_loadcnt 0x2
	v_dual_mov_b32 v135, v131 :: v_dual_mov_b32 v130, v143
	v_pk_mul_f32 v[166:167], v[156:157], v[140:141] op_sel:[1,1] op_sel_hi:[0,1]
	v_pk_add_f32 v[128:129], v[128:129], v[132:133]
	v_pk_fma_f32 v[132:133], v[154:155], v[138:139], v[126:127] op_sel_hi:[1,0,1]
	v_pk_fma_f32 v[126:127], v[154:155], v[138:139], v[126:127] neg_lo:[0,0,1] neg_hi:[0,0,1]
	v_pk_mul_f32 v[130:131], v[178:179], v[130:131] op_sel_hi:[1,0]
	s_delay_alu instid0(VALU_DEP_4) | instskip(SKIP_3) | instid1(VALU_DEP_4)
	v_pk_add_f32 v[128:129], v[128:129], v[134:135]
	v_pk_fma_f32 v[134:135], v[156:157], v[140:141], v[166:167] op_sel_hi:[1,0,1]
	v_mov_b32_e32 v127, v133
	v_pk_fma_f32 v[132:133], v[156:157], v[140:141], v[166:167] neg_lo:[0,0,1] neg_hi:[0,0,1]
	v_pk_add_f32 v[124:125], v[128:129], v[124:125]
	s_wait_loadcnt 0x1
	v_pk_mul_f32 v[128:129], v[160:161], v[144:145] op_sel:[1,1] op_sel_hi:[0,1]
	v_mov_b32_e32 v133, v135
	v_pk_fma_f32 v[134:135], v[158:159], v[142:143], v[130:131] op_sel_hi:[1,0,1]
	v_pk_fma_f32 v[130:131], v[158:159], v[142:143], v[130:131] neg_lo:[0,0,1] neg_hi:[0,0,1]
	v_pk_add_f32 v[124:125], v[124:125], v[126:127]
	v_mov_b32_e32 v126, v147
	v_pk_fma_f32 v[136:137], v[160:161], v[144:145], v[128:129] op_sel_hi:[1,0,1]
	v_mov_b32_e32 v131, v135
	v_pk_fma_f32 v[128:129], v[160:161], v[144:145], v[128:129] neg_lo:[0,0,1] neg_hi:[0,0,1]
	v_pk_add_f32 v[124:125], v[124:125], v[132:133]
	v_pk_mul_f32 v[126:127], v[180:181], v[126:127] op_sel_hi:[1,0]
	s_delay_alu instid0(VALU_DEP_2) | instskip(NEXT) | instid1(VALU_DEP_2)
	v_pk_add_f32 v[124:125], v[124:125], v[130:131]
	v_pk_fma_f32 v[130:131], v[162:163], v[146:147], v[126:127] op_sel_hi:[1,0,1]
	v_mov_b32_e32 v129, v137
	v_pk_fma_f32 v[126:127], v[162:163], v[146:147], v[126:127] neg_lo:[0,0,1] neg_hi:[0,0,1]
	s_delay_alu instid0(VALU_DEP_3) | instskip(NEXT) | instid1(VALU_DEP_3)
	v_mov_b32_e32 v127, v131
	v_pk_add_f32 v[124:125], v[124:125], v[128:129]
	s_delay_alu instid0(VALU_DEP_1) | instskip(SKIP_1) | instid1(VALU_DEP_1)
	v_pk_add_f32 v[124:125], v[124:125], v[126:127]
	s_wait_loadcnt 0x0
	v_pk_add_f32 v[124:125], v[172:173], v[124:125] neg_lo:[0,1] neg_hi:[0,1]
	scratch_store_b64 off, v[124:125], off offset:384
	s_wait_xcnt 0x0
	v_cmpx_lt_u32_e32 47, v0
	s_cbranch_execz .LBB60_285
; %bb.284:
	scratch_load_b64 v[124:125], off, off offset:376
	v_mov_b64_e32 v[126:127], 0
	scratch_store_b64 off, v[126:127], off offset:376
	s_wait_loadcnt 0x0
	ds_store_b64 v1, v[124:125]
.LBB60_285:
	s_wait_xcnt 0x0
	s_or_b32 exec_lo, exec_lo, s0
	s_wait_storecnt_dscnt 0x0
	s_barrier_signal -1
	s_barrier_wait -1
	s_clause 0x7
	scratch_load_b128 v[124:127], off, off offset:384
	scratch_load_b128 v[128:131], off, off offset:400
	;; [unrolled: 1-line block ×6, first 2 shown]
	scratch_load_b64 v[172:173], off, off offset:480
	scratch_load_b64 v[174:175], off, off offset:376
	v_mov_b32_e32 v7, 0
	ds_load_b128 v[148:151], v7 offset:912
	ds_load_b128 v[152:155], v7 offset:928
	;; [unrolled: 1-line block ×6, first 2 shown]
	ds_load_b64 v[176:177], v7 offset:976
	s_mov_b32 s0, exec_lo
	s_wait_dscnt 0x6
	v_dual_mov_b32 v178, v151 :: v_dual_mov_b32 v179, v150
	s_wait_dscnt 0x3
	v_dual_mov_b32 v180, v155 :: v_dual_mov_b32 v185, v162
	v_dual_mov_b32 v181, v154 :: v_dual_mov_b32 v182, v159
	;; [unrolled: 1-line block ×3, first 2 shown]
	s_wait_loadcnt_dscnt 0x702
	v_dual_mul_f32 v9, v164, v125 :: v_dual_mul_f32 v15, v165, v125
	v_dual_mul_f32 v17, v167, v127 :: v_dual_mul_f32 v11, v166, v127
	s_wait_loadcnt_dscnt 0x601
	s_delay_alu instid0(VALU_DEP_2) | instskip(NEXT) | instid1(VALU_DEP_3)
	v_dual_mul_f32 v13, v168, v129 :: v_dual_fmac_f32 v9, v165, v124
	v_dual_fma_f32 v15, v164, v124, -v15 :: v_dual_mul_f32 v19, v169, v129
	v_mul_f32_e32 v21, v171, v131
	s_wait_loadcnt 0x4
	v_dual_mov_b32 v124, v139 :: v_dual_fma_f32 v17, v166, v126, -v17
	v_dual_fmac_f32 v11, v167, v126 :: v_dual_add_f32 v9, 0, v9
	v_dual_add_f32 v15, 0, v15 :: v_dual_fmac_f32 v13, v169, v128
	v_dual_mul_f32 v187, v170, v131 :: v_dual_mul_f32 v189, v148, v133
	v_dual_mul_f32 v23, v149, v133 :: v_dual_mov_b32 v188, v135
	s_delay_alu instid0(VALU_DEP_4) | instskip(NEXT) | instid1(VALU_DEP_4)
	v_dual_fma_f32 v19, v168, v128, -v19 :: v_dual_add_f32 v9, v9, v11
	v_dual_add_f32 v11, v15, v17 :: v_dual_fma_f32 v186, v170, v130, -v21
	s_delay_alu instid0(VALU_DEP_4) | instskip(NEXT) | instid1(VALU_DEP_4)
	v_fmac_f32_e32 v187, v171, v130
	v_pk_mul_f32 v[128:129], v[178:179], v[188:189] op_sel_hi:[1,0]
	s_delay_alu instid0(VALU_DEP_3)
	v_dual_add_f32 v131, v9, v13 :: v_dual_add_f32 v130, v11, v19
	v_fmac_f32_e32 v189, v149, v132
	v_pk_mul_f32 v[190:191], v[152:153], v[136:137] op_sel:[1,1] op_sel_hi:[0,1]
	s_wait_loadcnt 0x3
	v_dual_mov_b32 v164, v143 :: v_dual_fma_f32 v188, v148, v132, -v23
	v_pk_fma_f32 v[132:133], v[150:151], v[134:135], v[128:129] op_sel_hi:[1,0,1]
	v_pk_add_f32 v[130:131], v[130:131], v[186:187]
	v_pk_fma_f32 v[128:129], v[150:151], v[134:135], v[128:129] neg_lo:[0,0,1] neg_hi:[0,0,1]
	v_pk_fma_f32 v[148:149], v[152:153], v[136:137], v[190:191] op_sel_hi:[1,0,1]
	v_pk_mul_f32 v[124:125], v[180:181], v[124:125] op_sel_hi:[1,0]
	v_mov_b32_e32 v129, v133
	v_pk_add_f32 v[130:131], v[130:131], v[188:189]
	v_pk_fma_f32 v[134:135], v[152:153], v[136:137], v[190:191] neg_lo:[0,0,1] neg_hi:[0,0,1]
	v_pk_mul_f32 v[126:127], v[156:157], v[140:141] op_sel:[1,1] op_sel_hi:[0,1]
	v_mov_b32_e32 v135, v149
	v_pk_fma_f32 v[136:137], v[154:155], v[138:139], v[124:125] op_sel_hi:[1,0,1]
	v_pk_add_f32 v[128:129], v[130:131], v[128:129]
	v_pk_fma_f32 v[124:125], v[154:155], v[138:139], v[124:125] neg_lo:[0,0,1] neg_hi:[0,0,1]
	v_pk_fma_f32 v[130:131], v[156:157], v[140:141], v[126:127] op_sel_hi:[1,0,1]
	v_pk_mul_f32 v[148:149], v[182:183], v[164:165] op_sel_hi:[1,0]
	s_wait_loadcnt 0x2
	v_dual_mov_b32 v125, v137 :: v_dual_mov_b32 v130, v147
	v_pk_add_f32 v[128:129], v[128:129], v[134:135]
	v_pk_fma_f32 v[126:127], v[156:157], v[140:141], v[126:127] neg_lo:[0,0,1] neg_hi:[0,0,1]
	v_pk_mul_f32 v[132:133], v[160:161], v[144:145] op_sel:[1,1] op_sel_hi:[0,1]
	v_pk_fma_f32 v[134:135], v[158:159], v[142:143], v[148:149] op_sel_hi:[1,0,1]
	v_mov_b32_e32 v127, v131
	v_pk_add_f32 v[124:125], v[128:129], v[124:125]
	v_pk_fma_f32 v[136:137], v[158:159], v[142:143], v[148:149] neg_lo:[0,0,1] neg_hi:[0,0,1]
	v_pk_fma_f32 v[128:129], v[160:161], v[144:145], v[132:133] op_sel_hi:[1,0,1]
	v_pk_mul_f32 v[130:131], v[184:185], v[130:131] op_sel_hi:[1,0]
	v_mov_b32_e32 v137, v135
	v_pk_add_f32 v[124:125], v[124:125], v[126:127]
	v_pk_fma_f32 v[126:127], v[160:161], v[144:145], v[132:133] neg_lo:[0,0,1] neg_hi:[0,0,1]
	v_mov_b32_e32 v127, v129
	v_pk_fma_f32 v[128:129], v[162:163], v[146:147], v[130:131] op_sel_hi:[1,0,1]
	s_wait_loadcnt_dscnt 0x100
	v_pk_mul_f32 v[132:133], v[176:177], v[172:173] op_sel:[1,1] op_sel_hi:[0,1]
	v_pk_add_f32 v[124:125], v[124:125], v[136:137]
	v_pk_fma_f32 v[130:131], v[162:163], v[146:147], v[130:131] neg_lo:[0,0,1] neg_hi:[0,0,1]
	v_mov_b32_e32 v131, v129
	s_delay_alu instid0(VALU_DEP_4) | instskip(NEXT) | instid1(VALU_DEP_4)
	v_pk_fma_f32 v[128:129], v[176:177], v[172:173], v[132:133] neg_lo:[0,0,1] neg_hi:[0,0,1]
	v_pk_add_f32 v[124:125], v[124:125], v[126:127]
	v_pk_fma_f32 v[126:127], v[176:177], v[172:173], v[132:133] op_sel_hi:[1,0,1]
	s_delay_alu instid0(VALU_DEP_2) | instskip(NEXT) | instid1(VALU_DEP_2)
	v_pk_add_f32 v[124:125], v[124:125], v[130:131]
	v_mov_b32_e32 v129, v127
	s_delay_alu instid0(VALU_DEP_1) | instskip(SKIP_1) | instid1(VALU_DEP_1)
	v_pk_add_f32 v[124:125], v[124:125], v[128:129]
	s_wait_loadcnt 0x0
	v_pk_add_f32 v[124:125], v[174:175], v[124:125] neg_lo:[0,1] neg_hi:[0,1]
	scratch_store_b64 off, v[124:125], off offset:376
	s_wait_xcnt 0x0
	v_cmpx_lt_u32_e32 46, v0
	s_cbranch_execz .LBB60_287
; %bb.286:
	scratch_load_b64 v[124:125], off, off offset:368
	v_mov_b64_e32 v[126:127], 0
	scratch_store_b64 off, v[126:127], off offset:368
	s_wait_loadcnt 0x0
	ds_store_b64 v1, v[124:125]
.LBB60_287:
	s_wait_xcnt 0x0
	s_or_b32 exec_lo, exec_lo, s0
	s_wait_storecnt_dscnt 0x0
	s_barrier_signal -1
	s_barrier_wait -1
	s_clause 0x7
	scratch_load_b128 v[124:127], off, off offset:376
	scratch_load_b128 v[128:131], off, off offset:392
	;; [unrolled: 1-line block ×7, first 2 shown]
	scratch_load_b64 v[180:181], off, off offset:368
	ds_load_2addr_b64 v[152:155], v7 offset0:115 offset1:116
	ds_load_2addr_b64 v[156:159], v7 offset0:117 offset1:118
	;; [unrolled: 1-line block ×7, first 2 shown]
	s_mov_b32 s0, exec_lo
	s_wait_dscnt 0x6
	v_dual_mov_b32 v182, v155 :: v_dual_mov_b32 v183, v154
	s_wait_dscnt 0x5
	v_dual_mov_b32 v184, v159 :: v_dual_mov_b32 v185, v158
	;; [unrolled: 2-line block ×4, first 2 shown]
	s_wait_loadcnt_dscnt 0x702
	v_dual_mul_f32 v7, v168, v125 :: v_dual_mul_f32 v9, v170, v127
	v_dual_mul_f32 v15, v169, v125 :: v_dual_mul_f32 v17, v171, v127
	s_wait_loadcnt_dscnt 0x601
	v_dual_mul_f32 v11, v172, v129 :: v_dual_mul_f32 v13, v174, v131
	s_delay_alu instid0(VALU_DEP_3) | instskip(NEXT) | instid1(VALU_DEP_3)
	v_dual_fmac_f32 v7, v169, v124 :: v_dual_fmac_f32 v9, v171, v126
	v_dual_fma_f32 v15, v168, v124, -v15 :: v_dual_fma_f32 v17, v170, v126, -v17
	v_dual_mul_f32 v19, v173, v129 :: v_dual_mul_f32 v21, v175, v131
	s_wait_loadcnt 0x4
	s_delay_alu instid0(VALU_DEP_3) | instskip(NEXT) | instid1(VALU_DEP_3)
	v_dual_add_f32 v7, 0, v7 :: v_dual_mov_b32 v126, v139
	v_dual_add_f32 v15, 0, v15 :: v_dual_fmac_f32 v11, v173, v128
	s_delay_alu instid0(VALU_DEP_2) | instskip(SKIP_2) | instid1(VALU_DEP_3)
	v_dual_fma_f32 v19, v172, v128, -v19 :: v_dual_add_f32 v7, v7, v9
	s_wait_dscnt 0x0
	v_dual_mul_f32 v191, v176, v133 :: v_dual_mul_f32 v193, v178, v135
	v_dual_add_f32 v9, v15, v17 :: v_dual_fma_f32 v15, v174, v130, -v21
	v_dual_mul_f32 v23, v177, v133 :: v_dual_mul_f32 v25, v179, v135
	s_delay_alu instid0(VALU_DEP_2) | instskip(NEXT) | instid1(VALU_DEP_4)
	v_dual_fmac_f32 v13, v175, v130 :: v_dual_add_f32 v9, v9, v19
	v_dual_add_f32 v7, v7, v11 :: v_dual_fmac_f32 v191, v177, v132
	v_pk_mul_f32 v[124:125], v[152:153], v[136:137] op_sel:[1,1] op_sel_hi:[0,1]
	s_wait_loadcnt 0x3
	v_pk_mul_f32 v[128:129], v[156:157], v[140:141] op_sel:[1,1] op_sel_hi:[0,1]
	v_dual_mov_b32 v130, v143 :: v_dual_fma_f32 v190, v176, v132, -v23
	v_dual_add_f32 v133, v7, v13 :: v_dual_add_f32 v132, v9, v15
	v_fmac_f32_e32 v193, v179, v134
	v_fma_f32 v192, v178, v134, -v25
	v_pk_fma_f32 v[134:135], v[152:153], v[136:137], v[124:125] op_sel_hi:[1,0,1]
	v_pk_mul_f32 v[126:127], v[182:183], v[126:127] op_sel_hi:[1,0]
	v_pk_add_f32 v[132:133], v[132:133], v[190:191]
	v_pk_fma_f32 v[124:125], v[152:153], v[136:137], v[124:125] neg_lo:[0,0,1] neg_hi:[0,0,1]
	v_pk_fma_f32 v[136:137], v[156:157], v[140:141], v[128:129] op_sel_hi:[1,0,1]
	v_pk_fma_f32 v[128:129], v[156:157], v[140:141], v[128:129] neg_lo:[0,0,1] neg_hi:[0,0,1]
	v_mov_b32_e32 v125, v135
	v_pk_fma_f32 v[134:135], v[154:155], v[138:139], v[126:127] op_sel_hi:[1,0,1]
	v_pk_fma_f32 v[126:127], v[154:155], v[138:139], v[126:127] neg_lo:[0,0,1] neg_hi:[0,0,1]
	v_mov_b32_e32 v129, v137
	v_pk_add_f32 v[132:133], v[132:133], v[192:193]
	v_pk_mul_f32 v[130:131], v[184:185], v[130:131] op_sel_hi:[1,0]
	v_mov_b32_e32 v127, v135
	s_wait_loadcnt 0x2
	v_pk_mul_f32 v[168:169], v[160:161], v[144:145] op_sel:[1,1] op_sel_hi:[0,1]
	v_pk_add_f32 v[124:125], v[132:133], v[124:125]
	v_mov_b32_e32 v132, v147
	v_pk_fma_f32 v[134:135], v[158:159], v[142:143], v[130:131] op_sel_hi:[1,0,1]
	v_pk_fma_f32 v[130:131], v[158:159], v[142:143], v[130:131] neg_lo:[0,0,1] neg_hi:[0,0,1]
	s_delay_alu instid0(VALU_DEP_4)
	v_pk_add_f32 v[124:125], v[124:125], v[126:127]
	v_pk_fma_f32 v[126:127], v[160:161], v[144:145], v[168:169] op_sel_hi:[1,0,1]
	v_pk_mul_f32 v[132:133], v[186:187], v[132:133] op_sel_hi:[1,0]
	v_mov_b32_e32 v131, v135
	v_pk_fma_f32 v[134:135], v[160:161], v[144:145], v[168:169] neg_lo:[0,0,1] neg_hi:[0,0,1]
	v_pk_add_f32 v[124:125], v[124:125], v[128:129]
	v_mov_b32_e32 v135, v127
	v_pk_fma_f32 v[126:127], v[162:163], v[146:147], v[132:133] op_sel_hi:[1,0,1]
	s_wait_loadcnt 0x1
	v_pk_mul_f32 v[128:129], v[164:165], v[148:149] op_sel:[1,1] op_sel_hi:[0,1]
	v_mov_b32_e32 v126, v151
	v_pk_add_f32 v[124:125], v[124:125], v[130:131]
	v_pk_fma_f32 v[132:133], v[162:163], v[146:147], v[132:133] neg_lo:[0,0,1] neg_hi:[0,0,1]
	v_mov_b32_e32 v133, v127
	v_pk_fma_f32 v[130:131], v[164:165], v[148:149], v[128:129] op_sel_hi:[1,0,1]
	v_pk_mul_f32 v[126:127], v[188:189], v[126:127] op_sel_hi:[1,0]
	v_pk_add_f32 v[124:125], v[124:125], v[134:135]
	v_pk_fma_f32 v[128:129], v[164:165], v[148:149], v[128:129] neg_lo:[0,0,1] neg_hi:[0,0,1]
	s_delay_alu instid0(VALU_DEP_4) | instskip(NEXT) | instid1(VALU_DEP_4)
	v_mov_b32_e32 v129, v131
	v_pk_fma_f32 v[130:131], v[166:167], v[150:151], v[126:127] op_sel_hi:[1,0,1]
	s_delay_alu instid0(VALU_DEP_4) | instskip(SKIP_1) | instid1(VALU_DEP_3)
	v_pk_add_f32 v[124:125], v[124:125], v[132:133]
	v_pk_fma_f32 v[126:127], v[166:167], v[150:151], v[126:127] neg_lo:[0,0,1] neg_hi:[0,0,1]
	v_mov_b32_e32 v127, v131
	s_delay_alu instid0(VALU_DEP_3) | instskip(NEXT) | instid1(VALU_DEP_1)
	v_pk_add_f32 v[124:125], v[124:125], v[128:129]
	v_pk_add_f32 v[124:125], v[124:125], v[126:127]
	s_wait_loadcnt 0x0
	s_delay_alu instid0(VALU_DEP_1)
	v_pk_add_f32 v[124:125], v[180:181], v[124:125] neg_lo:[0,1] neg_hi:[0,1]
	scratch_store_b64 off, v[124:125], off offset:368
	s_wait_xcnt 0x0
	v_cmpx_lt_u32_e32 45, v0
	s_cbranch_execz .LBB60_289
; %bb.288:
	scratch_load_b64 v[124:125], off, off offset:360
	v_mov_b64_e32 v[126:127], 0
	scratch_store_b64 off, v[126:127], off offset:360
	s_wait_loadcnt 0x0
	ds_store_b64 v1, v[124:125]
.LBB60_289:
	s_wait_xcnt 0x0
	s_or_b32 exec_lo, exec_lo, s0
	s_wait_storecnt_dscnt 0x0
	s_barrier_signal -1
	s_barrier_wait -1
	s_clause 0x8
	scratch_load_b128 v[124:127], off, off offset:368
	scratch_load_b128 v[128:131], off, off offset:384
	;; [unrolled: 1-line block ×7, first 2 shown]
	scratch_load_b64 v[180:181], off, off offset:480
	scratch_load_b64 v[182:183], off, off offset:360
	v_mov_b32_e32 v7, 0
	ds_load_b128 v[152:155], v7 offset:912
	ds_load_b128 v[156:159], v7 offset:928
	;; [unrolled: 1-line block ×7, first 2 shown]
	ds_load_b64 v[184:185], v7 offset:976
	s_mov_b32 s0, exec_lo
	s_wait_dscnt 0x7
	v_dual_mov_b32 v186, v155 :: v_dual_mov_b32 v187, v154
	s_wait_dscnt 0x4
	v_dual_mov_b32 v188, v159 :: v_dual_mov_b32 v193, v166
	v_dual_mov_b32 v189, v158 :: v_dual_mov_b32 v190, v163
	;; [unrolled: 1-line block ×3, first 2 shown]
	s_wait_loadcnt_dscnt 0x803
	v_dual_mul_f32 v9, v168, v125 :: v_dual_mul_f32 v19, v169, v125
	v_dual_mul_f32 v21, v171, v127 :: v_dual_mul_f32 v11, v170, v127
	s_wait_loadcnt_dscnt 0x702
	v_mul_f32_e32 v13, v172, v129
	s_wait_loadcnt 0x5
	v_dual_mul_f32 v31, v153, v137 :: v_dual_fma_f32 v19, v168, v124, -v19
	v_dual_fmac_f32 v9, v169, v124 :: v_dual_mov_b32 v124, v139
	v_dual_mul_f32 v23, v173, v129 :: v_dual_mul_f32 v25, v175, v131
	v_dual_fmac_f32 v11, v171, v126 :: v_dual_fma_f32 v21, v170, v126, -v21
	s_delay_alu instid0(VALU_DEP_3) | instskip(SKIP_3) | instid1(VALU_DEP_3)
	v_dual_add_f32 v9, 0, v9 :: v_dual_add_f32 v19, 0, v19
	s_wait_dscnt 0x1
	v_dual_mul_f32 v15, v174, v131 :: v_dual_mul_f32 v17, v176, v133
	v_dual_fmac_f32 v13, v173, v128 :: v_dual_fma_f32 v23, v172, v128, -v23
	v_dual_add_f32 v9, v9, v11 :: v_dual_add_f32 v11, v19, v21
	v_dual_mul_f32 v27, v177, v133 :: v_dual_mul_f32 v29, v179, v135
	s_wait_loadcnt 0x4
	v_dual_mov_b32 v128, v143 :: v_dual_fma_f32 v19, v174, v130, -v25
	s_delay_alu instid0(VALU_DEP_3) | instskip(SKIP_2) | instid1(VALU_DEP_3)
	v_dual_fmac_f32 v15, v175, v130 :: v_dual_add_f32 v9, v9, v13
	v_dual_add_f32 v11, v11, v23 :: v_dual_fmac_f32 v17, v177, v132
	v_dual_mul_f32 v195, v178, v135 :: v_dual_mul_f32 v197, v152, v137
	v_dual_fma_f32 v13, v176, v132, -v27 :: v_dual_add_f32 v9, v9, v15
	s_delay_alu instid0(VALU_DEP_3) | instskip(NEXT) | instid1(VALU_DEP_3)
	v_dual_add_f32 v11, v11, v19 :: v_dual_fma_f32 v194, v178, v134, -v29
	v_fmac_f32_e32 v195, v179, v134
	v_pk_mul_f32 v[124:125], v[186:187], v[124:125] op_sel_hi:[1,0]
	s_delay_alu instid0(VALU_DEP_4) | instskip(NEXT) | instid1(VALU_DEP_4)
	v_add_f32_e32 v133, v9, v17
	v_dual_add_f32 v132, v11, v13 :: v_dual_fmac_f32 v197, v153, v136
	v_pk_mul_f32 v[126:127], v[156:157], v[140:141] op_sel:[1,1] op_sel_hi:[0,1]
	s_wait_loadcnt 0x3
	v_dual_mov_b32 v134, v147 :: v_dual_fma_f32 v196, v152, v136, -v31
	v_pk_fma_f32 v[136:137], v[154:155], v[138:139], v[124:125] op_sel_hi:[1,0,1]
	v_pk_add_f32 v[132:133], v[132:133], v[194:195]
	v_pk_fma_f32 v[124:125], v[154:155], v[138:139], v[124:125] neg_lo:[0,0,1] neg_hi:[0,0,1]
	v_pk_fma_f32 v[152:153], v[156:157], v[140:141], v[126:127] op_sel_hi:[1,0,1]
	v_pk_mul_f32 v[128:129], v[188:189], v[128:129] op_sel_hi:[1,0]
	v_mov_b32_e32 v125, v137
	v_pk_add_f32 v[132:133], v[132:133], v[196:197]
	v_pk_fma_f32 v[126:127], v[156:157], v[140:141], v[126:127] neg_lo:[0,0,1] neg_hi:[0,0,1]
	v_pk_mul_f32 v[130:131], v[160:161], v[144:145] op_sel:[1,1] op_sel_hi:[0,1]
	v_mov_b32_e32 v127, v153
	v_pk_fma_f32 v[138:139], v[158:159], v[142:143], v[128:129] op_sel_hi:[1,0,1]
	v_pk_add_f32 v[124:125], v[132:133], v[124:125]
	v_pk_fma_f32 v[128:129], v[158:159], v[142:143], v[128:129] neg_lo:[0,0,1] neg_hi:[0,0,1]
	v_pk_fma_f32 v[132:133], v[160:161], v[144:145], v[130:131] op_sel_hi:[1,0,1]
	v_pk_mul_f32 v[134:135], v[190:191], v[134:135] op_sel_hi:[1,0]
	v_mov_b32_e32 v129, v139
	v_pk_add_f32 v[124:125], v[124:125], v[126:127]
	v_pk_fma_f32 v[130:131], v[160:161], v[144:145], v[130:131] neg_lo:[0,0,1] neg_hi:[0,0,1]
	s_wait_loadcnt 0x2
	v_pk_mul_f32 v[136:137], v[164:165], v[148:149] op_sel:[1,1] op_sel_hi:[0,1]
	v_dual_mov_b32 v126, v151 :: v_dual_mov_b32 v131, v133
	v_pk_fma_f32 v[132:133], v[162:163], v[146:147], v[134:135] op_sel_hi:[1,0,1]
	v_pk_add_f32 v[124:125], v[124:125], v[128:129]
	v_pk_fma_f32 v[134:135], v[162:163], v[146:147], v[134:135] neg_lo:[0,0,1] neg_hi:[0,0,1]
	v_pk_fma_f32 v[128:129], v[164:165], v[148:149], v[136:137] op_sel_hi:[1,0,1]
	v_pk_mul_f32 v[126:127], v[192:193], v[126:127] op_sel_hi:[1,0]
	v_mov_b32_e32 v135, v133
	v_pk_add_f32 v[124:125], v[124:125], v[130:131]
	v_pk_fma_f32 v[130:131], v[164:165], v[148:149], v[136:137] neg_lo:[0,0,1] neg_hi:[0,0,1]
	v_mov_b32_e32 v131, v129
	v_pk_fma_f32 v[128:129], v[166:167], v[150:151], v[126:127] op_sel_hi:[1,0,1]
	s_wait_loadcnt_dscnt 0x100
	v_pk_mul_f32 v[132:133], v[184:185], v[180:181] op_sel:[1,1] op_sel_hi:[0,1]
	v_pk_add_f32 v[124:125], v[124:125], v[134:135]
	v_pk_fma_f32 v[126:127], v[166:167], v[150:151], v[126:127] neg_lo:[0,0,1] neg_hi:[0,0,1]
	v_mov_b32_e32 v127, v129
	s_delay_alu instid0(VALU_DEP_4) | instskip(NEXT) | instid1(VALU_DEP_4)
	v_pk_fma_f32 v[128:129], v[184:185], v[180:181], v[132:133] op_sel_hi:[1,0,1]
	v_pk_add_f32 v[124:125], v[124:125], v[130:131]
	v_pk_fma_f32 v[130:131], v[184:185], v[180:181], v[132:133] neg_lo:[0,0,1] neg_hi:[0,0,1]
	s_delay_alu instid0(VALU_DEP_3) | instskip(NEXT) | instid1(VALU_DEP_3)
	v_mov_b32_e32 v131, v129
	v_pk_add_f32 v[124:125], v[124:125], v[126:127]
	s_delay_alu instid0(VALU_DEP_1) | instskip(SKIP_1) | instid1(VALU_DEP_1)
	v_pk_add_f32 v[124:125], v[124:125], v[130:131]
	s_wait_loadcnt 0x0
	v_pk_add_f32 v[124:125], v[182:183], v[124:125] neg_lo:[0,1] neg_hi:[0,1]
	scratch_store_b64 off, v[124:125], off offset:360
	s_wait_xcnt 0x0
	v_cmpx_lt_u32_e32 44, v0
	s_cbranch_execz .LBB60_291
; %bb.290:
	scratch_load_b64 v[124:125], off, off offset:352
	v_mov_b64_e32 v[126:127], 0
	scratch_store_b64 off, v[126:127], off offset:352
	s_wait_loadcnt 0x0
	ds_store_b64 v1, v[124:125]
.LBB60_291:
	s_wait_xcnt 0x0
	s_or_b32 exec_lo, exec_lo, s0
	s_wait_storecnt_dscnt 0x0
	s_barrier_signal -1
	s_barrier_wait -1
	s_clause 0x8
	scratch_load_b128 v[124:127], off, off offset:360
	scratch_load_b128 v[128:131], off, off offset:376
	scratch_load_b128 v[132:135], off, off offset:392
	scratch_load_b128 v[136:139], off, off offset:408
	scratch_load_b128 v[140:143], off, off offset:424
	scratch_load_b128 v[144:147], off, off offset:440
	scratch_load_b128 v[148:151], off, off offset:456
	scratch_load_b128 v[152:155], off, off offset:472
	scratch_load_b64 v[188:189], off, off offset:352
	ds_load_2addr_b64 v[156:159], v7 offset0:115 offset1:116
	ds_load_2addr_b64 v[160:163], v7 offset0:117 offset1:118
	ds_load_2addr_b64 v[164:167], v7 offset0:119 offset1:120
	ds_load_2addr_b64 v[168:171], v7 offset0:121 offset1:122
	ds_load_2addr_b64 v[172:175], v7 offset0:107 offset1:108
	ds_load_2addr_b64 v[176:179], v7 offset0:109 offset1:110
	ds_load_2addr_b64 v[180:183], v7 offset0:111 offset1:112
	ds_load_2addr_b64 v[184:187], v7 offset0:113 offset1:114
	s_mov_b32 s0, exec_lo
	s_wait_dscnt 0x7
	v_dual_mov_b32 v190, v159 :: v_dual_mov_b32 v191, v158
	s_wait_dscnt 0x6
	v_dual_mov_b32 v192, v163 :: v_dual_mov_b32 v193, v162
	;; [unrolled: 2-line block ×4, first 2 shown]
	s_wait_loadcnt_dscnt 0x803
	v_dual_mul_f32 v7, v172, v125 :: v_dual_mul_f32 v9, v174, v127
	v_dual_mul_f32 v19, v173, v125 :: v_dual_mul_f32 v21, v175, v127
	s_wait_loadcnt_dscnt 0x702
	v_dual_mul_f32 v11, v176, v129 :: v_dual_mul_f32 v13, v178, v131
	s_delay_alu instid0(VALU_DEP_3) | instskip(SKIP_3) | instid1(VALU_DEP_3)
	v_dual_fmac_f32 v7, v173, v124 :: v_dual_fmac_f32 v9, v175, v126
	s_wait_loadcnt_dscnt 0x500
	v_dual_fma_f32 v19, v172, v124, -v19 :: v_dual_mul_f32 v31, v185, v137
	v_dual_mul_f32 v23, v177, v129 :: v_dual_mul_f32 v25, v179, v131
	v_dual_fma_f32 v21, v174, v126, -v21 :: v_dual_add_f32 v7, 0, v7
	s_delay_alu instid0(VALU_DEP_3) | instskip(SKIP_1) | instid1(VALU_DEP_4)
	v_dual_add_f32 v19, 0, v19 :: v_dual_fmac_f32 v11, v177, v128
	v_dual_mul_f32 v15, v180, v133 :: v_dual_mul_f32 v17, v182, v135
	v_dual_mul_f32 v33, v187, v139 :: v_dual_fma_f32 v23, v176, v128, -v23
	s_delay_alu instid0(VALU_DEP_4) | instskip(NEXT) | instid1(VALU_DEP_3)
	v_add_f32_e32 v7, v7, v9
	v_dual_add_f32 v9, v19, v21 :: v_dual_fmac_f32 v15, v181, v132
	v_dual_mul_f32 v27, v181, v133 :: v_dual_mul_f32 v29, v183, v135
	s_delay_alu instid0(VALU_DEP_2) | instskip(NEXT) | instid1(VALU_DEP_4)
	v_dual_fmac_f32 v13, v179, v130 :: v_dual_add_f32 v9, v9, v23
	v_dual_fma_f32 v19, v178, v130, -v25 :: v_dual_add_f32 v7, v7, v11
	s_wait_loadcnt 0x4
	s_delay_alu instid0(VALU_DEP_3) | instskip(SKIP_1) | instid1(VALU_DEP_3)
	v_dual_fma_f32 v11, v180, v132, -v27 :: v_dual_mov_b32 v126, v143
	v_dual_mul_f32 v199, v184, v137 :: v_dual_mul_f32 v201, v186, v139
	v_dual_add_f32 v7, v7, v13 :: v_dual_fma_f32 v13, v182, v134, -v29
	v_dual_add_f32 v9, v9, v19 :: v_dual_fmac_f32 v17, v183, v134
	v_pk_mul_f32 v[124:125], v[156:157], v[140:141] op_sel:[1,1] op_sel_hi:[0,1]
	s_delay_alu instid0(VALU_DEP_3) | instskip(SKIP_1) | instid1(VALU_DEP_3)
	v_dual_add_f32 v7, v7, v15 :: v_dual_fmac_f32 v199, v185, v136
	s_wait_loadcnt 0x3
	v_dual_add_f32 v9, v9, v11 :: v_dual_mov_b32 v130, v147
	s_delay_alu instid0(VALU_DEP_2) | instskip(NEXT) | instid1(VALU_DEP_2)
	v_dual_fma_f32 v198, v184, v136, -v31 :: v_dual_add_f32 v133, v7, v17
	v_dual_fma_f32 v200, v186, v138, -v33 :: v_dual_add_f32 v132, v9, v13
	v_fmac_f32_e32 v201, v187, v138
	v_pk_fma_f32 v[134:135], v[156:157], v[140:141], v[124:125] op_sel_hi:[1,0,1]
	v_pk_mul_f32 v[126:127], v[190:191], v[126:127] op_sel_hi:[1,0]
	v_pk_fma_f32 v[124:125], v[156:157], v[140:141], v[124:125] neg_lo:[0,0,1] neg_hi:[0,0,1]
	v_pk_add_f32 v[132:133], v[132:133], v[198:199]
	v_pk_mul_f32 v[128:129], v[160:161], v[144:145] op_sel:[1,1] op_sel_hi:[0,1]
	v_mov_b32_e32 v125, v135
	v_pk_fma_f32 v[134:135], v[158:159], v[142:143], v[126:127] op_sel_hi:[1,0,1]
	v_pk_fma_f32 v[126:127], v[158:159], v[142:143], v[126:127] neg_lo:[0,0,1] neg_hi:[0,0,1]
	v_pk_add_f32 v[132:133], v[132:133], v[200:201]
	v_pk_fma_f32 v[138:139], v[160:161], v[144:145], v[128:129] op_sel_hi:[1,0,1]
	v_pk_mul_f32 v[130:131], v[192:193], v[130:131] op_sel_hi:[1,0]
	v_mov_b32_e32 v127, v135
	s_wait_loadcnt 0x2
	v_pk_mul_f32 v[136:137], v[164:165], v[148:149] op_sel:[1,1] op_sel_hi:[0,1]
	v_pk_add_f32 v[124:125], v[132:133], v[124:125]
	v_mov_b32_e32 v132, v151
	v_pk_fma_f32 v[128:129], v[160:161], v[144:145], v[128:129] neg_lo:[0,0,1] neg_hi:[0,0,1]
	v_mov_b32_e32 v129, v139
	v_pk_fma_f32 v[134:135], v[162:163], v[146:147], v[130:131] op_sel_hi:[1,0,1]
	v_pk_add_f32 v[124:125], v[124:125], v[126:127]
	v_pk_fma_f32 v[126:127], v[164:165], v[148:149], v[136:137] op_sel_hi:[1,0,1]
	v_pk_mul_f32 v[132:133], v[194:195], v[132:133] op_sel_hi:[1,0]
	v_pk_fma_f32 v[130:131], v[162:163], v[146:147], v[130:131] neg_lo:[0,0,1] neg_hi:[0,0,1]
	v_mov_b32_e32 v131, v135
	v_pk_add_f32 v[124:125], v[124:125], v[128:129]
	v_pk_fma_f32 v[134:135], v[164:165], v[148:149], v[136:137] neg_lo:[0,0,1] neg_hi:[0,0,1]
	v_mov_b32_e32 v135, v127
	v_pk_fma_f32 v[126:127], v[166:167], v[150:151], v[132:133] op_sel_hi:[1,0,1]
	s_wait_loadcnt 0x1
	v_pk_mul_f32 v[128:129], v[168:169], v[152:153] op_sel:[1,1] op_sel_hi:[0,1]
	v_pk_add_f32 v[124:125], v[124:125], v[130:131]
	v_mov_b32_e32 v126, v155
	v_pk_fma_f32 v[132:133], v[166:167], v[150:151], v[132:133] neg_lo:[0,0,1] neg_hi:[0,0,1]
	v_mov_b32_e32 v133, v127
	v_pk_fma_f32 v[130:131], v[168:169], v[152:153], v[128:129] op_sel_hi:[1,0,1]
	v_pk_add_f32 v[124:125], v[124:125], v[134:135]
	v_pk_mul_f32 v[126:127], v[196:197], v[126:127] op_sel_hi:[1,0]
	v_pk_fma_f32 v[128:129], v[168:169], v[152:153], v[128:129] neg_lo:[0,0,1] neg_hi:[0,0,1]
	s_delay_alu instid0(VALU_DEP_4) | instskip(NEXT) | instid1(VALU_DEP_4)
	v_mov_b32_e32 v129, v131
	v_pk_add_f32 v[124:125], v[124:125], v[132:133]
	s_delay_alu instid0(VALU_DEP_4) | instskip(SKIP_1) | instid1(VALU_DEP_2)
	v_pk_fma_f32 v[130:131], v[170:171], v[154:155], v[126:127] op_sel_hi:[1,0,1]
	v_pk_fma_f32 v[126:127], v[170:171], v[154:155], v[126:127] neg_lo:[0,0,1] neg_hi:[0,0,1]
	v_mov_b32_e32 v127, v131
	s_delay_alu instid0(VALU_DEP_4) | instskip(NEXT) | instid1(VALU_DEP_1)
	v_pk_add_f32 v[124:125], v[124:125], v[128:129]
	v_pk_add_f32 v[124:125], v[124:125], v[126:127]
	s_wait_loadcnt 0x0
	s_delay_alu instid0(VALU_DEP_1)
	v_pk_add_f32 v[124:125], v[188:189], v[124:125] neg_lo:[0,1] neg_hi:[0,1]
	scratch_store_b64 off, v[124:125], off offset:352
	s_wait_xcnt 0x0
	v_cmpx_lt_u32_e32 43, v0
	s_cbranch_execz .LBB60_293
; %bb.292:
	scratch_load_b64 v[124:125], off, off offset:344
	v_mov_b64_e32 v[126:127], 0
	scratch_store_b64 off, v[126:127], off offset:344
	s_wait_loadcnt 0x0
	ds_store_b64 v1, v[124:125]
.LBB60_293:
	s_wait_xcnt 0x0
	s_or_b32 exec_lo, exec_lo, s0
	s_wait_storecnt_dscnt 0x0
	s_barrier_signal -1
	s_barrier_wait -1
	s_clause 0x9
	scratch_load_b128 v[124:127], off, off offset:352
	scratch_load_b128 v[128:131], off, off offset:368
	;; [unrolled: 1-line block ×8, first 2 shown]
	scratch_load_b64 v[188:189], off, off offset:480
	scratch_load_b64 v[190:191], off, off offset:344
	v_mov_b32_e32 v7, 0
	ds_load_b128 v[156:159], v7 offset:912
	ds_load_b128 v[160:163], v7 offset:928
	;; [unrolled: 1-line block ×8, first 2 shown]
	ds_load_b64 v[192:193], v7 offset:976
	s_mov_b32 s0, exec_lo
	s_wait_dscnt 0x8
	v_dual_mov_b32 v194, v159 :: v_dual_mov_b32 v195, v158
	s_wait_dscnt 0x5
	v_dual_mov_b32 v196, v163 :: v_dual_mov_b32 v201, v170
	v_dual_mov_b32 v197, v162 :: v_dual_mov_b32 v198, v167
	;; [unrolled: 1-line block ×3, first 2 shown]
	s_wait_loadcnt_dscnt 0x904
	v_dual_mul_f32 v9, v172, v125 :: v_dual_mul_f32 v23, v173, v125
	v_dual_mul_f32 v25, v175, v127 :: v_dual_mul_f32 v11, v174, v127
	s_wait_loadcnt_dscnt 0x803
	v_mul_f32_e32 v13, v176, v129
	s_wait_loadcnt_dscnt 0x601
	v_dual_mul_f32 v35, v185, v137 :: v_dual_fma_f32 v23, v172, v124, -v23
	v_dual_fmac_f32 v9, v173, v124 :: v_dual_mul_f32 v37, v187, v139
	v_dual_mul_f32 v27, v177, v129 :: v_dual_mul_f32 v29, v179, v131
	v_dual_fmac_f32 v11, v175, v126 :: v_dual_fma_f32 v25, v174, v126, -v25
	s_delay_alu instid0(VALU_DEP_3)
	v_dual_add_f32 v9, 0, v9 :: v_dual_add_f32 v23, 0, v23
	v_dual_mul_f32 v15, v178, v131 :: v_dual_mul_f32 v17, v180, v133
	s_wait_loadcnt 0x5
	v_dual_mul_f32 v39, v157, v141 :: v_dual_fma_f32 v27, v176, v128, -v27
	v_fmac_f32_e32 v13, v177, v128
	v_dual_add_f32 v9, v9, v11 :: v_dual_mov_b32 v124, v143
	v_add_f32_e32 v11, v23, v25
	v_dual_mul_f32 v31, v181, v133 :: v_dual_mul_f32 v33, v183, v135
	v_dual_fmac_f32 v15, v179, v130 :: v_dual_fma_f32 v23, v178, v130, -v29
	s_delay_alu instid0(VALU_DEP_3) | instskip(SKIP_1) | instid1(VALU_DEP_4)
	v_dual_add_f32 v9, v9, v13 :: v_dual_add_f32 v11, v11, v27
	v_dual_mul_f32 v19, v182, v135 :: v_dual_mul_f32 v21, v184, v137
	v_dual_fmac_f32 v17, v181, v132 :: v_dual_fma_f32 v13, v180, v132, -v31
	s_wait_loadcnt 0x4
	s_delay_alu instid0(VALU_DEP_3) | instskip(SKIP_1) | instid1(VALU_DEP_2)
	v_dual_add_f32 v9, v9, v15 :: v_dual_mov_b32 v128, v147
	v_dual_add_f32 v11, v11, v23 :: v_dual_fma_f32 v15, v182, v134, -v33
	v_dual_fmac_f32 v19, v183, v134 :: v_dual_add_f32 v9, v9, v17
	v_dual_mul_f32 v203, v186, v139 :: v_dual_mul_f32 v205, v156, v141
	s_delay_alu instid0(VALU_DEP_3) | instskip(NEXT) | instid1(VALU_DEP_3)
	v_dual_add_f32 v11, v11, v13 :: v_dual_fmac_f32 v21, v185, v136
	v_dual_fma_f32 v13, v184, v136, -v35 :: v_dual_add_f32 v9, v9, v19
	s_delay_alu instid0(VALU_DEP_3) | instskip(NEXT) | instid1(VALU_DEP_3)
	v_fmac_f32_e32 v203, v187, v138
	v_dual_add_f32 v11, v11, v15 :: v_dual_fma_f32 v202, v186, v138, -v37
	v_pk_mul_f32 v[124:125], v[194:195], v[124:125] op_sel_hi:[1,0]
	s_delay_alu instid0(VALU_DEP_4) | instskip(SKIP_1) | instid1(VALU_DEP_4)
	v_add_f32_e32 v133, v9, v21
	v_pk_mul_f32 v[126:127], v[160:161], v[144:145] op_sel:[1,1] op_sel_hi:[0,1]
	v_dual_add_f32 v132, v11, v13 :: v_dual_fmac_f32 v205, v157, v140
	s_wait_loadcnt 0x3
	v_dual_mov_b32 v134, v151 :: v_dual_fma_f32 v204, v156, v140, -v39
	v_pk_fma_f32 v[136:137], v[158:159], v[142:143], v[124:125] op_sel_hi:[1,0,1]
	s_delay_alu instid0(VALU_DEP_3)
	v_pk_add_f32 v[132:133], v[132:133], v[202:203]
	v_pk_fma_f32 v[124:125], v[158:159], v[142:143], v[124:125] neg_lo:[0,0,1] neg_hi:[0,0,1]
	v_pk_fma_f32 v[138:139], v[160:161], v[144:145], v[126:127] op_sel_hi:[1,0,1]
	v_pk_mul_f32 v[128:129], v[196:197], v[128:129] op_sel_hi:[1,0]
	v_mov_b32_e32 v125, v137
	v_pk_add_f32 v[132:133], v[132:133], v[204:205]
	v_pk_fma_f32 v[126:127], v[160:161], v[144:145], v[126:127] neg_lo:[0,0,1] neg_hi:[0,0,1]
	v_pk_mul_f32 v[130:131], v[164:165], v[148:149] op_sel:[1,1] op_sel_hi:[0,1]
	v_mov_b32_e32 v127, v139
	v_pk_fma_f32 v[138:139], v[162:163], v[146:147], v[128:129] op_sel_hi:[1,0,1]
	v_pk_add_f32 v[124:125], v[132:133], v[124:125]
	v_pk_fma_f32 v[128:129], v[162:163], v[146:147], v[128:129] neg_lo:[0,0,1] neg_hi:[0,0,1]
	v_pk_fma_f32 v[132:133], v[164:165], v[148:149], v[130:131] op_sel_hi:[1,0,1]
	v_pk_mul_f32 v[134:135], v[198:199], v[134:135] op_sel_hi:[1,0]
	v_mov_b32_e32 v129, v139
	v_pk_add_f32 v[124:125], v[124:125], v[126:127]
	v_pk_fma_f32 v[130:131], v[164:165], v[148:149], v[130:131] neg_lo:[0,0,1] neg_hi:[0,0,1]
	s_wait_loadcnt 0x2
	v_pk_mul_f32 v[136:137], v[168:169], v[152:153] op_sel:[1,1] op_sel_hi:[0,1]
	v_dual_mov_b32 v126, v155 :: v_dual_mov_b32 v131, v133
	v_pk_fma_f32 v[132:133], v[166:167], v[150:151], v[134:135] op_sel_hi:[1,0,1]
	v_pk_add_f32 v[124:125], v[124:125], v[128:129]
	v_pk_fma_f32 v[134:135], v[166:167], v[150:151], v[134:135] neg_lo:[0,0,1] neg_hi:[0,0,1]
	v_pk_fma_f32 v[128:129], v[168:169], v[152:153], v[136:137] op_sel_hi:[1,0,1]
	v_pk_mul_f32 v[126:127], v[200:201], v[126:127] op_sel_hi:[1,0]
	v_mov_b32_e32 v135, v133
	v_pk_add_f32 v[124:125], v[124:125], v[130:131]
	v_pk_fma_f32 v[130:131], v[168:169], v[152:153], v[136:137] neg_lo:[0,0,1] neg_hi:[0,0,1]
	v_mov_b32_e32 v131, v129
	v_pk_fma_f32 v[128:129], v[170:171], v[154:155], v[126:127] op_sel_hi:[1,0,1]
	s_wait_loadcnt_dscnt 0x100
	v_pk_mul_f32 v[132:133], v[192:193], v[188:189] op_sel:[1,1] op_sel_hi:[0,1]
	v_pk_add_f32 v[124:125], v[124:125], v[134:135]
	v_pk_fma_f32 v[126:127], v[170:171], v[154:155], v[126:127] neg_lo:[0,0,1] neg_hi:[0,0,1]
	v_mov_b32_e32 v127, v129
	s_delay_alu instid0(VALU_DEP_4) | instskip(NEXT) | instid1(VALU_DEP_4)
	v_pk_fma_f32 v[128:129], v[192:193], v[188:189], v[132:133] op_sel_hi:[1,0,1]
	v_pk_add_f32 v[124:125], v[124:125], v[130:131]
	v_pk_fma_f32 v[130:131], v[192:193], v[188:189], v[132:133] neg_lo:[0,0,1] neg_hi:[0,0,1]
	s_delay_alu instid0(VALU_DEP_3) | instskip(NEXT) | instid1(VALU_DEP_3)
	v_mov_b32_e32 v131, v129
	v_pk_add_f32 v[124:125], v[124:125], v[126:127]
	s_delay_alu instid0(VALU_DEP_1) | instskip(SKIP_1) | instid1(VALU_DEP_1)
	v_pk_add_f32 v[124:125], v[124:125], v[130:131]
	s_wait_loadcnt 0x0
	v_pk_add_f32 v[124:125], v[190:191], v[124:125] neg_lo:[0,1] neg_hi:[0,1]
	scratch_store_b64 off, v[124:125], off offset:344
	s_wait_xcnt 0x0
	v_cmpx_lt_u32_e32 42, v0
	s_cbranch_execz .LBB60_295
; %bb.294:
	scratch_load_b64 v[124:125], off, off offset:336
	v_mov_b64_e32 v[126:127], 0
	scratch_store_b64 off, v[126:127], off offset:336
	s_wait_loadcnt 0x0
	ds_store_b64 v1, v[124:125]
.LBB60_295:
	s_wait_xcnt 0x0
	s_or_b32 exec_lo, exec_lo, s0
	s_wait_storecnt_dscnt 0x0
	s_barrier_signal -1
	s_barrier_wait -1
	s_clause 0x9
	scratch_load_b128 v[124:127], off, off offset:344
	scratch_load_b128 v[128:131], off, off offset:360
	;; [unrolled: 1-line block ×9, first 2 shown]
	scratch_load_b64 v[196:197], off, off offset:336
	ds_load_2addr_b64 v[160:163], v7 offset0:115 offset1:116
	ds_load_2addr_b64 v[164:167], v7 offset0:117 offset1:118
	;; [unrolled: 1-line block ×9, first 2 shown]
	s_mov_b32 s0, exec_lo
	s_wait_dscnt 0x8
	v_dual_mov_b32 v198, v163 :: v_dual_mov_b32 v199, v162
	s_wait_dscnt 0x7
	v_dual_mov_b32 v200, v167 :: v_dual_mov_b32 v201, v166
	;; [unrolled: 2-line block ×4, first 2 shown]
	s_wait_loadcnt_dscnt 0x904
	v_dual_mul_f32 v7, v176, v125 :: v_dual_mul_f32 v9, v178, v127
	v_dual_mul_f32 v23, v177, v125 :: v_dual_mul_f32 v25, v179, v127
	s_wait_loadcnt_dscnt 0x803
	v_dual_mul_f32 v11, v180, v129 :: v_dual_mul_f32 v13, v182, v131
	s_delay_alu instid0(VALU_DEP_3) | instskip(SKIP_3) | instid1(VALU_DEP_3)
	v_dual_fmac_f32 v7, v177, v124 :: v_dual_fmac_f32 v9, v179, v126
	s_wait_loadcnt_dscnt 0x601
	v_dual_fma_f32 v23, v176, v124, -v23 :: v_dual_mul_f32 v35, v189, v137
	v_dual_mul_f32 v27, v181, v129 :: v_dual_mul_f32 v29, v183, v131
	v_dual_fma_f32 v25, v178, v126, -v25 :: v_dual_add_f32 v7, 0, v7
	s_delay_alu instid0(VALU_DEP_3) | instskip(SKIP_1) | instid1(VALU_DEP_4)
	v_dual_add_f32 v23, 0, v23 :: v_dual_fmac_f32 v11, v181, v128
	v_dual_mul_f32 v15, v184, v133 :: v_dual_mul_f32 v17, v186, v135
	v_dual_mul_f32 v37, v191, v139 :: v_dual_fma_f32 v27, v180, v128, -v27
	s_delay_alu instid0(VALU_DEP_4) | instskip(NEXT) | instid1(VALU_DEP_3)
	v_add_f32_e32 v7, v7, v9
	v_dual_add_f32 v9, v23, v25 :: v_dual_fmac_f32 v15, v185, v132
	v_dual_mul_f32 v31, v185, v133 :: v_dual_mul_f32 v33, v187, v135
	s_wait_loadcnt_dscnt 0x500
	v_dual_mul_f32 v23, v193, v141 :: v_dual_fmac_f32 v13, v183, v130
	v_dual_fma_f32 v25, v182, v130, -v29 :: v_dual_add_f32 v7, v7, v11
	s_delay_alu instid0(VALU_DEP_3) | instskip(SKIP_1) | instid1(VALU_DEP_3)
	v_dual_add_f32 v9, v9, v27 :: v_dual_fma_f32 v27, v184, v132, -v31
	v_dual_mul_f32 v19, v188, v137 :: v_dual_mul_f32 v21, v190, v139
	v_add_f32_e32 v7, v7, v13
	s_delay_alu instid0(VALU_DEP_3) | instskip(SKIP_1) | instid1(VALU_DEP_3)
	v_dual_mul_f32 v11, v195, v143 :: v_dual_add_f32 v9, v9, v25
	v_fmac_f32_e32 v17, v187, v134
	v_dual_fma_f32 v13, v186, v134, -v33 :: v_dual_add_f32 v7, v7, v15
	s_wait_loadcnt 0x4
	v_dual_mov_b32 v126, v147 :: v_dual_fmac_f32 v19, v189, v136
	v_dual_add_f32 v9, v9, v27 :: v_dual_fma_f32 v15, v188, v136, -v35
	s_delay_alu instid0(VALU_DEP_3) | instskip(SKIP_1) | instid1(VALU_DEP_3)
	v_add_f32_e32 v7, v7, v17
	v_dual_mul_f32 v207, v192, v141 :: v_dual_mul_f32 v209, v194, v143
	v_dual_add_f32 v9, v9, v13 :: v_dual_fmac_f32 v21, v191, v138
	s_delay_alu instid0(VALU_DEP_3) | instskip(SKIP_2) | instid1(VALU_DEP_3)
	v_dual_fma_f32 v13, v190, v138, -v37 :: v_dual_add_f32 v7, v7, v19
	v_pk_mul_f32 v[124:125], v[160:161], v[144:145] op_sel:[1,1] op_sel_hi:[0,1]
	s_wait_loadcnt 0x3
	v_dual_add_f32 v9, v9, v15 :: v_dual_mov_b32 v130, v151
	s_delay_alu instid0(VALU_DEP_3) | instskip(NEXT) | instid1(VALU_DEP_2)
	v_dual_fmac_f32 v207, v193, v140 :: v_dual_add_f32 v133, v7, v21
	v_dual_fma_f32 v206, v192, v140, -v23 :: v_dual_add_f32 v132, v9, v13
	v_dual_fmac_f32 v209, v195, v142 :: v_dual_fma_f32 v208, v194, v142, -v11
	v_pk_fma_f32 v[134:135], v[160:161], v[144:145], v[124:125] op_sel_hi:[1,0,1]
	v_pk_mul_f32 v[126:127], v[198:199], v[126:127] op_sel_hi:[1,0]
	s_delay_alu instid0(VALU_DEP_4)
	v_pk_add_f32 v[132:133], v[132:133], v[206:207]
	v_pk_fma_f32 v[124:125], v[160:161], v[144:145], v[124:125] neg_lo:[0,0,1] neg_hi:[0,0,1]
	v_pk_mul_f32 v[128:129], v[164:165], v[148:149] op_sel:[1,1] op_sel_hi:[0,1]
	v_mov_b32_e32 v125, v135
	v_pk_fma_f32 v[134:135], v[162:163], v[146:147], v[126:127] op_sel_hi:[1,0,1]
	v_pk_add_f32 v[132:133], v[132:133], v[208:209]
	v_pk_fma_f32 v[126:127], v[162:163], v[146:147], v[126:127] neg_lo:[0,0,1] neg_hi:[0,0,1]
	v_pk_fma_f32 v[138:139], v[164:165], v[148:149], v[128:129] op_sel_hi:[1,0,1]
	v_pk_mul_f32 v[130:131], v[200:201], v[130:131] op_sel_hi:[1,0]
	v_mov_b32_e32 v127, v135
	v_pk_add_f32 v[124:125], v[132:133], v[124:125]
	s_wait_loadcnt 0x2
	v_pk_mul_f32 v[136:137], v[168:169], v[152:153] op_sel:[1,1] op_sel_hi:[0,1]
	v_mov_b32_e32 v132, v155
	v_pk_fma_f32 v[128:129], v[164:165], v[148:149], v[128:129] neg_lo:[0,0,1] neg_hi:[0,0,1]
	v_mov_b32_e32 v129, v139
	v_pk_fma_f32 v[134:135], v[166:167], v[150:151], v[130:131] op_sel_hi:[1,0,1]
	v_pk_add_f32 v[124:125], v[124:125], v[126:127]
	v_pk_fma_f32 v[126:127], v[168:169], v[152:153], v[136:137] op_sel_hi:[1,0,1]
	v_pk_mul_f32 v[132:133], v[202:203], v[132:133] op_sel_hi:[1,0]
	v_pk_fma_f32 v[130:131], v[166:167], v[150:151], v[130:131] neg_lo:[0,0,1] neg_hi:[0,0,1]
	v_mov_b32_e32 v131, v135
	v_pk_add_f32 v[124:125], v[124:125], v[128:129]
	v_pk_fma_f32 v[134:135], v[168:169], v[152:153], v[136:137] neg_lo:[0,0,1] neg_hi:[0,0,1]
	v_mov_b32_e32 v135, v127
	v_pk_fma_f32 v[126:127], v[170:171], v[154:155], v[132:133] op_sel_hi:[1,0,1]
	s_wait_loadcnt 0x1
	v_pk_mul_f32 v[128:129], v[172:173], v[156:157] op_sel:[1,1] op_sel_hi:[0,1]
	v_pk_add_f32 v[124:125], v[124:125], v[130:131]
	v_mov_b32_e32 v126, v159
	v_pk_fma_f32 v[132:133], v[170:171], v[154:155], v[132:133] neg_lo:[0,0,1] neg_hi:[0,0,1]
	v_mov_b32_e32 v133, v127
	v_pk_fma_f32 v[130:131], v[172:173], v[156:157], v[128:129] op_sel_hi:[1,0,1]
	v_pk_add_f32 v[124:125], v[124:125], v[134:135]
	v_pk_mul_f32 v[126:127], v[204:205], v[126:127] op_sel_hi:[1,0]
	v_pk_fma_f32 v[128:129], v[172:173], v[156:157], v[128:129] neg_lo:[0,0,1] neg_hi:[0,0,1]
	s_delay_alu instid0(VALU_DEP_4) | instskip(NEXT) | instid1(VALU_DEP_4)
	v_mov_b32_e32 v129, v131
	v_pk_add_f32 v[124:125], v[124:125], v[132:133]
	s_delay_alu instid0(VALU_DEP_4) | instskip(SKIP_1) | instid1(VALU_DEP_2)
	v_pk_fma_f32 v[130:131], v[174:175], v[158:159], v[126:127] op_sel_hi:[1,0,1]
	v_pk_fma_f32 v[126:127], v[174:175], v[158:159], v[126:127] neg_lo:[0,0,1] neg_hi:[0,0,1]
	v_mov_b32_e32 v127, v131
	s_delay_alu instid0(VALU_DEP_4) | instskip(NEXT) | instid1(VALU_DEP_1)
	v_pk_add_f32 v[124:125], v[124:125], v[128:129]
	v_pk_add_f32 v[124:125], v[124:125], v[126:127]
	s_wait_loadcnt 0x0
	s_delay_alu instid0(VALU_DEP_1)
	v_pk_add_f32 v[124:125], v[196:197], v[124:125] neg_lo:[0,1] neg_hi:[0,1]
	scratch_store_b64 off, v[124:125], off offset:336
	s_wait_xcnt 0x0
	v_cmpx_lt_u32_e32 41, v0
	s_cbranch_execz .LBB60_297
; %bb.296:
	scratch_load_b64 v[124:125], off, off offset:328
	v_mov_b64_e32 v[126:127], 0
	scratch_store_b64 off, v[126:127], off offset:328
	s_wait_loadcnt 0x0
	ds_store_b64 v1, v[124:125]
.LBB60_297:
	s_wait_xcnt 0x0
	s_or_b32 exec_lo, exec_lo, s0
	s_wait_storecnt_dscnt 0x0
	s_barrier_signal -1
	s_barrier_wait -1
	s_clause 0xa
	scratch_load_b128 v[124:127], off, off offset:336
	scratch_load_b128 v[128:131], off, off offset:352
	;; [unrolled: 1-line block ×9, first 2 shown]
	scratch_load_b64 v[196:197], off, off offset:480
	scratch_load_b64 v[198:199], off, off offset:328
	v_mov_b32_e32 v7, 0
	ds_load_b128 v[160:163], v7 offset:912
	ds_load_b128 v[164:167], v7 offset:928
	;; [unrolled: 1-line block ×9, first 2 shown]
	ds_load_b64 v[200:201], v7 offset:976
	s_mov_b32 s0, exec_lo
	s_wait_dscnt 0x9
	v_dual_mov_b32 v202, v163 :: v_dual_mov_b32 v203, v162
	s_wait_dscnt 0x6
	v_dual_mov_b32 v204, v167 :: v_dual_mov_b32 v209, v174
	v_dual_mov_b32 v205, v166 :: v_dual_mov_b32 v206, v171
	;; [unrolled: 1-line block ×3, first 2 shown]
	s_wait_loadcnt_dscnt 0xa05
	v_dual_mul_f32 v9, v176, v125 :: v_dual_mul_f32 v27, v177, v125
	v_dual_mul_f32 v29, v179, v127 :: v_dual_mul_f32 v11, v178, v127
	s_wait_loadcnt_dscnt 0x904
	v_mul_f32_e32 v13, v180, v129
	s_wait_loadcnt_dscnt 0x702
	v_dual_mul_f32 v39, v189, v137 :: v_dual_fma_f32 v27, v176, v124, -v27
	v_dual_fmac_f32 v9, v177, v124 :: v_dual_mul_f32 v41, v191, v139
	v_dual_mul_f32 v31, v181, v129 :: v_dual_mul_f32 v33, v183, v131
	v_dual_fmac_f32 v11, v179, v126 :: v_dual_fma_f32 v29, v178, v126, -v29
	s_delay_alu instid0(VALU_DEP_3) | instskip(SKIP_4) | instid1(VALU_DEP_3)
	v_dual_add_f32 v9, 0, v9 :: v_dual_add_f32 v27, 0, v27
	v_dual_mul_f32 v15, v182, v131 :: v_dual_mul_f32 v17, v184, v133
	s_wait_loadcnt_dscnt 0x601
	v_dual_mul_f32 v43, v193, v141 :: v_dual_fma_f32 v31, v180, v128, -v31
	v_fmac_f32_e32 v13, v181, v128
	v_dual_add_f32 v9, v9, v11 :: v_dual_fmac_f32 v15, v183, v130
	v_add_f32_e32 v11, v27, v29
	v_dual_mul_f32 v35, v185, v133 :: v_dual_mul_f32 v37, v187, v135
	v_dual_mul_f32 v27, v195, v143 :: v_dual_fma_f32 v29, v182, v130, -v33
	s_delay_alu instid0(VALU_DEP_3) | instskip(SKIP_3) | instid1(VALU_DEP_3)
	v_dual_add_f32 v9, v9, v13 :: v_dual_add_f32 v11, v11, v31
	v_dual_mul_f32 v19, v186, v135 :: v_dual_mul_f32 v21, v188, v137
	s_wait_loadcnt 0x5
	v_dual_mul_f32 v13, v161, v145 :: v_dual_fma_f32 v31, v184, v132, -v35
	v_dual_fmac_f32 v17, v185, v132 :: v_dual_add_f32 v11, v11, v29
	v_dual_add_f32 v9, v9, v15 :: v_dual_mov_b32 v124, v147
	v_dual_fmac_f32 v19, v187, v134 :: v_dual_fma_f32 v15, v186, v134, -v37
	s_delay_alu instid0(VALU_DEP_2) | instskip(SKIP_3) | instid1(VALU_DEP_3)
	v_dual_add_f32 v11, v11, v31 :: v_dual_add_f32 v9, v9, v17
	v_dual_mul_f32 v23, v190, v139 :: v_dual_mul_f32 v25, v192, v141
	v_dual_fmac_f32 v21, v189, v136 :: v_dual_fma_f32 v17, v188, v136, -v39
	s_wait_loadcnt 0x4
	v_dual_add_f32 v9, v9, v19 :: v_dual_mov_b32 v128, v151
	v_dual_add_f32 v11, v11, v15 :: v_dual_fma_f32 v15, v190, v138, -v41
	s_delay_alu instid0(VALU_DEP_2) | instskip(SKIP_1) | instid1(VALU_DEP_3)
	v_dual_fmac_f32 v23, v191, v138 :: v_dual_add_f32 v9, v9, v21
	v_dual_mul_f32 v211, v194, v143 :: v_dual_mul_f32 v213, v160, v145
	v_dual_add_f32 v11, v11, v17 :: v_dual_fmac_f32 v25, v193, v140
	s_delay_alu instid0(VALU_DEP_3) | instskip(NEXT) | instid1(VALU_DEP_3)
	v_dual_fma_f32 v17, v192, v140, -v43 :: v_dual_add_f32 v9, v9, v23
	v_fmac_f32_e32 v211, v195, v142
	s_delay_alu instid0(VALU_DEP_3) | instskip(SKIP_1) | instid1(VALU_DEP_4)
	v_dual_add_f32 v11, v11, v15 :: v_dual_fma_f32 v210, v194, v142, -v27
	v_pk_mul_f32 v[124:125], v[202:203], v[124:125] op_sel_hi:[1,0]
	v_add_f32_e32 v133, v9, v25
	v_pk_mul_f32 v[126:127], v[164:165], v[148:149] op_sel:[1,1] op_sel_hi:[0,1]
	s_delay_alu instid0(VALU_DEP_4) | instskip(SKIP_3) | instid1(VALU_DEP_3)
	v_dual_add_f32 v132, v11, v17 :: v_dual_fmac_f32 v213, v161, v144
	s_wait_loadcnt 0x3
	v_dual_mov_b32 v134, v155 :: v_dual_fma_f32 v212, v160, v144, -v13
	v_pk_fma_f32 v[136:137], v[162:163], v[146:147], v[124:125] op_sel_hi:[1,0,1]
	v_pk_add_f32 v[132:133], v[132:133], v[210:211]
	v_pk_fma_f32 v[124:125], v[162:163], v[146:147], v[124:125] neg_lo:[0,0,1] neg_hi:[0,0,1]
	v_pk_fma_f32 v[138:139], v[164:165], v[148:149], v[126:127] op_sel_hi:[1,0,1]
	v_pk_mul_f32 v[128:129], v[204:205], v[128:129] op_sel_hi:[1,0]
	v_mov_b32_e32 v125, v137
	v_pk_add_f32 v[132:133], v[132:133], v[212:213]
	v_pk_fma_f32 v[126:127], v[164:165], v[148:149], v[126:127] neg_lo:[0,0,1] neg_hi:[0,0,1]
	v_pk_mul_f32 v[130:131], v[168:169], v[152:153] op_sel:[1,1] op_sel_hi:[0,1]
	v_mov_b32_e32 v127, v139
	v_pk_fma_f32 v[138:139], v[166:167], v[150:151], v[128:129] op_sel_hi:[1,0,1]
	v_pk_add_f32 v[124:125], v[132:133], v[124:125]
	v_pk_fma_f32 v[128:129], v[166:167], v[150:151], v[128:129] neg_lo:[0,0,1] neg_hi:[0,0,1]
	v_pk_fma_f32 v[132:133], v[168:169], v[152:153], v[130:131] op_sel_hi:[1,0,1]
	v_pk_mul_f32 v[134:135], v[206:207], v[134:135] op_sel_hi:[1,0]
	v_mov_b32_e32 v129, v139
	v_pk_add_f32 v[124:125], v[124:125], v[126:127]
	v_pk_fma_f32 v[130:131], v[168:169], v[152:153], v[130:131] neg_lo:[0,0,1] neg_hi:[0,0,1]
	s_wait_loadcnt 0x2
	v_pk_mul_f32 v[136:137], v[172:173], v[156:157] op_sel:[1,1] op_sel_hi:[0,1]
	v_dual_mov_b32 v126, v159 :: v_dual_mov_b32 v131, v133
	v_pk_fma_f32 v[132:133], v[170:171], v[154:155], v[134:135] op_sel_hi:[1,0,1]
	v_pk_add_f32 v[124:125], v[124:125], v[128:129]
	v_pk_fma_f32 v[134:135], v[170:171], v[154:155], v[134:135] neg_lo:[0,0,1] neg_hi:[0,0,1]
	v_pk_fma_f32 v[128:129], v[172:173], v[156:157], v[136:137] op_sel_hi:[1,0,1]
	v_pk_mul_f32 v[126:127], v[208:209], v[126:127] op_sel_hi:[1,0]
	v_mov_b32_e32 v135, v133
	v_pk_add_f32 v[124:125], v[124:125], v[130:131]
	v_pk_fma_f32 v[130:131], v[172:173], v[156:157], v[136:137] neg_lo:[0,0,1] neg_hi:[0,0,1]
	v_mov_b32_e32 v131, v129
	v_pk_fma_f32 v[128:129], v[174:175], v[158:159], v[126:127] op_sel_hi:[1,0,1]
	s_wait_loadcnt_dscnt 0x100
	v_pk_mul_f32 v[132:133], v[200:201], v[196:197] op_sel:[1,1] op_sel_hi:[0,1]
	v_pk_add_f32 v[124:125], v[124:125], v[134:135]
	v_pk_fma_f32 v[126:127], v[174:175], v[158:159], v[126:127] neg_lo:[0,0,1] neg_hi:[0,0,1]
	v_mov_b32_e32 v127, v129
	s_delay_alu instid0(VALU_DEP_4) | instskip(NEXT) | instid1(VALU_DEP_4)
	v_pk_fma_f32 v[128:129], v[200:201], v[196:197], v[132:133] op_sel_hi:[1,0,1]
	v_pk_add_f32 v[124:125], v[124:125], v[130:131]
	v_pk_fma_f32 v[130:131], v[200:201], v[196:197], v[132:133] neg_lo:[0,0,1] neg_hi:[0,0,1]
	s_delay_alu instid0(VALU_DEP_3) | instskip(NEXT) | instid1(VALU_DEP_3)
	v_mov_b32_e32 v131, v129
	v_pk_add_f32 v[124:125], v[124:125], v[126:127]
	s_delay_alu instid0(VALU_DEP_1) | instskip(SKIP_1) | instid1(VALU_DEP_1)
	v_pk_add_f32 v[124:125], v[124:125], v[130:131]
	s_wait_loadcnt 0x0
	v_pk_add_f32 v[124:125], v[198:199], v[124:125] neg_lo:[0,1] neg_hi:[0,1]
	scratch_store_b64 off, v[124:125], off offset:328
	s_wait_xcnt 0x0
	v_cmpx_lt_u32_e32 40, v0
	s_cbranch_execz .LBB60_299
; %bb.298:
	scratch_load_b64 v[124:125], off, off offset:320
	v_mov_b64_e32 v[126:127], 0
	scratch_store_b64 off, v[126:127], off offset:320
	s_wait_loadcnt 0x0
	ds_store_b64 v1, v[124:125]
.LBB60_299:
	s_wait_xcnt 0x0
	s_or_b32 exec_lo, exec_lo, s0
	s_wait_storecnt_dscnt 0x0
	s_barrier_signal -1
	s_barrier_wait -1
	s_clause 0xa
	scratch_load_b128 v[124:127], off, off offset:328
	scratch_load_b128 v[128:131], off, off offset:344
	;; [unrolled: 1-line block ×10, first 2 shown]
	scratch_load_b64 v[204:205], off, off offset:320
	ds_load_2addr_b64 v[164:167], v7 offset0:115 offset1:116
	ds_load_2addr_b64 v[168:171], v7 offset0:117 offset1:118
	;; [unrolled: 1-line block ×10, first 2 shown]
	s_mov_b32 s0, exec_lo
	s_wait_dscnt 0x9
	v_dual_mov_b32 v206, v167 :: v_dual_mov_b32 v207, v166
	s_wait_dscnt 0x8
	v_dual_mov_b32 v208, v171 :: v_dual_mov_b32 v209, v170
	;; [unrolled: 2-line block ×4, first 2 shown]
	s_wait_loadcnt_dscnt 0xa05
	v_dual_mul_f32 v7, v180, v125 :: v_dual_mul_f32 v9, v182, v127
	v_dual_mul_f32 v27, v181, v125 :: v_dual_mul_f32 v29, v183, v127
	s_wait_loadcnt_dscnt 0x904
	v_dual_mul_f32 v11, v184, v129 :: v_dual_mul_f32 v13, v186, v131
	s_delay_alu instid0(VALU_DEP_3) | instskip(SKIP_3) | instid1(VALU_DEP_3)
	v_dual_fmac_f32 v7, v181, v124 :: v_dual_fmac_f32 v9, v183, v126
	s_wait_loadcnt_dscnt 0x702
	v_dual_fma_f32 v27, v180, v124, -v27 :: v_dual_mul_f32 v39, v193, v137
	v_dual_mul_f32 v31, v185, v129 :: v_dual_mul_f32 v33, v187, v131
	v_dual_fma_f32 v29, v182, v126, -v29 :: v_dual_add_f32 v7, 0, v7
	s_delay_alu instid0(VALU_DEP_3) | instskip(SKIP_1) | instid1(VALU_DEP_4)
	v_dual_add_f32 v27, 0, v27 :: v_dual_fmac_f32 v11, v185, v128
	v_dual_mul_f32 v15, v188, v133 :: v_dual_mul_f32 v17, v190, v135
	v_dual_mul_f32 v41, v195, v139 :: v_dual_fma_f32 v31, v184, v128, -v31
	s_delay_alu instid0(VALU_DEP_4) | instskip(NEXT) | instid1(VALU_DEP_3)
	v_add_f32_e32 v7, v7, v9
	v_dual_add_f32 v9, v27, v29 :: v_dual_fmac_f32 v15, v189, v132
	v_dual_mul_f32 v35, v189, v133 :: v_dual_mul_f32 v37, v191, v135
	s_wait_loadcnt_dscnt 0x601
	v_dual_mul_f32 v27, v197, v141 :: v_dual_fmac_f32 v13, v187, v130
	v_dual_fma_f32 v29, v186, v130, -v33 :: v_dual_add_f32 v7, v7, v11
	s_delay_alu instid0(VALU_DEP_3) | instskip(SKIP_1) | instid1(VALU_DEP_3)
	v_dual_add_f32 v9, v9, v31 :: v_dual_fma_f32 v31, v188, v132, -v35
	v_dual_mul_f32 v19, v192, v137 :: v_dual_mul_f32 v21, v194, v139
	v_add_f32_e32 v7, v7, v13
	s_delay_alu instid0(VALU_DEP_3) | instskip(SKIP_2) | instid1(VALU_DEP_3)
	v_dual_mul_f32 v11, v199, v143 :: v_dual_add_f32 v9, v9, v29
	s_wait_loadcnt_dscnt 0x500
	v_dual_mul_f32 v13, v201, v145 :: v_dual_fmac_f32 v17, v191, v134
	v_dual_fma_f32 v29, v190, v134, -v37 :: v_dual_add_f32 v7, v7, v15
	s_delay_alu instid0(VALU_DEP_3) | instskip(SKIP_1) | instid1(VALU_DEP_3)
	v_dual_add_f32 v9, v9, v31 :: v_dual_fma_f32 v31, v192, v136, -v39
	v_dual_mul_f32 v15, v203, v147 :: v_dual_fmac_f32 v19, v193, v136
	v_dual_add_f32 v7, v7, v17 :: v_dual_fma_f32 v17, v194, v138, -v41
	s_delay_alu instid0(VALU_DEP_3) | instskip(SKIP_1) | instid1(VALU_DEP_3)
	v_dual_add_f32 v9, v9, v29 :: v_dual_fmac_f32 v21, v195, v138
	v_dual_mul_f32 v23, v196, v141 :: v_dual_mul_f32 v25, v198, v143
	v_add_f32_e32 v7, v7, v19
	s_wait_loadcnt 0x4
	s_delay_alu instid0(VALU_DEP_3) | instskip(NEXT) | instid1(VALU_DEP_3)
	v_dual_add_f32 v9, v9, v31 :: v_dual_mov_b32 v126, v151
	v_fmac_f32_e32 v23, v197, v140
	s_delay_alu instid0(VALU_DEP_3) | instskip(NEXT) | instid1(VALU_DEP_3)
	v_dual_fma_f32 v19, v196, v140, -v27 :: v_dual_add_f32 v7, v7, v21
	v_dual_add_f32 v9, v9, v17 :: v_dual_fmac_f32 v25, v199, v142
	v_dual_mul_f32 v215, v200, v145 :: v_dual_mul_f32 v217, v202, v147
	s_delay_alu instid0(VALU_DEP_3) | instskip(SKIP_1) | instid1(VALU_DEP_3)
	v_dual_fma_f32 v11, v198, v142, -v11 :: v_dual_add_f32 v7, v7, v23
	s_wait_loadcnt 0x3
	v_dual_add_f32 v9, v9, v19 :: v_dual_mov_b32 v130, v155
	v_pk_mul_f32 v[124:125], v[164:165], v[148:149] op_sel:[1,1] op_sel_hi:[0,1]
	v_dual_fmac_f32 v215, v201, v144 :: v_dual_fma_f32 v214, v200, v144, -v13
	s_delay_alu instid0(VALU_DEP_3) | instskip(SKIP_1) | instid1(VALU_DEP_4)
	v_dual_add_f32 v133, v7, v25 :: v_dual_add_f32 v132, v9, v11
	v_dual_fmac_f32 v217, v203, v146 :: v_dual_fma_f32 v216, v202, v146, -v15
	v_pk_fma_f32 v[134:135], v[164:165], v[148:149], v[124:125] op_sel_hi:[1,0,1]
	v_pk_mul_f32 v[126:127], v[206:207], v[126:127] op_sel_hi:[1,0]
	s_delay_alu instid0(VALU_DEP_4)
	v_pk_add_f32 v[132:133], v[132:133], v[214:215]
	v_pk_fma_f32 v[124:125], v[164:165], v[148:149], v[124:125] neg_lo:[0,0,1] neg_hi:[0,0,1]
	v_pk_mul_f32 v[128:129], v[168:169], v[152:153] op_sel:[1,1] op_sel_hi:[0,1]
	v_mov_b32_e32 v125, v135
	v_pk_fma_f32 v[134:135], v[166:167], v[150:151], v[126:127] op_sel_hi:[1,0,1]
	v_pk_add_f32 v[132:133], v[132:133], v[216:217]
	v_pk_fma_f32 v[126:127], v[166:167], v[150:151], v[126:127] neg_lo:[0,0,1] neg_hi:[0,0,1]
	v_pk_fma_f32 v[138:139], v[168:169], v[152:153], v[128:129] op_sel_hi:[1,0,1]
	v_pk_mul_f32 v[130:131], v[208:209], v[130:131] op_sel_hi:[1,0]
	v_mov_b32_e32 v127, v135
	v_pk_add_f32 v[124:125], v[132:133], v[124:125]
	s_wait_loadcnt 0x2
	v_pk_mul_f32 v[136:137], v[172:173], v[156:157] op_sel:[1,1] op_sel_hi:[0,1]
	v_mov_b32_e32 v132, v159
	v_pk_fma_f32 v[128:129], v[168:169], v[152:153], v[128:129] neg_lo:[0,0,1] neg_hi:[0,0,1]
	v_mov_b32_e32 v129, v139
	v_pk_fma_f32 v[134:135], v[170:171], v[154:155], v[130:131] op_sel_hi:[1,0,1]
	v_pk_add_f32 v[124:125], v[124:125], v[126:127]
	v_pk_fma_f32 v[126:127], v[172:173], v[156:157], v[136:137] op_sel_hi:[1,0,1]
	v_pk_mul_f32 v[132:133], v[210:211], v[132:133] op_sel_hi:[1,0]
	v_pk_fma_f32 v[130:131], v[170:171], v[154:155], v[130:131] neg_lo:[0,0,1] neg_hi:[0,0,1]
	v_mov_b32_e32 v131, v135
	v_pk_add_f32 v[124:125], v[124:125], v[128:129]
	v_pk_fma_f32 v[134:135], v[172:173], v[156:157], v[136:137] neg_lo:[0,0,1] neg_hi:[0,0,1]
	v_mov_b32_e32 v135, v127
	v_pk_fma_f32 v[126:127], v[174:175], v[158:159], v[132:133] op_sel_hi:[1,0,1]
	s_wait_loadcnt 0x1
	v_pk_mul_f32 v[128:129], v[176:177], v[160:161] op_sel:[1,1] op_sel_hi:[0,1]
	v_pk_add_f32 v[124:125], v[124:125], v[130:131]
	v_mov_b32_e32 v126, v163
	v_pk_fma_f32 v[132:133], v[174:175], v[158:159], v[132:133] neg_lo:[0,0,1] neg_hi:[0,0,1]
	v_mov_b32_e32 v133, v127
	v_pk_fma_f32 v[130:131], v[176:177], v[160:161], v[128:129] op_sel_hi:[1,0,1]
	v_pk_add_f32 v[124:125], v[124:125], v[134:135]
	v_pk_mul_f32 v[126:127], v[212:213], v[126:127] op_sel_hi:[1,0]
	v_pk_fma_f32 v[128:129], v[176:177], v[160:161], v[128:129] neg_lo:[0,0,1] neg_hi:[0,0,1]
	s_delay_alu instid0(VALU_DEP_4) | instskip(NEXT) | instid1(VALU_DEP_4)
	v_mov_b32_e32 v129, v131
	v_pk_add_f32 v[124:125], v[124:125], v[132:133]
	s_delay_alu instid0(VALU_DEP_4) | instskip(SKIP_1) | instid1(VALU_DEP_2)
	v_pk_fma_f32 v[130:131], v[178:179], v[162:163], v[126:127] op_sel_hi:[1,0,1]
	v_pk_fma_f32 v[126:127], v[178:179], v[162:163], v[126:127] neg_lo:[0,0,1] neg_hi:[0,0,1]
	v_mov_b32_e32 v127, v131
	s_delay_alu instid0(VALU_DEP_4) | instskip(NEXT) | instid1(VALU_DEP_1)
	v_pk_add_f32 v[124:125], v[124:125], v[128:129]
	v_pk_add_f32 v[124:125], v[124:125], v[126:127]
	s_wait_loadcnt 0x0
	s_delay_alu instid0(VALU_DEP_1)
	v_pk_add_f32 v[124:125], v[204:205], v[124:125] neg_lo:[0,1] neg_hi:[0,1]
	scratch_store_b64 off, v[124:125], off offset:320
	s_wait_xcnt 0x0
	v_cmpx_lt_u32_e32 39, v0
	s_cbranch_execz .LBB60_301
; %bb.300:
	scratch_load_b64 v[124:125], off, off offset:312
	v_mov_b64_e32 v[126:127], 0
	scratch_store_b64 off, v[126:127], off offset:312
	s_wait_loadcnt 0x0
	ds_store_b64 v1, v[124:125]
.LBB60_301:
	s_wait_xcnt 0x0
	s_or_b32 exec_lo, exec_lo, s0
	s_wait_storecnt_dscnt 0x0
	s_barrier_signal -1
	s_barrier_wait -1
	s_clause 0xb
	scratch_load_b128 v[124:127], off, off offset:320
	scratch_load_b128 v[128:131], off, off offset:336
	;; [unrolled: 1-line block ×10, first 2 shown]
	scratch_load_b64 v[204:205], off, off offset:480
	scratch_load_b64 v[206:207], off, off offset:312
	v_mov_b32_e32 v7, 0
	ds_load_b128 v[164:167], v7 offset:912
	ds_load_b128 v[168:171], v7 offset:928
	;; [unrolled: 1-line block ×10, first 2 shown]
	ds_load_b64 v[208:209], v7 offset:976
	s_mov_b32 s0, exec_lo
	s_wait_dscnt 0xa
	v_dual_mov_b32 v210, v167 :: v_dual_mov_b32 v211, v166
	s_wait_dscnt 0x7
	v_dual_mov_b32 v212, v171 :: v_dual_mov_b32 v217, v178
	v_dual_mov_b32 v213, v170 :: v_dual_mov_b32 v214, v175
	;; [unrolled: 1-line block ×3, first 2 shown]
	s_wait_loadcnt_dscnt 0xb06
	v_dual_mul_f32 v9, v180, v125 :: v_dual_mul_f32 v31, v181, v125
	v_dual_mul_f32 v33, v183, v127 :: v_dual_mul_f32 v11, v182, v127
	s_wait_loadcnt_dscnt 0xa05
	v_mul_f32_e32 v13, v184, v129
	s_wait_loadcnt_dscnt 0x803
	v_dual_mul_f32 v43, v193, v137 :: v_dual_fma_f32 v31, v180, v124, -v31
	v_dual_fmac_f32 v9, v181, v124 :: v_dual_mul_f32 v45, v195, v139
	v_dual_mul_f32 v35, v185, v129 :: v_dual_mul_f32 v37, v187, v131
	v_dual_fmac_f32 v11, v183, v126 :: v_dual_fma_f32 v33, v182, v126, -v33
	s_delay_alu instid0(VALU_DEP_3) | instskip(SKIP_4) | instid1(VALU_DEP_3)
	v_dual_add_f32 v9, 0, v9 :: v_dual_add_f32 v31, 0, v31
	v_dual_mul_f32 v15, v186, v131 :: v_dual_mul_f32 v17, v188, v133
	s_wait_loadcnt_dscnt 0x702
	v_dual_mul_f32 v47, v197, v141 :: v_dual_fma_f32 v35, v184, v128, -v35
	v_fmac_f32_e32 v13, v185, v128
	v_dual_add_f32 v9, v9, v11 :: v_dual_fmac_f32 v15, v187, v130
	v_add_f32_e32 v11, v31, v33
	v_dual_mul_f32 v39, v189, v133 :: v_dual_mul_f32 v41, v191, v135
	v_dual_mul_f32 v31, v199, v143 :: v_dual_fma_f32 v33, v186, v130, -v37
	s_delay_alu instid0(VALU_DEP_3) | instskip(SKIP_3) | instid1(VALU_DEP_3)
	v_dual_add_f32 v9, v9, v13 :: v_dual_add_f32 v11, v11, v35
	v_dual_mul_f32 v19, v190, v135 :: v_dual_mul_f32 v21, v192, v137
	s_wait_loadcnt_dscnt 0x601
	v_dual_mul_f32 v13, v201, v145 :: v_dual_fma_f32 v35, v188, v132, -v39
	v_dual_fmac_f32 v17, v189, v132 :: v_dual_add_f32 v11, v11, v33
	s_delay_alu instid0(VALU_DEP_3) | instskip(SKIP_1) | instid1(VALU_DEP_2)
	v_dual_add_f32 v9, v9, v15 :: v_dual_fmac_f32 v19, v191, v134
	v_dual_mul_f32 v15, v203, v147 :: v_dual_fma_f32 v33, v190, v134, -v41
	v_dual_add_f32 v11, v11, v35 :: v_dual_add_f32 v9, v9, v17
	v_dual_mul_f32 v23, v194, v139 :: v_dual_mul_f32 v25, v196, v141
	s_wait_loadcnt 0x5
	v_dual_mul_f32 v17, v165, v149 :: v_dual_fma_f32 v35, v192, v136, -v43
	s_delay_alu instid0(VALU_DEP_3) | instskip(SKIP_2) | instid1(VALU_DEP_2)
	v_dual_fmac_f32 v21, v193, v136 :: v_dual_add_f32 v11, v11, v33
	v_dual_add_f32 v9, v9, v19 :: v_dual_mov_b32 v124, v151
	v_dual_fmac_f32 v23, v195, v138 :: v_dual_fma_f32 v19, v194, v138, -v45
	v_dual_add_f32 v11, v11, v35 :: v_dual_add_f32 v9, v9, v21
	v_dual_mul_f32 v27, v198, v143 :: v_dual_mul_f32 v29, v200, v145
	v_dual_fmac_f32 v25, v197, v140 :: v_dual_fma_f32 v21, v196, v140, -v47
	s_wait_loadcnt 0x4
	s_delay_alu instid0(VALU_DEP_3) | instskip(SKIP_1) | instid1(VALU_DEP_2)
	v_dual_add_f32 v9, v9, v23 :: v_dual_mov_b32 v128, v155
	v_dual_add_f32 v11, v11, v19 :: v_dual_fma_f32 v19, v198, v142, -v31
	v_dual_fmac_f32 v27, v199, v142 :: v_dual_add_f32 v9, v9, v25
	v_dual_mul_f32 v219, v202, v147 :: v_dual_mul_f32 v221, v164, v149
	s_delay_alu instid0(VALU_DEP_3) | instskip(NEXT) | instid1(VALU_DEP_3)
	v_dual_add_f32 v11, v11, v21 :: v_dual_fmac_f32 v29, v201, v144
	v_dual_fma_f32 v13, v200, v144, -v13 :: v_dual_add_f32 v9, v9, v27
	s_delay_alu instid0(VALU_DEP_3) | instskip(NEXT) | instid1(VALU_DEP_3)
	v_fmac_f32_e32 v219, v203, v146
	v_dual_add_f32 v11, v11, v19 :: v_dual_fma_f32 v218, v202, v146, -v15
	v_pk_mul_f32 v[124:125], v[210:211], v[124:125] op_sel_hi:[1,0]
	s_delay_alu instid0(VALU_DEP_4) | instskip(SKIP_1) | instid1(VALU_DEP_4)
	v_add_f32_e32 v133, v9, v29
	v_pk_mul_f32 v[126:127], v[168:169], v[152:153] op_sel:[1,1] op_sel_hi:[0,1]
	v_dual_add_f32 v132, v11, v13 :: v_dual_fmac_f32 v221, v165, v148
	s_wait_loadcnt 0x3
	v_dual_mov_b32 v134, v159 :: v_dual_fma_f32 v220, v164, v148, -v17
	v_pk_fma_f32 v[136:137], v[166:167], v[150:151], v[124:125] op_sel_hi:[1,0,1]
	s_delay_alu instid0(VALU_DEP_3)
	v_pk_add_f32 v[132:133], v[132:133], v[218:219]
	v_pk_fma_f32 v[124:125], v[166:167], v[150:151], v[124:125] neg_lo:[0,0,1] neg_hi:[0,0,1]
	v_pk_fma_f32 v[138:139], v[168:169], v[152:153], v[126:127] op_sel_hi:[1,0,1]
	v_pk_mul_f32 v[128:129], v[212:213], v[128:129] op_sel_hi:[1,0]
	v_mov_b32_e32 v125, v137
	v_pk_add_f32 v[132:133], v[132:133], v[220:221]
	v_pk_fma_f32 v[126:127], v[168:169], v[152:153], v[126:127] neg_lo:[0,0,1] neg_hi:[0,0,1]
	v_pk_mul_f32 v[130:131], v[172:173], v[156:157] op_sel:[1,1] op_sel_hi:[0,1]
	v_mov_b32_e32 v127, v139
	v_pk_fma_f32 v[138:139], v[170:171], v[154:155], v[128:129] op_sel_hi:[1,0,1]
	v_pk_add_f32 v[124:125], v[132:133], v[124:125]
	v_pk_fma_f32 v[128:129], v[170:171], v[154:155], v[128:129] neg_lo:[0,0,1] neg_hi:[0,0,1]
	v_pk_fma_f32 v[132:133], v[172:173], v[156:157], v[130:131] op_sel_hi:[1,0,1]
	v_pk_mul_f32 v[134:135], v[214:215], v[134:135] op_sel_hi:[1,0]
	v_mov_b32_e32 v129, v139
	v_pk_add_f32 v[124:125], v[124:125], v[126:127]
	v_pk_fma_f32 v[130:131], v[172:173], v[156:157], v[130:131] neg_lo:[0,0,1] neg_hi:[0,0,1]
	s_wait_loadcnt 0x2
	v_pk_mul_f32 v[136:137], v[176:177], v[160:161] op_sel:[1,1] op_sel_hi:[0,1]
	v_dual_mov_b32 v126, v163 :: v_dual_mov_b32 v131, v133
	v_pk_fma_f32 v[132:133], v[174:175], v[158:159], v[134:135] op_sel_hi:[1,0,1]
	v_pk_add_f32 v[124:125], v[124:125], v[128:129]
	v_pk_fma_f32 v[134:135], v[174:175], v[158:159], v[134:135] neg_lo:[0,0,1] neg_hi:[0,0,1]
	v_pk_fma_f32 v[128:129], v[176:177], v[160:161], v[136:137] op_sel_hi:[1,0,1]
	v_pk_mul_f32 v[126:127], v[216:217], v[126:127] op_sel_hi:[1,0]
	v_mov_b32_e32 v135, v133
	v_pk_add_f32 v[124:125], v[124:125], v[130:131]
	v_pk_fma_f32 v[130:131], v[176:177], v[160:161], v[136:137] neg_lo:[0,0,1] neg_hi:[0,0,1]
	v_mov_b32_e32 v131, v129
	v_pk_fma_f32 v[128:129], v[178:179], v[162:163], v[126:127] op_sel_hi:[1,0,1]
	s_wait_loadcnt_dscnt 0x100
	v_pk_mul_f32 v[132:133], v[208:209], v[204:205] op_sel:[1,1] op_sel_hi:[0,1]
	v_pk_add_f32 v[124:125], v[124:125], v[134:135]
	v_pk_fma_f32 v[126:127], v[178:179], v[162:163], v[126:127] neg_lo:[0,0,1] neg_hi:[0,0,1]
	v_mov_b32_e32 v127, v129
	s_delay_alu instid0(VALU_DEP_4) | instskip(NEXT) | instid1(VALU_DEP_4)
	v_pk_fma_f32 v[128:129], v[208:209], v[204:205], v[132:133] op_sel_hi:[1,0,1]
	v_pk_add_f32 v[124:125], v[124:125], v[130:131]
	v_pk_fma_f32 v[130:131], v[208:209], v[204:205], v[132:133] neg_lo:[0,0,1] neg_hi:[0,0,1]
	s_delay_alu instid0(VALU_DEP_3) | instskip(NEXT) | instid1(VALU_DEP_3)
	v_mov_b32_e32 v131, v129
	v_pk_add_f32 v[124:125], v[124:125], v[126:127]
	s_delay_alu instid0(VALU_DEP_1) | instskip(SKIP_1) | instid1(VALU_DEP_1)
	v_pk_add_f32 v[124:125], v[124:125], v[130:131]
	s_wait_loadcnt 0x0
	v_pk_add_f32 v[124:125], v[206:207], v[124:125] neg_lo:[0,1] neg_hi:[0,1]
	scratch_store_b64 off, v[124:125], off offset:312
	s_wait_xcnt 0x0
	v_cmpx_lt_u32_e32 38, v0
	s_cbranch_execz .LBB60_303
; %bb.302:
	scratch_load_b64 v[124:125], off, off offset:304
	v_mov_b64_e32 v[126:127], 0
	scratch_store_b64 off, v[126:127], off offset:304
	s_wait_loadcnt 0x0
	ds_store_b64 v1, v[124:125]
.LBB60_303:
	s_wait_xcnt 0x0
	s_or_b32 exec_lo, exec_lo, s0
	s_wait_storecnt_dscnt 0x0
	s_barrier_signal -1
	s_barrier_wait -1
	s_clause 0xb
	scratch_load_b128 v[124:127], off, off offset:312
	scratch_load_b128 v[128:131], off, off offset:328
	;; [unrolled: 1-line block ×11, first 2 shown]
	scratch_load_b64 v[212:213], off, off offset:304
	ds_load_2addr_b64 v[168:171], v7 offset0:115 offset1:116
	ds_load_2addr_b64 v[172:175], v7 offset0:117 offset1:118
	;; [unrolled: 1-line block ×11, first 2 shown]
	s_mov_b32 s0, exec_lo
	s_wait_dscnt 0xa
	v_dual_mov_b32 v214, v171 :: v_dual_mov_b32 v215, v170
	s_wait_dscnt 0x9
	v_dual_mov_b32 v216, v175 :: v_dual_mov_b32 v217, v174
	;; [unrolled: 2-line block ×4, first 2 shown]
	s_wait_loadcnt_dscnt 0xb06
	v_dual_mul_f32 v7, v184, v125 :: v_dual_mul_f32 v9, v186, v127
	v_dual_mul_f32 v31, v185, v125 :: v_dual_mul_f32 v33, v187, v127
	s_wait_loadcnt_dscnt 0xa05
	v_dual_mul_f32 v11, v188, v129 :: v_dual_mul_f32 v13, v190, v131
	s_delay_alu instid0(VALU_DEP_3) | instskip(SKIP_3) | instid1(VALU_DEP_3)
	v_dual_fmac_f32 v7, v185, v124 :: v_dual_fmac_f32 v9, v187, v126
	s_wait_loadcnt_dscnt 0x803
	v_dual_fma_f32 v31, v184, v124, -v31 :: v_dual_mul_f32 v43, v197, v137
	v_dual_mul_f32 v35, v189, v129 :: v_dual_mul_f32 v37, v191, v131
	v_dual_fma_f32 v33, v186, v126, -v33 :: v_dual_add_f32 v7, 0, v7
	s_delay_alu instid0(VALU_DEP_3) | instskip(SKIP_1) | instid1(VALU_DEP_4)
	v_dual_add_f32 v31, 0, v31 :: v_dual_fmac_f32 v11, v189, v128
	v_dual_mul_f32 v15, v192, v133 :: v_dual_mul_f32 v17, v194, v135
	v_dual_mul_f32 v45, v199, v139 :: v_dual_fma_f32 v35, v188, v128, -v35
	s_delay_alu instid0(VALU_DEP_4) | instskip(NEXT) | instid1(VALU_DEP_3)
	v_add_f32_e32 v7, v7, v9
	v_dual_add_f32 v9, v31, v33 :: v_dual_fmac_f32 v15, v193, v132
	v_dual_mul_f32 v39, v193, v133 :: v_dual_mul_f32 v41, v195, v135
	s_wait_loadcnt_dscnt 0x702
	v_dual_mul_f32 v31, v201, v141 :: v_dual_fmac_f32 v13, v191, v130
	v_dual_fma_f32 v33, v190, v130, -v37 :: v_dual_add_f32 v7, v7, v11
	s_delay_alu instid0(VALU_DEP_3) | instskip(SKIP_1) | instid1(VALU_DEP_3)
	v_dual_add_f32 v9, v9, v35 :: v_dual_fma_f32 v35, v192, v132, -v39
	v_dual_mul_f32 v19, v196, v137 :: v_dual_mul_f32 v21, v198, v139
	v_add_f32_e32 v7, v7, v13
	s_delay_alu instid0(VALU_DEP_3) | instskip(SKIP_2) | instid1(VALU_DEP_3)
	v_dual_mul_f32 v11, v203, v143 :: v_dual_add_f32 v9, v9, v33
	s_wait_loadcnt_dscnt 0x601
	v_dual_mul_f32 v13, v205, v145 :: v_dual_fmac_f32 v17, v195, v134
	v_dual_fma_f32 v33, v194, v134, -v41 :: v_dual_add_f32 v7, v7, v15
	s_delay_alu instid0(VALU_DEP_3) | instskip(SKIP_1) | instid1(VALU_DEP_3)
	v_dual_add_f32 v9, v9, v35 :: v_dual_fma_f32 v35, v196, v136, -v43
	v_dual_mul_f32 v15, v207, v147 :: v_dual_fmac_f32 v19, v197, v136
	v_add_f32_e32 v7, v7, v17
	s_delay_alu instid0(VALU_DEP_3)
	v_dual_add_f32 v9, v9, v33 :: v_dual_fmac_f32 v21, v199, v138
	v_dual_mul_f32 v23, v200, v141 :: v_dual_mul_f32 v25, v202, v143
	s_wait_loadcnt_dscnt 0x500
	v_dual_fma_f32 v33, v198, v138, -v45 :: v_dual_mul_f32 v17, v209, v149
	v_add_f32_e32 v7, v7, v19
	v_dual_add_f32 v9, v9, v35 :: v_dual_fma_f32 v31, v200, v140, -v31
	v_dual_mul_f32 v19, v211, v151 :: v_dual_fmac_f32 v23, v201, v140
	s_delay_alu instid0(VALU_DEP_3) | instskip(NEXT) | instid1(VALU_DEP_3)
	v_dual_add_f32 v7, v7, v21 :: v_dual_fma_f32 v11, v202, v142, -v11
	v_dual_add_f32 v9, v9, v33 :: v_dual_fmac_f32 v25, v203, v142
	v_dual_mul_f32 v27, v204, v145 :: v_dual_mul_f32 v29, v206, v147
	s_delay_alu instid0(VALU_DEP_3) | instskip(SKIP_1) | instid1(VALU_DEP_3)
	v_add_f32_e32 v7, v7, v23
	s_wait_loadcnt 0x4
	v_dual_add_f32 v9, v9, v31 :: v_dual_mov_b32 v126, v155
	s_delay_alu instid0(VALU_DEP_3) | instskip(NEXT) | instid1(VALU_DEP_2)
	v_dual_fmac_f32 v27, v205, v144 :: v_dual_fma_f32 v13, v204, v144, -v13
	v_dual_add_f32 v7, v7, v25 :: v_dual_add_f32 v9, v9, v11
	v_dual_fmac_f32 v29, v207, v146 :: v_dual_mul_f32 v223, v208, v149
	v_mul_f32_e32 v225, v210, v151
	s_delay_alu instid0(VALU_DEP_3) | instskip(SKIP_4) | instid1(VALU_DEP_3)
	v_dual_fma_f32 v11, v206, v146, -v15 :: v_dual_add_f32 v7, v7, v27
	s_wait_loadcnt 0x3
	v_dual_add_f32 v9, v9, v13 :: v_dual_mov_b32 v130, v159
	v_pk_mul_f32 v[124:125], v[168:169], v[152:153] op_sel:[1,1] op_sel_hi:[0,1]
	v_dual_fmac_f32 v223, v209, v148 :: v_dual_fma_f32 v222, v208, v148, -v17
	v_dual_add_f32 v133, v7, v29 :: v_dual_add_f32 v132, v9, v11
	v_dual_fmac_f32 v225, v211, v150 :: v_dual_fma_f32 v224, v210, v150, -v19
	s_delay_alu instid0(VALU_DEP_4) | instskip(SKIP_1) | instid1(VALU_DEP_4)
	v_pk_fma_f32 v[134:135], v[168:169], v[152:153], v[124:125] op_sel_hi:[1,0,1]
	v_pk_mul_f32 v[126:127], v[214:215], v[126:127] op_sel_hi:[1,0]
	v_pk_add_f32 v[132:133], v[132:133], v[222:223]
	v_pk_fma_f32 v[124:125], v[168:169], v[152:153], v[124:125] neg_lo:[0,0,1] neg_hi:[0,0,1]
	v_pk_mul_f32 v[128:129], v[172:173], v[156:157] op_sel:[1,1] op_sel_hi:[0,1]
	v_mov_b32_e32 v125, v135
	v_pk_fma_f32 v[134:135], v[170:171], v[154:155], v[126:127] op_sel_hi:[1,0,1]
	v_pk_add_f32 v[132:133], v[132:133], v[224:225]
	v_pk_fma_f32 v[126:127], v[170:171], v[154:155], v[126:127] neg_lo:[0,0,1] neg_hi:[0,0,1]
	v_pk_fma_f32 v[138:139], v[172:173], v[156:157], v[128:129] op_sel_hi:[1,0,1]
	v_pk_mul_f32 v[130:131], v[216:217], v[130:131] op_sel_hi:[1,0]
	v_mov_b32_e32 v127, v135
	v_pk_add_f32 v[124:125], v[132:133], v[124:125]
	s_wait_loadcnt 0x2
	v_pk_mul_f32 v[136:137], v[176:177], v[160:161] op_sel:[1,1] op_sel_hi:[0,1]
	v_mov_b32_e32 v132, v163
	v_pk_fma_f32 v[128:129], v[172:173], v[156:157], v[128:129] neg_lo:[0,0,1] neg_hi:[0,0,1]
	v_mov_b32_e32 v129, v139
	v_pk_fma_f32 v[134:135], v[174:175], v[158:159], v[130:131] op_sel_hi:[1,0,1]
	v_pk_add_f32 v[124:125], v[124:125], v[126:127]
	v_pk_fma_f32 v[126:127], v[176:177], v[160:161], v[136:137] op_sel_hi:[1,0,1]
	v_pk_mul_f32 v[132:133], v[218:219], v[132:133] op_sel_hi:[1,0]
	v_pk_fma_f32 v[130:131], v[174:175], v[158:159], v[130:131] neg_lo:[0,0,1] neg_hi:[0,0,1]
	v_mov_b32_e32 v131, v135
	v_pk_add_f32 v[124:125], v[124:125], v[128:129]
	v_pk_fma_f32 v[134:135], v[176:177], v[160:161], v[136:137] neg_lo:[0,0,1] neg_hi:[0,0,1]
	v_mov_b32_e32 v135, v127
	v_pk_fma_f32 v[126:127], v[178:179], v[162:163], v[132:133] op_sel_hi:[1,0,1]
	s_wait_loadcnt 0x1
	v_pk_mul_f32 v[128:129], v[180:181], v[164:165] op_sel:[1,1] op_sel_hi:[0,1]
	v_pk_add_f32 v[124:125], v[124:125], v[130:131]
	v_mov_b32_e32 v126, v167
	v_pk_fma_f32 v[132:133], v[178:179], v[162:163], v[132:133] neg_lo:[0,0,1] neg_hi:[0,0,1]
	v_mov_b32_e32 v133, v127
	v_pk_fma_f32 v[130:131], v[180:181], v[164:165], v[128:129] op_sel_hi:[1,0,1]
	v_pk_add_f32 v[124:125], v[124:125], v[134:135]
	v_pk_mul_f32 v[126:127], v[220:221], v[126:127] op_sel_hi:[1,0]
	v_pk_fma_f32 v[128:129], v[180:181], v[164:165], v[128:129] neg_lo:[0,0,1] neg_hi:[0,0,1]
	s_delay_alu instid0(VALU_DEP_4) | instskip(NEXT) | instid1(VALU_DEP_4)
	v_mov_b32_e32 v129, v131
	v_pk_add_f32 v[124:125], v[124:125], v[132:133]
	s_delay_alu instid0(VALU_DEP_4) | instskip(SKIP_1) | instid1(VALU_DEP_2)
	v_pk_fma_f32 v[130:131], v[182:183], v[166:167], v[126:127] op_sel_hi:[1,0,1]
	v_pk_fma_f32 v[126:127], v[182:183], v[166:167], v[126:127] neg_lo:[0,0,1] neg_hi:[0,0,1]
	v_mov_b32_e32 v127, v131
	s_delay_alu instid0(VALU_DEP_4) | instskip(NEXT) | instid1(VALU_DEP_1)
	v_pk_add_f32 v[124:125], v[124:125], v[128:129]
	v_pk_add_f32 v[124:125], v[124:125], v[126:127]
	s_wait_loadcnt 0x0
	s_delay_alu instid0(VALU_DEP_1)
	v_pk_add_f32 v[124:125], v[212:213], v[124:125] neg_lo:[0,1] neg_hi:[0,1]
	scratch_store_b64 off, v[124:125], off offset:304
	s_wait_xcnt 0x0
	v_cmpx_lt_u32_e32 37, v0
	s_cbranch_execz .LBB60_305
; %bb.304:
	scratch_load_b64 v[124:125], off, off offset:296
	v_mov_b64_e32 v[126:127], 0
	scratch_store_b64 off, v[126:127], off offset:296
	s_wait_loadcnt 0x0
	ds_store_b64 v1, v[124:125]
.LBB60_305:
	s_wait_xcnt 0x0
	s_or_b32 exec_lo, exec_lo, s0
	s_wait_storecnt_dscnt 0x0
	s_barrier_signal -1
	s_barrier_wait -1
	s_clause 0xc
	scratch_load_b128 v[124:127], off, off offset:304
	scratch_load_b128 v[128:131], off, off offset:320
	;; [unrolled: 1-line block ×11, first 2 shown]
	scratch_load_b64 v[212:213], off, off offset:480
	scratch_load_b64 v[214:215], off, off offset:296
	v_mov_b32_e32 v7, 0
	ds_load_b128 v[168:171], v7 offset:912
	ds_load_b128 v[172:175], v7 offset:928
	;; [unrolled: 1-line block ×11, first 2 shown]
	ds_load_b64 v[216:217], v7 offset:976
	s_mov_b32 s0, exec_lo
	s_wait_dscnt 0xb
	v_dual_mov_b32 v218, v171 :: v_dual_mov_b32 v219, v170
	s_wait_dscnt 0x8
	v_dual_mov_b32 v220, v175 :: v_dual_mov_b32 v225, v182
	v_dual_mov_b32 v221, v174 :: v_dual_mov_b32 v222, v179
	;; [unrolled: 1-line block ×3, first 2 shown]
	s_wait_loadcnt_dscnt 0xc07
	v_dual_mul_f32 v9, v184, v125 :: v_dual_mul_f32 v35, v185, v125
	v_dual_mul_f32 v37, v187, v127 :: v_dual_mul_f32 v11, v186, v127
	s_wait_loadcnt_dscnt 0xb06
	v_mul_f32_e32 v13, v188, v129
	s_wait_loadcnt_dscnt 0x904
	v_dual_mul_f32 v47, v197, v137 :: v_dual_fma_f32 v35, v184, v124, -v35
	v_dual_fmac_f32 v9, v185, v124 :: v_dual_mul_f32 v49, v199, v139
	v_dual_mul_f32 v39, v189, v129 :: v_dual_mul_f32 v41, v191, v131
	v_dual_fmac_f32 v11, v187, v126 :: v_dual_fma_f32 v37, v186, v126, -v37
	s_delay_alu instid0(VALU_DEP_3) | instskip(SKIP_4) | instid1(VALU_DEP_3)
	v_dual_add_f32 v9, 0, v9 :: v_dual_add_f32 v35, 0, v35
	v_dual_mul_f32 v15, v190, v131 :: v_dual_mul_f32 v17, v192, v133
	s_wait_loadcnt_dscnt 0x803
	v_dual_mul_f32 v51, v201, v141 :: v_dual_fma_f32 v39, v188, v128, -v39
	v_fmac_f32_e32 v13, v189, v128
	v_dual_add_f32 v9, v9, v11 :: v_dual_fmac_f32 v15, v191, v130
	v_add_f32_e32 v11, v35, v37
	v_dual_mul_f32 v43, v193, v133 :: v_dual_mul_f32 v45, v195, v135
	v_dual_mul_f32 v35, v203, v143 :: v_dual_fma_f32 v37, v190, v130, -v41
	s_delay_alu instid0(VALU_DEP_3) | instskip(SKIP_3) | instid1(VALU_DEP_3)
	v_dual_add_f32 v9, v9, v13 :: v_dual_add_f32 v11, v11, v39
	v_dual_mul_f32 v19, v194, v135 :: v_dual_mul_f32 v21, v196, v137
	s_wait_loadcnt_dscnt 0x701
	v_dual_mul_f32 v13, v209, v145 :: v_dual_fma_f32 v39, v192, v132, -v43
	v_dual_fmac_f32 v17, v193, v132 :: v_dual_add_f32 v11, v11, v37
	s_delay_alu instid0(VALU_DEP_3) | instskip(SKIP_1) | instid1(VALU_DEP_2)
	v_dual_add_f32 v9, v9, v15 :: v_dual_fmac_f32 v19, v195, v134
	v_dual_mul_f32 v15, v211, v147 :: v_dual_fma_f32 v37, v194, v134, -v45
	v_dual_add_f32 v11, v11, v39 :: v_dual_add_f32 v9, v9, v17
	v_dual_mul_f32 v23, v198, v139 :: v_dual_mul_f32 v25, v200, v141
	s_wait_loadcnt 0x6
	v_dual_mul_f32 v17, v205, v149 :: v_dual_fma_f32 v39, v196, v136, -v47
	s_delay_alu instid0(VALU_DEP_3) | instskip(NEXT) | instid1(VALU_DEP_3)
	v_dual_fmac_f32 v21, v197, v136 :: v_dual_add_f32 v11, v11, v37
	v_dual_add_f32 v9, v9, v19 :: v_dual_fmac_f32 v23, v199, v138
	v_dual_mul_f32 v19, v207, v151 :: v_dual_fma_f32 v37, v198, v138, -v49
	s_delay_alu instid0(VALU_DEP_2) | instskip(SKIP_3) | instid1(VALU_DEP_3)
	v_dual_add_f32 v11, v11, v39 :: v_dual_add_f32 v9, v9, v21
	v_dual_mul_f32 v27, v202, v143 :: v_dual_mul_f32 v29, v208, v145
	s_wait_loadcnt 0x5
	v_dual_mul_f32 v21, v169, v153 :: v_dual_fma_f32 v39, v200, v140, -v51
	v_dual_fmac_f32 v25, v201, v140 :: v_dual_add_f32 v11, v11, v37
	v_dual_add_f32 v9, v9, v23 :: v_dual_mov_b32 v124, v155
	v_fmac_f32_e32 v27, v203, v142
	s_delay_alu instid0(VALU_DEP_3) | instskip(NEXT) | instid1(VALU_DEP_3)
	v_dual_fma_f32 v23, v202, v142, -v35 :: v_dual_add_f32 v11, v11, v39
	v_dual_add_f32 v9, v9, v25 :: v_dual_mul_f32 v31, v210, v147
	v_dual_mul_f32 v33, v204, v149 :: v_dual_fmac_f32 v29, v209, v144
	s_delay_alu instid0(VALU_DEP_3) | instskip(SKIP_1) | instid1(VALU_DEP_3)
	v_dual_add_f32 v11, v11, v23 :: v_dual_fma_f32 v13, v208, v144, -v13
	s_wait_loadcnt 0x4
	v_dual_add_f32 v9, v9, v27 :: v_dual_mov_b32 v128, v159
	v_fma_f32 v15, v210, v146, -v15
	v_fmac_f32_e32 v31, v211, v146
	v_dual_add_f32 v11, v11, v13 :: v_dual_fmac_f32 v33, v205, v148
	s_delay_alu instid0(VALU_DEP_4) | instskip(SKIP_1) | instid1(VALU_DEP_3)
	v_dual_add_f32 v9, v9, v29 :: v_dual_mul_f32 v227, v206, v151
	v_mul_f32_e32 v229, v168, v153
	v_dual_fma_f32 v13, v204, v148, -v17 :: v_dual_add_f32 v11, v11, v15
	s_delay_alu instid0(VALU_DEP_3) | instskip(NEXT) | instid1(VALU_DEP_4)
	v_dual_fma_f32 v226, v206, v150, -v19 :: v_dual_add_f32 v9, v9, v31
	v_fmac_f32_e32 v227, v207, v150
	v_pk_mul_f32 v[124:125], v[218:219], v[124:125] op_sel_hi:[1,0]
	s_delay_alu instid0(VALU_DEP_4) | instskip(NEXT) | instid1(VALU_DEP_4)
	v_dual_add_f32 v132, v11, v13 :: v_dual_fmac_f32 v229, v169, v152
	v_add_f32_e32 v133, v9, v33
	v_pk_mul_f32 v[126:127], v[172:173], v[156:157] op_sel:[1,1] op_sel_hi:[0,1]
	s_wait_loadcnt 0x3
	v_dual_mov_b32 v134, v163 :: v_dual_fma_f32 v228, v168, v152, -v21
	v_pk_fma_f32 v[136:137], v[170:171], v[154:155], v[124:125] op_sel_hi:[1,0,1]
	v_pk_add_f32 v[132:133], v[132:133], v[226:227]
	v_pk_fma_f32 v[124:125], v[170:171], v[154:155], v[124:125] neg_lo:[0,0,1] neg_hi:[0,0,1]
	v_pk_fma_f32 v[138:139], v[172:173], v[156:157], v[126:127] op_sel_hi:[1,0,1]
	v_pk_mul_f32 v[128:129], v[220:221], v[128:129] op_sel_hi:[1,0]
	v_mov_b32_e32 v125, v137
	v_pk_add_f32 v[132:133], v[132:133], v[228:229]
	v_pk_fma_f32 v[126:127], v[172:173], v[156:157], v[126:127] neg_lo:[0,0,1] neg_hi:[0,0,1]
	v_pk_mul_f32 v[130:131], v[176:177], v[160:161] op_sel:[1,1] op_sel_hi:[0,1]
	v_mov_b32_e32 v127, v139
	v_pk_fma_f32 v[138:139], v[174:175], v[158:159], v[128:129] op_sel_hi:[1,0,1]
	v_pk_add_f32 v[124:125], v[132:133], v[124:125]
	v_pk_fma_f32 v[128:129], v[174:175], v[158:159], v[128:129] neg_lo:[0,0,1] neg_hi:[0,0,1]
	v_pk_fma_f32 v[132:133], v[176:177], v[160:161], v[130:131] op_sel_hi:[1,0,1]
	v_pk_mul_f32 v[134:135], v[222:223], v[134:135] op_sel_hi:[1,0]
	v_mov_b32_e32 v129, v139
	v_pk_add_f32 v[124:125], v[124:125], v[126:127]
	v_pk_fma_f32 v[130:131], v[176:177], v[160:161], v[130:131] neg_lo:[0,0,1] neg_hi:[0,0,1]
	s_wait_loadcnt 0x2
	v_pk_mul_f32 v[136:137], v[180:181], v[164:165] op_sel:[1,1] op_sel_hi:[0,1]
	v_dual_mov_b32 v126, v167 :: v_dual_mov_b32 v131, v133
	v_pk_fma_f32 v[132:133], v[178:179], v[162:163], v[134:135] op_sel_hi:[1,0,1]
	v_pk_add_f32 v[124:125], v[124:125], v[128:129]
	v_pk_fma_f32 v[134:135], v[178:179], v[162:163], v[134:135] neg_lo:[0,0,1] neg_hi:[0,0,1]
	v_pk_fma_f32 v[128:129], v[180:181], v[164:165], v[136:137] op_sel_hi:[1,0,1]
	v_pk_mul_f32 v[126:127], v[224:225], v[126:127] op_sel_hi:[1,0]
	v_mov_b32_e32 v135, v133
	v_pk_add_f32 v[124:125], v[124:125], v[130:131]
	v_pk_fma_f32 v[130:131], v[180:181], v[164:165], v[136:137] neg_lo:[0,0,1] neg_hi:[0,0,1]
	v_mov_b32_e32 v131, v129
	v_pk_fma_f32 v[128:129], v[182:183], v[166:167], v[126:127] op_sel_hi:[1,0,1]
	s_wait_loadcnt_dscnt 0x100
	v_pk_mul_f32 v[132:133], v[216:217], v[212:213] op_sel:[1,1] op_sel_hi:[0,1]
	v_pk_add_f32 v[124:125], v[124:125], v[134:135]
	v_pk_fma_f32 v[126:127], v[182:183], v[166:167], v[126:127] neg_lo:[0,0,1] neg_hi:[0,0,1]
	v_mov_b32_e32 v127, v129
	s_delay_alu instid0(VALU_DEP_4) | instskip(NEXT) | instid1(VALU_DEP_4)
	v_pk_fma_f32 v[128:129], v[216:217], v[212:213], v[132:133] op_sel_hi:[1,0,1]
	v_pk_add_f32 v[124:125], v[124:125], v[130:131]
	v_pk_fma_f32 v[130:131], v[216:217], v[212:213], v[132:133] neg_lo:[0,0,1] neg_hi:[0,0,1]
	s_delay_alu instid0(VALU_DEP_3) | instskip(NEXT) | instid1(VALU_DEP_3)
	v_mov_b32_e32 v131, v129
	v_pk_add_f32 v[124:125], v[124:125], v[126:127]
	s_delay_alu instid0(VALU_DEP_1) | instskip(SKIP_1) | instid1(VALU_DEP_1)
	v_pk_add_f32 v[124:125], v[124:125], v[130:131]
	s_wait_loadcnt 0x0
	v_pk_add_f32 v[124:125], v[214:215], v[124:125] neg_lo:[0,1] neg_hi:[0,1]
	scratch_store_b64 off, v[124:125], off offset:296
	s_wait_xcnt 0x0
	v_cmpx_lt_u32_e32 36, v0
	s_cbranch_execz .LBB60_307
; %bb.306:
	scratch_load_b64 v[124:125], off, off offset:288
	v_mov_b64_e32 v[126:127], 0
	scratch_store_b64 off, v[126:127], off offset:288
	s_wait_loadcnt 0x0
	ds_store_b64 v1, v[124:125]
.LBB60_307:
	s_wait_xcnt 0x0
	s_or_b32 exec_lo, exec_lo, s0
	s_wait_storecnt_dscnt 0x0
	s_barrier_signal -1
	s_barrier_wait -1
	s_clause 0xc
	scratch_load_b128 v[124:127], off, off offset:296
	scratch_load_b128 v[128:131], off, off offset:312
	;; [unrolled: 1-line block ×12, first 2 shown]
	scratch_load_b64 v[220:221], off, off offset:288
	ds_load_2addr_b64 v[172:175], v7 offset0:115 offset1:116
	ds_load_2addr_b64 v[176:179], v7 offset0:117 offset1:118
	;; [unrolled: 1-line block ×12, first 2 shown]
	s_mov_b32 s0, exec_lo
	s_wait_dscnt 0xb
	v_dual_mov_b32 v222, v175 :: v_dual_mov_b32 v223, v174
	s_wait_dscnt 0xa
	v_dual_mov_b32 v224, v179 :: v_dual_mov_b32 v225, v178
	;; [unrolled: 2-line block ×4, first 2 shown]
	s_wait_loadcnt_dscnt 0xc07
	v_dual_mul_f32 v7, v188, v125 :: v_dual_mul_f32 v9, v190, v127
	v_dual_mul_f32 v35, v189, v125 :: v_dual_mul_f32 v37, v191, v127
	s_wait_loadcnt_dscnt 0xb06
	v_dual_mul_f32 v11, v192, v129 :: v_dual_mul_f32 v13, v194, v131
	s_delay_alu instid0(VALU_DEP_3) | instskip(SKIP_3) | instid1(VALU_DEP_3)
	v_dual_fmac_f32 v7, v189, v124 :: v_dual_fmac_f32 v9, v191, v126
	s_wait_loadcnt_dscnt 0x904
	v_dual_fma_f32 v35, v188, v124, -v35 :: v_dual_mul_f32 v47, v201, v137
	v_dual_mul_f32 v39, v193, v129 :: v_dual_mul_f32 v41, v195, v131
	v_dual_fma_f32 v37, v190, v126, -v37 :: v_dual_add_f32 v7, 0, v7
	s_delay_alu instid0(VALU_DEP_3) | instskip(SKIP_1) | instid1(VALU_DEP_4)
	v_dual_add_f32 v35, 0, v35 :: v_dual_fmac_f32 v11, v193, v128
	v_dual_mul_f32 v15, v196, v133 :: v_dual_mul_f32 v17, v198, v135
	v_dual_mul_f32 v49, v203, v139 :: v_dual_fma_f32 v39, v192, v128, -v39
	s_delay_alu instid0(VALU_DEP_4) | instskip(NEXT) | instid1(VALU_DEP_3)
	v_add_f32_e32 v7, v7, v9
	v_dual_add_f32 v9, v35, v37 :: v_dual_fmac_f32 v15, v197, v132
	v_dual_mul_f32 v43, v197, v133 :: v_dual_mul_f32 v45, v199, v135
	s_wait_loadcnt_dscnt 0x803
	v_dual_mul_f32 v35, v205, v141 :: v_dual_fmac_f32 v13, v195, v130
	v_dual_fma_f32 v37, v194, v130, -v41 :: v_dual_add_f32 v7, v7, v11
	s_delay_alu instid0(VALU_DEP_3) | instskip(SKIP_1) | instid1(VALU_DEP_3)
	v_dual_add_f32 v9, v9, v39 :: v_dual_fma_f32 v39, v196, v132, -v43
	v_dual_mul_f32 v19, v200, v137 :: v_dual_mul_f32 v21, v202, v139
	v_add_f32_e32 v7, v7, v13
	s_delay_alu instid0(VALU_DEP_3) | instskip(SKIP_2) | instid1(VALU_DEP_3)
	v_dual_mul_f32 v11, v207, v143 :: v_dual_add_f32 v9, v9, v37
	s_wait_loadcnt_dscnt 0x702
	v_dual_mul_f32 v13, v209, v145 :: v_dual_fmac_f32 v17, v199, v134
	v_dual_fma_f32 v37, v198, v134, -v45 :: v_dual_add_f32 v7, v7, v15
	s_delay_alu instid0(VALU_DEP_3) | instskip(SKIP_1) | instid1(VALU_DEP_3)
	v_dual_add_f32 v9, v9, v39 :: v_dual_fma_f32 v39, v200, v136, -v47
	v_dual_mul_f32 v15, v211, v147 :: v_dual_fmac_f32 v19, v201, v136
	v_add_f32_e32 v7, v7, v17
	s_delay_alu instid0(VALU_DEP_3)
	v_dual_add_f32 v9, v9, v37 :: v_dual_fmac_f32 v21, v203, v138
	v_dual_mul_f32 v23, v204, v141 :: v_dual_mul_f32 v25, v206, v143
	s_wait_loadcnt_dscnt 0x601
	v_dual_fma_f32 v37, v202, v138, -v49 :: v_dual_mul_f32 v17, v213, v149
	v_add_f32_e32 v7, v7, v19
	v_dual_add_f32 v9, v9, v39 :: v_dual_fma_f32 v35, v204, v140, -v35
	v_dual_mul_f32 v19, v215, v151 :: v_dual_fmac_f32 v23, v205, v140
	s_delay_alu instid0(VALU_DEP_3) | instskip(NEXT) | instid1(VALU_DEP_3)
	v_dual_add_f32 v7, v7, v21 :: v_dual_fma_f32 v11, v206, v142, -v11
	v_dual_add_f32 v9, v9, v37 :: v_dual_fmac_f32 v25, v207, v142
	v_dual_mul_f32 v27, v208, v145 :: v_dual_mul_f32 v29, v210, v147
	s_wait_loadcnt_dscnt 0x500
	s_delay_alu instid0(VALU_DEP_3) | instskip(NEXT) | instid1(VALU_DEP_3)
	v_dual_mul_f32 v21, v217, v153 :: v_dual_add_f32 v7, v7, v23
	v_dual_add_f32 v9, v9, v35 :: v_dual_fma_f32 v13, v208, v144, -v13
	s_delay_alu instid0(VALU_DEP_3) | instskip(NEXT) | instid1(VALU_DEP_2)
	v_dual_mul_f32 v23, v219, v155 :: v_dual_fmac_f32 v27, v209, v144
	v_dual_add_f32 v7, v7, v25 :: v_dual_add_f32 v9, v9, v11
	v_dual_mul_f32 v31, v212, v149 :: v_dual_mul_f32 v33, v214, v151
	v_dual_fmac_f32 v29, v211, v146 :: v_dual_fma_f32 v11, v210, v146, -v15
	s_delay_alu instid0(VALU_DEP_3) | instskip(SKIP_1) | instid1(VALU_DEP_3)
	v_dual_add_f32 v7, v7, v27 :: v_dual_add_f32 v9, v9, v13
	s_wait_loadcnt 0x4
	v_dual_mov_b32 v126, v159 :: v_dual_fmac_f32 v31, v213, v148
	s_delay_alu instid0(VALU_DEP_2) | instskip(NEXT) | instid1(VALU_DEP_3)
	v_dual_fma_f32 v13, v212, v148, -v17 :: v_dual_add_f32 v7, v7, v29
	v_dual_add_f32 v9, v9, v11 :: v_dual_fmac_f32 v33, v215, v150
	v_dual_mul_f32 v231, v216, v153 :: v_dual_mul_f32 v233, v218, v155
	s_delay_alu instid0(VALU_DEP_3) | instskip(SKIP_1) | instid1(VALU_DEP_3)
	v_dual_fma_f32 v11, v214, v150, -v19 :: v_dual_add_f32 v7, v7, v31
	s_wait_loadcnt 0x3
	v_dual_add_f32 v9, v9, v13 :: v_dual_mov_b32 v130, v163
	v_pk_mul_f32 v[124:125], v[172:173], v[156:157] op_sel:[1,1] op_sel_hi:[0,1]
	v_dual_fmac_f32 v231, v217, v152 :: v_dual_fma_f32 v230, v216, v152, -v21
	s_delay_alu instid0(VALU_DEP_3) | instskip(SKIP_1) | instid1(VALU_DEP_4)
	v_dual_add_f32 v133, v7, v33 :: v_dual_add_f32 v132, v9, v11
	v_dual_fmac_f32 v233, v219, v154 :: v_dual_fma_f32 v232, v218, v154, -v23
	v_pk_fma_f32 v[134:135], v[172:173], v[156:157], v[124:125] op_sel_hi:[1,0,1]
	v_pk_mul_f32 v[126:127], v[222:223], v[126:127] op_sel_hi:[1,0]
	s_delay_alu instid0(VALU_DEP_4)
	v_pk_add_f32 v[132:133], v[132:133], v[230:231]
	v_pk_fma_f32 v[124:125], v[172:173], v[156:157], v[124:125] neg_lo:[0,0,1] neg_hi:[0,0,1]
	v_pk_mul_f32 v[128:129], v[176:177], v[160:161] op_sel:[1,1] op_sel_hi:[0,1]
	v_mov_b32_e32 v125, v135
	v_pk_fma_f32 v[134:135], v[174:175], v[158:159], v[126:127] op_sel_hi:[1,0,1]
	v_pk_add_f32 v[132:133], v[132:133], v[232:233]
	v_pk_fma_f32 v[126:127], v[174:175], v[158:159], v[126:127] neg_lo:[0,0,1] neg_hi:[0,0,1]
	v_pk_fma_f32 v[138:139], v[176:177], v[160:161], v[128:129] op_sel_hi:[1,0,1]
	v_pk_mul_f32 v[130:131], v[224:225], v[130:131] op_sel_hi:[1,0]
	v_mov_b32_e32 v127, v135
	v_pk_add_f32 v[124:125], v[132:133], v[124:125]
	s_wait_loadcnt 0x2
	v_pk_mul_f32 v[136:137], v[180:181], v[164:165] op_sel:[1,1] op_sel_hi:[0,1]
	v_mov_b32_e32 v132, v167
	v_pk_fma_f32 v[128:129], v[176:177], v[160:161], v[128:129] neg_lo:[0,0,1] neg_hi:[0,0,1]
	v_mov_b32_e32 v129, v139
	v_pk_fma_f32 v[134:135], v[178:179], v[162:163], v[130:131] op_sel_hi:[1,0,1]
	v_pk_add_f32 v[124:125], v[124:125], v[126:127]
	v_pk_fma_f32 v[126:127], v[180:181], v[164:165], v[136:137] op_sel_hi:[1,0,1]
	v_pk_mul_f32 v[132:133], v[226:227], v[132:133] op_sel_hi:[1,0]
	v_pk_fma_f32 v[130:131], v[178:179], v[162:163], v[130:131] neg_lo:[0,0,1] neg_hi:[0,0,1]
	v_mov_b32_e32 v131, v135
	v_pk_add_f32 v[124:125], v[124:125], v[128:129]
	v_pk_fma_f32 v[134:135], v[180:181], v[164:165], v[136:137] neg_lo:[0,0,1] neg_hi:[0,0,1]
	v_mov_b32_e32 v135, v127
	v_pk_fma_f32 v[126:127], v[182:183], v[166:167], v[132:133] op_sel_hi:[1,0,1]
	s_wait_loadcnt 0x1
	v_pk_mul_f32 v[128:129], v[184:185], v[168:169] op_sel:[1,1] op_sel_hi:[0,1]
	v_pk_add_f32 v[124:125], v[124:125], v[130:131]
	v_mov_b32_e32 v126, v171
	v_pk_fma_f32 v[132:133], v[182:183], v[166:167], v[132:133] neg_lo:[0,0,1] neg_hi:[0,0,1]
	v_mov_b32_e32 v133, v127
	v_pk_fma_f32 v[130:131], v[184:185], v[168:169], v[128:129] op_sel_hi:[1,0,1]
	v_pk_add_f32 v[124:125], v[124:125], v[134:135]
	v_pk_mul_f32 v[126:127], v[228:229], v[126:127] op_sel_hi:[1,0]
	v_pk_fma_f32 v[128:129], v[184:185], v[168:169], v[128:129] neg_lo:[0,0,1] neg_hi:[0,0,1]
	s_delay_alu instid0(VALU_DEP_4) | instskip(NEXT) | instid1(VALU_DEP_4)
	v_mov_b32_e32 v129, v131
	v_pk_add_f32 v[124:125], v[124:125], v[132:133]
	s_delay_alu instid0(VALU_DEP_4) | instskip(SKIP_1) | instid1(VALU_DEP_2)
	v_pk_fma_f32 v[130:131], v[186:187], v[170:171], v[126:127] op_sel_hi:[1,0,1]
	v_pk_fma_f32 v[126:127], v[186:187], v[170:171], v[126:127] neg_lo:[0,0,1] neg_hi:[0,0,1]
	v_mov_b32_e32 v127, v131
	s_delay_alu instid0(VALU_DEP_4) | instskip(NEXT) | instid1(VALU_DEP_1)
	v_pk_add_f32 v[124:125], v[124:125], v[128:129]
	v_pk_add_f32 v[124:125], v[124:125], v[126:127]
	s_wait_loadcnt 0x0
	s_delay_alu instid0(VALU_DEP_1)
	v_pk_add_f32 v[124:125], v[220:221], v[124:125] neg_lo:[0,1] neg_hi:[0,1]
	scratch_store_b64 off, v[124:125], off offset:288
	s_wait_xcnt 0x0
	v_cmpx_lt_u32_e32 35, v0
	s_cbranch_execz .LBB60_309
; %bb.308:
	scratch_load_b64 v[124:125], off, off offset:280
	v_mov_b64_e32 v[126:127], 0
	scratch_store_b64 off, v[126:127], off offset:280
	s_wait_loadcnt 0x0
	ds_store_b64 v1, v[124:125]
.LBB60_309:
	s_wait_xcnt 0x0
	s_or_b32 exec_lo, exec_lo, s0
	s_wait_storecnt_dscnt 0x0
	s_barrier_signal -1
	s_barrier_wait -1
	s_clause 0xd
	scratch_load_b128 v[124:127], off, off offset:288
	scratch_load_b128 v[128:131], off, off offset:304
	;; [unrolled: 1-line block ×12, first 2 shown]
	scratch_load_b64 v[220:221], off, off offset:480
	scratch_load_b64 v[222:223], off, off offset:280
	v_mov_b32_e32 v7, 0
	ds_load_b128 v[172:175], v7 offset:912
	ds_load_b128 v[176:179], v7 offset:928
	;; [unrolled: 1-line block ×12, first 2 shown]
	ds_load_b64 v[224:225], v7 offset:976
	s_mov_b32 s0, exec_lo
	s_wait_dscnt 0xc
	v_dual_mov_b32 v226, v175 :: v_dual_mov_b32 v227, v174
	s_wait_dscnt 0x9
	v_dual_mov_b32 v228, v179 :: v_dual_mov_b32 v233, v186
	v_dual_mov_b32 v229, v178 :: v_dual_mov_b32 v230, v183
	;; [unrolled: 1-line block ×3, first 2 shown]
	s_wait_loadcnt_dscnt 0xd08
	v_dual_mul_f32 v9, v188, v125 :: v_dual_mul_f32 v39, v189, v125
	v_dual_mul_f32 v41, v191, v127 :: v_dual_mul_f32 v11, v190, v127
	s_wait_loadcnt_dscnt 0xc07
	v_mul_f32_e32 v13, v192, v129
	s_wait_loadcnt_dscnt 0xa05
	v_dual_mul_f32 v51, v201, v137 :: v_dual_fma_f32 v39, v188, v124, -v39
	v_dual_fmac_f32 v9, v189, v124 :: v_dual_mul_f32 v53, v203, v139
	v_dual_mul_f32 v43, v193, v129 :: v_dual_mul_f32 v45, v195, v131
	v_dual_fmac_f32 v11, v191, v126 :: v_dual_fma_f32 v41, v190, v126, -v41
	s_delay_alu instid0(VALU_DEP_3) | instskip(SKIP_4) | instid1(VALU_DEP_3)
	v_dual_add_f32 v9, 0, v9 :: v_dual_add_f32 v39, 0, v39
	v_dual_mul_f32 v15, v194, v131 :: v_dual_mul_f32 v17, v196, v133
	s_wait_loadcnt_dscnt 0x904
	v_dual_mul_f32 v55, v205, v141 :: v_dual_fma_f32 v43, v192, v128, -v43
	v_fmac_f32_e32 v13, v193, v128
	v_dual_add_f32 v9, v9, v11 :: v_dual_fmac_f32 v15, v195, v130
	v_add_f32_e32 v11, v39, v41
	v_dual_mul_f32 v47, v197, v133 :: v_dual_mul_f32 v49, v199, v135
	v_dual_mul_f32 v39, v207, v143 :: v_dual_fma_f32 v41, v194, v130, -v45
	s_delay_alu instid0(VALU_DEP_3) | instskip(SKIP_3) | instid1(VALU_DEP_3)
	v_dual_add_f32 v9, v9, v13 :: v_dual_add_f32 v11, v11, v43
	v_dual_mul_f32 v19, v198, v135 :: v_dual_mul_f32 v21, v200, v137
	s_wait_loadcnt_dscnt 0x803
	v_dual_mul_f32 v13, v209, v145 :: v_dual_fma_f32 v43, v196, v132, -v47
	v_dual_fmac_f32 v17, v197, v132 :: v_dual_add_f32 v11, v11, v41
	s_delay_alu instid0(VALU_DEP_3) | instskip(SKIP_1) | instid1(VALU_DEP_2)
	v_dual_add_f32 v9, v9, v15 :: v_dual_fmac_f32 v19, v199, v134
	v_dual_mul_f32 v15, v211, v147 :: v_dual_fma_f32 v41, v198, v134, -v49
	v_dual_add_f32 v11, v11, v43 :: v_dual_add_f32 v9, v9, v17
	v_dual_mul_f32 v23, v202, v139 :: v_dual_mul_f32 v25, v204, v141
	s_wait_loadcnt_dscnt 0x702
	v_dual_mul_f32 v17, v213, v149 :: v_dual_fma_f32 v43, v200, v136, -v51
	s_delay_alu instid0(VALU_DEP_3) | instskip(NEXT) | instid1(VALU_DEP_3)
	v_dual_fmac_f32 v21, v201, v136 :: v_dual_add_f32 v11, v11, v41
	v_dual_add_f32 v9, v9, v19 :: v_dual_fmac_f32 v23, v203, v138
	v_dual_mul_f32 v19, v215, v151 :: v_dual_fma_f32 v41, v202, v138, -v53
	s_delay_alu instid0(VALU_DEP_2) | instskip(SKIP_3) | instid1(VALU_DEP_3)
	v_dual_add_f32 v11, v11, v43 :: v_dual_add_f32 v9, v9, v21
	v_dual_mul_f32 v27, v206, v143 :: v_dual_mul_f32 v29, v208, v145
	s_wait_loadcnt_dscnt 0x601
	v_dual_mul_f32 v21, v217, v153 :: v_dual_fma_f32 v43, v204, v140, -v55
	v_dual_fmac_f32 v25, v205, v140 :: v_dual_add_f32 v11, v11, v41
	s_delay_alu instid0(VALU_DEP_3) | instskip(SKIP_1) | instid1(VALU_DEP_2)
	v_dual_add_f32 v9, v9, v23 :: v_dual_fmac_f32 v27, v207, v142
	v_dual_mul_f32 v23, v219, v155 :: v_dual_fma_f32 v39, v206, v142, -v39
	v_dual_add_f32 v11, v11, v43 :: v_dual_add_f32 v9, v9, v25
	v_dual_mul_f32 v31, v210, v147 :: v_dual_mul_f32 v33, v212, v149
	s_wait_loadcnt 0x5
	v_dual_mul_f32 v25, v173, v157 :: v_dual_fma_f32 v13, v208, v144, -v13
	s_delay_alu instid0(VALU_DEP_3) | instskip(SKIP_2) | instid1(VALU_DEP_3)
	v_dual_fmac_f32 v29, v209, v144 :: v_dual_add_f32 v11, v11, v39
	v_dual_add_f32 v9, v9, v27 :: v_dual_mov_b32 v124, v159
	v_fmac_f32_e32 v31, v211, v146
	v_dual_fma_f32 v15, v210, v146, -v15 :: v_dual_add_f32 v11, v11, v13
	s_delay_alu instid0(VALU_DEP_3) | instskip(SKIP_1) | instid1(VALU_DEP_3)
	v_dual_add_f32 v9, v9, v29 :: v_dual_mul_f32 v35, v214, v151
	v_dual_mul_f32 v37, v216, v153 :: v_dual_fmac_f32 v33, v213, v148
	v_dual_add_f32 v11, v11, v15 :: v_dual_fma_f32 v13, v212, v148, -v17
	s_wait_loadcnt 0x4
	s_delay_alu instid0(VALU_DEP_3) | instskip(SKIP_3) | instid1(VALU_DEP_4)
	v_dual_add_f32 v9, v9, v31 :: v_dual_mov_b32 v128, v163
	v_fma_f32 v15, v214, v150, -v19
	v_fmac_f32_e32 v35, v215, v150
	v_dual_add_f32 v11, v11, v13 :: v_dual_fmac_f32 v37, v217, v152
	v_dual_add_f32 v9, v9, v33 :: v_dual_mul_f32 v235, v218, v155
	v_mul_f32_e32 v237, v172, v157
	s_delay_alu instid0(VALU_DEP_3) | instskip(NEXT) | instid1(VALU_DEP_3)
	v_dual_fma_f32 v13, v216, v152, -v21 :: v_dual_add_f32 v11, v11, v15
	v_dual_fma_f32 v234, v218, v154, -v23 :: v_dual_add_f32 v9, v9, v35
	s_delay_alu instid0(VALU_DEP_4) | instskip(SKIP_1) | instid1(VALU_DEP_4)
	v_fmac_f32_e32 v235, v219, v154
	v_pk_mul_f32 v[124:125], v[226:227], v[124:125] op_sel_hi:[1,0]
	v_dual_add_f32 v132, v11, v13 :: v_dual_fmac_f32 v237, v173, v156
	s_delay_alu instid0(VALU_DEP_4)
	v_add_f32_e32 v133, v9, v37
	v_pk_mul_f32 v[126:127], v[176:177], v[160:161] op_sel:[1,1] op_sel_hi:[0,1]
	s_wait_loadcnt 0x3
	v_dual_mov_b32 v134, v167 :: v_dual_fma_f32 v236, v172, v156, -v25
	v_pk_fma_f32 v[136:137], v[174:175], v[158:159], v[124:125] op_sel_hi:[1,0,1]
	v_pk_add_f32 v[132:133], v[132:133], v[234:235]
	v_pk_fma_f32 v[124:125], v[174:175], v[158:159], v[124:125] neg_lo:[0,0,1] neg_hi:[0,0,1]
	v_pk_fma_f32 v[138:139], v[176:177], v[160:161], v[126:127] op_sel_hi:[1,0,1]
	v_pk_mul_f32 v[128:129], v[228:229], v[128:129] op_sel_hi:[1,0]
	v_mov_b32_e32 v125, v137
	v_pk_add_f32 v[132:133], v[132:133], v[236:237]
	v_pk_fma_f32 v[126:127], v[176:177], v[160:161], v[126:127] neg_lo:[0,0,1] neg_hi:[0,0,1]
	v_pk_mul_f32 v[130:131], v[180:181], v[164:165] op_sel:[1,1] op_sel_hi:[0,1]
	v_mov_b32_e32 v127, v139
	v_pk_fma_f32 v[138:139], v[178:179], v[162:163], v[128:129] op_sel_hi:[1,0,1]
	v_pk_add_f32 v[124:125], v[132:133], v[124:125]
	v_pk_fma_f32 v[128:129], v[178:179], v[162:163], v[128:129] neg_lo:[0,0,1] neg_hi:[0,0,1]
	v_pk_fma_f32 v[132:133], v[180:181], v[164:165], v[130:131] op_sel_hi:[1,0,1]
	v_pk_mul_f32 v[134:135], v[230:231], v[134:135] op_sel_hi:[1,0]
	v_mov_b32_e32 v129, v139
	v_pk_add_f32 v[124:125], v[124:125], v[126:127]
	v_pk_fma_f32 v[130:131], v[180:181], v[164:165], v[130:131] neg_lo:[0,0,1] neg_hi:[0,0,1]
	s_wait_loadcnt 0x2
	v_pk_mul_f32 v[136:137], v[184:185], v[168:169] op_sel:[1,1] op_sel_hi:[0,1]
	v_dual_mov_b32 v126, v171 :: v_dual_mov_b32 v131, v133
	v_pk_fma_f32 v[132:133], v[182:183], v[166:167], v[134:135] op_sel_hi:[1,0,1]
	v_pk_add_f32 v[124:125], v[124:125], v[128:129]
	v_pk_fma_f32 v[134:135], v[182:183], v[166:167], v[134:135] neg_lo:[0,0,1] neg_hi:[0,0,1]
	v_pk_fma_f32 v[128:129], v[184:185], v[168:169], v[136:137] op_sel_hi:[1,0,1]
	v_pk_mul_f32 v[126:127], v[232:233], v[126:127] op_sel_hi:[1,0]
	v_mov_b32_e32 v135, v133
	v_pk_add_f32 v[124:125], v[124:125], v[130:131]
	v_pk_fma_f32 v[130:131], v[184:185], v[168:169], v[136:137] neg_lo:[0,0,1] neg_hi:[0,0,1]
	v_mov_b32_e32 v131, v129
	v_pk_fma_f32 v[128:129], v[186:187], v[170:171], v[126:127] op_sel_hi:[1,0,1]
	s_wait_loadcnt_dscnt 0x100
	v_pk_mul_f32 v[132:133], v[224:225], v[220:221] op_sel:[1,1] op_sel_hi:[0,1]
	v_pk_add_f32 v[124:125], v[124:125], v[134:135]
	v_pk_fma_f32 v[126:127], v[186:187], v[170:171], v[126:127] neg_lo:[0,0,1] neg_hi:[0,0,1]
	v_mov_b32_e32 v127, v129
	s_delay_alu instid0(VALU_DEP_4) | instskip(NEXT) | instid1(VALU_DEP_4)
	v_pk_fma_f32 v[128:129], v[224:225], v[220:221], v[132:133] op_sel_hi:[1,0,1]
	v_pk_add_f32 v[124:125], v[124:125], v[130:131]
	v_pk_fma_f32 v[130:131], v[224:225], v[220:221], v[132:133] neg_lo:[0,0,1] neg_hi:[0,0,1]
	s_delay_alu instid0(VALU_DEP_3) | instskip(NEXT) | instid1(VALU_DEP_3)
	v_mov_b32_e32 v131, v129
	v_pk_add_f32 v[124:125], v[124:125], v[126:127]
	s_delay_alu instid0(VALU_DEP_1) | instskip(SKIP_1) | instid1(VALU_DEP_1)
	v_pk_add_f32 v[124:125], v[124:125], v[130:131]
	s_wait_loadcnt 0x0
	v_pk_add_f32 v[124:125], v[222:223], v[124:125] neg_lo:[0,1] neg_hi:[0,1]
	scratch_store_b64 off, v[124:125], off offset:280
	s_wait_xcnt 0x0
	v_cmpx_lt_u32_e32 34, v0
	s_cbranch_execz .LBB60_311
; %bb.310:
	scratch_load_b64 v[124:125], off, off offset:272
	v_mov_b64_e32 v[126:127], 0
	scratch_store_b64 off, v[126:127], off offset:272
	s_wait_loadcnt 0x0
	ds_store_b64 v1, v[124:125]
.LBB60_311:
	s_wait_xcnt 0x0
	s_or_b32 exec_lo, exec_lo, s0
	s_wait_storecnt_dscnt 0x0
	s_barrier_signal -1
	s_barrier_wait -1
	s_clause 0xd
	scratch_load_b128 v[124:127], off, off offset:280
	scratch_load_b128 v[128:131], off, off offset:296
	;; [unrolled: 1-line block ×13, first 2 shown]
	scratch_load_b64 v[228:229], off, off offset:272
	ds_load_2addr_b64 v[176:179], v7 offset0:115 offset1:116
	ds_load_2addr_b64 v[180:183], v7 offset0:117 offset1:118
	;; [unrolled: 1-line block ×13, first 2 shown]
	s_mov_b32 s0, exec_lo
	s_wait_dscnt 0xc
	v_dual_mov_b32 v230, v179 :: v_dual_mov_b32 v231, v178
	s_wait_dscnt 0xb
	v_dual_mov_b32 v232, v183 :: v_dual_mov_b32 v233, v182
	;; [unrolled: 2-line block ×4, first 2 shown]
	s_wait_loadcnt_dscnt 0xd08
	v_dual_mul_f32 v7, v192, v125 :: v_dual_mul_f32 v9, v194, v127
	v_dual_mul_f32 v39, v193, v125 :: v_dual_mul_f32 v41, v195, v127
	s_wait_loadcnt_dscnt 0xc07
	v_dual_mul_f32 v11, v196, v129 :: v_dual_mul_f32 v13, v198, v131
	s_delay_alu instid0(VALU_DEP_3) | instskip(SKIP_3) | instid1(VALU_DEP_3)
	v_dual_fmac_f32 v7, v193, v124 :: v_dual_fmac_f32 v9, v195, v126
	s_wait_loadcnt_dscnt 0xa05
	v_dual_fma_f32 v39, v192, v124, -v39 :: v_dual_mul_f32 v51, v205, v137
	v_dual_mul_f32 v43, v197, v129 :: v_dual_mul_f32 v45, v199, v131
	v_dual_fma_f32 v41, v194, v126, -v41 :: v_dual_add_f32 v7, 0, v7
	s_delay_alu instid0(VALU_DEP_3) | instskip(SKIP_1) | instid1(VALU_DEP_4)
	v_dual_add_f32 v39, 0, v39 :: v_dual_fmac_f32 v11, v197, v128
	v_dual_mul_f32 v15, v200, v133 :: v_dual_mul_f32 v17, v202, v135
	v_dual_mul_f32 v53, v207, v139 :: v_dual_fma_f32 v43, v196, v128, -v43
	s_delay_alu instid0(VALU_DEP_4) | instskip(NEXT) | instid1(VALU_DEP_3)
	v_add_f32_e32 v7, v7, v9
	v_dual_add_f32 v9, v39, v41 :: v_dual_fmac_f32 v15, v201, v132
	v_dual_mul_f32 v47, v201, v133 :: v_dual_mul_f32 v49, v203, v135
	s_wait_loadcnt_dscnt 0x903
	v_dual_mul_f32 v39, v213, v141 :: v_dual_fmac_f32 v13, v199, v130
	v_dual_fma_f32 v41, v198, v130, -v45 :: v_dual_add_f32 v7, v7, v11
	s_delay_alu instid0(VALU_DEP_3) | instskip(SKIP_1) | instid1(VALU_DEP_3)
	v_dual_add_f32 v9, v9, v43 :: v_dual_fma_f32 v43, v200, v132, -v47
	v_dual_mul_f32 v19, v204, v137 :: v_dual_mul_f32 v21, v206, v139
	v_add_f32_e32 v7, v7, v13
	s_delay_alu instid0(VALU_DEP_3) | instskip(SKIP_2) | instid1(VALU_DEP_3)
	v_dual_mul_f32 v11, v215, v143 :: v_dual_add_f32 v9, v9, v41
	s_wait_loadcnt_dscnt 0x802
	v_dual_mul_f32 v13, v217, v145 :: v_dual_fmac_f32 v17, v203, v134
	v_dual_fma_f32 v41, v202, v134, -v49 :: v_dual_add_f32 v7, v7, v15
	s_delay_alu instid0(VALU_DEP_3) | instskip(SKIP_1) | instid1(VALU_DEP_3)
	v_dual_add_f32 v9, v9, v43 :: v_dual_fma_f32 v43, v204, v136, -v51
	v_dual_mul_f32 v15, v219, v147 :: v_dual_fmac_f32 v19, v205, v136
	v_add_f32_e32 v7, v7, v17
	s_delay_alu instid0(VALU_DEP_3)
	v_dual_add_f32 v9, v9, v41 :: v_dual_fmac_f32 v21, v207, v138
	v_dual_mul_f32 v23, v212, v141 :: v_dual_mul_f32 v25, v214, v143
	s_wait_loadcnt_dscnt 0x701
	v_dual_fma_f32 v41, v206, v138, -v53 :: v_dual_mul_f32 v17, v221, v149
	v_add_f32_e32 v7, v7, v19
	v_dual_add_f32 v9, v9, v43 :: v_dual_fma_f32 v39, v212, v140, -v39
	v_dual_mul_f32 v19, v223, v151 :: v_dual_fmac_f32 v23, v213, v140
	s_delay_alu instid0(VALU_DEP_3) | instskip(NEXT) | instid1(VALU_DEP_3)
	v_dual_add_f32 v7, v7, v21 :: v_dual_fma_f32 v11, v214, v142, -v11
	v_dual_add_f32 v9, v9, v41 :: v_dual_fmac_f32 v25, v215, v142
	v_dual_mul_f32 v27, v216, v145 :: v_dual_mul_f32 v29, v218, v147
	s_wait_loadcnt_dscnt 0x600
	s_delay_alu instid0(VALU_DEP_3) | instskip(NEXT) | instid1(VALU_DEP_3)
	v_dual_mul_f32 v21, v225, v153 :: v_dual_add_f32 v7, v7, v23
	v_dual_add_f32 v9, v9, v39 :: v_dual_fma_f32 v13, v216, v144, -v13
	s_delay_alu instid0(VALU_DEP_3) | instskip(NEXT) | instid1(VALU_DEP_2)
	v_dual_mul_f32 v23, v227, v155 :: v_dual_fmac_f32 v27, v217, v144
	v_dual_add_f32 v7, v7, v25 :: v_dual_add_f32 v9, v9, v11
	v_dual_mul_f32 v31, v220, v149 :: v_dual_mul_f32 v33, v222, v151
	s_wait_loadcnt 0x5
	v_dual_mul_f32 v11, v209, v157 :: v_dual_fmac_f32 v29, v219, v146
	s_delay_alu instid0(VALU_DEP_3) | instskip(SKIP_2) | instid1(VALU_DEP_2)
	v_dual_fma_f32 v15, v218, v146, -v15 :: v_dual_add_f32 v7, v7, v27
	v_dual_add_f32 v9, v9, v13 :: v_dual_mul_f32 v13, v211, v159
	v_dual_fmac_f32 v31, v221, v148 :: v_dual_fma_f32 v17, v220, v148, -v17
	v_dual_add_f32 v7, v7, v29 :: v_dual_add_f32 v9, v9, v15
	v_dual_mul_f32 v35, v224, v153 :: v_dual_mul_f32 v37, v226, v155
	v_dual_fmac_f32 v33, v223, v150 :: v_dual_fma_f32 v15, v222, v150, -v19
	s_delay_alu instid0(VALU_DEP_3) | instskip(SKIP_1) | instid1(VALU_DEP_3)
	v_dual_add_f32 v7, v7, v31 :: v_dual_add_f32 v9, v9, v17
	s_wait_loadcnt 0x4
	v_dual_mov_b32 v126, v163 :: v_dual_fmac_f32 v35, v225, v152
	s_delay_alu instid0(VALU_DEP_2) | instskip(NEXT) | instid1(VALU_DEP_3)
	v_dual_fma_f32 v17, v224, v152, -v21 :: v_dual_add_f32 v7, v7, v33
	v_dual_add_f32 v9, v9, v15 :: v_dual_fmac_f32 v37, v227, v154
	v_dual_mul_f32 v239, v208, v157 :: v_dual_mul_f32 v241, v210, v159
	s_delay_alu instid0(VALU_DEP_3) | instskip(SKIP_1) | instid1(VALU_DEP_3)
	v_dual_fma_f32 v15, v226, v154, -v23 :: v_dual_add_f32 v7, v7, v35
	s_wait_loadcnt 0x3
	v_dual_add_f32 v9, v9, v17 :: v_dual_mov_b32 v130, v167
	v_pk_mul_f32 v[124:125], v[176:177], v[160:161] op_sel:[1,1] op_sel_hi:[0,1]
	s_delay_alu instid0(VALU_DEP_3) | instskip(NEXT) | instid1(VALU_DEP_3)
	v_dual_fmac_f32 v239, v209, v156 :: v_dual_add_f32 v133, v7, v37
	v_dual_fma_f32 v238, v208, v156, -v11 :: v_dual_add_f32 v132, v9, v15
	v_fmac_f32_e32 v241, v211, v158
	s_delay_alu instid0(VALU_DEP_4)
	v_pk_fma_f32 v[134:135], v[176:177], v[160:161], v[124:125] op_sel_hi:[1,0,1]
	v_fma_f32 v240, v210, v158, -v13
	v_pk_mul_f32 v[126:127], v[230:231], v[126:127] op_sel_hi:[1,0]
	v_pk_add_f32 v[132:133], v[132:133], v[238:239]
	v_pk_fma_f32 v[124:125], v[176:177], v[160:161], v[124:125] neg_lo:[0,0,1] neg_hi:[0,0,1]
	v_pk_mul_f32 v[128:129], v[180:181], v[164:165] op_sel:[1,1] op_sel_hi:[0,1]
	v_mov_b32_e32 v125, v135
	v_pk_fma_f32 v[134:135], v[178:179], v[162:163], v[126:127] op_sel_hi:[1,0,1]
	v_pk_add_f32 v[132:133], v[132:133], v[240:241]
	v_pk_fma_f32 v[126:127], v[178:179], v[162:163], v[126:127] neg_lo:[0,0,1] neg_hi:[0,0,1]
	v_pk_fma_f32 v[138:139], v[180:181], v[164:165], v[128:129] op_sel_hi:[1,0,1]
	v_pk_mul_f32 v[130:131], v[232:233], v[130:131] op_sel_hi:[1,0]
	v_mov_b32_e32 v127, v135
	v_pk_add_f32 v[124:125], v[132:133], v[124:125]
	s_wait_loadcnt 0x2
	v_pk_mul_f32 v[136:137], v[184:185], v[168:169] op_sel:[1,1] op_sel_hi:[0,1]
	v_mov_b32_e32 v132, v171
	v_pk_fma_f32 v[128:129], v[180:181], v[164:165], v[128:129] neg_lo:[0,0,1] neg_hi:[0,0,1]
	v_pk_fma_f32 v[134:135], v[182:183], v[166:167], v[130:131] op_sel_hi:[1,0,1]
	v_mov_b32_e32 v129, v139
	v_pk_add_f32 v[124:125], v[124:125], v[126:127]
	v_pk_fma_f32 v[126:127], v[184:185], v[168:169], v[136:137] op_sel_hi:[1,0,1]
	v_pk_mul_f32 v[132:133], v[234:235], v[132:133] op_sel_hi:[1,0]
	v_pk_fma_f32 v[130:131], v[182:183], v[166:167], v[130:131] neg_lo:[0,0,1] neg_hi:[0,0,1]
	v_mov_b32_e32 v131, v135
	v_pk_add_f32 v[124:125], v[124:125], v[128:129]
	v_pk_fma_f32 v[134:135], v[184:185], v[168:169], v[136:137] neg_lo:[0,0,1] neg_hi:[0,0,1]
	v_mov_b32_e32 v135, v127
	v_pk_fma_f32 v[126:127], v[186:187], v[170:171], v[132:133] op_sel_hi:[1,0,1]
	s_wait_loadcnt 0x1
	v_pk_mul_f32 v[128:129], v[188:189], v[172:173] op_sel:[1,1] op_sel_hi:[0,1]
	v_pk_add_f32 v[124:125], v[124:125], v[130:131]
	v_mov_b32_e32 v126, v175
	v_pk_fma_f32 v[132:133], v[186:187], v[170:171], v[132:133] neg_lo:[0,0,1] neg_hi:[0,0,1]
	s_delay_alu instid0(VALU_DEP_4)
	v_pk_fma_f32 v[130:131], v[188:189], v[172:173], v[128:129] op_sel_hi:[1,0,1]
	v_mov_b32_e32 v133, v127
	v_pk_add_f32 v[124:125], v[124:125], v[134:135]
	v_pk_mul_f32 v[126:127], v[236:237], v[126:127] op_sel_hi:[1,0]
	v_pk_fma_f32 v[128:129], v[188:189], v[172:173], v[128:129] neg_lo:[0,0,1] neg_hi:[0,0,1]
	v_mov_b32_e32 v129, v131
	s_delay_alu instid0(VALU_DEP_4) | instskip(NEXT) | instid1(VALU_DEP_4)
	v_pk_add_f32 v[124:125], v[124:125], v[132:133]
	v_pk_fma_f32 v[130:131], v[190:191], v[174:175], v[126:127] op_sel_hi:[1,0,1]
	v_pk_fma_f32 v[126:127], v[190:191], v[174:175], v[126:127] neg_lo:[0,0,1] neg_hi:[0,0,1]
	s_delay_alu instid0(VALU_DEP_3) | instskip(NEXT) | instid1(VALU_DEP_3)
	v_pk_add_f32 v[124:125], v[124:125], v[128:129]
	v_mov_b32_e32 v127, v131
	s_delay_alu instid0(VALU_DEP_1) | instskip(SKIP_1) | instid1(VALU_DEP_1)
	v_pk_add_f32 v[124:125], v[124:125], v[126:127]
	s_wait_loadcnt 0x0
	v_pk_add_f32 v[124:125], v[228:229], v[124:125] neg_lo:[0,1] neg_hi:[0,1]
	scratch_store_b64 off, v[124:125], off offset:272
	s_wait_xcnt 0x0
	v_cmpx_lt_u32_e32 33, v0
	s_cbranch_execz .LBB60_313
; %bb.312:
	scratch_load_b64 v[124:125], off, off offset:264
	v_mov_b64_e32 v[126:127], 0
	scratch_store_b64 off, v[126:127], off offset:264
	s_wait_loadcnt 0x0
	ds_store_b64 v1, v[124:125]
.LBB60_313:
	s_wait_xcnt 0x0
	s_or_b32 exec_lo, exec_lo, s0
	s_wait_storecnt_dscnt 0x0
	s_barrier_signal -1
	s_barrier_wait -1
	s_clause 0xe
	scratch_load_b128 v[124:127], off, off offset:272
	scratch_load_b128 v[128:131], off, off offset:288
	;; [unrolled: 1-line block ×13, first 2 shown]
	scratch_load_b64 v[228:229], off, off offset:480
	scratch_load_b64 v[230:231], off, off offset:264
	v_mov_b32_e32 v7, 0
	ds_load_b128 v[176:179], v7 offset:912
	ds_load_b128 v[180:183], v7 offset:928
	;; [unrolled: 1-line block ×13, first 2 shown]
	ds_load_b64 v[232:233], v7 offset:976
	s_mov_b32 s0, exec_lo
	s_wait_dscnt 0xd
	v_dual_mov_b32 v234, v179 :: v_dual_mov_b32 v235, v178
	s_wait_dscnt 0xa
	v_dual_mov_b32 v236, v183 :: v_dual_mov_b32 v241, v190
	v_dual_mov_b32 v237, v182 :: v_dual_mov_b32 v238, v187
	;; [unrolled: 1-line block ×3, first 2 shown]
	s_wait_loadcnt_dscnt 0xe09
	v_dual_mul_f32 v9, v192, v125 :: v_dual_mul_f32 v43, v193, v125
	v_dual_mul_f32 v45, v195, v127 :: v_dual_mul_f32 v11, v194, v127
	s_wait_loadcnt_dscnt 0xd08
	v_mul_f32_e32 v13, v196, v129
	s_wait_loadcnt_dscnt 0xb05
	v_dual_mul_f32 v55, v209, v137 :: v_dual_fma_f32 v43, v192, v124, -v43
	v_dual_fmac_f32 v9, v193, v124 :: v_dual_mul_f32 v57, v211, v139
	v_dual_mul_f32 v47, v197, v129 :: v_dual_mul_f32 v49, v199, v131
	v_dual_fmac_f32 v11, v195, v126 :: v_dual_fma_f32 v45, v194, v126, -v45
	s_delay_alu instid0(VALU_DEP_3) | instskip(SKIP_4) | instid1(VALU_DEP_3)
	v_dual_add_f32 v9, 0, v9 :: v_dual_add_f32 v43, 0, v43
	v_dual_mul_f32 v15, v198, v131 :: v_dual_mul_f32 v17, v200, v133
	s_wait_loadcnt_dscnt 0xa04
	v_dual_mul_f32 v59, v213, v141 :: v_dual_fma_f32 v47, v196, v128, -v47
	v_fmac_f32_e32 v13, v197, v128
	v_dual_add_f32 v9, v9, v11 :: v_dual_fmac_f32 v15, v199, v130
	v_add_f32_e32 v11, v43, v45
	v_dual_mul_f32 v51, v201, v133 :: v_dual_mul_f32 v53, v203, v135
	v_dual_mul_f32 v43, v215, v143 :: v_dual_fma_f32 v45, v198, v130, -v49
	s_delay_alu instid0(VALU_DEP_3) | instskip(SKIP_3) | instid1(VALU_DEP_3)
	v_dual_add_f32 v9, v9, v13 :: v_dual_add_f32 v11, v11, v47
	v_dual_mul_f32 v19, v202, v135 :: v_dual_mul_f32 v21, v208, v137
	s_wait_loadcnt_dscnt 0x903
	v_dual_mul_f32 v13, v217, v145 :: v_dual_fma_f32 v47, v200, v132, -v51
	v_dual_fmac_f32 v17, v201, v132 :: v_dual_add_f32 v11, v11, v45
	s_delay_alu instid0(VALU_DEP_3) | instskip(SKIP_1) | instid1(VALU_DEP_2)
	v_dual_add_f32 v9, v9, v15 :: v_dual_fmac_f32 v19, v203, v134
	v_dual_mul_f32 v15, v219, v147 :: v_dual_fma_f32 v45, v202, v134, -v53
	v_dual_add_f32 v11, v11, v47 :: v_dual_add_f32 v9, v9, v17
	v_dual_mul_f32 v23, v210, v139 :: v_dual_mul_f32 v25, v212, v141
	s_wait_loadcnt_dscnt 0x802
	v_dual_mul_f32 v17, v221, v149 :: v_dual_fma_f32 v47, v208, v136, -v55
	s_delay_alu instid0(VALU_DEP_3) | instskip(NEXT) | instid1(VALU_DEP_3)
	v_dual_fmac_f32 v21, v209, v136 :: v_dual_add_f32 v11, v11, v45
	v_dual_add_f32 v9, v9, v19 :: v_dual_fmac_f32 v23, v211, v138
	v_dual_mul_f32 v19, v223, v151 :: v_dual_fma_f32 v45, v210, v138, -v57
	s_delay_alu instid0(VALU_DEP_2) | instskip(SKIP_3) | instid1(VALU_DEP_3)
	v_dual_add_f32 v11, v11, v47 :: v_dual_add_f32 v9, v9, v21
	v_dual_mul_f32 v27, v214, v143 :: v_dual_mul_f32 v29, v216, v145
	s_wait_loadcnt_dscnt 0x701
	v_dual_mul_f32 v21, v225, v153 :: v_dual_fma_f32 v47, v212, v140, -v59
	v_dual_fmac_f32 v25, v213, v140 :: v_dual_add_f32 v11, v11, v45
	s_delay_alu instid0(VALU_DEP_3) | instskip(SKIP_1) | instid1(VALU_DEP_2)
	v_dual_add_f32 v9, v9, v23 :: v_dual_fmac_f32 v27, v215, v142
	v_dual_mul_f32 v23, v227, v155 :: v_dual_fma_f32 v43, v214, v142, -v43
	v_dual_add_f32 v11, v11, v47 :: v_dual_add_f32 v9, v9, v25
	v_dual_mul_f32 v31, v218, v147 :: v_dual_mul_f32 v33, v220, v149
	s_wait_loadcnt 0x6
	v_dual_mul_f32 v25, v205, v157 :: v_dual_fma_f32 v13, v216, v144, -v13
	s_delay_alu instid0(VALU_DEP_3) | instskip(NEXT) | instid1(VALU_DEP_3)
	v_dual_fmac_f32 v29, v217, v144 :: v_dual_add_f32 v11, v11, v43
	v_dual_add_f32 v9, v9, v27 :: v_dual_fmac_f32 v31, v219, v146
	v_dual_mul_f32 v27, v207, v159 :: v_dual_fma_f32 v15, v218, v146, -v15
	s_delay_alu instid0(VALU_DEP_3) | instskip(NEXT) | instid1(VALU_DEP_3)
	v_dual_add_f32 v11, v11, v13 :: v_dual_fmac_f32 v33, v221, v148
	v_dual_add_f32 v9, v9, v29 :: v_dual_fma_f32 v17, v220, v148, -v17
	v_dual_mul_f32 v35, v222, v151 :: v_dual_mul_f32 v37, v224, v153
	s_wait_loadcnt 0x5
	s_delay_alu instid0(VALU_DEP_3) | instskip(NEXT) | instid1(VALU_DEP_3)
	v_dual_mul_f32 v13, v177, v161 :: v_dual_add_f32 v11, v11, v15
	v_dual_add_f32 v9, v9, v31 :: v_dual_mov_b32 v124, v163
	s_delay_alu instid0(VALU_DEP_3) | instskip(NEXT) | instid1(VALU_DEP_3)
	v_fmac_f32_e32 v35, v223, v150
	v_dual_fma_f32 v15, v222, v150, -v19 :: v_dual_add_f32 v11, v11, v17
	s_delay_alu instid0(VALU_DEP_3) | instskip(SKIP_1) | instid1(VALU_DEP_3)
	v_dual_add_f32 v9, v9, v33 :: v_dual_mul_f32 v39, v226, v155
	v_dual_mul_f32 v41, v204, v157 :: v_dual_fmac_f32 v37, v225, v152
	v_dual_add_f32 v11, v11, v15 :: v_dual_fma_f32 v17, v224, v152, -v21
	s_wait_loadcnt 0x4
	s_delay_alu instid0(VALU_DEP_3) | instskip(SKIP_3) | instid1(VALU_DEP_4)
	v_dual_add_f32 v9, v9, v35 :: v_dual_mov_b32 v128, v167
	v_fma_f32 v15, v226, v154, -v23
	v_fmac_f32_e32 v39, v227, v154
	v_dual_add_f32 v11, v11, v17 :: v_dual_fmac_f32 v41, v205, v156
	v_dual_add_f32 v9, v9, v37 :: v_dual_mul_f32 v243, v206, v159
	v_mul_f32_e32 v245, v176, v161
	s_delay_alu instid0(VALU_DEP_3) | instskip(NEXT) | instid1(VALU_DEP_3)
	v_dual_fma_f32 v17, v204, v156, -v25 :: v_dual_add_f32 v11, v11, v15
	v_dual_fma_f32 v242, v206, v158, -v27 :: v_dual_add_f32 v9, v9, v39
	s_delay_alu instid0(VALU_DEP_4) | instskip(SKIP_1) | instid1(VALU_DEP_4)
	v_fmac_f32_e32 v243, v207, v158
	v_pk_mul_f32 v[124:125], v[234:235], v[124:125] op_sel_hi:[1,0]
	v_dual_add_f32 v132, v11, v17 :: v_dual_fmac_f32 v245, v177, v160
	s_delay_alu instid0(VALU_DEP_4)
	v_add_f32_e32 v133, v9, v41
	v_pk_mul_f32 v[126:127], v[180:181], v[164:165] op_sel:[1,1] op_sel_hi:[0,1]
	s_wait_loadcnt 0x3
	v_dual_mov_b32 v134, v171 :: v_dual_fma_f32 v244, v176, v160, -v13
	v_pk_fma_f32 v[136:137], v[178:179], v[162:163], v[124:125] op_sel_hi:[1,0,1]
	v_pk_add_f32 v[132:133], v[132:133], v[242:243]
	v_pk_fma_f32 v[124:125], v[178:179], v[162:163], v[124:125] neg_lo:[0,0,1] neg_hi:[0,0,1]
	v_pk_fma_f32 v[138:139], v[180:181], v[164:165], v[126:127] op_sel_hi:[1,0,1]
	v_pk_mul_f32 v[128:129], v[236:237], v[128:129] op_sel_hi:[1,0]
	v_mov_b32_e32 v125, v137
	v_pk_add_f32 v[132:133], v[132:133], v[244:245]
	v_pk_fma_f32 v[126:127], v[180:181], v[164:165], v[126:127] neg_lo:[0,0,1] neg_hi:[0,0,1]
	v_pk_mul_f32 v[130:131], v[184:185], v[168:169] op_sel:[1,1] op_sel_hi:[0,1]
	v_mov_b32_e32 v127, v139
	v_pk_fma_f32 v[138:139], v[182:183], v[166:167], v[128:129] op_sel_hi:[1,0,1]
	v_pk_add_f32 v[124:125], v[132:133], v[124:125]
	v_pk_fma_f32 v[128:129], v[182:183], v[166:167], v[128:129] neg_lo:[0,0,1] neg_hi:[0,0,1]
	v_pk_fma_f32 v[132:133], v[184:185], v[168:169], v[130:131] op_sel_hi:[1,0,1]
	v_pk_mul_f32 v[134:135], v[238:239], v[134:135] op_sel_hi:[1,0]
	v_mov_b32_e32 v129, v139
	v_pk_add_f32 v[124:125], v[124:125], v[126:127]
	v_pk_fma_f32 v[130:131], v[184:185], v[168:169], v[130:131] neg_lo:[0,0,1] neg_hi:[0,0,1]
	s_wait_loadcnt 0x2
	v_pk_mul_f32 v[136:137], v[188:189], v[172:173] op_sel:[1,1] op_sel_hi:[0,1]
	v_dual_mov_b32 v126, v175 :: v_dual_mov_b32 v131, v133
	v_pk_fma_f32 v[132:133], v[186:187], v[170:171], v[134:135] op_sel_hi:[1,0,1]
	v_pk_add_f32 v[124:125], v[124:125], v[128:129]
	v_pk_fma_f32 v[134:135], v[186:187], v[170:171], v[134:135] neg_lo:[0,0,1] neg_hi:[0,0,1]
	v_pk_fma_f32 v[128:129], v[188:189], v[172:173], v[136:137] op_sel_hi:[1,0,1]
	v_pk_mul_f32 v[126:127], v[240:241], v[126:127] op_sel_hi:[1,0]
	v_mov_b32_e32 v135, v133
	v_pk_add_f32 v[124:125], v[124:125], v[130:131]
	v_pk_fma_f32 v[130:131], v[188:189], v[172:173], v[136:137] neg_lo:[0,0,1] neg_hi:[0,0,1]
	v_mov_b32_e32 v131, v129
	v_pk_fma_f32 v[128:129], v[190:191], v[174:175], v[126:127] op_sel_hi:[1,0,1]
	s_wait_loadcnt_dscnt 0x100
	v_pk_mul_f32 v[132:133], v[232:233], v[228:229] op_sel:[1,1] op_sel_hi:[0,1]
	v_pk_add_f32 v[124:125], v[124:125], v[134:135]
	v_pk_fma_f32 v[126:127], v[190:191], v[174:175], v[126:127] neg_lo:[0,0,1] neg_hi:[0,0,1]
	v_mov_b32_e32 v127, v129
	s_delay_alu instid0(VALU_DEP_4) | instskip(NEXT) | instid1(VALU_DEP_4)
	v_pk_fma_f32 v[128:129], v[232:233], v[228:229], v[132:133] op_sel_hi:[1,0,1]
	v_pk_add_f32 v[124:125], v[124:125], v[130:131]
	v_pk_fma_f32 v[130:131], v[232:233], v[228:229], v[132:133] neg_lo:[0,0,1] neg_hi:[0,0,1]
	s_delay_alu instid0(VALU_DEP_3) | instskip(NEXT) | instid1(VALU_DEP_3)
	v_mov_b32_e32 v131, v129
	v_pk_add_f32 v[124:125], v[124:125], v[126:127]
	s_delay_alu instid0(VALU_DEP_1) | instskip(SKIP_1) | instid1(VALU_DEP_1)
	v_pk_add_f32 v[124:125], v[124:125], v[130:131]
	s_wait_loadcnt 0x0
	v_pk_add_f32 v[124:125], v[230:231], v[124:125] neg_lo:[0,1] neg_hi:[0,1]
	scratch_store_b64 off, v[124:125], off offset:264
	s_wait_xcnt 0x0
	v_cmpx_lt_u32_e32 32, v0
	s_cbranch_execz .LBB60_315
; %bb.314:
	scratch_load_b64 v[124:125], off, off offset:256
	v_mov_b64_e32 v[126:127], 0
	scratch_store_b64 off, v[126:127], off offset:256
	s_wait_loadcnt 0x0
	ds_store_b64 v1, v[124:125]
.LBB60_315:
	s_wait_xcnt 0x0
	s_or_b32 exec_lo, exec_lo, s0
	s_wait_storecnt_dscnt 0x0
	s_barrier_signal -1
	s_barrier_wait -1
	s_clause 0xe
	scratch_load_b128 v[124:127], off, off offset:264
	scratch_load_b128 v[128:131], off, off offset:280
	;; [unrolled: 1-line block ×14, first 2 shown]
	scratch_load_b64 v[236:237], off, off offset:256
	ds_load_2addr_b64 v[180:183], v7 offset0:115 offset1:116
	ds_load_2addr_b64 v[184:187], v7 offset0:117 offset1:118
	;; [unrolled: 1-line block ×14, first 2 shown]
	s_mov_b32 s0, exec_lo
	s_wait_dscnt 0xd
	v_dual_mov_b32 v238, v183 :: v_dual_mov_b32 v239, v182
	s_wait_dscnt 0xc
	v_dual_mov_b32 v240, v187 :: v_dual_mov_b32 v241, v186
	;; [unrolled: 2-line block ×4, first 2 shown]
	s_wait_loadcnt_dscnt 0xe09
	v_dual_mul_f32 v7, v196, v125 :: v_dual_mul_f32 v9, v198, v127
	v_dual_mul_f32 v43, v197, v125 :: v_dual_mul_f32 v45, v199, v127
	s_wait_loadcnt_dscnt 0xd08
	v_dual_mul_f32 v11, v200, v129 :: v_dual_mul_f32 v13, v202, v131
	s_delay_alu instid0(VALU_DEP_3) | instskip(SKIP_3) | instid1(VALU_DEP_3)
	v_dual_fmac_f32 v7, v197, v124 :: v_dual_fmac_f32 v9, v199, v126
	s_wait_loadcnt_dscnt 0xb06
	v_dual_fma_f32 v43, v196, v124, -v43 :: v_dual_mul_f32 v55, v209, v137
	v_dual_mul_f32 v47, v201, v129 :: v_dual_mul_f32 v49, v203, v131
	v_dual_fma_f32 v45, v198, v126, -v45 :: v_dual_add_f32 v7, 0, v7
	s_delay_alu instid0(VALU_DEP_3) | instskip(SKIP_1) | instid1(VALU_DEP_4)
	v_dual_add_f32 v43, 0, v43 :: v_dual_fmac_f32 v11, v201, v128
	v_dual_mul_f32 v15, v204, v133 :: v_dual_mul_f32 v17, v206, v135
	v_dual_mul_f32 v57, v211, v139 :: v_dual_fma_f32 v47, v200, v128, -v47
	s_delay_alu instid0(VALU_DEP_4) | instskip(NEXT) | instid1(VALU_DEP_3)
	v_add_f32_e32 v7, v7, v9
	v_dual_add_f32 v9, v43, v45 :: v_dual_fmac_f32 v15, v205, v132
	v_dual_mul_f32 v51, v205, v133 :: v_dual_mul_f32 v53, v207, v135
	s_wait_loadcnt_dscnt 0xa05
	v_dual_mul_f32 v43, v213, v141 :: v_dual_fmac_f32 v13, v203, v130
	v_dual_fma_f32 v45, v202, v130, -v49 :: v_dual_add_f32 v7, v7, v11
	s_delay_alu instid0(VALU_DEP_3) | instskip(SKIP_1) | instid1(VALU_DEP_3)
	v_dual_add_f32 v9, v9, v47 :: v_dual_fma_f32 v47, v204, v132, -v51
	v_dual_mul_f32 v19, v208, v137 :: v_dual_mul_f32 v21, v210, v139
	v_add_f32_e32 v7, v7, v13
	s_delay_alu instid0(VALU_DEP_3) | instskip(SKIP_2) | instid1(VALU_DEP_3)
	v_dual_mul_f32 v11, v215, v143 :: v_dual_add_f32 v9, v9, v45
	s_wait_loadcnt_dscnt 0x904
	v_dual_mul_f32 v13, v217, v145 :: v_dual_fmac_f32 v17, v207, v134
	v_dual_fma_f32 v45, v206, v134, -v53 :: v_dual_add_f32 v7, v7, v15
	s_delay_alu instid0(VALU_DEP_3) | instskip(SKIP_1) | instid1(VALU_DEP_3)
	v_dual_add_f32 v9, v9, v47 :: v_dual_fma_f32 v47, v208, v136, -v55
	v_dual_mul_f32 v15, v219, v147 :: v_dual_fmac_f32 v19, v209, v136
	v_add_f32_e32 v7, v7, v17
	s_delay_alu instid0(VALU_DEP_3)
	v_dual_add_f32 v9, v9, v45 :: v_dual_fmac_f32 v21, v211, v138
	v_dual_mul_f32 v23, v212, v141 :: v_dual_mul_f32 v25, v214, v143
	s_wait_loadcnt_dscnt 0x803
	v_dual_fma_f32 v45, v210, v138, -v57 :: v_dual_mul_f32 v17, v221, v149
	v_add_f32_e32 v7, v7, v19
	v_dual_add_f32 v9, v9, v47 :: v_dual_fma_f32 v43, v212, v140, -v43
	v_dual_mul_f32 v19, v223, v151 :: v_dual_fmac_f32 v23, v213, v140
	s_delay_alu instid0(VALU_DEP_3) | instskip(NEXT) | instid1(VALU_DEP_3)
	v_dual_add_f32 v7, v7, v21 :: v_dual_fma_f32 v11, v214, v142, -v11
	v_dual_add_f32 v9, v9, v45 :: v_dual_fmac_f32 v25, v215, v142
	v_dual_mul_f32 v27, v216, v145 :: v_dual_mul_f32 v29, v218, v147
	s_wait_loadcnt_dscnt 0x702
	s_delay_alu instid0(VALU_DEP_3) | instskip(NEXT) | instid1(VALU_DEP_3)
	v_dual_mul_f32 v21, v225, v153 :: v_dual_add_f32 v7, v7, v23
	v_dual_add_f32 v9, v9, v43 :: v_dual_fma_f32 v13, v216, v144, -v13
	s_delay_alu instid0(VALU_DEP_3) | instskip(NEXT) | instid1(VALU_DEP_2)
	v_dual_mul_f32 v23, v227, v155 :: v_dual_fmac_f32 v27, v217, v144
	v_dual_add_f32 v7, v7, v25 :: v_dual_add_f32 v9, v9, v11
	v_dual_mul_f32 v31, v220, v149 :: v_dual_mul_f32 v33, v222, v151
	s_wait_loadcnt_dscnt 0x601
	v_dual_mul_f32 v11, v229, v157 :: v_dual_fmac_f32 v29, v219, v146
	s_delay_alu instid0(VALU_DEP_3) | instskip(SKIP_2) | instid1(VALU_DEP_2)
	v_dual_fma_f32 v15, v218, v146, -v15 :: v_dual_add_f32 v7, v7, v27
	v_dual_add_f32 v9, v9, v13 :: v_dual_mul_f32 v13, v231, v159
	v_dual_fmac_f32 v31, v221, v148 :: v_dual_fma_f32 v17, v220, v148, -v17
	v_dual_add_f32 v7, v7, v29 :: v_dual_add_f32 v9, v9, v15
	v_dual_mul_f32 v35, v224, v153 :: v_dual_mul_f32 v37, v226, v155
	s_wait_loadcnt_dscnt 0x500
	v_dual_mul_f32 v15, v233, v161 :: v_dual_fmac_f32 v33, v223, v150
	s_delay_alu instid0(VALU_DEP_3) | instskip(SKIP_2) | instid1(VALU_DEP_2)
	v_dual_fma_f32 v19, v222, v150, -v19 :: v_dual_add_f32 v7, v7, v31
	v_dual_add_f32 v9, v9, v17 :: v_dual_mul_f32 v17, v235, v163
	v_dual_fmac_f32 v35, v225, v152 :: v_dual_fma_f32 v21, v224, v152, -v21
	v_dual_add_f32 v7, v7, v33 :: v_dual_add_f32 v9, v9, v19
	v_dual_mul_f32 v39, v228, v157 :: v_dual_mul_f32 v41, v230, v159
	v_dual_fmac_f32 v37, v227, v154 :: v_dual_fma_f32 v19, v226, v154, -v23
	s_delay_alu instid0(VALU_DEP_3) | instskip(SKIP_1) | instid1(VALU_DEP_3)
	v_dual_add_f32 v7, v7, v35 :: v_dual_add_f32 v9, v9, v21
	s_wait_loadcnt 0x4
	v_dual_mov_b32 v126, v167 :: v_dual_fmac_f32 v39, v229, v156
	s_delay_alu instid0(VALU_DEP_2) | instskip(NEXT) | instid1(VALU_DEP_3)
	v_dual_fma_f32 v11, v228, v156, -v11 :: v_dual_add_f32 v7, v7, v37
	v_dual_add_f32 v9, v9, v19 :: v_dual_fmac_f32 v41, v231, v158
	v_dual_mul_f32 v247, v232, v161 :: v_dual_mul_f32 v249, v234, v163
	s_delay_alu instid0(VALU_DEP_3) | instskip(SKIP_1) | instid1(VALU_DEP_3)
	v_dual_fma_f32 v13, v230, v158, -v13 :: v_dual_add_f32 v7, v7, v39
	s_wait_loadcnt 0x3
	v_dual_add_f32 v9, v9, v11 :: v_dual_mov_b32 v130, v171
	v_pk_mul_f32 v[124:125], v[180:181], v[164:165] op_sel:[1,1] op_sel_hi:[0,1]
	s_delay_alu instid0(VALU_DEP_3) | instskip(NEXT) | instid1(VALU_DEP_3)
	v_dual_fmac_f32 v247, v233, v160 :: v_dual_add_f32 v133, v7, v41
	v_dual_fma_f32 v246, v232, v160, -v15 :: v_dual_add_f32 v132, v9, v13
	v_fmac_f32_e32 v249, v235, v162
	s_delay_alu instid0(VALU_DEP_4)
	v_pk_fma_f32 v[134:135], v[180:181], v[164:165], v[124:125] op_sel_hi:[1,0,1]
	v_fma_f32 v248, v234, v162, -v17
	v_pk_mul_f32 v[126:127], v[238:239], v[126:127] op_sel_hi:[1,0]
	v_pk_add_f32 v[132:133], v[132:133], v[246:247]
	v_pk_fma_f32 v[124:125], v[180:181], v[164:165], v[124:125] neg_lo:[0,0,1] neg_hi:[0,0,1]
	v_pk_mul_f32 v[128:129], v[184:185], v[168:169] op_sel:[1,1] op_sel_hi:[0,1]
	v_mov_b32_e32 v125, v135
	v_pk_fma_f32 v[134:135], v[182:183], v[166:167], v[126:127] op_sel_hi:[1,0,1]
	v_pk_add_f32 v[132:133], v[132:133], v[248:249]
	v_pk_fma_f32 v[126:127], v[182:183], v[166:167], v[126:127] neg_lo:[0,0,1] neg_hi:[0,0,1]
	v_pk_fma_f32 v[138:139], v[184:185], v[168:169], v[128:129] op_sel_hi:[1,0,1]
	v_pk_mul_f32 v[130:131], v[240:241], v[130:131] op_sel_hi:[1,0]
	v_mov_b32_e32 v127, v135
	v_pk_add_f32 v[124:125], v[132:133], v[124:125]
	s_wait_loadcnt 0x2
	v_pk_mul_f32 v[136:137], v[188:189], v[172:173] op_sel:[1,1] op_sel_hi:[0,1]
	v_mov_b32_e32 v132, v175
	v_pk_fma_f32 v[128:129], v[184:185], v[168:169], v[128:129] neg_lo:[0,0,1] neg_hi:[0,0,1]
	v_pk_fma_f32 v[134:135], v[186:187], v[170:171], v[130:131] op_sel_hi:[1,0,1]
	v_mov_b32_e32 v129, v139
	v_pk_add_f32 v[124:125], v[124:125], v[126:127]
	v_pk_fma_f32 v[126:127], v[188:189], v[172:173], v[136:137] op_sel_hi:[1,0,1]
	v_pk_mul_f32 v[132:133], v[242:243], v[132:133] op_sel_hi:[1,0]
	v_pk_fma_f32 v[130:131], v[186:187], v[170:171], v[130:131] neg_lo:[0,0,1] neg_hi:[0,0,1]
	v_mov_b32_e32 v131, v135
	v_pk_add_f32 v[124:125], v[124:125], v[128:129]
	v_pk_fma_f32 v[134:135], v[188:189], v[172:173], v[136:137] neg_lo:[0,0,1] neg_hi:[0,0,1]
	v_mov_b32_e32 v135, v127
	v_pk_fma_f32 v[126:127], v[190:191], v[174:175], v[132:133] op_sel_hi:[1,0,1]
	s_wait_loadcnt 0x1
	v_pk_mul_f32 v[128:129], v[192:193], v[176:177] op_sel:[1,1] op_sel_hi:[0,1]
	v_pk_add_f32 v[124:125], v[124:125], v[130:131]
	v_mov_b32_e32 v126, v179
	v_pk_fma_f32 v[132:133], v[190:191], v[174:175], v[132:133] neg_lo:[0,0,1] neg_hi:[0,0,1]
	s_delay_alu instid0(VALU_DEP_4)
	v_pk_fma_f32 v[130:131], v[192:193], v[176:177], v[128:129] op_sel_hi:[1,0,1]
	v_mov_b32_e32 v133, v127
	v_pk_add_f32 v[124:125], v[124:125], v[134:135]
	v_pk_mul_f32 v[126:127], v[244:245], v[126:127] op_sel_hi:[1,0]
	v_pk_fma_f32 v[128:129], v[192:193], v[176:177], v[128:129] neg_lo:[0,0,1] neg_hi:[0,0,1]
	v_mov_b32_e32 v129, v131
	s_delay_alu instid0(VALU_DEP_4) | instskip(NEXT) | instid1(VALU_DEP_4)
	v_pk_add_f32 v[124:125], v[124:125], v[132:133]
	v_pk_fma_f32 v[130:131], v[194:195], v[178:179], v[126:127] op_sel_hi:[1,0,1]
	v_pk_fma_f32 v[126:127], v[194:195], v[178:179], v[126:127] neg_lo:[0,0,1] neg_hi:[0,0,1]
	s_delay_alu instid0(VALU_DEP_3) | instskip(NEXT) | instid1(VALU_DEP_3)
	v_pk_add_f32 v[124:125], v[124:125], v[128:129]
	v_mov_b32_e32 v127, v131
	s_delay_alu instid0(VALU_DEP_1) | instskip(SKIP_1) | instid1(VALU_DEP_1)
	v_pk_add_f32 v[124:125], v[124:125], v[126:127]
	s_wait_loadcnt 0x0
	v_pk_add_f32 v[124:125], v[236:237], v[124:125] neg_lo:[0,1] neg_hi:[0,1]
	scratch_store_b64 off, v[124:125], off offset:256
	s_wait_xcnt 0x0
	v_cmpx_lt_u32_e32 31, v0
	s_cbranch_execz .LBB60_317
; %bb.316:
	scratch_load_b64 v[124:125], off, off offset:248
	v_mov_b64_e32 v[126:127], 0
	scratch_store_b64 off, v[126:127], off offset:248
	s_wait_loadcnt 0x0
	ds_store_b64 v1, v[124:125]
.LBB60_317:
	s_wait_xcnt 0x0
	s_or_b32 exec_lo, exec_lo, s0
	s_wait_storecnt_dscnt 0x0
	s_barrier_signal -1
	s_barrier_wait -1
	s_clause 0xf
	scratch_load_b128 v[124:127], off, off offset:256
	scratch_load_b128 v[128:131], off, off offset:272
	scratch_load_b128 v[132:135], off, off offset:288
	scratch_load_b128 v[136:139], off, off offset:304
	scratch_load_b128 v[140:143], off, off offset:320
	scratch_load_b128 v[144:147], off, off offset:336
	scratch_load_b128 v[148:151], off, off offset:352
	scratch_load_b128 v[152:155], off, off offset:368
	scratch_load_b128 v[156:159], off, off offset:384
	scratch_load_b128 v[160:163], off, off offset:400
	scratch_load_b128 v[164:167], off, off offset:416
	scratch_load_b128 v[168:171], off, off offset:432
	scratch_load_b128 v[172:175], off, off offset:448
	scratch_load_b128 v[176:179], off, off offset:464
	scratch_load_b64 v[236:237], off, off offset:480
	scratch_load_b64 v[238:239], off, off offset:248
	v_mov_b32_e32 v7, 0
	ds_load_b128 v[180:183], v7 offset:912
	ds_load_b128 v[184:187], v7 offset:928
	;; [unrolled: 1-line block ×14, first 2 shown]
	ds_load_b64 v[240:241], v7 offset:976
	s_mov_b32 s0, exec_lo
	s_wait_dscnt 0xe
	v_dual_mov_b32 v242, v183 :: v_dual_mov_b32 v243, v182
	s_wait_dscnt 0xb
	v_dual_mov_b32 v244, v187 :: v_dual_mov_b32 v249, v194
	v_dual_mov_b32 v245, v186 :: v_dual_mov_b32 v246, v191
	;; [unrolled: 1-line block ×3, first 2 shown]
	s_wait_loadcnt_dscnt 0xf0a
	v_dual_mul_f32 v9, v196, v125 :: v_dual_mul_f32 v47, v197, v125
	v_dual_mul_f32 v49, v199, v127 :: v_dual_mul_f32 v11, v198, v127
	s_wait_loadcnt_dscnt 0xe09
	v_mul_f32_e32 v13, v200, v129
	s_wait_loadcnt_dscnt 0xc07
	v_dual_mul_f32 v59, v209, v137 :: v_dual_fma_f32 v47, v196, v124, -v47
	v_dual_fmac_f32 v9, v197, v124 :: v_dual_mul_f32 v61, v211, v139
	v_dual_mul_f32 v51, v201, v129 :: v_dual_mul_f32 v53, v203, v131
	v_dual_fmac_f32 v11, v199, v126 :: v_dual_fma_f32 v49, v198, v126, -v49
	s_delay_alu instid0(VALU_DEP_3) | instskip(SKIP_4) | instid1(VALU_DEP_3)
	v_dual_add_f32 v9, 0, v9 :: v_dual_add_f32 v47, 0, v47
	v_dual_mul_f32 v15, v202, v131 :: v_dual_mul_f32 v17, v204, v133
	s_wait_loadcnt_dscnt 0xb06
	v_dual_mul_f32 v63, v213, v141 :: v_dual_fma_f32 v51, v200, v128, -v51
	v_fmac_f32_e32 v13, v201, v128
	v_dual_add_f32 v9, v9, v11 :: v_dual_fmac_f32 v15, v203, v130
	v_add_f32_e32 v11, v47, v49
	v_dual_mul_f32 v55, v205, v133 :: v_dual_mul_f32 v57, v207, v135
	v_dual_mul_f32 v47, v215, v143 :: v_dual_fma_f32 v49, v202, v130, -v53
	s_delay_alu instid0(VALU_DEP_3) | instskip(SKIP_3) | instid1(VALU_DEP_3)
	v_dual_add_f32 v9, v9, v13 :: v_dual_add_f32 v11, v11, v51
	v_dual_mul_f32 v19, v206, v135 :: v_dual_mul_f32 v21, v208, v137
	s_wait_loadcnt_dscnt 0xa05
	v_dual_mul_f32 v13, v217, v145 :: v_dual_fma_f32 v51, v204, v132, -v55
	v_dual_fmac_f32 v17, v205, v132 :: v_dual_add_f32 v11, v11, v49
	s_delay_alu instid0(VALU_DEP_3) | instskip(SKIP_1) | instid1(VALU_DEP_2)
	v_dual_add_f32 v9, v9, v15 :: v_dual_fmac_f32 v19, v207, v134
	v_dual_mul_f32 v15, v219, v147 :: v_dual_fma_f32 v49, v206, v134, -v57
	v_dual_add_f32 v11, v11, v51 :: v_dual_add_f32 v9, v9, v17
	v_dual_mul_f32 v23, v210, v139 :: v_dual_mul_f32 v25, v212, v141
	s_wait_loadcnt_dscnt 0x904
	v_dual_mul_f32 v17, v221, v149 :: v_dual_fma_f32 v51, v208, v136, -v59
	s_delay_alu instid0(VALU_DEP_3) | instskip(NEXT) | instid1(VALU_DEP_3)
	v_dual_fmac_f32 v21, v209, v136 :: v_dual_add_f32 v11, v11, v49
	v_dual_add_f32 v9, v9, v19 :: v_dual_fmac_f32 v23, v211, v138
	v_dual_mul_f32 v19, v223, v151 :: v_dual_fma_f32 v49, v210, v138, -v61
	s_delay_alu instid0(VALU_DEP_2) | instskip(SKIP_3) | instid1(VALU_DEP_3)
	v_dual_add_f32 v11, v11, v51 :: v_dual_add_f32 v9, v9, v21
	v_dual_mul_f32 v27, v214, v143 :: v_dual_mul_f32 v29, v216, v145
	s_wait_loadcnt_dscnt 0x803
	v_dual_mul_f32 v21, v225, v153 :: v_dual_fma_f32 v51, v212, v140, -v63
	v_dual_fmac_f32 v25, v213, v140 :: v_dual_add_f32 v11, v11, v49
	s_delay_alu instid0(VALU_DEP_3) | instskip(SKIP_1) | instid1(VALU_DEP_2)
	v_dual_add_f32 v9, v9, v23 :: v_dual_fmac_f32 v27, v215, v142
	v_dual_mul_f32 v23, v227, v155 :: v_dual_fma_f32 v47, v214, v142, -v47
	v_dual_add_f32 v11, v11, v51 :: v_dual_add_f32 v9, v9, v25
	v_dual_mul_f32 v31, v218, v147 :: v_dual_mul_f32 v33, v220, v149
	s_wait_loadcnt_dscnt 0x702
	v_dual_mul_f32 v25, v229, v157 :: v_dual_fma_f32 v13, v216, v144, -v13
	s_delay_alu instid0(VALU_DEP_3) | instskip(NEXT) | instid1(VALU_DEP_3)
	v_dual_fmac_f32 v29, v217, v144 :: v_dual_add_f32 v11, v11, v47
	v_dual_add_f32 v9, v9, v27 :: v_dual_fmac_f32 v31, v219, v146
	v_dual_mul_f32 v27, v231, v159 :: v_dual_fma_f32 v15, v218, v146, -v15
	s_delay_alu instid0(VALU_DEP_3) | instskip(NEXT) | instid1(VALU_DEP_3)
	v_dual_add_f32 v11, v11, v13 :: v_dual_fmac_f32 v33, v221, v148
	v_dual_add_f32 v9, v9, v29 :: v_dual_fma_f32 v17, v220, v148, -v17
	v_dual_mul_f32 v35, v222, v151 :: v_dual_mul_f32 v37, v224, v153
	s_wait_loadcnt_dscnt 0x601
	s_delay_alu instid0(VALU_DEP_3) | instskip(NEXT) | instid1(VALU_DEP_2)
	v_dual_mul_f32 v13, v233, v161 :: v_dual_add_f32 v11, v11, v15
	v_dual_add_f32 v9, v9, v31 :: v_dual_fmac_f32 v35, v223, v150
	v_dual_mul_f32 v15, v235, v163 :: v_dual_fma_f32 v19, v222, v150, -v19
	s_delay_alu instid0(VALU_DEP_3) | instskip(NEXT) | instid1(VALU_DEP_3)
	v_dual_add_f32 v11, v11, v17 :: v_dual_fmac_f32 v37, v225, v152
	v_dual_add_f32 v9, v9, v33 :: v_dual_fma_f32 v21, v224, v152, -v21
	v_dual_mul_f32 v39, v226, v155 :: v_dual_mul_f32 v41, v228, v157
	s_wait_loadcnt 0x5
	s_delay_alu instid0(VALU_DEP_3) | instskip(NEXT) | instid1(VALU_DEP_3)
	v_dual_mul_f32 v17, v181, v165 :: v_dual_add_f32 v11, v11, v19
	v_dual_add_f32 v9, v9, v35 :: v_dual_mov_b32 v124, v167
	s_delay_alu instid0(VALU_DEP_3) | instskip(NEXT) | instid1(VALU_DEP_3)
	v_fmac_f32_e32 v39, v227, v154
	v_dual_fma_f32 v19, v226, v154, -v23 :: v_dual_add_f32 v11, v11, v21
	s_delay_alu instid0(VALU_DEP_3) | instskip(SKIP_1) | instid1(VALU_DEP_3)
	v_dual_add_f32 v9, v9, v37 :: v_dual_mul_f32 v43, v230, v159
	v_dual_mul_f32 v45, v232, v161 :: v_dual_fmac_f32 v41, v229, v156
	v_dual_add_f32 v11, v11, v19 :: v_dual_fma_f32 v21, v228, v156, -v25
	s_wait_loadcnt 0x4
	s_delay_alu instid0(VALU_DEP_3) | instskip(SKIP_3) | instid1(VALU_DEP_4)
	v_dual_add_f32 v9, v9, v39 :: v_dual_mov_b32 v128, v171
	v_fma_f32 v19, v230, v158, -v27
	v_fmac_f32_e32 v43, v231, v158
	v_dual_add_f32 v11, v11, v21 :: v_dual_fmac_f32 v45, v233, v160
	v_dual_add_f32 v9, v9, v41 :: v_dual_mul_f32 v251, v234, v163
	v_mul_f32_e32 v253, v180, v165
	s_delay_alu instid0(VALU_DEP_3) | instskip(NEXT) | instid1(VALU_DEP_3)
	v_dual_fma_f32 v13, v232, v160, -v13 :: v_dual_add_f32 v11, v11, v19
	v_dual_fma_f32 v250, v234, v162, -v15 :: v_dual_add_f32 v9, v9, v43
	s_delay_alu instid0(VALU_DEP_4) | instskip(SKIP_1) | instid1(VALU_DEP_4)
	v_fmac_f32_e32 v251, v235, v162
	v_pk_mul_f32 v[124:125], v[242:243], v[124:125] op_sel_hi:[1,0]
	v_dual_add_f32 v132, v11, v13 :: v_dual_fmac_f32 v253, v181, v164
	s_delay_alu instid0(VALU_DEP_4)
	v_add_f32_e32 v133, v9, v45
	v_pk_mul_f32 v[126:127], v[184:185], v[168:169] op_sel:[1,1] op_sel_hi:[0,1]
	s_wait_loadcnt 0x3
	v_dual_mov_b32 v134, v175 :: v_dual_fma_f32 v252, v180, v164, -v17
	v_pk_fma_f32 v[136:137], v[182:183], v[166:167], v[124:125] op_sel_hi:[1,0,1]
	v_pk_add_f32 v[132:133], v[132:133], v[250:251]
	v_pk_fma_f32 v[124:125], v[182:183], v[166:167], v[124:125] neg_lo:[0,0,1] neg_hi:[0,0,1]
	v_pk_fma_f32 v[138:139], v[184:185], v[168:169], v[126:127] op_sel_hi:[1,0,1]
	v_pk_mul_f32 v[128:129], v[244:245], v[128:129] op_sel_hi:[1,0]
	v_mov_b32_e32 v125, v137
	v_pk_add_f32 v[132:133], v[132:133], v[252:253]
	v_pk_fma_f32 v[126:127], v[184:185], v[168:169], v[126:127] neg_lo:[0,0,1] neg_hi:[0,0,1]
	v_pk_mul_f32 v[130:131], v[188:189], v[172:173] op_sel:[1,1] op_sel_hi:[0,1]
	v_mov_b32_e32 v127, v139
	v_pk_fma_f32 v[138:139], v[186:187], v[170:171], v[128:129] op_sel_hi:[1,0,1]
	v_pk_add_f32 v[124:125], v[132:133], v[124:125]
	v_pk_fma_f32 v[128:129], v[186:187], v[170:171], v[128:129] neg_lo:[0,0,1] neg_hi:[0,0,1]
	v_pk_fma_f32 v[132:133], v[188:189], v[172:173], v[130:131] op_sel_hi:[1,0,1]
	v_pk_mul_f32 v[134:135], v[246:247], v[134:135] op_sel_hi:[1,0]
	v_mov_b32_e32 v129, v139
	v_pk_add_f32 v[124:125], v[124:125], v[126:127]
	v_pk_fma_f32 v[130:131], v[188:189], v[172:173], v[130:131] neg_lo:[0,0,1] neg_hi:[0,0,1]
	s_wait_loadcnt 0x2
	v_pk_mul_f32 v[136:137], v[192:193], v[176:177] op_sel:[1,1] op_sel_hi:[0,1]
	v_dual_mov_b32 v126, v179 :: v_dual_mov_b32 v131, v133
	v_pk_fma_f32 v[132:133], v[190:191], v[174:175], v[134:135] op_sel_hi:[1,0,1]
	v_pk_add_f32 v[124:125], v[124:125], v[128:129]
	v_pk_fma_f32 v[134:135], v[190:191], v[174:175], v[134:135] neg_lo:[0,0,1] neg_hi:[0,0,1]
	v_pk_fma_f32 v[128:129], v[192:193], v[176:177], v[136:137] op_sel_hi:[1,0,1]
	v_pk_mul_f32 v[126:127], v[248:249], v[126:127] op_sel_hi:[1,0]
	v_mov_b32_e32 v135, v133
	v_pk_add_f32 v[124:125], v[124:125], v[130:131]
	v_pk_fma_f32 v[130:131], v[192:193], v[176:177], v[136:137] neg_lo:[0,0,1] neg_hi:[0,0,1]
	v_mov_b32_e32 v131, v129
	v_pk_fma_f32 v[128:129], v[194:195], v[178:179], v[126:127] op_sel_hi:[1,0,1]
	s_wait_loadcnt_dscnt 0x100
	v_pk_mul_f32 v[132:133], v[240:241], v[236:237] op_sel:[1,1] op_sel_hi:[0,1]
	v_pk_add_f32 v[124:125], v[124:125], v[134:135]
	v_pk_fma_f32 v[126:127], v[194:195], v[178:179], v[126:127] neg_lo:[0,0,1] neg_hi:[0,0,1]
	v_mov_b32_e32 v127, v129
	s_delay_alu instid0(VALU_DEP_4) | instskip(NEXT) | instid1(VALU_DEP_4)
	v_pk_fma_f32 v[128:129], v[240:241], v[236:237], v[132:133] op_sel_hi:[1,0,1]
	v_pk_add_f32 v[124:125], v[124:125], v[130:131]
	v_pk_fma_f32 v[130:131], v[240:241], v[236:237], v[132:133] neg_lo:[0,0,1] neg_hi:[0,0,1]
	s_delay_alu instid0(VALU_DEP_3) | instskip(NEXT) | instid1(VALU_DEP_3)
	v_mov_b32_e32 v131, v129
	v_pk_add_f32 v[124:125], v[124:125], v[126:127]
	s_delay_alu instid0(VALU_DEP_1) | instskip(SKIP_1) | instid1(VALU_DEP_1)
	v_pk_add_f32 v[124:125], v[124:125], v[130:131]
	s_wait_loadcnt 0x0
	v_pk_add_f32 v[124:125], v[238:239], v[124:125] neg_lo:[0,1] neg_hi:[0,1]
	scratch_store_b64 off, v[124:125], off offset:248
	s_wait_xcnt 0x0
	v_cmpx_lt_u32_e32 30, v0
	s_cbranch_execz .LBB60_319
; %bb.318:
	scratch_load_b64 v[124:125], off, off offset:240
	v_mov_b64_e32 v[126:127], 0
	scratch_store_b64 off, v[126:127], off offset:240
	s_wait_loadcnt 0x0
	ds_store_b64 v1, v[124:125]
.LBB60_319:
	s_wait_xcnt 0x0
	s_or_b32 exec_lo, exec_lo, s0
	s_wait_storecnt_dscnt 0x0
	s_barrier_signal -1
	s_barrier_wait -1
	s_clause 0xf
	scratch_load_b128 v[124:127], off, off offset:248
	scratch_load_b128 v[128:131], off, off offset:264
	;; [unrolled: 1-line block ×15, first 2 shown]
	scratch_load_b64 v[244:245], off, off offset:240
	ds_load_2addr_b64 v[184:187], v7 offset0:115 offset1:116
	ds_load_2addr_b64 v[188:191], v7 offset0:117 offset1:118
	;; [unrolled: 1-line block ×15, first 2 shown]
	s_mov_b32 s0, exec_lo
	s_wait_dscnt 0xe
	v_dual_mov_b32 v246, v187 :: v_dual_mov_b32 v247, v186
	s_wait_dscnt 0xd
	v_dual_mov_b32 v248, v191 :: v_dual_mov_b32 v249, v190
	;; [unrolled: 2-line block ×4, first 2 shown]
	s_wait_loadcnt_dscnt 0xf0a
	v_dual_mul_f32 v7, v200, v125 :: v_dual_mul_f32 v9, v202, v127
	s_wait_loadcnt_dscnt 0xe09
	v_dual_mul_f32 v47, v201, v125 :: v_dual_mul_f32 v53, v207, v131
	s_wait_loadcnt_dscnt 0xd07
	v_mul_f32_e32 v55, v213, v133
	v_dual_fmac_f32 v7, v201, v124 :: v_dual_fmac_f32 v9, v203, v126
	s_delay_alu instid0(VALU_DEP_3)
	v_dual_mul_f32 v49, v203, v127 :: v_dual_fma_f32 v47, v200, v124, -v47
	v_dual_mul_f32 v11, v204, v129 :: v_dual_mul_f32 v13, v206, v131
	s_wait_loadcnt 0x5
	v_mul_f32_e32 v255, v208, v165
	v_dual_mul_f32 v51, v205, v129 :: v_dual_mul_f32 v57, v215, v135
	s_wait_dscnt 0x6
	v_dual_mul_f32 v59, v217, v137 :: v_dual_fma_f32 v49, v202, v126, -v49
	v_dual_add_f32 v7, 0, v7 :: v_dual_fmac_f32 v11, v205, v128
	s_delay_alu instid0(VALU_DEP_3) | instskip(SKIP_1) | instid1(VALU_DEP_3)
	v_dual_add_f32 v47, 0, v47 :: v_dual_fma_f32 v51, v204, v128, -v51
	v_dual_mul_f32 v15, v212, v133 :: v_dual_mul_f32 v17, v214, v135
	v_add_f32_e32 v7, v7, v9
	s_delay_alu instid0(VALU_DEP_3) | instskip(NEXT) | instid1(VALU_DEP_3)
	v_dual_add_f32 v9, v47, v49 :: v_dual_fma_f32 v49, v206, v130, -v53
	v_dual_fmac_f32 v15, v213, v132 :: v_dual_fmac_f32 v13, v207, v130
	s_delay_alu instid0(VALU_DEP_3) | instskip(NEXT) | instid1(VALU_DEP_3)
	v_add_f32_e32 v7, v7, v11
	v_add_f32_e32 v9, v9, v51
	s_wait_dscnt 0x5
	v_dual_mul_f32 v11, v223, v143 :: v_dual_fma_f32 v51, v212, v132, -v55
	v_dual_mul_f32 v19, v216, v137 :: v_dual_mul_f32 v21, v218, v139
	v_add_f32_e32 v7, v7, v13
	v_add_f32_e32 v9, v9, v49
	s_wait_dscnt 0x4
	v_dual_mul_f32 v13, v225, v145 :: v_dual_fmac_f32 v17, v215, v134
	s_delay_alu instid0(VALU_DEP_3) | instskip(SKIP_3) | instid1(VALU_DEP_2)
	v_dual_fma_f32 v49, v214, v134, -v57 :: v_dual_add_f32 v7, v7, v15
	v_fmac_f32_e32 v19, v217, v136
	v_dual_add_f32 v9, v9, v51 :: v_dual_fma_f32 v51, v216, v136, -v59
	v_dual_mul_f32 v61, v219, v139 :: v_dual_mul_f32 v47, v221, v141
	v_dual_mul_f32 v15, v227, v147 :: v_dual_add_f32 v9, v9, v49
	s_delay_alu instid0(VALU_DEP_2) | instskip(SKIP_3) | instid1(VALU_DEP_2)
	v_dual_add_f32 v7, v7, v17 :: v_dual_fma_f32 v49, v218, v138, -v61
	v_dual_mul_f32 v23, v220, v141 :: v_dual_mul_f32 v25, v222, v143
	s_wait_dscnt 0x3
	v_dual_mul_f32 v17, v229, v149 :: v_dual_fmac_f32 v21, v219, v138
	v_dual_add_f32 v7, v7, v19 :: v_dual_fmac_f32 v23, v221, v140
	v_dual_add_f32 v9, v9, v51 :: v_dual_fma_f32 v47, v220, v140, -v47
	v_mul_f32_e32 v19, v231, v151
	s_delay_alu instid0(VALU_DEP_3) | instskip(NEXT) | instid1(VALU_DEP_3)
	v_dual_add_f32 v7, v7, v21 :: v_dual_fma_f32 v11, v222, v142, -v11
	v_add_f32_e32 v9, v9, v49
	v_dual_mul_f32 v27, v224, v145 :: v_dual_mul_f32 v29, v226, v147
	s_wait_dscnt 0x2
	v_dual_mul_f32 v21, v233, v153 :: v_dual_fmac_f32 v25, v223, v142
	s_delay_alu instid0(VALU_DEP_2) | instskip(SKIP_2) | instid1(VALU_DEP_2)
	v_dual_add_f32 v7, v7, v23 :: v_dual_fmac_f32 v27, v225, v144
	v_dual_add_f32 v9, v9, v47 :: v_dual_fma_f32 v13, v224, v144, -v13
	v_dual_mul_f32 v31, v228, v149 :: v_dual_mul_f32 v33, v230, v151
	v_dual_add_f32 v7, v7, v25 :: v_dual_add_f32 v9, v9, v11
	v_dual_fmac_f32 v29, v227, v146 :: v_dual_fma_f32 v15, v226, v146, -v15
	s_delay_alu instid0(VALU_DEP_2) | instskip(SKIP_1) | instid1(VALU_DEP_3)
	v_dual_fmac_f32 v31, v229, v148 :: v_dual_add_f32 v7, v7, v27
	s_wait_dscnt 0x1
	v_dual_add_f32 v9, v9, v13 :: v_dual_mul_f32 v13, v239, v159
	v_fma_f32 v17, v228, v148, -v17
	v_dual_mul_f32 v35, v232, v153 :: v_dual_mul_f32 v37, v234, v155
	s_delay_alu instid0(VALU_DEP_3) | instskip(SKIP_2) | instid1(VALU_DEP_2)
	v_dual_add_f32 v7, v7, v29 :: v_dual_add_f32 v9, v9, v15
	s_wait_dscnt 0x0
	v_dual_fmac_f32 v33, v231, v150 :: v_dual_mul_f32 v15, v241, v161
	v_dual_fma_f32 v19, v230, v150, -v19 :: v_dual_add_f32 v7, v7, v31
	s_delay_alu instid0(VALU_DEP_3) | instskip(SKIP_2) | instid1(VALU_DEP_3)
	v_dual_add_f32 v9, v9, v17 :: v_dual_mul_f32 v23, v235, v155
	v_dual_mul_f32 v11, v237, v157 :: v_dual_mul_f32 v17, v243, v163
	v_dual_fmac_f32 v35, v233, v152 :: v_dual_fma_f32 v21, v232, v152, -v21
	v_dual_add_f32 v7, v7, v33 :: v_dual_add_f32 v9, v9, v19
	v_dual_fmac_f32 v37, v235, v154 :: v_dual_mul_f32 v39, v236, v157
	v_dual_mul_f32 v41, v238, v159 :: v_dual_mul_f32 v19, v209, v165
	s_delay_alu instid0(VALU_DEP_3) | instskip(NEXT) | instid1(VALU_DEP_4)
	v_dual_fma_f32 v23, v234, v154, -v23 :: v_dual_add_f32 v7, v7, v35
	v_dual_add_f32 v9, v9, v21 :: v_dual_mul_f32 v21, v211, v167
	s_delay_alu instid0(VALU_DEP_4) | instskip(NEXT) | instid1(VALU_DEP_3)
	v_fmac_f32_e32 v39, v237, v156
	v_dual_fma_f32 v11, v236, v156, -v11 :: v_dual_add_f32 v7, v7, v37
	s_delay_alu instid0(VALU_DEP_3) | instskip(SKIP_1) | instid1(VALU_DEP_3)
	v_dual_add_f32 v9, v9, v23 :: v_dual_fmac_f32 v41, v239, v158
	v_dual_mul_f32 v43, v240, v161 :: v_dual_mul_f32 v45, v242, v163
	v_dual_fma_f32 v13, v238, v158, -v13 :: v_dual_add_f32 v7, v7, v39
	s_wait_loadcnt 0x4
	s_delay_alu instid0(VALU_DEP_3) | instskip(NEXT) | instid1(VALU_DEP_3)
	v_dual_add_f32 v9, v9, v11 :: v_dual_mov_b32 v126, v171
	v_fmac_f32_e32 v43, v241, v160
	s_delay_alu instid0(VALU_DEP_3) | instskip(NEXT) | instid1(VALU_DEP_3)
	v_dual_fma_f32 v11, v240, v160, -v15 :: v_dual_add_f32 v7, v7, v41
	v_add_f32_e32 v9, v9, v13
	v_pk_mul_f32 v[124:125], v[184:185], v[168:169] op_sel:[1,1] op_sel_hi:[0,1]
	v_fmac_f32_e32 v45, v243, v162
	s_delay_alu instid0(VALU_DEP_4) | instskip(NEXT) | instid1(VALU_DEP_4)
	v_dual_fma_f32 v13, v242, v162, -v17 :: v_dual_add_f32 v7, v7, v43
	v_add_f32_e32 v9, v9, v11
	s_set_vgpr_msb 64                       ;  msbs: dst=1 src0=0 src1=0 src2=0
	v_dual_mul_f32 v1 /*v257*/, v210, v167 :: v_dual_fma_f32 v0 /*v256*/, v210, v166, -v21
	s_wait_loadcnt 0x3
	s_set_vgpr_msb 0                        ;  msbs: dst=0 src0=0 src1=0 src2=0
	v_dual_mov_b32 v130, v175 :: v_dual_fmac_f32 v255, v209, v164
	v_dual_fma_f32 v254, v208, v164, -v19 :: v_dual_add_f32 v133, v7, v45
	v_pk_fma_f32 v[134:135], v[184:185], v[168:169], v[124:125] op_sel_hi:[1,0,1]
	v_add_f32_e32 v132, v9, v13
	v_pk_fma_f32 v[124:125], v[184:185], v[168:169], v[124:125] neg_lo:[0,0,1] neg_hi:[0,0,1]
	s_set_vgpr_msb 64                       ;  msbs: dst=1 src0=0 src1=0 src2=0
	v_fmac_f32_e32 v1 /*v257*/, v211, v166
	s_set_vgpr_msb 0                        ;  msbs: dst=0 src0=0 src1=0 src2=0
	v_pk_mul_f32 v[126:127], v[246:247], v[126:127] op_sel_hi:[1,0]
	v_mov_b32_e32 v125, v135
	v_pk_add_f32 v[132:133], v[132:133], v[254:255]
	v_pk_mul_f32 v[128:129], v[188:189], v[172:173] op_sel:[1,1] op_sel_hi:[0,1]
	v_pk_mul_f32 v[130:131], v[248:249], v[130:131] op_sel_hi:[1,0]
	v_pk_fma_f32 v[134:135], v[186:187], v[170:171], v[126:127] op_sel_hi:[1,0,1]
	v_pk_fma_f32 v[126:127], v[186:187], v[170:171], v[126:127] neg_lo:[0,0,1] neg_hi:[0,0,1]
	s_set_vgpr_msb 4                        ;  msbs: dst=0 src0=0 src1=1 src2=0
	v_pk_add_f32 v[132:133], v[132:133], v[0:1] /*v[256:257]*/
	s_set_vgpr_msb 0                        ;  msbs: dst=0 src0=0 src1=0 src2=0
	v_pk_fma_f32 v[138:139], v[188:189], v[172:173], v[128:129] op_sel_hi:[1,0,1]
	s_wait_loadcnt 0x2
	v_pk_mul_f32 v[136:137], v[192:193], v[176:177] op_sel:[1,1] op_sel_hi:[0,1]
	v_mov_b32_e32 v127, v135
	v_pk_fma_f32 v[128:129], v[188:189], v[172:173], v[128:129] neg_lo:[0,0,1] neg_hi:[0,0,1]
	v_pk_add_f32 v[124:125], v[132:133], v[124:125]
	v_mov_b32_e32 v132, v179
	v_pk_fma_f32 v[134:135], v[190:191], v[174:175], v[130:131] op_sel_hi:[1,0,1]
	v_mov_b32_e32 v129, v139
	v_pk_fma_f32 v[130:131], v[190:191], v[174:175], v[130:131] neg_lo:[0,0,1] neg_hi:[0,0,1]
	v_pk_add_f32 v[124:125], v[124:125], v[126:127]
	v_pk_fma_f32 v[126:127], v[192:193], v[176:177], v[136:137] op_sel_hi:[1,0,1]
	v_pk_mul_f32 v[132:133], v[250:251], v[132:133] op_sel_hi:[1,0]
	v_mov_b32_e32 v131, v135
	v_pk_fma_f32 v[134:135], v[192:193], v[176:177], v[136:137] neg_lo:[0,0,1] neg_hi:[0,0,1]
	v_pk_add_f32 v[124:125], v[124:125], v[128:129]
	v_mov_b32_e32 v135, v127
	v_pk_fma_f32 v[126:127], v[194:195], v[178:179], v[132:133] op_sel_hi:[1,0,1]
	s_wait_loadcnt 0x1
	v_pk_mul_f32 v[128:129], v[196:197], v[180:181] op_sel:[1,1] op_sel_hi:[0,1]
	v_mov_b32_e32 v126, v183
	v_pk_add_f32 v[124:125], v[124:125], v[130:131]
	v_pk_fma_f32 v[132:133], v[194:195], v[178:179], v[132:133] neg_lo:[0,0,1] neg_hi:[0,0,1]
	s_delay_alu instid0(VALU_DEP_4) | instskip(SKIP_1) | instid1(VALU_DEP_4)
	v_pk_fma_f32 v[130:131], v[196:197], v[180:181], v[128:129] op_sel_hi:[1,0,1]
	v_mov_b32_e32 v133, v127
	v_pk_add_f32 v[124:125], v[124:125], v[134:135]
	v_pk_mul_f32 v[126:127], v[252:253], v[126:127] op_sel_hi:[1,0]
	v_pk_fma_f32 v[128:129], v[196:197], v[180:181], v[128:129] neg_lo:[0,0,1] neg_hi:[0,0,1]
	v_mov_b32_e32 v129, v131
	s_delay_alu instid0(VALU_DEP_4) | instskip(NEXT) | instid1(VALU_DEP_4)
	v_pk_add_f32 v[124:125], v[124:125], v[132:133]
	v_pk_fma_f32 v[130:131], v[198:199], v[182:183], v[126:127] op_sel_hi:[1,0,1]
	v_pk_fma_f32 v[126:127], v[198:199], v[182:183], v[126:127] neg_lo:[0,0,1] neg_hi:[0,0,1]
	s_delay_alu instid0(VALU_DEP_3) | instskip(NEXT) | instid1(VALU_DEP_3)
	v_pk_add_f32 v[124:125], v[124:125], v[128:129]
	v_mov_b32_e32 v127, v131
	s_delay_alu instid0(VALU_DEP_1) | instskip(SKIP_1) | instid1(VALU_DEP_1)
	v_pk_add_f32 v[124:125], v[124:125], v[126:127]
	s_wait_loadcnt 0x0
	v_pk_add_f32 v[124:125], v[244:245], v[124:125] neg_lo:[0,1] neg_hi:[0,1]
	scratch_store_b64 off, v[124:125], off offset:240
	s_wait_xcnt 0x0
	v_cmpx_lt_u32_e32 29, v0
	s_cbranch_execz .LBB60_321
; %bb.320:
	scratch_load_b64 v[124:125], off, off offset:232
	v_mov_b64_e32 v[126:127], 0
	scratch_store_b64 off, v[126:127], off offset:232
	s_wait_loadcnt 0x0
	ds_store_b64 v1, v[124:125]
.LBB60_321:
	s_wait_xcnt 0x0
	s_or_b32 exec_lo, exec_lo, s0
	s_wait_storecnt_dscnt 0x0
	s_barrier_signal -1
	s_barrier_wait -1
	s_clause 0x10
	scratch_load_b128 v[124:127], off, off offset:240
	scratch_load_b128 v[128:131], off, off offset:256
	;; [unrolled: 1-line block ×15, first 2 shown]
	scratch_load_b64 v[244:245], off, off offset:480
	scratch_load_b64 v[246:247], off, off offset:232
	v_mov_b32_e32 v7, 0
	ds_load_b128 v[184:187], v7 offset:912
	ds_load_b128 v[188:191], v7 offset:928
	;; [unrolled: 1-line block ×15, first 2 shown]
	ds_load_b64 v[248:249], v7 offset:976
	s_mov_b32 s0, exec_lo
	s_wait_dscnt 0xf
	v_dual_mov_b32 v250, v187 :: v_dual_mov_b32 v251, v186
	s_wait_dscnt 0xd
	v_dual_mov_b32 v252, v191 :: v_dual_mov_b32 v255, v194
	v_dual_mov_b32 v253, v190 :: v_dual_mov_b32 v254, v195
	s_wait_dscnt 0xc
	s_set_vgpr_msb 64                       ;  msbs: dst=1 src0=0 src1=0 src2=0
	v_dual_mov_b32 v0 /*v256*/, v199 :: v_dual_mov_b32 v1 /*v257*/, v198
	s_wait_loadcnt_dscnt 0x100b
	s_set_vgpr_msb 0                        ;  msbs: dst=0 src0=0 src1=0 src2=0
	v_dual_mul_f32 v9, v200, v125 :: v_dual_mul_f32 v51, v201, v125
	v_dual_mul_f32 v53, v203, v127 :: v_dual_mul_f32 v11, v202, v127
	s_wait_loadcnt_dscnt 0xf09
	v_mul_f32_e32 v13, v208, v129
	s_wait_loadcnt_dscnt 0xd07
	v_dual_mul_f32 v63, v217, v137 :: v_dual_fma_f32 v51, v200, v124, -v51
	v_dual_fmac_f32 v9, v201, v124 :: v_dual_mul_f32 v65, v219, v139
	v_dual_mul_f32 v55, v209, v129 :: v_dual_mul_f32 v57, v211, v131
	v_dual_fmac_f32 v11, v203, v126 :: v_dual_fma_f32 v53, v202, v126, -v53
	s_delay_alu instid0(VALU_DEP_3) | instskip(SKIP_4) | instid1(VALU_DEP_3)
	v_dual_add_f32 v9, 0, v9 :: v_dual_add_f32 v51, 0, v51
	v_dual_mul_f32 v15, v210, v131 :: v_dual_mul_f32 v17, v212, v133
	s_wait_loadcnt_dscnt 0xc06
	v_dual_mul_f32 v67, v221, v141 :: v_dual_fma_f32 v55, v208, v128, -v55
	v_fmac_f32_e32 v13, v209, v128
	v_dual_add_f32 v9, v9, v11 :: v_dual_fmac_f32 v15, v211, v130
	v_add_f32_e32 v11, v51, v53
	v_dual_mul_f32 v59, v213, v133 :: v_dual_mul_f32 v61, v215, v135
	v_dual_mul_f32 v51, v223, v143 :: v_dual_fma_f32 v53, v210, v130, -v57
	s_delay_alu instid0(VALU_DEP_3) | instskip(SKIP_3) | instid1(VALU_DEP_3)
	v_dual_add_f32 v9, v9, v13 :: v_dual_add_f32 v11, v11, v55
	v_dual_mul_f32 v19, v214, v135 :: v_dual_mul_f32 v21, v216, v137
	s_wait_loadcnt_dscnt 0xb05
	v_dual_mul_f32 v13, v225, v145 :: v_dual_fma_f32 v55, v212, v132, -v59
	v_dual_fmac_f32 v17, v213, v132 :: v_dual_add_f32 v11, v11, v53
	s_delay_alu instid0(VALU_DEP_3) | instskip(SKIP_1) | instid1(VALU_DEP_2)
	v_dual_add_f32 v9, v9, v15 :: v_dual_fmac_f32 v19, v215, v134
	v_dual_mul_f32 v15, v227, v147 :: v_dual_fma_f32 v53, v214, v134, -v61
	v_dual_add_f32 v11, v11, v55 :: v_dual_add_f32 v9, v9, v17
	v_dual_mul_f32 v23, v218, v139 :: v_dual_mul_f32 v25, v220, v141
	s_wait_loadcnt_dscnt 0xa04
	v_dual_mul_f32 v17, v229, v149 :: v_dual_fma_f32 v55, v216, v136, -v63
	s_delay_alu instid0(VALU_DEP_3) | instskip(NEXT) | instid1(VALU_DEP_3)
	v_dual_fmac_f32 v21, v217, v136 :: v_dual_add_f32 v11, v11, v53
	v_dual_add_f32 v9, v9, v19 :: v_dual_fmac_f32 v23, v219, v138
	v_dual_mul_f32 v19, v231, v151 :: v_dual_fma_f32 v53, v218, v138, -v65
	s_delay_alu instid0(VALU_DEP_2) | instskip(SKIP_3) | instid1(VALU_DEP_3)
	v_dual_add_f32 v11, v11, v55 :: v_dual_add_f32 v9, v9, v21
	v_dual_mul_f32 v27, v222, v143 :: v_dual_mul_f32 v29, v224, v145
	s_wait_loadcnt_dscnt 0x903
	v_dual_mul_f32 v21, v233, v153 :: v_dual_fma_f32 v55, v220, v140, -v67
	v_dual_fmac_f32 v25, v221, v140 :: v_dual_add_f32 v11, v11, v53
	s_delay_alu instid0(VALU_DEP_3) | instskip(SKIP_1) | instid1(VALU_DEP_2)
	v_dual_add_f32 v9, v9, v23 :: v_dual_fmac_f32 v27, v223, v142
	v_dual_mul_f32 v23, v235, v155 :: v_dual_fma_f32 v51, v222, v142, -v51
	v_dual_add_f32 v11, v11, v55 :: v_dual_add_f32 v9, v9, v25
	v_dual_mul_f32 v31, v226, v147 :: v_dual_mul_f32 v33, v228, v149
	s_wait_loadcnt_dscnt 0x802
	v_dual_mul_f32 v25, v237, v157 :: v_dual_fma_f32 v13, v224, v144, -v13
	s_delay_alu instid0(VALU_DEP_3) | instskip(NEXT) | instid1(VALU_DEP_3)
	v_dual_fmac_f32 v29, v225, v144 :: v_dual_add_f32 v11, v11, v51
	v_dual_add_f32 v9, v9, v27 :: v_dual_fmac_f32 v31, v227, v146
	v_dual_mul_f32 v27, v239, v159 :: v_dual_fma_f32 v15, v226, v146, -v15
	s_delay_alu instid0(VALU_DEP_3) | instskip(NEXT) | instid1(VALU_DEP_3)
	v_dual_add_f32 v11, v11, v13 :: v_dual_fmac_f32 v33, v229, v148
	v_dual_add_f32 v9, v9, v29 :: v_dual_fma_f32 v17, v228, v148, -v17
	v_dual_mul_f32 v35, v230, v151 :: v_dual_mul_f32 v37, v232, v153
	s_wait_loadcnt_dscnt 0x701
	s_delay_alu instid0(VALU_DEP_3) | instskip(NEXT) | instid1(VALU_DEP_2)
	v_dual_mul_f32 v13, v241, v161 :: v_dual_add_f32 v11, v11, v15
	v_dual_add_f32 v9, v9, v31 :: v_dual_fmac_f32 v35, v231, v150
	v_dual_mul_f32 v15, v243, v163 :: v_dual_fma_f32 v19, v230, v150, -v19
	s_delay_alu instid0(VALU_DEP_3) | instskip(NEXT) | instid1(VALU_DEP_3)
	v_dual_add_f32 v11, v11, v17 :: v_dual_fmac_f32 v37, v233, v152
	v_dual_add_f32 v9, v9, v33 :: v_dual_fma_f32 v21, v232, v152, -v21
	v_dual_mul_f32 v39, v234, v155 :: v_dual_mul_f32 v41, v236, v157
	s_wait_loadcnt 0x6
	s_delay_alu instid0(VALU_DEP_3) | instskip(NEXT) | instid1(VALU_DEP_2)
	v_dual_mul_f32 v17, v205, v165 :: v_dual_add_f32 v11, v11, v19
	v_dual_add_f32 v9, v9, v35 :: v_dual_fmac_f32 v39, v235, v154
	v_dual_mul_f32 v19, v207, v167 :: v_dual_fma_f32 v23, v234, v154, -v23
	s_delay_alu instid0(VALU_DEP_3) | instskip(NEXT) | instid1(VALU_DEP_3)
	v_dual_add_f32 v11, v11, v21 :: v_dual_fmac_f32 v41, v237, v156
	v_dual_add_f32 v9, v9, v37 :: v_dual_fma_f32 v25, v236, v156, -v25
	v_dual_mul_f32 v43, v238, v159 :: v_dual_mul_f32 v45, v240, v161
	s_wait_loadcnt 0x5
	s_delay_alu instid0(VALU_DEP_3) | instskip(NEXT) | instid1(VALU_DEP_3)
	v_dual_mul_f32 v21, v185, v169 :: v_dual_add_f32 v11, v11, v23
	v_dual_add_f32 v9, v9, v39 :: v_dual_mov_b32 v124, v171
	s_delay_alu instid0(VALU_DEP_3) | instskip(NEXT) | instid1(VALU_DEP_3)
	v_fmac_f32_e32 v43, v239, v158
	v_dual_fma_f32 v23, v238, v158, -v27 :: v_dual_add_f32 v11, v11, v25
	s_delay_alu instid0(VALU_DEP_3) | instskip(SKIP_1) | instid1(VALU_DEP_3)
	v_dual_add_f32 v9, v9, v41 :: v_dual_mul_f32 v47, v242, v163
	v_dual_mul_f32 v49, v204, v165 :: v_dual_fmac_f32 v45, v241, v160
	v_dual_add_f32 v11, v11, v23 :: v_dual_fma_f32 v13, v240, v160, -v13
	s_wait_loadcnt 0x4
	s_delay_alu instid0(VALU_DEP_3) | instskip(SKIP_3) | instid1(VALU_DEP_4)
	v_dual_add_f32 v9, v9, v43 :: v_dual_mov_b32 v128, v175
	v_fma_f32 v15, v242, v162, -v15
	v_fmac_f32_e32 v47, v243, v162
	v_dual_add_f32 v11, v11, v13 :: v_dual_fmac_f32 v49, v205, v164
	v_add_f32_e32 v9, v9, v45
	s_set_vgpr_msb 64                       ;  msbs: dst=1 src0=0 src1=0 src2=0
	v_dual_mul_f32 v3 /*v259*/, v206, v167 :: v_dual_mul_f32 v5 /*v261*/, v184, v169
	s_set_vgpr_msb 0                        ;  msbs: dst=0 src0=0 src1=0 src2=0
	v_fma_f32 v13, v204, v164, -v17
	v_pk_mul_f32 v[124:125], v[250:251], v[124:125] op_sel_hi:[1,0]
	v_add_f32_e32 v9, v9, v47
	v_add_f32_e32 v11, v11, v15
	s_set_vgpr_msb 64                       ;  msbs: dst=1 src0=0 src1=0 src2=0
	v_dual_fmac_f32 v3 /*v259*/, v207, v166 :: v_dual_fmac_f32 v5 /*v261*/, v185, v168
	v_dual_fma_f32 v2 /*v258*/, v206, v166, -v19 :: v_dual_fma_f32 v4 /*v260*/, v184, v168, -v21
	s_set_vgpr_msb 0                        ;  msbs: dst=0 src0=0 src1=0 src2=0
	v_add_f32_e32 v133, v9, v49
	v_pk_fma_f32 v[136:137], v[186:187], v[170:171], v[124:125] op_sel_hi:[1,0,1]
	v_add_f32_e32 v132, v11, v13
	v_pk_fma_f32 v[124:125], v[186:187], v[170:171], v[124:125] neg_lo:[0,0,1] neg_hi:[0,0,1]
	v_pk_mul_f32 v[126:127], v[188:189], v[172:173] op_sel:[1,1] op_sel_hi:[0,1]
	v_pk_mul_f32 v[128:129], v[252:253], v[128:129] op_sel_hi:[1,0]
	v_mov_b32_e32 v125, v137
	s_set_vgpr_msb 4                        ;  msbs: dst=0 src0=0 src1=1 src2=0
	v_pk_add_f32 v[132:133], v[132:133], v[2:3] /*v[258:259]*/
	s_wait_loadcnt 0x3
	s_set_vgpr_msb 0                        ;  msbs: dst=0 src0=0 src1=0 src2=0
	v_pk_mul_f32 v[130:131], v[192:193], v[176:177] op_sel:[1,1] op_sel_hi:[0,1]
	v_pk_fma_f32 v[138:139], v[188:189], v[172:173], v[126:127] op_sel_hi:[1,0,1]
	v_pk_fma_f32 v[126:127], v[188:189], v[172:173], v[126:127] neg_lo:[0,0,1] neg_hi:[0,0,1]
	v_mov_b32_e32 v134, v179
	s_set_vgpr_msb 4                        ;  msbs: dst=0 src0=0 src1=1 src2=0
	v_pk_add_f32 v[132:133], v[132:133], v[4:5] /*v[260:261]*/
	s_wait_loadcnt 0x2
	s_set_vgpr_msb 0                        ;  msbs: dst=0 src0=0 src1=0 src2=0
	v_pk_mul_f32 v[136:137], v[196:197], v[180:181] op_sel:[1,1] op_sel_hi:[0,1]
	v_mov_b32_e32 v127, v139
	v_pk_fma_f32 v[138:139], v[190:191], v[174:175], v[128:129] op_sel_hi:[1,0,1]
	v_pk_fma_f32 v[128:129], v[190:191], v[174:175], v[128:129] neg_lo:[0,0,1] neg_hi:[0,0,1]
	v_pk_add_f32 v[124:125], v[132:133], v[124:125]
	v_pk_fma_f32 v[132:133], v[192:193], v[176:177], v[130:131] op_sel_hi:[1,0,1]
	v_pk_mul_f32 v[134:135], v[254:255], v[134:135] op_sel_hi:[1,0]
	v_mov_b32_e32 v129, v139
	v_pk_fma_f32 v[130:131], v[192:193], v[176:177], v[130:131] neg_lo:[0,0,1] neg_hi:[0,0,1]
	v_pk_add_f32 v[124:125], v[124:125], v[126:127]
	v_dual_mov_b32 v126, v183 :: v_dual_mov_b32 v131, v133
	v_pk_fma_f32 v[132:133], v[194:195], v[178:179], v[134:135] op_sel_hi:[1,0,1]
	v_pk_fma_f32 v[134:135], v[194:195], v[178:179], v[134:135] neg_lo:[0,0,1] neg_hi:[0,0,1]
	s_delay_alu instid0(VALU_DEP_4)
	v_pk_add_f32 v[124:125], v[124:125], v[128:129]
	v_pk_fma_f32 v[128:129], v[196:197], v[180:181], v[136:137] op_sel_hi:[1,0,1]
	s_set_vgpr_msb 1                        ;  msbs: dst=0 src0=1 src1=0 src2=0
	v_pk_mul_f32 v[126:127], v[0:1] /*v[256:257]*/, v[126:127] op_sel_hi:[1,0]
	s_set_vgpr_msb 0                        ;  msbs: dst=0 src0=0 src1=0 src2=0
	v_mov_b32_e32 v135, v133
	s_wait_loadcnt_dscnt 0x100
	v_pk_mul_f32 v[132:133], v[248:249], v[244:245] op_sel:[1,1] op_sel_hi:[0,1]
	v_pk_add_f32 v[124:125], v[124:125], v[130:131]
	v_pk_fma_f32 v[130:131], v[196:197], v[180:181], v[136:137] neg_lo:[0,0,1] neg_hi:[0,0,1]
	v_mov_b32_e32 v131, v129
	v_pk_fma_f32 v[128:129], v[198:199], v[182:183], v[126:127] op_sel_hi:[1,0,1]
	v_pk_fma_f32 v[126:127], v[198:199], v[182:183], v[126:127] neg_lo:[0,0,1] neg_hi:[0,0,1]
	v_pk_add_f32 v[124:125], v[124:125], v[134:135]
	s_delay_alu instid0(VALU_DEP_3) | instskip(SKIP_1) | instid1(VALU_DEP_3)
	v_mov_b32_e32 v127, v129
	v_pk_fma_f32 v[128:129], v[248:249], v[244:245], v[132:133] op_sel_hi:[1,0,1]
	v_pk_add_f32 v[124:125], v[124:125], v[130:131]
	v_pk_fma_f32 v[130:131], v[248:249], v[244:245], v[132:133] neg_lo:[0,0,1] neg_hi:[0,0,1]
	s_delay_alu instid0(VALU_DEP_3) | instskip(NEXT) | instid1(VALU_DEP_3)
	v_mov_b32_e32 v131, v129
	v_pk_add_f32 v[124:125], v[124:125], v[126:127]
	s_delay_alu instid0(VALU_DEP_1) | instskip(SKIP_1) | instid1(VALU_DEP_1)
	v_pk_add_f32 v[124:125], v[124:125], v[130:131]
	s_wait_loadcnt 0x0
	v_pk_add_f32 v[124:125], v[246:247], v[124:125] neg_lo:[0,1] neg_hi:[0,1]
	scratch_store_b64 off, v[124:125], off offset:232
	s_wait_xcnt 0x0
	v_cmpx_lt_u32_e32 28, v0
	s_cbranch_execz .LBB60_323
; %bb.322:
	scratch_load_b64 v[124:125], off, off offset:224
	v_mov_b64_e32 v[126:127], 0
	scratch_store_b64 off, v[126:127], off offset:224
	s_wait_loadcnt 0x0
	ds_store_b64 v1, v[124:125]
.LBB60_323:
	s_wait_xcnt 0x0
	s_or_b32 exec_lo, exec_lo, s0
	s_wait_storecnt_dscnt 0x0
	s_barrier_signal -1
	s_barrier_wait -1
	s_clause 0x10
	scratch_load_b128 v[124:127], off, off offset:232
	scratch_load_b128 v[128:131], off, off offset:248
	;; [unrolled: 1-line block ×16, first 2 shown]
	scratch_load_b64 v[252:253], off, off offset:224
	ds_load_2addr_b64 v[188:191], v7 offset0:115 offset1:116
	ds_load_2addr_b64 v[192:195], v7 offset0:117 offset1:118
	;; [unrolled: 1-line block ×16, first 2 shown]
	s_mov_b32 s0, exec_lo
	s_wait_dscnt 0xf
	v_dual_mov_b32 v254, v191 :: v_dual_mov_b32 v255, v190
	s_wait_dscnt 0xe
	s_set_vgpr_msb 64                       ;  msbs: dst=1 src0=0 src1=0 src2=0
	v_dual_mov_b32 v0 /*v256*/, v195 :: v_dual_mov_b32 v1 /*v257*/, v194
	s_wait_dscnt 0xd
	v_dual_mov_b32 v2 /*v258*/, v199 :: v_dual_mov_b32 v3 /*v259*/, v198
	s_wait_dscnt 0xc
	v_dual_mov_b32 v4 /*v260*/, v203 :: v_dual_mov_b32 v5 /*v261*/, v202
	s_wait_loadcnt_dscnt 0x100b
	s_set_vgpr_msb 0                        ;  msbs: dst=0 src0=0 src1=0 src2=0
	v_dual_mul_f32 v7, v204, v125 :: v_dual_mul_f32 v9, v206, v127
	v_dual_mul_f32 v51, v205, v125 :: v_dual_mul_f32 v53, v207, v127
	s_wait_loadcnt_dscnt 0xf0a
	v_dual_mul_f32 v11, v208, v129 :: v_dual_mul_f32 v13, v210, v131
	s_delay_alu instid0(VALU_DEP_3) | instskip(SKIP_3) | instid1(VALU_DEP_3)
	v_dual_fmac_f32 v7, v205, v124 :: v_dual_fmac_f32 v9, v207, v126
	s_wait_loadcnt_dscnt 0xd08
	v_dual_fma_f32 v51, v204, v124, -v51 :: v_dual_mul_f32 v63, v217, v137
	v_dual_mul_f32 v55, v209, v129 :: v_dual_mul_f32 v57, v211, v131
	v_dual_fma_f32 v53, v206, v126, -v53 :: v_dual_add_f32 v7, 0, v7
	s_delay_alu instid0(VALU_DEP_3) | instskip(SKIP_1) | instid1(VALU_DEP_4)
	v_dual_add_f32 v51, 0, v51 :: v_dual_fmac_f32 v11, v209, v128
	v_dual_mul_f32 v15, v212, v133 :: v_dual_mul_f32 v17, v214, v135
	v_dual_mul_f32 v65, v219, v139 :: v_dual_fma_f32 v55, v208, v128, -v55
	s_delay_alu instid0(VALU_DEP_4) | instskip(NEXT) | instid1(VALU_DEP_3)
	v_add_f32_e32 v7, v7, v9
	v_dual_add_f32 v9, v51, v53 :: v_dual_fmac_f32 v15, v213, v132
	v_dual_mul_f32 v59, v213, v133 :: v_dual_mul_f32 v61, v215, v135
	s_wait_loadcnt_dscnt 0xc07
	v_dual_mul_f32 v51, v221, v141 :: v_dual_fmac_f32 v13, v211, v130
	v_dual_fma_f32 v53, v210, v130, -v57 :: v_dual_add_f32 v7, v7, v11
	s_delay_alu instid0(VALU_DEP_3) | instskip(SKIP_1) | instid1(VALU_DEP_3)
	v_dual_add_f32 v9, v9, v55 :: v_dual_fma_f32 v55, v212, v132, -v59
	v_dual_mul_f32 v19, v216, v137 :: v_dual_mul_f32 v21, v218, v139
	v_add_f32_e32 v7, v7, v13
	s_delay_alu instid0(VALU_DEP_3) | instskip(SKIP_2) | instid1(VALU_DEP_3)
	v_dual_mul_f32 v11, v223, v143 :: v_dual_add_f32 v9, v9, v53
	s_wait_loadcnt_dscnt 0xb06
	v_dual_mul_f32 v13, v225, v145 :: v_dual_fmac_f32 v17, v215, v134
	v_dual_fma_f32 v53, v214, v134, -v61 :: v_dual_add_f32 v7, v7, v15
	s_delay_alu instid0(VALU_DEP_3) | instskip(SKIP_1) | instid1(VALU_DEP_3)
	v_dual_add_f32 v9, v9, v55 :: v_dual_fma_f32 v55, v216, v136, -v63
	v_dual_mul_f32 v15, v227, v147 :: v_dual_fmac_f32 v19, v217, v136
	v_add_f32_e32 v7, v7, v17
	s_delay_alu instid0(VALU_DEP_3)
	v_dual_add_f32 v9, v9, v53 :: v_dual_fmac_f32 v21, v219, v138
	v_dual_mul_f32 v23, v220, v141 :: v_dual_mul_f32 v25, v222, v143
	s_wait_loadcnt_dscnt 0xa05
	v_dual_fma_f32 v53, v218, v138, -v65 :: v_dual_mul_f32 v17, v229, v149
	v_add_f32_e32 v7, v7, v19
	v_dual_add_f32 v9, v9, v55 :: v_dual_fma_f32 v51, v220, v140, -v51
	v_dual_mul_f32 v19, v231, v151 :: v_dual_fmac_f32 v23, v221, v140
	s_delay_alu instid0(VALU_DEP_3) | instskip(NEXT) | instid1(VALU_DEP_3)
	v_dual_add_f32 v7, v7, v21 :: v_dual_fma_f32 v11, v222, v142, -v11
	v_dual_add_f32 v9, v9, v53 :: v_dual_fmac_f32 v25, v223, v142
	v_dual_mul_f32 v27, v224, v145 :: v_dual_mul_f32 v29, v226, v147
	s_wait_loadcnt_dscnt 0x904
	s_delay_alu instid0(VALU_DEP_3) | instskip(NEXT) | instid1(VALU_DEP_3)
	v_dual_mul_f32 v21, v233, v153 :: v_dual_add_f32 v7, v7, v23
	v_dual_add_f32 v9, v9, v51 :: v_dual_fma_f32 v13, v224, v144, -v13
	s_delay_alu instid0(VALU_DEP_3) | instskip(NEXT) | instid1(VALU_DEP_2)
	v_dual_mul_f32 v23, v235, v155 :: v_dual_fmac_f32 v27, v225, v144
	v_dual_add_f32 v7, v7, v25 :: v_dual_add_f32 v9, v9, v11
	v_dual_mul_f32 v31, v228, v149 :: v_dual_mul_f32 v33, v230, v151
	s_wait_loadcnt_dscnt 0x803
	v_dual_mul_f32 v11, v237, v157 :: v_dual_fmac_f32 v29, v227, v146
	s_delay_alu instid0(VALU_DEP_3) | instskip(SKIP_2) | instid1(VALU_DEP_2)
	v_dual_fma_f32 v15, v226, v146, -v15 :: v_dual_add_f32 v7, v7, v27
	v_dual_add_f32 v9, v9, v13 :: v_dual_mul_f32 v13, v239, v159
	v_dual_fmac_f32 v31, v229, v148 :: v_dual_fma_f32 v17, v228, v148, -v17
	v_dual_add_f32 v7, v7, v29 :: v_dual_add_f32 v9, v9, v15
	v_dual_mul_f32 v35, v232, v153 :: v_dual_mul_f32 v37, v234, v155
	s_wait_loadcnt_dscnt 0x702
	v_dual_mul_f32 v15, v241, v161 :: v_dual_fmac_f32 v33, v231, v150
	s_delay_alu instid0(VALU_DEP_3) | instskip(SKIP_2) | instid1(VALU_DEP_2)
	v_dual_fma_f32 v19, v230, v150, -v19 :: v_dual_add_f32 v7, v7, v31
	v_dual_add_f32 v9, v9, v17 :: v_dual_mul_f32 v17, v243, v163
	v_dual_fmac_f32 v35, v233, v152 :: v_dual_fma_f32 v21, v232, v152, -v21
	v_dual_add_f32 v7, v7, v33 :: v_dual_add_f32 v9, v9, v19
	v_dual_mul_f32 v39, v236, v157 :: v_dual_mul_f32 v41, v238, v159
	s_wait_loadcnt_dscnt 0x601
	v_dual_mul_f32 v19, v245, v165 :: v_dual_fmac_f32 v37, v235, v154
	s_delay_alu instid0(VALU_DEP_3) | instskip(SKIP_2) | instid1(VALU_DEP_3)
	v_dual_fma_f32 v23, v234, v154, -v23 :: v_dual_add_f32 v7, v7, v35
	v_dual_add_f32 v9, v9, v21 :: v_dual_mul_f32 v21, v247, v167
	v_fmac_f32_e32 v39, v237, v156
	v_dual_fma_f32 v11, v236, v156, -v11 :: v_dual_add_f32 v7, v7, v37
	s_delay_alu instid0(VALU_DEP_3)
	v_dual_add_f32 v9, v9, v23 :: v_dual_mul_f32 v43, v240, v161
	s_wait_loadcnt_dscnt 0x500
	v_dual_mul_f32 v45, v242, v163 :: v_dual_mul_f32 v23, v249, v169
	v_fmac_f32_e32 v41, v239, v158
	v_dual_fma_f32 v13, v238, v158, -v13 :: v_dual_add_f32 v7, v7, v39
	v_dual_add_f32 v9, v9, v11 :: v_dual_fma_f32 v15, v240, v160, -v15
	v_dual_mul_f32 v11, v251, v171 :: v_dual_fmac_f32 v43, v241, v160
	s_delay_alu instid0(VALU_DEP_3) | instskip(NEXT) | instid1(VALU_DEP_3)
	v_add_f32_e32 v7, v7, v41
	v_dual_add_f32 v9, v9, v13 :: v_dual_fmac_f32 v45, v243, v162
	v_dual_mul_f32 v47, v244, v165 :: v_dual_mul_f32 v49, v246, v167
	s_delay_alu instid0(VALU_DEP_3) | instskip(SKIP_1) | instid1(VALU_DEP_3)
	v_dual_fma_f32 v13, v242, v162, -v17 :: v_dual_add_f32 v7, v7, v43
	s_wait_loadcnt 0x4
	v_dual_add_f32 v9, v9, v15 :: v_dual_mov_b32 v126, v175
	s_delay_alu instid0(VALU_DEP_3) | instskip(NEXT) | instid1(VALU_DEP_3)
	v_fmac_f32_e32 v47, v245, v164
	v_dual_fma_f32 v15, v244, v164, -v19 :: v_dual_add_f32 v7, v7, v45
	s_delay_alu instid0(VALU_DEP_3)
	v_dual_add_f32 v9, v9, v13 :: v_dual_fmac_f32 v49, v247, v166
	s_set_vgpr_msb 64                       ;  msbs: dst=1 src0=0 src1=0 src2=0
	v_dual_mul_f32 v7 /*v263*/, v248, v169 :: v_dual_mul_f32 v9 /*v265*/, v250, v171
	s_set_vgpr_msb 0                        ;  msbs: dst=0 src0=0 src1=0 src2=0
	v_pk_mul_f32 v[124:125], v[188:189], v[172:173] op_sel:[1,1] op_sel_hi:[0,1]
	v_dual_fma_f32 v13, v246, v166, -v21 :: v_dual_add_f32 v7, v7, v47
	s_wait_loadcnt 0x3
	v_dual_add_f32 v9, v9, v15 :: v_dual_mov_b32 v130, v179
	s_set_vgpr_msb 64                       ;  msbs: dst=1 src0=0 src1=0 src2=0
	v_dual_fmac_f32 v7 /*v263*/, v249, v168 :: v_dual_fmac_f32 v9 /*v265*/, v251, v170
	v_fma_f32 v6 /*v262*/, v248, v168, -v23
	s_set_vgpr_msb 0                        ;  msbs: dst=0 src0=0 src1=0 src2=0
	v_add_f32_e32 v133, v7, v49
	v_pk_fma_f32 v[134:135], v[188:189], v[172:173], v[124:125] op_sel_hi:[1,0,1]
	v_add_f32_e32 v132, v9, v13
	v_pk_fma_f32 v[124:125], v[188:189], v[172:173], v[124:125] neg_lo:[0,0,1] neg_hi:[0,0,1]
	s_set_vgpr_msb 64                       ;  msbs: dst=1 src0=0 src1=0 src2=0
	v_fma_f32 v8 /*v264*/, v250, v170, -v11
	s_set_vgpr_msb 0                        ;  msbs: dst=0 src0=0 src1=0 src2=0
	v_pk_mul_f32 v[126:127], v[254:255], v[126:127] op_sel_hi:[1,0]
	v_mov_b32_e32 v125, v135
	s_set_vgpr_msb 4                        ;  msbs: dst=0 src0=0 src1=1 src2=0
	v_pk_add_f32 v[132:133], v[132:133], v[6:7] /*v[262:263]*/
	s_set_vgpr_msb 0                        ;  msbs: dst=0 src0=0 src1=0 src2=0
	v_pk_mul_f32 v[128:129], v[192:193], v[176:177] op_sel:[1,1] op_sel_hi:[0,1]
	s_set_vgpr_msb 1                        ;  msbs: dst=0 src0=1 src1=0 src2=0
	v_pk_mul_f32 v[130:131], v[0:1] /*v[256:257]*/, v[130:131] op_sel_hi:[1,0]
	s_set_vgpr_msb 0                        ;  msbs: dst=0 src0=0 src1=0 src2=0
	v_pk_fma_f32 v[134:135], v[190:191], v[174:175], v[126:127] op_sel_hi:[1,0,1]
	v_pk_fma_f32 v[126:127], v[190:191], v[174:175], v[126:127] neg_lo:[0,0,1] neg_hi:[0,0,1]
	s_set_vgpr_msb 4                        ;  msbs: dst=0 src0=0 src1=1 src2=0
	v_pk_add_f32 v[132:133], v[132:133], v[8:9] /*v[264:265]*/
	s_set_vgpr_msb 0                        ;  msbs: dst=0 src0=0 src1=0 src2=0
	v_pk_fma_f32 v[138:139], v[192:193], v[176:177], v[128:129] op_sel_hi:[1,0,1]
	s_wait_loadcnt 0x2
	v_pk_mul_f32 v[136:137], v[196:197], v[180:181] op_sel:[1,1] op_sel_hi:[0,1]
	v_mov_b32_e32 v127, v135
	v_pk_fma_f32 v[128:129], v[192:193], v[176:177], v[128:129] neg_lo:[0,0,1] neg_hi:[0,0,1]
	v_pk_add_f32 v[124:125], v[132:133], v[124:125]
	v_mov_b32_e32 v132, v183
	v_pk_fma_f32 v[134:135], v[194:195], v[178:179], v[130:131] op_sel_hi:[1,0,1]
	v_mov_b32_e32 v129, v139
	v_pk_fma_f32 v[130:131], v[194:195], v[178:179], v[130:131] neg_lo:[0,0,1] neg_hi:[0,0,1]
	v_pk_add_f32 v[124:125], v[124:125], v[126:127]
	v_pk_fma_f32 v[126:127], v[196:197], v[180:181], v[136:137] op_sel_hi:[1,0,1]
	s_set_vgpr_msb 1                        ;  msbs: dst=0 src0=1 src1=0 src2=0
	v_pk_mul_f32 v[132:133], v[2:3] /*v[258:259]*/, v[132:133] op_sel_hi:[1,0]
	s_set_vgpr_msb 0                        ;  msbs: dst=0 src0=0 src1=0 src2=0
	v_mov_b32_e32 v131, v135
	v_pk_fma_f32 v[134:135], v[196:197], v[180:181], v[136:137] neg_lo:[0,0,1] neg_hi:[0,0,1]
	v_pk_add_f32 v[124:125], v[124:125], v[128:129]
	v_mov_b32_e32 v135, v127
	v_pk_fma_f32 v[126:127], v[198:199], v[182:183], v[132:133] op_sel_hi:[1,0,1]
	s_wait_loadcnt 0x1
	v_pk_mul_f32 v[128:129], v[200:201], v[184:185] op_sel:[1,1] op_sel_hi:[0,1]
	v_mov_b32_e32 v126, v187
	v_pk_add_f32 v[124:125], v[124:125], v[130:131]
	v_pk_fma_f32 v[132:133], v[198:199], v[182:183], v[132:133] neg_lo:[0,0,1] neg_hi:[0,0,1]
	s_delay_alu instid0(VALU_DEP_4) | instskip(SKIP_1) | instid1(VALU_DEP_4)
	v_pk_fma_f32 v[130:131], v[200:201], v[184:185], v[128:129] op_sel_hi:[1,0,1]
	v_mov_b32_e32 v133, v127
	v_pk_add_f32 v[124:125], v[124:125], v[134:135]
	s_set_vgpr_msb 1                        ;  msbs: dst=0 src0=1 src1=0 src2=0
	v_pk_mul_f32 v[126:127], v[4:5] /*v[260:261]*/, v[126:127] op_sel_hi:[1,0]
	s_set_vgpr_msb 0                        ;  msbs: dst=0 src0=0 src1=0 src2=0
	v_pk_fma_f32 v[128:129], v[200:201], v[184:185], v[128:129] neg_lo:[0,0,1] neg_hi:[0,0,1]
	v_mov_b32_e32 v129, v131
	v_pk_add_f32 v[124:125], v[124:125], v[132:133]
	v_pk_fma_f32 v[130:131], v[202:203], v[186:187], v[126:127] op_sel_hi:[1,0,1]
	v_pk_fma_f32 v[126:127], v[202:203], v[186:187], v[126:127] neg_lo:[0,0,1] neg_hi:[0,0,1]
	s_delay_alu instid0(VALU_DEP_3) | instskip(NEXT) | instid1(VALU_DEP_3)
	v_pk_add_f32 v[124:125], v[124:125], v[128:129]
	v_mov_b32_e32 v127, v131
	s_delay_alu instid0(VALU_DEP_1) | instskip(SKIP_1) | instid1(VALU_DEP_1)
	v_pk_add_f32 v[124:125], v[124:125], v[126:127]
	s_wait_loadcnt 0x0
	v_pk_add_f32 v[124:125], v[252:253], v[124:125] neg_lo:[0,1] neg_hi:[0,1]
	scratch_store_b64 off, v[124:125], off offset:224
	s_wait_xcnt 0x0
	v_cmpx_lt_u32_e32 27, v0
	s_cbranch_execz .LBB60_325
; %bb.324:
	scratch_load_b64 v[124:125], off, off offset:216
	v_mov_b64_e32 v[126:127], 0
	scratch_store_b64 off, v[126:127], off offset:216
	s_wait_loadcnt 0x0
	ds_store_b64 v1, v[124:125]
.LBB60_325:
	s_wait_xcnt 0x0
	s_or_b32 exec_lo, exec_lo, s0
	s_wait_storecnt_dscnt 0x0
	s_barrier_signal -1
	s_barrier_wait -1
	s_clause 0x11
	scratch_load_b128 v[124:127], off, off offset:224
	scratch_load_b128 v[128:131], off, off offset:240
	;; [unrolled: 1-line block ×16, first 2 shown]
	scratch_load_b64 v[252:253], off, off offset:480
	scratch_load_b64 v[254:255], off, off offset:216
	v_mov_b32_e32 v7, 0
	ds_load_b128 v[188:191], v7 offset:912
	ds_load_b128 v[192:195], v7 offset:928
	;; [unrolled: 1-line block ×16, first 2 shown]
	s_set_vgpr_msb 64                       ;  msbs: dst=1 src0=0 src1=0 src2=0
	ds_load_b64 v[0:1] /*v[256:257]*/, v7 offset:976
	s_mov_b32 s0, exec_lo
	s_wait_dscnt 0x10
	v_dual_mov_b32 v2 /*v258*/, v191 :: v_dual_mov_b32 v3 /*v259*/, v190
	s_wait_dscnt 0xf
	v_dual_mov_b32 v4 /*v260*/, v195 :: v_dual_mov_b32 v5 /*v261*/, v194
	;; [unrolled: 2-line block ×4, first 2 shown]
	s_wait_loadcnt_dscnt 0x110c
	s_set_vgpr_msb 0                        ;  msbs: dst=0 src0=0 src1=0 src2=0
	v_dual_mul_f32 v9, v204, v125 :: v_dual_mul_f32 v55, v205, v125
	v_dual_mul_f32 v57, v207, v127 :: v_dual_mul_f32 v11, v206, v127
	s_wait_loadcnt_dscnt 0x100b
	v_mul_f32_e32 v13, v208, v129
	s_wait_loadcnt_dscnt 0xe09
	v_dual_mul_f32 v67, v217, v137 :: v_dual_fma_f32 v55, v204, v124, -v55
	v_dual_fmac_f32 v9, v205, v124 :: v_dual_mul_f32 v69, v219, v139
	v_dual_mul_f32 v59, v209, v129 :: v_dual_mul_f32 v61, v211, v131
	v_dual_fmac_f32 v11, v207, v126 :: v_dual_fma_f32 v57, v206, v126, -v57
	s_delay_alu instid0(VALU_DEP_3) | instskip(SKIP_4) | instid1(VALU_DEP_3)
	v_dual_add_f32 v9, 0, v9 :: v_dual_add_f32 v55, 0, v55
	v_dual_mul_f32 v15, v210, v131 :: v_dual_mul_f32 v17, v212, v133
	s_wait_loadcnt_dscnt 0xd08
	v_dual_mul_f32 v71, v221, v141 :: v_dual_fma_f32 v59, v208, v128, -v59
	v_fmac_f32_e32 v13, v209, v128
	v_dual_add_f32 v9, v9, v11 :: v_dual_fmac_f32 v15, v211, v130
	v_add_f32_e32 v11, v55, v57
	v_dual_mul_f32 v63, v213, v133 :: v_dual_mul_f32 v65, v215, v135
	v_dual_mul_f32 v55, v223, v143 :: v_dual_fma_f32 v57, v210, v130, -v61
	s_delay_alu instid0(VALU_DEP_3) | instskip(SKIP_3) | instid1(VALU_DEP_3)
	v_dual_add_f32 v9, v9, v13 :: v_dual_add_f32 v11, v11, v59
	v_dual_mul_f32 v19, v214, v135 :: v_dual_mul_f32 v21, v216, v137
	s_wait_loadcnt_dscnt 0xc07
	v_dual_mul_f32 v13, v225, v145 :: v_dual_fma_f32 v59, v212, v132, -v63
	v_dual_fmac_f32 v17, v213, v132 :: v_dual_add_f32 v11, v11, v57
	s_delay_alu instid0(VALU_DEP_3) | instskip(SKIP_1) | instid1(VALU_DEP_2)
	v_dual_add_f32 v9, v9, v15 :: v_dual_fmac_f32 v19, v215, v134
	v_dual_mul_f32 v15, v227, v147 :: v_dual_fma_f32 v57, v214, v134, -v65
	v_dual_add_f32 v11, v11, v59 :: v_dual_add_f32 v9, v9, v17
	v_dual_mul_f32 v23, v218, v139 :: v_dual_mul_f32 v25, v220, v141
	s_wait_loadcnt_dscnt 0xb06
	v_dual_mul_f32 v17, v229, v149 :: v_dual_fma_f32 v59, v216, v136, -v67
	s_delay_alu instid0(VALU_DEP_3) | instskip(NEXT) | instid1(VALU_DEP_3)
	v_dual_fmac_f32 v21, v217, v136 :: v_dual_add_f32 v11, v11, v57
	v_dual_add_f32 v9, v9, v19 :: v_dual_fmac_f32 v23, v219, v138
	v_dual_mul_f32 v19, v231, v151 :: v_dual_fma_f32 v57, v218, v138, -v69
	s_delay_alu instid0(VALU_DEP_2) | instskip(SKIP_3) | instid1(VALU_DEP_3)
	v_dual_add_f32 v11, v11, v59 :: v_dual_add_f32 v9, v9, v21
	v_dual_mul_f32 v27, v222, v143 :: v_dual_mul_f32 v29, v224, v145
	s_wait_loadcnt_dscnt 0xa05
	v_dual_mul_f32 v21, v233, v153 :: v_dual_fma_f32 v59, v220, v140, -v71
	v_dual_fmac_f32 v25, v221, v140 :: v_dual_add_f32 v11, v11, v57
	s_delay_alu instid0(VALU_DEP_3) | instskip(SKIP_1) | instid1(VALU_DEP_2)
	v_dual_add_f32 v9, v9, v23 :: v_dual_fmac_f32 v27, v223, v142
	v_dual_mul_f32 v23, v235, v155 :: v_dual_fma_f32 v55, v222, v142, -v55
	v_dual_add_f32 v11, v11, v59 :: v_dual_add_f32 v9, v9, v25
	v_dual_mul_f32 v31, v226, v147 :: v_dual_mul_f32 v33, v228, v149
	s_wait_loadcnt_dscnt 0x904
	v_dual_mul_f32 v25, v237, v157 :: v_dual_fma_f32 v13, v224, v144, -v13
	s_delay_alu instid0(VALU_DEP_3) | instskip(NEXT) | instid1(VALU_DEP_3)
	v_dual_fmac_f32 v29, v225, v144 :: v_dual_add_f32 v11, v11, v55
	v_dual_add_f32 v9, v9, v27 :: v_dual_fmac_f32 v31, v227, v146
	v_dual_mul_f32 v27, v239, v159 :: v_dual_fma_f32 v15, v226, v146, -v15
	s_delay_alu instid0(VALU_DEP_3) | instskip(NEXT) | instid1(VALU_DEP_3)
	v_dual_add_f32 v11, v11, v13 :: v_dual_fmac_f32 v33, v229, v148
	v_dual_add_f32 v9, v9, v29 :: v_dual_fma_f32 v17, v228, v148, -v17
	v_dual_mul_f32 v35, v230, v151 :: v_dual_mul_f32 v37, v232, v153
	s_wait_loadcnt_dscnt 0x803
	s_delay_alu instid0(VALU_DEP_3) | instskip(NEXT) | instid1(VALU_DEP_2)
	v_dual_mul_f32 v13, v241, v161 :: v_dual_add_f32 v11, v11, v15
	v_dual_add_f32 v9, v9, v31 :: v_dual_fmac_f32 v35, v231, v150
	v_dual_mul_f32 v15, v243, v163 :: v_dual_fma_f32 v19, v230, v150, -v19
	s_delay_alu instid0(VALU_DEP_3) | instskip(NEXT) | instid1(VALU_DEP_3)
	v_dual_add_f32 v11, v11, v17 :: v_dual_fmac_f32 v37, v233, v152
	v_dual_add_f32 v9, v9, v33 :: v_dual_fma_f32 v21, v232, v152, -v21
	v_dual_mul_f32 v39, v234, v155 :: v_dual_mul_f32 v41, v236, v157
	s_wait_loadcnt_dscnt 0x702
	s_delay_alu instid0(VALU_DEP_3) | instskip(NEXT) | instid1(VALU_DEP_2)
	v_dual_mul_f32 v17, v245, v165 :: v_dual_add_f32 v11, v11, v19
	;; [unrolled: 9-line block ×3, first 2 shown]
	v_dual_add_f32 v9, v9, v39 :: v_dual_fmac_f32 v43, v239, v158
	v_dual_mul_f32 v23, v251, v171 :: v_dual_fma_f32 v27, v238, v158, -v27
	s_delay_alu instid0(VALU_DEP_3) | instskip(NEXT) | instid1(VALU_DEP_3)
	v_dual_add_f32 v11, v11, v25 :: v_dual_fmac_f32 v45, v241, v160
	v_dual_add_f32 v9, v9, v41 :: v_dual_fma_f32 v13, v240, v160, -v13
	v_dual_mul_f32 v47, v242, v163 :: v_dual_mul_f32 v49, v244, v165
	s_wait_loadcnt 0x5
	s_delay_alu instid0(VALU_DEP_3) | instskip(NEXT) | instid1(VALU_DEP_3)
	v_dual_mul_f32 v25, v189, v173 :: v_dual_add_f32 v11, v11, v27
	v_dual_add_f32 v9, v9, v43 :: v_dual_mov_b32 v124, v175
	s_delay_alu instid0(VALU_DEP_3) | instskip(NEXT) | instid1(VALU_DEP_3)
	v_fmac_f32_e32 v47, v243, v162
	v_dual_fma_f32 v15, v242, v162, -v15 :: v_dual_add_f32 v11, v11, v13
	s_delay_alu instid0(VALU_DEP_3) | instskip(SKIP_1) | instid1(VALU_DEP_3)
	v_dual_add_f32 v9, v9, v45 :: v_dual_mul_f32 v51, v246, v167
	v_dual_mul_f32 v53, v248, v169 :: v_dual_fmac_f32 v49, v245, v164
	v_dual_add_f32 v11, v11, v15 :: v_dual_fma_f32 v13, v244, v164, -v17
	s_wait_loadcnt 0x4
	s_delay_alu instid0(VALU_DEP_3) | instskip(SKIP_3) | instid1(VALU_DEP_4)
	v_dual_add_f32 v9, v9, v47 :: v_dual_mov_b32 v128, v179
	v_fma_f32 v15, v246, v166, -v19
	v_fmac_f32_e32 v51, v247, v166
	v_dual_add_f32 v11, v11, v13 :: v_dual_fmac_f32 v53, v249, v168
	v_add_f32_e32 v9, v9, v49
	s_set_vgpr_msb 64                       ;  msbs: dst=1 src0=0 src1=0 src2=0
	v_dual_mul_f32 v11 /*v267*/, v250, v171 :: v_dual_mul_f32 v13 /*v269*/, v188, v173
	s_set_vgpr_msb 0                        ;  msbs: dst=0 src0=0 src1=0 src2=0
	v_fma_f32 v13, v248, v168, -v21
	s_set_vgpr_msb 1                        ;  msbs: dst=0 src0=1 src1=0 src2=0
	v_pk_mul_f32 v[124:125], v[2:3] /*v[258:259]*/, v[124:125] op_sel_hi:[1,0]
	s_set_vgpr_msb 0                        ;  msbs: dst=0 src0=0 src1=0 src2=0
	v_add_f32_e32 v9, v9, v51
	v_add_f32_e32 v11, v11, v15
	s_set_vgpr_msb 64                       ;  msbs: dst=1 src0=0 src1=0 src2=0
	v_dual_fmac_f32 v11 /*v267*/, v251, v170 :: v_dual_fmac_f32 v13 /*v269*/, v189, v172
	v_dual_fma_f32 v10 /*v266*/, v250, v170, -v23 :: v_dual_fma_f32 v12 /*v268*/, v188, v172, -v25
	s_set_vgpr_msb 0                        ;  msbs: dst=0 src0=0 src1=0 src2=0
	v_add_f32_e32 v133, v9, v53
	v_pk_fma_f32 v[136:137], v[190:191], v[174:175], v[124:125] op_sel_hi:[1,0,1]
	v_add_f32_e32 v132, v11, v13
	v_pk_fma_f32 v[124:125], v[190:191], v[174:175], v[124:125] neg_lo:[0,0,1] neg_hi:[0,0,1]
	v_pk_mul_f32 v[126:127], v[192:193], v[176:177] op_sel:[1,1] op_sel_hi:[0,1]
	s_set_vgpr_msb 1                        ;  msbs: dst=0 src0=1 src1=0 src2=0
	v_pk_mul_f32 v[128:129], v[4:5] /*v[260:261]*/, v[128:129] op_sel_hi:[1,0]
	s_set_vgpr_msb 4                        ;  msbs: dst=0 src0=0 src1=1 src2=0
	v_mov_b32_e32 v125, v137
	v_pk_add_f32 v[132:133], v[132:133], v[10:11] /*v[266:267]*/
	s_wait_loadcnt 0x3
	s_set_vgpr_msb 0                        ;  msbs: dst=0 src0=0 src1=0 src2=0
	v_pk_mul_f32 v[130:131], v[196:197], v[180:181] op_sel:[1,1] op_sel_hi:[0,1]
	v_pk_fma_f32 v[138:139], v[192:193], v[176:177], v[126:127] op_sel_hi:[1,0,1]
	v_pk_fma_f32 v[126:127], v[192:193], v[176:177], v[126:127] neg_lo:[0,0,1] neg_hi:[0,0,1]
	v_mov_b32_e32 v134, v183
	s_set_vgpr_msb 4                        ;  msbs: dst=0 src0=0 src1=1 src2=0
	v_pk_add_f32 v[132:133], v[132:133], v[12:13] /*v[268:269]*/
	s_wait_loadcnt 0x2
	s_set_vgpr_msb 0                        ;  msbs: dst=0 src0=0 src1=0 src2=0
	v_pk_mul_f32 v[136:137], v[200:201], v[184:185] op_sel:[1,1] op_sel_hi:[0,1]
	v_mov_b32_e32 v127, v139
	v_pk_fma_f32 v[138:139], v[194:195], v[178:179], v[128:129] op_sel_hi:[1,0,1]
	v_pk_fma_f32 v[128:129], v[194:195], v[178:179], v[128:129] neg_lo:[0,0,1] neg_hi:[0,0,1]
	v_pk_add_f32 v[124:125], v[132:133], v[124:125]
	v_pk_fma_f32 v[132:133], v[196:197], v[180:181], v[130:131] op_sel_hi:[1,0,1]
	s_set_vgpr_msb 1                        ;  msbs: dst=0 src0=1 src1=0 src2=0
	v_pk_mul_f32 v[134:135], v[6:7] /*v[262:263]*/, v[134:135] op_sel_hi:[1,0]
	s_set_vgpr_msb 0                        ;  msbs: dst=0 src0=0 src1=0 src2=0
	v_mov_b32_e32 v129, v139
	v_pk_fma_f32 v[130:131], v[196:197], v[180:181], v[130:131] neg_lo:[0,0,1] neg_hi:[0,0,1]
	v_pk_add_f32 v[124:125], v[124:125], v[126:127]
	v_dual_mov_b32 v126, v187 :: v_dual_mov_b32 v131, v133
	v_pk_fma_f32 v[132:133], v[198:199], v[182:183], v[134:135] op_sel_hi:[1,0,1]
	v_pk_fma_f32 v[134:135], v[198:199], v[182:183], v[134:135] neg_lo:[0,0,1] neg_hi:[0,0,1]
	s_delay_alu instid0(VALU_DEP_4)
	v_pk_add_f32 v[124:125], v[124:125], v[128:129]
	v_pk_fma_f32 v[128:129], v[200:201], v[184:185], v[136:137] op_sel_hi:[1,0,1]
	s_set_vgpr_msb 1                        ;  msbs: dst=0 src0=1 src1=0 src2=0
	v_pk_mul_f32 v[126:127], v[8:9] /*v[264:265]*/, v[126:127] op_sel_hi:[1,0]
	s_set_vgpr_msb 0                        ;  msbs: dst=0 src0=0 src1=0 src2=0
	v_mov_b32_e32 v135, v133
	s_wait_loadcnt_dscnt 0x100
	s_set_vgpr_msb 1                        ;  msbs: dst=0 src0=1 src1=0 src2=0
	v_pk_mul_f32 v[132:133], v[0:1] /*v[256:257]*/, v[252:253] op_sel:[1,1] op_sel_hi:[0,1]
	s_set_vgpr_msb 0                        ;  msbs: dst=0 src0=0 src1=0 src2=0
	v_pk_add_f32 v[124:125], v[124:125], v[130:131]
	v_pk_fma_f32 v[130:131], v[200:201], v[184:185], v[136:137] neg_lo:[0,0,1] neg_hi:[0,0,1]
	v_mov_b32_e32 v131, v129
	v_pk_fma_f32 v[128:129], v[202:203], v[186:187], v[126:127] op_sel_hi:[1,0,1]
	v_pk_fma_f32 v[126:127], v[202:203], v[186:187], v[126:127] neg_lo:[0,0,1] neg_hi:[0,0,1]
	v_pk_add_f32 v[124:125], v[124:125], v[134:135]
	s_delay_alu instid0(VALU_DEP_3)
	v_mov_b32_e32 v127, v129
	s_set_vgpr_msb 1                        ;  msbs: dst=0 src0=1 src1=0 src2=0
	v_pk_fma_f32 v[128:129], v[0:1] /*v[256:257]*/, v[252:253], v[132:133] op_sel_hi:[1,0,1]
	s_set_vgpr_msb 0                        ;  msbs: dst=0 src0=0 src1=0 src2=0
	v_pk_add_f32 v[124:125], v[124:125], v[130:131]
	s_set_vgpr_msb 1                        ;  msbs: dst=0 src0=1 src1=0 src2=0
	v_pk_fma_f32 v[130:131], v[0:1] /*v[256:257]*/, v[252:253], v[132:133] neg_lo:[0,0,1] neg_hi:[0,0,1]
	s_set_vgpr_msb 0                        ;  msbs: dst=0 src0=0 src1=0 src2=0
	v_mov_b32_e32 v131, v129
	v_pk_add_f32 v[124:125], v[124:125], v[126:127]
	s_delay_alu instid0(VALU_DEP_1) | instskip(SKIP_1) | instid1(VALU_DEP_1)
	v_pk_add_f32 v[124:125], v[124:125], v[130:131]
	s_wait_loadcnt 0x0
	v_pk_add_f32 v[124:125], v[254:255], v[124:125] neg_lo:[0,1] neg_hi:[0,1]
	scratch_store_b64 off, v[124:125], off offset:216
	s_wait_xcnt 0x0
	v_cmpx_lt_u32_e32 26, v0
	s_cbranch_execz .LBB60_327
; %bb.326:
	scratch_load_b64 v[124:125], off, off offset:208
	v_mov_b64_e32 v[126:127], 0
	scratch_store_b64 off, v[126:127], off offset:208
	s_wait_loadcnt 0x0
	ds_store_b64 v1, v[124:125]
.LBB60_327:
	s_wait_xcnt 0x0
	s_or_b32 exec_lo, exec_lo, s0
	s_wait_storecnt_dscnt 0x0
	s_barrier_signal -1
	s_barrier_wait -1
	s_clause 0x12
	scratch_load_b128 v[124:127], off, off offset:216
	scratch_load_b128 v[128:131], off, off offset:232
	;; [unrolled: 1-line block ×17, first 2 shown]
	s_set_vgpr_msb 64                       ;  msbs: dst=1 src0=0 src1=0 src2=0
	scratch_load_b64 v[4:5] /*v[260:261]*/, off, off offset:208
	s_set_vgpr_msb 0                        ;  msbs: dst=0 src0=0 src1=0 src2=0
	ds_load_2addr_b64 v[192:195], v7 offset0:115 offset1:116
	ds_load_2addr_b64 v[196:199], v7 offset0:117 offset1:118
	;; [unrolled: 1-line block ×16, first 2 shown]
	s_set_vgpr_msb 64                       ;  msbs: dst=1 src0=0 src1=0 src2=0
	ds_load_2addr_b64 v[0:3] /*v[256:259]*/, v7 offset0:111 offset1:112
	s_mov_b32 s0, exec_lo
	s_wait_dscnt 0x10
	v_dual_mov_b32 v6 /*v262*/, v195 :: v_dual_mov_b32 v7 /*v263*/, v194
	s_wait_dscnt 0xf
	v_dual_mov_b32 v8 /*v264*/, v199 :: v_dual_mov_b32 v9 /*v265*/, v198
	;; [unrolled: 2-line block ×4, first 2 shown]
	s_wait_loadcnt_dscnt 0x110b
	s_set_vgpr_msb 0                        ;  msbs: dst=0 src0=0 src1=0 src2=0
	v_dual_mul_f32 v7, v212, v125 :: v_dual_mul_f32 v9, v214, v127
	v_dual_mul_f32 v55, v213, v125 :: v_dual_mul_f32 v57, v215, v127
	s_wait_loadcnt_dscnt 0x100a
	v_dual_mul_f32 v11, v216, v129 :: v_dual_mul_f32 v13, v218, v131
	s_delay_alu instid0(VALU_DEP_3) | instskip(SKIP_3) | instid1(VALU_DEP_3)
	v_dual_fmac_f32 v7, v213, v124 :: v_dual_fmac_f32 v9, v215, v126
	s_wait_loadcnt_dscnt 0xe08
	v_dual_fma_f32 v55, v212, v124, -v55 :: v_dual_mul_f32 v67, v225, v137
	v_dual_mul_f32 v59, v217, v129 :: v_dual_mul_f32 v61, v219, v131
	v_dual_fma_f32 v57, v214, v126, -v57 :: v_dual_add_f32 v7, 0, v7
	s_delay_alu instid0(VALU_DEP_3) | instskip(SKIP_1) | instid1(VALU_DEP_4)
	v_dual_add_f32 v55, 0, v55 :: v_dual_fmac_f32 v11, v217, v128
	v_dual_mul_f32 v15, v220, v133 :: v_dual_mul_f32 v17, v222, v135
	v_dual_mul_f32 v69, v227, v139 :: v_dual_fma_f32 v59, v216, v128, -v59
	s_delay_alu instid0(VALU_DEP_4) | instskip(NEXT) | instid1(VALU_DEP_3)
	v_add_f32_e32 v7, v7, v9
	v_dual_add_f32 v9, v55, v57 :: v_dual_fmac_f32 v15, v221, v132
	v_dual_mul_f32 v63, v221, v133 :: v_dual_mul_f32 v65, v223, v135
	s_wait_loadcnt_dscnt 0xd07
	v_dual_mul_f32 v55, v229, v141 :: v_dual_fmac_f32 v13, v219, v130
	v_dual_fma_f32 v57, v218, v130, -v61 :: v_dual_add_f32 v7, v7, v11
	s_delay_alu instid0(VALU_DEP_3) | instskip(SKIP_1) | instid1(VALU_DEP_3)
	v_dual_add_f32 v9, v9, v59 :: v_dual_fma_f32 v59, v220, v132, -v63
	v_dual_mul_f32 v19, v224, v137 :: v_dual_mul_f32 v21, v226, v139
	v_add_f32_e32 v7, v7, v13
	s_delay_alu instid0(VALU_DEP_3) | instskip(SKIP_2) | instid1(VALU_DEP_3)
	v_dual_mul_f32 v11, v231, v143 :: v_dual_add_f32 v9, v9, v57
	s_wait_loadcnt_dscnt 0xc06
	v_dual_mul_f32 v13, v233, v145 :: v_dual_fmac_f32 v17, v223, v134
	v_dual_fma_f32 v57, v222, v134, -v65 :: v_dual_add_f32 v7, v7, v15
	s_delay_alu instid0(VALU_DEP_3) | instskip(SKIP_1) | instid1(VALU_DEP_3)
	v_dual_add_f32 v9, v9, v59 :: v_dual_fma_f32 v59, v224, v136, -v67
	v_dual_mul_f32 v15, v235, v147 :: v_dual_fmac_f32 v19, v225, v136
	v_add_f32_e32 v7, v7, v17
	s_delay_alu instid0(VALU_DEP_3)
	v_dual_add_f32 v9, v9, v57 :: v_dual_fmac_f32 v21, v227, v138
	v_dual_mul_f32 v23, v228, v141 :: v_dual_mul_f32 v25, v230, v143
	s_wait_loadcnt_dscnt 0xb05
	v_dual_fma_f32 v57, v226, v138, -v69 :: v_dual_mul_f32 v17, v237, v149
	v_add_f32_e32 v7, v7, v19
	v_dual_add_f32 v9, v9, v59 :: v_dual_fma_f32 v55, v228, v140, -v55
	v_dual_mul_f32 v19, v239, v151 :: v_dual_fmac_f32 v23, v229, v140
	s_delay_alu instid0(VALU_DEP_3) | instskip(NEXT) | instid1(VALU_DEP_3)
	v_dual_add_f32 v7, v7, v21 :: v_dual_fma_f32 v11, v230, v142, -v11
	v_dual_add_f32 v9, v9, v57 :: v_dual_fmac_f32 v25, v231, v142
	v_dual_mul_f32 v27, v232, v145 :: v_dual_mul_f32 v29, v234, v147
	s_wait_loadcnt_dscnt 0xa04
	s_delay_alu instid0(VALU_DEP_3) | instskip(NEXT) | instid1(VALU_DEP_3)
	v_dual_mul_f32 v21, v241, v153 :: v_dual_add_f32 v7, v7, v23
	v_dual_add_f32 v9, v9, v55 :: v_dual_fma_f32 v13, v232, v144, -v13
	s_delay_alu instid0(VALU_DEP_3) | instskip(NEXT) | instid1(VALU_DEP_2)
	v_dual_mul_f32 v23, v243, v155 :: v_dual_fmac_f32 v27, v233, v144
	v_dual_add_f32 v7, v7, v25 :: v_dual_add_f32 v9, v9, v11
	v_dual_mul_f32 v31, v236, v149 :: v_dual_mul_f32 v33, v238, v151
	s_wait_loadcnt_dscnt 0x903
	v_dual_mul_f32 v11, v245, v157 :: v_dual_fmac_f32 v29, v235, v146
	s_delay_alu instid0(VALU_DEP_3) | instskip(SKIP_2) | instid1(VALU_DEP_2)
	v_dual_fma_f32 v15, v234, v146, -v15 :: v_dual_add_f32 v7, v7, v27
	v_dual_add_f32 v9, v9, v13 :: v_dual_mul_f32 v13, v247, v159
	v_dual_fmac_f32 v31, v237, v148 :: v_dual_fma_f32 v17, v236, v148, -v17
	v_dual_add_f32 v7, v7, v29 :: v_dual_add_f32 v9, v9, v15
	v_dual_mul_f32 v35, v240, v153 :: v_dual_mul_f32 v37, v242, v155
	s_wait_loadcnt_dscnt 0x802
	v_dual_mul_f32 v15, v249, v161 :: v_dual_fmac_f32 v33, v239, v150
	s_delay_alu instid0(VALU_DEP_3) | instskip(SKIP_2) | instid1(VALU_DEP_2)
	v_dual_fma_f32 v19, v238, v150, -v19 :: v_dual_add_f32 v7, v7, v31
	v_dual_add_f32 v9, v9, v17 :: v_dual_mul_f32 v17, v251, v163
	v_dual_fmac_f32 v35, v241, v152 :: v_dual_fma_f32 v21, v240, v152, -v21
	v_dual_add_f32 v7, v7, v33 :: v_dual_add_f32 v9, v9, v19
	v_dual_mul_f32 v39, v244, v157 :: v_dual_mul_f32 v41, v246, v159
	s_wait_loadcnt_dscnt 0x701
	v_dual_mul_f32 v19, v253, v165 :: v_dual_fmac_f32 v37, v243, v154
	s_delay_alu instid0(VALU_DEP_3) | instskip(SKIP_2) | instid1(VALU_DEP_3)
	v_dual_fma_f32 v23, v242, v154, -v23 :: v_dual_add_f32 v7, v7, v35
	v_dual_add_f32 v9, v9, v21 :: v_dual_mul_f32 v21, v255, v167
	v_fmac_f32_e32 v39, v245, v156
	v_dual_fma_f32 v11, v244, v156, -v11 :: v_dual_add_f32 v7, v7, v37
	s_delay_alu instid0(VALU_DEP_3) | instskip(SKIP_1) | instid1(VALU_DEP_3)
	v_dual_add_f32 v9, v9, v23 :: v_dual_mul_f32 v43, v248, v161
	v_dual_mul_f32 v45, v250, v163 :: v_dual_fmac_f32 v41, v247, v158
	v_dual_fma_f32 v13, v246, v158, -v13 :: v_dual_add_f32 v7, v7, v39
	s_delay_alu instid0(VALU_DEP_3) | instskip(NEXT) | instid1(VALU_DEP_4)
	v_add_f32_e32 v9, v9, v11
	v_fmac_f32_e32 v43, v249, v160
	v_fma_f32 v15, v248, v160, -v15
	v_dual_mul_f32 v47, v252, v165 :: v_dual_mul_f32 v49, v254, v167
	v_add_f32_e32 v7, v7, v41
	v_add_f32_e32 v9, v9, v13
	s_wait_loadcnt 0x5
	v_dual_mul_f32 v13, v209, v173 :: v_dual_fmac_f32 v45, v251, v162
	s_delay_alu instid0(VALU_DEP_3) | instskip(NEXT) | instid1(VALU_DEP_3)
	v_dual_fma_f32 v17, v250, v162, -v17 :: v_dual_add_f32 v7, v7, v43
	v_dual_add_f32 v9, v9, v15 :: v_dual_fma_f32 v19, v252, v164, -v19
	v_dual_mul_f32 v15, v211, v175 :: v_dual_fmac_f32 v47, v253, v164
	s_delay_alu instid0(VALU_DEP_3) | instskip(NEXT) | instid1(VALU_DEP_3)
	v_add_f32_e32 v7, v7, v45
	v_dual_add_f32 v9, v9, v17 :: v_dual_fmac_f32 v49, v255, v166
	s_wait_dscnt 0x0
	s_set_vgpr_msb 1                        ;  msbs: dst=0 src0=1 src1=0 src2=0
	v_dual_mul_f32 v51, v0 /*v256*/, v169 :: v_dual_mul_f32 v53, v2 /*v258*/, v171
	v_dual_mul_f32 v23, v1 /*v257*/, v169 :: v_dual_mul_f32 v11, v3 /*v259*/, v171
	s_set_vgpr_msb 0                        ;  msbs: dst=0 src0=0 src1=0 src2=0
	v_dual_fma_f32 v17, v254, v166, -v21 :: v_dual_add_f32 v9, v9, v19
	s_wait_loadcnt 0x4
	v_mov_b32_e32 v126, v179
	v_add_f32_e32 v7, v7, v47
	s_set_vgpr_msb 1                        ;  msbs: dst=0 src0=1 src1=0 src2=0
	v_dual_fmac_f32 v51, v1 /*v257*/, v168 :: v_dual_fmac_f32 v53, v3 /*v259*/, v170
	v_fma_f32 v19, v0 /*v256*/, v168, -v23
	s_set_vgpr_msb 0                        ;  msbs: dst=0 src0=0 src1=0 src2=0
	v_add_f32_e32 v9, v9, v17
	v_add_f32_e32 v7, v7, v49
	s_set_vgpr_msb 64                       ;  msbs: dst=1 src0=0 src1=0 src2=0
	v_dual_mul_f32 v15 /*v271*/, v208, v173 :: v_dual_mul_f32 v17 /*v273*/, v210, v175
	s_set_vgpr_msb 1                        ;  msbs: dst=0 src0=1 src1=0 src2=0
	v_fma_f32 v11, v2 /*v258*/, v170, -v11
	s_set_vgpr_msb 0                        ;  msbs: dst=0 src0=0 src1=0 src2=0
	v_add_f32_e32 v9, v9, v19
	v_add_f32_e32 v7, v7, v51
	v_pk_mul_f32 v[124:125], v[192:193], v[176:177] op_sel:[1,1] op_sel_hi:[0,1]
	s_wait_loadcnt 0x3
	v_mov_b32_e32 v130, v183
	s_set_vgpr_msb 64                       ;  msbs: dst=1 src0=0 src1=0 src2=0
	v_dual_fmac_f32 v15 /*v271*/, v209, v172 :: v_dual_fmac_f32 v17 /*v273*/, v211, v174
	v_dual_fma_f32 v14 /*v270*/, v208, v172, -v13 :: v_dual_fma_f32 v16 /*v272*/, v210, v174, -v15
	s_set_vgpr_msb 0                        ;  msbs: dst=0 src0=0 src1=0 src2=0
	v_dual_add_f32 v133, v7, v53 :: v_dual_add_f32 v132, v9, v11
	v_pk_fma_f32 v[134:135], v[192:193], v[176:177], v[124:125] op_sel_hi:[1,0,1]
	s_set_vgpr_msb 1                        ;  msbs: dst=0 src0=1 src1=0 src2=0
	v_pk_mul_f32 v[126:127], v[6:7] /*v[262:263]*/, v[126:127] op_sel_hi:[1,0]
	s_set_vgpr_msb 0                        ;  msbs: dst=0 src0=0 src1=0 src2=0
	v_pk_fma_f32 v[124:125], v[192:193], v[176:177], v[124:125] neg_lo:[0,0,1] neg_hi:[0,0,1]
	v_pk_mul_f32 v[128:129], v[196:197], v[180:181] op_sel:[1,1] op_sel_hi:[0,1]
	s_set_vgpr_msb 4                        ;  msbs: dst=0 src0=0 src1=1 src2=0
	v_pk_add_f32 v[132:133], v[132:133], v[14:15] /*v[270:271]*/
	v_mov_b32_e32 v125, v135
	s_set_vgpr_msb 0                        ;  msbs: dst=0 src0=0 src1=0 src2=0
	v_pk_fma_f32 v[134:135], v[194:195], v[178:179], v[126:127] op_sel_hi:[1,0,1]
	v_pk_fma_f32 v[126:127], v[194:195], v[178:179], v[126:127] neg_lo:[0,0,1] neg_hi:[0,0,1]
	v_pk_fma_f32 v[138:139], v[196:197], v[180:181], v[128:129] op_sel_hi:[1,0,1]
	s_set_vgpr_msb 4                        ;  msbs: dst=0 src0=0 src1=1 src2=0
	v_pk_add_f32 v[132:133], v[132:133], v[16:17] /*v[272:273]*/
	s_set_vgpr_msb 1                        ;  msbs: dst=0 src0=1 src1=0 src2=0
	v_pk_mul_f32 v[130:131], v[8:9] /*v[264:265]*/, v[130:131] op_sel_hi:[1,0]
	s_set_vgpr_msb 0                        ;  msbs: dst=0 src0=0 src1=0 src2=0
	v_mov_b32_e32 v127, v135
	s_wait_loadcnt 0x2
	v_pk_mul_f32 v[136:137], v[200:201], v[184:185] op_sel:[1,1] op_sel_hi:[0,1]
	v_pk_fma_f32 v[128:129], v[196:197], v[180:181], v[128:129] neg_lo:[0,0,1] neg_hi:[0,0,1]
	v_pk_add_f32 v[124:125], v[132:133], v[124:125]
	v_dual_mov_b32 v132, v187 :: v_dual_mov_b32 v129, v139
	v_pk_fma_f32 v[134:135], v[198:199], v[182:183], v[130:131] op_sel_hi:[1,0,1]
	v_pk_fma_f32 v[130:131], v[198:199], v[182:183], v[130:131] neg_lo:[0,0,1] neg_hi:[0,0,1]
	s_delay_alu instid0(VALU_DEP_4)
	v_pk_add_f32 v[124:125], v[124:125], v[126:127]
	v_pk_fma_f32 v[126:127], v[200:201], v[184:185], v[136:137] op_sel_hi:[1,0,1]
	s_set_vgpr_msb 1                        ;  msbs: dst=0 src0=1 src1=0 src2=0
	v_pk_mul_f32 v[132:133], v[10:11] /*v[266:267]*/, v[132:133] op_sel_hi:[1,0]
	s_set_vgpr_msb 0                        ;  msbs: dst=0 src0=0 src1=0 src2=0
	v_mov_b32_e32 v131, v135
	v_pk_fma_f32 v[134:135], v[200:201], v[184:185], v[136:137] neg_lo:[0,0,1] neg_hi:[0,0,1]
	v_pk_add_f32 v[124:125], v[124:125], v[128:129]
	v_mov_b32_e32 v135, v127
	v_pk_fma_f32 v[126:127], v[202:203], v[186:187], v[132:133] op_sel_hi:[1,0,1]
	s_wait_loadcnt 0x1
	v_pk_mul_f32 v[128:129], v[204:205], v[188:189] op_sel:[1,1] op_sel_hi:[0,1]
	v_mov_b32_e32 v126, v191
	v_pk_add_f32 v[124:125], v[124:125], v[130:131]
	v_pk_fma_f32 v[132:133], v[202:203], v[186:187], v[132:133] neg_lo:[0,0,1] neg_hi:[0,0,1]
	v_mov_b32_e32 v133, v127
	v_pk_fma_f32 v[130:131], v[204:205], v[188:189], v[128:129] op_sel_hi:[1,0,1]
	s_set_vgpr_msb 1                        ;  msbs: dst=0 src0=1 src1=0 src2=0
	v_pk_mul_f32 v[126:127], v[12:13] /*v[268:269]*/, v[126:127] op_sel_hi:[1,0]
	s_set_vgpr_msb 0                        ;  msbs: dst=0 src0=0 src1=0 src2=0
	v_pk_add_f32 v[124:125], v[124:125], v[134:135]
	v_pk_fma_f32 v[128:129], v[204:205], v[188:189], v[128:129] neg_lo:[0,0,1] neg_hi:[0,0,1]
	v_mov_b32_e32 v129, v131
	v_pk_fma_f32 v[130:131], v[206:207], v[190:191], v[126:127] op_sel_hi:[1,0,1]
	s_delay_alu instid0(VALU_DEP_4) | instskip(SKIP_1) | instid1(VALU_DEP_3)
	v_pk_add_f32 v[124:125], v[124:125], v[132:133]
	v_pk_fma_f32 v[126:127], v[206:207], v[190:191], v[126:127] neg_lo:[0,0,1] neg_hi:[0,0,1]
	v_mov_b32_e32 v127, v131
	s_delay_alu instid0(VALU_DEP_3) | instskip(NEXT) | instid1(VALU_DEP_1)
	v_pk_add_f32 v[124:125], v[124:125], v[128:129]
	v_pk_add_f32 v[124:125], v[124:125], v[126:127]
	s_wait_loadcnt 0x0
	s_set_vgpr_msb 1                        ;  msbs: dst=0 src0=1 src1=0 src2=0
	s_delay_alu instid0(VALU_DEP_1)
	v_pk_add_f32 v[124:125], v[4:5] /*v[260:261]*/, v[124:125] neg_lo:[0,1] neg_hi:[0,1]
	scratch_store_b64 off, v[124:125], off offset:208
	s_wait_xcnt 0x0
	v_cmpx_lt_u32_e32 25, v0
	s_set_vgpr_msb 0                        ;  msbs: dst=0 src0=0 src1=0 src2=0
	s_cbranch_execz .LBB60_329
; %bb.328:
	scratch_load_b64 v[124:125], off, off offset:200
	v_mov_b64_e32 v[126:127], 0
	scratch_store_b64 off, v[126:127], off offset:200
	s_wait_loadcnt 0x0
	ds_store_b64 v1, v[124:125]
.LBB60_329:
	s_wait_xcnt 0x0
	s_or_b32 exec_lo, exec_lo, s0
	s_wait_storecnt_dscnt 0x0
	s_barrier_signal -1
	s_barrier_wait -1
	s_clause 0x13
	scratch_load_b128 v[124:127], off, off offset:208
	scratch_load_b128 v[128:131], off, off offset:224
	;; [unrolled: 1-line block ×17, first 2 shown]
	s_set_vgpr_msb 64                       ;  msbs: dst=1 src0=0 src1=0 src2=0
	scratch_load_b64 v[4:5] /*v[260:261]*/, off, off offset:480
	scratch_load_b64 v[6:7] /*v[262:263]*/, off, off offset:200
	s_set_vgpr_msb 0                        ;  msbs: dst=0 src0=0 src1=0 src2=0
	v_mov_b32_e32 v7, 0
	ds_load_b128 v[192:195], v7 offset:912
	ds_load_b128 v[196:199], v7 offset:928
	;; [unrolled: 1-line block ×16, first 2 shown]
	s_set_vgpr_msb 64                       ;  msbs: dst=1 src0=0 src1=0 src2=0
	ds_load_b128 v[0:3] /*v[256:259]*/, v7 offset:880
	ds_load_b64 v[8:9] /*v[264:265]*/, v7 offset:976
	s_mov_b32 s0, exec_lo
	s_wait_dscnt 0x11
	v_dual_mov_b32 v10 /*v266*/, v195 :: v_dual_mov_b32 v11 /*v267*/, v194
	s_wait_dscnt 0x10
	v_dual_mov_b32 v12 /*v268*/, v199 :: v_dual_mov_b32 v13 /*v269*/, v198
	;; [unrolled: 2-line block ×4, first 2 shown]
	s_wait_loadcnt_dscnt 0x120c
	s_set_vgpr_msb 0                        ;  msbs: dst=0 src0=0 src1=0 src2=0
	v_dual_mul_f32 v9, v212, v125 :: v_dual_mul_f32 v59, v213, v125
	v_dual_mul_f32 v61, v215, v127 :: v_dual_mul_f32 v11, v214, v127
	s_wait_loadcnt_dscnt 0x110b
	v_mul_f32_e32 v13, v216, v129
	s_wait_loadcnt_dscnt 0xf09
	v_dual_mul_f32 v71, v225, v137 :: v_dual_fma_f32 v59, v212, v124, -v59
	v_dual_fmac_f32 v9, v213, v124 :: v_dual_mul_f32 v73, v227, v139
	v_dual_mul_f32 v63, v217, v129 :: v_dual_mul_f32 v65, v219, v131
	v_dual_fmac_f32 v11, v215, v126 :: v_dual_fma_f32 v61, v214, v126, -v61
	s_delay_alu instid0(VALU_DEP_3) | instskip(SKIP_4) | instid1(VALU_DEP_3)
	v_dual_add_f32 v9, 0, v9 :: v_dual_add_f32 v59, 0, v59
	v_dual_mul_f32 v15, v218, v131 :: v_dual_mul_f32 v17, v220, v133
	s_wait_loadcnt_dscnt 0xe08
	v_dual_mul_f32 v75, v229, v141 :: v_dual_fma_f32 v63, v216, v128, -v63
	v_fmac_f32_e32 v13, v217, v128
	v_dual_add_f32 v9, v9, v11 :: v_dual_fmac_f32 v15, v219, v130
	v_add_f32_e32 v11, v59, v61
	v_dual_mul_f32 v67, v221, v133 :: v_dual_mul_f32 v69, v223, v135
	v_dual_mul_f32 v59, v231, v143 :: v_dual_fma_f32 v61, v218, v130, -v65
	s_delay_alu instid0(VALU_DEP_3) | instskip(SKIP_3) | instid1(VALU_DEP_3)
	v_dual_add_f32 v9, v9, v13 :: v_dual_add_f32 v11, v11, v63
	v_dual_mul_f32 v19, v222, v135 :: v_dual_mul_f32 v21, v224, v137
	s_wait_loadcnt_dscnt 0xd07
	v_dual_mul_f32 v13, v233, v145 :: v_dual_fma_f32 v63, v220, v132, -v67
	v_dual_fmac_f32 v17, v221, v132 :: v_dual_add_f32 v11, v11, v61
	s_delay_alu instid0(VALU_DEP_3) | instskip(SKIP_1) | instid1(VALU_DEP_2)
	v_dual_add_f32 v9, v9, v15 :: v_dual_fmac_f32 v19, v223, v134
	v_dual_mul_f32 v15, v235, v147 :: v_dual_fma_f32 v61, v222, v134, -v69
	v_dual_add_f32 v11, v11, v63 :: v_dual_add_f32 v9, v9, v17
	v_dual_mul_f32 v23, v226, v139 :: v_dual_mul_f32 v25, v228, v141
	s_wait_loadcnt_dscnt 0xc06
	v_dual_mul_f32 v17, v237, v149 :: v_dual_fma_f32 v63, v224, v136, -v71
	s_delay_alu instid0(VALU_DEP_3) | instskip(NEXT) | instid1(VALU_DEP_3)
	v_dual_fmac_f32 v21, v225, v136 :: v_dual_add_f32 v11, v11, v61
	v_dual_add_f32 v9, v9, v19 :: v_dual_fmac_f32 v23, v227, v138
	v_dual_mul_f32 v19, v239, v151 :: v_dual_fma_f32 v61, v226, v138, -v73
	s_delay_alu instid0(VALU_DEP_2) | instskip(SKIP_3) | instid1(VALU_DEP_3)
	v_dual_add_f32 v11, v11, v63 :: v_dual_add_f32 v9, v9, v21
	v_dual_mul_f32 v27, v230, v143 :: v_dual_mul_f32 v29, v232, v145
	s_wait_loadcnt_dscnt 0xb05
	v_dual_mul_f32 v21, v241, v153 :: v_dual_fma_f32 v63, v228, v140, -v75
	v_dual_fmac_f32 v25, v229, v140 :: v_dual_add_f32 v11, v11, v61
	s_delay_alu instid0(VALU_DEP_3) | instskip(SKIP_1) | instid1(VALU_DEP_2)
	v_dual_add_f32 v9, v9, v23 :: v_dual_fmac_f32 v27, v231, v142
	v_dual_mul_f32 v23, v243, v155 :: v_dual_fma_f32 v59, v230, v142, -v59
	v_dual_add_f32 v11, v11, v63 :: v_dual_add_f32 v9, v9, v25
	v_dual_mul_f32 v31, v234, v147 :: v_dual_mul_f32 v33, v236, v149
	s_wait_loadcnt_dscnt 0xa04
	v_dual_mul_f32 v25, v245, v157 :: v_dual_fma_f32 v13, v232, v144, -v13
	s_delay_alu instid0(VALU_DEP_3) | instskip(NEXT) | instid1(VALU_DEP_3)
	v_dual_fmac_f32 v29, v233, v144 :: v_dual_add_f32 v11, v11, v59
	v_dual_add_f32 v9, v9, v27 :: v_dual_fmac_f32 v31, v235, v146
	v_dual_mul_f32 v27, v247, v159 :: v_dual_fma_f32 v15, v234, v146, -v15
	s_delay_alu instid0(VALU_DEP_3) | instskip(NEXT) | instid1(VALU_DEP_3)
	v_dual_add_f32 v11, v11, v13 :: v_dual_fmac_f32 v33, v237, v148
	v_dual_add_f32 v9, v9, v29 :: v_dual_fma_f32 v17, v236, v148, -v17
	v_dual_mul_f32 v35, v238, v151 :: v_dual_mul_f32 v37, v240, v153
	s_wait_loadcnt_dscnt 0x903
	s_delay_alu instid0(VALU_DEP_3) | instskip(NEXT) | instid1(VALU_DEP_2)
	v_dual_mul_f32 v13, v249, v161 :: v_dual_add_f32 v11, v11, v15
	v_dual_add_f32 v9, v9, v31 :: v_dual_fmac_f32 v35, v239, v150
	v_dual_mul_f32 v15, v251, v163 :: v_dual_fma_f32 v19, v238, v150, -v19
	s_delay_alu instid0(VALU_DEP_3) | instskip(NEXT) | instid1(VALU_DEP_3)
	v_dual_add_f32 v11, v11, v17 :: v_dual_fmac_f32 v37, v241, v152
	v_dual_add_f32 v9, v9, v33 :: v_dual_fma_f32 v21, v240, v152, -v21
	v_dual_mul_f32 v39, v242, v155 :: v_dual_mul_f32 v41, v244, v157
	s_wait_loadcnt_dscnt 0x802
	s_delay_alu instid0(VALU_DEP_3) | instskip(NEXT) | instid1(VALU_DEP_2)
	v_dual_mul_f32 v17, v253, v165 :: v_dual_add_f32 v11, v11, v19
	v_dual_add_f32 v9, v9, v35 :: v_dual_fmac_f32 v39, v243, v154
	v_dual_mul_f32 v19, v255, v167 :: v_dual_fma_f32 v23, v242, v154, -v23
	s_delay_alu instid0(VALU_DEP_3) | instskip(NEXT) | instid1(VALU_DEP_3)
	v_dual_add_f32 v11, v11, v21 :: v_dual_fmac_f32 v41, v245, v156
	v_dual_add_f32 v9, v9, v37 :: v_dual_fma_f32 v25, v244, v156, -v25
	v_dual_mul_f32 v43, v246, v159 :: v_dual_mul_f32 v45, v248, v161
	s_delay_alu instid0(VALU_DEP_3) | instskip(NEXT) | instid1(VALU_DEP_2)
	v_dual_add_f32 v11, v11, v23 :: v_dual_fma_f32 v27, v246, v158, -v27
	v_dual_add_f32 v9, v9, v39 :: v_dual_fmac_f32 v43, v247, v158
	v_dual_mul_f32 v47, v250, v163 :: v_dual_mul_f32 v49, v252, v165
	s_delay_alu instid0(VALU_DEP_3) | instskip(NEXT) | instid1(VALU_DEP_3)
	v_dual_add_f32 v11, v11, v25 :: v_dual_fmac_f32 v45, v249, v160
	v_dual_add_f32 v9, v9, v41 :: v_dual_fma_f32 v13, v248, v160, -v13
	s_wait_loadcnt 0x6
	s_delay_alu instid0(VALU_DEP_2) | instskip(SKIP_1) | instid1(VALU_DEP_3)
	v_dual_mul_f32 v25, v205, v173 :: v_dual_add_f32 v11, v11, v27
	v_dual_mul_f32 v27, v207, v175 :: v_dual_fma_f32 v15, v250, v162, -v15
	v_dual_add_f32 v9, v9, v43 :: v_dual_fmac_f32 v47, v251, v162
	s_delay_alu instid0(VALU_DEP_3) | instskip(SKIP_1) | instid1(VALU_DEP_3)
	v_dual_add_f32 v11, v11, v13 :: v_dual_fmac_f32 v49, v253, v164
	v_dual_mul_f32 v51, v254, v167 :: v_dual_mul_f32 v57, v204, v173
	v_dual_add_f32 v9, v9, v45 :: v_dual_fma_f32 v17, v252, v164, -v17
	s_wait_loadcnt 0x5
	s_delay_alu instid0(VALU_DEP_3)
	v_dual_mul_f32 v13, v193, v177 :: v_dual_add_f32 v11, v11, v15
	s_wait_dscnt 0x1
	s_set_vgpr_msb 1                        ;  msbs: dst=0 src0=1 src1=0 src2=0
	v_dual_mul_f32 v53, v0 /*v256*/, v169 :: v_dual_mul_f32 v55, v2 /*v258*/, v171
	s_set_vgpr_msb 0                        ;  msbs: dst=0 src0=0 src1=0 src2=0
	v_dual_add_f32 v9, v9, v47 :: v_dual_mov_b32 v124, v179
	s_set_vgpr_msb 1                        ;  msbs: dst=0 src0=1 src1=0 src2=0
	v_dual_mul_f32 v21, v1 /*v257*/, v169 :: v_dual_mul_f32 v23, v3 /*v259*/, v171
	s_set_vgpr_msb 0                        ;  msbs: dst=0 src0=0 src1=0 src2=0
	s_delay_alu instid0(VALU_DEP_2)
	v_dual_fmac_f32 v51, v255, v166 :: v_dual_add_f32 v9, v9, v49
	v_dual_fma_f32 v15, v254, v166, -v19 :: v_dual_add_f32 v11, v11, v17
	s_set_vgpr_msb 1                        ;  msbs: dst=0 src0=1 src1=0 src2=0
	v_dual_fmac_f32 v53, v1 /*v257*/, v168 :: v_dual_fmac_f32 v55, v3 /*v259*/, v170
	v_fma_f32 v17, v0 /*v256*/, v168, -v21
	s_wait_loadcnt 0x4
	s_set_vgpr_msb 0                        ;  msbs: dst=0 src0=0 src1=0 src2=0
	v_dual_add_f32 v9, v9, v51 :: v_dual_mov_b32 v128, v183
	v_add_f32_e32 v11, v11, v15
	s_set_vgpr_msb 1                        ;  msbs: dst=0 src0=1 src1=0 src2=0
	v_fma_f32 v15, v2 /*v258*/, v170, -v23
	s_set_vgpr_msb 64                       ;  msbs: dst=1 src0=0 src1=0 src2=0
	v_dual_mul_f32 v19 /*v275*/, v206, v175 :: v_dual_mul_f32 v21 /*v277*/, v192, v177
	s_set_vgpr_msb 0                        ;  msbs: dst=0 src0=0 src1=0 src2=0
	v_add_f32_e32 v9, v9, v53
	v_dual_add_f32 v11, v11, v17 :: v_dual_fmac_f32 v57, v205, v172
	v_fma_f32 v17, v204, v172, -v25
	s_set_vgpr_msb 1                        ;  msbs: dst=0 src0=1 src1=0 src2=0
	v_pk_mul_f32 v[124:125], v[10:11] /*v[266:267]*/, v[124:125] op_sel_hi:[1,0]
	s_set_vgpr_msb 0                        ;  msbs: dst=0 src0=0 src1=0 src2=0
	v_add_f32_e32 v9, v9, v55
	v_add_f32_e32 v11, v11, v15
	s_set_vgpr_msb 64                       ;  msbs: dst=1 src0=0 src1=0 src2=0
	v_dual_fmac_f32 v19 /*v275*/, v207, v174 :: v_dual_fmac_f32 v21 /*v277*/, v193, v176
	v_dual_fma_f32 v18 /*v274*/, v206, v174, -v27 :: v_dual_fma_f32 v20 /*v276*/, v192, v176, -v13
	s_set_vgpr_msb 0                        ;  msbs: dst=0 src0=0 src1=0 src2=0
	v_add_f32_e32 v133, v9, v57
	v_pk_fma_f32 v[136:137], v[194:195], v[178:179], v[124:125] op_sel_hi:[1,0,1]
	v_add_f32_e32 v132, v11, v17
	v_pk_fma_f32 v[124:125], v[194:195], v[178:179], v[124:125] neg_lo:[0,0,1] neg_hi:[0,0,1]
	v_pk_mul_f32 v[126:127], v[196:197], v[180:181] op_sel:[1,1] op_sel_hi:[0,1]
	s_set_vgpr_msb 1                        ;  msbs: dst=0 src0=1 src1=0 src2=0
	v_pk_mul_f32 v[128:129], v[12:13] /*v[268:269]*/, v[128:129] op_sel_hi:[1,0]
	s_set_vgpr_msb 4                        ;  msbs: dst=0 src0=0 src1=1 src2=0
	v_mov_b32_e32 v125, v137
	v_pk_add_f32 v[132:133], v[132:133], v[18:19] /*v[274:275]*/
	s_wait_loadcnt 0x3
	s_set_vgpr_msb 0                        ;  msbs: dst=0 src0=0 src1=0 src2=0
	v_pk_mul_f32 v[130:131], v[200:201], v[184:185] op_sel:[1,1] op_sel_hi:[0,1]
	v_pk_fma_f32 v[138:139], v[196:197], v[180:181], v[126:127] op_sel_hi:[1,0,1]
	v_pk_fma_f32 v[126:127], v[196:197], v[180:181], v[126:127] neg_lo:[0,0,1] neg_hi:[0,0,1]
	v_mov_b32_e32 v134, v187
	s_set_vgpr_msb 4                        ;  msbs: dst=0 src0=0 src1=1 src2=0
	v_pk_add_f32 v[132:133], v[132:133], v[20:21] /*v[276:277]*/
	s_wait_loadcnt 0x2
	s_set_vgpr_msb 0                        ;  msbs: dst=0 src0=0 src1=0 src2=0
	v_pk_mul_f32 v[136:137], v[208:209], v[188:189] op_sel:[1,1] op_sel_hi:[0,1]
	v_mov_b32_e32 v127, v139
	v_pk_fma_f32 v[138:139], v[198:199], v[182:183], v[128:129] op_sel_hi:[1,0,1]
	v_pk_fma_f32 v[128:129], v[198:199], v[182:183], v[128:129] neg_lo:[0,0,1] neg_hi:[0,0,1]
	v_pk_add_f32 v[124:125], v[132:133], v[124:125]
	v_pk_fma_f32 v[132:133], v[200:201], v[184:185], v[130:131] op_sel_hi:[1,0,1]
	s_set_vgpr_msb 1                        ;  msbs: dst=0 src0=1 src1=0 src2=0
	v_pk_mul_f32 v[134:135], v[14:15] /*v[270:271]*/, v[134:135] op_sel_hi:[1,0]
	s_set_vgpr_msb 0                        ;  msbs: dst=0 src0=0 src1=0 src2=0
	v_mov_b32_e32 v129, v139
	v_pk_fma_f32 v[130:131], v[200:201], v[184:185], v[130:131] neg_lo:[0,0,1] neg_hi:[0,0,1]
	v_pk_add_f32 v[124:125], v[124:125], v[126:127]
	v_dual_mov_b32 v126, v191 :: v_dual_mov_b32 v131, v133
	v_pk_fma_f32 v[132:133], v[202:203], v[186:187], v[134:135] op_sel_hi:[1,0,1]
	v_pk_fma_f32 v[134:135], v[202:203], v[186:187], v[134:135] neg_lo:[0,0,1] neg_hi:[0,0,1]
	s_delay_alu instid0(VALU_DEP_4)
	v_pk_add_f32 v[124:125], v[124:125], v[128:129]
	v_pk_fma_f32 v[128:129], v[208:209], v[188:189], v[136:137] op_sel_hi:[1,0,1]
	s_set_vgpr_msb 1                        ;  msbs: dst=0 src0=1 src1=0 src2=0
	v_pk_mul_f32 v[126:127], v[16:17] /*v[272:273]*/, v[126:127] op_sel_hi:[1,0]
	s_set_vgpr_msb 0                        ;  msbs: dst=0 src0=0 src1=0 src2=0
	v_mov_b32_e32 v135, v133
	s_wait_loadcnt_dscnt 0x100
	s_set_vgpr_msb 5                        ;  msbs: dst=0 src0=1 src1=1 src2=0
	v_pk_mul_f32 v[132:133], v[8:9] /*v[264:265]*/, v[4:5] /*v[260:261]*/ op_sel:[1,1] op_sel_hi:[0,1]
	s_set_vgpr_msb 0                        ;  msbs: dst=0 src0=0 src1=0 src2=0
	v_pk_add_f32 v[124:125], v[124:125], v[130:131]
	v_pk_fma_f32 v[130:131], v[208:209], v[188:189], v[136:137] neg_lo:[0,0,1] neg_hi:[0,0,1]
	v_mov_b32_e32 v131, v129
	v_pk_fma_f32 v[128:129], v[210:211], v[190:191], v[126:127] op_sel_hi:[1,0,1]
	v_pk_fma_f32 v[126:127], v[210:211], v[190:191], v[126:127] neg_lo:[0,0,1] neg_hi:[0,0,1]
	v_pk_add_f32 v[124:125], v[124:125], v[134:135]
	s_delay_alu instid0(VALU_DEP_3)
	v_mov_b32_e32 v127, v129
	s_set_vgpr_msb 5                        ;  msbs: dst=0 src0=1 src1=1 src2=0
	v_pk_fma_f32 v[128:129], v[8:9] /*v[264:265]*/, v[4:5] /*v[260:261]*/, v[132:133] op_sel_hi:[1,0,1]
	s_set_vgpr_msb 0                        ;  msbs: dst=0 src0=0 src1=0 src2=0
	v_pk_add_f32 v[124:125], v[124:125], v[130:131]
	s_set_vgpr_msb 5                        ;  msbs: dst=0 src0=1 src1=1 src2=0
	v_pk_fma_f32 v[130:131], v[8:9] /*v[264:265]*/, v[4:5] /*v[260:261]*/, v[132:133] neg_lo:[0,0,1] neg_hi:[0,0,1]
	s_set_vgpr_msb 0                        ;  msbs: dst=0 src0=0 src1=0 src2=0
	v_mov_b32_e32 v131, v129
	v_pk_add_f32 v[124:125], v[124:125], v[126:127]
	s_delay_alu instid0(VALU_DEP_1) | instskip(SKIP_2) | instid1(VALU_DEP_1)
	v_pk_add_f32 v[124:125], v[124:125], v[130:131]
	s_wait_loadcnt 0x0
	s_set_vgpr_msb 1                        ;  msbs: dst=0 src0=1 src1=0 src2=0
	v_pk_add_f32 v[124:125], v[6:7] /*v[262:263]*/, v[124:125] neg_lo:[0,1] neg_hi:[0,1]
	scratch_store_b64 off, v[124:125], off offset:200
	s_wait_xcnt 0x0
	v_cmpx_lt_u32_e32 24, v0
	s_set_vgpr_msb 0                        ;  msbs: dst=0 src0=0 src1=0 src2=0
	s_cbranch_execz .LBB60_331
; %bb.330:
	scratch_load_b64 v[124:125], off, off offset:192
	v_mov_b64_e32 v[126:127], 0
	scratch_store_b64 off, v[126:127], off offset:192
	s_wait_loadcnt 0x0
	ds_store_b64 v1, v[124:125]
.LBB60_331:
	s_wait_xcnt 0x0
	s_or_b32 exec_lo, exec_lo, s0
	s_wait_storecnt_dscnt 0x0
	s_barrier_signal -1
	s_barrier_wait -1
	s_clause 0x13
	scratch_load_b128 v[124:127], off, off offset:200
	scratch_load_b128 v[128:131], off, off offset:216
	;; [unrolled: 1-line block ×18, first 2 shown]
	s_set_vgpr_msb 64                       ;  msbs: dst=1 src0=0 src1=0 src2=0
	scratch_load_b64 v[12:13] /*v[268:269]*/, off, off offset:192
	s_set_vgpr_msb 0                        ;  msbs: dst=0 src0=0 src1=0 src2=0
	ds_load_2addr_b64 v[196:199], v7 offset0:115 offset1:116
	ds_load_2addr_b64 v[200:203], v7 offset0:117 offset1:118
	;; [unrolled: 1-line block ×15, first 2 shown]
	s_set_vgpr_msb 64                       ;  msbs: dst=1 src0=0 src1=0 src2=0
	ds_load_2addr_b64 v[0:3] /*v[256:259]*/, v7 offset0:109 offset1:110
	ds_load_2addr_b64 v[4:7] /*v[260:263]*/, v7 offset0:111 offset1:112
	ds_load_2addr_b64 v[8:11] /*v[264:267]*/, v7 offset0:113 offset1:114
	s_mov_b32 s0, exec_lo
	s_wait_dscnt 0x11
	v_dual_mov_b32 v14 /*v270*/, v199 :: v_dual_mov_b32 v15 /*v271*/, v198
	s_wait_dscnt 0x10
	v_dual_mov_b32 v16 /*v272*/, v203 :: v_dual_mov_b32 v17 /*v273*/, v202
	;; [unrolled: 2-line block ×4, first 2 shown]
	s_wait_loadcnt_dscnt 0x120d
	s_set_vgpr_msb 0                        ;  msbs: dst=0 src0=0 src1=0 src2=0
	v_dual_mul_f32 v7, v212, v125 :: v_dual_mul_f32 v9, v214, v127
	v_dual_mul_f32 v59, v213, v125 :: v_dual_mul_f32 v61, v215, v127
	s_wait_loadcnt_dscnt 0x110c
	v_dual_mul_f32 v11, v216, v129 :: v_dual_mul_f32 v13, v218, v131
	s_delay_alu instid0(VALU_DEP_3) | instskip(SKIP_3) | instid1(VALU_DEP_3)
	v_dual_fmac_f32 v7, v213, v124 :: v_dual_fmac_f32 v9, v215, v126
	s_wait_loadcnt_dscnt 0xf0a
	v_dual_fma_f32 v59, v212, v124, -v59 :: v_dual_mul_f32 v71, v225, v137
	v_dual_mul_f32 v63, v217, v129 :: v_dual_mul_f32 v65, v219, v131
	v_dual_fma_f32 v61, v214, v126, -v61 :: v_dual_add_f32 v7, 0, v7
	s_delay_alu instid0(VALU_DEP_3) | instskip(SKIP_1) | instid1(VALU_DEP_4)
	v_dual_add_f32 v59, 0, v59 :: v_dual_fmac_f32 v11, v217, v128
	v_dual_mul_f32 v15, v220, v133 :: v_dual_mul_f32 v17, v222, v135
	v_dual_mul_f32 v73, v227, v139 :: v_dual_fma_f32 v63, v216, v128, -v63
	s_delay_alu instid0(VALU_DEP_4) | instskip(NEXT) | instid1(VALU_DEP_3)
	v_add_f32_e32 v7, v7, v9
	v_dual_add_f32 v9, v59, v61 :: v_dual_fmac_f32 v15, v221, v132
	v_dual_mul_f32 v67, v221, v133 :: v_dual_mul_f32 v69, v223, v135
	s_wait_loadcnt_dscnt 0xe09
	v_dual_mul_f32 v59, v229, v141 :: v_dual_fmac_f32 v13, v219, v130
	v_dual_fma_f32 v61, v218, v130, -v65 :: v_dual_add_f32 v7, v7, v11
	s_delay_alu instid0(VALU_DEP_3) | instskip(SKIP_1) | instid1(VALU_DEP_3)
	v_dual_add_f32 v9, v9, v63 :: v_dual_fma_f32 v63, v220, v132, -v67
	v_dual_mul_f32 v19, v224, v137 :: v_dual_mul_f32 v21, v226, v139
	v_add_f32_e32 v7, v7, v13
	s_delay_alu instid0(VALU_DEP_3) | instskip(SKIP_2) | instid1(VALU_DEP_3)
	v_dual_mul_f32 v11, v231, v143 :: v_dual_add_f32 v9, v9, v61
	s_wait_loadcnt_dscnt 0xd08
	v_dual_mul_f32 v13, v233, v145 :: v_dual_fmac_f32 v17, v223, v134
	v_dual_fma_f32 v61, v222, v134, -v69 :: v_dual_add_f32 v7, v7, v15
	s_delay_alu instid0(VALU_DEP_3) | instskip(SKIP_1) | instid1(VALU_DEP_3)
	v_dual_add_f32 v9, v9, v63 :: v_dual_fma_f32 v63, v224, v136, -v71
	v_dual_mul_f32 v15, v235, v147 :: v_dual_fmac_f32 v19, v225, v136
	v_add_f32_e32 v7, v7, v17
	s_delay_alu instid0(VALU_DEP_3)
	v_dual_add_f32 v9, v9, v61 :: v_dual_fmac_f32 v21, v227, v138
	v_dual_mul_f32 v23, v228, v141 :: v_dual_mul_f32 v25, v230, v143
	s_wait_loadcnt_dscnt 0xc07
	v_dual_fma_f32 v61, v226, v138, -v73 :: v_dual_mul_f32 v17, v237, v149
	v_add_f32_e32 v7, v7, v19
	v_dual_add_f32 v9, v9, v63 :: v_dual_fma_f32 v59, v228, v140, -v59
	v_dual_mul_f32 v19, v239, v151 :: v_dual_fmac_f32 v23, v229, v140
	s_delay_alu instid0(VALU_DEP_3) | instskip(NEXT) | instid1(VALU_DEP_3)
	v_dual_add_f32 v7, v7, v21 :: v_dual_fma_f32 v11, v230, v142, -v11
	v_dual_add_f32 v9, v9, v61 :: v_dual_fmac_f32 v25, v231, v142
	v_dual_mul_f32 v27, v232, v145 :: v_dual_mul_f32 v29, v234, v147
	s_wait_loadcnt_dscnt 0xb06
	s_delay_alu instid0(VALU_DEP_3) | instskip(NEXT) | instid1(VALU_DEP_3)
	v_dual_mul_f32 v21, v241, v153 :: v_dual_add_f32 v7, v7, v23
	v_dual_add_f32 v9, v9, v59 :: v_dual_fma_f32 v13, v232, v144, -v13
	s_delay_alu instid0(VALU_DEP_3) | instskip(NEXT) | instid1(VALU_DEP_2)
	v_dual_mul_f32 v23, v243, v155 :: v_dual_fmac_f32 v27, v233, v144
	v_dual_add_f32 v7, v7, v25 :: v_dual_add_f32 v9, v9, v11
	v_dual_mul_f32 v31, v236, v149 :: v_dual_mul_f32 v33, v238, v151
	s_wait_loadcnt_dscnt 0xa05
	v_dual_mul_f32 v11, v245, v157 :: v_dual_fmac_f32 v29, v235, v146
	s_delay_alu instid0(VALU_DEP_3) | instskip(SKIP_2) | instid1(VALU_DEP_2)
	v_dual_fma_f32 v15, v234, v146, -v15 :: v_dual_add_f32 v7, v7, v27
	v_dual_add_f32 v9, v9, v13 :: v_dual_mul_f32 v13, v247, v159
	v_dual_fmac_f32 v31, v237, v148 :: v_dual_fma_f32 v17, v236, v148, -v17
	v_dual_add_f32 v7, v7, v29 :: v_dual_add_f32 v9, v9, v15
	v_dual_mul_f32 v35, v240, v153 :: v_dual_mul_f32 v37, v242, v155
	s_wait_loadcnt_dscnt 0x904
	v_dual_mul_f32 v15, v249, v161 :: v_dual_fmac_f32 v33, v239, v150
	s_delay_alu instid0(VALU_DEP_3) | instskip(SKIP_2) | instid1(VALU_DEP_2)
	v_dual_fma_f32 v19, v238, v150, -v19 :: v_dual_add_f32 v7, v7, v31
	v_dual_add_f32 v9, v9, v17 :: v_dual_mul_f32 v17, v251, v163
	v_dual_fmac_f32 v35, v241, v152 :: v_dual_fma_f32 v21, v240, v152, -v21
	v_dual_add_f32 v7, v7, v33 :: v_dual_add_f32 v9, v9, v19
	v_dual_fma_f32 v23, v242, v154, -v23 :: v_dual_mul_f32 v39, v244, v157
	s_wait_loadcnt_dscnt 0x803
	v_dual_mul_f32 v41, v246, v159 :: v_dual_mul_f32 v19, v253, v165
	s_delay_alu instid0(VALU_DEP_3) | instskip(SKIP_3) | instid1(VALU_DEP_4)
	v_dual_fmac_f32 v37, v243, v154 :: v_dual_add_f32 v9, v9, v21
	v_mul_f32_e32 v21, v255, v167
	v_dual_add_f32 v7, v7, v35 :: v_dual_fma_f32 v11, v244, v156, -v11
	v_fmac_f32_e32 v39, v245, v156
	v_dual_add_f32 v9, v9, v23 :: v_dual_fmac_f32 v41, v247, v158
	s_delay_alu instid0(VALU_DEP_3) | instskip(SKIP_1) | instid1(VALU_DEP_3)
	v_dual_add_f32 v7, v7, v37 :: v_dual_fma_f32 v13, v246, v158, -v13
	v_dual_mul_f32 v43, v248, v161 :: v_dual_mul_f32 v45, v250, v163
	v_add_f32_e32 v9, v9, v11
	s_delay_alu instid0(VALU_DEP_3) | instskip(NEXT) | instid1(VALU_DEP_3)
	v_dual_add_f32 v7, v7, v39 :: v_dual_fma_f32 v15, v248, v160, -v15
	v_dual_fmac_f32 v43, v249, v160 :: v_dual_mul_f32 v47, v252, v165
	s_delay_alu instid0(VALU_DEP_3) | instskip(NEXT) | instid1(VALU_DEP_3)
	v_dual_mul_f32 v49, v254, v167 :: v_dual_add_f32 v9, v9, v13
	v_add_f32_e32 v7, v7, v41
	v_fmac_f32_e32 v45, v251, v162
	v_fma_f32 v17, v250, v162, -v17
	s_wait_loadcnt_dscnt 0x702
	s_set_vgpr_msb 1                        ;  msbs: dst=0 src0=1 src1=0 src2=0
	v_dual_mul_f32 v51, v0 /*v256*/, v169 :: v_dual_mul_f32 v53, v2 /*v258*/, v171
	s_set_vgpr_msb 0                        ;  msbs: dst=0 src0=0 src1=0 src2=0
	v_add_f32_e32 v9, v9, v15
	v_dual_add_f32 v7, v7, v43 :: v_dual_fma_f32 v19, v252, v164, -v19
	s_set_vgpr_msb 1                        ;  msbs: dst=0 src0=1 src1=0 src2=0
	v_dual_mul_f32 v23, v1 /*v257*/, v169 :: v_dual_mul_f32 v11, v3 /*v259*/, v171
	s_set_vgpr_msb 0                        ;  msbs: dst=0 src0=0 src1=0 src2=0
	v_add_f32_e32 v9, v9, v17
	v_dual_fmac_f32 v47, v253, v164 :: v_dual_add_f32 v7, v7, v45
	v_fmac_f32_e32 v49, v255, v166
	s_delay_alu instid0(VALU_DEP_3)
	v_dual_fma_f32 v21, v254, v166, -v21 :: v_dual_add_f32 v9, v9, v19
	s_wait_loadcnt_dscnt 0x601
	s_set_vgpr_msb 1                        ;  msbs: dst=0 src0=1 src1=0 src2=0
	v_dual_mul_f32 v55, v4 /*v260*/, v173 :: v_dual_mul_f32 v57, v6 /*v262*/, v175
	s_set_vgpr_msb 0                        ;  msbs: dst=0 src0=0 src1=0 src2=0
	v_add_f32_e32 v7, v7, v47
	s_set_vgpr_msb 1                        ;  msbs: dst=0 src0=1 src1=0 src2=0
	v_dual_fmac_f32 v51, v1 /*v257*/, v168 :: v_dual_fmac_f32 v53, v3 /*v259*/, v170
	v_dual_fma_f32 v23, v0 /*v256*/, v168, -v23 :: v_dual_fmac_f32 v57, v7 /*v263*/, v174
	s_set_vgpr_msb 0                        ;  msbs: dst=0 src0=0 src1=0 src2=0
	v_add_f32_e32 v9, v9, v21
	s_set_vgpr_msb 1                        ;  msbs: dst=0 src0=1 src1=0 src2=0
	v_dual_mul_f32 v13, v5 /*v261*/, v173 :: v_dual_mul_f32 v15, v7 /*v263*/, v175
	s_set_vgpr_msb 0                        ;  msbs: dst=0 src0=0 src1=0 src2=0
	v_add_f32_e32 v7, v7, v49
	s_set_vgpr_msb 1                        ;  msbs: dst=0 src0=1 src1=0 src2=0
	v_fma_f32 v11, v2 /*v258*/, v170, -v11
	s_set_vgpr_msb 0                        ;  msbs: dst=0 src0=0 src1=0 src2=0
	v_add_f32_e32 v9, v9, v23
	s_set_vgpr_msb 1                        ;  msbs: dst=0 src0=1 src1=0 src2=0
	v_fma_f32 v13, v4 /*v260*/, v172, -v13
	s_wait_loadcnt 0x4
	s_set_vgpr_msb 0                        ;  msbs: dst=0 src0=0 src1=0 src2=0
	v_mov_b32_e32 v126, v183
	v_add_f32_e32 v7, v7, v51
	s_set_vgpr_msb 1                        ;  msbs: dst=0 src0=1 src1=0 src2=0
	v_fmac_f32_e32 v55, v5 /*v261*/, v172
	s_set_vgpr_msb 0                        ;  msbs: dst=0 src0=0 src1=0 src2=0
	v_add_f32_e32 v9, v9, v11
	s_set_vgpr_msb 1                        ;  msbs: dst=0 src0=1 src1=0 src2=0
	v_fma_f32 v11, v6 /*v262*/, v174, -v15
	s_wait_loadcnt 0x3
	s_set_vgpr_msb 0                        ;  msbs: dst=0 src0=0 src1=0 src2=0
	v_mov_b32_e32 v130, v187
	s_wait_dscnt 0x0
	s_set_vgpr_msb 0x41                     ;  msbs: dst=1 src0=1 src1=0 src2=0
	v_dual_mul_f32 v23 /*v279*/, v8 /*v264*/, v177 :: v_dual_mul_f32 v25 /*v281*/, v10 /*v266*/, v179
	s_set_vgpr_msb 0                        ;  msbs: dst=0 src0=0 src1=0 src2=0
	v_add_f32_e32 v9, v9, v13
	v_add_f32_e32 v7, v7, v53
	s_set_vgpr_msb 1                        ;  msbs: dst=0 src0=1 src1=0 src2=0
	v_dual_mul_f32 v17, v9 /*v265*/, v177 :: v_dual_mul_f32 v19, v11 /*v267*/, v179
	s_set_vgpr_msb 0                        ;  msbs: dst=0 src0=0 src1=0 src2=0
	v_pk_mul_f32 v[124:125], v[196:197], v[180:181] op_sel:[1,1] op_sel_hi:[0,1]
	v_add_f32_e32 v132, v9, v11
	v_add_f32_e32 v7, v7, v55
	s_set_vgpr_msb 0x41                     ;  msbs: dst=1 src0=1 src1=0 src2=0
	v_dual_fmac_f32 v23 /*v279*/, v9 /*v265*/, v176 :: v_dual_fmac_f32 v25 /*v281*/, v11 /*v267*/, v178
	v_dual_fma_f32 v22 /*v278*/, v8 /*v264*/, v176, -v17 :: v_dual_fma_f32 v24 /*v280*/, v10 /*v266*/, v178, -v19
	s_set_vgpr_msb 0                        ;  msbs: dst=0 src0=0 src1=0 src2=0
	v_add_f32_e32 v133, v7, v57
	v_pk_fma_f32 v[134:135], v[196:197], v[180:181], v[124:125] op_sel_hi:[1,0,1]
	s_set_vgpr_msb 1                        ;  msbs: dst=0 src0=1 src1=0 src2=0
	v_pk_mul_f32 v[126:127], v[14:15] /*v[270:271]*/, v[126:127] op_sel_hi:[1,0]
	s_set_vgpr_msb 0                        ;  msbs: dst=0 src0=0 src1=0 src2=0
	v_pk_fma_f32 v[124:125], v[196:197], v[180:181], v[124:125] neg_lo:[0,0,1] neg_hi:[0,0,1]
	v_pk_mul_f32 v[128:129], v[200:201], v[184:185] op_sel:[1,1] op_sel_hi:[0,1]
	s_set_vgpr_msb 4                        ;  msbs: dst=0 src0=0 src1=1 src2=0
	v_pk_add_f32 v[132:133], v[132:133], v[22:23] /*v[278:279]*/
	v_mov_b32_e32 v125, v135
	s_set_vgpr_msb 0                        ;  msbs: dst=0 src0=0 src1=0 src2=0
	v_pk_fma_f32 v[134:135], v[198:199], v[182:183], v[126:127] op_sel_hi:[1,0,1]
	v_pk_fma_f32 v[126:127], v[198:199], v[182:183], v[126:127] neg_lo:[0,0,1] neg_hi:[0,0,1]
	v_pk_fma_f32 v[138:139], v[200:201], v[184:185], v[128:129] op_sel_hi:[1,0,1]
	s_set_vgpr_msb 4                        ;  msbs: dst=0 src0=0 src1=1 src2=0
	v_pk_add_f32 v[132:133], v[132:133], v[24:25] /*v[280:281]*/
	s_set_vgpr_msb 1                        ;  msbs: dst=0 src0=1 src1=0 src2=0
	v_pk_mul_f32 v[130:131], v[16:17] /*v[272:273]*/, v[130:131] op_sel_hi:[1,0]
	s_set_vgpr_msb 0                        ;  msbs: dst=0 src0=0 src1=0 src2=0
	v_mov_b32_e32 v127, v135
	s_wait_loadcnt 0x2
	v_pk_mul_f32 v[136:137], v[204:205], v[188:189] op_sel:[1,1] op_sel_hi:[0,1]
	v_pk_fma_f32 v[128:129], v[200:201], v[184:185], v[128:129] neg_lo:[0,0,1] neg_hi:[0,0,1]
	v_pk_add_f32 v[124:125], v[132:133], v[124:125]
	v_dual_mov_b32 v132, v191 :: v_dual_mov_b32 v129, v139
	v_pk_fma_f32 v[134:135], v[202:203], v[186:187], v[130:131] op_sel_hi:[1,0,1]
	v_pk_fma_f32 v[130:131], v[202:203], v[186:187], v[130:131] neg_lo:[0,0,1] neg_hi:[0,0,1]
	s_delay_alu instid0(VALU_DEP_4)
	v_pk_add_f32 v[124:125], v[124:125], v[126:127]
	v_pk_fma_f32 v[126:127], v[204:205], v[188:189], v[136:137] op_sel_hi:[1,0,1]
	s_set_vgpr_msb 1                        ;  msbs: dst=0 src0=1 src1=0 src2=0
	v_pk_mul_f32 v[132:133], v[18:19] /*v[274:275]*/, v[132:133] op_sel_hi:[1,0]
	s_set_vgpr_msb 0                        ;  msbs: dst=0 src0=0 src1=0 src2=0
	v_mov_b32_e32 v131, v135
	v_pk_fma_f32 v[134:135], v[204:205], v[188:189], v[136:137] neg_lo:[0,0,1] neg_hi:[0,0,1]
	v_pk_add_f32 v[124:125], v[124:125], v[128:129]
	v_mov_b32_e32 v135, v127
	v_pk_fma_f32 v[126:127], v[206:207], v[190:191], v[132:133] op_sel_hi:[1,0,1]
	s_wait_loadcnt 0x1
	v_pk_mul_f32 v[128:129], v[208:209], v[192:193] op_sel:[1,1] op_sel_hi:[0,1]
	v_mov_b32_e32 v126, v195
	v_pk_add_f32 v[124:125], v[124:125], v[130:131]
	v_pk_fma_f32 v[132:133], v[206:207], v[190:191], v[132:133] neg_lo:[0,0,1] neg_hi:[0,0,1]
	v_mov_b32_e32 v133, v127
	v_pk_fma_f32 v[130:131], v[208:209], v[192:193], v[128:129] op_sel_hi:[1,0,1]
	s_set_vgpr_msb 1                        ;  msbs: dst=0 src0=1 src1=0 src2=0
	v_pk_mul_f32 v[126:127], v[20:21] /*v[276:277]*/, v[126:127] op_sel_hi:[1,0]
	s_set_vgpr_msb 0                        ;  msbs: dst=0 src0=0 src1=0 src2=0
	v_pk_add_f32 v[124:125], v[124:125], v[134:135]
	v_pk_fma_f32 v[128:129], v[208:209], v[192:193], v[128:129] neg_lo:[0,0,1] neg_hi:[0,0,1]
	v_mov_b32_e32 v129, v131
	v_pk_fma_f32 v[130:131], v[210:211], v[194:195], v[126:127] op_sel_hi:[1,0,1]
	s_delay_alu instid0(VALU_DEP_4) | instskip(SKIP_1) | instid1(VALU_DEP_3)
	v_pk_add_f32 v[124:125], v[124:125], v[132:133]
	v_pk_fma_f32 v[126:127], v[210:211], v[194:195], v[126:127] neg_lo:[0,0,1] neg_hi:[0,0,1]
	v_mov_b32_e32 v127, v131
	s_delay_alu instid0(VALU_DEP_3) | instskip(NEXT) | instid1(VALU_DEP_1)
	v_pk_add_f32 v[124:125], v[124:125], v[128:129]
	v_pk_add_f32 v[124:125], v[124:125], v[126:127]
	s_wait_loadcnt 0x0
	s_set_vgpr_msb 1                        ;  msbs: dst=0 src0=1 src1=0 src2=0
	s_delay_alu instid0(VALU_DEP_1)
	v_pk_add_f32 v[124:125], v[12:13] /*v[268:269]*/, v[124:125] neg_lo:[0,1] neg_hi:[0,1]
	scratch_store_b64 off, v[124:125], off offset:192
	s_wait_xcnt 0x0
	v_cmpx_lt_u32_e32 23, v0
	s_set_vgpr_msb 0                        ;  msbs: dst=0 src0=0 src1=0 src2=0
	s_cbranch_execz .LBB60_333
; %bb.332:
	scratch_load_b64 v[124:125], off, off offset:184
	v_mov_b64_e32 v[126:127], 0
	scratch_store_b64 off, v[126:127], off offset:184
	s_wait_loadcnt 0x0
	ds_store_b64 v1, v[124:125]
.LBB60_333:
	s_wait_xcnt 0x0
	s_or_b32 exec_lo, exec_lo, s0
	s_wait_storecnt_dscnt 0x0
	s_barrier_signal -1
	s_barrier_wait -1
	s_clause 0x14
	scratch_load_b128 v[124:127], off, off offset:192
	scratch_load_b128 v[128:131], off, off offset:208
	;; [unrolled: 1-line block ×18, first 2 shown]
	s_set_vgpr_msb 64                       ;  msbs: dst=1 src0=0 src1=0 src2=0
	scratch_load_b64 v[12:13] /*v[268:269]*/, off, off offset:480
	scratch_load_b64 v[14:15] /*v[270:271]*/, off, off offset:184
	s_set_vgpr_msb 0                        ;  msbs: dst=0 src0=0 src1=0 src2=0
	v_mov_b32_e32 v7, 0
	ds_load_b128 v[196:199], v7 offset:912
	ds_load_b128 v[200:203], v7 offset:928
	;; [unrolled: 1-line block ×15, first 2 shown]
	s_set_vgpr_msb 64                       ;  msbs: dst=1 src0=0 src1=0 src2=0
	ds_load_b128 v[0:3] /*v[256:259]*/, v7 offset:864
	ds_load_b128 v[4:7] /*v[260:263]*/, v7 offset:880
	;; [unrolled: 1-line block ×3, first 2 shown]
	ds_load_b64 v[16:17] /*v[272:273]*/, v7 offset:976
	s_mov_b32 s0, exec_lo
	s_wait_dscnt 0x12
	v_dual_mov_b32 v18 /*v274*/, v199 :: v_dual_mov_b32 v19 /*v275*/, v198
	s_wait_dscnt 0x11
	v_dual_mov_b32 v20 /*v276*/, v203 :: v_dual_mov_b32 v21 /*v277*/, v202
	;; [unrolled: 2-line block ×4, first 2 shown]
	s_wait_loadcnt 0x13
	s_set_vgpr_msb 0                        ;  msbs: dst=0 src0=0 src1=0 src2=0
	v_dual_mul_f32 v9, v208, v125 :: v_dual_mul_f32 v11, v210, v127
	s_wait_loadcnt 0x12
	v_dual_mul_f32 v13, v212, v129 :: v_dual_mul_f32 v65, v211, v127
	s_wait_loadcnt_dscnt 0x100b
	v_dual_mul_f32 v67, v213, v129 :: v_dual_mul_f32 v77, v227, v139
	v_dual_mul_f32 v63, v209, v125 :: v_dual_fmac_f32 v9, v209, v124
	s_delay_alu instid0(VALU_DEP_3) | instskip(SKIP_2) | instid1(VALU_DEP_3)
	v_fma_f32 v65, v210, v126, -v65
	v_dual_mul_f32 v15, v214, v131 :: v_dual_mul_f32 v17, v220, v133
	s_wait_loadcnt_dscnt 0x904
	v_dual_mul_f32 v51, v254, v167 :: v_dual_fma_f32 v63, v208, v124, -v63
	s_wait_loadcnt_dscnt 0x601
	s_set_vgpr_msb 1                        ;  msbs: dst=0 src0=1 src1=0 src2=0
	v_mul_f32_e32 v61, v8 /*v264*/, v177
	s_set_vgpr_msb 0                        ;  msbs: dst=0 src0=0 src1=0 src2=0
	v_dual_fmac_f32 v11, v211, v126 :: v_dual_add_f32 v9, 0, v9
	v_dual_mul_f32 v69, v215, v131 :: v_dual_mul_f32 v71, v221, v133
	v_dual_add_f32 v63, 0, v63 :: v_dual_mul_f32 v79, v229, v141
	v_dual_fma_f32 v67, v212, v128, -v67 :: v_dual_fmac_f32 v13, v213, v128
	s_delay_alu instid0(VALU_DEP_4) | instskip(NEXT) | instid1(VALU_DEP_3)
	v_dual_add_f32 v9, v9, v11 :: v_dual_fmac_f32 v15, v215, v130
	v_add_f32_e32 v11, v63, v65
	v_dual_mul_f32 v63, v231, v143 :: v_dual_fma_f32 v65, v214, v130, -v69
	s_delay_alu instid0(VALU_DEP_3) | instskip(NEXT) | instid1(VALU_DEP_3)
	v_dual_add_f32 v9, v9, v13 :: v_dual_mul_f32 v19, v222, v135
	v_dual_mul_f32 v21, v224, v137 :: v_dual_add_f32 v11, v11, v67
	v_dual_mul_f32 v73, v223, v135 :: v_dual_mul_f32 v75, v225, v137
	v_dual_mul_f32 v13, v233, v145 :: v_dual_fma_f32 v67, v220, v132, -v71
	s_delay_alu instid0(VALU_DEP_3) | instskip(SKIP_1) | instid1(VALU_DEP_4)
	v_dual_fmac_f32 v17, v221, v132 :: v_dual_add_f32 v11, v11, v65
	v_dual_add_f32 v9, v9, v15 :: v_dual_fmac_f32 v19, v223, v134
	v_dual_mul_f32 v15, v235, v147 :: v_dual_fma_f32 v65, v222, v134, -v73
	s_delay_alu instid0(VALU_DEP_2) | instskip(SKIP_2) | instid1(VALU_DEP_3)
	v_dual_add_f32 v11, v11, v67 :: v_dual_add_f32 v9, v9, v17
	v_dual_mul_f32 v23, v226, v139 :: v_dual_mul_f32 v25, v228, v141
	v_dual_mul_f32 v17, v237, v149 :: v_dual_fma_f32 v67, v224, v136, -v75
	v_dual_fmac_f32 v21, v225, v136 :: v_dual_add_f32 v11, v11, v65
	s_delay_alu instid0(VALU_DEP_3) | instskip(SKIP_1) | instid1(VALU_DEP_2)
	v_dual_add_f32 v9, v9, v19 :: v_dual_fmac_f32 v23, v227, v138
	v_dual_mul_f32 v19, v239, v151 :: v_dual_fma_f32 v65, v226, v138, -v77
	v_dual_add_f32 v11, v11, v67 :: v_dual_add_f32 v9, v9, v21
	v_dual_mul_f32 v27, v230, v143 :: v_dual_mul_f32 v29, v232, v145
	v_dual_mul_f32 v21, v241, v153 :: v_dual_fma_f32 v67, v228, v140, -v79
	s_delay_alu instid0(VALU_DEP_3) | instskip(NEXT) | instid1(VALU_DEP_3)
	v_dual_fmac_f32 v25, v229, v140 :: v_dual_add_f32 v11, v11, v65
	v_dual_add_f32 v9, v9, v23 :: v_dual_fmac_f32 v27, v231, v142
	v_dual_mul_f32 v23, v243, v155 :: v_dual_fma_f32 v63, v230, v142, -v63
	s_delay_alu instid0(VALU_DEP_2) | instskip(SKIP_2) | instid1(VALU_DEP_3)
	v_dual_add_f32 v11, v11, v67 :: v_dual_add_f32 v9, v9, v25
	v_dual_mul_f32 v31, v234, v147 :: v_dual_mul_f32 v33, v236, v149
	v_dual_mul_f32 v25, v245, v157 :: v_dual_fma_f32 v13, v232, v144, -v13
	v_dual_fmac_f32 v29, v233, v144 :: v_dual_add_f32 v11, v11, v63
	s_delay_alu instid0(VALU_DEP_3) | instskip(SKIP_1) | instid1(VALU_DEP_3)
	v_dual_add_f32 v9, v9, v27 :: v_dual_fmac_f32 v31, v235, v146
	v_dual_mul_f32 v27, v247, v159 :: v_dual_fma_f32 v15, v234, v146, -v15
	v_dual_add_f32 v11, v11, v13 :: v_dual_fmac_f32 v33, v237, v148
	s_delay_alu instid0(VALU_DEP_3) | instskip(SKIP_1) | instid1(VALU_DEP_3)
	v_dual_add_f32 v9, v9, v29 :: v_dual_fma_f32 v17, v236, v148, -v17
	v_dual_mul_f32 v35, v238, v151 :: v_dual_mul_f32 v37, v240, v153
	v_dual_mul_f32 v13, v249, v161 :: v_dual_add_f32 v11, v11, v15
	s_delay_alu instid0(VALU_DEP_2) | instskip(SKIP_1) | instid1(VALU_DEP_3)
	v_dual_add_f32 v9, v9, v31 :: v_dual_fmac_f32 v35, v239, v150
	v_dual_mul_f32 v15, v251, v163 :: v_dual_fma_f32 v19, v238, v150, -v19
	v_dual_add_f32 v11, v11, v17 :: v_dual_fmac_f32 v37, v241, v152
	s_delay_alu instid0(VALU_DEP_3) | instskip(SKIP_1) | instid1(VALU_DEP_3)
	v_dual_add_f32 v9, v9, v33 :: v_dual_fma_f32 v21, v240, v152, -v21
	v_dual_mul_f32 v39, v242, v155 :: v_dual_mul_f32 v41, v244, v157
	v_dual_mul_f32 v17, v253, v165 :: v_dual_add_f32 v11, v11, v19
	s_delay_alu instid0(VALU_DEP_2) | instskip(SKIP_1) | instid1(VALU_DEP_3)
	v_dual_add_f32 v9, v9, v35 :: v_dual_fmac_f32 v39, v243, v154
	v_dual_mul_f32 v19, v255, v167 :: v_dual_fma_f32 v23, v242, v154, -v23
	v_dual_add_f32 v11, v11, v21 :: v_dual_fmac_f32 v41, v245, v156
	s_delay_alu instid0(VALU_DEP_3) | instskip(SKIP_1) | instid1(VALU_DEP_3)
	v_dual_add_f32 v9, v9, v37 :: v_dual_fma_f32 v25, v244, v156, -v25
	v_dual_mul_f32 v43, v246, v159 :: v_dual_mul_f32 v45, v248, v161
	v_dual_add_f32 v11, v11, v23 :: v_dual_fma_f32 v27, v246, v158, -v27
	s_delay_alu instid0(VALU_DEP_2) | instskip(SKIP_1) | instid1(VALU_DEP_3)
	v_dual_add_f32 v9, v9, v39 :: v_dual_fmac_f32 v43, v247, v158
	v_dual_mul_f32 v47, v250, v163 :: v_dual_mul_f32 v49, v252, v165
	v_dual_add_f32 v11, v11, v25 :: v_dual_fmac_f32 v45, v249, v160
	s_delay_alu instid0(VALU_DEP_3) | instskip(NEXT) | instid1(VALU_DEP_3)
	v_dual_add_f32 v9, v9, v41 :: v_dual_fma_f32 v13, v248, v160, -v13
	v_fmac_f32_e32 v47, v251, v162
	s_delay_alu instid0(VALU_DEP_3) | instskip(NEXT) | instid1(VALU_DEP_3)
	v_dual_add_f32 v11, v11, v27 :: v_dual_fma_f32 v15, v250, v162, -v15
	v_add_f32_e32 v9, v9, v43
	v_fmac_f32_e32 v49, v253, v164
	s_delay_alu instid0(VALU_DEP_3)
	v_dual_fma_f32 v17, v252, v164, -v17 :: v_dual_add_f32 v11, v11, v13
	s_set_vgpr_msb 1                        ;  msbs: dst=0 src0=1 src1=0 src2=0
	v_dual_mul_f32 v53, v0 /*v256*/, v169 :: v_dual_mul_f32 v55, v2 /*v258*/, v171
	s_set_vgpr_msb 0                        ;  msbs: dst=0 src0=0 src1=0 src2=0
	v_add_f32_e32 v9, v9, v45
	s_set_vgpr_msb 1                        ;  msbs: dst=0 src0=1 src1=0 src2=0
	v_dual_mul_f32 v21, v1 /*v257*/, v169 :: v_dual_mul_f32 v23, v3 /*v259*/, v171
	s_set_vgpr_msb 0                        ;  msbs: dst=0 src0=0 src1=0 src2=0
	v_dual_add_f32 v11, v11, v15 :: v_dual_fma_f32 v19, v254, v166, -v19
	v_dual_add_f32 v9, v9, v47 :: v_dual_fmac_f32 v51, v255, v166
	s_set_vgpr_msb 1                        ;  msbs: dst=0 src0=1 src1=0 src2=0
	v_dual_fmac_f32 v53, v1 /*v257*/, v168 :: v_dual_fmac_f32 v55, v3 /*v259*/, v170
	s_set_vgpr_msb 0                        ;  msbs: dst=0 src0=0 src1=0 src2=0
	v_add_f32_e32 v11, v11, v17
	v_add_f32_e32 v9, v9, v49
	s_set_vgpr_msb 1                        ;  msbs: dst=0 src0=1 src1=0 src2=0
	v_fma_f32 v21, v0 /*v256*/, v168, -v21
	v_dual_mul_f32 v57, v4 /*v260*/, v173 :: v_dual_mul_f32 v59, v6 /*v262*/, v175
	s_set_vgpr_msb 0                        ;  msbs: dst=0 src0=0 src1=0 src2=0
	v_add_f32_e32 v11, v11, v19
	v_add_f32_e32 v9, v9, v51
	s_set_vgpr_msb 1                        ;  msbs: dst=0 src0=1 src1=0 src2=0
	v_dual_mul_f32 v25, v5 /*v261*/, v173 :: v_dual_mul_f32 v27, v7 /*v263*/, v175
	v_fma_f32 v19, v2 /*v258*/, v170, -v23
	s_set_vgpr_msb 0                        ;  msbs: dst=0 src0=0 src1=0 src2=0
	v_add_f32_e32 v11, v11, v21
	v_add_f32_e32 v9, v9, v53
	s_set_vgpr_msb 1                        ;  msbs: dst=0 src0=1 src1=0 src2=0
	v_dual_fmac_f32 v57, v5 /*v261*/, v172 :: v_dual_fmac_f32 v59, v7 /*v263*/, v174
	v_fma_f32 v21, v4 /*v260*/, v172, -v25
	s_set_vgpr_msb 0                        ;  msbs: dst=0 src0=0 src1=0 src2=0
	v_add_f32_e32 v11, v11, v19
	v_add_f32_e32 v9, v9, v55
	s_set_vgpr_msb 1                        ;  msbs: dst=0 src0=1 src1=0 src2=0
	v_dual_mul_f32 v13, v9 /*v265*/, v177 :: v_dual_mul_f32 v15, v11 /*v267*/, v179
	s_wait_loadcnt 0x5
	s_set_vgpr_msb 0                        ;  msbs: dst=0 src0=0 src1=0 src2=0
	v_dual_mul_f32 v17, v197, v181 :: v_dual_mov_b32 v124, v183
	s_wait_loadcnt 0x4
	v_dual_mov_b32 v128, v187 :: v_dual_add_f32 v9, v9, v57
	s_set_vgpr_msb 1                        ;  msbs: dst=0 src0=1 src1=0 src2=0
	v_fma_f32 v19, v6 /*v262*/, v174, -v27
	s_set_vgpr_msb 0                        ;  msbs: dst=0 src0=0 src1=0 src2=0
	v_add_f32_e32 v11, v11, v21
	s_set_vgpr_msb 0x41                     ;  msbs: dst=1 src0=1 src1=0 src2=0
	v_dual_mul_f32 v27 /*v283*/, v10 /*v266*/, v179 :: v_dual_fma_f32 v26 /*v282*/, v10 /*v266*/, v178, -v15
	s_set_vgpr_msb 1                        ;  msbs: dst=0 src0=1 src1=0 src2=0
	v_fmac_f32_e32 v61, v9 /*v265*/, v176
	v_fma_f32 v13, v8 /*v264*/, v176, -v13
	s_set_vgpr_msb 0                        ;  msbs: dst=0 src0=0 src1=0 src2=0
	v_add_f32_e32 v9, v9, v59
	v_add_f32_e32 v11, v11, v19
	s_set_vgpr_msb 1                        ;  msbs: dst=0 src0=1 src1=0 src2=0
	v_pk_mul_f32 v[124:125], v[18:19] /*v[274:275]*/, v[124:125] op_sel_hi:[1,0]
	s_set_vgpr_msb 64                       ;  msbs: dst=1 src0=0 src1=0 src2=0
	v_dual_mul_f32 v29 /*v285*/, v196, v181 :: v_dual_fma_f32 v28 /*v284*/, v196, v180, -v17
	s_set_vgpr_msb 0x41                     ;  msbs: dst=1 src0=1 src1=0 src2=0
	v_fmac_f32_e32 v27 /*v283*/, v11 /*v267*/, v178
	s_set_vgpr_msb 0                        ;  msbs: dst=0 src0=0 src1=0 src2=0
	v_add_f32_e32 v133, v9, v61
	v_pk_fma_f32 v[136:137], v[198:199], v[182:183], v[124:125] op_sel_hi:[1,0,1]
	v_add_f32_e32 v132, v11, v13
	v_pk_fma_f32 v[124:125], v[198:199], v[182:183], v[124:125] neg_lo:[0,0,1] neg_hi:[0,0,1]
	v_pk_mul_f32 v[126:127], v[200:201], v[184:185] op_sel:[1,1] op_sel_hi:[0,1]
	s_set_vgpr_msb 64                       ;  msbs: dst=1 src0=0 src1=0 src2=0
	v_fmac_f32_e32 v29 /*v285*/, v197, v180
	s_set_vgpr_msb 4                        ;  msbs: dst=0 src0=0 src1=1 src2=0
	v_mov_b32_e32 v125, v137
	v_pk_add_f32 v[132:133], v[132:133], v[26:27] /*v[282:283]*/
	s_set_vgpr_msb 1                        ;  msbs: dst=0 src0=1 src1=0 src2=0
	v_pk_mul_f32 v[128:129], v[20:21] /*v[276:277]*/, v[128:129] op_sel_hi:[1,0]
	s_set_vgpr_msb 0                        ;  msbs: dst=0 src0=0 src1=0 src2=0
	v_pk_fma_f32 v[138:139], v[200:201], v[184:185], v[126:127] op_sel_hi:[1,0,1]
	v_pk_fma_f32 v[126:127], v[200:201], v[184:185], v[126:127] neg_lo:[0,0,1] neg_hi:[0,0,1]
	s_wait_loadcnt 0x3
	v_pk_mul_f32 v[130:131], v[204:205], v[188:189] op_sel:[1,1] op_sel_hi:[0,1]
	s_set_vgpr_msb 4                        ;  msbs: dst=0 src0=0 src1=1 src2=0
	v_pk_add_f32 v[132:133], v[132:133], v[28:29] /*v[284:285]*/
	v_dual_mov_b32 v134, v191 :: v_dual_mov_b32 v127, v139
	s_set_vgpr_msb 0                        ;  msbs: dst=0 src0=0 src1=0 src2=0
	v_pk_fma_f32 v[138:139], v[202:203], v[186:187], v[128:129] op_sel_hi:[1,0,1]
	v_pk_fma_f32 v[128:129], v[202:203], v[186:187], v[128:129] neg_lo:[0,0,1] neg_hi:[0,0,1]
	v_pk_add_f32 v[124:125], v[132:133], v[124:125]
	v_pk_fma_f32 v[132:133], v[204:205], v[188:189], v[130:131] op_sel_hi:[1,0,1]
	s_set_vgpr_msb 1                        ;  msbs: dst=0 src0=1 src1=0 src2=0
	v_pk_mul_f32 v[134:135], v[22:23] /*v[278:279]*/, v[134:135] op_sel_hi:[1,0]
	s_set_vgpr_msb 0                        ;  msbs: dst=0 src0=0 src1=0 src2=0
	v_mov_b32_e32 v129, v139
	v_pk_fma_f32 v[130:131], v[204:205], v[188:189], v[130:131] neg_lo:[0,0,1] neg_hi:[0,0,1]
	v_pk_add_f32 v[124:125], v[124:125], v[126:127]
	s_wait_loadcnt 0x2
	v_pk_mul_f32 v[136:137], v[216:217], v[192:193] op_sel:[1,1] op_sel_hi:[0,1]
	v_dual_mov_b32 v126, v195 :: v_dual_mov_b32 v131, v133
	v_pk_fma_f32 v[132:133], v[206:207], v[190:191], v[134:135] op_sel_hi:[1,0,1]
	v_pk_add_f32 v[124:125], v[124:125], v[128:129]
	v_pk_fma_f32 v[134:135], v[206:207], v[190:191], v[134:135] neg_lo:[0,0,1] neg_hi:[0,0,1]
	v_pk_fma_f32 v[128:129], v[216:217], v[192:193], v[136:137] op_sel_hi:[1,0,1]
	s_set_vgpr_msb 1                        ;  msbs: dst=0 src0=1 src1=0 src2=0
	v_pk_mul_f32 v[126:127], v[24:25] /*v[280:281]*/, v[126:127] op_sel_hi:[1,0]
	s_set_vgpr_msb 0                        ;  msbs: dst=0 src0=0 src1=0 src2=0
	v_mov_b32_e32 v135, v133
	v_pk_add_f32 v[124:125], v[124:125], v[130:131]
	v_pk_fma_f32 v[130:131], v[216:217], v[192:193], v[136:137] neg_lo:[0,0,1] neg_hi:[0,0,1]
	v_mov_b32_e32 v131, v129
	v_pk_fma_f32 v[128:129], v[218:219], v[194:195], v[126:127] op_sel_hi:[1,0,1]
	s_wait_loadcnt_dscnt 0x100
	s_set_vgpr_msb 5                        ;  msbs: dst=0 src0=1 src1=1 src2=0
	v_pk_mul_f32 v[132:133], v[16:17] /*v[272:273]*/, v[12:13] /*v[268:269]*/ op_sel:[1,1] op_sel_hi:[0,1]
	s_set_vgpr_msb 0                        ;  msbs: dst=0 src0=0 src1=0 src2=0
	v_pk_add_f32 v[124:125], v[124:125], v[134:135]
	v_pk_fma_f32 v[126:127], v[218:219], v[194:195], v[126:127] neg_lo:[0,0,1] neg_hi:[0,0,1]
	v_mov_b32_e32 v127, v129
	s_set_vgpr_msb 5                        ;  msbs: dst=0 src0=1 src1=1 src2=0
	v_pk_fma_f32 v[128:129], v[16:17] /*v[272:273]*/, v[12:13] /*v[268:269]*/, v[132:133] op_sel_hi:[1,0,1]
	s_set_vgpr_msb 0                        ;  msbs: dst=0 src0=0 src1=0 src2=0
	v_pk_add_f32 v[124:125], v[124:125], v[130:131]
	s_set_vgpr_msb 5                        ;  msbs: dst=0 src0=1 src1=1 src2=0
	v_pk_fma_f32 v[130:131], v[16:17] /*v[272:273]*/, v[12:13] /*v[268:269]*/, v[132:133] neg_lo:[0,0,1] neg_hi:[0,0,1]
	s_set_vgpr_msb 0                        ;  msbs: dst=0 src0=0 src1=0 src2=0
	v_mov_b32_e32 v131, v129
	v_pk_add_f32 v[124:125], v[124:125], v[126:127]
	s_delay_alu instid0(VALU_DEP_1) | instskip(SKIP_2) | instid1(VALU_DEP_1)
	v_pk_add_f32 v[124:125], v[124:125], v[130:131]
	s_wait_loadcnt 0x0
	s_set_vgpr_msb 1                        ;  msbs: dst=0 src0=1 src1=0 src2=0
	v_pk_add_f32 v[124:125], v[14:15] /*v[270:271]*/, v[124:125] neg_lo:[0,1] neg_hi:[0,1]
	scratch_store_b64 off, v[124:125], off offset:184
	s_wait_xcnt 0x0
	v_cmpx_lt_u32_e32 22, v0
	s_set_vgpr_msb 0                        ;  msbs: dst=0 src0=0 src1=0 src2=0
	s_cbranch_execz .LBB60_335
; %bb.334:
	scratch_load_b64 v[124:125], off, off offset:176
	v_mov_b64_e32 v[126:127], 0
	scratch_store_b64 off, v[126:127], off offset:176
	s_wait_loadcnt 0x0
	ds_store_b64 v1, v[124:125]
.LBB60_335:
	s_wait_xcnt 0x0
	s_or_b32 exec_lo, exec_lo, s0
	s_wait_storecnt_dscnt 0x0
	s_barrier_signal -1
	s_barrier_wait -1
	s_clause 0xd
	scratch_load_b128 v[128:131], off, off offset:184
	scratch_load_b128 v[136:139], off, off offset:200
	;; [unrolled: 1-line block ×14, first 2 shown]
	ds_load_2addr_b64 v[124:127], v7 offset0:85 offset1:86
	ds_load_2addr_b64 v[132:135], v7 offset0:87 offset1:88
	;; [unrolled: 1-line block ×7, first 2 shown]
	scratch_load_b128 v[240:243], off, off offset:408
	ds_load_2addr_b64 v[172:175], v7 offset0:97 offset1:98
	ds_load_2addr_b64 v[180:183], v7 offset0:99 offset1:100
	;; [unrolled: 1-line block ×8, first 2 shown]
	s_clause 0x4
	scratch_load_b128 v[244:247], off, off offset:424
	scratch_load_b128 v[248:251], off, off offset:440
	;; [unrolled: 1-line block ×3, first 2 shown]
	s_set_vgpr_msb 64                       ;  msbs: dst=1 src0=0 src1=0 src2=0
	scratch_load_b128 v[0:3] /*v[256:259]*/, off, off offset:472
	s_mov_b32 s0, exec_lo
	s_wait_loadcnt_dscnt 0x120e
	s_set_vgpr_msb 0                        ;  msbs: dst=0 src0=0 src1=0 src2=0
	v_dual_mul_f32 v9, v124, v129 :: v_dual_mul_f32 v11, v126, v131
	s_delay_alu instid0(VALU_DEP_1) | instskip(NEXT) | instid1(VALU_DEP_1)
	v_dual_fmac_f32 v9, v125, v128 :: v_dual_fmac_f32 v11, v127, v130
	v_add_f32_e32 v9, 0, v9
	s_wait_loadcnt_dscnt 0x110d
	s_delay_alu instid0(VALU_DEP_1) | instskip(NEXT) | instid1(VALU_DEP_1)
	v_dual_add_f32 v9, v9, v11 :: v_dual_mul_f32 v11, v132, v137
	v_fmac_f32_e32 v11, v133, v136
	s_wait_loadcnt_dscnt 0x408
	s_set_vgpr_msb 64                       ;  msbs: dst=1 src0=0 src1=0 src2=0
	v_dual_mul_f32 v7 /*v263*/, v236, v241 :: v_dual_mul_f32 v9 /*v265*/, v238, v243
	s_set_vgpr_msb 0                        ;  msbs: dst=0 src0=0 src1=0 src2=0
	v_add_f32_e32 v9, v9, v11
	v_mul_f32_e32 v11, v134, v139
	s_set_vgpr_msb 64                       ;  msbs: dst=1 src0=0 src1=0 src2=0
	v_fmac_f32_e32 v7 /*v263*/, v237, v240
	s_set_vgpr_msb 0                        ;  msbs: dst=0 src0=0 src1=0 src2=0
	s_delay_alu instid0(VALU_DEP_2) | instskip(NEXT) | instid1(VALU_DEP_1)
	v_fmac_f32_e32 v11, v135, v138
	v_dual_add_f32 v9, v9, v11 :: v_dual_mul_f32 v11, v140, v145
	s_delay_alu instid0(VALU_DEP_1) | instskip(NEXT) | instid1(VALU_DEP_1)
	v_fmac_f32_e32 v11, v141, v144
	v_add_f32_e32 v9, v9, v11
	v_mul_f32_e32 v11, v142, v147
	s_delay_alu instid0(VALU_DEP_1) | instskip(NEXT) | instid1(VALU_DEP_1)
	v_fmac_f32_e32 v11, v143, v146
	v_dual_add_f32 v9, v9, v11 :: v_dual_mul_f32 v11, v148, v153
	s_delay_alu instid0(VALU_DEP_1) | instskip(NEXT) | instid1(VALU_DEP_1)
	v_fmac_f32_e32 v11, v149, v152
	v_add_f32_e32 v9, v9, v11
	v_mul_f32_e32 v11, v150, v155
	s_delay_alu instid0(VALU_DEP_1) | instskip(NEXT) | instid1(VALU_DEP_1)
	;; [unrolled: 7-line block ×3, first 2 shown]
	v_fmac_f32_e32 v11, v159, v162
	v_dual_add_f32 v9, v9, v11 :: v_dual_mul_f32 v11, v164, v169
	s_delay_alu instid0(VALU_DEP_1) | instskip(NEXT) | instid1(VALU_DEP_1)
	v_fmac_f32_e32 v11, v165, v168
	v_add_f32_e32 v9, v9, v11
	v_mul_f32_e32 v11, v166, v171
	s_delay_alu instid0(VALU_DEP_1) | instskip(SKIP_1) | instid1(VALU_DEP_1)
	v_fmac_f32_e32 v11, v167, v170
	s_wait_dscnt 0x7
	v_dual_add_f32 v9, v9, v11 :: v_dual_mul_f32 v11, v172, v177
	s_delay_alu instid0(VALU_DEP_1) | instskip(NEXT) | instid1(VALU_DEP_1)
	v_fmac_f32_e32 v11, v173, v176
	v_add_f32_e32 v9, v9, v11
	v_mul_f32_e32 v11, v174, v179
	s_delay_alu instid0(VALU_DEP_1) | instskip(SKIP_1) | instid1(VALU_DEP_1)
	v_fmac_f32_e32 v11, v175, v178
	s_wait_dscnt 0x6
	;; [unrolled: 8-line block ×8, first 2 shown]
	v_dual_add_f32 v9, v9, v11 :: v_dual_mul_f32 v11, v228, v233
	s_delay_alu instid0(VALU_DEP_1) | instskip(NEXT) | instid1(VALU_DEP_1)
	v_fmac_f32_e32 v11, v229, v232
	v_add_f32_e32 v9, v9, v11
	v_mul_f32_e32 v11, v230, v235
	s_delay_alu instid0(VALU_DEP_1) | instskip(SKIP_1) | instid1(VALU_DEP_1)
	v_fmac_f32_e32 v11, v231, v234
	s_set_vgpr_msb 64                       ;  msbs: dst=1 src0=0 src1=0 src2=0
	v_add_f32_e32 v5 /*v261*/, v9, v11
	s_set_vgpr_msb 0                        ;  msbs: dst=0 src0=0 src1=0 src2=0
	v_dual_mul_f32 v9, v125, v129 :: v_dual_mul_f32 v11, v127, v131
	s_delay_alu instid0(VALU_DEP_1) | instskip(NEXT) | instid1(VALU_DEP_1)
	v_dual_fma_f32 v9, v124, v128, -v9 :: v_dual_fma_f32 v11, v126, v130, -v11
	v_add_f32_e32 v9, 0, v9
	s_delay_alu instid0(VALU_DEP_1) | instskip(SKIP_1) | instid1(VALU_DEP_1)
	v_add_f32_e32 v9, v9, v11
	v_mul_f32_e32 v11, v133, v137
	v_fma_f32 v11, v132, v136, -v11
	s_delay_alu instid0(VALU_DEP_1) | instskip(SKIP_1) | instid1(VALU_DEP_1)
	v_add_f32_e32 v9, v9, v11
	v_mul_f32_e32 v11, v135, v139
	v_fma_f32 v11, v134, v138, -v11
	ds_load_2addr_b64 v[124:127], v7 offset0:115 offset1:116
	ds_load_2addr_b64 v[128:131], v7 offset0:117 offset1:118
	;; [unrolled: 1-line block ×4, first 2 shown]
	v_add_f32_e32 v9, v9, v11
	v_mul_f32_e32 v11, v141, v145
	s_delay_alu instid0(VALU_DEP_1) | instskip(NEXT) | instid1(VALU_DEP_1)
	v_fma_f32 v11, v140, v144, -v11
	v_add_f32_e32 v9, v9, v11
	v_mul_f32_e32 v11, v143, v147
	s_delay_alu instid0(VALU_DEP_1) | instskip(SKIP_2) | instid1(VALU_DEP_2)
	v_fma_f32 v11, v142, v146, -v11
	s_wait_loadcnt_dscnt 0x303
	v_pk_mul_f32 v[142:143], v[124:125], v[244:245] op_sel:[1,1] op_sel_hi:[0,1]
	v_add_f32_e32 v9, v9, v11
	v_mul_f32_e32 v11, v149, v153
	s_delay_alu instid0(VALU_DEP_3) | instskip(SKIP_1) | instid1(VALU_DEP_3)
	v_pk_fma_f32 v[144:145], v[124:125], v[244:245], v[142:143] neg_lo:[0,0,1] neg_hi:[0,0,1]
	v_pk_fma_f32 v[124:125], v[124:125], v[244:245], v[142:143] op_sel_hi:[1,0,1]
	v_dual_mov_b32 v142, v247 :: v_dual_fma_f32 v11, v148, v152, -v11
	s_delay_alu instid0(VALU_DEP_2) | instskip(NEXT) | instid1(VALU_DEP_2)
	v_mov_b32_e32 v145, v125
	v_add_f32_e32 v9, v9, v11
	v_mul_f32_e32 v11, v151, v155
	s_delay_alu instid0(VALU_DEP_1) | instskip(NEXT) | instid1(VALU_DEP_1)
	v_fma_f32 v11, v150, v154, -v11
	v_add_f32_e32 v9, v9, v11
	v_mul_f32_e32 v11, v157, v161
	s_delay_alu instid0(VALU_DEP_1) | instskip(NEXT) | instid1(VALU_DEP_1)
	v_fma_f32 v11, v156, v160, -v11
	;; [unrolled: 4-line block ×20, first 2 shown]
	v_add_f32_e32 v9, v9, v11
	v_mul_f32_e32 v11, v231, v235
	s_delay_alu instid0(VALU_DEP_1) | instskip(SKIP_1) | instid1(VALU_DEP_1)
	v_fma_f32 v11, v230, v234, -v11
	s_set_vgpr_msb 64                       ;  msbs: dst=1 src0=0 src1=0 src2=0
	v_dual_fmac_f32 v9 /*v265*/, v239, v242 :: v_dual_add_f32 v4 /*v260*/, v9, v11
	s_set_vgpr_msb 0                        ;  msbs: dst=0 src0=0 src1=0 src2=0
	v_mul_f32_e32 v9, v237, v241
	s_set_vgpr_msb 64                       ;  msbs: dst=1 src0=0 src1=0 src2=0
	s_delay_alu instid0(VALU_DEP_1) | instskip(SKIP_3) | instid1(VALU_DEP_1)
	v_fma_f32 v6 /*v262*/, v236, v240, -v9
	s_set_vgpr_msb 0                        ;  msbs: dst=0 src0=0 src1=0 src2=0
	v_mul_f32_e32 v9, v239, v243
	s_set_vgpr_msb 64                       ;  msbs: dst=1 src0=0 src1=0 src2=0
	v_fma_f32 v8 /*v264*/, v238, v242, -v9
	s_set_vgpr_msb 5                        ;  msbs: dst=0 src0=1 src1=1 src2=0
	v_pk_add_f32 v[140:141], v[4:5] /*v[260:261]*/, v[6:7] /*v[262:263]*/
	s_set_vgpr_msb 4                        ;  msbs: dst=0 src0=0 src1=1 src2=0
	s_delay_alu instid0(VALU_DEP_1) | instskip(SKIP_1) | instid1(VALU_DEP_1)
	v_pk_add_f32 v[140:141], v[140:141], v[8:9] /*v[264:265]*/
	s_set_vgpr_msb 0                        ;  msbs: dst=0 src0=0 src1=0 src2=0
	v_pk_add_f32 v[124:125], v[140:141], v[144:145]
	v_dual_mov_b32 v140, v127 :: v_dual_mov_b32 v141, v126
	s_delay_alu instid0(VALU_DEP_1) | instskip(NEXT) | instid1(VALU_DEP_1)
	v_pk_mul_f32 v[140:141], v[140:141], v[142:143] op_sel_hi:[1,0]
	v_pk_fma_f32 v[142:143], v[126:127], v[246:247], v[140:141] neg_lo:[0,0,1] neg_hi:[0,0,1]
	v_pk_fma_f32 v[126:127], v[126:127], v[246:247], v[140:141] op_sel_hi:[1,0,1]
	s_delay_alu instid0(VALU_DEP_1) | instskip(SKIP_2) | instid1(VALU_DEP_2)
	v_mov_b32_e32 v143, v127
	s_wait_loadcnt_dscnt 0x202
	v_pk_mul_f32 v[126:127], v[128:129], v[248:249] op_sel:[1,1] op_sel_hi:[0,1]
	v_pk_add_f32 v[124:125], v[124:125], v[142:143]
	s_delay_alu instid0(VALU_DEP_2) | instskip(SKIP_2) | instid1(VALU_DEP_2)
	v_pk_fma_f32 v[140:141], v[128:129], v[248:249], v[126:127] neg_lo:[0,0,1] neg_hi:[0,0,1]
	v_pk_fma_f32 v[126:127], v[128:129], v[248:249], v[126:127] op_sel_hi:[1,0,1]
	v_dual_mov_b32 v126, v131 :: v_dual_mov_b32 v128, v251
	v_dual_mov_b32 v141, v127 :: v_dual_mov_b32 v127, v130
	s_delay_alu instid0(VALU_DEP_1) | instskip(NEXT) | instid1(VALU_DEP_2)
	v_pk_add_f32 v[124:125], v[124:125], v[140:141]
	v_pk_mul_f32 v[126:127], v[126:127], v[128:129] op_sel_hi:[1,0]
	s_delay_alu instid0(VALU_DEP_1) | instskip(SKIP_1) | instid1(VALU_DEP_1)
	v_pk_fma_f32 v[128:129], v[130:131], v[250:251], v[126:127] neg_lo:[0,0,1] neg_hi:[0,0,1]
	v_pk_fma_f32 v[126:127], v[130:131], v[250:251], v[126:127] op_sel_hi:[1,0,1]
	v_mov_b32_e32 v129, v127
	s_wait_loadcnt_dscnt 0x101
	v_pk_mul_f32 v[126:127], v[132:133], v[252:253] op_sel:[1,1] op_sel_hi:[0,1]
	s_delay_alu instid0(VALU_DEP_2) | instskip(NEXT) | instid1(VALU_DEP_2)
	v_pk_add_f32 v[124:125], v[124:125], v[128:129]
	v_pk_fma_f32 v[128:129], v[132:133], v[252:253], v[126:127] neg_lo:[0,0,1] neg_hi:[0,0,1]
	v_pk_fma_f32 v[126:127], v[132:133], v[252:253], v[126:127] op_sel_hi:[1,0,1]
	s_delay_alu instid0(VALU_DEP_1) | instskip(SKIP_1) | instid1(VALU_DEP_2)
	v_dual_mov_b32 v126, v135 :: v_dual_mov_b32 v129, v127
	v_mov_b32_e32 v127, v134
	v_pk_add_f32 v[124:125], v[124:125], v[128:129]
	v_mov_b32_e32 v128, v255
	s_delay_alu instid0(VALU_DEP_1) | instskip(NEXT) | instid1(VALU_DEP_1)
	v_pk_mul_f32 v[126:127], v[126:127], v[128:129] op_sel_hi:[1,0]
	v_pk_fma_f32 v[128:129], v[134:135], v[254:255], v[126:127] neg_lo:[0,0,1] neg_hi:[0,0,1]
	v_pk_fma_f32 v[126:127], v[134:135], v[254:255], v[126:127] op_sel_hi:[1,0,1]
	s_delay_alu instid0(VALU_DEP_1)
	v_mov_b32_e32 v129, v127
	s_wait_loadcnt_dscnt 0x0
	s_set_vgpr_msb 4                        ;  msbs: dst=0 src0=0 src1=1 src2=0
	v_pk_mul_f32 v[126:127], v[136:137], v[0:1] /*v[256:257]*/ op_sel:[1,1] op_sel_hi:[0,1]
	s_set_vgpr_msb 0                        ;  msbs: dst=0 src0=0 src1=0 src2=0
	v_pk_add_f32 v[124:125], v[124:125], v[128:129]
	s_set_vgpr_msb 4                        ;  msbs: dst=0 src0=0 src1=1 src2=0
	s_delay_alu instid0(VALU_DEP_2) | instskip(SKIP_1) | instid1(VALU_DEP_1)
	v_pk_fma_f32 v[128:129], v[136:137], v[0:1] /*v[256:257]*/, v[126:127] neg_lo:[0,0,1] neg_hi:[0,0,1]
	v_pk_fma_f32 v[126:127], v[136:137], v[0:1] /*v[256:257]*/, v[126:127] op_sel_hi:[1,0,1]
	v_dual_mov_b32 v126, v139 :: v_dual_mov_b32 v129, v127
	v_mov_b32_e32 v127, v138
	s_set_vgpr_msb 0                        ;  msbs: dst=0 src0=0 src1=0 src2=0
	s_delay_alu instid0(VALU_DEP_2) | instskip(SKIP_3) | instid1(VALU_DEP_1)
	v_pk_add_f32 v[124:125], v[124:125], v[128:129]
	s_set_vgpr_msb 1                        ;  msbs: dst=0 src0=1 src1=0 src2=0
	v_mov_b32_e32 v128, v3 /*v259*/
	s_set_vgpr_msb 0                        ;  msbs: dst=0 src0=0 src1=0 src2=0
	v_pk_mul_f32 v[126:127], v[126:127], v[128:129] op_sel_hi:[1,0]
	s_set_vgpr_msb 4                        ;  msbs: dst=0 src0=0 src1=1 src2=0
	s_delay_alu instid0(VALU_DEP_1) | instskip(SKIP_1) | instid1(VALU_DEP_1)
	v_pk_fma_f32 v[128:129], v[138:139], v[2:3] /*v[258:259]*/, v[126:127] neg_lo:[0,0,1] neg_hi:[0,0,1]
	v_pk_fma_f32 v[126:127], v[138:139], v[2:3] /*v[258:259]*/, v[126:127] op_sel_hi:[1,0,1]
	v_mov_b32_e32 v129, v127
	scratch_load_b64 v[126:127], off, off offset:176
	s_set_vgpr_msb 0                        ;  msbs: dst=0 src0=0 src1=0 src2=0
	v_pk_add_f32 v[124:125], v[124:125], v[128:129]
	s_wait_loadcnt 0x0
	s_delay_alu instid0(VALU_DEP_1)
	v_pk_add_f32 v[124:125], v[126:127], v[124:125] neg_lo:[0,1] neg_hi:[0,1]
	scratch_store_b64 off, v[124:125], off offset:176
	s_wait_xcnt 0x0
	v_cmpx_lt_u32_e32 21, v0
	s_cbranch_execz .LBB60_337
; %bb.336:
	scratch_load_b64 v[124:125], off, off offset:168
	v_mov_b64_e32 v[126:127], 0
	scratch_store_b64 off, v[126:127], off offset:168
	s_wait_loadcnt 0x0
	ds_store_b64 v1, v[124:125]
.LBB60_337:
	s_wait_xcnt 0x0
	s_or_b32 exec_lo, exec_lo, s0
	v_mov_b32_e32 v7, 0
	s_wait_storecnt_dscnt 0x0
	s_barrier_signal -1
	s_barrier_wait -1
	ds_load_b128 v[124:127], v7 offset:672
	ds_load_b128 v[128:131], v7 offset:688
	;; [unrolled: 1-line block ×4, first 2 shown]
	s_clause 0xf
	scratch_load_b128 v[140:143], off, off offset:176
	scratch_load_b128 v[144:147], off, off offset:192
	;; [unrolled: 1-line block ×16, first 2 shown]
	s_mov_b32 s0, exec_lo
	s_wait_loadcnt_dscnt 0xf03
	v_mul_f32_e32 v9, v124, v141
	ds_load_b128 v[236:239], v7 offset:896
	ds_load_b128 v[244:247], v7 offset:912
	;; [unrolled: 1-line block ×4, first 2 shown]
	v_dual_fmac_f32 v9, v125, v140 :: v_dual_mul_f32 v11, v126, v143
	ds_load_b128 v[172:175], v7 offset:768
	ds_load_b128 v[180:183], v7 offset:784
	;; [unrolled: 1-line block ×4, first 2 shown]
	v_dual_add_f32 v9, 0, v9 :: v_dual_fmac_f32 v11, v127, v142
	ds_load_b128 v[204:207], v7 offset:832
	ds_load_b128 v[212:215], v7 offset:848
	;; [unrolled: 1-line block ×4, first 2 shown]
	s_wait_loadcnt_dscnt 0xe0e
	v_dual_add_f32 v9, v9, v11 :: v_dual_mul_f32 v11, v128, v145
	s_clause 0x4
	scratch_load_b128 v[252:255], off, off offset:432
	s_set_vgpr_msb 64                       ;  msbs: dst=1 src0=0 src1=0 src2=0
	scratch_load_b128 v[0:3] /*v[256:259]*/, off, off offset:448
	scratch_load_b128 v[4:7] /*v[260:263]*/, off, off offset:464
	scratch_load_b64 v[14:15] /*v[270:271]*/, off, off offset:480
	s_wait_loadcnt_dscnt 0x40a
	v_dual_mul_f32 v11 /*v267*/, v238, v243 :: v_dual_mul_f32 v13 /*v269*/, v244, v249
	s_set_vgpr_msb 0                        ;  msbs: dst=0 src0=0 src1=0 src2=0
	v_fmac_f32_e32 v11, v129, v144
	s_set_vgpr_msb 64                       ;  msbs: dst=1 src0=0 src1=0 src2=0
	s_delay_alu instid0(VALU_DEP_2) | instskip(SKIP_1) | instid1(VALU_DEP_2)
	v_dual_fmac_f32 v11 /*v267*/, v239, v242 :: v_dual_fmac_f32 v13 /*v269*/, v245, v248
	s_set_vgpr_msb 0                        ;  msbs: dst=0 src0=0 src1=0 src2=0
	v_add_f32_e32 v9, v9, v11
	v_mul_f32_e32 v11, v130, v147
	s_delay_alu instid0(VALU_DEP_1) | instskip(NEXT) | instid1(VALU_DEP_1)
	v_fmac_f32_e32 v11, v131, v146
	v_dual_add_f32 v9, v9, v11 :: v_dual_mul_f32 v11, v132, v149
	s_delay_alu instid0(VALU_DEP_1) | instskip(NEXT) | instid1(VALU_DEP_1)
	v_fmac_f32_e32 v11, v133, v148
	v_add_f32_e32 v9, v9, v11
	v_mul_f32_e32 v11, v134, v151
	s_delay_alu instid0(VALU_DEP_1) | instskip(NEXT) | instid1(VALU_DEP_1)
	v_fmac_f32_e32 v11, v135, v150
	v_dual_add_f32 v9, v9, v11 :: v_dual_mul_f32 v11, v136, v153
	s_delay_alu instid0(VALU_DEP_1) | instskip(NEXT) | instid1(VALU_DEP_1)
	v_fmac_f32_e32 v11, v137, v152
	v_add_f32_e32 v9, v9, v11
	v_mul_f32_e32 v11, v138, v155
	s_delay_alu instid0(VALU_DEP_1) | instskip(SKIP_1) | instid1(VALU_DEP_1)
	v_fmac_f32_e32 v11, v139, v154
	s_wait_dscnt 0x9
	v_dual_add_f32 v9, v9, v11 :: v_dual_mul_f32 v11, v156, v161
	s_delay_alu instid0(VALU_DEP_1) | instskip(NEXT) | instid1(VALU_DEP_1)
	v_fmac_f32_e32 v11, v157, v160
	v_add_f32_e32 v9, v9, v11
	v_mul_f32_e32 v11, v158, v163
	s_delay_alu instid0(VALU_DEP_1) | instskip(SKIP_1) | instid1(VALU_DEP_1)
	v_fmac_f32_e32 v11, v159, v162
	s_wait_dscnt 0x8
	;; [unrolled: 8-line block ×10, first 2 shown]
	v_dual_add_f32 v9, v9, v11 :: v_dual_mul_f32 v11, v228, v233
	s_delay_alu instid0(VALU_DEP_1) | instskip(NEXT) | instid1(VALU_DEP_1)
	v_fmac_f32_e32 v11, v229, v232
	v_add_f32_e32 v9, v9, v11
	v_mul_f32_e32 v11, v230, v235
	s_delay_alu instid0(VALU_DEP_1) | instskip(NEXT) | instid1(VALU_DEP_1)
	v_fmac_f32_e32 v11, v231, v234
	v_dual_add_f32 v9, v9, v11 :: v_dual_mul_f32 v11, v236, v241
	s_delay_alu instid0(VALU_DEP_1) | instskip(SKIP_1) | instid1(VALU_DEP_1)
	v_fmac_f32_e32 v11, v237, v240
	s_set_vgpr_msb 64                       ;  msbs: dst=1 src0=0 src1=0 src2=0
	v_add_f32_e32 v9 /*v265*/, v9, v11
	s_set_vgpr_msb 0                        ;  msbs: dst=0 src0=0 src1=0 src2=0
	v_dual_mul_f32 v9, v125, v141 :: v_dual_mul_f32 v11, v127, v143
	s_delay_alu instid0(VALU_DEP_1) | instskip(NEXT) | instid1(VALU_DEP_2)
	v_dual_mov_b32 v141, v246 :: v_dual_fma_f32 v9, v124, v140, -v9
	v_dual_fma_f32 v11, v126, v142, -v11 :: v_dual_mov_b32 v140, v247
	s_delay_alu instid0(VALU_DEP_2) | instskip(NEXT) | instid1(VALU_DEP_1)
	v_dual_mov_b32 v142, v251 :: v_dual_add_f32 v9, 0, v9
	v_pk_mul_f32 v[140:141], v[140:141], v[142:143] op_sel_hi:[1,0]
	s_delay_alu instid0(VALU_DEP_2) | instskip(SKIP_1) | instid1(VALU_DEP_3)
	v_add_f32_e32 v9, v9, v11
	v_mul_f32_e32 v11, v129, v145
	v_pk_fma_f32 v[142:143], v[246:247], v[250:251], v[140:141] neg_lo:[0,0,1] neg_hi:[0,0,1]
	v_pk_fma_f32 v[140:141], v[246:247], v[250:251], v[140:141] op_sel_hi:[1,0,1]
	s_delay_alu instid0(VALU_DEP_1) | instskip(NEXT) | instid1(VALU_DEP_1)
	v_dual_fma_f32 v11, v128, v144, -v11 :: v_dual_mov_b32 v143, v141
	v_add_f32_e32 v9, v9, v11
	v_mul_f32_e32 v11, v131, v147
	s_delay_alu instid0(VALU_DEP_1) | instskip(NEXT) | instid1(VALU_DEP_1)
	v_fma_f32 v11, v130, v146, -v11
	v_add_f32_e32 v9, v9, v11
	v_mul_f32_e32 v11, v133, v149
	s_delay_alu instid0(VALU_DEP_1) | instskip(NEXT) | instid1(VALU_DEP_1)
	v_fma_f32 v11, v132, v148, -v11
	;; [unrolled: 4-line block ×3, first 2 shown]
	v_add_f32_e32 v9, v9, v11
	v_mul_f32_e32 v11, v137, v153
	s_delay_alu instid0(VALU_DEP_1)
	v_fma_f32 v11, v136, v152, -v11
	ds_load_b128 v[124:127], v7 offset:928
	ds_load_b128 v[128:131], v7 offset:944
	;; [unrolled: 1-line block ×3, first 2 shown]
	ds_load_b64 v[136:137], v7 offset:976
	v_add_f32_e32 v9, v9, v11
	v_mul_f32_e32 v11, v139, v155
	s_delay_alu instid0(VALU_DEP_1) | instskip(NEXT) | instid1(VALU_DEP_1)
	v_fma_f32 v11, v138, v154, -v11
	v_add_f32_e32 v9, v9, v11
	v_mul_f32_e32 v11, v157, v161
	s_wait_loadcnt_dscnt 0x303
	v_pk_mul_f32 v[140:141], v[124:125], v[252:253] op_sel:[1,1] op_sel_hi:[0,1]
	s_delay_alu instid0(VALU_DEP_2) | instskip(NEXT) | instid1(VALU_DEP_1)
	v_fma_f32 v11, v156, v160, -v11
	v_add_f32_e32 v9, v9, v11
	v_mul_f32_e32 v11, v159, v163
	s_delay_alu instid0(VALU_DEP_1) | instskip(NEXT) | instid1(VALU_DEP_1)
	v_fma_f32 v11, v158, v162, -v11
	v_add_f32_e32 v9, v9, v11
	v_mul_f32_e32 v11, v165, v169
	s_delay_alu instid0(VALU_DEP_1) | instskip(NEXT) | instid1(VALU_DEP_1)
	;; [unrolled: 4-line block ×19, first 2 shown]
	v_fma_f32 v11, v230, v234, -v11
	v_add_f32_e32 v9, v9, v11
	v_mul_f32_e32 v11, v237, v241
	s_delay_alu instid0(VALU_DEP_1) | instskip(SKIP_1) | instid1(VALU_DEP_1)
	v_fma_f32 v11, v236, v240, -v11
	s_set_vgpr_msb 64                       ;  msbs: dst=1 src0=0 src1=0 src2=0
	v_add_f32_e32 v8 /*v264*/, v9, v11
	s_set_vgpr_msb 0                        ;  msbs: dst=0 src0=0 src1=0 src2=0
	v_mul_f32_e32 v9, v239, v243
	s_set_vgpr_msb 64                       ;  msbs: dst=1 src0=0 src1=0 src2=0
	s_delay_alu instid0(VALU_DEP_1) | instskip(SKIP_3) | instid1(VALU_DEP_2)
	v_fma_f32 v10 /*v266*/, v238, v242, -v9
	s_set_vgpr_msb 0                        ;  msbs: dst=0 src0=0 src1=0 src2=0
	v_mul_f32_e32 v9, v245, v249
	s_set_vgpr_msb 5                        ;  msbs: dst=0 src0=1 src1=1 src2=0
	v_pk_add_f32 v[138:139], v[8:9] /*v[264:265]*/, v[10:11] /*v[266:267]*/
	s_set_vgpr_msb 64                       ;  msbs: dst=1 src0=0 src1=0 src2=0
	s_delay_alu instid0(VALU_DEP_2) | instskip(SKIP_1) | instid1(VALU_DEP_1)
	v_fma_f32 v12 /*v268*/, v244, v248, -v9
	s_set_vgpr_msb 4                        ;  msbs: dst=0 src0=0 src1=1 src2=0
	v_pk_add_f32 v[138:139], v[138:139], v[12:13] /*v[268:269]*/
	s_set_vgpr_msb 0                        ;  msbs: dst=0 src0=0 src1=0 src2=0
	s_delay_alu instid0(VALU_DEP_1) | instskip(SKIP_2) | instid1(VALU_DEP_1)
	v_pk_add_f32 v[138:139], v[138:139], v[142:143]
	v_pk_fma_f32 v[142:143], v[124:125], v[252:253], v[140:141] neg_lo:[0,0,1] neg_hi:[0,0,1]
	v_pk_fma_f32 v[124:125], v[124:125], v[252:253], v[140:141] op_sel_hi:[1,0,1]
	v_dual_mov_b32 v140, v255 :: v_dual_mov_b32 v143, v125
	s_delay_alu instid0(VALU_DEP_1) | instskip(SKIP_1) | instid1(VALU_DEP_1)
	v_pk_add_f32 v[124:125], v[138:139], v[142:143]
	v_dual_mov_b32 v138, v127 :: v_dual_mov_b32 v139, v126
	v_pk_mul_f32 v[138:139], v[138:139], v[140:141] op_sel_hi:[1,0]
	s_delay_alu instid0(VALU_DEP_1) | instskip(SKIP_1) | instid1(VALU_DEP_1)
	v_pk_fma_f32 v[140:141], v[126:127], v[254:255], v[138:139] neg_lo:[0,0,1] neg_hi:[0,0,1]
	v_pk_fma_f32 v[126:127], v[126:127], v[254:255], v[138:139] op_sel_hi:[1,0,1]
	v_mov_b32_e32 v141, v127
	s_wait_loadcnt_dscnt 0x202
	s_set_vgpr_msb 4                        ;  msbs: dst=0 src0=0 src1=1 src2=0
	v_pk_mul_f32 v[126:127], v[128:129], v[0:1] /*v[256:257]*/ op_sel:[1,1] op_sel_hi:[0,1]
	s_set_vgpr_msb 0                        ;  msbs: dst=0 src0=0 src1=0 src2=0
	v_pk_add_f32 v[124:125], v[124:125], v[140:141]
	s_set_vgpr_msb 4                        ;  msbs: dst=0 src0=0 src1=1 src2=0
	s_delay_alu instid0(VALU_DEP_2)
	v_pk_fma_f32 v[138:139], v[128:129], v[0:1] /*v[256:257]*/, v[126:127] neg_lo:[0,0,1] neg_hi:[0,0,1]
	v_pk_fma_f32 v[126:127], v[128:129], v[0:1] /*v[256:257]*/, v[126:127] op_sel_hi:[1,0,1]
	v_mov_b32_e32 v126, v131
	s_set_vgpr_msb 1                        ;  msbs: dst=0 src0=1 src1=0 src2=0
	v_mov_b32_e32 v128, v3 /*v259*/
	s_set_vgpr_msb 0                        ;  msbs: dst=0 src0=0 src1=0 src2=0
	v_dual_mov_b32 v139, v127 :: v_dual_mov_b32 v127, v130
	s_delay_alu instid0(VALU_DEP_1) | instskip(NEXT) | instid1(VALU_DEP_2)
	v_pk_add_f32 v[124:125], v[124:125], v[138:139]
	v_pk_mul_f32 v[126:127], v[126:127], v[128:129] op_sel_hi:[1,0]
	s_set_vgpr_msb 4                        ;  msbs: dst=0 src0=0 src1=1 src2=0
	s_delay_alu instid0(VALU_DEP_1) | instskip(SKIP_1) | instid1(VALU_DEP_1)
	v_pk_fma_f32 v[128:129], v[130:131], v[2:3] /*v[258:259]*/, v[126:127] neg_lo:[0,0,1] neg_hi:[0,0,1]
	v_pk_fma_f32 v[126:127], v[130:131], v[2:3] /*v[258:259]*/, v[126:127] op_sel_hi:[1,0,1]
	v_mov_b32_e32 v129, v127
	s_wait_loadcnt_dscnt 0x101
	v_pk_mul_f32 v[126:127], v[132:133], v[4:5] /*v[260:261]*/ op_sel:[1,1] op_sel_hi:[0,1]
	s_set_vgpr_msb 0                        ;  msbs: dst=0 src0=0 src1=0 src2=0
	s_delay_alu instid0(VALU_DEP_2) | instskip(SKIP_1) | instid1(VALU_DEP_2)
	v_pk_add_f32 v[124:125], v[124:125], v[128:129]
	s_set_vgpr_msb 4                        ;  msbs: dst=0 src0=0 src1=1 src2=0
	v_pk_fma_f32 v[128:129], v[132:133], v[4:5] /*v[260:261]*/, v[126:127] neg_lo:[0,0,1] neg_hi:[0,0,1]
	v_pk_fma_f32 v[126:127], v[132:133], v[4:5] /*v[260:261]*/, v[126:127] op_sel_hi:[1,0,1]
	s_delay_alu instid0(VALU_DEP_1) | instskip(SKIP_2) | instid1(VALU_DEP_2)
	v_dual_mov_b32 v126, v135 :: v_dual_mov_b32 v129, v127
	v_mov_b32_e32 v127, v134
	s_set_vgpr_msb 0                        ;  msbs: dst=0 src0=0 src1=0 src2=0
	v_pk_add_f32 v[124:125], v[124:125], v[128:129]
	s_set_vgpr_msb 1                        ;  msbs: dst=0 src0=1 src1=0 src2=0
	v_mov_b32_e32 v128, v7 /*v263*/
	s_set_vgpr_msb 0                        ;  msbs: dst=0 src0=0 src1=0 src2=0
	s_delay_alu instid0(VALU_DEP_1) | instskip(SKIP_1) | instid1(VALU_DEP_1)
	v_pk_mul_f32 v[126:127], v[126:127], v[128:129] op_sel_hi:[1,0]
	s_set_vgpr_msb 4                        ;  msbs: dst=0 src0=0 src1=1 src2=0
	v_pk_fma_f32 v[128:129], v[134:135], v[6:7] /*v[262:263]*/, v[126:127] neg_lo:[0,0,1] neg_hi:[0,0,1]
	v_pk_fma_f32 v[126:127], v[134:135], v[6:7] /*v[262:263]*/, v[126:127] op_sel_hi:[1,0,1]
	s_delay_alu instid0(VALU_DEP_1) | instskip(SKIP_3) | instid1(VALU_DEP_2)
	v_mov_b32_e32 v129, v127
	s_wait_loadcnt_dscnt 0x0
	v_pk_mul_f32 v[126:127], v[136:137], v[14:15] /*v[270:271]*/ op_sel:[1,1] op_sel_hi:[0,1]
	s_set_vgpr_msb 0                        ;  msbs: dst=0 src0=0 src1=0 src2=0
	v_pk_add_f32 v[124:125], v[124:125], v[128:129]
	s_set_vgpr_msb 4                        ;  msbs: dst=0 src0=0 src1=1 src2=0
	s_delay_alu instid0(VALU_DEP_2) | instskip(SKIP_1) | instid1(VALU_DEP_1)
	v_pk_fma_f32 v[128:129], v[136:137], v[14:15] /*v[270:271]*/, v[126:127] neg_lo:[0,0,1] neg_hi:[0,0,1]
	v_pk_fma_f32 v[126:127], v[136:137], v[14:15] /*v[270:271]*/, v[126:127] op_sel_hi:[1,0,1]
	v_mov_b32_e32 v129, v127
	scratch_load_b64 v[126:127], off, off offset:168
	s_set_vgpr_msb 0                        ;  msbs: dst=0 src0=0 src1=0 src2=0
	v_pk_add_f32 v[124:125], v[124:125], v[128:129]
	s_wait_loadcnt 0x0
	s_delay_alu instid0(VALU_DEP_1)
	v_pk_add_f32 v[124:125], v[126:127], v[124:125] neg_lo:[0,1] neg_hi:[0,1]
	scratch_store_b64 off, v[124:125], off offset:168
	s_wait_xcnt 0x0
	v_cmpx_lt_u32_e32 20, v0
	s_cbranch_execz .LBB60_339
; %bb.338:
	scratch_load_b64 v[124:125], off, off offset:160
	v_mov_b64_e32 v[126:127], 0
	scratch_store_b64 off, v[126:127], off offset:160
	s_wait_loadcnt 0x0
	ds_store_b64 v1, v[124:125]
.LBB60_339:
	s_wait_xcnt 0x0
	s_or_b32 exec_lo, exec_lo, s0
	s_wait_storecnt_dscnt 0x0
	s_barrier_signal -1
	s_barrier_wait -1
	s_clause 0xf
	scratch_load_b128 v[128:131], off, off offset:168
	scratch_load_b128 v[136:139], off, off offset:184
	;; [unrolled: 1-line block ×16, first 2 shown]
	ds_load_2addr_b64 v[124:127], v7 offset0:83 offset1:84
	ds_load_2addr_b64 v[132:135], v7 offset0:85 offset1:86
	ds_load_2addr_b64 v[140:143], v7 offset0:87 offset1:88
	ds_load_2addr_b64 v[148:151], v7 offset0:89 offset1:90
	ds_load_2addr_b64 v[156:159], v7 offset0:91 offset1:92
	ds_load_2addr_b64 v[164:167], v7 offset0:93 offset1:94
	ds_load_2addr_b64 v[236:239], v7 offset0:111 offset1:112
	ds_load_2addr_b64 v[244:247], v7 offset0:113 offset1:114
	ds_load_2addr_b64 v[172:175], v7 offset0:95 offset1:96
	ds_load_2addr_b64 v[180:183], v7 offset0:97 offset1:98
	ds_load_2addr_b64 v[188:191], v7 offset0:99 offset1:100
	ds_load_2addr_b64 v[196:199], v7 offset0:101 offset1:102
	ds_load_2addr_b64 v[204:207], v7 offset0:103 offset1:104
	ds_load_2addr_b64 v[212:215], v7 offset0:105 offset1:106
	ds_load_2addr_b64 v[220:223], v7 offset0:107 offset1:108
	ds_load_2addr_b64 v[228:231], v7 offset0:109 offset1:110
	s_clause 0x4
	scratch_load_b128 v[252:255], off, off offset:424
	s_set_vgpr_msb 64                       ;  msbs: dst=1 src0=0 src1=0 src2=0
	scratch_load_b128 v[0:3] /*v[256:259]*/, off, off offset:440
	scratch_load_b128 v[4:7] /*v[260:263]*/, off, off offset:456
	;; [unrolled: 1-line block ×3, first 2 shown]
	s_mov_b32 s0, exec_lo
	s_wait_loadcnt_dscnt 0x130f
	s_set_vgpr_msb 0                        ;  msbs: dst=0 src0=0 src1=0 src2=0
	v_dual_mul_f32 v9, v124, v129 :: v_dual_mul_f32 v11, v126, v131
	s_delay_alu instid0(VALU_DEP_1) | instskip(NEXT) | instid1(VALU_DEP_1)
	v_dual_fmac_f32 v9, v125, v128 :: v_dual_fmac_f32 v11, v127, v130
	v_add_f32_e32 v9, 0, v9
	s_wait_loadcnt_dscnt 0x120e
	s_delay_alu instid0(VALU_DEP_1)
	v_dual_add_f32 v9, v9, v11 :: v_dual_mul_f32 v11, v132, v137
	s_wait_loadcnt_dscnt 0x408
	s_set_vgpr_msb 64                       ;  msbs: dst=1 src0=0 src1=0 src2=0
	v_dual_mul_f32 v15 /*v271*/, v244, v249 :: v_dual_mul_f32 v17 /*v273*/, v246, v251
	s_set_vgpr_msb 0                        ;  msbs: dst=0 src0=0 src1=0 src2=0
	v_fmac_f32_e32 v11, v133, v136
	s_set_vgpr_msb 64                       ;  msbs: dst=1 src0=0 src1=0 src2=0
	s_delay_alu instid0(VALU_DEP_2) | instskip(SKIP_1) | instid1(VALU_DEP_2)
	v_fmac_f32_e32 v15 /*v271*/, v245, v248
	s_set_vgpr_msb 0                        ;  msbs: dst=0 src0=0 src1=0 src2=0
	v_add_f32_e32 v9, v9, v11
	v_mul_f32_e32 v11, v134, v139
	s_delay_alu instid0(VALU_DEP_1) | instskip(NEXT) | instid1(VALU_DEP_1)
	v_fmac_f32_e32 v11, v135, v138
	v_dual_add_f32 v9, v9, v11 :: v_dual_mul_f32 v11, v140, v145
	s_delay_alu instid0(VALU_DEP_1) | instskip(NEXT) | instid1(VALU_DEP_1)
	v_fmac_f32_e32 v11, v141, v144
	v_add_f32_e32 v9, v9, v11
	v_mul_f32_e32 v11, v142, v147
	s_delay_alu instid0(VALU_DEP_1) | instskip(NEXT) | instid1(VALU_DEP_1)
	v_fmac_f32_e32 v11, v143, v146
	v_dual_add_f32 v9, v9, v11 :: v_dual_mul_f32 v11, v148, v153
	s_delay_alu instid0(VALU_DEP_1) | instskip(NEXT) | instid1(VALU_DEP_1)
	v_fmac_f32_e32 v11, v149, v152
	;; [unrolled: 7-line block ×4, first 2 shown]
	v_add_f32_e32 v9, v9, v11
	v_mul_f32_e32 v11, v166, v171
	s_delay_alu instid0(VALU_DEP_1) | instskip(SKIP_1) | instid1(VALU_DEP_1)
	v_fmac_f32_e32 v11, v167, v170
	s_wait_dscnt 0x7
	v_dual_add_f32 v9, v9, v11 :: v_dual_mul_f32 v11, v172, v177
	s_delay_alu instid0(VALU_DEP_1) | instskip(NEXT) | instid1(VALU_DEP_1)
	v_fmac_f32_e32 v11, v173, v176
	v_add_f32_e32 v9, v9, v11
	v_mul_f32_e32 v11, v174, v179
	s_delay_alu instid0(VALU_DEP_1) | instskip(SKIP_1) | instid1(VALU_DEP_1)
	v_fmac_f32_e32 v11, v175, v178
	s_wait_dscnt 0x6
	v_dual_add_f32 v9, v9, v11 :: v_dual_mul_f32 v11, v180, v185
	s_delay_alu instid0(VALU_DEP_1) | instskip(NEXT) | instid1(VALU_DEP_1)
	v_fmac_f32_e32 v11, v181, v184
	;; [unrolled: 8-line block ×8, first 2 shown]
	v_add_f32_e32 v9, v9, v11
	v_mul_f32_e32 v11, v230, v235
	s_delay_alu instid0(VALU_DEP_1) | instskip(NEXT) | instid1(VALU_DEP_1)
	v_fmac_f32_e32 v11, v231, v234
	v_dual_add_f32 v9, v9, v11 :: v_dual_mul_f32 v11, v236, v241
	s_delay_alu instid0(VALU_DEP_1) | instskip(NEXT) | instid1(VALU_DEP_1)
	v_fmac_f32_e32 v11, v237, v240
	v_add_f32_e32 v9, v9, v11
	v_mul_f32_e32 v11, v238, v243
	s_delay_alu instid0(VALU_DEP_1) | instskip(SKIP_1) | instid1(VALU_DEP_1)
	v_fmac_f32_e32 v11, v239, v242
	s_set_vgpr_msb 64                       ;  msbs: dst=1 src0=0 src1=0 src2=0
	v_add_f32_e32 v13 /*v269*/, v9, v11
	s_set_vgpr_msb 0                        ;  msbs: dst=0 src0=0 src1=0 src2=0
	v_dual_mul_f32 v9, v125, v129 :: v_dual_mul_f32 v11, v127, v131
	s_delay_alu instid0(VALU_DEP_1) | instskip(NEXT) | instid1(VALU_DEP_1)
	v_dual_fma_f32 v9, v124, v128, -v9 :: v_dual_fma_f32 v11, v126, v130, -v11
	v_add_f32_e32 v9, 0, v9
	s_delay_alu instid0(VALU_DEP_1) | instskip(SKIP_1) | instid1(VALU_DEP_1)
	v_add_f32_e32 v9, v9, v11
	v_mul_f32_e32 v11, v133, v137
	v_fma_f32 v11, v132, v136, -v11
	s_delay_alu instid0(VALU_DEP_1) | instskip(SKIP_1) | instid1(VALU_DEP_1)
	v_add_f32_e32 v9, v9, v11
	v_mul_f32_e32 v11, v135, v139
	v_fma_f32 v11, v134, v138, -v11
	ds_load_2addr_b64 v[124:127], v7 offset0:115 offset1:116
	ds_load_2addr_b64 v[128:131], v7 offset0:117 offset1:118
	;; [unrolled: 1-line block ×4, first 2 shown]
	v_add_f32_e32 v9, v9, v11
	v_mul_f32_e32 v11, v141, v145
	s_delay_alu instid0(VALU_DEP_1) | instskip(NEXT) | instid1(VALU_DEP_1)
	v_fma_f32 v11, v140, v144, -v11
	v_add_f32_e32 v9, v9, v11
	v_mul_f32_e32 v11, v143, v147
	s_delay_alu instid0(VALU_DEP_1) | instskip(SKIP_2) | instid1(VALU_DEP_2)
	v_fma_f32 v11, v142, v146, -v11
	s_wait_loadcnt_dscnt 0x303
	v_pk_mul_f32 v[142:143], v[124:125], v[252:253] op_sel:[1,1] op_sel_hi:[0,1]
	v_add_f32_e32 v9, v9, v11
	v_mul_f32_e32 v11, v149, v153
	s_delay_alu instid0(VALU_DEP_3) | instskip(SKIP_1) | instid1(VALU_DEP_3)
	v_pk_fma_f32 v[144:145], v[124:125], v[252:253], v[142:143] neg_lo:[0,0,1] neg_hi:[0,0,1]
	v_pk_fma_f32 v[124:125], v[124:125], v[252:253], v[142:143] op_sel_hi:[1,0,1]
	v_dual_mov_b32 v142, v255 :: v_dual_fma_f32 v11, v148, v152, -v11
	s_delay_alu instid0(VALU_DEP_2) | instskip(NEXT) | instid1(VALU_DEP_2)
	v_mov_b32_e32 v145, v125
	v_add_f32_e32 v9, v9, v11
	v_mul_f32_e32 v11, v151, v155
	s_delay_alu instid0(VALU_DEP_1) | instskip(NEXT) | instid1(VALU_DEP_1)
	v_fma_f32 v11, v150, v154, -v11
	v_add_f32_e32 v9, v9, v11
	v_mul_f32_e32 v11, v157, v161
	s_delay_alu instid0(VALU_DEP_1) | instskip(NEXT) | instid1(VALU_DEP_1)
	v_fma_f32 v11, v156, v160, -v11
	;; [unrolled: 4-line block ×22, first 2 shown]
	v_add_f32_e32 v9, v9, v11
	v_mul_f32_e32 v11, v239, v243
	s_delay_alu instid0(VALU_DEP_1) | instskip(SKIP_1) | instid1(VALU_DEP_1)
	v_fma_f32 v11, v238, v242, -v11
	s_set_vgpr_msb 64                       ;  msbs: dst=1 src0=0 src1=0 src2=0
	v_dual_fmac_f32 v17 /*v273*/, v247, v250 :: v_dual_add_f32 v12 /*v268*/, v9, v11
	s_set_vgpr_msb 0                        ;  msbs: dst=0 src0=0 src1=0 src2=0
	v_mul_f32_e32 v9, v245, v249
	s_set_vgpr_msb 64                       ;  msbs: dst=1 src0=0 src1=0 src2=0
	s_delay_alu instid0(VALU_DEP_1) | instskip(SKIP_3) | instid1(VALU_DEP_1)
	v_fma_f32 v14 /*v270*/, v244, v248, -v9
	s_set_vgpr_msb 0                        ;  msbs: dst=0 src0=0 src1=0 src2=0
	v_mul_f32_e32 v9, v247, v251
	s_set_vgpr_msb 64                       ;  msbs: dst=1 src0=0 src1=0 src2=0
	v_fma_f32 v16 /*v272*/, v246, v250, -v9
	s_set_vgpr_msb 5                        ;  msbs: dst=0 src0=1 src1=1 src2=0
	v_pk_add_f32 v[140:141], v[12:13] /*v[268:269]*/, v[14:15] /*v[270:271]*/
	s_set_vgpr_msb 4                        ;  msbs: dst=0 src0=0 src1=1 src2=0
	s_delay_alu instid0(VALU_DEP_1) | instskip(SKIP_1) | instid1(VALU_DEP_1)
	v_pk_add_f32 v[140:141], v[140:141], v[16:17] /*v[272:273]*/
	s_set_vgpr_msb 0                        ;  msbs: dst=0 src0=0 src1=0 src2=0
	v_pk_add_f32 v[124:125], v[140:141], v[144:145]
	v_dual_mov_b32 v140, v127 :: v_dual_mov_b32 v141, v126
	s_delay_alu instid0(VALU_DEP_1) | instskip(NEXT) | instid1(VALU_DEP_1)
	v_pk_mul_f32 v[140:141], v[140:141], v[142:143] op_sel_hi:[1,0]
	v_pk_fma_f32 v[142:143], v[126:127], v[254:255], v[140:141] neg_lo:[0,0,1] neg_hi:[0,0,1]
	v_pk_fma_f32 v[126:127], v[126:127], v[254:255], v[140:141] op_sel_hi:[1,0,1]
	s_delay_alu instid0(VALU_DEP_1)
	v_mov_b32_e32 v143, v127
	s_wait_loadcnt_dscnt 0x202
	s_set_vgpr_msb 4                        ;  msbs: dst=0 src0=0 src1=1 src2=0
	v_pk_mul_f32 v[126:127], v[128:129], v[0:1] /*v[256:257]*/ op_sel:[1,1] op_sel_hi:[0,1]
	s_set_vgpr_msb 0                        ;  msbs: dst=0 src0=0 src1=0 src2=0
	v_pk_add_f32 v[124:125], v[124:125], v[142:143]
	s_set_vgpr_msb 4                        ;  msbs: dst=0 src0=0 src1=1 src2=0
	s_delay_alu instid0(VALU_DEP_2)
	v_pk_fma_f32 v[140:141], v[128:129], v[0:1] /*v[256:257]*/, v[126:127] neg_lo:[0,0,1] neg_hi:[0,0,1]
	v_pk_fma_f32 v[126:127], v[128:129], v[0:1] /*v[256:257]*/, v[126:127] op_sel_hi:[1,0,1]
	v_mov_b32_e32 v126, v131
	s_set_vgpr_msb 1                        ;  msbs: dst=0 src0=1 src1=0 src2=0
	v_mov_b32_e32 v128, v3 /*v259*/
	s_set_vgpr_msb 0                        ;  msbs: dst=0 src0=0 src1=0 src2=0
	v_dual_mov_b32 v141, v127 :: v_dual_mov_b32 v127, v130
	s_delay_alu instid0(VALU_DEP_1) | instskip(NEXT) | instid1(VALU_DEP_2)
	v_pk_add_f32 v[124:125], v[124:125], v[140:141]
	v_pk_mul_f32 v[126:127], v[126:127], v[128:129] op_sel_hi:[1,0]
	s_set_vgpr_msb 4                        ;  msbs: dst=0 src0=0 src1=1 src2=0
	s_delay_alu instid0(VALU_DEP_1) | instskip(SKIP_1) | instid1(VALU_DEP_1)
	v_pk_fma_f32 v[128:129], v[130:131], v[2:3] /*v[258:259]*/, v[126:127] neg_lo:[0,0,1] neg_hi:[0,0,1]
	v_pk_fma_f32 v[126:127], v[130:131], v[2:3] /*v[258:259]*/, v[126:127] op_sel_hi:[1,0,1]
	v_mov_b32_e32 v129, v127
	s_wait_loadcnt_dscnt 0x101
	v_pk_mul_f32 v[126:127], v[132:133], v[4:5] /*v[260:261]*/ op_sel:[1,1] op_sel_hi:[0,1]
	s_set_vgpr_msb 0                        ;  msbs: dst=0 src0=0 src1=0 src2=0
	s_delay_alu instid0(VALU_DEP_2) | instskip(SKIP_1) | instid1(VALU_DEP_2)
	v_pk_add_f32 v[124:125], v[124:125], v[128:129]
	s_set_vgpr_msb 4                        ;  msbs: dst=0 src0=0 src1=1 src2=0
	v_pk_fma_f32 v[128:129], v[132:133], v[4:5] /*v[260:261]*/, v[126:127] neg_lo:[0,0,1] neg_hi:[0,0,1]
	v_pk_fma_f32 v[126:127], v[132:133], v[4:5] /*v[260:261]*/, v[126:127] op_sel_hi:[1,0,1]
	s_delay_alu instid0(VALU_DEP_1) | instskip(SKIP_2) | instid1(VALU_DEP_2)
	v_dual_mov_b32 v126, v135 :: v_dual_mov_b32 v129, v127
	v_mov_b32_e32 v127, v134
	s_set_vgpr_msb 0                        ;  msbs: dst=0 src0=0 src1=0 src2=0
	v_pk_add_f32 v[124:125], v[124:125], v[128:129]
	s_set_vgpr_msb 1                        ;  msbs: dst=0 src0=1 src1=0 src2=0
	v_mov_b32_e32 v128, v7 /*v263*/
	s_set_vgpr_msb 0                        ;  msbs: dst=0 src0=0 src1=0 src2=0
	s_delay_alu instid0(VALU_DEP_1) | instskip(SKIP_1) | instid1(VALU_DEP_1)
	v_pk_mul_f32 v[126:127], v[126:127], v[128:129] op_sel_hi:[1,0]
	s_set_vgpr_msb 4                        ;  msbs: dst=0 src0=0 src1=1 src2=0
	v_pk_fma_f32 v[128:129], v[134:135], v[6:7] /*v[262:263]*/, v[126:127] neg_lo:[0,0,1] neg_hi:[0,0,1]
	v_pk_fma_f32 v[126:127], v[134:135], v[6:7] /*v[262:263]*/, v[126:127] op_sel_hi:[1,0,1]
	s_delay_alu instid0(VALU_DEP_1) | instskip(SKIP_3) | instid1(VALU_DEP_2)
	v_mov_b32_e32 v129, v127
	s_wait_loadcnt_dscnt 0x0
	v_pk_mul_f32 v[126:127], v[136:137], v[8:9] /*v[264:265]*/ op_sel:[1,1] op_sel_hi:[0,1]
	s_set_vgpr_msb 0                        ;  msbs: dst=0 src0=0 src1=0 src2=0
	v_pk_add_f32 v[124:125], v[124:125], v[128:129]
	s_set_vgpr_msb 4                        ;  msbs: dst=0 src0=0 src1=1 src2=0
	s_delay_alu instid0(VALU_DEP_2) | instskip(SKIP_1) | instid1(VALU_DEP_1)
	v_pk_fma_f32 v[128:129], v[136:137], v[8:9] /*v[264:265]*/, v[126:127] neg_lo:[0,0,1] neg_hi:[0,0,1]
	v_pk_fma_f32 v[126:127], v[136:137], v[8:9] /*v[264:265]*/, v[126:127] op_sel_hi:[1,0,1]
	v_dual_mov_b32 v126, v139 :: v_dual_mov_b32 v129, v127
	v_mov_b32_e32 v127, v138
	s_set_vgpr_msb 0                        ;  msbs: dst=0 src0=0 src1=0 src2=0
	s_delay_alu instid0(VALU_DEP_2) | instskip(SKIP_3) | instid1(VALU_DEP_1)
	v_pk_add_f32 v[124:125], v[124:125], v[128:129]
	s_set_vgpr_msb 1                        ;  msbs: dst=0 src0=1 src1=0 src2=0
	v_mov_b32_e32 v128, v11 /*v267*/
	s_set_vgpr_msb 0                        ;  msbs: dst=0 src0=0 src1=0 src2=0
	v_pk_mul_f32 v[126:127], v[126:127], v[128:129] op_sel_hi:[1,0]
	s_set_vgpr_msb 4                        ;  msbs: dst=0 src0=0 src1=1 src2=0
	s_delay_alu instid0(VALU_DEP_1) | instskip(SKIP_1) | instid1(VALU_DEP_1)
	v_pk_fma_f32 v[128:129], v[138:139], v[10:11] /*v[266:267]*/, v[126:127] neg_lo:[0,0,1] neg_hi:[0,0,1]
	v_pk_fma_f32 v[126:127], v[138:139], v[10:11] /*v[266:267]*/, v[126:127] op_sel_hi:[1,0,1]
	v_mov_b32_e32 v129, v127
	scratch_load_b64 v[126:127], off, off offset:160
	s_set_vgpr_msb 0                        ;  msbs: dst=0 src0=0 src1=0 src2=0
	v_pk_add_f32 v[124:125], v[124:125], v[128:129]
	s_wait_loadcnt 0x0
	s_delay_alu instid0(VALU_DEP_1)
	v_pk_add_f32 v[124:125], v[126:127], v[124:125] neg_lo:[0,1] neg_hi:[0,1]
	scratch_store_b64 off, v[124:125], off offset:160
	s_wait_xcnt 0x0
	v_cmpx_lt_u32_e32 19, v0
	s_cbranch_execz .LBB60_341
; %bb.340:
	scratch_load_b64 v[124:125], off, off offset:152
	v_mov_b64_e32 v[126:127], 0
	scratch_store_b64 off, v[126:127], off offset:152
	s_wait_loadcnt 0x0
	ds_store_b64 v1, v[124:125]
.LBB60_341:
	s_wait_xcnt 0x0
	s_or_b32 exec_lo, exec_lo, s0
	v_mov_b32_e32 v7, 0
	s_wait_storecnt_dscnt 0x0
	s_barrier_signal -1
	s_barrier_wait -1
	ds_load_b128 v[124:127], v7 offset:656
	ds_load_b128 v[128:131], v7 offset:672
	;; [unrolled: 1-line block ×4, first 2 shown]
	s_clause 0x11
	scratch_load_b128 v[140:143], off, off offset:160
	scratch_load_b128 v[144:147], off, off offset:176
	;; [unrolled: 1-line block ×16, first 2 shown]
	s_set_vgpr_msb 64                       ;  msbs: dst=1 src0=0 src1=0 src2=0
	scratch_load_b128 v[0:3] /*v[256:259]*/, off, off offset:416
	s_mov_b32 s0, exec_lo
	s_wait_loadcnt_dscnt 0x1003
	s_set_vgpr_msb 0                        ;  msbs: dst=0 src0=0 src1=0 src2=0
	v_mul_f32_e32 v9, v124, v141
	ds_load_b128 v[236:239], v7 offset:880
	ds_load_b128 v[244:247], v7 offset:896
	;; [unrolled: 1-line block ×4, first 2 shown]
	v_dual_fmac_f32 v9, v125, v140 :: v_dual_mul_f32 v11, v126, v143
	ds_load_b128 v[252:255], v7 offset:912
	ds_load_b128 v[172:175], v7 offset:752
	;; [unrolled: 1-line block ×3, first 2 shown]
	v_dual_add_f32 v9, 0, v9 :: v_dual_fmac_f32 v11, v127, v142
	ds_load_b128 v[188:191], v7 offset:784
	ds_load_b128 v[196:199], v7 offset:800
	;; [unrolled: 1-line block ×4, first 2 shown]
	s_wait_loadcnt_dscnt 0xf0d
	v_dual_add_f32 v9, v9, v11 :: v_dual_mul_f32 v11, v128, v145
	ds_load_b128 v[220:223], v7 offset:848
	ds_load_b128 v[228:231], v7 offset:864
	s_set_vgpr_msb 64                       ;  msbs: dst=1 src0=0 src1=0 src2=0
	s_clause 0x3
	scratch_load_b128 v[4:7] /*v[260:263]*/, off, off offset:432
	scratch_load_b128 v[8:11] /*v[264:267]*/, off, off offset:448
	scratch_load_b128 v[12:15] /*v[268:271]*/, off, off offset:464
	scratch_load_b64 v[22:23] /*v[278:279]*/, off, off offset:480
	s_set_vgpr_msb 0                        ;  msbs: dst=0 src0=0 src1=0 src2=0
	v_fmac_f32_e32 v11, v129, v144
	s_wait_loadcnt_dscnt 0x50b
	s_set_vgpr_msb 64                       ;  msbs: dst=1 src0=0 src1=0 src2=0
	v_mul_f32_e32 v19 /*v275*/, v246, v251
	s_set_vgpr_msb 0                        ;  msbs: dst=0 src0=0 src1=0 src2=0
	v_add_f32_e32 v9, v9, v11
	v_mul_f32_e32 v11, v130, v147
	s_delay_alu instid0(VALU_DEP_1) | instskip(NEXT) | instid1(VALU_DEP_1)
	v_fmac_f32_e32 v11, v131, v146
	v_dual_add_f32 v9, v9, v11 :: v_dual_mul_f32 v11, v132, v149
	s_delay_alu instid0(VALU_DEP_1) | instskip(NEXT) | instid1(VALU_DEP_1)
	v_fmac_f32_e32 v11, v133, v148
	v_add_f32_e32 v9, v9, v11
	v_mul_f32_e32 v11, v134, v151
	s_delay_alu instid0(VALU_DEP_1) | instskip(NEXT) | instid1(VALU_DEP_1)
	v_fmac_f32_e32 v11, v135, v150
	v_dual_add_f32 v9, v9, v11 :: v_dual_mul_f32 v11, v136, v153
	s_delay_alu instid0(VALU_DEP_1) | instskip(NEXT) | instid1(VALU_DEP_1)
	v_fmac_f32_e32 v11, v137, v152
	v_add_f32_e32 v9, v9, v11
	v_mul_f32_e32 v11, v138, v155
	s_delay_alu instid0(VALU_DEP_1) | instskip(SKIP_1) | instid1(VALU_DEP_1)
	v_fmac_f32_e32 v11, v139, v154
	s_wait_dscnt 0xa
	v_dual_add_f32 v9, v9, v11 :: v_dual_mul_f32 v11, v156, v161
	s_delay_alu instid0(VALU_DEP_1) | instskip(NEXT) | instid1(VALU_DEP_1)
	v_fmac_f32_e32 v11, v157, v160
	v_add_f32_e32 v9, v9, v11
	v_mul_f32_e32 v11, v158, v163
	s_delay_alu instid0(VALU_DEP_1) | instskip(SKIP_1) | instid1(VALU_DEP_1)
	v_fmac_f32_e32 v11, v159, v162
	s_wait_dscnt 0x9
	;; [unrolled: 8-line block ×10, first 2 shown]
	v_dual_add_f32 v9, v9, v11 :: v_dual_mul_f32 v11, v228, v233
	s_delay_alu instid0(VALU_DEP_1) | instskip(NEXT) | instid1(VALU_DEP_1)
	v_fmac_f32_e32 v11, v229, v232
	v_add_f32_e32 v9, v9, v11
	v_mul_f32_e32 v11, v230, v235
	s_delay_alu instid0(VALU_DEP_1) | instskip(NEXT) | instid1(VALU_DEP_1)
	v_fmac_f32_e32 v11, v231, v234
	v_dual_add_f32 v9, v9, v11 :: v_dual_mul_f32 v11, v236, v241
	s_delay_alu instid0(VALU_DEP_1) | instskip(NEXT) | instid1(VALU_DEP_1)
	v_fmac_f32_e32 v11, v237, v240
	v_add_f32_e32 v9, v9, v11
	v_mul_f32_e32 v11, v238, v243
	s_delay_alu instid0(VALU_DEP_1) | instskip(NEXT) | instid1(VALU_DEP_1)
	v_fmac_f32_e32 v11, v239, v242
	v_dual_add_f32 v9, v9, v11 :: v_dual_mul_f32 v11, v244, v249
	s_delay_alu instid0(VALU_DEP_1) | instskip(SKIP_1) | instid1(VALU_DEP_1)
	v_fmac_f32_e32 v11, v245, v248
	s_set_vgpr_msb 64                       ;  msbs: dst=1 src0=0 src1=0 src2=0
	v_add_f32_e32 v17 /*v273*/, v9, v11
	s_set_vgpr_msb 0                        ;  msbs: dst=0 src0=0 src1=0 src2=0
	v_dual_mul_f32 v9, v125, v141 :: v_dual_mul_f32 v11, v127, v143
	s_delay_alu instid0(VALU_DEP_1) | instskip(NEXT) | instid1(VALU_DEP_2)
	v_dual_mov_b32 v141, v254 :: v_dual_fma_f32 v9, v124, v140, -v9
	v_dual_fma_f32 v11, v126, v142, -v11 :: v_dual_mov_b32 v140, v255
	s_wait_loadcnt 0x4
	s_set_vgpr_msb 1                        ;  msbs: dst=0 src0=1 src1=0 src2=0
	s_delay_alu instid0(VALU_DEP_2) | instskip(SKIP_1) | instid1(VALU_DEP_1)
	v_dual_mov_b32 v142, v3 /*v259*/ :: v_dual_add_f32 v9, 0, v9
	s_set_vgpr_msb 0                        ;  msbs: dst=0 src0=0 src1=0 src2=0
	v_pk_mul_f32 v[140:141], v[140:141], v[142:143] op_sel_hi:[1,0]
	s_delay_alu instid0(VALU_DEP_2) | instskip(SKIP_2) | instid1(VALU_DEP_3)
	v_add_f32_e32 v9, v9, v11
	v_mul_f32_e32 v11, v129, v145
	s_set_vgpr_msb 4                        ;  msbs: dst=0 src0=0 src1=1 src2=0
	v_pk_fma_f32 v[142:143], v[254:255], v[2:3] /*v[258:259]*/, v[140:141] neg_lo:[0,0,1] neg_hi:[0,0,1]
	v_pk_fma_f32 v[140:141], v[254:255], v[2:3] /*v[258:259]*/, v[140:141] op_sel_hi:[1,0,1]
	s_set_vgpr_msb 0                        ;  msbs: dst=0 src0=0 src1=0 src2=0
	s_delay_alu instid0(VALU_DEP_1) | instskip(NEXT) | instid1(VALU_DEP_1)
	v_dual_fma_f32 v11, v128, v144, -v11 :: v_dual_mov_b32 v143, v141
	v_add_f32_e32 v9, v9, v11
	v_mul_f32_e32 v11, v131, v147
	s_delay_alu instid0(VALU_DEP_1) | instskip(NEXT) | instid1(VALU_DEP_1)
	v_fma_f32 v11, v130, v146, -v11
	v_add_f32_e32 v9, v9, v11
	v_mul_f32_e32 v11, v133, v149
	s_delay_alu instid0(VALU_DEP_1) | instskip(NEXT) | instid1(VALU_DEP_1)
	v_fma_f32 v11, v132, v148, -v11
	;; [unrolled: 4-line block ×3, first 2 shown]
	v_add_f32_e32 v9, v9, v11
	v_mul_f32_e32 v11, v137, v153
	s_delay_alu instid0(VALU_DEP_1)
	v_fma_f32 v11, v136, v152, -v11
	ds_load_b128 v[124:127], v7 offset:928
	ds_load_b128 v[128:131], v7 offset:944
	ds_load_b128 v[132:135], v7 offset:960
	ds_load_b64 v[136:137], v7 offset:976
	v_add_f32_e32 v9, v9, v11
	v_mul_f32_e32 v11, v139, v155
	s_delay_alu instid0(VALU_DEP_1) | instskip(NEXT) | instid1(VALU_DEP_1)
	v_fma_f32 v11, v138, v154, -v11
	v_add_f32_e32 v9, v9, v11
	v_mul_f32_e32 v11, v157, v161
	s_wait_loadcnt_dscnt 0x303
	s_set_vgpr_msb 4                        ;  msbs: dst=0 src0=0 src1=1 src2=0
	v_pk_mul_f32 v[140:141], v[124:125], v[4:5] /*v[260:261]*/ op_sel:[1,1] op_sel_hi:[0,1]
	s_set_vgpr_msb 0                        ;  msbs: dst=0 src0=0 src1=0 src2=0
	v_fma_f32 v11, v156, v160, -v11
	s_delay_alu instid0(VALU_DEP_1) | instskip(SKIP_1) | instid1(VALU_DEP_1)
	v_add_f32_e32 v9, v9, v11
	v_mul_f32_e32 v11, v159, v163
	v_fma_f32 v11, v158, v162, -v11
	s_delay_alu instid0(VALU_DEP_1) | instskip(SKIP_1) | instid1(VALU_DEP_1)
	v_add_f32_e32 v9, v9, v11
	v_mul_f32_e32 v11, v165, v169
	;; [unrolled: 4-line block ×22, first 2 shown]
	v_fma_f32 v11, v244, v248, -v11
	s_set_vgpr_msb 64                       ;  msbs: dst=1 src0=0 src1=0 src2=0
	s_delay_alu instid0(VALU_DEP_1) | instskip(SKIP_3) | instid1(VALU_DEP_1)
	v_add_f32_e32 v16 /*v272*/, v9, v11
	s_set_vgpr_msb 0                        ;  msbs: dst=0 src0=0 src1=0 src2=0
	v_mul_f32_e32 v9, v247, v251
	s_set_vgpr_msb 64                       ;  msbs: dst=1 src0=0 src1=0 src2=0
	v_fma_f32 v18 /*v274*/, v246, v250, -v9
	v_fmac_f32_e32 v19 /*v275*/, v247, v250
	s_set_vgpr_msb 4                        ;  msbs: dst=0 src0=0 src1=1 src2=0
	v_mul_f32_e32 v9, v253, v1 /*v257*/
	s_set_vgpr_msb 0x44                     ;  msbs: dst=1 src0=0 src1=1 src2=0
	v_mul_f32_e32 v21 /*v277*/, v252, v1 /*v257*/
	s_set_vgpr_msb 5                        ;  msbs: dst=0 src0=1 src1=1 src2=0
	v_pk_add_f32 v[138:139], v[16:17] /*v[272:273]*/, v[18:19] /*v[274:275]*/
	s_set_vgpr_msb 0x44                     ;  msbs: dst=1 src0=0 src1=1 src2=0
	v_fma_f32 v20 /*v276*/, v252, v0 /*v256*/, -v9
	v_fmac_f32_e32 v21 /*v277*/, v253, v0 /*v256*/
	s_set_vgpr_msb 4                        ;  msbs: dst=0 src0=0 src1=1 src2=0
	s_delay_alu instid0(VALU_DEP_1) | instskip(SKIP_1) | instid1(VALU_DEP_1)
	v_pk_add_f32 v[138:139], v[138:139], v[20:21] /*v[276:277]*/
	s_set_vgpr_msb 0                        ;  msbs: dst=0 src0=0 src1=0 src2=0
	v_pk_add_f32 v[138:139], v[138:139], v[142:143]
	s_set_vgpr_msb 4                        ;  msbs: dst=0 src0=0 src1=1 src2=0
	v_pk_fma_f32 v[142:143], v[124:125], v[4:5] /*v[260:261]*/, v[140:141] neg_lo:[0,0,1] neg_hi:[0,0,1]
	v_pk_fma_f32 v[124:125], v[124:125], v[4:5] /*v[260:261]*/, v[140:141] op_sel_hi:[1,0,1]
	s_set_vgpr_msb 1                        ;  msbs: dst=0 src0=1 src1=0 src2=0
	v_mov_b32_e32 v140, v7 /*v263*/
	s_set_vgpr_msb 0                        ;  msbs: dst=0 src0=0 src1=0 src2=0
	s_delay_alu instid0(VALU_DEP_2) | instskip(NEXT) | instid1(VALU_DEP_1)
	v_mov_b32_e32 v143, v125
	v_pk_add_f32 v[124:125], v[138:139], v[142:143]
	v_dual_mov_b32 v138, v127 :: v_dual_mov_b32 v139, v126
	s_delay_alu instid0(VALU_DEP_1) | instskip(SKIP_1) | instid1(VALU_DEP_1)
	v_pk_mul_f32 v[138:139], v[138:139], v[140:141] op_sel_hi:[1,0]
	s_set_vgpr_msb 4                        ;  msbs: dst=0 src0=0 src1=1 src2=0
	v_pk_fma_f32 v[140:141], v[126:127], v[6:7] /*v[262:263]*/, v[138:139] neg_lo:[0,0,1] neg_hi:[0,0,1]
	v_pk_fma_f32 v[126:127], v[126:127], v[6:7] /*v[262:263]*/, v[138:139] op_sel_hi:[1,0,1]
	s_delay_alu instid0(VALU_DEP_1) | instskip(SKIP_3) | instid1(VALU_DEP_2)
	v_mov_b32_e32 v141, v127
	s_wait_loadcnt_dscnt 0x202
	v_pk_mul_f32 v[126:127], v[128:129], v[8:9] /*v[264:265]*/ op_sel:[1,1] op_sel_hi:[0,1]
	s_set_vgpr_msb 0                        ;  msbs: dst=0 src0=0 src1=0 src2=0
	v_pk_add_f32 v[124:125], v[124:125], v[140:141]
	s_set_vgpr_msb 4                        ;  msbs: dst=0 src0=0 src1=1 src2=0
	s_delay_alu instid0(VALU_DEP_2)
	v_pk_fma_f32 v[138:139], v[128:129], v[8:9] /*v[264:265]*/, v[126:127] neg_lo:[0,0,1] neg_hi:[0,0,1]
	v_pk_fma_f32 v[126:127], v[128:129], v[8:9] /*v[264:265]*/, v[126:127] op_sel_hi:[1,0,1]
	v_mov_b32_e32 v126, v131
	s_set_vgpr_msb 1                        ;  msbs: dst=0 src0=1 src1=0 src2=0
	v_mov_b32_e32 v128, v11 /*v267*/
	s_set_vgpr_msb 0                        ;  msbs: dst=0 src0=0 src1=0 src2=0
	v_dual_mov_b32 v139, v127 :: v_dual_mov_b32 v127, v130
	s_delay_alu instid0(VALU_DEP_1) | instskip(NEXT) | instid1(VALU_DEP_2)
	v_pk_add_f32 v[124:125], v[124:125], v[138:139]
	v_pk_mul_f32 v[126:127], v[126:127], v[128:129] op_sel_hi:[1,0]
	s_set_vgpr_msb 4                        ;  msbs: dst=0 src0=0 src1=1 src2=0
	s_delay_alu instid0(VALU_DEP_1) | instskip(SKIP_1) | instid1(VALU_DEP_1)
	v_pk_fma_f32 v[128:129], v[130:131], v[10:11] /*v[266:267]*/, v[126:127] neg_lo:[0,0,1] neg_hi:[0,0,1]
	v_pk_fma_f32 v[126:127], v[130:131], v[10:11] /*v[266:267]*/, v[126:127] op_sel_hi:[1,0,1]
	v_mov_b32_e32 v129, v127
	s_wait_loadcnt_dscnt 0x101
	v_pk_mul_f32 v[126:127], v[132:133], v[12:13] /*v[268:269]*/ op_sel:[1,1] op_sel_hi:[0,1]
	s_set_vgpr_msb 0                        ;  msbs: dst=0 src0=0 src1=0 src2=0
	s_delay_alu instid0(VALU_DEP_2) | instskip(SKIP_1) | instid1(VALU_DEP_2)
	v_pk_add_f32 v[124:125], v[124:125], v[128:129]
	s_set_vgpr_msb 4                        ;  msbs: dst=0 src0=0 src1=1 src2=0
	v_pk_fma_f32 v[128:129], v[132:133], v[12:13] /*v[268:269]*/, v[126:127] neg_lo:[0,0,1] neg_hi:[0,0,1]
	v_pk_fma_f32 v[126:127], v[132:133], v[12:13] /*v[268:269]*/, v[126:127] op_sel_hi:[1,0,1]
	s_delay_alu instid0(VALU_DEP_1) | instskip(SKIP_2) | instid1(VALU_DEP_2)
	v_dual_mov_b32 v126, v135 :: v_dual_mov_b32 v129, v127
	v_mov_b32_e32 v127, v134
	s_set_vgpr_msb 0                        ;  msbs: dst=0 src0=0 src1=0 src2=0
	v_pk_add_f32 v[124:125], v[124:125], v[128:129]
	s_set_vgpr_msb 1                        ;  msbs: dst=0 src0=1 src1=0 src2=0
	v_mov_b32_e32 v128, v15 /*v271*/
	s_set_vgpr_msb 0                        ;  msbs: dst=0 src0=0 src1=0 src2=0
	s_delay_alu instid0(VALU_DEP_1) | instskip(SKIP_1) | instid1(VALU_DEP_1)
	v_pk_mul_f32 v[126:127], v[126:127], v[128:129] op_sel_hi:[1,0]
	s_set_vgpr_msb 4                        ;  msbs: dst=0 src0=0 src1=1 src2=0
	v_pk_fma_f32 v[128:129], v[134:135], v[14:15] /*v[270:271]*/, v[126:127] neg_lo:[0,0,1] neg_hi:[0,0,1]
	v_pk_fma_f32 v[126:127], v[134:135], v[14:15] /*v[270:271]*/, v[126:127] op_sel_hi:[1,0,1]
	s_delay_alu instid0(VALU_DEP_1) | instskip(SKIP_3) | instid1(VALU_DEP_2)
	v_mov_b32_e32 v129, v127
	s_wait_loadcnt_dscnt 0x0
	v_pk_mul_f32 v[126:127], v[136:137], v[22:23] /*v[278:279]*/ op_sel:[1,1] op_sel_hi:[0,1]
	s_set_vgpr_msb 0                        ;  msbs: dst=0 src0=0 src1=0 src2=0
	v_pk_add_f32 v[124:125], v[124:125], v[128:129]
	s_set_vgpr_msb 4                        ;  msbs: dst=0 src0=0 src1=1 src2=0
	s_delay_alu instid0(VALU_DEP_2) | instskip(SKIP_1) | instid1(VALU_DEP_1)
	v_pk_fma_f32 v[128:129], v[136:137], v[22:23] /*v[278:279]*/, v[126:127] neg_lo:[0,0,1] neg_hi:[0,0,1]
	v_pk_fma_f32 v[126:127], v[136:137], v[22:23] /*v[278:279]*/, v[126:127] op_sel_hi:[1,0,1]
	v_mov_b32_e32 v129, v127
	scratch_load_b64 v[126:127], off, off offset:152
	s_set_vgpr_msb 0                        ;  msbs: dst=0 src0=0 src1=0 src2=0
	v_pk_add_f32 v[124:125], v[124:125], v[128:129]
	s_wait_loadcnt 0x0
	s_delay_alu instid0(VALU_DEP_1)
	v_pk_add_f32 v[124:125], v[126:127], v[124:125] neg_lo:[0,1] neg_hi:[0,1]
	scratch_store_b64 off, v[124:125], off offset:152
	s_wait_xcnt 0x0
	v_cmpx_lt_u32_e32 18, v0
	s_cbranch_execz .LBB60_343
; %bb.342:
	scratch_load_b64 v[124:125], off, off offset:144
	v_mov_b64_e32 v[126:127], 0
	scratch_store_b64 off, v[126:127], off offset:144
	s_wait_loadcnt 0x0
	ds_store_b64 v1, v[124:125]
.LBB60_343:
	s_wait_xcnt 0x0
	s_or_b32 exec_lo, exec_lo, s0
	s_wait_storecnt_dscnt 0x0
	s_barrier_signal -1
	s_barrier_wait -1
	s_clause 0xf
	scratch_load_b128 v[128:131], off, off offset:152
	scratch_load_b128 v[136:139], off, off offset:168
	;; [unrolled: 1-line block ×16, first 2 shown]
	ds_load_2addr_b64 v[124:127], v7 offset0:81 offset1:82
	ds_load_2addr_b64 v[132:135], v7 offset0:83 offset1:84
	;; [unrolled: 1-line block ×16, first 2 shown]
	s_set_vgpr_msb 64                       ;  msbs: dst=1 src0=0 src1=0 src2=0
	scratch_load_b128 v[0:3] /*v[256:259]*/, off, off offset:408
	s_set_vgpr_msb 0                        ;  msbs: dst=0 src0=0 src1=0 src2=0
	ds_load_2addr_b64 v[252:255], v7 offset0:113 offset1:114
	s_set_vgpr_msb 64                       ;  msbs: dst=1 src0=0 src1=0 src2=0
	s_clause 0x3
	scratch_load_b128 v[4:7] /*v[260:263]*/, off, off offset:424
	scratch_load_b128 v[8:11] /*v[264:267]*/, off, off offset:440
	;; [unrolled: 1-line block ×4, first 2 shown]
	s_mov_b32 s0, exec_lo
	s_wait_loadcnt_dscnt 0x1410
	s_set_vgpr_msb 0                        ;  msbs: dst=0 src0=0 src1=0 src2=0
	v_dual_mul_f32 v9, v124, v129 :: v_dual_mul_f32 v11, v126, v131
	s_delay_alu instid0(VALU_DEP_1) | instskip(NEXT) | instid1(VALU_DEP_1)
	v_dual_fmac_f32 v9, v125, v128 :: v_dual_fmac_f32 v11, v127, v130
	v_add_f32_e32 v9, 0, v9
	s_wait_loadcnt_dscnt 0x130f
	s_delay_alu instid0(VALU_DEP_1) | instskip(NEXT) | instid1(VALU_DEP_1)
	v_dual_add_f32 v9, v9, v11 :: v_dual_mul_f32 v11, v132, v137
	v_fmac_f32_e32 v11, v133, v136
	s_delay_alu instid0(VALU_DEP_1) | instskip(SKIP_1) | instid1(VALU_DEP_1)
	v_add_f32_e32 v9, v9, v11
	v_mul_f32_e32 v11, v134, v139
	v_fmac_f32_e32 v11, v135, v138
	s_wait_loadcnt_dscnt 0x400
	s_set_vgpr_msb 0x44                     ;  msbs: dst=1 src0=0 src1=1 src2=0
	v_dual_mul_f32 v23 /*v279*/, v252, v1 /*v257*/ :: v_dual_mul_f32 v25 /*v281*/, v254, v3 /*v259*/
	s_set_vgpr_msb 0                        ;  msbs: dst=0 src0=0 src1=0 src2=0
	v_dual_add_f32 v9, v9, v11 :: v_dual_mul_f32 v11, v140, v145
	s_set_vgpr_msb 0x44                     ;  msbs: dst=1 src0=0 src1=1 src2=0
	s_delay_alu instid0(VALU_DEP_2) | instskip(SKIP_1) | instid1(VALU_DEP_2)
	v_dual_fmac_f32 v23 /*v279*/, v253, v0 /*v256*/ :: v_dual_fmac_f32 v25 /*v281*/, v255, v2 /*v258*/
	s_set_vgpr_msb 0                        ;  msbs: dst=0 src0=0 src1=0 src2=0
	v_fmac_f32_e32 v11, v141, v144
	s_delay_alu instid0(VALU_DEP_1) | instskip(SKIP_1) | instid1(VALU_DEP_1)
	v_add_f32_e32 v9, v9, v11
	v_mul_f32_e32 v11, v142, v147
	v_fmac_f32_e32 v11, v143, v146
	s_delay_alu instid0(VALU_DEP_1) | instskip(NEXT) | instid1(VALU_DEP_1)
	v_dual_add_f32 v9, v9, v11 :: v_dual_mul_f32 v11, v148, v153
	v_fmac_f32_e32 v11, v149, v152
	s_delay_alu instid0(VALU_DEP_1) | instskip(SKIP_1) | instid1(VALU_DEP_1)
	v_add_f32_e32 v9, v9, v11
	v_mul_f32_e32 v11, v150, v155
	v_fmac_f32_e32 v11, v151, v154
	s_delay_alu instid0(VALU_DEP_1) | instskip(NEXT) | instid1(VALU_DEP_1)
	v_dual_add_f32 v9, v9, v11 :: v_dual_mul_f32 v11, v156, v161
	;; [unrolled: 7-line block ×13, first 2 shown]
	v_fmac_f32_e32 v11, v245, v248
	s_delay_alu instid0(VALU_DEP_1) | instskip(SKIP_1) | instid1(VALU_DEP_1)
	v_add_f32_e32 v9, v9, v11
	v_mul_f32_e32 v11, v246, v251
	v_fmac_f32_e32 v11, v247, v250
	s_set_vgpr_msb 64                       ;  msbs: dst=1 src0=0 src1=0 src2=0
	s_delay_alu instid0(VALU_DEP_1) | instskip(SKIP_2) | instid1(VALU_DEP_1)
	v_add_f32_e32 v21 /*v277*/, v9, v11
	s_set_vgpr_msb 0                        ;  msbs: dst=0 src0=0 src1=0 src2=0
	v_dual_mul_f32 v9, v125, v129 :: v_dual_mul_f32 v11, v127, v131
	v_dual_fma_f32 v9, v124, v128, -v9 :: v_dual_fma_f32 v11, v126, v130, -v11
	s_delay_alu instid0(VALU_DEP_1) | instskip(NEXT) | instid1(VALU_DEP_1)
	v_add_f32_e32 v9, 0, v9
	v_add_f32_e32 v9, v9, v11
	v_mul_f32_e32 v11, v133, v137
	s_delay_alu instid0(VALU_DEP_1) | instskip(NEXT) | instid1(VALU_DEP_1)
	v_fma_f32 v11, v132, v136, -v11
	v_add_f32_e32 v9, v9, v11
	v_mul_f32_e32 v11, v135, v139
	s_delay_alu instid0(VALU_DEP_1)
	v_fma_f32 v11, v134, v138, -v11
	ds_load_2addr_b64 v[124:127], v7 offset0:115 offset1:116
	ds_load_2addr_b64 v[128:131], v7 offset0:117 offset1:118
	;; [unrolled: 1-line block ×4, first 2 shown]
	v_add_f32_e32 v9, v9, v11
	v_mul_f32_e32 v11, v141, v145
	s_delay_alu instid0(VALU_DEP_1) | instskip(NEXT) | instid1(VALU_DEP_1)
	v_fma_f32 v11, v140, v144, -v11
	v_add_f32_e32 v9, v9, v11
	v_mul_f32_e32 v11, v143, v147
	s_delay_alu instid0(VALU_DEP_1)
	v_fma_f32 v11, v142, v146, -v11
	s_wait_loadcnt_dscnt 0x303
	s_set_vgpr_msb 4                        ;  msbs: dst=0 src0=0 src1=1 src2=0
	v_pk_mul_f32 v[142:143], v[124:125], v[4:5] /*v[260:261]*/ op_sel:[1,1] op_sel_hi:[0,1]
	s_set_vgpr_msb 0                        ;  msbs: dst=0 src0=0 src1=0 src2=0
	v_add_f32_e32 v9, v9, v11
	v_mul_f32_e32 v11, v149, v153
	s_set_vgpr_msb 4                        ;  msbs: dst=0 src0=0 src1=1 src2=0
	v_pk_fma_f32 v[144:145], v[124:125], v[4:5] /*v[260:261]*/, v[142:143] neg_lo:[0,0,1] neg_hi:[0,0,1]
	v_pk_fma_f32 v[124:125], v[124:125], v[4:5] /*v[260:261]*/, v[142:143] op_sel_hi:[1,0,1]
	s_set_vgpr_msb 1                        ;  msbs: dst=0 src0=1 src1=0 src2=0
	v_mov_b32_e32 v142, v7 /*v263*/
	s_set_vgpr_msb 0                        ;  msbs: dst=0 src0=0 src1=0 src2=0
	s_delay_alu instid0(VALU_DEP_2) | instskip(NEXT) | instid1(VALU_DEP_1)
	v_dual_fma_f32 v11, v148, v152, -v11 :: v_dual_mov_b32 v145, v125
	v_add_f32_e32 v9, v9, v11
	v_mul_f32_e32 v11, v151, v155
	s_delay_alu instid0(VALU_DEP_1) | instskip(NEXT) | instid1(VALU_DEP_1)
	v_fma_f32 v11, v150, v154, -v11
	v_add_f32_e32 v9, v9, v11
	v_mul_f32_e32 v11, v157, v161
	s_delay_alu instid0(VALU_DEP_1) | instskip(NEXT) | instid1(VALU_DEP_1)
	v_fma_f32 v11, v156, v160, -v11
	;; [unrolled: 4-line block ×24, first 2 shown]
	v_add_f32_e32 v9, v9, v11
	v_mul_f32_e32 v11, v247, v251
	s_delay_alu instid0(VALU_DEP_1) | instskip(SKIP_1) | instid1(VALU_DEP_1)
	v_fma_f32 v11, v246, v250, -v11
	s_set_vgpr_msb 64                       ;  msbs: dst=1 src0=0 src1=0 src2=0
	v_add_f32_e32 v20 /*v276*/, v9, v11
	s_set_vgpr_msb 4                        ;  msbs: dst=0 src0=0 src1=1 src2=0
	v_mul_f32_e32 v9, v253, v1 /*v257*/
	s_set_vgpr_msb 0x44                     ;  msbs: dst=1 src0=0 src1=1 src2=0
	s_delay_alu instid0(VALU_DEP_1) | instskip(SKIP_3) | instid1(VALU_DEP_1)
	v_fma_f32 v22 /*v278*/, v252, v0 /*v256*/, -v9
	s_set_vgpr_msb 4                        ;  msbs: dst=0 src0=0 src1=1 src2=0
	v_mul_f32_e32 v9, v255, v3 /*v259*/
	s_set_vgpr_msb 0x44                     ;  msbs: dst=1 src0=0 src1=1 src2=0
	v_fma_f32 v24 /*v280*/, v254, v2 /*v258*/, -v9
	s_set_vgpr_msb 5                        ;  msbs: dst=0 src0=1 src1=1 src2=0
	v_pk_add_f32 v[140:141], v[20:21] /*v[276:277]*/, v[22:23] /*v[278:279]*/
	s_set_vgpr_msb 4                        ;  msbs: dst=0 src0=0 src1=1 src2=0
	s_delay_alu instid0(VALU_DEP_1) | instskip(SKIP_1) | instid1(VALU_DEP_1)
	v_pk_add_f32 v[140:141], v[140:141], v[24:25] /*v[280:281]*/
	s_set_vgpr_msb 0                        ;  msbs: dst=0 src0=0 src1=0 src2=0
	v_pk_add_f32 v[124:125], v[140:141], v[144:145]
	v_dual_mov_b32 v140, v127 :: v_dual_mov_b32 v141, v126
	s_delay_alu instid0(VALU_DEP_1) | instskip(SKIP_1) | instid1(VALU_DEP_1)
	v_pk_mul_f32 v[140:141], v[140:141], v[142:143] op_sel_hi:[1,0]
	s_set_vgpr_msb 4                        ;  msbs: dst=0 src0=0 src1=1 src2=0
	v_pk_fma_f32 v[142:143], v[126:127], v[6:7] /*v[262:263]*/, v[140:141] neg_lo:[0,0,1] neg_hi:[0,0,1]
	v_pk_fma_f32 v[126:127], v[126:127], v[6:7] /*v[262:263]*/, v[140:141] op_sel_hi:[1,0,1]
	s_delay_alu instid0(VALU_DEP_1) | instskip(SKIP_3) | instid1(VALU_DEP_2)
	v_mov_b32_e32 v143, v127
	s_wait_loadcnt_dscnt 0x202
	v_pk_mul_f32 v[126:127], v[128:129], v[8:9] /*v[264:265]*/ op_sel:[1,1] op_sel_hi:[0,1]
	s_set_vgpr_msb 0                        ;  msbs: dst=0 src0=0 src1=0 src2=0
	v_pk_add_f32 v[124:125], v[124:125], v[142:143]
	s_set_vgpr_msb 4                        ;  msbs: dst=0 src0=0 src1=1 src2=0
	s_delay_alu instid0(VALU_DEP_2)
	v_pk_fma_f32 v[140:141], v[128:129], v[8:9] /*v[264:265]*/, v[126:127] neg_lo:[0,0,1] neg_hi:[0,0,1]
	v_pk_fma_f32 v[126:127], v[128:129], v[8:9] /*v[264:265]*/, v[126:127] op_sel_hi:[1,0,1]
	v_mov_b32_e32 v126, v131
	s_set_vgpr_msb 1                        ;  msbs: dst=0 src0=1 src1=0 src2=0
	v_mov_b32_e32 v128, v11 /*v267*/
	s_set_vgpr_msb 0                        ;  msbs: dst=0 src0=0 src1=0 src2=0
	v_dual_mov_b32 v141, v127 :: v_dual_mov_b32 v127, v130
	s_delay_alu instid0(VALU_DEP_1) | instskip(NEXT) | instid1(VALU_DEP_2)
	v_pk_add_f32 v[124:125], v[124:125], v[140:141]
	v_pk_mul_f32 v[126:127], v[126:127], v[128:129] op_sel_hi:[1,0]
	s_set_vgpr_msb 4                        ;  msbs: dst=0 src0=0 src1=1 src2=0
	s_delay_alu instid0(VALU_DEP_1) | instskip(SKIP_1) | instid1(VALU_DEP_1)
	v_pk_fma_f32 v[128:129], v[130:131], v[10:11] /*v[266:267]*/, v[126:127] neg_lo:[0,0,1] neg_hi:[0,0,1]
	v_pk_fma_f32 v[126:127], v[130:131], v[10:11] /*v[266:267]*/, v[126:127] op_sel_hi:[1,0,1]
	v_mov_b32_e32 v129, v127
	s_wait_loadcnt_dscnt 0x101
	v_pk_mul_f32 v[126:127], v[132:133], v[12:13] /*v[268:269]*/ op_sel:[1,1] op_sel_hi:[0,1]
	s_set_vgpr_msb 0                        ;  msbs: dst=0 src0=0 src1=0 src2=0
	s_delay_alu instid0(VALU_DEP_2) | instskip(SKIP_1) | instid1(VALU_DEP_2)
	v_pk_add_f32 v[124:125], v[124:125], v[128:129]
	s_set_vgpr_msb 4                        ;  msbs: dst=0 src0=0 src1=1 src2=0
	v_pk_fma_f32 v[128:129], v[132:133], v[12:13] /*v[268:269]*/, v[126:127] neg_lo:[0,0,1] neg_hi:[0,0,1]
	v_pk_fma_f32 v[126:127], v[132:133], v[12:13] /*v[268:269]*/, v[126:127] op_sel_hi:[1,0,1]
	s_delay_alu instid0(VALU_DEP_1) | instskip(SKIP_2) | instid1(VALU_DEP_2)
	v_dual_mov_b32 v126, v135 :: v_dual_mov_b32 v129, v127
	v_mov_b32_e32 v127, v134
	s_set_vgpr_msb 0                        ;  msbs: dst=0 src0=0 src1=0 src2=0
	v_pk_add_f32 v[124:125], v[124:125], v[128:129]
	s_set_vgpr_msb 1                        ;  msbs: dst=0 src0=1 src1=0 src2=0
	v_mov_b32_e32 v128, v15 /*v271*/
	s_set_vgpr_msb 0                        ;  msbs: dst=0 src0=0 src1=0 src2=0
	s_delay_alu instid0(VALU_DEP_1) | instskip(SKIP_1) | instid1(VALU_DEP_1)
	v_pk_mul_f32 v[126:127], v[126:127], v[128:129] op_sel_hi:[1,0]
	s_set_vgpr_msb 4                        ;  msbs: dst=0 src0=0 src1=1 src2=0
	v_pk_fma_f32 v[128:129], v[134:135], v[14:15] /*v[270:271]*/, v[126:127] neg_lo:[0,0,1] neg_hi:[0,0,1]
	v_pk_fma_f32 v[126:127], v[134:135], v[14:15] /*v[270:271]*/, v[126:127] op_sel_hi:[1,0,1]
	s_delay_alu instid0(VALU_DEP_1) | instskip(SKIP_3) | instid1(VALU_DEP_2)
	v_mov_b32_e32 v129, v127
	s_wait_loadcnt_dscnt 0x0
	v_pk_mul_f32 v[126:127], v[136:137], v[16:17] /*v[272:273]*/ op_sel:[1,1] op_sel_hi:[0,1]
	s_set_vgpr_msb 0                        ;  msbs: dst=0 src0=0 src1=0 src2=0
	v_pk_add_f32 v[124:125], v[124:125], v[128:129]
	s_set_vgpr_msb 4                        ;  msbs: dst=0 src0=0 src1=1 src2=0
	s_delay_alu instid0(VALU_DEP_2) | instskip(SKIP_1) | instid1(VALU_DEP_1)
	v_pk_fma_f32 v[128:129], v[136:137], v[16:17] /*v[272:273]*/, v[126:127] neg_lo:[0,0,1] neg_hi:[0,0,1]
	v_pk_fma_f32 v[126:127], v[136:137], v[16:17] /*v[272:273]*/, v[126:127] op_sel_hi:[1,0,1]
	v_dual_mov_b32 v126, v139 :: v_dual_mov_b32 v129, v127
	v_mov_b32_e32 v127, v138
	s_set_vgpr_msb 0                        ;  msbs: dst=0 src0=0 src1=0 src2=0
	s_delay_alu instid0(VALU_DEP_2) | instskip(SKIP_3) | instid1(VALU_DEP_1)
	v_pk_add_f32 v[124:125], v[124:125], v[128:129]
	s_set_vgpr_msb 1                        ;  msbs: dst=0 src0=1 src1=0 src2=0
	v_mov_b32_e32 v128, v19 /*v275*/
	s_set_vgpr_msb 0                        ;  msbs: dst=0 src0=0 src1=0 src2=0
	v_pk_mul_f32 v[126:127], v[126:127], v[128:129] op_sel_hi:[1,0]
	s_set_vgpr_msb 4                        ;  msbs: dst=0 src0=0 src1=1 src2=0
	s_delay_alu instid0(VALU_DEP_1) | instskip(SKIP_1) | instid1(VALU_DEP_1)
	v_pk_fma_f32 v[128:129], v[138:139], v[18:19] /*v[274:275]*/, v[126:127] neg_lo:[0,0,1] neg_hi:[0,0,1]
	v_pk_fma_f32 v[126:127], v[138:139], v[18:19] /*v[274:275]*/, v[126:127] op_sel_hi:[1,0,1]
	v_mov_b32_e32 v129, v127
	scratch_load_b64 v[126:127], off, off offset:144
	s_set_vgpr_msb 0                        ;  msbs: dst=0 src0=0 src1=0 src2=0
	v_pk_add_f32 v[124:125], v[124:125], v[128:129]
	s_wait_loadcnt 0x0
	s_delay_alu instid0(VALU_DEP_1)
	v_pk_add_f32 v[124:125], v[126:127], v[124:125] neg_lo:[0,1] neg_hi:[0,1]
	scratch_store_b64 off, v[124:125], off offset:144
	s_wait_xcnt 0x0
	v_cmpx_lt_u32_e32 17, v0
	s_cbranch_execz .LBB60_345
; %bb.344:
	scratch_load_b64 v[124:125], off, off offset:136
	v_mov_b64_e32 v[126:127], 0
	scratch_store_b64 off, v[126:127], off offset:136
	s_wait_loadcnt 0x0
	ds_store_b64 v1, v[124:125]
.LBB60_345:
	s_wait_xcnt 0x0
	s_or_b32 exec_lo, exec_lo, s0
	v_mov_b32_e32 v7, 0
	s_wait_storecnt_dscnt 0x0
	s_barrier_signal -1
	s_barrier_wait -1
	ds_load_b128 v[124:127], v7 offset:640
	ds_load_b128 v[128:131], v7 offset:656
	ds_load_b128 v[132:135], v7 offset:672
	ds_load_b128 v[136:139], v7 offset:688
	s_clause 0x12
	scratch_load_b128 v[140:143], off, off offset:144
	scratch_load_b128 v[144:147], off, off offset:160
	;; [unrolled: 1-line block ×16, first 2 shown]
	s_set_vgpr_msb 64                       ;  msbs: dst=1 src0=0 src1=0 src2=0
	scratch_load_b128 v[0:3] /*v[256:259]*/, off, off offset:400
	scratch_load_b128 v[8:11] /*v[264:267]*/, off, off offset:416
	s_mov_b32 s0, exec_lo
	s_wait_loadcnt_dscnt 0x1103
	s_set_vgpr_msb 0                        ;  msbs: dst=0 src0=0 src1=0 src2=0
	v_mul_f32_e32 v9, v124, v141
	ds_load_b128 v[156:159], v7 offset:704
	ds_load_b128 v[164:167], v7 offset:720
	ds_load_b128 v[172:175], v7 offset:736
	ds_load_b128 v[180:183], v7 offset:752
	v_dual_fmac_f32 v9, v125, v140 :: v_dual_mul_f32 v11, v126, v143
	ds_load_b128 v[188:191], v7 offset:768
	ds_load_b128 v[196:199], v7 offset:784
	;; [unrolled: 1-line block ×4, first 2 shown]
	v_dual_add_f32 v9, 0, v9 :: v_dual_fmac_f32 v11, v127, v142
	ds_load_b128 v[220:223], v7 offset:832
	ds_load_b128 v[228:231], v7 offset:848
	;; [unrolled: 1-line block ×4, first 2 shown]
	s_wait_loadcnt_dscnt 0x100e
	v_dual_add_f32 v9, v9, v11 :: v_dual_mul_f32 v11, v128, v145
	ds_load_b128 v[252:255], v7 offset:896
	s_set_vgpr_msb 64                       ;  msbs: dst=1 src0=0 src1=0 src2=0
	ds_load_b128 v[4:7] /*v[260:263]*/, v7 offset:912
	s_clause 0x3
	scratch_load_b128 v[12:15] /*v[268:271]*/, off, off offset:432
	scratch_load_b128 v[16:19] /*v[272:275]*/, off, off offset:448
	;; [unrolled: 1-line block ×3, first 2 shown]
	scratch_load_b64 v[30:31] /*v[286:287]*/, off, off offset:480
	s_set_vgpr_msb 0                        ;  msbs: dst=0 src0=0 src1=0 src2=0
	v_fmac_f32_e32 v11, v129, v144
	s_delay_alu instid0(VALU_DEP_1) | instskip(SKIP_1) | instid1(VALU_DEP_1)
	v_add_f32_e32 v9, v9, v11
	v_mul_f32_e32 v11, v130, v147
	v_fmac_f32_e32 v11, v131, v146
	s_wait_loadcnt_dscnt 0x130f
	s_delay_alu instid0(VALU_DEP_1) | instskip(NEXT) | instid1(VALU_DEP_1)
	v_dual_add_f32 v9, v9, v11 :: v_dual_mul_f32 v11, v132, v149
	v_fmac_f32_e32 v11, v133, v148
	s_delay_alu instid0(VALU_DEP_1) | instskip(SKIP_1) | instid1(VALU_DEP_1)
	v_add_f32_e32 v9, v9, v11
	v_mul_f32_e32 v11, v134, v151
	v_fmac_f32_e32 v11, v135, v150
	s_wait_loadcnt_dscnt 0x120e
	s_delay_alu instid0(VALU_DEP_1) | instskip(NEXT) | instid1(VALU_DEP_1)
	v_dual_add_f32 v9, v9, v11 :: v_dual_mul_f32 v11, v136, v153
	;; [unrolled: 8-line block ×14, first 2 shown]
	v_fmac_f32_e32 v11, v245, v248
	s_delay_alu instid0(VALU_DEP_1) | instskip(SKIP_1) | instid1(VALU_DEP_1)
	v_add_f32_e32 v9, v9, v11
	v_mul_f32_e32 v11, v246, v251
	v_fmac_f32_e32 v11, v247, v250
	s_delay_alu instid0(VALU_DEP_1) | instskip(SKIP_3) | instid1(VALU_DEP_1)
	v_add_f32_e32 v9, v9, v11
	s_wait_loadcnt_dscnt 0x501
	s_set_vgpr_msb 4                        ;  msbs: dst=0 src0=0 src1=1 src2=0
	v_mul_f32_e32 v11, v252, v1 /*v257*/
	v_fmac_f32_e32 v11, v253, v0 /*v256*/
	s_set_vgpr_msb 64                       ;  msbs: dst=1 src0=0 src1=0 src2=0
	s_delay_alu instid0(VALU_DEP_1)
	v_add_f32_e32 v25 /*v281*/, v9, v11
	s_set_vgpr_msb 0                        ;  msbs: dst=0 src0=0 src1=0 src2=0
	v_dual_mul_f32 v9, v125, v141 :: v_dual_mul_f32 v11, v127, v143
	s_wait_dscnt 0x0
	s_set_vgpr_msb 1                        ;  msbs: dst=0 src0=1 src1=0 src2=0
	v_mov_b32_e32 v141, v6 /*v262*/
	s_set_vgpr_msb 0                        ;  msbs: dst=0 src0=0 src1=0 src2=0
	v_dual_fma_f32 v9, v124, v140, -v9 :: v_dual_fma_f32 v11, v126, v142, -v11
	s_wait_loadcnt 0x4
	s_set_vgpr_msb 1                        ;  msbs: dst=0 src0=1 src1=0 src2=0
	v_dual_mov_b32 v142, v11 /*v267*/ :: v_dual_mov_b32 v140, v7 /*v263*/
	s_delay_alu instid0(VALU_DEP_2) | instskip(SKIP_1) | instid1(VALU_DEP_2)
	v_add_f32_e32 v9, 0, v9
	s_set_vgpr_msb 0                        ;  msbs: dst=0 src0=0 src1=0 src2=0
	v_pk_mul_f32 v[140:141], v[140:141], v[142:143] op_sel_hi:[1,0]
	s_delay_alu instid0(VALU_DEP_2) | instskip(SKIP_2) | instid1(VALU_DEP_3)
	v_add_f32_e32 v9, v9, v11
	v_mul_f32_e32 v11, v129, v145
	s_set_vgpr_msb 5                        ;  msbs: dst=0 src0=1 src1=1 src2=0
	v_pk_fma_f32 v[142:143], v[6:7] /*v[262:263]*/, v[10:11] /*v[266:267]*/, v[140:141] neg_lo:[0,0,1] neg_hi:[0,0,1]
	v_pk_fma_f32 v[140:141], v[6:7] /*v[262:263]*/, v[10:11] /*v[266:267]*/, v[140:141] op_sel_hi:[1,0,1]
	s_set_vgpr_msb 0                        ;  msbs: dst=0 src0=0 src1=0 src2=0
	s_delay_alu instid0(VALU_DEP_1) | instskip(NEXT) | instid1(VALU_DEP_1)
	v_dual_fma_f32 v11, v128, v144, -v11 :: v_dual_mov_b32 v143, v141
	v_add_f32_e32 v9, v9, v11
	v_mul_f32_e32 v11, v131, v147
	s_delay_alu instid0(VALU_DEP_1) | instskip(NEXT) | instid1(VALU_DEP_1)
	v_fma_f32 v11, v130, v146, -v11
	v_add_f32_e32 v9, v9, v11
	v_mul_f32_e32 v11, v133, v149
	s_delay_alu instid0(VALU_DEP_1) | instskip(NEXT) | instid1(VALU_DEP_1)
	v_fma_f32 v11, v132, v148, -v11
	;; [unrolled: 4-line block ×3, first 2 shown]
	v_add_f32_e32 v9, v9, v11
	v_mul_f32_e32 v11, v137, v153
	s_delay_alu instid0(VALU_DEP_1)
	v_fma_f32 v11, v136, v152, -v11
	ds_load_b128 v[124:127], v7 offset:928
	ds_load_b128 v[128:131], v7 offset:944
	ds_load_b128 v[132:135], v7 offset:960
	ds_load_b64 v[136:137], v7 offset:976
	v_add_f32_e32 v9, v9, v11
	v_mul_f32_e32 v11, v139, v155
	s_delay_alu instid0(VALU_DEP_1) | instskip(NEXT) | instid1(VALU_DEP_1)
	v_fma_f32 v11, v138, v154, -v11
	v_add_f32_e32 v9, v9, v11
	v_mul_f32_e32 v11, v157, v161
	s_wait_loadcnt_dscnt 0x303
	s_set_vgpr_msb 4                        ;  msbs: dst=0 src0=0 src1=1 src2=0
	v_pk_mul_f32 v[140:141], v[124:125], v[12:13] /*v[268:269]*/ op_sel:[1,1] op_sel_hi:[0,1]
	s_set_vgpr_msb 0                        ;  msbs: dst=0 src0=0 src1=0 src2=0
	v_fma_f32 v11, v156, v160, -v11
	s_delay_alu instid0(VALU_DEP_1) | instskip(SKIP_1) | instid1(VALU_DEP_1)
	v_add_f32_e32 v9, v9, v11
	v_mul_f32_e32 v11, v159, v163
	v_fma_f32 v11, v158, v162, -v11
	s_delay_alu instid0(VALU_DEP_1) | instskip(SKIP_1) | instid1(VALU_DEP_1)
	v_add_f32_e32 v9, v9, v11
	v_mul_f32_e32 v11, v165, v169
	;; [unrolled: 4-line block ×23, first 2 shown]
	v_fma_f32 v11, v246, v250, -v11
	s_delay_alu instid0(VALU_DEP_1) | instskip(SKIP_2) | instid1(VALU_DEP_1)
	v_add_f32_e32 v9, v9, v11
	s_set_vgpr_msb 4                        ;  msbs: dst=0 src0=0 src1=1 src2=0
	v_mul_f32_e32 v11, v253, v1 /*v257*/
	v_fma_f32 v11, v252, v0 /*v256*/, -v11
	s_set_vgpr_msb 64                       ;  msbs: dst=1 src0=0 src1=0 src2=0
	s_delay_alu instid0(VALU_DEP_1) | instskip(SKIP_3) | instid1(VALU_DEP_1)
	v_add_f32_e32 v24 /*v280*/, v9, v11
	s_set_vgpr_msb 4                        ;  msbs: dst=0 src0=0 src1=1 src2=0
	v_mul_f32_e32 v9, v255, v3 /*v259*/
	s_set_vgpr_msb 0x44                     ;  msbs: dst=1 src0=0 src1=1 src2=0
	v_dual_mul_f32 v27 /*v283*/, v254, v3 /*v259*/ :: v_dual_fma_f32 v26 /*v282*/, v254, v2 /*v258*/, -v9
	s_set_vgpr_msb 5                        ;  msbs: dst=0 src0=1 src1=1 src2=0
	v_mul_f32_e32 v9, v5 /*v261*/, v9 /*v265*/
	s_set_vgpr_msb 0x44                     ;  msbs: dst=1 src0=0 src1=1 src2=0
	s_delay_alu instid0(VALU_DEP_2) | instskip(SKIP_1) | instid1(VALU_DEP_2)
	v_fmac_f32_e32 v27 /*v283*/, v255, v2 /*v258*/
	s_set_vgpr_msb 0x45                     ;  msbs: dst=1 src0=1 src1=1 src2=0
	v_dual_mul_f32 v29 /*v285*/, v4 /*v260*/, v9 /*v265*/ :: v_dual_fma_f32 v28 /*v284*/, v4 /*v260*/, v8 /*v264*/, -v9
	s_set_vgpr_msb 5                        ;  msbs: dst=0 src0=1 src1=1 src2=0
	s_delay_alu instid0(VALU_DEP_2) | instskip(SKIP_1) | instid1(VALU_DEP_2)
	v_pk_add_f32 v[138:139], v[24:25] /*v[280:281]*/, v[26:27] /*v[282:283]*/
	s_set_vgpr_msb 0x45                     ;  msbs: dst=1 src0=1 src1=1 src2=0
	v_fmac_f32_e32 v29 /*v285*/, v5 /*v261*/, v8 /*v264*/
	s_set_vgpr_msb 4                        ;  msbs: dst=0 src0=0 src1=1 src2=0
	s_delay_alu instid0(VALU_DEP_1) | instskip(SKIP_1) | instid1(VALU_DEP_1)
	v_pk_add_f32 v[138:139], v[138:139], v[28:29] /*v[284:285]*/
	s_set_vgpr_msb 0                        ;  msbs: dst=0 src0=0 src1=0 src2=0
	v_pk_add_f32 v[138:139], v[138:139], v[142:143]
	s_set_vgpr_msb 4                        ;  msbs: dst=0 src0=0 src1=1 src2=0
	v_pk_fma_f32 v[142:143], v[124:125], v[12:13] /*v[268:269]*/, v[140:141] neg_lo:[0,0,1] neg_hi:[0,0,1]
	v_pk_fma_f32 v[124:125], v[124:125], v[12:13] /*v[268:269]*/, v[140:141] op_sel_hi:[1,0,1]
	s_set_vgpr_msb 1                        ;  msbs: dst=0 src0=1 src1=0 src2=0
	v_mov_b32_e32 v140, v15 /*v271*/
	s_set_vgpr_msb 0                        ;  msbs: dst=0 src0=0 src1=0 src2=0
	s_delay_alu instid0(VALU_DEP_2) | instskip(NEXT) | instid1(VALU_DEP_1)
	v_mov_b32_e32 v143, v125
	v_pk_add_f32 v[124:125], v[138:139], v[142:143]
	v_dual_mov_b32 v138, v127 :: v_dual_mov_b32 v139, v126
	s_delay_alu instid0(VALU_DEP_1) | instskip(SKIP_1) | instid1(VALU_DEP_1)
	v_pk_mul_f32 v[138:139], v[138:139], v[140:141] op_sel_hi:[1,0]
	s_set_vgpr_msb 4                        ;  msbs: dst=0 src0=0 src1=1 src2=0
	v_pk_fma_f32 v[140:141], v[126:127], v[14:15] /*v[270:271]*/, v[138:139] neg_lo:[0,0,1] neg_hi:[0,0,1]
	v_pk_fma_f32 v[126:127], v[126:127], v[14:15] /*v[270:271]*/, v[138:139] op_sel_hi:[1,0,1]
	s_delay_alu instid0(VALU_DEP_1) | instskip(SKIP_3) | instid1(VALU_DEP_2)
	v_mov_b32_e32 v141, v127
	s_wait_loadcnt_dscnt 0x202
	v_pk_mul_f32 v[126:127], v[128:129], v[16:17] /*v[272:273]*/ op_sel:[1,1] op_sel_hi:[0,1]
	s_set_vgpr_msb 0                        ;  msbs: dst=0 src0=0 src1=0 src2=0
	v_pk_add_f32 v[124:125], v[124:125], v[140:141]
	s_set_vgpr_msb 4                        ;  msbs: dst=0 src0=0 src1=1 src2=0
	s_delay_alu instid0(VALU_DEP_2)
	v_pk_fma_f32 v[138:139], v[128:129], v[16:17] /*v[272:273]*/, v[126:127] neg_lo:[0,0,1] neg_hi:[0,0,1]
	v_pk_fma_f32 v[126:127], v[128:129], v[16:17] /*v[272:273]*/, v[126:127] op_sel_hi:[1,0,1]
	v_mov_b32_e32 v126, v131
	s_set_vgpr_msb 1                        ;  msbs: dst=0 src0=1 src1=0 src2=0
	v_mov_b32_e32 v128, v19 /*v275*/
	s_set_vgpr_msb 0                        ;  msbs: dst=0 src0=0 src1=0 src2=0
	v_dual_mov_b32 v139, v127 :: v_dual_mov_b32 v127, v130
	s_delay_alu instid0(VALU_DEP_1) | instskip(NEXT) | instid1(VALU_DEP_2)
	v_pk_add_f32 v[124:125], v[124:125], v[138:139]
	v_pk_mul_f32 v[126:127], v[126:127], v[128:129] op_sel_hi:[1,0]
	s_set_vgpr_msb 4                        ;  msbs: dst=0 src0=0 src1=1 src2=0
	s_delay_alu instid0(VALU_DEP_1) | instskip(SKIP_1) | instid1(VALU_DEP_1)
	v_pk_fma_f32 v[128:129], v[130:131], v[18:19] /*v[274:275]*/, v[126:127] neg_lo:[0,0,1] neg_hi:[0,0,1]
	v_pk_fma_f32 v[126:127], v[130:131], v[18:19] /*v[274:275]*/, v[126:127] op_sel_hi:[1,0,1]
	v_mov_b32_e32 v129, v127
	s_wait_loadcnt_dscnt 0x101
	v_pk_mul_f32 v[126:127], v[132:133], v[20:21] /*v[276:277]*/ op_sel:[1,1] op_sel_hi:[0,1]
	s_set_vgpr_msb 0                        ;  msbs: dst=0 src0=0 src1=0 src2=0
	s_delay_alu instid0(VALU_DEP_2) | instskip(SKIP_1) | instid1(VALU_DEP_2)
	v_pk_add_f32 v[124:125], v[124:125], v[128:129]
	s_set_vgpr_msb 4                        ;  msbs: dst=0 src0=0 src1=1 src2=0
	v_pk_fma_f32 v[128:129], v[132:133], v[20:21] /*v[276:277]*/, v[126:127] neg_lo:[0,0,1] neg_hi:[0,0,1]
	v_pk_fma_f32 v[126:127], v[132:133], v[20:21] /*v[276:277]*/, v[126:127] op_sel_hi:[1,0,1]
	s_delay_alu instid0(VALU_DEP_1) | instskip(SKIP_2) | instid1(VALU_DEP_2)
	v_dual_mov_b32 v126, v135 :: v_dual_mov_b32 v129, v127
	v_mov_b32_e32 v127, v134
	s_set_vgpr_msb 0                        ;  msbs: dst=0 src0=0 src1=0 src2=0
	v_pk_add_f32 v[124:125], v[124:125], v[128:129]
	s_set_vgpr_msb 1                        ;  msbs: dst=0 src0=1 src1=0 src2=0
	v_mov_b32_e32 v128, v23 /*v279*/
	s_set_vgpr_msb 0                        ;  msbs: dst=0 src0=0 src1=0 src2=0
	s_delay_alu instid0(VALU_DEP_1) | instskip(SKIP_1) | instid1(VALU_DEP_1)
	v_pk_mul_f32 v[126:127], v[126:127], v[128:129] op_sel_hi:[1,0]
	s_set_vgpr_msb 4                        ;  msbs: dst=0 src0=0 src1=1 src2=0
	v_pk_fma_f32 v[128:129], v[134:135], v[22:23] /*v[278:279]*/, v[126:127] neg_lo:[0,0,1] neg_hi:[0,0,1]
	v_pk_fma_f32 v[126:127], v[134:135], v[22:23] /*v[278:279]*/, v[126:127] op_sel_hi:[1,0,1]
	s_delay_alu instid0(VALU_DEP_1) | instskip(SKIP_3) | instid1(VALU_DEP_2)
	v_mov_b32_e32 v129, v127
	s_wait_loadcnt_dscnt 0x0
	v_pk_mul_f32 v[126:127], v[136:137], v[30:31] /*v[286:287]*/ op_sel:[1,1] op_sel_hi:[0,1]
	s_set_vgpr_msb 0                        ;  msbs: dst=0 src0=0 src1=0 src2=0
	v_pk_add_f32 v[124:125], v[124:125], v[128:129]
	s_set_vgpr_msb 4                        ;  msbs: dst=0 src0=0 src1=1 src2=0
	s_delay_alu instid0(VALU_DEP_2) | instskip(SKIP_1) | instid1(VALU_DEP_1)
	v_pk_fma_f32 v[128:129], v[136:137], v[30:31] /*v[286:287]*/, v[126:127] neg_lo:[0,0,1] neg_hi:[0,0,1]
	v_pk_fma_f32 v[126:127], v[136:137], v[30:31] /*v[286:287]*/, v[126:127] op_sel_hi:[1,0,1]
	v_mov_b32_e32 v129, v127
	scratch_load_b64 v[126:127], off, off offset:136
	s_set_vgpr_msb 0                        ;  msbs: dst=0 src0=0 src1=0 src2=0
	v_pk_add_f32 v[124:125], v[124:125], v[128:129]
	s_wait_loadcnt 0x0
	s_delay_alu instid0(VALU_DEP_1)
	v_pk_add_f32 v[124:125], v[126:127], v[124:125] neg_lo:[0,1] neg_hi:[0,1]
	scratch_store_b64 off, v[124:125], off offset:136
	s_wait_xcnt 0x0
	v_cmpx_lt_u32_e32 16, v0
	s_cbranch_execz .LBB60_347
; %bb.346:
	scratch_load_b64 v[124:125], off, off offset:128
	v_mov_b64_e32 v[126:127], 0
	scratch_store_b64 off, v[126:127], off offset:128
	s_wait_loadcnt 0x0
	ds_store_b64 v1, v[124:125]
.LBB60_347:
	s_wait_xcnt 0x0
	s_or_b32 exec_lo, exec_lo, s0
	s_wait_storecnt_dscnt 0x0
	s_barrier_signal -1
	s_barrier_wait -1
	s_clause 0xf
	scratch_load_b128 v[128:131], off, off offset:136
	scratch_load_b128 v[136:139], off, off offset:152
	;; [unrolled: 1-line block ×16, first 2 shown]
	ds_load_2addr_b64 v[124:127], v7 offset0:79 offset1:80
	ds_load_2addr_b64 v[132:135], v7 offset0:81 offset1:82
	s_set_vgpr_msb 64                       ;  msbs: dst=1 src0=0 src1=0 src2=0
	s_clause 0x1
	scratch_load_b128 v[0:3] /*v[256:259]*/, off, off offset:392
	scratch_load_b128 v[8:11] /*v[264:267]*/, off, off offset:408
	s_set_vgpr_msb 0                        ;  msbs: dst=0 src0=0 src1=0 src2=0
	ds_load_2addr_b64 v[140:143], v7 offset0:83 offset1:84
	ds_load_2addr_b64 v[148:151], v7 offset0:85 offset1:86
	;; [unrolled: 1-line block ×15, first 2 shown]
	s_set_vgpr_msb 64                       ;  msbs: dst=1 src0=0 src1=0 src2=0
	ds_load_2addr_b64 v[4:7] /*v[260:263]*/, v7 offset0:113 offset1:114
	s_clause 0x3
	scratch_load_b128 v[12:15] /*v[268:271]*/, off, off offset:424
	scratch_load_b128 v[16:19] /*v[272:275]*/, off, off offset:440
	;; [unrolled: 1-line block ×4, first 2 shown]
	s_mov_b32 s0, exec_lo
	s_wait_loadcnt_dscnt 0x1511
	s_set_vgpr_msb 0                        ;  msbs: dst=0 src0=0 src1=0 src2=0
	v_dual_mul_f32 v9, v124, v129 :: v_dual_mul_f32 v11, v126, v131
	s_delay_alu instid0(VALU_DEP_1) | instskip(NEXT) | instid1(VALU_DEP_1)
	v_dual_fmac_f32 v9, v125, v128 :: v_dual_fmac_f32 v11, v127, v130
	v_add_f32_e32 v9, 0, v9
	s_wait_loadcnt_dscnt 0x1410
	s_delay_alu instid0(VALU_DEP_1)
	v_dual_add_f32 v9, v9, v11 :: v_dual_mul_f32 v11, v132, v137
	s_wait_loadcnt_dscnt 0x400
	s_set_vgpr_msb 0x45                     ;  msbs: dst=1 src0=1 src1=1 src2=0
	v_dual_mul_f32 v31 /*v287*/, v4 /*v260*/, v9 /*v265*/ :: v_dual_mul_f32 v33 /*v289*/, v6 /*v262*/, v11 /*v267*/
	s_set_vgpr_msb 0                        ;  msbs: dst=0 src0=0 src1=0 src2=0
	v_fmac_f32_e32 v11, v133, v136
	s_set_vgpr_msb 0x45                     ;  msbs: dst=1 src0=1 src1=1 src2=0
	s_delay_alu instid0(VALU_DEP_2) | instskip(SKIP_1) | instid1(VALU_DEP_2)
	v_dual_fmac_f32 v31 /*v287*/, v5 /*v261*/, v8 /*v264*/ :: v_dual_fmac_f32 v33 /*v289*/, v7 /*v263*/, v10 /*v266*/
	s_set_vgpr_msb 0                        ;  msbs: dst=0 src0=0 src1=0 src2=0
	v_add_f32_e32 v9, v9, v11
	v_mul_f32_e32 v11, v134, v139
	s_delay_alu instid0(VALU_DEP_1) | instskip(NEXT) | instid1(VALU_DEP_1)
	v_fmac_f32_e32 v11, v135, v138
	v_dual_add_f32 v9, v9, v11 :: v_dual_mul_f32 v11, v140, v145
	s_delay_alu instid0(VALU_DEP_1) | instskip(NEXT) | instid1(VALU_DEP_1)
	v_fmac_f32_e32 v11, v141, v144
	v_add_f32_e32 v9, v9, v11
	v_mul_f32_e32 v11, v142, v147
	s_delay_alu instid0(VALU_DEP_1) | instskip(NEXT) | instid1(VALU_DEP_1)
	v_fmac_f32_e32 v11, v143, v146
	v_dual_add_f32 v9, v9, v11 :: v_dual_mul_f32 v11, v148, v153
	s_delay_alu instid0(VALU_DEP_1) | instskip(NEXT) | instid1(VALU_DEP_1)
	v_fmac_f32_e32 v11, v149, v152
	;; [unrolled: 7-line block ×14, first 2 shown]
	v_add_f32_e32 v9, v9, v11
	v_mul_f32_e32 v11, v246, v251
	s_delay_alu instid0(VALU_DEP_1) | instskip(NEXT) | instid1(VALU_DEP_1)
	v_fmac_f32_e32 v11, v247, v250
	v_add_f32_e32 v9, v9, v11
	s_set_vgpr_msb 4                        ;  msbs: dst=0 src0=0 src1=1 src2=0
	v_mul_f32_e32 v11, v252, v1 /*v257*/
	s_delay_alu instid0(VALU_DEP_1) | instskip(SKIP_1) | instid1(VALU_DEP_1)
	v_fmac_f32_e32 v11, v253, v0 /*v256*/
	s_set_vgpr_msb 0                        ;  msbs: dst=0 src0=0 src1=0 src2=0
	v_add_f32_e32 v9, v9, v11
	s_set_vgpr_msb 4                        ;  msbs: dst=0 src0=0 src1=1 src2=0
	v_mul_f32_e32 v11, v254, v3 /*v259*/
	s_delay_alu instid0(VALU_DEP_1) | instskip(SKIP_1) | instid1(VALU_DEP_1)
	v_fmac_f32_e32 v11, v255, v2 /*v258*/
	s_set_vgpr_msb 64                       ;  msbs: dst=1 src0=0 src1=0 src2=0
	v_add_f32_e32 v29 /*v285*/, v9, v11
	s_set_vgpr_msb 0                        ;  msbs: dst=0 src0=0 src1=0 src2=0
	v_dual_mul_f32 v9, v125, v129 :: v_dual_mul_f32 v11, v127, v131
	s_delay_alu instid0(VALU_DEP_1) | instskip(NEXT) | instid1(VALU_DEP_1)
	v_dual_fma_f32 v9, v124, v128, -v9 :: v_dual_fma_f32 v11, v126, v130, -v11
	v_add_f32_e32 v9, 0, v9
	s_delay_alu instid0(VALU_DEP_1) | instskip(SKIP_1) | instid1(VALU_DEP_1)
	v_add_f32_e32 v9, v9, v11
	v_mul_f32_e32 v11, v133, v137
	v_fma_f32 v11, v132, v136, -v11
	s_delay_alu instid0(VALU_DEP_1) | instskip(SKIP_1) | instid1(VALU_DEP_1)
	v_add_f32_e32 v9, v9, v11
	v_mul_f32_e32 v11, v135, v139
	v_fma_f32 v11, v134, v138, -v11
	ds_load_2addr_b64 v[124:127], v7 offset0:115 offset1:116
	ds_load_2addr_b64 v[128:131], v7 offset0:117 offset1:118
	;; [unrolled: 1-line block ×4, first 2 shown]
	v_add_f32_e32 v9, v9, v11
	v_mul_f32_e32 v11, v141, v145
	s_delay_alu instid0(VALU_DEP_1) | instskip(NEXT) | instid1(VALU_DEP_1)
	v_fma_f32 v11, v140, v144, -v11
	v_add_f32_e32 v9, v9, v11
	v_mul_f32_e32 v11, v143, v147
	s_delay_alu instid0(VALU_DEP_1)
	v_fma_f32 v11, v142, v146, -v11
	s_wait_loadcnt_dscnt 0x303
	s_set_vgpr_msb 4                        ;  msbs: dst=0 src0=0 src1=1 src2=0
	v_pk_mul_f32 v[142:143], v[124:125], v[12:13] /*v[268:269]*/ op_sel:[1,1] op_sel_hi:[0,1]
	s_set_vgpr_msb 0                        ;  msbs: dst=0 src0=0 src1=0 src2=0
	v_add_f32_e32 v9, v9, v11
	v_mul_f32_e32 v11, v149, v153
	s_set_vgpr_msb 4                        ;  msbs: dst=0 src0=0 src1=1 src2=0
	v_pk_fma_f32 v[144:145], v[124:125], v[12:13] /*v[268:269]*/, v[142:143] neg_lo:[0,0,1] neg_hi:[0,0,1]
	v_pk_fma_f32 v[124:125], v[124:125], v[12:13] /*v[268:269]*/, v[142:143] op_sel_hi:[1,0,1]
	s_set_vgpr_msb 1                        ;  msbs: dst=0 src0=1 src1=0 src2=0
	v_mov_b32_e32 v142, v15 /*v271*/
	s_set_vgpr_msb 0                        ;  msbs: dst=0 src0=0 src1=0 src2=0
	s_delay_alu instid0(VALU_DEP_2) | instskip(NEXT) | instid1(VALU_DEP_1)
	v_dual_fma_f32 v11, v148, v152, -v11 :: v_dual_mov_b32 v145, v125
	v_add_f32_e32 v9, v9, v11
	v_mul_f32_e32 v11, v151, v155
	s_delay_alu instid0(VALU_DEP_1) | instskip(NEXT) | instid1(VALU_DEP_1)
	v_fma_f32 v11, v150, v154, -v11
	v_add_f32_e32 v9, v9, v11
	v_mul_f32_e32 v11, v157, v161
	s_delay_alu instid0(VALU_DEP_1) | instskip(NEXT) | instid1(VALU_DEP_1)
	v_fma_f32 v11, v156, v160, -v11
	;; [unrolled: 4-line block ×25, first 2 shown]
	v_add_f32_e32 v9, v9, v11
	s_set_vgpr_msb 4                        ;  msbs: dst=0 src0=0 src1=1 src2=0
	v_mul_f32_e32 v11, v253, v1 /*v257*/
	s_delay_alu instid0(VALU_DEP_1) | instskip(SKIP_1) | instid1(VALU_DEP_1)
	v_fma_f32 v11, v252, v0 /*v256*/, -v11
	s_set_vgpr_msb 0                        ;  msbs: dst=0 src0=0 src1=0 src2=0
	v_add_f32_e32 v9, v9, v11
	s_set_vgpr_msb 4                        ;  msbs: dst=0 src0=0 src1=1 src2=0
	v_mul_f32_e32 v11, v255, v3 /*v259*/
	s_delay_alu instid0(VALU_DEP_1) | instskip(SKIP_1) | instid1(VALU_DEP_1)
	v_fma_f32 v11, v254, v2 /*v258*/, -v11
	s_set_vgpr_msb 64                       ;  msbs: dst=1 src0=0 src1=0 src2=0
	v_add_f32_e32 v28 /*v284*/, v9, v11
	s_set_vgpr_msb 5                        ;  msbs: dst=0 src0=1 src1=1 src2=0
	v_mul_f32_e32 v9, v5 /*v261*/, v9 /*v265*/
	s_set_vgpr_msb 0x45                     ;  msbs: dst=1 src0=1 src1=1 src2=0
	s_delay_alu instid0(VALU_DEP_1) | instskip(SKIP_3) | instid1(VALU_DEP_1)
	v_fma_f32 v30 /*v286*/, v4 /*v260*/, v8 /*v264*/, -v9
	s_set_vgpr_msb 5                        ;  msbs: dst=0 src0=1 src1=1 src2=0
	v_mul_f32_e32 v9, v7 /*v263*/, v11 /*v267*/
	s_set_vgpr_msb 0x45                     ;  msbs: dst=1 src0=1 src1=1 src2=0
	v_fma_f32 v32 /*v288*/, v6 /*v262*/, v10 /*v266*/, -v9
	s_set_vgpr_msb 5                        ;  msbs: dst=0 src0=1 src1=1 src2=0
	v_pk_add_f32 v[140:141], v[28:29] /*v[284:285]*/, v[30:31] /*v[286:287]*/
	s_set_vgpr_msb 4                        ;  msbs: dst=0 src0=0 src1=1 src2=0
	s_delay_alu instid0(VALU_DEP_1) | instskip(SKIP_1) | instid1(VALU_DEP_1)
	v_pk_add_f32 v[140:141], v[140:141], v[32:33] /*v[288:289]*/
	s_set_vgpr_msb 0                        ;  msbs: dst=0 src0=0 src1=0 src2=0
	v_pk_add_f32 v[124:125], v[140:141], v[144:145]
	v_dual_mov_b32 v140, v127 :: v_dual_mov_b32 v141, v126
	s_delay_alu instid0(VALU_DEP_1) | instskip(SKIP_1) | instid1(VALU_DEP_1)
	v_pk_mul_f32 v[140:141], v[140:141], v[142:143] op_sel_hi:[1,0]
	s_set_vgpr_msb 4                        ;  msbs: dst=0 src0=0 src1=1 src2=0
	v_pk_fma_f32 v[142:143], v[126:127], v[14:15] /*v[270:271]*/, v[140:141] neg_lo:[0,0,1] neg_hi:[0,0,1]
	v_pk_fma_f32 v[126:127], v[126:127], v[14:15] /*v[270:271]*/, v[140:141] op_sel_hi:[1,0,1]
	s_delay_alu instid0(VALU_DEP_1) | instskip(SKIP_3) | instid1(VALU_DEP_2)
	v_mov_b32_e32 v143, v127
	s_wait_loadcnt_dscnt 0x202
	v_pk_mul_f32 v[126:127], v[128:129], v[16:17] /*v[272:273]*/ op_sel:[1,1] op_sel_hi:[0,1]
	s_set_vgpr_msb 0                        ;  msbs: dst=0 src0=0 src1=0 src2=0
	v_pk_add_f32 v[124:125], v[124:125], v[142:143]
	s_set_vgpr_msb 4                        ;  msbs: dst=0 src0=0 src1=1 src2=0
	s_delay_alu instid0(VALU_DEP_2)
	v_pk_fma_f32 v[140:141], v[128:129], v[16:17] /*v[272:273]*/, v[126:127] neg_lo:[0,0,1] neg_hi:[0,0,1]
	v_pk_fma_f32 v[126:127], v[128:129], v[16:17] /*v[272:273]*/, v[126:127] op_sel_hi:[1,0,1]
	v_mov_b32_e32 v126, v131
	s_set_vgpr_msb 1                        ;  msbs: dst=0 src0=1 src1=0 src2=0
	v_mov_b32_e32 v128, v19 /*v275*/
	s_set_vgpr_msb 0                        ;  msbs: dst=0 src0=0 src1=0 src2=0
	v_dual_mov_b32 v141, v127 :: v_dual_mov_b32 v127, v130
	s_delay_alu instid0(VALU_DEP_1) | instskip(NEXT) | instid1(VALU_DEP_2)
	v_pk_add_f32 v[124:125], v[124:125], v[140:141]
	v_pk_mul_f32 v[126:127], v[126:127], v[128:129] op_sel_hi:[1,0]
	s_set_vgpr_msb 4                        ;  msbs: dst=0 src0=0 src1=1 src2=0
	s_delay_alu instid0(VALU_DEP_1) | instskip(SKIP_1) | instid1(VALU_DEP_1)
	v_pk_fma_f32 v[128:129], v[130:131], v[18:19] /*v[274:275]*/, v[126:127] neg_lo:[0,0,1] neg_hi:[0,0,1]
	v_pk_fma_f32 v[126:127], v[130:131], v[18:19] /*v[274:275]*/, v[126:127] op_sel_hi:[1,0,1]
	v_mov_b32_e32 v129, v127
	s_wait_loadcnt_dscnt 0x101
	v_pk_mul_f32 v[126:127], v[132:133], v[20:21] /*v[276:277]*/ op_sel:[1,1] op_sel_hi:[0,1]
	s_set_vgpr_msb 0                        ;  msbs: dst=0 src0=0 src1=0 src2=0
	s_delay_alu instid0(VALU_DEP_2) | instskip(SKIP_1) | instid1(VALU_DEP_2)
	v_pk_add_f32 v[124:125], v[124:125], v[128:129]
	s_set_vgpr_msb 4                        ;  msbs: dst=0 src0=0 src1=1 src2=0
	v_pk_fma_f32 v[128:129], v[132:133], v[20:21] /*v[276:277]*/, v[126:127] neg_lo:[0,0,1] neg_hi:[0,0,1]
	v_pk_fma_f32 v[126:127], v[132:133], v[20:21] /*v[276:277]*/, v[126:127] op_sel_hi:[1,0,1]
	s_delay_alu instid0(VALU_DEP_1) | instskip(SKIP_2) | instid1(VALU_DEP_2)
	v_dual_mov_b32 v126, v135 :: v_dual_mov_b32 v129, v127
	v_mov_b32_e32 v127, v134
	s_set_vgpr_msb 0                        ;  msbs: dst=0 src0=0 src1=0 src2=0
	v_pk_add_f32 v[124:125], v[124:125], v[128:129]
	s_set_vgpr_msb 1                        ;  msbs: dst=0 src0=1 src1=0 src2=0
	v_mov_b32_e32 v128, v23 /*v279*/
	s_set_vgpr_msb 0                        ;  msbs: dst=0 src0=0 src1=0 src2=0
	s_delay_alu instid0(VALU_DEP_1) | instskip(SKIP_1) | instid1(VALU_DEP_1)
	v_pk_mul_f32 v[126:127], v[126:127], v[128:129] op_sel_hi:[1,0]
	s_set_vgpr_msb 4                        ;  msbs: dst=0 src0=0 src1=1 src2=0
	v_pk_fma_f32 v[128:129], v[134:135], v[22:23] /*v[278:279]*/, v[126:127] neg_lo:[0,0,1] neg_hi:[0,0,1]
	v_pk_fma_f32 v[126:127], v[134:135], v[22:23] /*v[278:279]*/, v[126:127] op_sel_hi:[1,0,1]
	s_delay_alu instid0(VALU_DEP_1) | instskip(SKIP_3) | instid1(VALU_DEP_2)
	v_mov_b32_e32 v129, v127
	s_wait_loadcnt_dscnt 0x0
	v_pk_mul_f32 v[126:127], v[136:137], v[24:25] /*v[280:281]*/ op_sel:[1,1] op_sel_hi:[0,1]
	s_set_vgpr_msb 0                        ;  msbs: dst=0 src0=0 src1=0 src2=0
	v_pk_add_f32 v[124:125], v[124:125], v[128:129]
	s_set_vgpr_msb 4                        ;  msbs: dst=0 src0=0 src1=1 src2=0
	s_delay_alu instid0(VALU_DEP_2) | instskip(SKIP_1) | instid1(VALU_DEP_1)
	v_pk_fma_f32 v[128:129], v[136:137], v[24:25] /*v[280:281]*/, v[126:127] neg_lo:[0,0,1] neg_hi:[0,0,1]
	v_pk_fma_f32 v[126:127], v[136:137], v[24:25] /*v[280:281]*/, v[126:127] op_sel_hi:[1,0,1]
	v_dual_mov_b32 v126, v139 :: v_dual_mov_b32 v129, v127
	v_mov_b32_e32 v127, v138
	s_set_vgpr_msb 0                        ;  msbs: dst=0 src0=0 src1=0 src2=0
	s_delay_alu instid0(VALU_DEP_2) | instskip(SKIP_3) | instid1(VALU_DEP_1)
	v_pk_add_f32 v[124:125], v[124:125], v[128:129]
	s_set_vgpr_msb 1                        ;  msbs: dst=0 src0=1 src1=0 src2=0
	v_mov_b32_e32 v128, v27 /*v283*/
	s_set_vgpr_msb 0                        ;  msbs: dst=0 src0=0 src1=0 src2=0
	v_pk_mul_f32 v[126:127], v[126:127], v[128:129] op_sel_hi:[1,0]
	s_set_vgpr_msb 4                        ;  msbs: dst=0 src0=0 src1=1 src2=0
	s_delay_alu instid0(VALU_DEP_1) | instskip(SKIP_1) | instid1(VALU_DEP_1)
	v_pk_fma_f32 v[128:129], v[138:139], v[26:27] /*v[282:283]*/, v[126:127] neg_lo:[0,0,1] neg_hi:[0,0,1]
	v_pk_fma_f32 v[126:127], v[138:139], v[26:27] /*v[282:283]*/, v[126:127] op_sel_hi:[1,0,1]
	v_mov_b32_e32 v129, v127
	scratch_load_b64 v[126:127], off, off offset:128
	s_set_vgpr_msb 0                        ;  msbs: dst=0 src0=0 src1=0 src2=0
	v_pk_add_f32 v[124:125], v[124:125], v[128:129]
	s_wait_loadcnt 0x0
	s_delay_alu instid0(VALU_DEP_1)
	v_pk_add_f32 v[124:125], v[126:127], v[124:125] neg_lo:[0,1] neg_hi:[0,1]
	scratch_store_b64 off, v[124:125], off offset:128
	s_wait_xcnt 0x0
	v_cmpx_lt_u32_e32 15, v0
	s_cbranch_execz .LBB60_349
; %bb.348:
	scratch_load_b64 v[124:125], off, off offset:120
	v_mov_b64_e32 v[126:127], 0
	scratch_store_b64 off, v[126:127], off offset:120
	s_wait_loadcnt 0x0
	ds_store_b64 v1, v[124:125]
.LBB60_349:
	s_wait_xcnt 0x0
	s_or_b32 exec_lo, exec_lo, s0
	v_mov_b32_e32 v7, 0
	s_wait_storecnt_dscnt 0x0
	s_barrier_signal -1
	s_barrier_wait -1
	ds_load_b128 v[124:127], v7 offset:624
	ds_load_b128 v[128:131], v7 offset:640
	;; [unrolled: 1-line block ×4, first 2 shown]
	s_clause 0x13
	scratch_load_b128 v[140:143], off, off offset:128
	scratch_load_b128 v[144:147], off, off offset:144
	;; [unrolled: 1-line block ×16, first 2 shown]
	s_set_vgpr_msb 64                       ;  msbs: dst=1 src0=0 src1=0 src2=0
	scratch_load_b128 v[0:3] /*v[256:259]*/, off, off offset:384
	scratch_load_b128 v[8:11] /*v[264:267]*/, off, off offset:400
	;; [unrolled: 1-line block ×3, first 2 shown]
	s_mov_b32 s0, exec_lo
	s_wait_loadcnt_dscnt 0x1203
	s_set_vgpr_msb 0                        ;  msbs: dst=0 src0=0 src1=0 src2=0
	v_mul_f32_e32 v9, v124, v141
	ds_load_b128 v[156:159], v7 offset:688
	ds_load_b128 v[164:167], v7 offset:704
	;; [unrolled: 1-line block ×4, first 2 shown]
	v_dual_fmac_f32 v9, v125, v140 :: v_dual_mul_f32 v11, v126, v143
	ds_load_b128 v[188:191], v7 offset:752
	ds_load_b128 v[196:199], v7 offset:768
	;; [unrolled: 1-line block ×4, first 2 shown]
	v_dual_add_f32 v9, 0, v9 :: v_dual_fmac_f32 v11, v127, v142
	ds_load_b128 v[220:223], v7 offset:816
	ds_load_b128 v[228:231], v7 offset:832
	;; [unrolled: 1-line block ×4, first 2 shown]
	s_wait_loadcnt_dscnt 0x110e
	v_dual_add_f32 v9, v9, v11 :: v_dual_mul_f32 v11, v128, v145
	ds_load_b128 v[252:255], v7 offset:880
	s_set_vgpr_msb 64                       ;  msbs: dst=1 src0=0 src1=0 src2=0
	ds_load_b128 v[4:7] /*v[260:263]*/, v7 offset:896
	ds_load_b128 v[12:15] /*v[268:271]*/, v7 offset:912
	s_clause 0x3
	scratch_load_b128 v[20:23] /*v[276:279]*/, off, off offset:432
	scratch_load_b128 v[24:27] /*v[280:283]*/, off, off offset:448
	scratch_load_b128 v[28:31] /*v[284:287]*/, off, off offset:464
	scratch_load_b64 v[38:39] /*v[294:295]*/, off, off offset:480
	s_set_vgpr_msb 0                        ;  msbs: dst=0 src0=0 src1=0 src2=0
	v_fmac_f32_e32 v11, v129, v144
	s_delay_alu instid0(VALU_DEP_1) | instskip(SKIP_1) | instid1(VALU_DEP_1)
	v_add_f32_e32 v9, v9, v11
	v_mul_f32_e32 v11, v130, v147
	v_fmac_f32_e32 v11, v131, v146
	s_wait_loadcnt_dscnt 0x1410
	s_delay_alu instid0(VALU_DEP_1)
	v_dual_add_f32 v9, v9, v11 :: v_dual_mul_f32 v11, v132, v149
	s_wait_loadcnt_dscnt 0x400
	s_set_vgpr_msb 0x45                     ;  msbs: dst=1 src0=1 src1=1 src2=0
	v_dual_mul_f32 v35 /*v291*/, v6 /*v262*/, v11 /*v267*/ :: v_dual_mul_f32 v37 /*v293*/, v12 /*v268*/, v17 /*v273*/
	s_set_vgpr_msb 0                        ;  msbs: dst=0 src0=0 src1=0 src2=0
	v_fmac_f32_e32 v11, v133, v148
	s_set_vgpr_msb 0x45                     ;  msbs: dst=1 src0=1 src1=1 src2=0
	s_delay_alu instid0(VALU_DEP_2) | instskip(SKIP_1) | instid1(VALU_DEP_2)
	v_dual_fmac_f32 v35 /*v291*/, v7 /*v263*/, v10 /*v266*/ :: v_dual_fmac_f32 v37 /*v293*/, v13 /*v269*/, v16 /*v272*/
	s_set_vgpr_msb 0                        ;  msbs: dst=0 src0=0 src1=0 src2=0
	v_add_f32_e32 v9, v9, v11
	v_mul_f32_e32 v11, v134, v151
	s_delay_alu instid0(VALU_DEP_1) | instskip(NEXT) | instid1(VALU_DEP_1)
	v_fmac_f32_e32 v11, v135, v150
	v_dual_add_f32 v9, v9, v11 :: v_dual_mul_f32 v11, v136, v153
	s_delay_alu instid0(VALU_DEP_1) | instskip(NEXT) | instid1(VALU_DEP_1)
	v_fmac_f32_e32 v11, v137, v152
	v_add_f32_e32 v9, v9, v11
	v_mul_f32_e32 v11, v138, v155
	s_delay_alu instid0(VALU_DEP_1) | instskip(NEXT) | instid1(VALU_DEP_1)
	v_fmac_f32_e32 v11, v139, v154
	v_dual_add_f32 v9, v9, v11 :: v_dual_mul_f32 v11, v156, v161
	s_delay_alu instid0(VALU_DEP_1) | instskip(NEXT) | instid1(VALU_DEP_1)
	v_fmac_f32_e32 v11, v157, v160
	;; [unrolled: 7-line block ×13, first 2 shown]
	v_add_f32_e32 v9, v9, v11
	v_mul_f32_e32 v11, v246, v251
	s_delay_alu instid0(VALU_DEP_1) | instskip(NEXT) | instid1(VALU_DEP_1)
	v_fmac_f32_e32 v11, v247, v250
	v_add_f32_e32 v9, v9, v11
	s_set_vgpr_msb 4                        ;  msbs: dst=0 src0=0 src1=1 src2=0
	v_mul_f32_e32 v11, v252, v1 /*v257*/
	s_delay_alu instid0(VALU_DEP_1) | instskip(SKIP_1) | instid1(VALU_DEP_1)
	v_fmac_f32_e32 v11, v253, v0 /*v256*/
	s_set_vgpr_msb 0                        ;  msbs: dst=0 src0=0 src1=0 src2=0
	v_add_f32_e32 v9, v9, v11
	s_set_vgpr_msb 4                        ;  msbs: dst=0 src0=0 src1=1 src2=0
	v_mul_f32_e32 v11, v254, v3 /*v259*/
	s_delay_alu instid0(VALU_DEP_1) | instskip(SKIP_1) | instid1(VALU_DEP_1)
	v_fmac_f32_e32 v11, v255, v2 /*v258*/
	s_set_vgpr_msb 0                        ;  msbs: dst=0 src0=0 src1=0 src2=0
	v_add_f32_e32 v9, v9, v11
	s_set_vgpr_msb 5                        ;  msbs: dst=0 src0=1 src1=1 src2=0
	v_mul_f32_e32 v11, v4 /*v260*/, v9 /*v265*/
	s_delay_alu instid0(VALU_DEP_1) | instskip(SKIP_1) | instid1(VALU_DEP_1)
	v_fmac_f32_e32 v11, v5 /*v261*/, v8 /*v264*/
	s_set_vgpr_msb 64                       ;  msbs: dst=1 src0=0 src1=0 src2=0
	v_add_f32_e32 v33 /*v289*/, v9, v11
	s_set_vgpr_msb 0                        ;  msbs: dst=0 src0=0 src1=0 src2=0
	v_dual_mul_f32 v9, v125, v141 :: v_dual_mul_f32 v11, v127, v143
	s_set_vgpr_msb 1                        ;  msbs: dst=0 src0=1 src1=0 src2=0
	v_mov_b32_e32 v141, v14 /*v270*/
	s_set_vgpr_msb 0                        ;  msbs: dst=0 src0=0 src1=0 src2=0
	s_delay_alu instid0(VALU_DEP_2) | instskip(SKIP_2) | instid1(VALU_DEP_2)
	v_dual_fma_f32 v9, v124, v140, -v9 :: v_dual_fma_f32 v11, v126, v142, -v11
	s_set_vgpr_msb 1                        ;  msbs: dst=0 src0=1 src1=0 src2=0
	v_dual_mov_b32 v140, v15 /*v271*/ :: v_dual_mov_b32 v142, v19 /*v275*/
	v_add_f32_e32 v9, 0, v9
	s_set_vgpr_msb 0                        ;  msbs: dst=0 src0=0 src1=0 src2=0
	s_delay_alu instid0(VALU_DEP_2) | instskip(NEXT) | instid1(VALU_DEP_2)
	v_pk_mul_f32 v[140:141], v[140:141], v[142:143] op_sel_hi:[1,0]
	v_add_f32_e32 v9, v9, v11
	v_mul_f32_e32 v11, v129, v145
	s_set_vgpr_msb 5                        ;  msbs: dst=0 src0=1 src1=1 src2=0
	s_delay_alu instid0(VALU_DEP_3) | instskip(SKIP_2) | instid1(VALU_DEP_1)
	v_pk_fma_f32 v[142:143], v[14:15] /*v[270:271]*/, v[18:19] /*v[274:275]*/, v[140:141] neg_lo:[0,0,1] neg_hi:[0,0,1]
	v_pk_fma_f32 v[140:141], v[14:15] /*v[270:271]*/, v[18:19] /*v[274:275]*/, v[140:141] op_sel_hi:[1,0,1]
	s_set_vgpr_msb 0                        ;  msbs: dst=0 src0=0 src1=0 src2=0
	v_dual_fma_f32 v11, v128, v144, -v11 :: v_dual_mov_b32 v143, v141
	s_delay_alu instid0(VALU_DEP_1) | instskip(SKIP_1) | instid1(VALU_DEP_1)
	v_add_f32_e32 v9, v9, v11
	v_mul_f32_e32 v11, v131, v147
	v_fma_f32 v11, v130, v146, -v11
	s_delay_alu instid0(VALU_DEP_1) | instskip(SKIP_1) | instid1(VALU_DEP_1)
	v_add_f32_e32 v9, v9, v11
	v_mul_f32_e32 v11, v133, v149
	v_fma_f32 v11, v132, v148, -v11
	;; [unrolled: 4-line block ×4, first 2 shown]
	ds_load_b128 v[124:127], v7 offset:928
	ds_load_b128 v[128:131], v7 offset:944
	;; [unrolled: 1-line block ×3, first 2 shown]
	ds_load_b64 v[136:137], v7 offset:976
	v_add_f32_e32 v9, v9, v11
	v_mul_f32_e32 v11, v139, v155
	s_delay_alu instid0(VALU_DEP_1) | instskip(NEXT) | instid1(VALU_DEP_1)
	v_fma_f32 v11, v138, v154, -v11
	v_add_f32_e32 v9, v9, v11
	v_mul_f32_e32 v11, v157, v161
	s_wait_loadcnt_dscnt 0x303
	s_set_vgpr_msb 4                        ;  msbs: dst=0 src0=0 src1=1 src2=0
	v_pk_mul_f32 v[140:141], v[124:125], v[20:21] /*v[276:277]*/ op_sel:[1,1] op_sel_hi:[0,1]
	s_set_vgpr_msb 0                        ;  msbs: dst=0 src0=0 src1=0 src2=0
	v_fma_f32 v11, v156, v160, -v11
	s_delay_alu instid0(VALU_DEP_1) | instskip(SKIP_1) | instid1(VALU_DEP_1)
	v_add_f32_e32 v9, v9, v11
	v_mul_f32_e32 v11, v159, v163
	v_fma_f32 v11, v158, v162, -v11
	s_delay_alu instid0(VALU_DEP_1) | instskip(SKIP_1) | instid1(VALU_DEP_1)
	v_add_f32_e32 v9, v9, v11
	v_mul_f32_e32 v11, v165, v169
	;; [unrolled: 4-line block ×23, first 2 shown]
	v_fma_f32 v11, v246, v250, -v11
	s_delay_alu instid0(VALU_DEP_1) | instskip(SKIP_2) | instid1(VALU_DEP_1)
	v_add_f32_e32 v9, v9, v11
	s_set_vgpr_msb 4                        ;  msbs: dst=0 src0=0 src1=1 src2=0
	v_mul_f32_e32 v11, v253, v1 /*v257*/
	v_fma_f32 v11, v252, v0 /*v256*/, -v11
	s_set_vgpr_msb 0                        ;  msbs: dst=0 src0=0 src1=0 src2=0
	s_delay_alu instid0(VALU_DEP_1) | instskip(SKIP_2) | instid1(VALU_DEP_1)
	v_add_f32_e32 v9, v9, v11
	s_set_vgpr_msb 4                        ;  msbs: dst=0 src0=0 src1=1 src2=0
	v_mul_f32_e32 v11, v255, v3 /*v259*/
	v_fma_f32 v11, v254, v2 /*v258*/, -v11
	s_set_vgpr_msb 0                        ;  msbs: dst=0 src0=0 src1=0 src2=0
	s_delay_alu instid0(VALU_DEP_1) | instskip(SKIP_2) | instid1(VALU_DEP_1)
	v_add_f32_e32 v9, v9, v11
	s_set_vgpr_msb 5                        ;  msbs: dst=0 src0=1 src1=1 src2=0
	v_mul_f32_e32 v11, v5 /*v261*/, v9 /*v265*/
	v_fma_f32 v11, v4 /*v260*/, v8 /*v264*/, -v11
	s_set_vgpr_msb 64                       ;  msbs: dst=1 src0=0 src1=0 src2=0
	s_delay_alu instid0(VALU_DEP_1) | instskip(SKIP_3) | instid1(VALU_DEP_1)
	v_add_f32_e32 v32 /*v288*/, v9, v11
	s_set_vgpr_msb 5                        ;  msbs: dst=0 src0=1 src1=1 src2=0
	v_mul_f32_e32 v9, v7 /*v263*/, v11 /*v267*/
	s_set_vgpr_msb 0x45                     ;  msbs: dst=1 src0=1 src1=1 src2=0
	v_fma_f32 v34 /*v290*/, v6 /*v262*/, v10 /*v266*/, -v9
	s_set_vgpr_msb 5                        ;  msbs: dst=0 src0=1 src1=1 src2=0
	v_mul_f32_e32 v9, v13 /*v269*/, v17 /*v273*/
	s_set_vgpr_msb 0x45                     ;  msbs: dst=1 src0=1 src1=1 src2=0
	s_delay_alu instid0(VALU_DEP_1) | instskip(SKIP_3) | instid1(VALU_DEP_1)
	v_fma_f32 v36 /*v292*/, v12 /*v268*/, v16 /*v272*/, -v9
	s_set_vgpr_msb 5                        ;  msbs: dst=0 src0=1 src1=1 src2=0
	v_pk_add_f32 v[138:139], v[32:33] /*v[288:289]*/, v[34:35] /*v[290:291]*/
	s_set_vgpr_msb 4                        ;  msbs: dst=0 src0=0 src1=1 src2=0
	v_pk_add_f32 v[138:139], v[138:139], v[36:37] /*v[292:293]*/
	s_set_vgpr_msb 0                        ;  msbs: dst=0 src0=0 src1=0 src2=0
	s_delay_alu instid0(VALU_DEP_1)
	v_pk_add_f32 v[138:139], v[138:139], v[142:143]
	s_set_vgpr_msb 4                        ;  msbs: dst=0 src0=0 src1=1 src2=0
	v_pk_fma_f32 v[142:143], v[124:125], v[20:21] /*v[276:277]*/, v[140:141] neg_lo:[0,0,1] neg_hi:[0,0,1]
	v_pk_fma_f32 v[124:125], v[124:125], v[20:21] /*v[276:277]*/, v[140:141] op_sel_hi:[1,0,1]
	s_set_vgpr_msb 1                        ;  msbs: dst=0 src0=1 src1=0 src2=0
	v_mov_b32_e32 v140, v23 /*v279*/
	s_set_vgpr_msb 0                        ;  msbs: dst=0 src0=0 src1=0 src2=0
	s_delay_alu instid0(VALU_DEP_2) | instskip(NEXT) | instid1(VALU_DEP_1)
	v_mov_b32_e32 v143, v125
	v_pk_add_f32 v[124:125], v[138:139], v[142:143]
	v_dual_mov_b32 v138, v127 :: v_dual_mov_b32 v139, v126
	s_delay_alu instid0(VALU_DEP_1) | instskip(SKIP_1) | instid1(VALU_DEP_1)
	v_pk_mul_f32 v[138:139], v[138:139], v[140:141] op_sel_hi:[1,0]
	s_set_vgpr_msb 4                        ;  msbs: dst=0 src0=0 src1=1 src2=0
	v_pk_fma_f32 v[140:141], v[126:127], v[22:23] /*v[278:279]*/, v[138:139] neg_lo:[0,0,1] neg_hi:[0,0,1]
	v_pk_fma_f32 v[126:127], v[126:127], v[22:23] /*v[278:279]*/, v[138:139] op_sel_hi:[1,0,1]
	s_delay_alu instid0(VALU_DEP_1) | instskip(SKIP_3) | instid1(VALU_DEP_2)
	v_mov_b32_e32 v141, v127
	s_wait_loadcnt_dscnt 0x202
	v_pk_mul_f32 v[126:127], v[128:129], v[24:25] /*v[280:281]*/ op_sel:[1,1] op_sel_hi:[0,1]
	s_set_vgpr_msb 0                        ;  msbs: dst=0 src0=0 src1=0 src2=0
	v_pk_add_f32 v[124:125], v[124:125], v[140:141]
	s_set_vgpr_msb 4                        ;  msbs: dst=0 src0=0 src1=1 src2=0
	s_delay_alu instid0(VALU_DEP_2)
	v_pk_fma_f32 v[138:139], v[128:129], v[24:25] /*v[280:281]*/, v[126:127] neg_lo:[0,0,1] neg_hi:[0,0,1]
	v_pk_fma_f32 v[126:127], v[128:129], v[24:25] /*v[280:281]*/, v[126:127] op_sel_hi:[1,0,1]
	v_mov_b32_e32 v126, v131
	s_set_vgpr_msb 1                        ;  msbs: dst=0 src0=1 src1=0 src2=0
	v_mov_b32_e32 v128, v27 /*v283*/
	s_set_vgpr_msb 0                        ;  msbs: dst=0 src0=0 src1=0 src2=0
	v_dual_mov_b32 v139, v127 :: v_dual_mov_b32 v127, v130
	s_delay_alu instid0(VALU_DEP_1) | instskip(NEXT) | instid1(VALU_DEP_2)
	v_pk_add_f32 v[124:125], v[124:125], v[138:139]
	v_pk_mul_f32 v[126:127], v[126:127], v[128:129] op_sel_hi:[1,0]
	s_set_vgpr_msb 4                        ;  msbs: dst=0 src0=0 src1=1 src2=0
	s_delay_alu instid0(VALU_DEP_1) | instskip(SKIP_1) | instid1(VALU_DEP_1)
	v_pk_fma_f32 v[128:129], v[130:131], v[26:27] /*v[282:283]*/, v[126:127] neg_lo:[0,0,1] neg_hi:[0,0,1]
	v_pk_fma_f32 v[126:127], v[130:131], v[26:27] /*v[282:283]*/, v[126:127] op_sel_hi:[1,0,1]
	v_mov_b32_e32 v129, v127
	s_wait_loadcnt_dscnt 0x101
	v_pk_mul_f32 v[126:127], v[132:133], v[28:29] /*v[284:285]*/ op_sel:[1,1] op_sel_hi:[0,1]
	s_set_vgpr_msb 0                        ;  msbs: dst=0 src0=0 src1=0 src2=0
	s_delay_alu instid0(VALU_DEP_2) | instskip(SKIP_1) | instid1(VALU_DEP_2)
	v_pk_add_f32 v[124:125], v[124:125], v[128:129]
	s_set_vgpr_msb 4                        ;  msbs: dst=0 src0=0 src1=1 src2=0
	v_pk_fma_f32 v[128:129], v[132:133], v[28:29] /*v[284:285]*/, v[126:127] neg_lo:[0,0,1] neg_hi:[0,0,1]
	v_pk_fma_f32 v[126:127], v[132:133], v[28:29] /*v[284:285]*/, v[126:127] op_sel_hi:[1,0,1]
	s_delay_alu instid0(VALU_DEP_1) | instskip(SKIP_2) | instid1(VALU_DEP_2)
	v_dual_mov_b32 v126, v135 :: v_dual_mov_b32 v129, v127
	v_mov_b32_e32 v127, v134
	s_set_vgpr_msb 0                        ;  msbs: dst=0 src0=0 src1=0 src2=0
	v_pk_add_f32 v[124:125], v[124:125], v[128:129]
	s_set_vgpr_msb 1                        ;  msbs: dst=0 src0=1 src1=0 src2=0
	v_mov_b32_e32 v128, v31 /*v287*/
	s_set_vgpr_msb 0                        ;  msbs: dst=0 src0=0 src1=0 src2=0
	s_delay_alu instid0(VALU_DEP_1) | instskip(SKIP_1) | instid1(VALU_DEP_1)
	v_pk_mul_f32 v[126:127], v[126:127], v[128:129] op_sel_hi:[1,0]
	s_set_vgpr_msb 4                        ;  msbs: dst=0 src0=0 src1=1 src2=0
	v_pk_fma_f32 v[128:129], v[134:135], v[30:31] /*v[286:287]*/, v[126:127] neg_lo:[0,0,1] neg_hi:[0,0,1]
	v_pk_fma_f32 v[126:127], v[134:135], v[30:31] /*v[286:287]*/, v[126:127] op_sel_hi:[1,0,1]
	s_delay_alu instid0(VALU_DEP_1) | instskip(SKIP_3) | instid1(VALU_DEP_2)
	v_mov_b32_e32 v129, v127
	s_wait_loadcnt_dscnt 0x0
	v_pk_mul_f32 v[126:127], v[136:137], v[38:39] /*v[294:295]*/ op_sel:[1,1] op_sel_hi:[0,1]
	s_set_vgpr_msb 0                        ;  msbs: dst=0 src0=0 src1=0 src2=0
	v_pk_add_f32 v[124:125], v[124:125], v[128:129]
	s_set_vgpr_msb 4                        ;  msbs: dst=0 src0=0 src1=1 src2=0
	s_delay_alu instid0(VALU_DEP_2) | instskip(SKIP_1) | instid1(VALU_DEP_1)
	v_pk_fma_f32 v[128:129], v[136:137], v[38:39] /*v[294:295]*/, v[126:127] neg_lo:[0,0,1] neg_hi:[0,0,1]
	v_pk_fma_f32 v[126:127], v[136:137], v[38:39] /*v[294:295]*/, v[126:127] op_sel_hi:[1,0,1]
	v_mov_b32_e32 v129, v127
	scratch_load_b64 v[126:127], off, off offset:120
	s_set_vgpr_msb 0                        ;  msbs: dst=0 src0=0 src1=0 src2=0
	v_pk_add_f32 v[124:125], v[124:125], v[128:129]
	s_wait_loadcnt 0x0
	s_delay_alu instid0(VALU_DEP_1)
	v_pk_add_f32 v[124:125], v[126:127], v[124:125] neg_lo:[0,1] neg_hi:[0,1]
	scratch_store_b64 off, v[124:125], off offset:120
	s_wait_xcnt 0x0
	v_cmpx_lt_u32_e32 14, v0
	s_cbranch_execz .LBB60_351
; %bb.350:
	scratch_load_b64 v[124:125], off, off offset:112
	v_mov_b64_e32 v[126:127], 0
	scratch_store_b64 off, v[126:127], off offset:112
	s_wait_loadcnt 0x0
	ds_store_b64 v1, v[124:125]
.LBB60_351:
	s_wait_xcnt 0x0
	s_or_b32 exec_lo, exec_lo, s0
	s_wait_storecnt_dscnt 0x0
	s_barrier_signal -1
	s_barrier_wait -1
	s_clause 0xf
	scratch_load_b128 v[128:131], off, off offset:120
	scratch_load_b128 v[136:139], off, off offset:136
	;; [unrolled: 1-line block ×16, first 2 shown]
	ds_load_2addr_b64 v[124:127], v7 offset0:77 offset1:78
	ds_load_2addr_b64 v[132:135], v7 offset0:79 offset1:80
	s_set_vgpr_msb 64                       ;  msbs: dst=1 src0=0 src1=0 src2=0
	s_clause 0x1
	scratch_load_b128 v[0:3] /*v[256:259]*/, off, off offset:376
	scratch_load_b128 v[8:11] /*v[264:267]*/, off, off offset:392
	s_set_vgpr_msb 0                        ;  msbs: dst=0 src0=0 src1=0 src2=0
	ds_load_2addr_b64 v[140:143], v7 offset0:81 offset1:82
	ds_load_2addr_b64 v[148:151], v7 offset0:83 offset1:84
	;; [unrolled: 1-line block ×15, first 2 shown]
	s_set_vgpr_msb 64                       ;  msbs: dst=1 src0=0 src1=0 src2=0
	ds_load_2addr_b64 v[4:7] /*v[260:263]*/, v7 offset0:111 offset1:112
	ds_load_2addr_b64 v[12:15] /*v[268:271]*/, v7 offset0:113 offset1:114
	s_clause 0x4
	scratch_load_b128 v[16:19] /*v[272:275]*/, off, off offset:408
	scratch_load_b128 v[20:23] /*v[276:279]*/, off, off offset:424
	;; [unrolled: 1-line block ×5, first 2 shown]
	s_mov_b32 s0, exec_lo
	s_wait_loadcnt_dscnt 0x1612
	s_set_vgpr_msb 0                        ;  msbs: dst=0 src0=0 src1=0 src2=0
	v_dual_mul_f32 v9, v124, v129 :: v_dual_mul_f32 v11, v126, v131
	s_delay_alu instid0(VALU_DEP_1) | instskip(NEXT) | instid1(VALU_DEP_1)
	v_dual_fmac_f32 v9, v125, v128 :: v_dual_fmac_f32 v11, v127, v130
	v_add_f32_e32 v9, 0, v9
	s_wait_loadcnt_dscnt 0x1511
	s_delay_alu instid0(VALU_DEP_1) | instskip(NEXT) | instid1(VALU_DEP_1)
	v_dual_add_f32 v9, v9, v11 :: v_dual_mul_f32 v11, v132, v137
	v_fmac_f32_e32 v11, v133, v136
	s_delay_alu instid0(VALU_DEP_1) | instskip(SKIP_1) | instid1(VALU_DEP_1)
	v_add_f32_e32 v9, v9, v11
	v_mul_f32_e32 v11, v134, v139
	v_fmac_f32_e32 v11, v135, v138
	s_wait_loadcnt_dscnt 0x1410
	s_delay_alu instid0(VALU_DEP_1)
	v_dual_add_f32 v9, v9, v11 :: v_dual_mul_f32 v11, v140, v145
	s_wait_loadcnt_dscnt 0x400
	s_set_vgpr_msb 0x45                     ;  msbs: dst=1 src0=1 src1=1 src2=0
	v_dual_mul_f32 v39 /*v295*/, v12 /*v268*/, v17 /*v273*/ :: v_dual_mul_f32 v41 /*v297*/, v14 /*v270*/, v19 /*v275*/
	s_set_vgpr_msb 0                        ;  msbs: dst=0 src0=0 src1=0 src2=0
	v_fmac_f32_e32 v11, v141, v144
	s_set_vgpr_msb 0x45                     ;  msbs: dst=1 src0=1 src1=1 src2=0
	s_delay_alu instid0(VALU_DEP_2) | instskip(SKIP_1) | instid1(VALU_DEP_2)
	v_dual_fmac_f32 v39 /*v295*/, v13 /*v269*/, v16 /*v272*/ :: v_dual_fmac_f32 v41 /*v297*/, v15 /*v271*/, v18 /*v274*/
	s_set_vgpr_msb 0                        ;  msbs: dst=0 src0=0 src1=0 src2=0
	v_add_f32_e32 v9, v9, v11
	v_mul_f32_e32 v11, v142, v147
	s_delay_alu instid0(VALU_DEP_1) | instskip(NEXT) | instid1(VALU_DEP_1)
	v_fmac_f32_e32 v11, v143, v146
	v_dual_add_f32 v9, v9, v11 :: v_dual_mul_f32 v11, v148, v153
	s_delay_alu instid0(VALU_DEP_1) | instskip(NEXT) | instid1(VALU_DEP_1)
	v_fmac_f32_e32 v11, v149, v152
	v_add_f32_e32 v9, v9, v11
	v_mul_f32_e32 v11, v150, v155
	s_delay_alu instid0(VALU_DEP_1) | instskip(NEXT) | instid1(VALU_DEP_1)
	v_fmac_f32_e32 v11, v151, v154
	v_dual_add_f32 v9, v9, v11 :: v_dual_mul_f32 v11, v156, v161
	s_delay_alu instid0(VALU_DEP_1) | instskip(NEXT) | instid1(VALU_DEP_1)
	v_fmac_f32_e32 v11, v157, v160
	;; [unrolled: 7-line block ×13, first 2 shown]
	v_add_f32_e32 v9, v9, v11
	v_mul_f32_e32 v11, v246, v251
	s_delay_alu instid0(VALU_DEP_1) | instskip(NEXT) | instid1(VALU_DEP_1)
	v_fmac_f32_e32 v11, v247, v250
	v_add_f32_e32 v9, v9, v11
	s_set_vgpr_msb 4                        ;  msbs: dst=0 src0=0 src1=1 src2=0
	v_mul_f32_e32 v11, v252, v1 /*v257*/
	s_delay_alu instid0(VALU_DEP_1) | instskip(SKIP_1) | instid1(VALU_DEP_1)
	v_fmac_f32_e32 v11, v253, v0 /*v256*/
	s_set_vgpr_msb 0                        ;  msbs: dst=0 src0=0 src1=0 src2=0
	v_add_f32_e32 v9, v9, v11
	s_set_vgpr_msb 4                        ;  msbs: dst=0 src0=0 src1=1 src2=0
	v_mul_f32_e32 v11, v254, v3 /*v259*/
	s_delay_alu instid0(VALU_DEP_1) | instskip(SKIP_1) | instid1(VALU_DEP_1)
	v_fmac_f32_e32 v11, v255, v2 /*v258*/
	s_set_vgpr_msb 0                        ;  msbs: dst=0 src0=0 src1=0 src2=0
	v_add_f32_e32 v9, v9, v11
	s_set_vgpr_msb 5                        ;  msbs: dst=0 src0=1 src1=1 src2=0
	v_mul_f32_e32 v11, v4 /*v260*/, v9 /*v265*/
	s_delay_alu instid0(VALU_DEP_1) | instskip(SKIP_1) | instid1(VALU_DEP_1)
	v_fmac_f32_e32 v11, v5 /*v261*/, v8 /*v264*/
	s_set_vgpr_msb 0                        ;  msbs: dst=0 src0=0 src1=0 src2=0
	v_add_f32_e32 v9, v9, v11
	s_set_vgpr_msb 5                        ;  msbs: dst=0 src0=1 src1=1 src2=0
	v_mul_f32_e32 v11, v6 /*v262*/, v11 /*v267*/
	s_delay_alu instid0(VALU_DEP_1) | instskip(SKIP_1) | instid1(VALU_DEP_1)
	v_fmac_f32_e32 v11, v7 /*v263*/, v10 /*v266*/
	s_set_vgpr_msb 64                       ;  msbs: dst=1 src0=0 src1=0 src2=0
	v_add_f32_e32 v37 /*v293*/, v9, v11
	s_set_vgpr_msb 0                        ;  msbs: dst=0 src0=0 src1=0 src2=0
	v_dual_mul_f32 v9, v125, v129 :: v_dual_mul_f32 v11, v127, v131
	s_delay_alu instid0(VALU_DEP_1) | instskip(NEXT) | instid1(VALU_DEP_1)
	v_dual_fma_f32 v9, v124, v128, -v9 :: v_dual_fma_f32 v11, v126, v130, -v11
	v_add_f32_e32 v9, 0, v9
	s_delay_alu instid0(VALU_DEP_1) | instskip(SKIP_1) | instid1(VALU_DEP_1)
	v_add_f32_e32 v9, v9, v11
	v_mul_f32_e32 v11, v133, v137
	v_fma_f32 v11, v132, v136, -v11
	s_delay_alu instid0(VALU_DEP_1) | instskip(SKIP_1) | instid1(VALU_DEP_1)
	v_add_f32_e32 v9, v9, v11
	v_mul_f32_e32 v11, v135, v139
	v_fma_f32 v11, v134, v138, -v11
	ds_load_2addr_b64 v[124:127], v7 offset0:115 offset1:116
	ds_load_2addr_b64 v[128:131], v7 offset0:117 offset1:118
	;; [unrolled: 1-line block ×4, first 2 shown]
	v_add_f32_e32 v9, v9, v11
	v_mul_f32_e32 v11, v141, v145
	s_delay_alu instid0(VALU_DEP_1) | instskip(NEXT) | instid1(VALU_DEP_1)
	v_fma_f32 v11, v140, v144, -v11
	v_add_f32_e32 v9, v9, v11
	v_mul_f32_e32 v11, v143, v147
	s_delay_alu instid0(VALU_DEP_1)
	v_fma_f32 v11, v142, v146, -v11
	s_wait_loadcnt_dscnt 0x303
	s_set_vgpr_msb 4                        ;  msbs: dst=0 src0=0 src1=1 src2=0
	v_pk_mul_f32 v[142:143], v[124:125], v[20:21] /*v[276:277]*/ op_sel:[1,1] op_sel_hi:[0,1]
	s_set_vgpr_msb 0                        ;  msbs: dst=0 src0=0 src1=0 src2=0
	v_add_f32_e32 v9, v9, v11
	v_mul_f32_e32 v11, v149, v153
	s_set_vgpr_msb 4                        ;  msbs: dst=0 src0=0 src1=1 src2=0
	v_pk_fma_f32 v[144:145], v[124:125], v[20:21] /*v[276:277]*/, v[142:143] neg_lo:[0,0,1] neg_hi:[0,0,1]
	v_pk_fma_f32 v[124:125], v[124:125], v[20:21] /*v[276:277]*/, v[142:143] op_sel_hi:[1,0,1]
	s_set_vgpr_msb 1                        ;  msbs: dst=0 src0=1 src1=0 src2=0
	v_mov_b32_e32 v142, v23 /*v279*/
	s_set_vgpr_msb 0                        ;  msbs: dst=0 src0=0 src1=0 src2=0
	s_delay_alu instid0(VALU_DEP_2) | instskip(NEXT) | instid1(VALU_DEP_1)
	v_dual_fma_f32 v11, v148, v152, -v11 :: v_dual_mov_b32 v145, v125
	v_add_f32_e32 v9, v9, v11
	v_mul_f32_e32 v11, v151, v155
	s_delay_alu instid0(VALU_DEP_1) | instskip(NEXT) | instid1(VALU_DEP_1)
	v_fma_f32 v11, v150, v154, -v11
	v_add_f32_e32 v9, v9, v11
	v_mul_f32_e32 v11, v157, v161
	s_delay_alu instid0(VALU_DEP_1) | instskip(NEXT) | instid1(VALU_DEP_1)
	v_fma_f32 v11, v156, v160, -v11
	;; [unrolled: 4-line block ×25, first 2 shown]
	v_add_f32_e32 v9, v9, v11
	s_set_vgpr_msb 4                        ;  msbs: dst=0 src0=0 src1=1 src2=0
	v_mul_f32_e32 v11, v253, v1 /*v257*/
	s_delay_alu instid0(VALU_DEP_1) | instskip(SKIP_1) | instid1(VALU_DEP_1)
	v_fma_f32 v11, v252, v0 /*v256*/, -v11
	s_set_vgpr_msb 0                        ;  msbs: dst=0 src0=0 src1=0 src2=0
	v_add_f32_e32 v9, v9, v11
	s_set_vgpr_msb 4                        ;  msbs: dst=0 src0=0 src1=1 src2=0
	v_mul_f32_e32 v11, v255, v3 /*v259*/
	s_delay_alu instid0(VALU_DEP_1) | instskip(SKIP_1) | instid1(VALU_DEP_1)
	v_fma_f32 v11, v254, v2 /*v258*/, -v11
	s_set_vgpr_msb 0                        ;  msbs: dst=0 src0=0 src1=0 src2=0
	v_add_f32_e32 v9, v9, v11
	s_set_vgpr_msb 5                        ;  msbs: dst=0 src0=1 src1=1 src2=0
	v_mul_f32_e32 v11, v5 /*v261*/, v9 /*v265*/
	s_delay_alu instid0(VALU_DEP_1) | instskip(SKIP_1) | instid1(VALU_DEP_1)
	v_fma_f32 v11, v4 /*v260*/, v8 /*v264*/, -v11
	s_set_vgpr_msb 0                        ;  msbs: dst=0 src0=0 src1=0 src2=0
	v_add_f32_e32 v9, v9, v11
	s_set_vgpr_msb 5                        ;  msbs: dst=0 src0=1 src1=1 src2=0
	v_mul_f32_e32 v11, v7 /*v263*/, v11 /*v267*/
	s_delay_alu instid0(VALU_DEP_1) | instskip(SKIP_1) | instid1(VALU_DEP_1)
	v_fma_f32 v11, v6 /*v262*/, v10 /*v266*/, -v11
	s_set_vgpr_msb 64                       ;  msbs: dst=1 src0=0 src1=0 src2=0
	v_add_f32_e32 v36 /*v292*/, v9, v11
	s_set_vgpr_msb 5                        ;  msbs: dst=0 src0=1 src1=1 src2=0
	v_mul_f32_e32 v9, v13 /*v269*/, v17 /*v273*/
	s_set_vgpr_msb 0x45                     ;  msbs: dst=1 src0=1 src1=1 src2=0
	s_delay_alu instid0(VALU_DEP_1) | instskip(SKIP_3) | instid1(VALU_DEP_1)
	v_fma_f32 v38 /*v294*/, v12 /*v268*/, v16 /*v272*/, -v9
	s_set_vgpr_msb 5                        ;  msbs: dst=0 src0=1 src1=1 src2=0
	v_mul_f32_e32 v9, v15 /*v271*/, v19 /*v275*/
	s_set_vgpr_msb 0x45                     ;  msbs: dst=1 src0=1 src1=1 src2=0
	v_fma_f32 v40 /*v296*/, v14 /*v270*/, v18 /*v274*/, -v9
	s_set_vgpr_msb 5                        ;  msbs: dst=0 src0=1 src1=1 src2=0
	v_pk_add_f32 v[140:141], v[36:37] /*v[292:293]*/, v[38:39] /*v[294:295]*/
	s_set_vgpr_msb 4                        ;  msbs: dst=0 src0=0 src1=1 src2=0
	s_delay_alu instid0(VALU_DEP_1) | instskip(SKIP_1) | instid1(VALU_DEP_1)
	v_pk_add_f32 v[140:141], v[140:141], v[40:41] /*v[296:297]*/
	s_set_vgpr_msb 0                        ;  msbs: dst=0 src0=0 src1=0 src2=0
	v_pk_add_f32 v[124:125], v[140:141], v[144:145]
	v_dual_mov_b32 v140, v127 :: v_dual_mov_b32 v141, v126
	s_delay_alu instid0(VALU_DEP_1) | instskip(SKIP_1) | instid1(VALU_DEP_1)
	v_pk_mul_f32 v[140:141], v[140:141], v[142:143] op_sel_hi:[1,0]
	s_set_vgpr_msb 4                        ;  msbs: dst=0 src0=0 src1=1 src2=0
	v_pk_fma_f32 v[142:143], v[126:127], v[22:23] /*v[278:279]*/, v[140:141] neg_lo:[0,0,1] neg_hi:[0,0,1]
	v_pk_fma_f32 v[126:127], v[126:127], v[22:23] /*v[278:279]*/, v[140:141] op_sel_hi:[1,0,1]
	s_delay_alu instid0(VALU_DEP_1) | instskip(SKIP_3) | instid1(VALU_DEP_2)
	v_mov_b32_e32 v143, v127
	s_wait_loadcnt_dscnt 0x202
	v_pk_mul_f32 v[126:127], v[128:129], v[24:25] /*v[280:281]*/ op_sel:[1,1] op_sel_hi:[0,1]
	s_set_vgpr_msb 0                        ;  msbs: dst=0 src0=0 src1=0 src2=0
	v_pk_add_f32 v[124:125], v[124:125], v[142:143]
	s_set_vgpr_msb 4                        ;  msbs: dst=0 src0=0 src1=1 src2=0
	s_delay_alu instid0(VALU_DEP_2)
	v_pk_fma_f32 v[140:141], v[128:129], v[24:25] /*v[280:281]*/, v[126:127] neg_lo:[0,0,1] neg_hi:[0,0,1]
	v_pk_fma_f32 v[126:127], v[128:129], v[24:25] /*v[280:281]*/, v[126:127] op_sel_hi:[1,0,1]
	v_mov_b32_e32 v126, v131
	s_set_vgpr_msb 1                        ;  msbs: dst=0 src0=1 src1=0 src2=0
	v_mov_b32_e32 v128, v27 /*v283*/
	s_set_vgpr_msb 0                        ;  msbs: dst=0 src0=0 src1=0 src2=0
	v_dual_mov_b32 v141, v127 :: v_dual_mov_b32 v127, v130
	s_delay_alu instid0(VALU_DEP_1) | instskip(NEXT) | instid1(VALU_DEP_2)
	v_pk_add_f32 v[124:125], v[124:125], v[140:141]
	v_pk_mul_f32 v[126:127], v[126:127], v[128:129] op_sel_hi:[1,0]
	s_set_vgpr_msb 4                        ;  msbs: dst=0 src0=0 src1=1 src2=0
	s_delay_alu instid0(VALU_DEP_1) | instskip(SKIP_1) | instid1(VALU_DEP_1)
	v_pk_fma_f32 v[128:129], v[130:131], v[26:27] /*v[282:283]*/, v[126:127] neg_lo:[0,0,1] neg_hi:[0,0,1]
	v_pk_fma_f32 v[126:127], v[130:131], v[26:27] /*v[282:283]*/, v[126:127] op_sel_hi:[1,0,1]
	v_mov_b32_e32 v129, v127
	s_wait_loadcnt_dscnt 0x101
	v_pk_mul_f32 v[126:127], v[132:133], v[28:29] /*v[284:285]*/ op_sel:[1,1] op_sel_hi:[0,1]
	s_set_vgpr_msb 0                        ;  msbs: dst=0 src0=0 src1=0 src2=0
	s_delay_alu instid0(VALU_DEP_2) | instskip(SKIP_1) | instid1(VALU_DEP_2)
	v_pk_add_f32 v[124:125], v[124:125], v[128:129]
	s_set_vgpr_msb 4                        ;  msbs: dst=0 src0=0 src1=1 src2=0
	v_pk_fma_f32 v[128:129], v[132:133], v[28:29] /*v[284:285]*/, v[126:127] neg_lo:[0,0,1] neg_hi:[0,0,1]
	v_pk_fma_f32 v[126:127], v[132:133], v[28:29] /*v[284:285]*/, v[126:127] op_sel_hi:[1,0,1]
	s_delay_alu instid0(VALU_DEP_1) | instskip(SKIP_2) | instid1(VALU_DEP_2)
	v_dual_mov_b32 v126, v135 :: v_dual_mov_b32 v129, v127
	v_mov_b32_e32 v127, v134
	s_set_vgpr_msb 0                        ;  msbs: dst=0 src0=0 src1=0 src2=0
	v_pk_add_f32 v[124:125], v[124:125], v[128:129]
	s_set_vgpr_msb 1                        ;  msbs: dst=0 src0=1 src1=0 src2=0
	v_mov_b32_e32 v128, v31 /*v287*/
	s_set_vgpr_msb 0                        ;  msbs: dst=0 src0=0 src1=0 src2=0
	s_delay_alu instid0(VALU_DEP_1) | instskip(SKIP_1) | instid1(VALU_DEP_1)
	v_pk_mul_f32 v[126:127], v[126:127], v[128:129] op_sel_hi:[1,0]
	s_set_vgpr_msb 4                        ;  msbs: dst=0 src0=0 src1=1 src2=0
	v_pk_fma_f32 v[128:129], v[134:135], v[30:31] /*v[286:287]*/, v[126:127] neg_lo:[0,0,1] neg_hi:[0,0,1]
	v_pk_fma_f32 v[126:127], v[134:135], v[30:31] /*v[286:287]*/, v[126:127] op_sel_hi:[1,0,1]
	s_delay_alu instid0(VALU_DEP_1) | instskip(SKIP_3) | instid1(VALU_DEP_2)
	v_mov_b32_e32 v129, v127
	s_wait_loadcnt_dscnt 0x0
	v_pk_mul_f32 v[126:127], v[136:137], v[32:33] /*v[288:289]*/ op_sel:[1,1] op_sel_hi:[0,1]
	s_set_vgpr_msb 0                        ;  msbs: dst=0 src0=0 src1=0 src2=0
	v_pk_add_f32 v[124:125], v[124:125], v[128:129]
	s_set_vgpr_msb 4                        ;  msbs: dst=0 src0=0 src1=1 src2=0
	s_delay_alu instid0(VALU_DEP_2) | instskip(SKIP_1) | instid1(VALU_DEP_1)
	v_pk_fma_f32 v[128:129], v[136:137], v[32:33] /*v[288:289]*/, v[126:127] neg_lo:[0,0,1] neg_hi:[0,0,1]
	v_pk_fma_f32 v[126:127], v[136:137], v[32:33] /*v[288:289]*/, v[126:127] op_sel_hi:[1,0,1]
	v_dual_mov_b32 v126, v139 :: v_dual_mov_b32 v129, v127
	v_mov_b32_e32 v127, v138
	s_set_vgpr_msb 0                        ;  msbs: dst=0 src0=0 src1=0 src2=0
	s_delay_alu instid0(VALU_DEP_2) | instskip(SKIP_3) | instid1(VALU_DEP_1)
	v_pk_add_f32 v[124:125], v[124:125], v[128:129]
	s_set_vgpr_msb 1                        ;  msbs: dst=0 src0=1 src1=0 src2=0
	v_mov_b32_e32 v128, v35 /*v291*/
	s_set_vgpr_msb 0                        ;  msbs: dst=0 src0=0 src1=0 src2=0
	v_pk_mul_f32 v[126:127], v[126:127], v[128:129] op_sel_hi:[1,0]
	s_set_vgpr_msb 4                        ;  msbs: dst=0 src0=0 src1=1 src2=0
	s_delay_alu instid0(VALU_DEP_1) | instskip(SKIP_1) | instid1(VALU_DEP_1)
	v_pk_fma_f32 v[128:129], v[138:139], v[34:35] /*v[290:291]*/, v[126:127] neg_lo:[0,0,1] neg_hi:[0,0,1]
	v_pk_fma_f32 v[126:127], v[138:139], v[34:35] /*v[290:291]*/, v[126:127] op_sel_hi:[1,0,1]
	v_mov_b32_e32 v129, v127
	scratch_load_b64 v[126:127], off, off offset:112
	s_set_vgpr_msb 0                        ;  msbs: dst=0 src0=0 src1=0 src2=0
	v_pk_add_f32 v[124:125], v[124:125], v[128:129]
	s_wait_loadcnt 0x0
	s_delay_alu instid0(VALU_DEP_1)
	v_pk_add_f32 v[124:125], v[126:127], v[124:125] neg_lo:[0,1] neg_hi:[0,1]
	scratch_store_b64 off, v[124:125], off offset:112
	s_wait_xcnt 0x0
	v_cmpx_lt_u32_e32 13, v0
	s_cbranch_execz .LBB60_353
; %bb.352:
	scratch_load_b64 v[124:125], off, off offset:104
	v_mov_b64_e32 v[126:127], 0
	scratch_store_b64 off, v[126:127], off offset:104
	s_wait_loadcnt 0x0
	ds_store_b64 v1, v[124:125]
.LBB60_353:
	s_wait_xcnt 0x0
	s_or_b32 exec_lo, exec_lo, s0
	v_mov_b32_e32 v7, 0
	s_wait_storecnt_dscnt 0x0
	s_barrier_signal -1
	s_barrier_wait -1
	ds_load_b128 v[124:127], v7 offset:608
	ds_load_b128 v[128:131], v7 offset:624
	;; [unrolled: 1-line block ×4, first 2 shown]
	s_clause 0x14
	scratch_load_b128 v[140:143], off, off offset:112
	scratch_load_b128 v[144:147], off, off offset:128
	;; [unrolled: 1-line block ×16, first 2 shown]
	s_set_vgpr_msb 64                       ;  msbs: dst=1 src0=0 src1=0 src2=0
	scratch_load_b128 v[0:3] /*v[256:259]*/, off, off offset:368
	scratch_load_b128 v[8:11] /*v[264:267]*/, off, off offset:384
	;; [unrolled: 1-line block ×4, first 2 shown]
	s_mov_b32 s0, exec_lo
	s_wait_loadcnt_dscnt 0x1303
	s_set_vgpr_msb 0                        ;  msbs: dst=0 src0=0 src1=0 src2=0
	v_mul_f32_e32 v9, v124, v141
	ds_load_b128 v[156:159], v7 offset:672
	ds_load_b128 v[164:167], v7 offset:688
	;; [unrolled: 1-line block ×4, first 2 shown]
	v_dual_fmac_f32 v9, v125, v140 :: v_dual_mul_f32 v11, v126, v143
	ds_load_b128 v[188:191], v7 offset:736
	ds_load_b128 v[196:199], v7 offset:752
	;; [unrolled: 1-line block ×4, first 2 shown]
	v_dual_add_f32 v9, 0, v9 :: v_dual_fmac_f32 v11, v127, v142
	ds_load_b128 v[220:223], v7 offset:800
	ds_load_b128 v[228:231], v7 offset:816
	;; [unrolled: 1-line block ×4, first 2 shown]
	s_wait_loadcnt_dscnt 0x120e
	v_dual_add_f32 v9, v9, v11 :: v_dual_mul_f32 v11, v128, v145
	ds_load_b128 v[252:255], v7 offset:864
	s_set_vgpr_msb 64                       ;  msbs: dst=1 src0=0 src1=0 src2=0
	ds_load_b128 v[4:7] /*v[260:263]*/, v7 offset:880
	ds_load_b128 v[12:15] /*v[268:271]*/, v7 offset:896
	;; [unrolled: 1-line block ×3, first 2 shown]
	s_set_vgpr_msb 0                        ;  msbs: dst=0 src0=0 src1=0 src2=0
	v_fmac_f32_e32 v11, v129, v144
	s_set_vgpr_msb 64                       ;  msbs: dst=1 src0=0 src1=0 src2=0
	s_clause 0x3
	scratch_load_b128 v[28:31] /*v[284:287]*/, off, off offset:432
	scratch_load_b128 v[32:35] /*v[288:291]*/, off, off offset:448
	scratch_load_b128 v[36:39] /*v[292:295]*/, off, off offset:464
	scratch_load_b64 v[46:47] /*v[302:303]*/, off, off offset:480
	s_set_vgpr_msb 0                        ;  msbs: dst=0 src0=0 src1=0 src2=0
	v_add_f32_e32 v9, v9, v11
	v_mul_f32_e32 v11, v130, v147
	s_delay_alu instid0(VALU_DEP_1) | instskip(SKIP_1) | instid1(VALU_DEP_1)
	v_fmac_f32_e32 v11, v131, v146
	s_wait_loadcnt_dscnt 0x1511
	v_dual_add_f32 v9, v9, v11 :: v_dual_mul_f32 v11, v132, v149
	s_wait_loadcnt_dscnt 0x400
	s_set_vgpr_msb 0x45                     ;  msbs: dst=1 src0=1 src1=1 src2=0
	v_dual_mul_f32 v43 /*v299*/, v14 /*v270*/, v19 /*v275*/ :: v_dual_mul_f32 v45 /*v301*/, v20 /*v276*/, v25 /*v281*/
	s_set_vgpr_msb 0                        ;  msbs: dst=0 src0=0 src1=0 src2=0
	v_fmac_f32_e32 v11, v133, v148
	s_set_vgpr_msb 0x45                     ;  msbs: dst=1 src0=1 src1=1 src2=0
	s_delay_alu instid0(VALU_DEP_2) | instskip(SKIP_1) | instid1(VALU_DEP_2)
	v_dual_fmac_f32 v43 /*v299*/, v15 /*v271*/, v18 /*v274*/ :: v_dual_fmac_f32 v45 /*v301*/, v21 /*v277*/, v24 /*v280*/
	s_set_vgpr_msb 0                        ;  msbs: dst=0 src0=0 src1=0 src2=0
	v_add_f32_e32 v9, v9, v11
	v_mul_f32_e32 v11, v134, v151
	s_delay_alu instid0(VALU_DEP_1) | instskip(NEXT) | instid1(VALU_DEP_1)
	v_fmac_f32_e32 v11, v135, v150
	v_dual_add_f32 v9, v9, v11 :: v_dual_mul_f32 v11, v136, v153
	s_delay_alu instid0(VALU_DEP_1) | instskip(NEXT) | instid1(VALU_DEP_1)
	v_fmac_f32_e32 v11, v137, v152
	v_add_f32_e32 v9, v9, v11
	v_mul_f32_e32 v11, v138, v155
	s_delay_alu instid0(VALU_DEP_1) | instskip(NEXT) | instid1(VALU_DEP_1)
	v_fmac_f32_e32 v11, v139, v154
	v_dual_add_f32 v9, v9, v11 :: v_dual_mul_f32 v11, v156, v161
	s_delay_alu instid0(VALU_DEP_1) | instskip(NEXT) | instid1(VALU_DEP_1)
	v_fmac_f32_e32 v11, v157, v160
	;; [unrolled: 7-line block ×13, first 2 shown]
	v_add_f32_e32 v9, v9, v11
	v_mul_f32_e32 v11, v246, v251
	s_delay_alu instid0(VALU_DEP_1) | instskip(NEXT) | instid1(VALU_DEP_1)
	v_fmac_f32_e32 v11, v247, v250
	v_add_f32_e32 v9, v9, v11
	s_set_vgpr_msb 4                        ;  msbs: dst=0 src0=0 src1=1 src2=0
	v_mul_f32_e32 v11, v252, v1 /*v257*/
	s_delay_alu instid0(VALU_DEP_1) | instskip(SKIP_1) | instid1(VALU_DEP_1)
	v_fmac_f32_e32 v11, v253, v0 /*v256*/
	s_set_vgpr_msb 0                        ;  msbs: dst=0 src0=0 src1=0 src2=0
	v_add_f32_e32 v9, v9, v11
	s_set_vgpr_msb 4                        ;  msbs: dst=0 src0=0 src1=1 src2=0
	v_mul_f32_e32 v11, v254, v3 /*v259*/
	s_delay_alu instid0(VALU_DEP_1) | instskip(SKIP_1) | instid1(VALU_DEP_1)
	v_fmac_f32_e32 v11, v255, v2 /*v258*/
	s_set_vgpr_msb 0                        ;  msbs: dst=0 src0=0 src1=0 src2=0
	v_add_f32_e32 v9, v9, v11
	s_set_vgpr_msb 5                        ;  msbs: dst=0 src0=1 src1=1 src2=0
	v_mul_f32_e32 v11, v4 /*v260*/, v9 /*v265*/
	s_delay_alu instid0(VALU_DEP_1) | instskip(SKIP_1) | instid1(VALU_DEP_1)
	v_fmac_f32_e32 v11, v5 /*v261*/, v8 /*v264*/
	s_set_vgpr_msb 0                        ;  msbs: dst=0 src0=0 src1=0 src2=0
	v_add_f32_e32 v9, v9, v11
	s_set_vgpr_msb 5                        ;  msbs: dst=0 src0=1 src1=1 src2=0
	v_mul_f32_e32 v11, v6 /*v262*/, v11 /*v267*/
	s_delay_alu instid0(VALU_DEP_1) | instskip(SKIP_1) | instid1(VALU_DEP_1)
	v_fmac_f32_e32 v11, v7 /*v263*/, v10 /*v266*/
	;; [unrolled: 6-line block ×3, first 2 shown]
	s_set_vgpr_msb 64                       ;  msbs: dst=1 src0=0 src1=0 src2=0
	v_add_f32_e32 v41 /*v297*/, v9, v11
	s_set_vgpr_msb 0                        ;  msbs: dst=0 src0=0 src1=0 src2=0
	v_dual_mul_f32 v9, v125, v141 :: v_dual_mul_f32 v11, v127, v143
	s_set_vgpr_msb 1                        ;  msbs: dst=0 src0=1 src1=0 src2=0
	v_mov_b32_e32 v141, v22 /*v278*/
	s_set_vgpr_msb 0                        ;  msbs: dst=0 src0=0 src1=0 src2=0
	s_delay_alu instid0(VALU_DEP_2) | instskip(SKIP_2) | instid1(VALU_DEP_2)
	v_dual_fma_f32 v9, v124, v140, -v9 :: v_dual_fma_f32 v11, v126, v142, -v11
	s_set_vgpr_msb 1                        ;  msbs: dst=0 src0=1 src1=0 src2=0
	v_dual_mov_b32 v140, v23 /*v279*/ :: v_dual_mov_b32 v142, v27 /*v283*/
	v_add_f32_e32 v9, 0, v9
	s_set_vgpr_msb 0                        ;  msbs: dst=0 src0=0 src1=0 src2=0
	s_delay_alu instid0(VALU_DEP_2) | instskip(NEXT) | instid1(VALU_DEP_2)
	v_pk_mul_f32 v[140:141], v[140:141], v[142:143] op_sel_hi:[1,0]
	v_add_f32_e32 v9, v9, v11
	v_mul_f32_e32 v11, v129, v145
	s_set_vgpr_msb 5                        ;  msbs: dst=0 src0=1 src1=1 src2=0
	s_delay_alu instid0(VALU_DEP_3) | instskip(SKIP_2) | instid1(VALU_DEP_1)
	v_pk_fma_f32 v[142:143], v[22:23] /*v[278:279]*/, v[26:27] /*v[282:283]*/, v[140:141] neg_lo:[0,0,1] neg_hi:[0,0,1]
	v_pk_fma_f32 v[140:141], v[22:23] /*v[278:279]*/, v[26:27] /*v[282:283]*/, v[140:141] op_sel_hi:[1,0,1]
	s_set_vgpr_msb 0                        ;  msbs: dst=0 src0=0 src1=0 src2=0
	v_dual_fma_f32 v11, v128, v144, -v11 :: v_dual_mov_b32 v143, v141
	s_delay_alu instid0(VALU_DEP_1) | instskip(SKIP_1) | instid1(VALU_DEP_1)
	v_add_f32_e32 v9, v9, v11
	v_mul_f32_e32 v11, v131, v147
	v_fma_f32 v11, v130, v146, -v11
	s_delay_alu instid0(VALU_DEP_1) | instskip(SKIP_1) | instid1(VALU_DEP_1)
	v_add_f32_e32 v9, v9, v11
	v_mul_f32_e32 v11, v133, v149
	v_fma_f32 v11, v132, v148, -v11
	;; [unrolled: 4-line block ×4, first 2 shown]
	ds_load_b128 v[124:127], v7 offset:928
	ds_load_b128 v[128:131], v7 offset:944
	;; [unrolled: 1-line block ×3, first 2 shown]
	ds_load_b64 v[136:137], v7 offset:976
	v_add_f32_e32 v9, v9, v11
	v_mul_f32_e32 v11, v139, v155
	s_delay_alu instid0(VALU_DEP_1) | instskip(NEXT) | instid1(VALU_DEP_1)
	v_fma_f32 v11, v138, v154, -v11
	v_add_f32_e32 v9, v9, v11
	v_mul_f32_e32 v11, v157, v161
	s_wait_loadcnt_dscnt 0x303
	s_set_vgpr_msb 4                        ;  msbs: dst=0 src0=0 src1=1 src2=0
	v_pk_mul_f32 v[140:141], v[124:125], v[28:29] /*v[284:285]*/ op_sel:[1,1] op_sel_hi:[0,1]
	s_set_vgpr_msb 0                        ;  msbs: dst=0 src0=0 src1=0 src2=0
	v_fma_f32 v11, v156, v160, -v11
	s_delay_alu instid0(VALU_DEP_1) | instskip(SKIP_1) | instid1(VALU_DEP_1)
	v_add_f32_e32 v9, v9, v11
	v_mul_f32_e32 v11, v159, v163
	v_fma_f32 v11, v158, v162, -v11
	s_delay_alu instid0(VALU_DEP_1) | instskip(SKIP_1) | instid1(VALU_DEP_1)
	v_add_f32_e32 v9, v9, v11
	v_mul_f32_e32 v11, v165, v169
	;; [unrolled: 4-line block ×23, first 2 shown]
	v_fma_f32 v11, v246, v250, -v11
	s_delay_alu instid0(VALU_DEP_1) | instskip(SKIP_2) | instid1(VALU_DEP_1)
	v_add_f32_e32 v9, v9, v11
	s_set_vgpr_msb 4                        ;  msbs: dst=0 src0=0 src1=1 src2=0
	v_mul_f32_e32 v11, v253, v1 /*v257*/
	v_fma_f32 v11, v252, v0 /*v256*/, -v11
	s_set_vgpr_msb 0                        ;  msbs: dst=0 src0=0 src1=0 src2=0
	s_delay_alu instid0(VALU_DEP_1) | instskip(SKIP_2) | instid1(VALU_DEP_1)
	v_add_f32_e32 v9, v9, v11
	s_set_vgpr_msb 4                        ;  msbs: dst=0 src0=0 src1=1 src2=0
	v_mul_f32_e32 v11, v255, v3 /*v259*/
	v_fma_f32 v11, v254, v2 /*v258*/, -v11
	s_set_vgpr_msb 0                        ;  msbs: dst=0 src0=0 src1=0 src2=0
	s_delay_alu instid0(VALU_DEP_1) | instskip(SKIP_2) | instid1(VALU_DEP_1)
	v_add_f32_e32 v9, v9, v11
	s_set_vgpr_msb 5                        ;  msbs: dst=0 src0=1 src1=1 src2=0
	v_mul_f32_e32 v11, v5 /*v261*/, v9 /*v265*/
	v_fma_f32 v11, v4 /*v260*/, v8 /*v264*/, -v11
	s_set_vgpr_msb 0                        ;  msbs: dst=0 src0=0 src1=0 src2=0
	s_delay_alu instid0(VALU_DEP_1) | instskip(SKIP_2) | instid1(VALU_DEP_1)
	v_add_f32_e32 v9, v9, v11
	s_set_vgpr_msb 5                        ;  msbs: dst=0 src0=1 src1=1 src2=0
	v_mul_f32_e32 v11, v7 /*v263*/, v11 /*v267*/
	v_fma_f32 v11, v6 /*v262*/, v10 /*v266*/, -v11
	;; [unrolled: 6-line block ×3, first 2 shown]
	s_set_vgpr_msb 64                       ;  msbs: dst=1 src0=0 src1=0 src2=0
	s_delay_alu instid0(VALU_DEP_1) | instskip(SKIP_3) | instid1(VALU_DEP_1)
	v_add_f32_e32 v40 /*v296*/, v9, v11
	s_set_vgpr_msb 5                        ;  msbs: dst=0 src0=1 src1=1 src2=0
	v_mul_f32_e32 v9, v15 /*v271*/, v19 /*v275*/
	s_set_vgpr_msb 0x45                     ;  msbs: dst=1 src0=1 src1=1 src2=0
	v_fma_f32 v42 /*v298*/, v14 /*v270*/, v18 /*v274*/, -v9
	s_set_vgpr_msb 5                        ;  msbs: dst=0 src0=1 src1=1 src2=0
	v_mul_f32_e32 v9, v21 /*v277*/, v25 /*v281*/
	s_set_vgpr_msb 0x45                     ;  msbs: dst=1 src0=1 src1=1 src2=0
	s_delay_alu instid0(VALU_DEP_1) | instskip(SKIP_3) | instid1(VALU_DEP_1)
	v_fma_f32 v44 /*v300*/, v20 /*v276*/, v24 /*v280*/, -v9
	s_set_vgpr_msb 5                        ;  msbs: dst=0 src0=1 src1=1 src2=0
	v_pk_add_f32 v[138:139], v[40:41] /*v[296:297]*/, v[42:43] /*v[298:299]*/
	s_set_vgpr_msb 4                        ;  msbs: dst=0 src0=0 src1=1 src2=0
	v_pk_add_f32 v[138:139], v[138:139], v[44:45] /*v[300:301]*/
	s_set_vgpr_msb 0                        ;  msbs: dst=0 src0=0 src1=0 src2=0
	s_delay_alu instid0(VALU_DEP_1)
	v_pk_add_f32 v[138:139], v[138:139], v[142:143]
	s_set_vgpr_msb 4                        ;  msbs: dst=0 src0=0 src1=1 src2=0
	v_pk_fma_f32 v[142:143], v[124:125], v[28:29] /*v[284:285]*/, v[140:141] neg_lo:[0,0,1] neg_hi:[0,0,1]
	v_pk_fma_f32 v[124:125], v[124:125], v[28:29] /*v[284:285]*/, v[140:141] op_sel_hi:[1,0,1]
	s_set_vgpr_msb 1                        ;  msbs: dst=0 src0=1 src1=0 src2=0
	v_mov_b32_e32 v140, v31 /*v287*/
	s_set_vgpr_msb 0                        ;  msbs: dst=0 src0=0 src1=0 src2=0
	s_delay_alu instid0(VALU_DEP_2) | instskip(NEXT) | instid1(VALU_DEP_1)
	v_mov_b32_e32 v143, v125
	v_pk_add_f32 v[124:125], v[138:139], v[142:143]
	v_dual_mov_b32 v138, v127 :: v_dual_mov_b32 v139, v126
	s_delay_alu instid0(VALU_DEP_1) | instskip(SKIP_1) | instid1(VALU_DEP_1)
	v_pk_mul_f32 v[138:139], v[138:139], v[140:141] op_sel_hi:[1,0]
	s_set_vgpr_msb 4                        ;  msbs: dst=0 src0=0 src1=1 src2=0
	v_pk_fma_f32 v[140:141], v[126:127], v[30:31] /*v[286:287]*/, v[138:139] neg_lo:[0,0,1] neg_hi:[0,0,1]
	v_pk_fma_f32 v[126:127], v[126:127], v[30:31] /*v[286:287]*/, v[138:139] op_sel_hi:[1,0,1]
	s_delay_alu instid0(VALU_DEP_1) | instskip(SKIP_3) | instid1(VALU_DEP_2)
	v_mov_b32_e32 v141, v127
	s_wait_loadcnt_dscnt 0x202
	v_pk_mul_f32 v[126:127], v[128:129], v[32:33] /*v[288:289]*/ op_sel:[1,1] op_sel_hi:[0,1]
	s_set_vgpr_msb 0                        ;  msbs: dst=0 src0=0 src1=0 src2=0
	v_pk_add_f32 v[124:125], v[124:125], v[140:141]
	s_set_vgpr_msb 4                        ;  msbs: dst=0 src0=0 src1=1 src2=0
	s_delay_alu instid0(VALU_DEP_2)
	v_pk_fma_f32 v[138:139], v[128:129], v[32:33] /*v[288:289]*/, v[126:127] neg_lo:[0,0,1] neg_hi:[0,0,1]
	v_pk_fma_f32 v[126:127], v[128:129], v[32:33] /*v[288:289]*/, v[126:127] op_sel_hi:[1,0,1]
	v_mov_b32_e32 v126, v131
	s_set_vgpr_msb 1                        ;  msbs: dst=0 src0=1 src1=0 src2=0
	v_mov_b32_e32 v128, v35 /*v291*/
	s_set_vgpr_msb 0                        ;  msbs: dst=0 src0=0 src1=0 src2=0
	v_dual_mov_b32 v139, v127 :: v_dual_mov_b32 v127, v130
	s_delay_alu instid0(VALU_DEP_1) | instskip(NEXT) | instid1(VALU_DEP_2)
	v_pk_add_f32 v[124:125], v[124:125], v[138:139]
	v_pk_mul_f32 v[126:127], v[126:127], v[128:129] op_sel_hi:[1,0]
	s_set_vgpr_msb 4                        ;  msbs: dst=0 src0=0 src1=1 src2=0
	s_delay_alu instid0(VALU_DEP_1) | instskip(SKIP_1) | instid1(VALU_DEP_1)
	v_pk_fma_f32 v[128:129], v[130:131], v[34:35] /*v[290:291]*/, v[126:127] neg_lo:[0,0,1] neg_hi:[0,0,1]
	v_pk_fma_f32 v[126:127], v[130:131], v[34:35] /*v[290:291]*/, v[126:127] op_sel_hi:[1,0,1]
	v_mov_b32_e32 v129, v127
	s_wait_loadcnt_dscnt 0x101
	v_pk_mul_f32 v[126:127], v[132:133], v[36:37] /*v[292:293]*/ op_sel:[1,1] op_sel_hi:[0,1]
	s_set_vgpr_msb 0                        ;  msbs: dst=0 src0=0 src1=0 src2=0
	s_delay_alu instid0(VALU_DEP_2) | instskip(SKIP_1) | instid1(VALU_DEP_2)
	v_pk_add_f32 v[124:125], v[124:125], v[128:129]
	s_set_vgpr_msb 4                        ;  msbs: dst=0 src0=0 src1=1 src2=0
	v_pk_fma_f32 v[128:129], v[132:133], v[36:37] /*v[292:293]*/, v[126:127] neg_lo:[0,0,1] neg_hi:[0,0,1]
	v_pk_fma_f32 v[126:127], v[132:133], v[36:37] /*v[292:293]*/, v[126:127] op_sel_hi:[1,0,1]
	s_delay_alu instid0(VALU_DEP_1) | instskip(SKIP_2) | instid1(VALU_DEP_2)
	v_dual_mov_b32 v126, v135 :: v_dual_mov_b32 v129, v127
	v_mov_b32_e32 v127, v134
	s_set_vgpr_msb 0                        ;  msbs: dst=0 src0=0 src1=0 src2=0
	v_pk_add_f32 v[124:125], v[124:125], v[128:129]
	s_set_vgpr_msb 1                        ;  msbs: dst=0 src0=1 src1=0 src2=0
	v_mov_b32_e32 v128, v39 /*v295*/
	s_set_vgpr_msb 0                        ;  msbs: dst=0 src0=0 src1=0 src2=0
	s_delay_alu instid0(VALU_DEP_1) | instskip(SKIP_1) | instid1(VALU_DEP_1)
	v_pk_mul_f32 v[126:127], v[126:127], v[128:129] op_sel_hi:[1,0]
	s_set_vgpr_msb 4                        ;  msbs: dst=0 src0=0 src1=1 src2=0
	v_pk_fma_f32 v[128:129], v[134:135], v[38:39] /*v[294:295]*/, v[126:127] neg_lo:[0,0,1] neg_hi:[0,0,1]
	v_pk_fma_f32 v[126:127], v[134:135], v[38:39] /*v[294:295]*/, v[126:127] op_sel_hi:[1,0,1]
	s_delay_alu instid0(VALU_DEP_1) | instskip(SKIP_3) | instid1(VALU_DEP_2)
	v_mov_b32_e32 v129, v127
	s_wait_loadcnt_dscnt 0x0
	v_pk_mul_f32 v[126:127], v[136:137], v[46:47] /*v[302:303]*/ op_sel:[1,1] op_sel_hi:[0,1]
	s_set_vgpr_msb 0                        ;  msbs: dst=0 src0=0 src1=0 src2=0
	v_pk_add_f32 v[124:125], v[124:125], v[128:129]
	s_set_vgpr_msb 4                        ;  msbs: dst=0 src0=0 src1=1 src2=0
	s_delay_alu instid0(VALU_DEP_2) | instskip(SKIP_1) | instid1(VALU_DEP_1)
	v_pk_fma_f32 v[128:129], v[136:137], v[46:47] /*v[302:303]*/, v[126:127] neg_lo:[0,0,1] neg_hi:[0,0,1]
	v_pk_fma_f32 v[126:127], v[136:137], v[46:47] /*v[302:303]*/, v[126:127] op_sel_hi:[1,0,1]
	v_mov_b32_e32 v129, v127
	scratch_load_b64 v[126:127], off, off offset:104
	s_set_vgpr_msb 0                        ;  msbs: dst=0 src0=0 src1=0 src2=0
	v_pk_add_f32 v[124:125], v[124:125], v[128:129]
	s_wait_loadcnt 0x0
	s_delay_alu instid0(VALU_DEP_1)
	v_pk_add_f32 v[124:125], v[126:127], v[124:125] neg_lo:[0,1] neg_hi:[0,1]
	scratch_store_b64 off, v[124:125], off offset:104
	s_wait_xcnt 0x0
	v_cmpx_lt_u32_e32 12, v0
	s_cbranch_execz .LBB60_355
; %bb.354:
	scratch_load_b64 v[124:125], off, off offset:96
	v_mov_b64_e32 v[126:127], 0
	scratch_store_b64 off, v[126:127], off offset:96
	s_wait_loadcnt 0x0
	ds_store_b64 v1, v[124:125]
.LBB60_355:
	s_wait_xcnt 0x0
	s_or_b32 exec_lo, exec_lo, s0
	s_wait_storecnt_dscnt 0x0
	s_barrier_signal -1
	s_barrier_wait -1
	s_clause 0x17
	scratch_load_b128 v[124:127], off, off offset:104
	scratch_load_b128 v[128:131], off, off offset:120
	;; [unrolled: 1-line block ×24, first 2 shown]
	ds_load_2addr_b64 v[220:223], v7 offset0:75 offset1:76
	ds_load_2addr_b64 v[224:227], v7 offset0:77 offset1:78
	;; [unrolled: 1-line block ×6, first 2 shown]
	s_set_vgpr_msb 64                       ;  msbs: dst=1 src0=0 src1=0 src2=0
	scratch_load_b64 v[60:61] /*v[316:317]*/, off, off offset:96
	s_set_vgpr_msb 0                        ;  msbs: dst=0 src0=0 src1=0 src2=0
	ds_load_2addr_b64 v[244:247], v7 offset0:83 offset1:84
	ds_load_2addr_b64 v[248:251], v7 offset0:85 offset1:86
	;; [unrolled: 1-line block ×3, first 2 shown]
	s_set_vgpr_msb 64                       ;  msbs: dst=1 src0=0 src1=0 src2=0
	ds_load_2addr_b64 v[0:3] /*v[256:259]*/, v7 offset0:121 offset1:122
	ds_load_2addr_b64 v[4:7] /*v[260:263]*/, v7 offset0:87 offset1:88
	;; [unrolled: 1-line block ×15, first 2 shown]
	s_mov_b32 s0, exec_lo
	s_wait_dscnt 0xf
	v_dual_mov_b32 v66 /*v322*/, v255 :: v_dual_mov_b32 v67 /*v323*/, v254
	s_wait_dscnt 0xe
	s_set_vgpr_msb 0x41                     ;  msbs: dst=1 src0=1 src1=0 src2=0
	v_dual_mov_b32 v68 /*v324*/, v3 /*v259*/ :: v_dual_mov_b32 v69 /*v325*/, v2 /*v258*/
	s_set_vgpr_msb 64                       ;  msbs: dst=1 src0=0 src1=0 src2=0
	v_dual_mov_b32 v62 /*v318*/, v239 :: v_dual_mov_b32 v63 /*v319*/, v238
	v_dual_mov_b32 v64 /*v320*/, v243 :: v_dual_mov_b32 v65 /*v321*/, v242
	s_wait_loadcnt 0x18
	s_set_vgpr_msb 0                        ;  msbs: dst=0 src0=0 src1=0 src2=0
	v_dual_mul_f32 v7, v220, v125 :: v_dual_mul_f32 v9, v222, v127
	v_dual_mul_f32 v83, v221, v125 :: v_dual_mul_f32 v85, v223, v127
	s_wait_loadcnt 0x17
	v_dual_mul_f32 v11, v224, v129 :: v_dual_mul_f32 v13, v226, v131
	s_delay_alu instid0(VALU_DEP_3) | instskip(SKIP_3) | instid1(VALU_DEP_3)
	v_dual_fmac_f32 v7, v221, v124 :: v_dual_fmac_f32 v9, v223, v126
	s_wait_loadcnt 0x15
	v_dual_fma_f32 v83, v220, v124, -v83 :: v_dual_mul_f32 v95, v233, v137
	v_dual_mul_f32 v87, v225, v129 :: v_dual_mul_f32 v89, v227, v131
	v_dual_fma_f32 v85, v222, v126, -v85 :: v_dual_add_f32 v7, 0, v7
	s_delay_alu instid0(VALU_DEP_3) | instskip(SKIP_1) | instid1(VALU_DEP_4)
	v_dual_add_f32 v83, 0, v83 :: v_dual_fmac_f32 v11, v225, v128
	v_dual_mul_f32 v15, v228, v133 :: v_dual_mul_f32 v17, v230, v135
	v_dual_mul_f32 v97, v235, v139 :: v_dual_fma_f32 v87, v224, v128, -v87
	s_delay_alu instid0(VALU_DEP_4) | instskip(NEXT) | instid1(VALU_DEP_3)
	v_add_f32_e32 v7, v7, v9
	v_dual_add_f32 v9, v83, v85 :: v_dual_fmac_f32 v15, v229, v132
	v_dual_mul_f32 v91, v229, v133 :: v_dual_mul_f32 v93, v231, v135
	s_wait_loadcnt 0x14
	v_dual_mul_f32 v83, v245, v141 :: v_dual_fmac_f32 v13, v227, v130
	v_dual_fma_f32 v85, v226, v130, -v89 :: v_dual_add_f32 v7, v7, v11
	s_delay_alu instid0(VALU_DEP_3) | instskip(SKIP_1) | instid1(VALU_DEP_3)
	v_dual_add_f32 v9, v9, v87 :: v_dual_fma_f32 v87, v228, v132, -v91
	v_dual_mul_f32 v19, v232, v137 :: v_dual_mul_f32 v21, v234, v139
	v_add_f32_e32 v7, v7, v13
	s_delay_alu instid0(VALU_DEP_3) | instskip(SKIP_2) | instid1(VALU_DEP_3)
	v_dual_mul_f32 v11, v247, v143 :: v_dual_add_f32 v9, v9, v85
	s_wait_loadcnt 0x13
	v_dual_mul_f32 v13, v249, v145 :: v_dual_fmac_f32 v17, v231, v134
	v_dual_fma_f32 v85, v230, v134, -v93 :: v_dual_add_f32 v7, v7, v15
	s_delay_alu instid0(VALU_DEP_3) | instskip(SKIP_1) | instid1(VALU_DEP_3)
	v_dual_add_f32 v9, v9, v87 :: v_dual_fma_f32 v87, v232, v136, -v95
	v_dual_mul_f32 v15, v251, v147 :: v_dual_fmac_f32 v19, v233, v136
	v_add_f32_e32 v7, v7, v17
	s_delay_alu instid0(VALU_DEP_3) | instskip(SKIP_1) | instid1(VALU_DEP_3)
	v_dual_add_f32 v9, v9, v85 :: v_dual_fmac_f32 v21, v235, v138
	v_dual_mul_f32 v23, v244, v141 :: v_dual_mul_f32 v25, v246, v143
	v_dual_fma_f32 v85, v234, v138, -v97 :: v_dual_add_f32 v7, v7, v19
	s_delay_alu instid0(VALU_DEP_3) | instskip(NEXT) | instid1(VALU_DEP_3)
	v_dual_add_f32 v9, v9, v87 :: v_dual_fma_f32 v83, v244, v140, -v83
	v_dual_fmac_f32 v23, v245, v140 :: v_dual_mul_f32 v27, v248, v145
	s_delay_alu instid0(VALU_DEP_3) | instskip(NEXT) | instid1(VALU_DEP_3)
	v_dual_mul_f32 v29, v250, v147 :: v_dual_add_f32 v7, v7, v21
	v_dual_fma_f32 v11, v246, v142, -v11 :: v_dual_add_f32 v9, v9, v85
	s_delay_alu instid0(VALU_DEP_3) | instskip(NEXT) | instid1(VALU_DEP_3)
	v_dual_fmac_f32 v25, v247, v142 :: v_dual_fmac_f32 v27, v249, v144
	v_dual_add_f32 v7, v7, v23 :: v_dual_fma_f32 v13, v248, v144, -v13
	s_delay_alu instid0(VALU_DEP_3)
	v_add_f32_e32 v9, v9, v83
	s_wait_loadcnt_dscnt 0x120d
	s_set_vgpr_msb 1                        ;  msbs: dst=0 src0=1 src1=0 src2=0
	v_dual_mul_f32 v31, v4 /*v260*/, v149 :: v_dual_mul_f32 v33, v6 /*v262*/, v151
	s_set_vgpr_msb 0                        ;  msbs: dst=0 src0=0 src1=0 src2=0
	v_add_f32_e32 v7, v7, v25
	s_set_vgpr_msb 1                        ;  msbs: dst=0 src0=1 src1=0 src2=0
	v_dual_mul_f32 v17, v5 /*v261*/, v149 :: v_dual_mul_f32 v19, v7 /*v263*/, v151
	s_set_vgpr_msb 0                        ;  msbs: dst=0 src0=0 src1=0 src2=0
	v_dual_add_f32 v9, v9, v11 :: v_dual_fmac_f32 v29, v251, v146
	v_dual_fma_f32 v15, v250, v146, -v15 :: v_dual_add_f32 v7, v7, v27
	s_set_vgpr_msb 1                        ;  msbs: dst=0 src0=1 src1=0 src2=0
	v_dual_fmac_f32 v31, v5 /*v261*/, v148 :: v_dual_fma_f32 v17, v4 /*v260*/, v148, -v17
	s_set_vgpr_msb 0                        ;  msbs: dst=0 src0=0 src1=0 src2=0
	v_add_f32_e32 v9, v9, v13
	s_wait_loadcnt_dscnt 0x110c
	s_set_vgpr_msb 1                        ;  msbs: dst=0 src0=1 src1=0 src2=0
	v_dual_mul_f32 v35, v8 /*v264*/, v153 :: v_dual_mul_f32 v37, v10 /*v266*/, v155
	s_set_vgpr_msb 0                        ;  msbs: dst=0 src0=0 src1=0 src2=0
	v_add_f32_e32 v7, v7, v29
	s_set_vgpr_msb 1                        ;  msbs: dst=0 src0=1 src1=0 src2=0
	v_dual_mul_f32 v21, v9 /*v265*/, v153 :: v_dual_mul_f32 v23, v11 /*v267*/, v155
	s_set_vgpr_msb 0                        ;  msbs: dst=0 src0=0 src1=0 src2=0
	v_add_f32_e32 v9, v9, v15
	s_wait_loadcnt_dscnt 0xf0a
	s_set_vgpr_msb 1                        ;  msbs: dst=0 src0=1 src1=0 src2=0
	v_dual_mul_f32 v15, v17 /*v273*/, v161 :: v_dual_fmac_f32 v33, v7 /*v263*/, v150
	v_fma_f32 v19, v6 /*v262*/, v150, -v19
	s_set_vgpr_msb 0                        ;  msbs: dst=0 src0=0 src1=0 src2=0
	v_dual_add_f32 v7, v7, v31 :: v_dual_add_f32 v9, v9, v17
	s_set_vgpr_msb 1                        ;  msbs: dst=0 src0=1 src1=0 src2=0
	v_dual_mul_f32 v17, v19 /*v275*/, v163 :: v_dual_fmac_f32 v35, v9 /*v265*/, v152
	v_fma_f32 v21, v8 /*v264*/, v152, -v21
	s_set_vgpr_msb 0                        ;  msbs: dst=0 src0=0 src1=0 src2=0
	v_dual_add_f32 v7, v7, v33 :: v_dual_add_f32 v9, v9, v19
	s_set_vgpr_msb 1                        ;  msbs: dst=0 src0=1 src1=0 src2=0
	v_dual_mul_f32 v11, v13 /*v269*/, v157 :: v_dual_mul_f32 v13, v15 /*v271*/, v159
	s_wait_loadcnt_dscnt 0xe09
	v_dual_mul_f32 v19, v21 /*v277*/, v165 :: v_dual_fmac_f32 v37, v11 /*v267*/, v154
	v_fma_f32 v23, v10 /*v266*/, v154, -v23
	s_set_vgpr_msb 0                        ;  msbs: dst=0 src0=0 src1=0 src2=0
	v_dual_add_f32 v7, v7, v35 :: v_dual_add_f32 v9, v9, v21
	s_set_vgpr_msb 1                        ;  msbs: dst=0 src0=1 src1=0 src2=0
	v_dual_mul_f32 v39, v12 /*v268*/, v157 :: v_dual_mul_f32 v41, v14 /*v270*/, v159
	v_dual_mul_f32 v21, v23 /*v279*/, v167 :: v_dual_fma_f32 v11, v12 /*v268*/, v156, -v11
	s_set_vgpr_msb 0                        ;  msbs: dst=0 src0=0 src1=0 src2=0
	v_dual_add_f32 v7, v7, v37 :: v_dual_add_f32 v9, v9, v23
	s_set_vgpr_msb 1                        ;  msbs: dst=0 src0=1 src1=0 src2=0
	v_dual_fmac_f32 v39, v13 /*v269*/, v156 :: v_dual_fmac_f32 v41, v15 /*v271*/, v158
	s_wait_loadcnt_dscnt 0xd08
	v_dual_mul_f32 v23, v25 /*v281*/, v169 :: v_dual_fma_f32 v13, v14 /*v270*/, v158, -v13
	s_set_vgpr_msb 0                        ;  msbs: dst=0 src0=0 src1=0 src2=0
	v_add_f32_e32 v9, v9, v11
	s_set_vgpr_msb 1                        ;  msbs: dst=0 src0=1 src1=0 src2=0
	v_dual_mul_f32 v43, v16 /*v272*/, v161 :: v_dual_mul_f32 v45, v18 /*v274*/, v163
	v_mul_f32_e32 v11, v27 /*v283*/, v171
	s_set_vgpr_msb 0                        ;  msbs: dst=0 src0=0 src1=0 src2=0
	v_dual_add_f32 v7, v7, v39 :: v_dual_add_f32 v9, v9, v13
	s_wait_loadcnt_dscnt 0xc07
	s_set_vgpr_msb 1                        ;  msbs: dst=0 src0=1 src1=0 src2=0
	v_dual_fma_f32 v15, v16 /*v272*/, v160, -v15 :: v_dual_mul_f32 v13, v29 /*v285*/, v173
	v_dual_fmac_f32 v43, v17 /*v273*/, v160 :: v_dual_fmac_f32 v45, v19 /*v275*/, v162
	s_set_vgpr_msb 0                        ;  msbs: dst=0 src0=0 src1=0 src2=0
	v_add_f32_e32 v7, v7, v41
	s_set_vgpr_msb 1                        ;  msbs: dst=0 src0=1 src1=0 src2=0
	v_fma_f32 v17, v18 /*v274*/, v162, -v17
	s_set_vgpr_msb 0                        ;  msbs: dst=0 src0=0 src1=0 src2=0
	v_add_f32_e32 v9, v9, v15
	s_set_vgpr_msb 1                        ;  msbs: dst=0 src0=1 src1=0 src2=0
	v_dual_mul_f32 v47, v20 /*v276*/, v165 :: v_dual_mul_f32 v49, v22 /*v278*/, v167
	v_mul_f32_e32 v15, v31 /*v287*/, v175
	s_set_vgpr_msb 0                        ;  msbs: dst=0 src0=0 src1=0 src2=0
	v_dual_add_f32 v7, v7, v43 :: v_dual_add_f32 v9, v9, v17
	s_wait_loadcnt_dscnt 0xb06
	s_set_vgpr_msb 1                        ;  msbs: dst=0 src0=1 src1=0 src2=0
	v_dual_fma_f32 v19, v20 /*v276*/, v164, -v19 :: v_dual_mul_f32 v17, v33 /*v289*/, v177
	v_dual_fmac_f32 v47, v21 /*v277*/, v164 :: v_dual_fmac_f32 v49, v23 /*v279*/, v166
	s_set_vgpr_msb 0                        ;  msbs: dst=0 src0=0 src1=0 src2=0
	v_add_f32_e32 v7, v7, v45
	s_set_vgpr_msb 1                        ;  msbs: dst=0 src0=1 src1=0 src2=0
	v_fma_f32 v21, v22 /*v278*/, v166, -v21
	s_set_vgpr_msb 0                        ;  msbs: dst=0 src0=0 src1=0 src2=0
	v_add_f32_e32 v9, v9, v19
	s_set_vgpr_msb 1                        ;  msbs: dst=0 src0=1 src1=0 src2=0
	v_dual_mul_f32 v51, v24 /*v280*/, v169 :: v_dual_mul_f32 v53, v26 /*v282*/, v171
	v_mul_f32_e32 v19, v35 /*v291*/, v179
	s_set_vgpr_msb 0                        ;  msbs: dst=0 src0=0 src1=0 src2=0
	v_dual_add_f32 v7, v7, v47 :: v_dual_add_f32 v9, v9, v21
	s_wait_loadcnt_dscnt 0xa05
	s_set_vgpr_msb 1                        ;  msbs: dst=0 src0=1 src1=0 src2=0
	v_dual_fma_f32 v23, v24 /*v280*/, v168, -v23 :: v_dual_mul_f32 v21, v37 /*v293*/, v181
	v_dual_mul_f32 v55, v28 /*v284*/, v173 :: v_dual_mul_f32 v57, v30 /*v286*/, v175
	v_dual_mul_f32 v59, v32 /*v288*/, v177 :: v_dual_mul_f32 v61, v34 /*v290*/, v179
	v_dual_fmac_f32 v51, v25 /*v281*/, v168 :: v_dual_fmac_f32 v53, v27 /*v283*/, v170
	v_fma_f32 v11, v26 /*v282*/, v170, -v11
	s_set_vgpr_msb 0                        ;  msbs: dst=0 src0=0 src1=0 src2=0
	v_dual_add_f32 v9, v9, v23 :: v_dual_add_f32 v7, v7, v49
	s_set_vgpr_msb 1                        ;  msbs: dst=0 src0=1 src1=0 src2=0
	v_dual_mul_f32 v23, v39 /*v295*/, v183 :: v_dual_fmac_f32 v55, v29 /*v285*/, v172
	v_fma_f32 v13, v28 /*v284*/, v172, -v13
	v_dual_fmac_f32 v57, v31 /*v287*/, v174 :: v_dual_fmac_f32 v59, v33 /*v289*/, v176
	s_set_vgpr_msb 0                        ;  msbs: dst=0 src0=0 src1=0 src2=0
	v_add_f32_e32 v9, v9, v11
	s_set_vgpr_msb 1                        ;  msbs: dst=0 src0=1 src1=0 src2=0
	v_dual_mul_f32 v63, v36 /*v292*/, v181 :: v_dual_mul_f32 v65, v38 /*v294*/, v183
	s_set_vgpr_msb 0                        ;  msbs: dst=0 src0=0 src1=0 src2=0
	v_add_f32_e32 v7, v7, v51
	s_wait_loadcnt_dscnt 0x904
	s_set_vgpr_msb 1                        ;  msbs: dst=0 src0=1 src1=0 src2=0
	v_dual_mul_f32 v11, v41 /*v297*/, v185 :: v_dual_fma_f32 v15, v30 /*v286*/, v174, -v15
	s_set_vgpr_msb 0                        ;  msbs: dst=0 src0=0 src1=0 src2=0
	v_add_f32_e32 v9, v9, v13
	s_set_vgpr_msb 1                        ;  msbs: dst=0 src0=1 src1=0 src2=0
	v_dual_mul_f32 v13, v43 /*v299*/, v187 :: v_dual_fma_f32 v17, v32 /*v288*/, v176, -v17
	s_set_vgpr_msb 0                        ;  msbs: dst=0 src0=0 src1=0 src2=0
	v_add_f32_e32 v7, v7, v53
	s_set_vgpr_msb 1                        ;  msbs: dst=0 src0=1 src1=0 src2=0
	v_dual_fmac_f32 v61, v35 /*v291*/, v178 :: v_dual_fmac_f32 v63, v37 /*v293*/, v180
	s_set_vgpr_msb 0                        ;  msbs: dst=0 src0=0 src1=0 src2=0
	v_add_f32_e32 v9, v9, v15
	s_set_vgpr_msb 1                        ;  msbs: dst=0 src0=1 src1=0 src2=0
	v_dual_mul_f32 v67, v40 /*v296*/, v185 :: v_dual_mul_f32 v69, v42 /*v298*/, v187
	s_set_vgpr_msb 0                        ;  msbs: dst=0 src0=0 src1=0 src2=0
	v_add_f32_e32 v7, v7, v55
	s_wait_loadcnt_dscnt 0x803
	s_set_vgpr_msb 1                        ;  msbs: dst=0 src0=1 src1=0 src2=0
	v_dual_mul_f32 v15, v45 /*v301*/, v189 :: v_dual_fma_f32 v19, v34 /*v290*/, v178, -v19
	s_set_vgpr_msb 0                        ;  msbs: dst=0 src0=0 src1=0 src2=0
	v_add_f32_e32 v9, v9, v17
	s_set_vgpr_msb 1                        ;  msbs: dst=0 src0=1 src1=0 src2=0
	v_dual_mul_f32 v17, v47 /*v303*/, v191 :: v_dual_fma_f32 v21, v36 /*v292*/, v180, -v21
	s_set_vgpr_msb 0                        ;  msbs: dst=0 src0=0 src1=0 src2=0
	v_add_f32_e32 v7, v7, v57
	s_set_vgpr_msb 1                        ;  msbs: dst=0 src0=1 src1=0 src2=0
	v_dual_fmac_f32 v65, v39 /*v295*/, v182 :: v_dual_fmac_f32 v67, v41 /*v297*/, v184
	s_set_vgpr_msb 0                        ;  msbs: dst=0 src0=0 src1=0 src2=0
	v_add_f32_e32 v9, v9, v19
	s_set_vgpr_msb 1                        ;  msbs: dst=0 src0=1 src1=0 src2=0
	v_dual_mul_f32 v71, v44 /*v300*/, v189 :: v_dual_mul_f32 v73, v46 /*v302*/, v191
	s_set_vgpr_msb 0                        ;  msbs: dst=0 src0=0 src1=0 src2=0
	v_add_f32_e32 v7, v7, v59
	s_wait_loadcnt_dscnt 0x702
	s_set_vgpr_msb 1                        ;  msbs: dst=0 src0=1 src1=0 src2=0
	v_dual_mul_f32 v19, v49 /*v305*/, v193 :: v_dual_fma_f32 v23, v38 /*v294*/, v182, -v23
	s_set_vgpr_msb 0                        ;  msbs: dst=0 src0=0 src1=0 src2=0
	v_add_f32_e32 v9, v9, v21
	s_set_vgpr_msb 1                        ;  msbs: dst=0 src0=1 src1=0 src2=0
	v_dual_mul_f32 v75, v48 /*v304*/, v193 :: v_dual_mul_f32 v77, v50 /*v306*/, v195
	s_set_vgpr_msb 0                        ;  msbs: dst=0 src0=0 src1=0 src2=0
	v_add_f32_e32 v7, v7, v61
	s_set_vgpr_msb 1                        ;  msbs: dst=0 src0=1 src1=0 src2=0
	v_dual_mul_f32 v21, v51 /*v307*/, v195 :: v_dual_fma_f32 v11, v40 /*v296*/, v184, -v11
	v_dual_fmac_f32 v69, v43 /*v299*/, v186 :: v_dual_fmac_f32 v71, v45 /*v301*/, v188
	s_set_vgpr_msb 0                        ;  msbs: dst=0 src0=0 src1=0 src2=0
	v_add_f32_e32 v9, v9, v23
	s_wait_loadcnt_dscnt 0x601
	s_set_vgpr_msb 1                        ;  msbs: dst=0 src0=1 src1=0 src2=0
	v_dual_mul_f32 v23, v53 /*v309*/, v197 :: v_dual_fma_f32 v13, v42 /*v298*/, v186, -v13
	v_dual_fmac_f32 v73, v47 /*v303*/, v190 :: v_dual_fmac_f32 v75, v49 /*v305*/, v192
	s_set_vgpr_msb 0                        ;  msbs: dst=0 src0=0 src1=0 src2=0
	v_add_f32_e32 v9, v9, v11
	v_add_f32_e32 v7, v7, v63
	s_set_vgpr_msb 1                        ;  msbs: dst=0 src0=1 src1=0 src2=0
	v_dual_mul_f32 v11, v55 /*v311*/, v199 :: v_dual_fma_f32 v15, v44 /*v300*/, v188, -v15
	v_fma_f32 v17, v46 /*v302*/, v190, -v17
	s_set_vgpr_msb 0                        ;  msbs: dst=0 src0=0 src1=0 src2=0
	v_add_f32_e32 v9, v9, v13
	v_add_f32_e32 v7, v7, v65
	s_wait_loadcnt_dscnt 0x500
	s_set_vgpr_msb 1                        ;  msbs: dst=0 src0=1 src1=0 src2=0
	v_mul_f32_e32 v13, v57 /*v313*/, v201
	s_wait_loadcnt 0x4
	s_set_vgpr_msb 0                        ;  msbs: dst=0 src0=0 src1=0 src2=0
	v_mov_b32_e32 v126, v207
	s_set_vgpr_msb 1                        ;  msbs: dst=0 src0=1 src1=0 src2=0
	v_dual_mul_f32 v79, v52 /*v308*/, v197 :: v_dual_mul_f32 v81, v54 /*v310*/, v199
	s_set_vgpr_msb 0                        ;  msbs: dst=0 src0=0 src1=0 src2=0
	v_add_f32_e32 v9, v9, v15
	v_add_f32_e32 v7, v7, v67
	s_set_vgpr_msb 1                        ;  msbs: dst=0 src0=1 src1=0 src2=0
	v_dual_mul_f32 v15, v59 /*v315*/, v203 :: v_dual_fma_f32 v19, v48 /*v304*/, v192, -v19
	v_dual_fmac_f32 v77, v51 /*v307*/, v194 :: v_dual_fmac_f32 v79, v53 /*v309*/, v196
	s_set_vgpr_msb 0                        ;  msbs: dst=0 src0=0 src1=0 src2=0
	v_add_f32_e32 v9, v9, v17
	v_add_f32_e32 v7, v7, v69
	s_set_vgpr_msb 1                        ;  msbs: dst=0 src0=1 src1=0 src2=0
	v_fma_f32 v17, v50 /*v306*/, v194, -v21
	s_set_vgpr_msb 0x41                     ;  msbs: dst=1 src0=1 src1=0 src2=0
	v_dual_mul_f32 v71 /*v327*/, v56 /*v312*/, v201 :: v_dual_mul_f32 v73 /*v329*/, v58 /*v314*/, v203
	s_set_vgpr_msb 0                        ;  msbs: dst=0 src0=0 src1=0 src2=0
	v_add_f32_e32 v9, v9, v19
	s_set_vgpr_msb 1                        ;  msbs: dst=0 src0=1 src1=0 src2=0
	v_fma_f32 v19, v52 /*v308*/, v196, -v23
	s_set_vgpr_msb 0                        ;  msbs: dst=0 src0=0 src1=0 src2=0
	v_add_f32_e32 v7, v7, v71
	s_set_vgpr_msb 1                        ;  msbs: dst=0 src0=1 src1=0 src2=0
	v_dual_fmac_f32 v81, v55 /*v311*/, v198 :: v_dual_fma_f32 v11, v54 /*v310*/, v198, -v11
	s_set_vgpr_msb 0                        ;  msbs: dst=0 src0=0 src1=0 src2=0
	v_add_f32_e32 v9, v9, v17
	v_pk_mul_f32 v[124:125], v[236:237], v[204:205] op_sel:[1,1] op_sel_hi:[0,1]
	v_add_f32_e32 v7, v7, v73
	s_wait_loadcnt 0x3
	v_mov_b32_e32 v130, v211
	s_set_vgpr_msb 0x41                     ;  msbs: dst=1 src0=1 src1=0 src2=0
	v_dual_fmac_f32 v71 /*v327*/, v57 /*v313*/, v200 :: v_dual_fmac_f32 v73 /*v329*/, v59 /*v315*/, v202
	s_set_vgpr_msb 0                        ;  msbs: dst=0 src0=0 src1=0 src2=0
	v_add_f32_e32 v9, v9, v19
	v_add_f32_e32 v7, v7, v75
	s_set_vgpr_msb 0x41                     ;  msbs: dst=1 src0=1 src1=0 src2=0
	v_dual_fma_f32 v70 /*v326*/, v56 /*v312*/, v200, -v13 :: v_dual_fma_f32 v72 /*v328*/, v58 /*v314*/, v202, -v15
	s_set_vgpr_msb 0                        ;  msbs: dst=0 src0=0 src1=0 src2=0
	v_pk_fma_f32 v[134:135], v[236:237], v[204:205], v[124:125] op_sel_hi:[1,0,1]
	v_dual_add_f32 v132, v9, v11 :: v_dual_add_f32 v7, v7, v77
	s_set_vgpr_msb 1                        ;  msbs: dst=0 src0=1 src1=0 src2=0
	v_pk_mul_f32 v[126:127], v[62:63] /*v[318:319]*/, v[126:127] op_sel_hi:[1,0]
	s_set_vgpr_msb 0                        ;  msbs: dst=0 src0=0 src1=0 src2=0
	v_pk_fma_f32 v[124:125], v[236:237], v[204:205], v[124:125] neg_lo:[0,0,1] neg_hi:[0,0,1]
	v_pk_mul_f32 v[128:129], v[240:241], v[208:209] op_sel:[1,1] op_sel_hi:[0,1]
	v_mov_b32_e32 v125, v135
	v_add_f32_e32 v7, v7, v79
	v_pk_fma_f32 v[134:135], v[238:239], v[206:207], v[126:127] op_sel_hi:[1,0,1]
	v_pk_fma_f32 v[126:127], v[238:239], v[206:207], v[126:127] neg_lo:[0,0,1] neg_hi:[0,0,1]
	v_pk_fma_f32 v[138:139], v[240:241], v[208:209], v[128:129] op_sel_hi:[1,0,1]
	s_set_vgpr_msb 1                        ;  msbs: dst=0 src0=1 src1=0 src2=0
	v_pk_mul_f32 v[130:131], v[64:65] /*v[320:321]*/, v[130:131] op_sel_hi:[1,0]
	s_set_vgpr_msb 0                        ;  msbs: dst=0 src0=0 src1=0 src2=0
	v_add_f32_e32 v133, v7, v81
	v_mov_b32_e32 v127, v135
	s_wait_loadcnt 0x2
	v_pk_mul_f32 v[136:137], v[252:253], v[212:213] op_sel:[1,1] op_sel_hi:[0,1]
	v_pk_fma_f32 v[128:129], v[240:241], v[208:209], v[128:129] neg_lo:[0,0,1] neg_hi:[0,0,1]
	v_mov_b32_e32 v129, v139
	s_set_vgpr_msb 4                        ;  msbs: dst=0 src0=0 src1=1 src2=0
	v_pk_add_f32 v[132:133], v[132:133], v[70:71] /*v[326:327]*/
	s_set_vgpr_msb 0                        ;  msbs: dst=0 src0=0 src1=0 src2=0
	v_pk_fma_f32 v[134:135], v[242:243], v[210:211], v[130:131] op_sel_hi:[1,0,1]
	v_pk_fma_f32 v[130:131], v[242:243], v[210:211], v[130:131] neg_lo:[0,0,1] neg_hi:[0,0,1]
	s_set_vgpr_msb 4                        ;  msbs: dst=0 src0=0 src1=1 src2=0
	v_pk_add_f32 v[132:133], v[132:133], v[72:73] /*v[328:329]*/
	s_set_vgpr_msb 0                        ;  msbs: dst=0 src0=0 src1=0 src2=0
	s_delay_alu instid0(VALU_DEP_1) | instskip(SKIP_1) | instid1(VALU_DEP_2)
	v_pk_add_f32 v[124:125], v[132:133], v[124:125]
	v_mov_b32_e32 v132, v215
	v_pk_add_f32 v[124:125], v[124:125], v[126:127]
	v_pk_fma_f32 v[126:127], v[252:253], v[212:213], v[136:137] op_sel_hi:[1,0,1]
	s_set_vgpr_msb 1                        ;  msbs: dst=0 src0=1 src1=0 src2=0
	s_delay_alu instid0(VALU_DEP_3)
	v_pk_mul_f32 v[132:133], v[66:67] /*v[322:323]*/, v[132:133] op_sel_hi:[1,0]
	s_set_vgpr_msb 0                        ;  msbs: dst=0 src0=0 src1=0 src2=0
	v_mov_b32_e32 v131, v135
	v_pk_fma_f32 v[134:135], v[252:253], v[212:213], v[136:137] neg_lo:[0,0,1] neg_hi:[0,0,1]
	v_pk_add_f32 v[124:125], v[124:125], v[128:129]
	v_mov_b32_e32 v135, v127
	v_pk_fma_f32 v[126:127], v[254:255], v[214:215], v[132:133] op_sel_hi:[1,0,1]
	s_wait_loadcnt 0x1
	s_set_vgpr_msb 1                        ;  msbs: dst=0 src0=1 src1=0 src2=0
	v_pk_mul_f32 v[128:129], v[0:1] /*v[256:257]*/, v[216:217] op_sel:[1,1] op_sel_hi:[0,1]
	s_set_vgpr_msb 0                        ;  msbs: dst=0 src0=0 src1=0 src2=0
	v_mov_b32_e32 v126, v219
	v_pk_add_f32 v[124:125], v[124:125], v[130:131]
	v_pk_fma_f32 v[132:133], v[254:255], v[214:215], v[132:133] neg_lo:[0,0,1] neg_hi:[0,0,1]
	v_mov_b32_e32 v133, v127
	s_set_vgpr_msb 1                        ;  msbs: dst=0 src0=1 src1=0 src2=0
	v_pk_fma_f32 v[130:131], v[0:1] /*v[256:257]*/, v[216:217], v[128:129] op_sel_hi:[1,0,1]
	v_pk_mul_f32 v[126:127], v[68:69] /*v[324:325]*/, v[126:127] op_sel_hi:[1,0]
	s_set_vgpr_msb 0                        ;  msbs: dst=0 src0=0 src1=0 src2=0
	v_pk_add_f32 v[124:125], v[124:125], v[134:135]
	s_set_vgpr_msb 1                        ;  msbs: dst=0 src0=1 src1=0 src2=0
	v_pk_fma_f32 v[128:129], v[0:1] /*v[256:257]*/, v[216:217], v[128:129] neg_lo:[0,0,1] neg_hi:[0,0,1]
	s_set_vgpr_msb 0                        ;  msbs: dst=0 src0=0 src1=0 src2=0
	v_mov_b32_e32 v129, v131
	s_set_vgpr_msb 1                        ;  msbs: dst=0 src0=1 src1=0 src2=0
	v_pk_fma_f32 v[130:131], v[2:3] /*v[258:259]*/, v[218:219], v[126:127] op_sel_hi:[1,0,1]
	s_set_vgpr_msb 0                        ;  msbs: dst=0 src0=0 src1=0 src2=0
	v_pk_add_f32 v[124:125], v[124:125], v[132:133]
	s_set_vgpr_msb 1                        ;  msbs: dst=0 src0=1 src1=0 src2=0
	v_pk_fma_f32 v[126:127], v[2:3] /*v[258:259]*/, v[218:219], v[126:127] neg_lo:[0,0,1] neg_hi:[0,0,1]
	s_set_vgpr_msb 0                        ;  msbs: dst=0 src0=0 src1=0 src2=0
	v_mov_b32_e32 v127, v131
	v_pk_add_f32 v[124:125], v[124:125], v[128:129]
	s_delay_alu instid0(VALU_DEP_1) | instskip(SKIP_2) | instid1(VALU_DEP_1)
	v_pk_add_f32 v[124:125], v[124:125], v[126:127]
	s_wait_loadcnt 0x0
	s_set_vgpr_msb 1                        ;  msbs: dst=0 src0=1 src1=0 src2=0
	v_pk_add_f32 v[124:125], v[60:61] /*v[316:317]*/, v[124:125] neg_lo:[0,1] neg_hi:[0,1]
	scratch_store_b64 off, v[124:125], off offset:96
	s_wait_xcnt 0x0
	v_cmpx_lt_u32_e32 11, v0
	s_set_vgpr_msb 0                        ;  msbs: dst=0 src0=0 src1=0 src2=0
	s_cbranch_execz .LBB60_357
; %bb.356:
	scratch_load_b64 v[124:125], off, off offset:88
	v_mov_b64_e32 v[126:127], 0
	scratch_store_b64 off, v[126:127], off offset:88
	s_wait_loadcnt 0x0
	ds_store_b64 v1, v[124:125]
.LBB60_357:
	s_wait_xcnt 0x0
	s_or_b32 exec_lo, exec_lo, s0
	s_wait_storecnt_dscnt 0x0
	s_barrier_signal -1
	s_barrier_wait -1
	s_clause 0x1a
	scratch_load_b128 v[124:127], off, off offset:96
	scratch_load_b128 v[128:131], off, off offset:112
	;; [unrolled: 1-line block ×24, first 2 shown]
	s_set_vgpr_msb 64                       ;  msbs: dst=1 src0=0 src1=0 src2=0
	scratch_load_b64 v[60:61] /*v[316:317]*/, off, off offset:480
	scratch_load_b64 v[62:63] /*v[318:319]*/, off, off offset:88
	s_set_vgpr_msb 0                        ;  msbs: dst=0 src0=0 src1=0 src2=0
	v_mov_b32_e32 v7, 0
	ds_load_b128 v[220:223], v7 offset:592
	ds_load_b128 v[224:227], v7 offset:608
	;; [unrolled: 1-line block ×9, first 2 shown]
	s_set_vgpr_msb 64                       ;  msbs: dst=1 src0=0 src1=0 src2=0
	ds_load_b128 v[0:3] /*v[256:259]*/, v7 offset:688
	ds_load_b128 v[4:7] /*v[260:263]*/, v7 offset:704
	;; [unrolled: 1-line block ×15, first 2 shown]
	ds_load_b64 v[64:65] /*v[320:321]*/, v7 offset:976
	s_wait_dscnt 0x14
	v_dual_mov_b32 v66 /*v322*/, v239 :: v_dual_mov_b32 v67 /*v323*/, v238
	s_wait_dscnt 0x11
	v_dual_mov_b32 v68 /*v324*/, v251 :: v_dual_mov_b32 v69 /*v325*/, v250
	;; [unrolled: 2-line block ×3, first 2 shown]
	s_wait_dscnt 0xd
	s_set_vgpr_msb 0x41                     ;  msbs: dst=1 src0=1 src1=0 src2=0
	v_dual_mov_b32 v72 /*v328*/, v11 /*v267*/ :: v_dual_mov_b32 v73 /*v329*/, v10 /*v266*/
	s_mov_b32 s0, exec_lo
	s_wait_loadcnt 0x19
	s_set_vgpr_msb 0                        ;  msbs: dst=0 src0=0 src1=0 src2=0
	v_dual_mul_f32 v9, v220, v125 :: v_dual_mul_f32 v87, v221, v125
	s_wait_loadcnt 0x18
	v_dual_mul_f32 v11, v222, v127 :: v_dual_mul_f32 v13, v224, v129
	v_dual_mul_f32 v89, v223, v127 :: v_dual_mul_f32 v91, v225, v129
	s_wait_loadcnt 0x14
	v_dual_mul_f32 v31, v246, v147 :: v_dual_fmac_f32 v9, v221, v124
	v_dual_fma_f32 v87, v220, v124, -v87 :: v_dual_mul_f32 v101, v235, v139
	s_delay_alu instid0(VALU_DEP_3) | instskip(NEXT) | instid1(VALU_DEP_3)
	v_dual_fma_f32 v89, v222, v126, -v89 :: v_dual_fmac_f32 v11, v223, v126
	v_dual_add_f32 v9, 0, v9 :: v_dual_mul_f32 v15, v226, v131
	s_delay_alu instid0(VALU_DEP_3)
	v_dual_mul_f32 v17, v228, v133 :: v_dual_add_f32 v87, 0, v87
	v_dual_mul_f32 v93, v227, v131 :: v_dual_mul_f32 v95, v229, v133
	v_dual_mul_f32 v103, v241, v141 :: v_dual_fma_f32 v91, v224, v128, -v91
	s_wait_loadcnt_dscnt 0x601
	s_set_vgpr_msb 1                        ;  msbs: dst=0 src0=1 src1=0 src2=0
	v_mul_f32_e32 v85, v56 /*v312*/, v201
	s_set_vgpr_msb 0                        ;  msbs: dst=0 src0=0 src1=0 src2=0
	v_fmac_f32_e32 v13, v225, v128
	v_dual_add_f32 v9, v9, v11 :: v_dual_fmac_f32 v15, v227, v130
	v_add_f32_e32 v11, v87, v89
	v_dual_mul_f32 v87, v243, v143 :: v_dual_fma_f32 v89, v226, v130, -v93
	s_delay_alu instid0(VALU_DEP_3) | instskip(NEXT) | instid1(VALU_DEP_3)
	v_dual_add_f32 v9, v9, v13 :: v_dual_mul_f32 v19, v230, v135
	v_dual_mul_f32 v21, v232, v137 :: v_dual_add_f32 v11, v11, v91
	v_dual_mul_f32 v97, v231, v135 :: v_dual_mul_f32 v99, v233, v137
	v_dual_mul_f32 v13, v245, v145 :: v_dual_fma_f32 v91, v228, v132, -v95
	s_delay_alu instid0(VALU_DEP_3) | instskip(SKIP_1) | instid1(VALU_DEP_4)
	v_dual_fmac_f32 v17, v229, v132 :: v_dual_add_f32 v11, v11, v89
	v_dual_add_f32 v9, v9, v15 :: v_dual_fmac_f32 v19, v231, v134
	v_dual_mul_f32 v15, v247, v147 :: v_dual_fma_f32 v89, v230, v134, -v97
	s_delay_alu instid0(VALU_DEP_2) | instskip(SKIP_2) | instid1(VALU_DEP_3)
	v_dual_add_f32 v11, v11, v91 :: v_dual_add_f32 v9, v9, v17
	v_dual_mul_f32 v23, v234, v139 :: v_dual_mul_f32 v25, v240, v141
	v_dual_fmac_f32 v21, v233, v136 :: v_dual_fma_f32 v91, v232, v136, -v99
	v_dual_add_f32 v9, v9, v19 :: v_dual_add_f32 v11, v11, v89
	s_delay_alu instid0(VALU_DEP_3) | instskip(SKIP_1) | instid1(VALU_DEP_3)
	v_dual_fmac_f32 v23, v235, v138 :: v_dual_fma_f32 v89, v234, v138, -v101
	v_dual_mul_f32 v27, v242, v143 :: v_dual_mul_f32 v29, v244, v145
	v_dual_add_f32 v9, v9, v21 :: v_dual_add_f32 v11, v11, v91
	v_dual_fmac_f32 v25, v241, v140 :: v_dual_fma_f32 v91, v240, v140, -v103
	s_set_vgpr_msb 1                        ;  msbs: dst=0 src0=1 src1=0 src2=0
	v_dual_mul_f32 v33, v0 /*v256*/, v149 :: v_dual_mul_f32 v35, v2 /*v258*/, v151
	s_set_vgpr_msb 0                        ;  msbs: dst=0 src0=0 src1=0 src2=0
	v_dual_add_f32 v9, v9, v23 :: v_dual_add_f32 v11, v11, v89
	v_fmac_f32_e32 v27, v243, v142
	v_fma_f32 v87, v242, v142, -v87
	s_set_vgpr_msb 1                        ;  msbs: dst=0 src0=1 src1=0 src2=0
	v_dual_mul_f32 v17, v1 /*v257*/, v149 :: v_dual_mul_f32 v19, v3 /*v259*/, v151
	s_set_vgpr_msb 0                        ;  msbs: dst=0 src0=0 src1=0 src2=0
	v_dual_add_f32 v9, v9, v25 :: v_dual_add_f32 v11, v11, v91
	v_fmac_f32_e32 v29, v245, v144
	v_fma_f32 v13, v244, v144, -v13
	s_set_vgpr_msb 1                        ;  msbs: dst=0 src0=1 src1=0 src2=0
	v_fmac_f32_e32 v33, v1 /*v257*/, v148
	s_set_vgpr_msb 0                        ;  msbs: dst=0 src0=0 src1=0 src2=0
	v_add_f32_e32 v9, v9, v27
	v_add_f32_e32 v11, v11, v87
	v_fmac_f32_e32 v31, v247, v146
	v_fma_f32 v15, v246, v146, -v15
	s_set_vgpr_msb 1                        ;  msbs: dst=0 src0=1 src1=0 src2=0
	v_fma_f32 v17, v0 /*v256*/, v148, -v17
	s_set_vgpr_msb 0                        ;  msbs: dst=0 src0=0 src1=0 src2=0
	v_add_f32_e32 v9, v9, v29
	v_add_f32_e32 v11, v11, v13
	s_set_vgpr_msb 1                        ;  msbs: dst=0 src0=1 src1=0 src2=0
	v_mul_f32_e32 v13, v17 /*v273*/, v161
	v_dual_mul_f32 v37, v4 /*v260*/, v153 :: v_dual_mul_f32 v39, v6 /*v262*/, v155
	v_dual_mul_f32 v21, v5 /*v261*/, v153 :: v_dual_mul_f32 v23, v7 /*v263*/, v155
	s_set_vgpr_msb 0                        ;  msbs: dst=0 src0=0 src1=0 src2=0
	v_add_f32_e32 v11, v11, v15
	v_add_f32_e32 v9, v9, v31
	s_set_vgpr_msb 1                        ;  msbs: dst=0 src0=1 src1=0 src2=0
	v_mul_f32_e32 v15, v19 /*v275*/, v163
	v_fmac_f32_e32 v35, v3 /*v259*/, v150
	v_dual_fma_f32 v19, v2 /*v258*/, v150, -v19 :: v_dual_fmac_f32 v37, v5 /*v261*/, v152
	s_set_vgpr_msb 0                        ;  msbs: dst=0 src0=0 src1=0 src2=0
	v_add_f32_e32 v11, v11, v17
	v_add_f32_e32 v9, v9, v33
	s_set_vgpr_msb 1                        ;  msbs: dst=0 src0=1 src1=0 src2=0
	v_dual_mul_f32 v17, v21 /*v277*/, v165 :: v_dual_fma_f32 v21, v4 /*v260*/, v152, -v21
	v_dual_mul_f32 v41, v12 /*v268*/, v157 :: v_dual_mul_f32 v43, v14 /*v270*/, v159
	s_set_vgpr_msb 0                        ;  msbs: dst=0 src0=0 src1=0 src2=0
	v_add_f32_e32 v11, v11, v19
	s_set_vgpr_msb 1                        ;  msbs: dst=0 src0=1 src1=0 src2=0
	v_mul_f32_e32 v19, v23 /*v279*/, v167
	s_set_vgpr_msb 0                        ;  msbs: dst=0 src0=0 src1=0 src2=0
	v_add_f32_e32 v9, v9, v35
	s_set_vgpr_msb 1                        ;  msbs: dst=0 src0=1 src1=0 src2=0
	v_dual_mul_f32 v25, v13 /*v269*/, v157 :: v_dual_mul_f32 v27, v15 /*v271*/, v159
	v_fmac_f32_e32 v39, v7 /*v263*/, v154
	v_dual_fma_f32 v23, v6 /*v262*/, v154, -v23 :: v_dual_fmac_f32 v41, v13 /*v269*/, v156
	s_set_vgpr_msb 0                        ;  msbs: dst=0 src0=0 src1=0 src2=0
	v_add_f32_e32 v11, v11, v21
	v_add_f32_e32 v9, v9, v37
	s_set_vgpr_msb 1                        ;  msbs: dst=0 src0=1 src1=0 src2=0
	v_dual_mul_f32 v21, v25 /*v281*/, v169 :: v_dual_fma_f32 v25, v12 /*v268*/, v156, -v25
	v_dual_mul_f32 v45, v16 /*v272*/, v161 :: v_dual_mul_f32 v47, v18 /*v274*/, v163
	s_set_vgpr_msb 0                        ;  msbs: dst=0 src0=0 src1=0 src2=0
	v_add_f32_e32 v11, v11, v23
	s_set_vgpr_msb 1                        ;  msbs: dst=0 src0=1 src1=0 src2=0
	v_mul_f32_e32 v23, v27 /*v283*/, v171
	s_set_vgpr_msb 0                        ;  msbs: dst=0 src0=0 src1=0 src2=0
	v_add_f32_e32 v9, v9, v39
	s_set_vgpr_msb 1                        ;  msbs: dst=0 src0=1 src1=0 src2=0
	v_fmac_f32_e32 v43, v15 /*v271*/, v158
	v_dual_fma_f32 v27, v14 /*v270*/, v158, -v27 :: v_dual_fmac_f32 v45, v17 /*v273*/, v160
	s_set_vgpr_msb 0                        ;  msbs: dst=0 src0=0 src1=0 src2=0
	v_add_f32_e32 v11, v11, v25
	v_add_f32_e32 v9, v9, v41
	s_set_vgpr_msb 1                        ;  msbs: dst=0 src0=1 src1=0 src2=0
	v_dual_mul_f32 v25, v29 /*v285*/, v173 :: v_dual_fma_f32 v13, v16 /*v272*/, v160, -v13
	v_dual_mul_f32 v49, v20 /*v276*/, v165 :: v_dual_mul_f32 v51, v22 /*v278*/, v167
	s_set_vgpr_msb 0                        ;  msbs: dst=0 src0=0 src1=0 src2=0
	v_add_f32_e32 v11, v11, v27
	s_set_vgpr_msb 1                        ;  msbs: dst=0 src0=1 src1=0 src2=0
	v_mul_f32_e32 v27, v31 /*v287*/, v175
	s_set_vgpr_msb 0                        ;  msbs: dst=0 src0=0 src1=0 src2=0
	v_add_f32_e32 v9, v9, v43
	s_set_vgpr_msb 1                        ;  msbs: dst=0 src0=1 src1=0 src2=0
	;; [unrolled: 15-line block ×9, first 2 shown]
	v_dual_fmac_f32 v75, v47 /*v303*/, v190 :: v_dual_fmac_f32 v77, v49 /*v305*/, v192
	v_dual_fma_f32 v27, v46 /*v302*/, v190, -v27 :: v_dual_fma_f32 v13, v48 /*v304*/, v192, -v13
	s_set_vgpr_msb 0                        ;  msbs: dst=0 src0=0 src1=0 src2=0
	v_add_f32_e32 v11, v11, v25
	v_add_f32_e32 v9, v9, v73
	s_set_vgpr_msb 1                        ;  msbs: dst=0 src0=1 src1=0 src2=0
	v_dual_mul_f32 v81, v52 /*v308*/, v197 :: v_dual_mul_f32 v83, v54 /*v310*/, v199
	s_wait_loadcnt 0x5
	s_set_vgpr_msb 0                        ;  msbs: dst=0 src0=0 src1=0 src2=0
	v_dual_mul_f32 v25, v237, v205 :: v_dual_add_f32 v11, v11, v27
	v_dual_add_f32 v9, v9, v75 :: v_dual_mov_b32 v124, v207
	s_set_vgpr_msb 1                        ;  msbs: dst=0 src0=1 src1=0 src2=0
	v_dual_fmac_f32 v79, v51 /*v307*/, v194 :: v_dual_fmac_f32 v81, v53 /*v309*/, v196
	v_fma_f32 v15, v50 /*v306*/, v194, -v15
	s_set_vgpr_msb 0                        ;  msbs: dst=0 src0=0 src1=0 src2=0
	v_add_f32_e32 v11, v11, v13
	s_set_vgpr_msb 1                        ;  msbs: dst=0 src0=1 src1=0 src2=0
	v_fma_f32 v13, v52 /*v308*/, v196, -v17
	s_set_vgpr_msb 0                        ;  msbs: dst=0 src0=0 src1=0 src2=0
	v_add_f32_e32 v9, v9, v77
	s_set_vgpr_msb 1                        ;  msbs: dst=0 src0=1 src1=0 src2=0
	v_dual_fmac_f32 v83, v55 /*v311*/, v198 :: v_dual_fmac_f32 v85, v57 /*v313*/, v200
	s_set_vgpr_msb 0                        ;  msbs: dst=0 src0=0 src1=0 src2=0
	v_add_f32_e32 v11, v11, v15
	s_set_vgpr_msb 1                        ;  msbs: dst=0 src0=1 src1=0 src2=0
	v_fma_f32 v15, v54 /*v310*/, v198, -v19
	s_wait_loadcnt 0x4
	s_set_vgpr_msb 0                        ;  msbs: dst=0 src0=0 src1=0 src2=0
	v_dual_add_f32 v9, v9, v79 :: v_dual_mov_b32 v128, v211
	s_set_vgpr_msb 0x41                     ;  msbs: dst=1 src0=1 src1=0 src2=0
	v_dual_mul_f32 v75 /*v331*/, v58 /*v314*/, v203 :: v_dual_fma_f32 v74 /*v330*/, v58 /*v314*/, v202, -v23
	s_set_vgpr_msb 1                        ;  msbs: dst=0 src0=1 src1=0 src2=0
	v_pk_mul_f32 v[124:125], v[66:67] /*v[322:323]*/, v[124:125] op_sel_hi:[1,0]
	s_set_vgpr_msb 0                        ;  msbs: dst=0 src0=0 src1=0 src2=0
	v_add_f32_e32 v9, v9, v81
	v_add_f32_e32 v11, v11, v13
	s_set_vgpr_msb 1                        ;  msbs: dst=0 src0=1 src1=0 src2=0
	v_fma_f32 v13, v56 /*v312*/, v200, -v21
	s_set_vgpr_msb 64                       ;  msbs: dst=1 src0=0 src1=0 src2=0
	v_dual_mul_f32 v77 /*v333*/, v236, v205 :: v_dual_fma_f32 v76 /*v332*/, v236, v204, -v25
	s_set_vgpr_msb 0                        ;  msbs: dst=0 src0=0 src1=0 src2=0
	v_add_f32_e32 v9, v9, v83
	v_add_f32_e32 v11, v11, v15
	s_set_vgpr_msb 0x41                     ;  msbs: dst=1 src0=1 src1=0 src2=0
	v_fmac_f32_e32 v75 /*v331*/, v59 /*v315*/, v202
	s_set_vgpr_msb 0                        ;  msbs: dst=0 src0=0 src1=0 src2=0
	v_pk_fma_f32 v[136:137], v[238:239], v[206:207], v[124:125] op_sel_hi:[1,0,1]
	v_pk_fma_f32 v[124:125], v[238:239], v[206:207], v[124:125] neg_lo:[0,0,1] neg_hi:[0,0,1]
	v_add_f32_e32 v133, v9, v85
	v_add_f32_e32 v132, v11, v13
	v_pk_mul_f32 v[126:127], v[248:249], v[208:209] op_sel:[1,1] op_sel_hi:[0,1]
	s_set_vgpr_msb 64                       ;  msbs: dst=1 src0=0 src1=0 src2=0
	v_fmac_f32_e32 v77 /*v333*/, v237, v204
	s_set_vgpr_msb 0                        ;  msbs: dst=0 src0=0 src1=0 src2=0
	v_mov_b32_e32 v125, v137
	s_set_vgpr_msb 1                        ;  msbs: dst=0 src0=1 src1=0 src2=0
	v_pk_mul_f32 v[128:129], v[68:69] /*v[324:325]*/, v[128:129] op_sel_hi:[1,0]
	s_set_vgpr_msb 4                        ;  msbs: dst=0 src0=0 src1=1 src2=0
	v_pk_add_f32 v[132:133], v[132:133], v[74:75] /*v[330:331]*/
	s_set_vgpr_msb 0                        ;  msbs: dst=0 src0=0 src1=0 src2=0
	v_pk_fma_f32 v[138:139], v[248:249], v[208:209], v[126:127] op_sel_hi:[1,0,1]
	v_pk_fma_f32 v[126:127], v[248:249], v[208:209], v[126:127] neg_lo:[0,0,1] neg_hi:[0,0,1]
	s_wait_loadcnt 0x3
	v_pk_mul_f32 v[130:131], v[252:253], v[212:213] op_sel:[1,1] op_sel_hi:[0,1]
	v_mov_b32_e32 v134, v215
	s_set_vgpr_msb 4                        ;  msbs: dst=0 src0=0 src1=1 src2=0
	v_pk_add_f32 v[132:133], v[132:133], v[76:77] /*v[332:333]*/
	v_mov_b32_e32 v127, v139
	s_set_vgpr_msb 0                        ;  msbs: dst=0 src0=0 src1=0 src2=0
	v_pk_fma_f32 v[138:139], v[250:251], v[210:211], v[128:129] op_sel_hi:[1,0,1]
	v_pk_fma_f32 v[128:129], v[250:251], v[210:211], v[128:129] neg_lo:[0,0,1] neg_hi:[0,0,1]
	s_set_vgpr_msb 1                        ;  msbs: dst=0 src0=1 src1=0 src2=0
	v_pk_mul_f32 v[134:135], v[70:71] /*v[326:327]*/, v[134:135] op_sel_hi:[1,0]
	s_set_vgpr_msb 0                        ;  msbs: dst=0 src0=0 src1=0 src2=0
	v_pk_add_f32 v[124:125], v[132:133], v[124:125]
	v_pk_fma_f32 v[132:133], v[252:253], v[212:213], v[130:131] op_sel_hi:[1,0,1]
	v_mov_b32_e32 v129, v139
	v_pk_fma_f32 v[130:131], v[252:253], v[212:213], v[130:131] neg_lo:[0,0,1] neg_hi:[0,0,1]
	s_wait_loadcnt 0x2
	s_set_vgpr_msb 1                        ;  msbs: dst=0 src0=1 src1=0 src2=0
	v_pk_mul_f32 v[136:137], v[8:9] /*v[264:265]*/, v[216:217] op_sel:[1,1] op_sel_hi:[0,1]
	s_set_vgpr_msb 0                        ;  msbs: dst=0 src0=0 src1=0 src2=0
	v_pk_add_f32 v[124:125], v[124:125], v[126:127]
	v_dual_mov_b32 v126, v219 :: v_dual_mov_b32 v131, v133
	v_pk_fma_f32 v[132:133], v[254:255], v[214:215], v[134:135] op_sel_hi:[1,0,1]
	v_pk_fma_f32 v[134:135], v[254:255], v[214:215], v[134:135] neg_lo:[0,0,1] neg_hi:[0,0,1]
	s_delay_alu instid0(VALU_DEP_4)
	v_pk_add_f32 v[124:125], v[124:125], v[128:129]
	s_set_vgpr_msb 1                        ;  msbs: dst=0 src0=1 src1=0 src2=0
	v_pk_fma_f32 v[128:129], v[8:9] /*v[264:265]*/, v[216:217], v[136:137] op_sel_hi:[1,0,1]
	v_pk_mul_f32 v[126:127], v[72:73] /*v[328:329]*/, v[126:127] op_sel_hi:[1,0]
	s_set_vgpr_msb 0                        ;  msbs: dst=0 src0=0 src1=0 src2=0
	v_mov_b32_e32 v135, v133
	s_wait_loadcnt_dscnt 0x100
	s_set_vgpr_msb 5                        ;  msbs: dst=0 src0=1 src1=1 src2=0
	v_pk_mul_f32 v[132:133], v[64:65] /*v[320:321]*/, v[60:61] /*v[316:317]*/ op_sel:[1,1] op_sel_hi:[0,1]
	s_set_vgpr_msb 0                        ;  msbs: dst=0 src0=0 src1=0 src2=0
	v_pk_add_f32 v[124:125], v[124:125], v[130:131]
	s_set_vgpr_msb 1                        ;  msbs: dst=0 src0=1 src1=0 src2=0
	v_pk_fma_f32 v[130:131], v[8:9] /*v[264:265]*/, v[216:217], v[136:137] neg_lo:[0,0,1] neg_hi:[0,0,1]
	s_set_vgpr_msb 0                        ;  msbs: dst=0 src0=0 src1=0 src2=0
	v_mov_b32_e32 v131, v129
	s_set_vgpr_msb 1                        ;  msbs: dst=0 src0=1 src1=0 src2=0
	v_pk_fma_f32 v[128:129], v[10:11] /*v[266:267]*/, v[218:219], v[126:127] op_sel_hi:[1,0,1]
	v_pk_fma_f32 v[126:127], v[10:11] /*v[266:267]*/, v[218:219], v[126:127] neg_lo:[0,0,1] neg_hi:[0,0,1]
	s_set_vgpr_msb 0                        ;  msbs: dst=0 src0=0 src1=0 src2=0
	v_pk_add_f32 v[124:125], v[124:125], v[134:135]
	s_delay_alu instid0(VALU_DEP_3)
	v_mov_b32_e32 v127, v129
	s_set_vgpr_msb 5                        ;  msbs: dst=0 src0=1 src1=1 src2=0
	v_pk_fma_f32 v[128:129], v[64:65] /*v[320:321]*/, v[60:61] /*v[316:317]*/, v[132:133] op_sel_hi:[1,0,1]
	s_set_vgpr_msb 0                        ;  msbs: dst=0 src0=0 src1=0 src2=0
	v_pk_add_f32 v[124:125], v[124:125], v[130:131]
	s_set_vgpr_msb 5                        ;  msbs: dst=0 src0=1 src1=1 src2=0
	v_pk_fma_f32 v[130:131], v[64:65] /*v[320:321]*/, v[60:61] /*v[316:317]*/, v[132:133] neg_lo:[0,0,1] neg_hi:[0,0,1]
	s_set_vgpr_msb 0                        ;  msbs: dst=0 src0=0 src1=0 src2=0
	v_mov_b32_e32 v131, v129
	v_pk_add_f32 v[124:125], v[124:125], v[126:127]
	s_delay_alu instid0(VALU_DEP_1) | instskip(SKIP_2) | instid1(VALU_DEP_1)
	v_pk_add_f32 v[124:125], v[124:125], v[130:131]
	s_wait_loadcnt 0x0
	s_set_vgpr_msb 1                        ;  msbs: dst=0 src0=1 src1=0 src2=0
	v_pk_add_f32 v[124:125], v[62:63] /*v[318:319]*/, v[124:125] neg_lo:[0,1] neg_hi:[0,1]
	scratch_store_b64 off, v[124:125], off offset:88
	s_wait_xcnt 0x0
	v_cmpx_lt_u32_e32 10, v0
	s_set_vgpr_msb 0                        ;  msbs: dst=0 src0=0 src1=0 src2=0
	s_cbranch_execz .LBB60_359
; %bb.358:
	scratch_load_b64 v[124:125], off, off offset:80
	v_mov_b64_e32 v[126:127], 0
	scratch_store_b64 off, v[126:127], off offset:80
	s_wait_loadcnt 0x0
	ds_store_b64 v1, v[124:125]
.LBB60_359:
	s_wait_xcnt 0x0
	s_or_b32 exec_lo, exec_lo, s0
	s_wait_storecnt_dscnt 0x0
	s_barrier_signal -1
	s_barrier_wait -1
	s_clause 0x18
	scratch_load_b128 v[124:127], off, off offset:88
	scratch_load_b128 v[128:131], off, off offset:104
	;; [unrolled: 1-line block ×25, first 2 shown]
	ds_load_2addr_b64 v[224:227], v7 offset0:73 offset1:74
	ds_load_2addr_b64 v[228:231], v7 offset0:75 offset1:76
	;; [unrolled: 1-line block ×8, first 2 shown]
	s_set_vgpr_msb 64                       ;  msbs: dst=1 src0=0 src1=0 src2=0
	ds_load_2addr_b64 v[0:3] /*v[256:259]*/, v7 offset0:117 offset1:118
	ds_load_2addr_b64 v[4:7] /*v[260:263]*/, v7 offset0:119 offset1:120
	;; [unrolled: 1-line block ×11, first 2 shown]
	scratch_load_b64 v[68:69] /*v[324:325]*/, off, off offset:80
	ds_load_2addr_b64 v[44:47] /*v[300:303]*/, v7 offset0:101 offset1:102
	ds_load_2addr_b64 v[48:51] /*v[304:307]*/, v7 offset0:103 offset1:104
	;; [unrolled: 1-line block ×6, first 2 shown]
	s_mov_b32 s0, exec_lo
	s_wait_dscnt 0x13
	v_dual_mov_b32 v70 /*v326*/, v247 :: v_dual_mov_b32 v71 /*v327*/, v246
	s_wait_dscnt 0x10
	s_set_vgpr_msb 0x41                     ;  msbs: dst=1 src0=1 src1=0 src2=0
	v_dual_mov_b32 v72 /*v328*/, v3 /*v259*/ :: v_dual_mov_b32 v73 /*v329*/, v2 /*v258*/
	s_wait_dscnt 0xf
	v_dual_mov_b32 v74 /*v330*/, v7 /*v263*/ :: v_dual_mov_b32 v75 /*v331*/, v6 /*v262*/
	s_wait_dscnt 0xc
	v_dual_mov_b32 v76 /*v332*/, v19 /*v275*/ :: v_dual_mov_b32 v77 /*v333*/, v18 /*v274*/
	s_wait_loadcnt 0x19
	s_set_vgpr_msb 0                        ;  msbs: dst=0 src0=0 src1=0 src2=0
	v_dual_mul_f32 v7, v224, v125 :: v_dual_mul_f32 v9, v226, v127
	v_dual_mul_f32 v87, v225, v125 :: v_dual_mul_f32 v89, v227, v127
	s_wait_loadcnt 0x18
	v_dual_mul_f32 v11, v228, v129 :: v_dual_mul_f32 v13, v230, v131
	s_delay_alu instid0(VALU_DEP_3) | instskip(SKIP_3) | instid1(VALU_DEP_3)
	v_dual_fmac_f32 v7, v225, v124 :: v_dual_fmac_f32 v9, v227, v126
	s_wait_loadcnt 0x16
	v_dual_fma_f32 v87, v224, v124, -v87 :: v_dual_mul_f32 v99, v237, v137
	v_dual_mul_f32 v91, v229, v129 :: v_dual_mul_f32 v93, v231, v131
	v_dual_fma_f32 v89, v226, v126, -v89 :: v_dual_add_f32 v7, 0, v7
	s_delay_alu instid0(VALU_DEP_3) | instskip(SKIP_1) | instid1(VALU_DEP_4)
	v_dual_add_f32 v87, 0, v87 :: v_dual_fmac_f32 v11, v229, v128
	v_dual_mul_f32 v15, v232, v133 :: v_dual_mul_f32 v17, v234, v135
	v_dual_mul_f32 v101, v239, v139 :: v_dual_fma_f32 v91, v228, v128, -v91
	s_delay_alu instid0(VALU_DEP_4) | instskip(NEXT) | instid1(VALU_DEP_3)
	v_add_f32_e32 v7, v7, v9
	v_dual_add_f32 v9, v87, v89 :: v_dual_fmac_f32 v15, v233, v132
	v_dual_mul_f32 v95, v233, v133 :: v_dual_mul_f32 v97, v235, v135
	s_wait_loadcnt 0x15
	v_dual_mul_f32 v87, v249, v141 :: v_dual_fmac_f32 v13, v231, v130
	v_dual_fma_f32 v89, v230, v130, -v93 :: v_dual_add_f32 v7, v7, v11
	s_delay_alu instid0(VALU_DEP_3) | instskip(SKIP_1) | instid1(VALU_DEP_3)
	v_dual_add_f32 v9, v9, v91 :: v_dual_fma_f32 v91, v232, v132, -v95
	v_dual_mul_f32 v19, v236, v137 :: v_dual_mul_f32 v21, v238, v139
	v_add_f32_e32 v7, v7, v13
	s_delay_alu instid0(VALU_DEP_3) | instskip(SKIP_2) | instid1(VALU_DEP_3)
	v_dual_mul_f32 v11, v251, v143 :: v_dual_add_f32 v9, v9, v89
	s_wait_loadcnt 0x14
	v_dual_mul_f32 v13, v253, v145 :: v_dual_fmac_f32 v17, v235, v134
	v_dual_fma_f32 v89, v234, v134, -v97 :: v_dual_add_f32 v7, v7, v15
	s_delay_alu instid0(VALU_DEP_3) | instskip(SKIP_1) | instid1(VALU_DEP_3)
	v_dual_add_f32 v9, v9, v91 :: v_dual_fma_f32 v91, v236, v136, -v99
	v_dual_mul_f32 v15, v255, v147 :: v_dual_fmac_f32 v19, v237, v136
	v_add_f32_e32 v7, v7, v17
	s_delay_alu instid0(VALU_DEP_3) | instskip(SKIP_1) | instid1(VALU_DEP_3)
	v_dual_add_f32 v9, v9, v89 :: v_dual_fmac_f32 v21, v239, v138
	v_dual_mul_f32 v23, v248, v141 :: v_dual_mul_f32 v25, v250, v143
	v_dual_fma_f32 v89, v238, v138, -v101 :: v_dual_add_f32 v7, v7, v19
	s_delay_alu instid0(VALU_DEP_3) | instskip(NEXT) | instid1(VALU_DEP_3)
	v_dual_add_f32 v9, v9, v91 :: v_dual_fma_f32 v87, v248, v140, -v87
	v_dual_fmac_f32 v23, v249, v140 :: v_dual_mul_f32 v27, v252, v145
	s_delay_alu instid0(VALU_DEP_3) | instskip(NEXT) | instid1(VALU_DEP_3)
	v_dual_mul_f32 v29, v254, v147 :: v_dual_add_f32 v7, v7, v21
	v_dual_fma_f32 v11, v250, v142, -v11 :: v_dual_add_f32 v9, v9, v89
	s_delay_alu instid0(VALU_DEP_3) | instskip(NEXT) | instid1(VALU_DEP_3)
	v_dual_fmac_f32 v25, v251, v142 :: v_dual_fmac_f32 v27, v253, v144
	v_dual_add_f32 v7, v7, v23 :: v_dual_fma_f32 v13, v252, v144, -v13
	s_delay_alu instid0(VALU_DEP_3)
	v_add_f32_e32 v9, v9, v87
	s_wait_loadcnt 0x13
	s_set_vgpr_msb 1                        ;  msbs: dst=0 src0=1 src1=0 src2=0
	v_dual_mul_f32 v31, v8 /*v264*/, v149 :: v_dual_mul_f32 v33, v10 /*v266*/, v151
	s_set_vgpr_msb 0                        ;  msbs: dst=0 src0=0 src1=0 src2=0
	v_add_f32_e32 v7, v7, v25
	s_set_vgpr_msb 1                        ;  msbs: dst=0 src0=1 src1=0 src2=0
	v_dual_mul_f32 v17, v9 /*v265*/, v149 :: v_dual_mul_f32 v19, v11 /*v267*/, v151
	s_set_vgpr_msb 0                        ;  msbs: dst=0 src0=0 src1=0 src2=0
	v_dual_add_f32 v9, v9, v11 :: v_dual_fmac_f32 v29, v255, v146
	v_dual_fma_f32 v15, v254, v146, -v15 :: v_dual_add_f32 v7, v7, v27
	s_set_vgpr_msb 1                        ;  msbs: dst=0 src0=1 src1=0 src2=0
	v_dual_fmac_f32 v31, v9 /*v265*/, v148 :: v_dual_fma_f32 v17, v8 /*v264*/, v148, -v17
	s_set_vgpr_msb 0                        ;  msbs: dst=0 src0=0 src1=0 src2=0
	v_add_f32_e32 v9, v9, v13
	s_wait_loadcnt 0x12
	s_set_vgpr_msb 1                        ;  msbs: dst=0 src0=1 src1=0 src2=0
	v_dual_mul_f32 v35, v12 /*v268*/, v153 :: v_dual_mul_f32 v37, v14 /*v270*/, v155
	s_set_vgpr_msb 0                        ;  msbs: dst=0 src0=0 src1=0 src2=0
	v_add_f32_e32 v7, v7, v29
	s_set_vgpr_msb 1                        ;  msbs: dst=0 src0=1 src1=0 src2=0
	v_dual_mul_f32 v21, v13 /*v269*/, v153 :: v_dual_mul_f32 v23, v15 /*v271*/, v155
	s_set_vgpr_msb 0                        ;  msbs: dst=0 src0=0 src1=0 src2=0
	v_add_f32_e32 v9, v9, v15
	s_wait_loadcnt_dscnt 0x100a
	s_set_vgpr_msb 1                        ;  msbs: dst=0 src0=1 src1=0 src2=0
	v_dual_mul_f32 v15, v25 /*v281*/, v161 :: v_dual_fmac_f32 v33, v11 /*v267*/, v150
	v_fma_f32 v19, v10 /*v266*/, v150, -v19
	s_set_vgpr_msb 0                        ;  msbs: dst=0 src0=0 src1=0 src2=0
	v_dual_add_f32 v7, v7, v31 :: v_dual_add_f32 v9, v9, v17
	s_set_vgpr_msb 1                        ;  msbs: dst=0 src0=1 src1=0 src2=0
	v_dual_mul_f32 v17, v27 /*v283*/, v163 :: v_dual_fmac_f32 v35, v13 /*v269*/, v152
	v_fma_f32 v21, v12 /*v268*/, v152, -v21
	s_set_vgpr_msb 0                        ;  msbs: dst=0 src0=0 src1=0 src2=0
	v_dual_add_f32 v7, v7, v33 :: v_dual_add_f32 v9, v9, v19
	s_set_vgpr_msb 1                        ;  msbs: dst=0 src0=1 src1=0 src2=0
	v_dual_mul_f32 v11, v21 /*v277*/, v157 :: v_dual_mul_f32 v13, v23 /*v279*/, v159
	s_wait_loadcnt_dscnt 0xf09
	v_dual_mul_f32 v19, v29 /*v285*/, v165 :: v_dual_fmac_f32 v37, v15 /*v271*/, v154
	v_fma_f32 v23, v14 /*v270*/, v154, -v23
	s_set_vgpr_msb 0                        ;  msbs: dst=0 src0=0 src1=0 src2=0
	v_dual_add_f32 v7, v7, v35 :: v_dual_add_f32 v9, v9, v21
	s_set_vgpr_msb 1                        ;  msbs: dst=0 src0=1 src1=0 src2=0
	v_dual_mul_f32 v39, v20 /*v276*/, v157 :: v_dual_mul_f32 v41, v22 /*v278*/, v159
	v_dual_mul_f32 v21, v31 /*v287*/, v167 :: v_dual_fma_f32 v11, v20 /*v276*/, v156, -v11
	s_set_vgpr_msb 0                        ;  msbs: dst=0 src0=0 src1=0 src2=0
	v_dual_add_f32 v7, v7, v37 :: v_dual_add_f32 v9, v9, v23
	s_set_vgpr_msb 1                        ;  msbs: dst=0 src0=1 src1=0 src2=0
	v_dual_fmac_f32 v39, v21 /*v277*/, v156 :: v_dual_fmac_f32 v41, v23 /*v279*/, v158
	s_wait_loadcnt_dscnt 0xe08
	v_dual_mul_f32 v23, v33 /*v289*/, v169 :: v_dual_fma_f32 v13, v22 /*v278*/, v158, -v13
	s_set_vgpr_msb 0                        ;  msbs: dst=0 src0=0 src1=0 src2=0
	v_add_f32_e32 v9, v9, v11
	s_set_vgpr_msb 1                        ;  msbs: dst=0 src0=1 src1=0 src2=0
	v_dual_mul_f32 v43, v24 /*v280*/, v161 :: v_dual_mul_f32 v45, v26 /*v282*/, v163
	v_mul_f32_e32 v11, v35 /*v291*/, v171
	s_set_vgpr_msb 0                        ;  msbs: dst=0 src0=0 src1=0 src2=0
	v_dual_add_f32 v7, v7, v39 :: v_dual_add_f32 v9, v9, v13
	s_wait_loadcnt_dscnt 0xd07
	s_set_vgpr_msb 1                        ;  msbs: dst=0 src0=1 src1=0 src2=0
	v_dual_fma_f32 v15, v24 /*v280*/, v160, -v15 :: v_dual_mul_f32 v13, v37 /*v293*/, v173
	v_dual_fmac_f32 v43, v25 /*v281*/, v160 :: v_dual_fmac_f32 v45, v27 /*v283*/, v162
	s_set_vgpr_msb 0                        ;  msbs: dst=0 src0=0 src1=0 src2=0
	v_add_f32_e32 v7, v7, v41
	s_set_vgpr_msb 1                        ;  msbs: dst=0 src0=1 src1=0 src2=0
	v_fma_f32 v17, v26 /*v282*/, v162, -v17
	s_set_vgpr_msb 0                        ;  msbs: dst=0 src0=0 src1=0 src2=0
	v_add_f32_e32 v9, v9, v15
	s_set_vgpr_msb 1                        ;  msbs: dst=0 src0=1 src1=0 src2=0
	v_dual_mul_f32 v47, v28 /*v284*/, v165 :: v_dual_mul_f32 v49, v30 /*v286*/, v167
	v_mul_f32_e32 v15, v39 /*v295*/, v175
	s_set_vgpr_msb 0                        ;  msbs: dst=0 src0=0 src1=0 src2=0
	v_dual_add_f32 v7, v7, v43 :: v_dual_add_f32 v9, v9, v17
	s_wait_loadcnt_dscnt 0xc06
	s_set_vgpr_msb 1                        ;  msbs: dst=0 src0=1 src1=0 src2=0
	v_dual_fma_f32 v19, v28 /*v284*/, v164, -v19 :: v_dual_mul_f32 v17, v41 /*v297*/, v177
	v_dual_fmac_f32 v47, v29 /*v285*/, v164 :: v_dual_fmac_f32 v49, v31 /*v287*/, v166
	s_set_vgpr_msb 0                        ;  msbs: dst=0 src0=0 src1=0 src2=0
	v_add_f32_e32 v7, v7, v45
	s_set_vgpr_msb 1                        ;  msbs: dst=0 src0=1 src1=0 src2=0
	v_fma_f32 v21, v30 /*v286*/, v166, -v21
	s_set_vgpr_msb 0                        ;  msbs: dst=0 src0=0 src1=0 src2=0
	v_add_f32_e32 v9, v9, v19
	s_set_vgpr_msb 1                        ;  msbs: dst=0 src0=1 src1=0 src2=0
	v_dual_mul_f32 v51, v32 /*v288*/, v169 :: v_dual_mul_f32 v53, v34 /*v290*/, v171
	v_mul_f32_e32 v19, v43 /*v299*/, v179
	s_set_vgpr_msb 0                        ;  msbs: dst=0 src0=0 src1=0 src2=0
	v_dual_add_f32 v7, v7, v47 :: v_dual_add_f32 v9, v9, v21
	s_wait_loadcnt_dscnt 0xb05
	s_set_vgpr_msb 1                        ;  msbs: dst=0 src0=1 src1=0 src2=0
	v_dual_fma_f32 v23, v32 /*v288*/, v168, -v23 :: v_dual_mul_f32 v21, v45 /*v301*/, v181
	v_dual_mul_f32 v55, v36 /*v292*/, v173 :: v_dual_mul_f32 v57, v38 /*v294*/, v175
	v_dual_mul_f32 v59, v40 /*v296*/, v177 :: v_dual_mul_f32 v61, v42 /*v298*/, v179
	v_dual_fmac_f32 v51, v33 /*v289*/, v168 :: v_dual_fmac_f32 v53, v35 /*v291*/, v170
	v_fma_f32 v11, v34 /*v290*/, v170, -v11
	s_set_vgpr_msb 0                        ;  msbs: dst=0 src0=0 src1=0 src2=0
	v_dual_add_f32 v9, v9, v23 :: v_dual_add_f32 v7, v7, v49
	s_set_vgpr_msb 1                        ;  msbs: dst=0 src0=1 src1=0 src2=0
	v_dual_mul_f32 v23, v47 /*v303*/, v183 :: v_dual_fmac_f32 v55, v37 /*v293*/, v172
	v_fma_f32 v13, v36 /*v292*/, v172, -v13
	v_dual_fmac_f32 v57, v39 /*v295*/, v174 :: v_dual_fmac_f32 v59, v41 /*v297*/, v176
	s_set_vgpr_msb 0                        ;  msbs: dst=0 src0=0 src1=0 src2=0
	v_add_f32_e32 v9, v9, v11
	s_set_vgpr_msb 1                        ;  msbs: dst=0 src0=1 src1=0 src2=0
	v_dual_mul_f32 v63, v44 /*v300*/, v181 :: v_dual_mul_f32 v65, v46 /*v302*/, v183
	s_set_vgpr_msb 0                        ;  msbs: dst=0 src0=0 src1=0 src2=0
	v_add_f32_e32 v7, v7, v51
	s_wait_loadcnt_dscnt 0xa04
	s_set_vgpr_msb 1                        ;  msbs: dst=0 src0=1 src1=0 src2=0
	v_dual_mul_f32 v11, v49 /*v305*/, v185 :: v_dual_fma_f32 v15, v38 /*v294*/, v174, -v15
	s_set_vgpr_msb 0                        ;  msbs: dst=0 src0=0 src1=0 src2=0
	v_add_f32_e32 v9, v9, v13
	s_set_vgpr_msb 1                        ;  msbs: dst=0 src0=1 src1=0 src2=0
	v_dual_mul_f32 v13, v51 /*v307*/, v187 :: v_dual_fma_f32 v17, v40 /*v296*/, v176, -v17
	s_set_vgpr_msb 0                        ;  msbs: dst=0 src0=0 src1=0 src2=0
	v_add_f32_e32 v7, v7, v53
	s_set_vgpr_msb 1                        ;  msbs: dst=0 src0=1 src1=0 src2=0
	v_dual_fmac_f32 v61, v43 /*v299*/, v178 :: v_dual_fmac_f32 v63, v45 /*v301*/, v180
	s_set_vgpr_msb 0                        ;  msbs: dst=0 src0=0 src1=0 src2=0
	v_add_f32_e32 v9, v9, v15
	s_set_vgpr_msb 1                        ;  msbs: dst=0 src0=1 src1=0 src2=0
	v_dual_mul_f32 v67, v48 /*v304*/, v185 :: v_dual_mul_f32 v69, v50 /*v306*/, v187
	s_set_vgpr_msb 0                        ;  msbs: dst=0 src0=0 src1=0 src2=0
	v_add_f32_e32 v7, v7, v55
	s_wait_loadcnt_dscnt 0x903
	s_set_vgpr_msb 1                        ;  msbs: dst=0 src0=1 src1=0 src2=0
	v_dual_mul_f32 v15, v53 /*v309*/, v189 :: v_dual_fma_f32 v19, v42 /*v298*/, v178, -v19
	s_set_vgpr_msb 0                        ;  msbs: dst=0 src0=0 src1=0 src2=0
	v_add_f32_e32 v9, v9, v17
	s_set_vgpr_msb 1                        ;  msbs: dst=0 src0=1 src1=0 src2=0
	v_dual_mul_f32 v17, v55 /*v311*/, v191 :: v_dual_fma_f32 v21, v44 /*v300*/, v180, -v21
	s_set_vgpr_msb 0                        ;  msbs: dst=0 src0=0 src1=0 src2=0
	v_add_f32_e32 v7, v7, v57
	s_set_vgpr_msb 1                        ;  msbs: dst=0 src0=1 src1=0 src2=0
	v_dual_fmac_f32 v65, v47 /*v303*/, v182 :: v_dual_fmac_f32 v67, v49 /*v305*/, v184
	s_set_vgpr_msb 0                        ;  msbs: dst=0 src0=0 src1=0 src2=0
	v_add_f32_e32 v9, v9, v19
	s_set_vgpr_msb 1                        ;  msbs: dst=0 src0=1 src1=0 src2=0
	v_dual_mul_f32 v71, v52 /*v308*/, v189 :: v_dual_mul_f32 v73, v54 /*v310*/, v191
	s_set_vgpr_msb 0                        ;  msbs: dst=0 src0=0 src1=0 src2=0
	v_add_f32_e32 v7, v7, v59
	s_wait_loadcnt_dscnt 0x802
	s_set_vgpr_msb 1                        ;  msbs: dst=0 src0=1 src1=0 src2=0
	v_dual_mul_f32 v19, v57 /*v313*/, v193 :: v_dual_fma_f32 v23, v46 /*v302*/, v182, -v23
	s_set_vgpr_msb 0                        ;  msbs: dst=0 src0=0 src1=0 src2=0
	v_add_f32_e32 v9, v9, v21
	s_set_vgpr_msb 1                        ;  msbs: dst=0 src0=1 src1=0 src2=0
	v_dual_mul_f32 v75, v56 /*v312*/, v193 :: v_dual_mul_f32 v77, v58 /*v314*/, v195
	s_set_vgpr_msb 0                        ;  msbs: dst=0 src0=0 src1=0 src2=0
	v_add_f32_e32 v7, v7, v61
	s_set_vgpr_msb 1                        ;  msbs: dst=0 src0=1 src1=0 src2=0
	v_dual_mul_f32 v21, v59 /*v315*/, v195 :: v_dual_fma_f32 v11, v48 /*v304*/, v184, -v11
	v_dual_fmac_f32 v69, v51 /*v307*/, v186 :: v_dual_fmac_f32 v71, v53 /*v309*/, v188
	s_set_vgpr_msb 0                        ;  msbs: dst=0 src0=0 src1=0 src2=0
	v_add_f32_e32 v9, v9, v23
	s_wait_loadcnt_dscnt 0x701
	s_set_vgpr_msb 1                        ;  msbs: dst=0 src0=1 src1=0 src2=0
	v_dual_mul_f32 v23, v61 /*v317*/, v197 :: v_dual_fma_f32 v13, v50 /*v306*/, v186, -v13
	v_dual_fmac_f32 v73, v55 /*v311*/, v190 :: v_dual_fmac_f32 v75, v57 /*v313*/, v192
	s_set_vgpr_msb 0                        ;  msbs: dst=0 src0=0 src1=0 src2=0
	v_add_f32_e32 v9, v9, v11
	v_add_f32_e32 v7, v7, v63
	s_set_vgpr_msb 1                        ;  msbs: dst=0 src0=1 src1=0 src2=0
	v_dual_mul_f32 v79, v60 /*v316*/, v197 :: v_dual_mul_f32 v81, v62 /*v318*/, v199
	v_dual_mul_f32 v11, v63 /*v319*/, v199 :: v_dual_fma_f32 v15, v52 /*v308*/, v188, -v15
	s_set_vgpr_msb 0                        ;  msbs: dst=0 src0=0 src1=0 src2=0
	v_add_f32_e32 v9, v9, v13
	v_add_f32_e32 v7, v7, v65
	s_wait_loadcnt_dscnt 0x600
	s_set_vgpr_msb 1                        ;  msbs: dst=0 src0=1 src1=0 src2=0
	v_dual_mul_f32 v13, v65 /*v321*/, v201 :: v_dual_fma_f32 v17, v54 /*v310*/, v190, -v17
	v_dual_fmac_f32 v77, v59 /*v315*/, v194 :: v_dual_fmac_f32 v79, v61 /*v317*/, v196
	s_set_vgpr_msb 0                        ;  msbs: dst=0 src0=0 src1=0 src2=0
	v_add_f32_e32 v9, v9, v15
	v_add_f32_e32 v7, v7, v67
	s_set_vgpr_msb 1                        ;  msbs: dst=0 src0=1 src1=0 src2=0
	v_dual_mul_f32 v15, v67 /*v323*/, v203 :: v_dual_fma_f32 v19, v56 /*v312*/, v192, -v19
	v_dual_fma_f32 v21, v58 /*v314*/, v194, -v21 :: v_dual_fma_f32 v23, v60 /*v316*/, v196, -v23
	s_set_vgpr_msb 0                        ;  msbs: dst=0 src0=0 src1=0 src2=0
	v_add_f32_e32 v9, v9, v17
	v_add_f32_e32 v7, v7, v69
	s_wait_loadcnt 0x4
	v_dual_mul_f32 v17, v241, v205 :: v_dual_mov_b32 v126, v211
	s_set_vgpr_msb 1                        ;  msbs: dst=0 src0=1 src1=0 src2=0
	v_dual_mul_f32 v83, v64 /*v320*/, v201 :: v_dual_mul_f32 v85, v66 /*v322*/, v203
	s_set_vgpr_msb 0                        ;  msbs: dst=0 src0=0 src1=0 src2=0
	v_add_f32_e32 v7, v7, v71
	v_add_f32_e32 v9, v9, v19
	s_set_vgpr_msb 1                        ;  msbs: dst=0 src0=1 src1=0 src2=0
	v_dual_fmac_f32 v81, v63 /*v319*/, v198 :: v_dual_fma_f32 v11, v62 /*v318*/, v198, -v11
	v_dual_fmac_f32 v83, v65 /*v321*/, v200 :: v_dual_fma_f32 v13, v64 /*v320*/, v200, -v13
	s_set_vgpr_msb 0                        ;  msbs: dst=0 src0=0 src1=0 src2=0
	v_add_f32_e32 v7, v7, v73
	v_add_f32_e32 v9, v9, v21
	s_set_vgpr_msb 64                       ;  msbs: dst=1 src0=0 src1=0 src2=0
	v_dual_mul_f32 v79 /*v335*/, v240, v205 :: v_dual_mul_f32 v81 /*v337*/, v242, v207
	s_set_vgpr_msb 1                        ;  msbs: dst=0 src0=1 src1=0 src2=0
	v_fmac_f32_e32 v85, v67 /*v323*/, v202
	s_set_vgpr_msb 0                        ;  msbs: dst=0 src0=0 src1=0 src2=0
	v_add_f32_e32 v7, v7, v75
	s_wait_loadcnt 0x3
	v_mov_b32_e32 v130, v215
	v_pk_mul_f32 v[124:125], v[244:245], v[208:209] op_sel:[1,1] op_sel_hi:[0,1]
	s_set_vgpr_msb 64                       ;  msbs: dst=1 src0=0 src1=0 src2=0
	v_dual_fmac_f32 v79 /*v335*/, v241, v204 :: v_dual_fmac_f32 v81 /*v337*/, v243, v206
	s_set_vgpr_msb 0                        ;  msbs: dst=0 src0=0 src1=0 src2=0
	v_add_f32_e32 v7, v7, v77
	s_set_vgpr_msb 1                        ;  msbs: dst=0 src0=1 src1=0 src2=0
	v_pk_mul_f32 v[126:127], v[70:71] /*v[326:327]*/, v[126:127] op_sel_hi:[1,0]
	s_set_vgpr_msb 0                        ;  msbs: dst=0 src0=0 src1=0 src2=0
	v_pk_fma_f32 v[134:135], v[244:245], v[208:209], v[124:125] op_sel_hi:[1,0,1]
	v_pk_fma_f32 v[124:125], v[244:245], v[208:209], v[124:125] neg_lo:[0,0,1] neg_hi:[0,0,1]
	s_set_vgpr_msb 1                        ;  msbs: dst=0 src0=1 src1=0 src2=0
	v_pk_mul_f32 v[128:129], v[0:1] /*v[256:257]*/, v[212:213] op_sel:[1,1] op_sel_hi:[0,1]
	s_set_vgpr_msb 0                        ;  msbs: dst=0 src0=0 src1=0 src2=0
	v_add_f32_e32 v7, v7, v79
	v_dual_add_f32 v9, v9, v23 :: v_dual_mov_b32 v125, v135
	v_pk_fma_f32 v[134:135], v[246:247], v[210:211], v[126:127] op_sel_hi:[1,0,1]
	v_pk_fma_f32 v[126:127], v[246:247], v[210:211], v[126:127] neg_lo:[0,0,1] neg_hi:[0,0,1]
	s_delay_alu instid0(VALU_DEP_3)
	v_dual_add_f32 v7, v7, v81 :: v_dual_add_f32 v9, v9, v11
	v_mul_f32_e32 v19, v243, v207
	s_set_vgpr_msb 1                        ;  msbs: dst=0 src0=1 src1=0 src2=0
	v_fma_f32 v11, v66 /*v322*/, v202, -v15
	v_pk_fma_f32 v[138:139], v[0:1] /*v[256:257]*/, v[212:213], v[128:129] op_sel_hi:[1,0,1]
	s_set_vgpr_msb 0                        ;  msbs: dst=0 src0=0 src1=0 src2=0
	v_dual_add_f32 v7, v7, v83 :: v_dual_add_f32 v9, v9, v13
	s_set_vgpr_msb 64                       ;  msbs: dst=1 src0=0 src1=0 src2=0
	v_dual_fma_f32 v78 /*v334*/, v240, v204, -v17 :: v_dual_fma_f32 v80 /*v336*/, v242, v206, -v19
	s_set_vgpr_msb 1                        ;  msbs: dst=0 src0=1 src1=0 src2=0
	v_pk_mul_f32 v[130:131], v[72:73] /*v[328:329]*/, v[130:131] op_sel_hi:[1,0]
	s_set_vgpr_msb 0                        ;  msbs: dst=0 src0=0 src1=0 src2=0
	v_dual_add_f32 v133, v7, v85 :: v_dual_add_f32 v132, v9, v11
	v_mov_b32_e32 v127, v135
	s_wait_loadcnt 0x2
	s_set_vgpr_msb 1                        ;  msbs: dst=0 src0=1 src1=0 src2=0
	v_pk_mul_f32 v[136:137], v[4:5] /*v[260:261]*/, v[216:217] op_sel:[1,1] op_sel_hi:[0,1]
	v_pk_fma_f32 v[128:129], v[0:1] /*v[256:257]*/, v[212:213], v[128:129] neg_lo:[0,0,1] neg_hi:[0,0,1]
	s_set_vgpr_msb 4                        ;  msbs: dst=0 src0=0 src1=1 src2=0
	v_mov_b32_e32 v129, v139
	v_pk_add_f32 v[132:133], v[132:133], v[78:79] /*v[334:335]*/
	s_set_vgpr_msb 1                        ;  msbs: dst=0 src0=1 src1=0 src2=0
	v_pk_fma_f32 v[134:135], v[2:3] /*v[258:259]*/, v[214:215], v[130:131] op_sel_hi:[1,0,1]
	v_pk_fma_f32 v[130:131], v[2:3] /*v[258:259]*/, v[214:215], v[130:131] neg_lo:[0,0,1] neg_hi:[0,0,1]
	s_set_vgpr_msb 4                        ;  msbs: dst=0 src0=0 src1=1 src2=0
	v_pk_add_f32 v[132:133], v[132:133], v[80:81] /*v[336:337]*/
	s_set_vgpr_msb 0                        ;  msbs: dst=0 src0=0 src1=0 src2=0
	s_delay_alu instid0(VALU_DEP_1) | instskip(SKIP_1) | instid1(VALU_DEP_2)
	v_pk_add_f32 v[124:125], v[132:133], v[124:125]
	v_mov_b32_e32 v132, v219
	v_pk_add_f32 v[124:125], v[124:125], v[126:127]
	s_set_vgpr_msb 1                        ;  msbs: dst=0 src0=1 src1=0 src2=0
	v_pk_fma_f32 v[126:127], v[4:5] /*v[260:261]*/, v[216:217], v[136:137] op_sel_hi:[1,0,1]
	s_delay_alu instid0(VALU_DEP_3)
	v_pk_mul_f32 v[132:133], v[74:75] /*v[330:331]*/, v[132:133] op_sel_hi:[1,0]
	s_set_vgpr_msb 0                        ;  msbs: dst=0 src0=0 src1=0 src2=0
	v_mov_b32_e32 v131, v135
	s_set_vgpr_msb 1                        ;  msbs: dst=0 src0=1 src1=0 src2=0
	v_pk_fma_f32 v[134:135], v[4:5] /*v[260:261]*/, v[216:217], v[136:137] neg_lo:[0,0,1] neg_hi:[0,0,1]
	s_set_vgpr_msb 0                        ;  msbs: dst=0 src0=0 src1=0 src2=0
	v_pk_add_f32 v[124:125], v[124:125], v[128:129]
	v_mov_b32_e32 v135, v127
	s_set_vgpr_msb 1                        ;  msbs: dst=0 src0=1 src1=0 src2=0
	v_pk_fma_f32 v[126:127], v[6:7] /*v[262:263]*/, v[218:219], v[132:133] op_sel_hi:[1,0,1]
	s_wait_loadcnt 0x1
	v_pk_mul_f32 v[128:129], v[16:17] /*v[272:273]*/, v[220:221] op_sel:[1,1] op_sel_hi:[0,1]
	s_set_vgpr_msb 0                        ;  msbs: dst=0 src0=0 src1=0 src2=0
	v_mov_b32_e32 v126, v223
	v_pk_add_f32 v[124:125], v[124:125], v[130:131]
	s_set_vgpr_msb 1                        ;  msbs: dst=0 src0=1 src1=0 src2=0
	v_pk_fma_f32 v[132:133], v[6:7] /*v[262:263]*/, v[218:219], v[132:133] neg_lo:[0,0,1] neg_hi:[0,0,1]
	s_set_vgpr_msb 0                        ;  msbs: dst=0 src0=0 src1=0 src2=0
	v_mov_b32_e32 v133, v127
	s_set_vgpr_msb 1                        ;  msbs: dst=0 src0=1 src1=0 src2=0
	v_pk_fma_f32 v[130:131], v[16:17] /*v[272:273]*/, v[220:221], v[128:129] op_sel_hi:[1,0,1]
	v_pk_mul_f32 v[126:127], v[76:77] /*v[332:333]*/, v[126:127] op_sel_hi:[1,0]
	s_set_vgpr_msb 0                        ;  msbs: dst=0 src0=0 src1=0 src2=0
	v_pk_add_f32 v[124:125], v[124:125], v[134:135]
	s_set_vgpr_msb 1                        ;  msbs: dst=0 src0=1 src1=0 src2=0
	v_pk_fma_f32 v[128:129], v[16:17] /*v[272:273]*/, v[220:221], v[128:129] neg_lo:[0,0,1] neg_hi:[0,0,1]
	s_set_vgpr_msb 0                        ;  msbs: dst=0 src0=0 src1=0 src2=0
	v_mov_b32_e32 v129, v131
	s_set_vgpr_msb 1                        ;  msbs: dst=0 src0=1 src1=0 src2=0
	v_pk_fma_f32 v[130:131], v[18:19] /*v[274:275]*/, v[222:223], v[126:127] op_sel_hi:[1,0,1]
	s_set_vgpr_msb 0                        ;  msbs: dst=0 src0=0 src1=0 src2=0
	v_pk_add_f32 v[124:125], v[124:125], v[132:133]
	s_set_vgpr_msb 1                        ;  msbs: dst=0 src0=1 src1=0 src2=0
	v_pk_fma_f32 v[126:127], v[18:19] /*v[274:275]*/, v[222:223], v[126:127] neg_lo:[0,0,1] neg_hi:[0,0,1]
	s_set_vgpr_msb 0                        ;  msbs: dst=0 src0=0 src1=0 src2=0
	v_mov_b32_e32 v127, v131
	v_pk_add_f32 v[124:125], v[124:125], v[128:129]
	s_delay_alu instid0(VALU_DEP_1) | instskip(SKIP_2) | instid1(VALU_DEP_1)
	v_pk_add_f32 v[124:125], v[124:125], v[126:127]
	s_wait_loadcnt 0x0
	s_set_vgpr_msb 1                        ;  msbs: dst=0 src0=1 src1=0 src2=0
	v_pk_add_f32 v[124:125], v[68:69] /*v[324:325]*/, v[124:125] neg_lo:[0,1] neg_hi:[0,1]
	scratch_store_b64 off, v[124:125], off offset:80
	s_wait_xcnt 0x0
	v_cmpx_lt_u32_e32 9, v0
	s_set_vgpr_msb 0                        ;  msbs: dst=0 src0=0 src1=0 src2=0
	s_cbranch_execz .LBB60_361
; %bb.360:
	scratch_load_b64 v[124:125], off, off offset:72
	v_mov_b64_e32 v[126:127], 0
	scratch_store_b64 off, v[126:127], off offset:72
	s_wait_loadcnt 0x0
	ds_store_b64 v1, v[124:125]
.LBB60_361:
	s_wait_xcnt 0x0
	s_or_b32 exec_lo, exec_lo, s0
	s_wait_storecnt_dscnt 0x0
	s_barrier_signal -1
	s_barrier_wait -1
	s_clause 0x1b
	scratch_load_b128 v[124:127], off, off offset:80
	scratch_load_b128 v[128:131], off, off offset:96
	;; [unrolled: 1-line block ×25, first 2 shown]
	s_set_vgpr_msb 64                       ;  msbs: dst=1 src0=0 src1=0 src2=0
	scratch_load_b64 v[68:69] /*v[324:325]*/, off, off offset:480
	scratch_load_b64 v[70:71] /*v[326:327]*/, off, off offset:72
	s_set_vgpr_msb 0                        ;  msbs: dst=0 src0=0 src1=0 src2=0
	v_mov_b32_e32 v7, 0
	ds_load_b128 v[224:227], v7 offset:576
	ds_load_b128 v[228:231], v7 offset:592
	;; [unrolled: 1-line block ×8, first 2 shown]
	s_set_vgpr_msb 64                       ;  msbs: dst=1 src0=0 src1=0 src2=0
	ds_load_b128 v[0:3] /*v[256:259]*/, v7 offset:928
	ds_load_b128 v[4:7] /*v[260:263]*/, v7 offset:944
	ds_load_b128 v[8:11] /*v[264:267]*/, v7 offset:672
	ds_load_b128 v[12:15] /*v[268:271]*/, v7 offset:688
	ds_load_b128 v[16:19] /*v[272:275]*/, v7 offset:960
	ds_load_b128 v[20:23] /*v[276:279]*/, v7 offset:704
	ds_load_b128 v[24:27] /*v[280:283]*/, v7 offset:720
	ds_load_b128 v[28:31] /*v[284:287]*/, v7 offset:736
	ds_load_b128 v[32:35] /*v[288:291]*/, v7 offset:752
	ds_load_b128 v[36:39] /*v[292:295]*/, v7 offset:768
	ds_load_b128 v[40:43] /*v[296:299]*/, v7 offset:784
	ds_load_b128 v[44:47] /*v[300:303]*/, v7 offset:800
	ds_load_b128 v[48:51] /*v[304:307]*/, v7 offset:816
	ds_load_b128 v[52:55] /*v[308:311]*/, v7 offset:832
	ds_load_b128 v[56:59] /*v[312:315]*/, v7 offset:848
	ds_load_b128 v[60:63] /*v[316:319]*/, v7 offset:864
	ds_load_b128 v[64:67] /*v[320:323]*/, v7 offset:880
	ds_load_b64 v[72:73] /*v[328:329]*/, v7 offset:976
	s_wait_dscnt 0x14
	v_dual_mov_b32 v74 /*v330*/, v247 :: v_dual_mov_b32 v75 /*v331*/, v246
	s_wait_dscnt 0x11
	s_set_vgpr_msb 0x41                     ;  msbs: dst=1 src0=1 src1=0 src2=0
	v_dual_mov_b32 v76 /*v332*/, v3 /*v259*/ :: v_dual_mov_b32 v77 /*v333*/, v2 /*v258*/
	s_wait_dscnt 0x10
	v_dual_mov_b32 v78 /*v334*/, v7 /*v263*/ :: v_dual_mov_b32 v79 /*v335*/, v6 /*v262*/
	s_wait_dscnt 0xd
	v_dual_mov_b32 v80 /*v336*/, v19 /*v275*/ :: v_dual_mov_b32 v81 /*v337*/, v18 /*v274*/
	s_mov_b32 s0, exec_lo
	s_wait_loadcnt 0x1a
	s_set_vgpr_msb 0                        ;  msbs: dst=0 src0=0 src1=0 src2=0
	v_dual_mul_f32 v9, v224, v125 :: v_dual_mul_f32 v75, v225, v125
	s_wait_loadcnt 0x19
	v_dual_mul_f32 v11, v226, v127 :: v_dual_mul_f32 v13, v228, v129
	v_dual_mul_f32 v77, v227, v127 :: v_dual_mul_f32 v91, v229, v129
	s_wait_loadcnt 0x15
	v_dual_mul_f32 v31, v254, v147 :: v_dual_mul_f32 v103, v237, v137
	v_dual_fma_f32 v75, v224, v124, -v75 :: v_dual_fmac_f32 v9, v225, v124
	v_mul_f32_e32 v105, v239, v139
	v_dual_fmac_f32 v11, v227, v126 :: v_dual_fma_f32 v77, v226, v126, -v77
	s_delay_alu instid0(VALU_DEP_3) | instskip(SKIP_3) | instid1(VALU_DEP_3)
	v_dual_add_f32 v75, 0, v75 :: v_dual_add_f32 v9, 0, v9
	v_dual_mul_f32 v15, v230, v131 :: v_dual_mul_f32 v17, v232, v133
	v_dual_mul_f32 v93, v231, v131 :: v_dual_mul_f32 v107, v249, v141
	v_dual_fma_f32 v91, v228, v128, -v91 :: v_dual_fmac_f32 v13, v229, v128
	v_dual_add_f32 v9, v9, v11 :: v_dual_fmac_f32 v15, v231, v130
	v_add_f32_e32 v11, v75, v77
	s_wait_loadcnt 0x6
	v_mul_f32_e32 v97, v240, v205
	v_dual_mul_f32 v99, v233, v133 :: v_dual_mul_f32 v101, v235, v135
	v_dual_mul_f32 v75, v251, v143 :: v_dual_fma_f32 v77, v230, v130, -v93
	v_dual_add_f32 v9, v9, v13 :: v_dual_add_f32 v11, v11, v91
	v_dual_mul_f32 v19, v234, v135 :: v_dual_mul_f32 v21, v236, v137
	s_delay_alu instid0(VALU_DEP_4) | instskip(NEXT) | instid1(VALU_DEP_3)
	v_dual_mul_f32 v13, v253, v145 :: v_dual_fma_f32 v91, v232, v132, -v99
	v_dual_fmac_f32 v17, v233, v132 :: v_dual_add_f32 v11, v11, v77
	s_delay_alu instid0(VALU_DEP_3) | instskip(SKIP_1) | instid1(VALU_DEP_2)
	v_dual_add_f32 v9, v9, v15 :: v_dual_fmac_f32 v19, v235, v134
	v_dual_mul_f32 v15, v255, v147 :: v_dual_fma_f32 v77, v234, v134, -v101
	v_dual_add_f32 v11, v11, v91 :: v_dual_add_f32 v9, v9, v17
	v_dual_mul_f32 v23, v238, v139 :: v_dual_mul_f32 v25, v248, v141
	v_dual_fmac_f32 v21, v237, v136 :: v_dual_fma_f32 v91, v236, v136, -v103
	s_delay_alu instid0(VALU_DEP_3) | instskip(NEXT) | instid1(VALU_DEP_3)
	v_dual_add_f32 v9, v9, v19 :: v_dual_add_f32 v11, v11, v77
	v_dual_fmac_f32 v23, v239, v138 :: v_dual_fma_f32 v77, v238, v138, -v105
	v_dual_mul_f32 v27, v250, v143 :: v_dual_mul_f32 v29, v252, v145
	s_delay_alu instid0(VALU_DEP_3)
	v_dual_add_f32 v9, v9, v21 :: v_dual_add_f32 v11, v11, v91
	v_dual_fmac_f32 v25, v249, v140 :: v_dual_fma_f32 v91, v248, v140, -v107
	s_set_vgpr_msb 1                        ;  msbs: dst=0 src0=1 src1=0 src2=0
	v_dual_mul_f32 v33, v8 /*v264*/, v149 :: v_dual_mul_f32 v35, v10 /*v266*/, v151
	s_set_vgpr_msb 0                        ;  msbs: dst=0 src0=0 src1=0 src2=0
	v_dual_add_f32 v9, v9, v23 :: v_dual_add_f32 v11, v11, v77
	v_fmac_f32_e32 v27, v251, v142
	v_fma_f32 v75, v250, v142, -v75
	s_set_vgpr_msb 1                        ;  msbs: dst=0 src0=1 src1=0 src2=0
	v_dual_mul_f32 v17, v9 /*v265*/, v149 :: v_dual_mul_f32 v19, v11 /*v267*/, v151
	s_set_vgpr_msb 0                        ;  msbs: dst=0 src0=0 src1=0 src2=0
	v_dual_add_f32 v9, v9, v25 :: v_dual_add_f32 v11, v11, v91
	v_fmac_f32_e32 v29, v253, v144
	v_fma_f32 v13, v252, v144, -v13
	s_set_vgpr_msb 1                        ;  msbs: dst=0 src0=1 src1=0 src2=0
	v_fmac_f32_e32 v33, v9 /*v265*/, v148
	s_set_vgpr_msb 0                        ;  msbs: dst=0 src0=0 src1=0 src2=0
	v_add_f32_e32 v9, v9, v27
	v_add_f32_e32 v11, v11, v75
	v_fmac_f32_e32 v31, v255, v146
	v_fma_f32 v15, v254, v146, -v15
	s_set_vgpr_msb 1                        ;  msbs: dst=0 src0=1 src1=0 src2=0
	v_fma_f32 v17, v8 /*v264*/, v148, -v17
	s_set_vgpr_msb 0                        ;  msbs: dst=0 src0=0 src1=0 src2=0
	v_add_f32_e32 v9, v9, v29
	v_add_f32_e32 v11, v11, v13
	s_wait_dscnt 0xb
	s_set_vgpr_msb 1                        ;  msbs: dst=0 src0=1 src1=0 src2=0
	v_mul_f32_e32 v13, v25 /*v281*/, v161
	v_dual_mul_f32 v37, v12 /*v268*/, v153 :: v_dual_mul_f32 v39, v14 /*v270*/, v155
	v_dual_mul_f32 v21, v13 /*v269*/, v153 :: v_dual_mul_f32 v23, v15 /*v271*/, v155
	s_set_vgpr_msb 0                        ;  msbs: dst=0 src0=0 src1=0 src2=0
	v_add_f32_e32 v11, v11, v15
	v_add_f32_e32 v9, v9, v31
	s_set_vgpr_msb 1                        ;  msbs: dst=0 src0=1 src1=0 src2=0
	v_mul_f32_e32 v15, v27 /*v283*/, v163
	v_fmac_f32_e32 v35, v11 /*v267*/, v150
	v_dual_fma_f32 v19, v10 /*v266*/, v150, -v19 :: v_dual_fmac_f32 v37, v13 /*v269*/, v152
	s_set_vgpr_msb 0                        ;  msbs: dst=0 src0=0 src1=0 src2=0
	v_add_f32_e32 v11, v11, v17
	v_add_f32_e32 v9, v9, v33
	s_wait_dscnt 0xa
	s_set_vgpr_msb 1                        ;  msbs: dst=0 src0=1 src1=0 src2=0
	v_dual_mul_f32 v17, v29 /*v285*/, v165 :: v_dual_fma_f32 v21, v12 /*v268*/, v152, -v21
	v_dual_mul_f32 v41, v20 /*v276*/, v157 :: v_dual_mul_f32 v43, v22 /*v278*/, v159
	s_set_vgpr_msb 0                        ;  msbs: dst=0 src0=0 src1=0 src2=0
	v_add_f32_e32 v11, v11, v19
	s_set_vgpr_msb 1                        ;  msbs: dst=0 src0=1 src1=0 src2=0
	v_mul_f32_e32 v19, v31 /*v287*/, v167
	s_set_vgpr_msb 0                        ;  msbs: dst=0 src0=0 src1=0 src2=0
	v_add_f32_e32 v9, v9, v35
	s_set_vgpr_msb 1                        ;  msbs: dst=0 src0=1 src1=0 src2=0
	v_dual_mul_f32 v25, v21 /*v277*/, v157 :: v_dual_mul_f32 v27, v23 /*v279*/, v159
	v_fmac_f32_e32 v39, v15 /*v271*/, v154
	v_dual_fma_f32 v23, v14 /*v270*/, v154, -v23 :: v_dual_fmac_f32 v41, v21 /*v277*/, v156
	s_set_vgpr_msb 0                        ;  msbs: dst=0 src0=0 src1=0 src2=0
	v_add_f32_e32 v11, v11, v21
	v_add_f32_e32 v9, v9, v37
	s_wait_dscnt 0x9
	s_set_vgpr_msb 1                        ;  msbs: dst=0 src0=1 src1=0 src2=0
	v_dual_mul_f32 v21, v33 /*v289*/, v169 :: v_dual_fma_f32 v25, v20 /*v276*/, v156, -v25
	v_dual_mul_f32 v45, v24 /*v280*/, v161 :: v_dual_mul_f32 v47, v26 /*v282*/, v163
	s_set_vgpr_msb 0                        ;  msbs: dst=0 src0=0 src1=0 src2=0
	v_add_f32_e32 v11, v11, v23
	s_set_vgpr_msb 1                        ;  msbs: dst=0 src0=1 src1=0 src2=0
	v_mul_f32_e32 v23, v35 /*v291*/, v171
	s_set_vgpr_msb 0                        ;  msbs: dst=0 src0=0 src1=0 src2=0
	v_add_f32_e32 v9, v9, v39
	s_set_vgpr_msb 1                        ;  msbs: dst=0 src0=1 src1=0 src2=0
	v_fmac_f32_e32 v43, v23 /*v279*/, v158
	v_dual_fma_f32 v27, v22 /*v278*/, v158, -v27 :: v_dual_fmac_f32 v45, v25 /*v281*/, v160
	s_set_vgpr_msb 0                        ;  msbs: dst=0 src0=0 src1=0 src2=0
	v_add_f32_e32 v11, v11, v25
	v_add_f32_e32 v9, v9, v41
	s_wait_dscnt 0x8
	s_set_vgpr_msb 1                        ;  msbs: dst=0 src0=1 src1=0 src2=0
	v_dual_mul_f32 v25, v37 /*v293*/, v173 :: v_dual_fma_f32 v13, v24 /*v280*/, v160, -v13
	v_dual_mul_f32 v49, v28 /*v284*/, v165 :: v_dual_mul_f32 v51, v30 /*v286*/, v167
	s_set_vgpr_msb 0                        ;  msbs: dst=0 src0=0 src1=0 src2=0
	v_add_f32_e32 v11, v11, v27
	s_set_vgpr_msb 1                        ;  msbs: dst=0 src0=1 src1=0 src2=0
	v_mul_f32_e32 v27, v39 /*v295*/, v175
	s_set_vgpr_msb 0                        ;  msbs: dst=0 src0=0 src1=0 src2=0
	v_add_f32_e32 v9, v9, v43
	s_set_vgpr_msb 1                        ;  msbs: dst=0 src0=1 src1=0 src2=0
	;; [unrolled: 16-line block ×9, first 2 shown]
	v_dual_fmac_f32 v79, v55 /*v311*/, v190 :: v_dual_fmac_f32 v81, v57 /*v313*/, v192
	v_dual_fma_f32 v27, v54 /*v310*/, v190, -v27 :: v_dual_fma_f32 v13, v56 /*v312*/, v192, -v13
	s_set_vgpr_msb 0                        ;  msbs: dst=0 src0=0 src1=0 src2=0
	v_add_f32_e32 v11, v11, v25
	v_add_f32_e32 v9, v9, v73
	v_mul_f32_e32 v25, v241, v205
	s_set_vgpr_msb 1                        ;  msbs: dst=0 src0=1 src1=0 src2=0
	v_dual_mul_f32 v85, v60 /*v316*/, v197 :: v_dual_mul_f32 v87, v62 /*v318*/, v199
	s_set_vgpr_msb 0                        ;  msbs: dst=0 src0=0 src1=0 src2=0
	v_add_f32_e32 v11, v11, v27
	v_add_f32_e32 v9, v9, v79
	s_set_vgpr_msb 1                        ;  msbs: dst=0 src0=1 src1=0 src2=0
	v_dual_fmac_f32 v83, v59 /*v315*/, v194 :: v_dual_fmac_f32 v85, v61 /*v317*/, v196
	v_dual_fma_f32 v15, v58 /*v314*/, v194, -v15 :: v_dual_fma_f32 v17, v60 /*v316*/, v196, -v17
	s_set_vgpr_msb 0                        ;  msbs: dst=0 src0=0 src1=0 src2=0
	v_add_f32_e32 v11, v11, v13
	v_dual_mul_f32 v27, v243, v207 :: v_dual_add_f32 v9, v9, v81
	s_set_vgpr_msb 1                        ;  msbs: dst=0 src0=1 src1=0 src2=0
	v_dual_mul_f32 v89, v64 /*v320*/, v201 :: v_dual_mul_f32 v95, v66 /*v322*/, v203
	s_wait_loadcnt 0x5
	s_set_vgpr_msb 0                        ;  msbs: dst=0 src0=0 src1=0 src2=0
	v_dual_mul_f32 v13, v245, v209 :: v_dual_add_f32 v11, v11, v15
	v_dual_add_f32 v9, v9, v83 :: v_dual_mov_b32 v126, v211
	s_set_vgpr_msb 1                        ;  msbs: dst=0 src0=1 src1=0 src2=0
	v_dual_fmac_f32 v87, v63 /*v319*/, v198 :: v_dual_fmac_f32 v89, v65 /*v321*/, v200
	v_fma_f32 v15, v62 /*v318*/, v198, -v19
	s_set_vgpr_msb 0                        ;  msbs: dst=0 src0=0 src1=0 src2=0
	v_add_f32_e32 v11, v11, v17
	s_set_vgpr_msb 1                        ;  msbs: dst=0 src0=1 src1=0 src2=0
	v_fma_f32 v17, v64 /*v320*/, v200, -v21
	s_set_vgpr_msb 0                        ;  msbs: dst=0 src0=0 src1=0 src2=0
	v_add_f32_e32 v9, v9, v85
	s_set_vgpr_msb 1                        ;  msbs: dst=0 src0=1 src1=0 src2=0
	v_fmac_f32_e32 v95, v67 /*v323*/, v202
	s_set_vgpr_msb 0                        ;  msbs: dst=0 src0=0 src1=0 src2=0
	v_dual_mul_f32 v125, v242, v207 :: v_dual_mul_f32 v127, v244, v209
	v_add_f32_e32 v11, v11, v15
	s_wait_loadcnt 0x4
	v_dual_add_f32 v9, v9, v87 :: v_dual_mov_b32 v130, v215
	s_set_vgpr_msb 1                        ;  msbs: dst=0 src0=1 src1=0 src2=0
	v_fma_f32 v15, v66 /*v322*/, v202, -v23
	s_set_vgpr_msb 0                        ;  msbs: dst=0 src0=0 src1=0 src2=0
	v_dual_fmac_f32 v97, v241, v204 :: v_dual_add_f32 v11, v11, v17
	v_dual_add_f32 v9, v9, v89 :: v_dual_fma_f32 v17, v240, v204, -v25
	v_fma_f32 v124, v242, v206, -v27
	s_set_vgpr_msb 1                        ;  msbs: dst=0 src0=1 src1=0 src2=0
	v_pk_mul_f32 v[134:135], v[74:75] /*v[330:331]*/, v[126:127] op_sel_hi:[1,0]
	s_set_vgpr_msb 0                        ;  msbs: dst=0 src0=0 src1=0 src2=0
	v_add_f32_e32 v11, v11, v15
	v_dual_add_f32 v9, v9, v95 :: v_dual_fmac_f32 v125, v243, v206
	s_set_vgpr_msb 1                        ;  msbs: dst=0 src0=1 src1=0 src2=0
	v_pk_mul_f32 v[128:129], v[0:1] /*v[256:257]*/, v[212:213] op_sel:[1,1] op_sel_hi:[0,1]
	s_wait_loadcnt 0x3
	s_set_vgpr_msb 0                        ;  msbs: dst=0 src0=0 src1=0 src2=0
	v_dual_mov_b32 v138, v219 :: v_dual_fma_f32 v126, v244, v208, -v13
	v_add_f32_e32 v137, v9, v97
	v_dual_add_f32 v136, v11, v17 :: v_dual_fmac_f32 v127, v245, v208
	v_pk_fma_f32 v[140:141], v[246:247], v[210:211], v[134:135] op_sel_hi:[1,0,1]
	v_pk_fma_f32 v[134:135], v[246:247], v[210:211], v[134:135] neg_lo:[0,0,1] neg_hi:[0,0,1]
	s_set_vgpr_msb 1                        ;  msbs: dst=0 src0=1 src1=0 src2=0
	v_pk_mul_f32 v[130:131], v[76:77] /*v[332:333]*/, v[130:131] op_sel_hi:[1,0]
	s_set_vgpr_msb 0                        ;  msbs: dst=0 src0=0 src1=0 src2=0
	v_pk_add_f32 v[124:125], v[136:137], v[124:125]
	s_set_vgpr_msb 1                        ;  msbs: dst=0 src0=1 src1=0 src2=0
	v_pk_fma_f32 v[136:137], v[0:1] /*v[256:257]*/, v[212:213], v[128:129] op_sel_hi:[1,0,1]
	s_set_vgpr_msb 0                        ;  msbs: dst=0 src0=0 src1=0 src2=0
	v_mov_b32_e32 v135, v141
	s_set_vgpr_msb 1                        ;  msbs: dst=0 src0=1 src1=0 src2=0
	v_pk_fma_f32 v[128:129], v[0:1] /*v[256:257]*/, v[212:213], v[128:129] neg_lo:[0,0,1] neg_hi:[0,0,1]
	v_pk_mul_f32 v[132:133], v[4:5] /*v[260:261]*/, v[216:217] op_sel:[1,1] op_sel_hi:[0,1]
	s_set_vgpr_msb 0                        ;  msbs: dst=0 src0=0 src1=0 src2=0
	v_pk_add_f32 v[124:125], v[124:125], v[126:127]
	v_mov_b32_e32 v129, v137
	s_set_vgpr_msb 1                        ;  msbs: dst=0 src0=1 src1=0 src2=0
	v_pk_fma_f32 v[136:137], v[2:3] /*v[258:259]*/, v[214:215], v[130:131] op_sel_hi:[1,0,1]
	v_pk_fma_f32 v[130:131], v[2:3] /*v[258:259]*/, v[214:215], v[130:131] neg_lo:[0,0,1] neg_hi:[0,0,1]
	v_pk_mul_f32 v[138:139], v[78:79] /*v[334:335]*/, v[138:139] op_sel_hi:[1,0]
	s_set_vgpr_msb 0                        ;  msbs: dst=0 src0=0 src1=0 src2=0
	v_pk_add_f32 v[124:125], v[124:125], v[134:135]
	s_set_vgpr_msb 1                        ;  msbs: dst=0 src0=1 src1=0 src2=0
	v_pk_fma_f32 v[134:135], v[4:5] /*v[260:261]*/, v[216:217], v[132:133] op_sel_hi:[1,0,1]
	s_set_vgpr_msb 0                        ;  msbs: dst=0 src0=0 src1=0 src2=0
	v_mov_b32_e32 v131, v137
	s_set_vgpr_msb 1                        ;  msbs: dst=0 src0=1 src1=0 src2=0
	v_pk_fma_f32 v[132:133], v[4:5] /*v[260:261]*/, v[216:217], v[132:133] neg_lo:[0,0,1] neg_hi:[0,0,1]
	s_wait_loadcnt 0x2
	v_pk_mul_f32 v[126:127], v[16:17] /*v[272:273]*/, v[220:221] op_sel:[1,1] op_sel_hi:[0,1]
	s_set_vgpr_msb 0                        ;  msbs: dst=0 src0=0 src1=0 src2=0
	v_pk_add_f32 v[124:125], v[124:125], v[128:129]
	v_dual_mov_b32 v128, v223 :: v_dual_mov_b32 v133, v135
	s_set_vgpr_msb 1                        ;  msbs: dst=0 src0=1 src1=0 src2=0
	v_pk_fma_f32 v[134:135], v[6:7] /*v[262:263]*/, v[218:219], v[138:139] op_sel_hi:[1,0,1]
	v_pk_fma_f32 v[136:137], v[6:7] /*v[262:263]*/, v[218:219], v[138:139] neg_lo:[0,0,1] neg_hi:[0,0,1]
	s_set_vgpr_msb 0                        ;  msbs: dst=0 src0=0 src1=0 src2=0
	v_pk_add_f32 v[124:125], v[124:125], v[130:131]
	s_set_vgpr_msb 1                        ;  msbs: dst=0 src0=1 src1=0 src2=0
	v_pk_fma_f32 v[130:131], v[16:17] /*v[272:273]*/, v[220:221], v[126:127] op_sel_hi:[1,0,1]
	v_pk_mul_f32 v[128:129], v[80:81] /*v[336:337]*/, v[128:129] op_sel_hi:[1,0]
	s_set_vgpr_msb 0                        ;  msbs: dst=0 src0=0 src1=0 src2=0
	v_mov_b32_e32 v137, v135
	s_set_vgpr_msb 1                        ;  msbs: dst=0 src0=1 src1=0 src2=0
	v_pk_fma_f32 v[126:127], v[16:17] /*v[272:273]*/, v[220:221], v[126:127] neg_lo:[0,0,1] neg_hi:[0,0,1]
	s_set_vgpr_msb 0                        ;  msbs: dst=0 src0=0 src1=0 src2=0
	v_pk_add_f32 v[124:125], v[124:125], v[132:133]
	v_mov_b32_e32 v127, v131
	s_set_vgpr_msb 1                        ;  msbs: dst=0 src0=1 src1=0 src2=0
	v_pk_fma_f32 v[130:131], v[18:19] /*v[274:275]*/, v[222:223], v[128:129] op_sel_hi:[1,0,1]
	s_wait_loadcnt_dscnt 0x100
	s_set_vgpr_msb 5                        ;  msbs: dst=0 src0=1 src1=1 src2=0
	v_pk_mul_f32 v[132:133], v[72:73] /*v[328:329]*/, v[68:69] /*v[324:325]*/ op_sel:[1,1] op_sel_hi:[0,1]
	s_set_vgpr_msb 1                        ;  msbs: dst=0 src0=1 src1=0 src2=0
	v_pk_fma_f32 v[128:129], v[18:19] /*v[274:275]*/, v[222:223], v[128:129] neg_lo:[0,0,1] neg_hi:[0,0,1]
	s_set_vgpr_msb 0                        ;  msbs: dst=0 src0=0 src1=0 src2=0
	v_pk_add_f32 v[124:125], v[124:125], v[136:137]
	v_mov_b32_e32 v129, v131
	s_set_vgpr_msb 5                        ;  msbs: dst=0 src0=1 src1=1 src2=0
	v_pk_fma_f32 v[130:131], v[72:73] /*v[328:329]*/, v[68:69] /*v[324:325]*/, v[132:133] neg_lo:[0,0,1] neg_hi:[0,0,1]
	s_set_vgpr_msb 0                        ;  msbs: dst=0 src0=0 src1=0 src2=0
	v_pk_add_f32 v[124:125], v[124:125], v[126:127]
	s_set_vgpr_msb 5                        ;  msbs: dst=0 src0=1 src1=1 src2=0
	v_pk_fma_f32 v[126:127], v[72:73] /*v[328:329]*/, v[68:69] /*v[324:325]*/, v[132:133] op_sel_hi:[1,0,1]
	s_set_vgpr_msb 0                        ;  msbs: dst=0 src0=0 src1=0 src2=0
	s_delay_alu instid0(VALU_DEP_2) | instskip(NEXT) | instid1(VALU_DEP_2)
	v_pk_add_f32 v[124:125], v[124:125], v[128:129]
	v_mov_b32_e32 v131, v127
	s_delay_alu instid0(VALU_DEP_1) | instskip(SKIP_2) | instid1(VALU_DEP_1)
	v_pk_add_f32 v[124:125], v[124:125], v[130:131]
	s_wait_loadcnt 0x0
	s_set_vgpr_msb 1                        ;  msbs: dst=0 src0=1 src1=0 src2=0
	v_pk_add_f32 v[124:125], v[70:71] /*v[326:327]*/, v[124:125] neg_lo:[0,1] neg_hi:[0,1]
	scratch_store_b64 off, v[124:125], off offset:72
	s_wait_xcnt 0x0
	v_cmpx_lt_u32_e32 8, v0
	s_set_vgpr_msb 0                        ;  msbs: dst=0 src0=0 src1=0 src2=0
	s_cbranch_execz .LBB60_363
; %bb.362:
	scratch_load_b64 v[124:125], off, off offset:64
	v_mov_b64_e32 v[126:127], 0
	scratch_store_b64 off, v[126:127], off offset:64
	s_wait_loadcnt 0x0
	ds_store_b64 v1, v[124:125]
.LBB60_363:
	s_wait_xcnt 0x0
	s_or_b32 exec_lo, exec_lo, s0
	s_wait_storecnt_dscnt 0x0
	s_barrier_signal -1
	s_barrier_wait -1
	s_clause 0x18
	scratch_load_b128 v[124:127], off, off offset:72
	scratch_load_b128 v[128:131], off, off offset:88
	;; [unrolled: 1-line block ×25, first 2 shown]
	ds_load_2addr_b64 v[224:227], v7 offset0:71 offset1:72
	ds_load_2addr_b64 v[228:231], v7 offset0:73 offset1:74
	scratch_load_b128 v[232:235], off, off offset:472
	ds_load_2addr_b64 v[236:239], v7 offset0:75 offset1:76
	ds_load_2addr_b64 v[240:243], v7 offset0:77 offset1:78
	;; [unrolled: 1-line block ×5, first 2 shown]
	s_set_vgpr_msb 64                       ;  msbs: dst=1 src0=0 src1=0 src2=0
	ds_load_2addr_b64 v[0:3] /*v[256:259]*/, v7 offset0:83 offset1:84
	ds_load_2addr_b64 v[4:7] /*v[260:263]*/, v7 offset0:85 offset1:86
	;; [unrolled: 1-line block ×19, first 2 shown]
	scratch_load_b64 v[76:77] /*v[332:333]*/, off, off offset:64
	s_wait_dscnt 0x13
	v_dual_mov_b32 v78 /*v334*/, v255 :: v_dual_mov_b32 v79 /*v335*/, v254
	s_wait_dscnt 0x10
	s_set_vgpr_msb 0x41                     ;  msbs: dst=1 src0=1 src1=0 src2=0
	v_dual_mov_b32 v80 /*v336*/, v11 /*v267*/ :: v_dual_mov_b32 v81 /*v337*/, v10 /*v266*/
	s_wait_dscnt 0xf
	v_dual_mov_b32 v82 /*v338*/, v15 /*v271*/ :: v_dual_mov_b32 v83 /*v339*/, v14 /*v270*/
	s_wait_dscnt 0xc
	v_dual_mov_b32 v84 /*v340*/, v27 /*v283*/ :: v_dual_mov_b32 v85 /*v341*/, v26 /*v282*/
	s_mov_b32 s0, exec_lo
	s_wait_loadcnt 0x1a
	s_set_vgpr_msb 0                        ;  msbs: dst=0 src0=0 src1=0 src2=0
	v_dual_mul_f32 v7, v224, v125 :: v_dual_mul_f32 v9, v226, v127
	v_dual_mul_f32 v91, v225, v125 :: v_dual_mul_f32 v93, v227, v127
	s_wait_loadcnt 0x19
	v_dual_mul_f32 v11, v228, v129 :: v_dual_mul_f32 v13, v230, v131
	s_delay_alu instid0(VALU_DEP_3) | instskip(SKIP_3) | instid1(VALU_DEP_3)
	v_dual_fmac_f32 v7, v225, v124 :: v_dual_fmac_f32 v9, v227, v126
	s_wait_loadcnt 0x17
	v_dual_fma_f32 v91, v224, v124, -v91 :: v_dual_mul_f32 v103, v241, v137
	v_dual_mul_f32 v95, v229, v129 :: v_dual_mul_f32 v97, v231, v131
	v_dual_fma_f32 v93, v226, v126, -v93 :: v_dual_add_f32 v7, 0, v7
	s_delay_alu instid0(VALU_DEP_3) | instskip(SKIP_1) | instid1(VALU_DEP_4)
	v_dual_add_f32 v91, 0, v91 :: v_dual_fmac_f32 v11, v229, v128
	v_dual_mul_f32 v15, v236, v133 :: v_dual_mul_f32 v17, v238, v135
	v_dual_mul_f32 v105, v243, v139 :: v_dual_fma_f32 v95, v228, v128, -v95
	s_delay_alu instid0(VALU_DEP_4) | instskip(NEXT) | instid1(VALU_DEP_3)
	v_add_f32_e32 v7, v7, v9
	v_dual_add_f32 v9, v91, v93 :: v_dual_fmac_f32 v15, v237, v132
	v_dual_mul_f32 v99, v237, v133 :: v_dual_mul_f32 v101, v239, v135
	s_wait_loadcnt 0x16
	v_dual_mul_f32 v91, v245, v141 :: v_dual_fmac_f32 v13, v231, v130
	v_dual_fma_f32 v93, v230, v130, -v97 :: v_dual_add_f32 v7, v7, v11
	s_delay_alu instid0(VALU_DEP_3) | instskip(SKIP_1) | instid1(VALU_DEP_3)
	v_dual_add_f32 v9, v9, v95 :: v_dual_fma_f32 v95, v236, v132, -v99
	v_dual_mul_f32 v19, v240, v137 :: v_dual_mul_f32 v21, v242, v139
	v_add_f32_e32 v7, v7, v13
	s_delay_alu instid0(VALU_DEP_3) | instskip(SKIP_2) | instid1(VALU_DEP_3)
	v_dual_mul_f32 v11, v247, v143 :: v_dual_add_f32 v9, v9, v93
	s_wait_loadcnt 0x15
	v_dual_mul_f32 v13, v249, v145 :: v_dual_fmac_f32 v17, v239, v134
	v_dual_fma_f32 v93, v238, v134, -v101 :: v_dual_add_f32 v7, v7, v15
	s_delay_alu instid0(VALU_DEP_3) | instskip(SKIP_1) | instid1(VALU_DEP_3)
	v_dual_add_f32 v9, v9, v95 :: v_dual_fma_f32 v95, v240, v136, -v103
	v_dual_mul_f32 v15, v251, v147 :: v_dual_fmac_f32 v19, v241, v136
	v_add_f32_e32 v7, v7, v17
	s_delay_alu instid0(VALU_DEP_3) | instskip(SKIP_1) | instid1(VALU_DEP_3)
	v_dual_add_f32 v9, v9, v93 :: v_dual_fmac_f32 v21, v243, v138
	v_dual_mul_f32 v23, v244, v141 :: v_dual_mul_f32 v25, v246, v143
	v_dual_fma_f32 v93, v242, v138, -v105 :: v_dual_add_f32 v7, v7, v19
	s_delay_alu instid0(VALU_DEP_3) | instskip(NEXT) | instid1(VALU_DEP_3)
	v_dual_add_f32 v9, v9, v95 :: v_dual_fma_f32 v91, v244, v140, -v91
	v_dual_fmac_f32 v23, v245, v140 :: v_dual_mul_f32 v27, v248, v145
	s_delay_alu instid0(VALU_DEP_3) | instskip(NEXT) | instid1(VALU_DEP_3)
	v_dual_mul_f32 v29, v250, v147 :: v_dual_add_f32 v7, v7, v21
	v_dual_fma_f32 v11, v246, v142, -v11 :: v_dual_add_f32 v9, v9, v93
	s_delay_alu instid0(VALU_DEP_3) | instskip(NEXT) | instid1(VALU_DEP_3)
	v_dual_fmac_f32 v25, v247, v142 :: v_dual_fmac_f32 v27, v249, v144
	v_dual_add_f32 v7, v7, v23 :: v_dual_fma_f32 v13, v248, v144, -v13
	s_delay_alu instid0(VALU_DEP_3)
	v_add_f32_e32 v9, v9, v91
	s_wait_loadcnt 0x14
	s_set_vgpr_msb 1                        ;  msbs: dst=0 src0=1 src1=0 src2=0
	v_dual_mul_f32 v31, v0 /*v256*/, v149 :: v_dual_mul_f32 v33, v2 /*v258*/, v151
	s_set_vgpr_msb 0                        ;  msbs: dst=0 src0=0 src1=0 src2=0
	v_add_f32_e32 v7, v7, v25
	s_set_vgpr_msb 1                        ;  msbs: dst=0 src0=1 src1=0 src2=0
	v_dual_mul_f32 v17, v1 /*v257*/, v149 :: v_dual_mul_f32 v19, v3 /*v259*/, v151
	s_set_vgpr_msb 0                        ;  msbs: dst=0 src0=0 src1=0 src2=0
	v_dual_add_f32 v9, v9, v11 :: v_dual_fmac_f32 v29, v251, v146
	v_dual_fma_f32 v15, v250, v146, -v15 :: v_dual_add_f32 v7, v7, v27
	s_set_vgpr_msb 1                        ;  msbs: dst=0 src0=1 src1=0 src2=0
	v_dual_fmac_f32 v31, v1 /*v257*/, v148 :: v_dual_fma_f32 v17, v0 /*v256*/, v148, -v17
	s_set_vgpr_msb 0                        ;  msbs: dst=0 src0=0 src1=0 src2=0
	v_add_f32_e32 v9, v9, v13
	s_wait_loadcnt 0x13
	s_set_vgpr_msb 1                        ;  msbs: dst=0 src0=1 src1=0 src2=0
	v_dual_mul_f32 v35, v4 /*v260*/, v153 :: v_dual_mul_f32 v37, v6 /*v262*/, v155
	s_set_vgpr_msb 0                        ;  msbs: dst=0 src0=0 src1=0 src2=0
	v_add_f32_e32 v7, v7, v29
	s_set_vgpr_msb 1                        ;  msbs: dst=0 src0=1 src1=0 src2=0
	v_dual_mul_f32 v21, v5 /*v261*/, v153 :: v_dual_mul_f32 v23, v7 /*v263*/, v155
	s_set_vgpr_msb 0                        ;  msbs: dst=0 src0=0 src1=0 src2=0
	v_add_f32_e32 v9, v9, v15
	s_wait_loadcnt 0x11
	s_set_vgpr_msb 1                        ;  msbs: dst=0 src0=1 src1=0 src2=0
	v_dual_mul_f32 v15, v21 /*v277*/, v161 :: v_dual_fmac_f32 v33, v3 /*v259*/, v150
	v_fma_f32 v19, v2 /*v258*/, v150, -v19
	s_set_vgpr_msb 0                        ;  msbs: dst=0 src0=0 src1=0 src2=0
	v_dual_add_f32 v7, v7, v31 :: v_dual_add_f32 v9, v9, v17
	s_set_vgpr_msb 1                        ;  msbs: dst=0 src0=1 src1=0 src2=0
	v_dual_mul_f32 v17, v23 /*v279*/, v163 :: v_dual_fmac_f32 v35, v5 /*v261*/, v152
	v_fma_f32 v21, v4 /*v260*/, v152, -v21
	s_set_vgpr_msb 0                        ;  msbs: dst=0 src0=0 src1=0 src2=0
	v_dual_add_f32 v7, v7, v33 :: v_dual_add_f32 v9, v9, v19
	s_set_vgpr_msb 1                        ;  msbs: dst=0 src0=1 src1=0 src2=0
	v_dual_mul_f32 v11, v17 /*v273*/, v157 :: v_dual_mul_f32 v13, v19 /*v275*/, v159
	s_wait_loadcnt_dscnt 0x100b
	v_dual_mul_f32 v19, v29 /*v285*/, v165 :: v_dual_fmac_f32 v37, v7 /*v263*/, v154
	v_fma_f32 v23, v6 /*v262*/, v154, -v23
	s_set_vgpr_msb 0                        ;  msbs: dst=0 src0=0 src1=0 src2=0
	v_dual_add_f32 v7, v7, v35 :: v_dual_add_f32 v9, v9, v21
	s_set_vgpr_msb 1                        ;  msbs: dst=0 src0=1 src1=0 src2=0
	v_dual_mul_f32 v39, v16 /*v272*/, v157 :: v_dual_mul_f32 v41, v18 /*v274*/, v159
	v_dual_mul_f32 v21, v31 /*v287*/, v167 :: v_dual_fma_f32 v11, v16 /*v272*/, v156, -v11
	s_set_vgpr_msb 0                        ;  msbs: dst=0 src0=0 src1=0 src2=0
	v_dual_add_f32 v7, v7, v37 :: v_dual_add_f32 v9, v9, v23
	s_set_vgpr_msb 1                        ;  msbs: dst=0 src0=1 src1=0 src2=0
	v_dual_fmac_f32 v39, v17 /*v273*/, v156 :: v_dual_fmac_f32 v41, v19 /*v275*/, v158
	s_wait_loadcnt_dscnt 0xf0a
	v_dual_mul_f32 v23, v33 /*v289*/, v169 :: v_dual_fma_f32 v13, v18 /*v274*/, v158, -v13
	s_set_vgpr_msb 0                        ;  msbs: dst=0 src0=0 src1=0 src2=0
	v_add_f32_e32 v9, v9, v11
	s_set_vgpr_msb 1                        ;  msbs: dst=0 src0=1 src1=0 src2=0
	v_dual_mul_f32 v43, v20 /*v276*/, v161 :: v_dual_mul_f32 v45, v22 /*v278*/, v163
	v_mul_f32_e32 v11, v35 /*v291*/, v171
	s_set_vgpr_msb 0                        ;  msbs: dst=0 src0=0 src1=0 src2=0
	v_dual_add_f32 v7, v7, v39 :: v_dual_add_f32 v9, v9, v13
	s_wait_loadcnt_dscnt 0xe09
	s_set_vgpr_msb 1                        ;  msbs: dst=0 src0=1 src1=0 src2=0
	v_dual_fma_f32 v15, v20 /*v276*/, v160, -v15 :: v_dual_mul_f32 v13, v37 /*v293*/, v173
	v_dual_fmac_f32 v43, v21 /*v277*/, v160 :: v_dual_fmac_f32 v45, v23 /*v279*/, v162
	s_set_vgpr_msb 0                        ;  msbs: dst=0 src0=0 src1=0 src2=0
	v_add_f32_e32 v7, v7, v41
	s_set_vgpr_msb 1                        ;  msbs: dst=0 src0=1 src1=0 src2=0
	v_fma_f32 v17, v22 /*v278*/, v162, -v17
	s_set_vgpr_msb 0                        ;  msbs: dst=0 src0=0 src1=0 src2=0
	v_add_f32_e32 v9, v9, v15
	s_set_vgpr_msb 1                        ;  msbs: dst=0 src0=1 src1=0 src2=0
	v_dual_mul_f32 v47, v28 /*v284*/, v165 :: v_dual_mul_f32 v49, v30 /*v286*/, v167
	v_mul_f32_e32 v15, v39 /*v295*/, v175
	s_set_vgpr_msb 0                        ;  msbs: dst=0 src0=0 src1=0 src2=0
	v_dual_add_f32 v7, v7, v43 :: v_dual_add_f32 v9, v9, v17
	s_wait_loadcnt_dscnt 0xd08
	s_set_vgpr_msb 1                        ;  msbs: dst=0 src0=1 src1=0 src2=0
	v_dual_fma_f32 v19, v28 /*v284*/, v164, -v19 :: v_dual_mul_f32 v17, v41 /*v297*/, v177
	v_dual_fmac_f32 v47, v29 /*v285*/, v164 :: v_dual_fmac_f32 v49, v31 /*v287*/, v166
	s_set_vgpr_msb 0                        ;  msbs: dst=0 src0=0 src1=0 src2=0
	v_add_f32_e32 v7, v7, v45
	s_set_vgpr_msb 1                        ;  msbs: dst=0 src0=1 src1=0 src2=0
	v_fma_f32 v21, v30 /*v286*/, v166, -v21
	s_set_vgpr_msb 0                        ;  msbs: dst=0 src0=0 src1=0 src2=0
	v_add_f32_e32 v9, v9, v19
	s_set_vgpr_msb 1                        ;  msbs: dst=0 src0=1 src1=0 src2=0
	v_dual_mul_f32 v51, v32 /*v288*/, v169 :: v_dual_mul_f32 v53, v34 /*v290*/, v171
	v_mul_f32_e32 v19, v43 /*v299*/, v179
	s_set_vgpr_msb 0                        ;  msbs: dst=0 src0=0 src1=0 src2=0
	v_dual_add_f32 v7, v7, v47 :: v_dual_add_f32 v9, v9, v21
	s_wait_loadcnt_dscnt 0xc07
	s_set_vgpr_msb 1                        ;  msbs: dst=0 src0=1 src1=0 src2=0
	v_dual_fma_f32 v23, v32 /*v288*/, v168, -v23 :: v_dual_mul_f32 v21, v45 /*v301*/, v181
	v_dual_mul_f32 v55, v36 /*v292*/, v173 :: v_dual_mul_f32 v57, v38 /*v294*/, v175
	v_dual_mul_f32 v59, v40 /*v296*/, v177 :: v_dual_mul_f32 v61, v42 /*v298*/, v179
	v_dual_fmac_f32 v51, v33 /*v289*/, v168 :: v_dual_fmac_f32 v53, v35 /*v291*/, v170
	v_fma_f32 v11, v34 /*v290*/, v170, -v11
	s_set_vgpr_msb 0                        ;  msbs: dst=0 src0=0 src1=0 src2=0
	v_dual_add_f32 v9, v9, v23 :: v_dual_add_f32 v7, v7, v49
	s_set_vgpr_msb 1                        ;  msbs: dst=0 src0=1 src1=0 src2=0
	v_dual_mul_f32 v23, v47 /*v303*/, v183 :: v_dual_fmac_f32 v55, v37 /*v293*/, v172
	v_fma_f32 v13, v36 /*v292*/, v172, -v13
	v_dual_fmac_f32 v57, v39 /*v295*/, v174 :: v_dual_fmac_f32 v59, v41 /*v297*/, v176
	s_set_vgpr_msb 0                        ;  msbs: dst=0 src0=0 src1=0 src2=0
	v_add_f32_e32 v9, v9, v11
	s_set_vgpr_msb 1                        ;  msbs: dst=0 src0=1 src1=0 src2=0
	v_dual_mul_f32 v63, v44 /*v300*/, v181 :: v_dual_mul_f32 v65, v46 /*v302*/, v183
	s_set_vgpr_msb 0                        ;  msbs: dst=0 src0=0 src1=0 src2=0
	v_add_f32_e32 v7, v7, v51
	s_wait_loadcnt_dscnt 0xb06
	s_set_vgpr_msb 1                        ;  msbs: dst=0 src0=1 src1=0 src2=0
	v_dual_mul_f32 v11, v49 /*v305*/, v185 :: v_dual_fma_f32 v15, v38 /*v294*/, v174, -v15
	s_set_vgpr_msb 0                        ;  msbs: dst=0 src0=0 src1=0 src2=0
	v_add_f32_e32 v9, v9, v13
	s_set_vgpr_msb 1                        ;  msbs: dst=0 src0=1 src1=0 src2=0
	v_dual_mul_f32 v13, v51 /*v307*/, v187 :: v_dual_fma_f32 v17, v40 /*v296*/, v176, -v17
	s_set_vgpr_msb 0                        ;  msbs: dst=0 src0=0 src1=0 src2=0
	v_add_f32_e32 v7, v7, v53
	s_set_vgpr_msb 1                        ;  msbs: dst=0 src0=1 src1=0 src2=0
	v_dual_fmac_f32 v61, v43 /*v299*/, v178 :: v_dual_fmac_f32 v63, v45 /*v301*/, v180
	s_set_vgpr_msb 0                        ;  msbs: dst=0 src0=0 src1=0 src2=0
	v_add_f32_e32 v9, v9, v15
	s_set_vgpr_msb 1                        ;  msbs: dst=0 src0=1 src1=0 src2=0
	v_dual_mul_f32 v67, v48 /*v304*/, v185 :: v_dual_mul_f32 v69, v50 /*v306*/, v187
	s_set_vgpr_msb 0                        ;  msbs: dst=0 src0=0 src1=0 src2=0
	v_add_f32_e32 v7, v7, v55
	s_wait_loadcnt_dscnt 0xa05
	s_set_vgpr_msb 1                        ;  msbs: dst=0 src0=1 src1=0 src2=0
	v_dual_mul_f32 v15, v53 /*v309*/, v189 :: v_dual_fma_f32 v19, v42 /*v298*/, v178, -v19
	s_set_vgpr_msb 0                        ;  msbs: dst=0 src0=0 src1=0 src2=0
	v_add_f32_e32 v9, v9, v17
	s_set_vgpr_msb 1                        ;  msbs: dst=0 src0=1 src1=0 src2=0
	v_dual_mul_f32 v17, v55 /*v311*/, v191 :: v_dual_fma_f32 v21, v44 /*v300*/, v180, -v21
	s_set_vgpr_msb 0                        ;  msbs: dst=0 src0=0 src1=0 src2=0
	v_add_f32_e32 v7, v7, v57
	s_set_vgpr_msb 1                        ;  msbs: dst=0 src0=1 src1=0 src2=0
	v_dual_fmac_f32 v65, v47 /*v303*/, v182 :: v_dual_fmac_f32 v67, v49 /*v305*/, v184
	s_set_vgpr_msb 0                        ;  msbs: dst=0 src0=0 src1=0 src2=0
	v_add_f32_e32 v9, v9, v19
	s_set_vgpr_msb 1                        ;  msbs: dst=0 src0=1 src1=0 src2=0
	v_dual_mul_f32 v71, v52 /*v308*/, v189 :: v_dual_mul_f32 v73, v54 /*v310*/, v191
	s_set_vgpr_msb 0                        ;  msbs: dst=0 src0=0 src1=0 src2=0
	v_add_f32_e32 v7, v7, v59
	s_wait_loadcnt_dscnt 0x904
	s_set_vgpr_msb 1                        ;  msbs: dst=0 src0=1 src1=0 src2=0
	v_dual_mul_f32 v19, v57 /*v313*/, v193 :: v_dual_fma_f32 v23, v46 /*v302*/, v182, -v23
	s_set_vgpr_msb 0                        ;  msbs: dst=0 src0=0 src1=0 src2=0
	v_add_f32_e32 v9, v9, v21
	s_set_vgpr_msb 1                        ;  msbs: dst=0 src0=1 src1=0 src2=0
	v_dual_mul_f32 v75, v56 /*v312*/, v193 :: v_dual_mul_f32 v77, v58 /*v314*/, v195
	v_dual_mul_f32 v21, v59 /*v315*/, v195 :: v_dual_fma_f32 v11, v48 /*v304*/, v184, -v11
	v_dual_fmac_f32 v69, v51 /*v307*/, v186 :: v_dual_fmac_f32 v71, v53 /*v309*/, v188
	s_set_vgpr_msb 0                        ;  msbs: dst=0 src0=0 src1=0 src2=0
	v_dual_add_f32 v9, v9, v23 :: v_dual_add_f32 v7, v7, v61
	s_wait_loadcnt_dscnt 0x803
	s_set_vgpr_msb 1                        ;  msbs: dst=0 src0=1 src1=0 src2=0
	v_dual_mul_f32 v23, v61 /*v317*/, v197 :: v_dual_fma_f32 v13, v50 /*v306*/, v186, -v13
	v_dual_fmac_f32 v73, v55 /*v311*/, v190 :: v_dual_fmac_f32 v75, v57 /*v313*/, v192
	s_set_vgpr_msb 0                        ;  msbs: dst=0 src0=0 src1=0 src2=0
	v_add_f32_e32 v9, v9, v11
	s_set_vgpr_msb 1                        ;  msbs: dst=0 src0=1 src1=0 src2=0
	v_dual_mul_f32 v79, v60 /*v316*/, v197 :: v_dual_mul_f32 v81, v62 /*v318*/, v199
	s_set_vgpr_msb 0                        ;  msbs: dst=0 src0=0 src1=0 src2=0
	v_add_f32_e32 v7, v7, v63
	s_set_vgpr_msb 1                        ;  msbs: dst=0 src0=1 src1=0 src2=0
	v_dual_mul_f32 v11, v63 /*v319*/, v199 :: v_dual_fma_f32 v15, v52 /*v308*/, v188, -v15
	s_set_vgpr_msb 0                        ;  msbs: dst=0 src0=0 src1=0 src2=0
	v_add_f32_e32 v9, v9, v13
	s_wait_loadcnt_dscnt 0x702
	s_set_vgpr_msb 1                        ;  msbs: dst=0 src0=1 src1=0 src2=0
	v_dual_mul_f32 v13, v65 /*v321*/, v201 :: v_dual_fma_f32 v17, v54 /*v310*/, v190, -v17
	s_set_vgpr_msb 0                        ;  msbs: dst=0 src0=0 src1=0 src2=0
	v_add_f32_e32 v7, v7, v65
	s_set_vgpr_msb 1                        ;  msbs: dst=0 src0=1 src1=0 src2=0
	v_dual_fmac_f32 v77, v59 /*v315*/, v194 :: v_dual_fmac_f32 v79, v61 /*v317*/, v196
	s_set_vgpr_msb 0                        ;  msbs: dst=0 src0=0 src1=0 src2=0
	v_add_f32_e32 v9, v9, v15
	s_set_vgpr_msb 1                        ;  msbs: dst=0 src0=1 src1=0 src2=0
	v_dual_mul_f32 v83, v64 /*v320*/, v201 :: v_dual_mul_f32 v85, v66 /*v322*/, v203
	s_set_vgpr_msb 0                        ;  msbs: dst=0 src0=0 src1=0 src2=0
	v_add_f32_e32 v7, v7, v67
	s_set_vgpr_msb 1                        ;  msbs: dst=0 src0=1 src1=0 src2=0
	v_dual_mul_f32 v15, v67 /*v323*/, v203 :: v_dual_fma_f32 v19, v56 /*v312*/, v192, -v19
	s_set_vgpr_msb 0                        ;  msbs: dst=0 src0=0 src1=0 src2=0
	v_add_f32_e32 v9, v9, v17
	s_wait_loadcnt_dscnt 0x601
	s_set_vgpr_msb 1                        ;  msbs: dst=0 src0=1 src1=0 src2=0
	v_dual_mul_f32 v17, v69 /*v325*/, v205 :: v_dual_fma_f32 v21, v58 /*v314*/, v194, -v21
	s_set_vgpr_msb 0                        ;  msbs: dst=0 src0=0 src1=0 src2=0
	v_add_f32_e32 v7, v7, v69
	s_set_vgpr_msb 1                        ;  msbs: dst=0 src0=1 src1=0 src2=0
	v_dual_fmac_f32 v81, v63 /*v319*/, v198 :: v_dual_fmac_f32 v83, v65 /*v321*/, v200
	s_set_vgpr_msb 0                        ;  msbs: dst=0 src0=0 src1=0 src2=0
	v_add_f32_e32 v9, v9, v19
	s_set_vgpr_msb 1                        ;  msbs: dst=0 src0=1 src1=0 src2=0
	v_dual_mul_f32 v19, v71 /*v327*/, v207 :: v_dual_fma_f32 v23, v60 /*v316*/, v196, -v23
	s_set_vgpr_msb 0                        ;  msbs: dst=0 src0=0 src1=0 src2=0
	v_add_f32_e32 v7, v7, v71
	s_set_vgpr_msb 1                        ;  msbs: dst=0 src0=1 src1=0 src2=0
	v_fma_f32 v11, v62 /*v318*/, v198, -v11
	s_set_vgpr_msb 0                        ;  msbs: dst=0 src0=0 src1=0 src2=0
	v_add_f32_e32 v9, v9, v21
	s_wait_loadcnt_dscnt 0x500
	s_set_vgpr_msb 1                        ;  msbs: dst=0 src0=1 src1=0 src2=0
	v_dual_mul_f32 v21, v73 /*v329*/, v209 :: v_dual_fma_f32 v13, v64 /*v320*/, v200, -v13
	s_set_vgpr_msb 0                        ;  msbs: dst=0 src0=0 src1=0 src2=0
	v_add_f32_e32 v7, v7, v73
	s_set_vgpr_msb 1                        ;  msbs: dst=0 src0=1 src1=0 src2=0
	v_fmac_f32_e32 v85, v67 /*v323*/, v202
	s_wait_loadcnt 0x4
	s_set_vgpr_msb 0                        ;  msbs: dst=0 src0=0 src1=0 src2=0
	v_dual_add_f32 v9, v9, v23 :: v_dual_mov_b32 v126, v215
	s_set_vgpr_msb 1                        ;  msbs: dst=0 src0=1 src1=0 src2=0
	v_dual_mul_f32 v23, v75 /*v331*/, v211 :: v_dual_mul_f32 v87, v68 /*v324*/, v205
	v_mul_f32_e32 v89, v70 /*v326*/, v207
	s_set_vgpr_msb 0                        ;  msbs: dst=0 src0=0 src1=0 src2=0
	v_add_f32_e32 v9, v9, v11
	v_add_f32_e32 v7, v7, v75
	s_set_vgpr_msb 1                        ;  msbs: dst=0 src0=1 src1=0 src2=0
	v_fma_f32 v11, v66 /*v322*/, v202, -v15
	v_fmac_f32_e32 v87, v69 /*v325*/, v204
	s_wait_loadcnt 0x3
	s_set_vgpr_msb 0                        ;  msbs: dst=0 src0=0 src1=0 src2=0
	v_dual_mov_b32 v130, v219 :: v_dual_add_f32 v9, v9, v13
	v_add_f32_e32 v7, v7, v77
	s_set_vgpr_msb 1                        ;  msbs: dst=0 src0=1 src1=0 src2=0
	v_fma_f32 v13, v68 /*v324*/, v204, -v17
	s_set_vgpr_msb 0x41                     ;  msbs: dst=1 src0=1 src1=0 src2=0
	v_dual_mul_f32 v87 /*v343*/, v72 /*v328*/, v209 :: v_dual_mul_f32 v89 /*v345*/, v74 /*v330*/, v211
	s_set_vgpr_msb 0                        ;  msbs: dst=0 src0=0 src1=0 src2=0
	v_add_f32_e32 v9, v9, v11
	v_add_f32_e32 v7, v7, v79
	s_set_vgpr_msb 1                        ;  msbs: dst=0 src0=1 src1=0 src2=0
	v_dual_fmac_f32 v89, v71 /*v327*/, v206 :: v_dual_fma_f32 v11, v70 /*v326*/, v206, -v19
	s_set_vgpr_msb 0                        ;  msbs: dst=0 src0=0 src1=0 src2=0
	v_pk_mul_f32 v[124:125], v[252:253], v[212:213] op_sel:[1,1] op_sel_hi:[0,1]
	v_add_f32_e32 v9, v9, v13
	v_add_f32_e32 v7, v7, v81
	s_set_vgpr_msb 0x41                     ;  msbs: dst=1 src0=1 src1=0 src2=0
	v_dual_fmac_f32 v87 /*v343*/, v73 /*v329*/, v208 :: v_dual_fmac_f32 v89 /*v345*/, v75 /*v331*/, v210
	v_dual_fma_f32 v86 /*v342*/, v72 /*v328*/, v208, -v21 :: v_dual_fma_f32 v88 /*v344*/, v74 /*v330*/, v210, -v23
	s_set_vgpr_msb 0                        ;  msbs: dst=0 src0=0 src1=0 src2=0
	v_add_f32_e32 v7, v7, v83
	v_add_f32_e32 v132, v9, v11
	v_pk_fma_f32 v[134:135], v[252:253], v[212:213], v[124:125] op_sel_hi:[1,0,1]
	s_set_vgpr_msb 1                        ;  msbs: dst=0 src0=1 src1=0 src2=0
	v_pk_mul_f32 v[126:127], v[78:79] /*v[334:335]*/, v[126:127] op_sel_hi:[1,0]
	s_set_vgpr_msb 0                        ;  msbs: dst=0 src0=0 src1=0 src2=0
	v_pk_fma_f32 v[124:125], v[252:253], v[212:213], v[124:125] neg_lo:[0,0,1] neg_hi:[0,0,1]
	v_add_f32_e32 v7, v7, v85
	s_set_vgpr_msb 1                        ;  msbs: dst=0 src0=1 src1=0 src2=0
	v_pk_mul_f32 v[128:129], v[8:9] /*v[264:265]*/, v[216:217] op_sel:[1,1] op_sel_hi:[0,1]
	s_set_vgpr_msb 0                        ;  msbs: dst=0 src0=0 src1=0 src2=0
	v_mov_b32_e32 v125, v135
	v_pk_fma_f32 v[134:135], v[254:255], v[214:215], v[126:127] op_sel_hi:[1,0,1]
	v_pk_fma_f32 v[126:127], v[254:255], v[214:215], v[126:127] neg_lo:[0,0,1] neg_hi:[0,0,1]
	v_add_f32_e32 v7, v7, v87
	s_set_vgpr_msb 1                        ;  msbs: dst=0 src0=1 src1=0 src2=0
	v_pk_fma_f32 v[138:139], v[8:9] /*v[264:265]*/, v[216:217], v[128:129] op_sel_hi:[1,0,1]
	v_pk_mul_f32 v[130:131], v[80:81] /*v[336:337]*/, v[130:131] op_sel_hi:[1,0]
	s_set_vgpr_msb 0                        ;  msbs: dst=0 src0=0 src1=0 src2=0
	v_mov_b32_e32 v127, v135
	s_wait_loadcnt 0x2
	s_set_vgpr_msb 1                        ;  msbs: dst=0 src0=1 src1=0 src2=0
	v_pk_mul_f32 v[136:137], v[12:13] /*v[268:269]*/, v[220:221] op_sel:[1,1] op_sel_hi:[0,1]
	s_set_vgpr_msb 0                        ;  msbs: dst=0 src0=0 src1=0 src2=0
	v_add_f32_e32 v133, v7, v89
	s_set_vgpr_msb 1                        ;  msbs: dst=0 src0=1 src1=0 src2=0
	v_pk_fma_f32 v[128:129], v[8:9] /*v[264:265]*/, v[216:217], v[128:129] neg_lo:[0,0,1] neg_hi:[0,0,1]
	s_set_vgpr_msb 0                        ;  msbs: dst=0 src0=0 src1=0 src2=0
	v_mov_b32_e32 v129, v139
	s_set_vgpr_msb 1                        ;  msbs: dst=0 src0=1 src1=0 src2=0
	v_pk_fma_f32 v[134:135], v[10:11] /*v[266:267]*/, v[218:219], v[130:131] op_sel_hi:[1,0,1]
	v_pk_fma_f32 v[130:131], v[10:11] /*v[266:267]*/, v[218:219], v[130:131] neg_lo:[0,0,1] neg_hi:[0,0,1]
	s_set_vgpr_msb 4                        ;  msbs: dst=0 src0=0 src1=1 src2=0
	v_pk_add_f32 v[132:133], v[132:133], v[86:87] /*v[342:343]*/
	s_delay_alu instid0(VALU_DEP_1) | instskip(SKIP_1) | instid1(VALU_DEP_1)
	v_pk_add_f32 v[132:133], v[132:133], v[88:89] /*v[344:345]*/
	s_set_vgpr_msb 0                        ;  msbs: dst=0 src0=0 src1=0 src2=0
	v_pk_add_f32 v[124:125], v[132:133], v[124:125]
	v_mov_b32_e32 v132, v223
	s_delay_alu instid0(VALU_DEP_2) | instskip(SKIP_2) | instid1(VALU_DEP_3)
	v_pk_add_f32 v[124:125], v[124:125], v[126:127]
	s_set_vgpr_msb 1                        ;  msbs: dst=0 src0=1 src1=0 src2=0
	v_pk_fma_f32 v[126:127], v[12:13] /*v[268:269]*/, v[220:221], v[136:137] op_sel_hi:[1,0,1]
	v_pk_mul_f32 v[132:133], v[82:83] /*v[338:339]*/, v[132:133] op_sel_hi:[1,0]
	s_set_vgpr_msb 0                        ;  msbs: dst=0 src0=0 src1=0 src2=0
	v_mov_b32_e32 v131, v135
	s_set_vgpr_msb 1                        ;  msbs: dst=0 src0=1 src1=0 src2=0
	v_pk_fma_f32 v[134:135], v[12:13] /*v[268:269]*/, v[220:221], v[136:137] neg_lo:[0,0,1] neg_hi:[0,0,1]
	s_set_vgpr_msb 0                        ;  msbs: dst=0 src0=0 src1=0 src2=0
	v_pk_add_f32 v[124:125], v[124:125], v[128:129]
	v_mov_b32_e32 v135, v127
	s_set_vgpr_msb 1                        ;  msbs: dst=0 src0=1 src1=0 src2=0
	v_pk_fma_f32 v[126:127], v[14:15] /*v[270:271]*/, v[222:223], v[132:133] op_sel_hi:[1,0,1]
	s_wait_loadcnt 0x1
	v_pk_mul_f32 v[128:129], v[24:25] /*v[280:281]*/, v[232:233] op_sel:[1,1] op_sel_hi:[0,1]
	s_set_vgpr_msb 0                        ;  msbs: dst=0 src0=0 src1=0 src2=0
	v_mov_b32_e32 v126, v235
	v_pk_add_f32 v[124:125], v[124:125], v[130:131]
	s_set_vgpr_msb 1                        ;  msbs: dst=0 src0=1 src1=0 src2=0
	v_pk_fma_f32 v[132:133], v[14:15] /*v[270:271]*/, v[222:223], v[132:133] neg_lo:[0,0,1] neg_hi:[0,0,1]
	s_set_vgpr_msb 0                        ;  msbs: dst=0 src0=0 src1=0 src2=0
	v_mov_b32_e32 v133, v127
	s_set_vgpr_msb 1                        ;  msbs: dst=0 src0=1 src1=0 src2=0
	v_pk_fma_f32 v[130:131], v[24:25] /*v[280:281]*/, v[232:233], v[128:129] op_sel_hi:[1,0,1]
	v_pk_mul_f32 v[126:127], v[84:85] /*v[340:341]*/, v[126:127] op_sel_hi:[1,0]
	s_set_vgpr_msb 0                        ;  msbs: dst=0 src0=0 src1=0 src2=0
	v_pk_add_f32 v[124:125], v[124:125], v[134:135]
	s_set_vgpr_msb 1                        ;  msbs: dst=0 src0=1 src1=0 src2=0
	v_pk_fma_f32 v[128:129], v[24:25] /*v[280:281]*/, v[232:233], v[128:129] neg_lo:[0,0,1] neg_hi:[0,0,1]
	s_set_vgpr_msb 0                        ;  msbs: dst=0 src0=0 src1=0 src2=0
	v_mov_b32_e32 v129, v131
	s_set_vgpr_msb 1                        ;  msbs: dst=0 src0=1 src1=0 src2=0
	v_pk_fma_f32 v[130:131], v[26:27] /*v[282:283]*/, v[234:235], v[126:127] op_sel_hi:[1,0,1]
	s_set_vgpr_msb 0                        ;  msbs: dst=0 src0=0 src1=0 src2=0
	v_pk_add_f32 v[124:125], v[124:125], v[132:133]
	s_set_vgpr_msb 1                        ;  msbs: dst=0 src0=1 src1=0 src2=0
	v_pk_fma_f32 v[126:127], v[26:27] /*v[282:283]*/, v[234:235], v[126:127] neg_lo:[0,0,1] neg_hi:[0,0,1]
	s_set_vgpr_msb 0                        ;  msbs: dst=0 src0=0 src1=0 src2=0
	v_mov_b32_e32 v127, v131
	v_pk_add_f32 v[124:125], v[124:125], v[128:129]
	s_delay_alu instid0(VALU_DEP_1) | instskip(SKIP_2) | instid1(VALU_DEP_1)
	v_pk_add_f32 v[124:125], v[124:125], v[126:127]
	s_wait_loadcnt 0x0
	s_set_vgpr_msb 1                        ;  msbs: dst=0 src0=1 src1=0 src2=0
	v_pk_add_f32 v[124:125], v[76:77] /*v[332:333]*/, v[124:125] neg_lo:[0,1] neg_hi:[0,1]
	scratch_store_b64 off, v[124:125], off offset:64
	s_wait_xcnt 0x0
	v_cmpx_lt_u32_e32 7, v0
	s_set_vgpr_msb 0                        ;  msbs: dst=0 src0=0 src1=0 src2=0
	s_cbranch_execz .LBB60_365
; %bb.364:
	scratch_load_b64 v[124:125], off, off offset:56
	v_mov_b64_e32 v[126:127], 0
	scratch_store_b64 off, v[126:127], off offset:56
	s_wait_loadcnt 0x0
	ds_store_b64 v1, v[124:125]
.LBB60_365:
	s_wait_xcnt 0x0
	s_or_b32 exec_lo, exec_lo, s0
	s_wait_storecnt_dscnt 0x0
	s_barrier_signal -1
	s_barrier_wait -1
	s_clause 0x1c
	scratch_load_b128 v[124:127], off, off offset:64
	scratch_load_b128 v[128:131], off, off offset:80
	;; [unrolled: 1-line block ×26, first 2 shown]
	s_set_vgpr_msb 64                       ;  msbs: dst=1 src0=0 src1=0 src2=0
	scratch_load_b64 v[76:77] /*v[332:333]*/, off, off offset:480
	scratch_load_b64 v[78:79] /*v[334:335]*/, off, off offset:56
	s_set_vgpr_msb 0                        ;  msbs: dst=0 src0=0 src1=0 src2=0
	v_mov_b32_e32 v7, 0
	ds_load_b128 v[228:231], v7 offset:560
	ds_load_b128 v[232:235], v7 offset:576
	ds_load_b128 v[236:239], v7 offset:592
	ds_load_b128 v[240:243], v7 offset:608
	ds_load_b128 v[244:247], v7 offset:624
	ds_load_b128 v[248:251], v7 offset:640
	ds_load_b128 v[252:255], v7 offset:912
	s_set_vgpr_msb 64                       ;  msbs: dst=1 src0=0 src1=0 src2=0
	ds_load_b128 v[0:3] /*v[256:259]*/, v7 offset:656
	ds_load_b128 v[4:7] /*v[260:263]*/, v7 offset:672
	ds_load_b128 v[8:11] /*v[264:267]*/, v7 offset:928
	ds_load_b128 v[12:15] /*v[268:271]*/, v7 offset:944
	ds_load_b128 v[16:19] /*v[272:275]*/, v7 offset:688
	ds_load_b128 v[20:23] /*v[276:279]*/, v7 offset:704
	ds_load_b128 v[24:27] /*v[280:283]*/, v7 offset:960
	ds_load_b128 v[28:31] /*v[284:287]*/, v7 offset:720
	ds_load_b128 v[32:35] /*v[288:291]*/, v7 offset:736
	ds_load_b128 v[36:39] /*v[292:295]*/, v7 offset:752
	ds_load_b128 v[40:43] /*v[296:299]*/, v7 offset:768
	ds_load_b128 v[44:47] /*v[300:303]*/, v7 offset:784
	ds_load_b128 v[48:51] /*v[304:307]*/, v7 offset:800
	ds_load_b128 v[52:55] /*v[308:311]*/, v7 offset:816
	ds_load_b128 v[56:59] /*v[312:315]*/, v7 offset:832
	ds_load_b128 v[60:63] /*v[316:319]*/, v7 offset:848
	ds_load_b128 v[64:67] /*v[320:323]*/, v7 offset:864
	ds_load_b128 v[68:71] /*v[324:327]*/, v7 offset:880
	ds_load_b128 v[72:75] /*v[328:331]*/, v7 offset:896
	ds_load_b64 v[80:81] /*v[336:337]*/, v7 offset:976
	s_wait_dscnt 0x14
	v_dual_mov_b32 v82 /*v338*/, v255 :: v_dual_mov_b32 v83 /*v339*/, v254
	s_wait_dscnt 0x11
	s_set_vgpr_msb 0x41                     ;  msbs: dst=1 src0=1 src1=0 src2=0
	v_dual_mov_b32 v84 /*v340*/, v11 /*v267*/ :: v_dual_mov_b32 v85 /*v341*/, v10 /*v266*/
	s_wait_dscnt 0x10
	v_dual_mov_b32 v86 /*v342*/, v15 /*v271*/ :: v_dual_mov_b32 v87 /*v343*/, v14 /*v270*/
	s_wait_dscnt 0xd
	v_dual_mov_b32 v88 /*v344*/, v27 /*v283*/ :: v_dual_mov_b32 v89 /*v345*/, v26 /*v282*/
	s_mov_b32 s0, exec_lo
	s_wait_loadcnt 0x1b
	s_set_vgpr_msb 0                        ;  msbs: dst=0 src0=0 src1=0 src2=0
	v_dual_mul_f32 v9, v228, v125 :: v_dual_mul_f32 v95, v229, v125
	s_wait_loadcnt 0x1a
	v_dual_mul_f32 v11, v230, v127 :: v_dual_mul_f32 v13, v232, v129
	v_dual_mul_f32 v97, v231, v127 :: v_dual_mul_f32 v99, v233, v129
	s_wait_loadcnt 0x16
	v_dual_mul_f32 v31, v250, v147 :: v_dual_fmac_f32 v9, v229, v124
	v_dual_fma_f32 v95, v228, v124, -v95 :: v_dual_mul_f32 v109, v243, v139
	s_delay_alu instid0(VALU_DEP_3) | instskip(NEXT) | instid1(VALU_DEP_3)
	v_dual_fma_f32 v97, v230, v126, -v97 :: v_dual_fmac_f32 v11, v231, v126
	v_dual_add_f32 v9, 0, v9 :: v_dual_mul_f32 v15, v234, v131
	v_dual_mul_f32 v17, v236, v133 :: v_dual_mul_f32 v101, v235, v131
	s_delay_alu instid0(VALU_DEP_4)
	v_dual_mul_f32 v103, v237, v133 :: v_dual_add_f32 v95, 0, v95
	v_dual_mul_f32 v111, v245, v141 :: v_dual_fma_f32 v99, v232, v128, -v99
	v_fmac_f32_e32 v13, v233, v128
	s_wait_loadcnt_dscnt 0x601
	s_set_vgpr_msb 1                        ;  msbs: dst=0 src0=1 src1=0 src2=0
	v_mul_f32_e32 v93, v72 /*v328*/, v209
	s_set_vgpr_msb 0                        ;  msbs: dst=0 src0=0 src1=0 src2=0
	v_dual_add_f32 v9, v9, v11 :: v_dual_fmac_f32 v15, v235, v130
	v_add_f32_e32 v11, v95, v97
	v_dual_mul_f32 v95, v247, v143 :: v_dual_fma_f32 v97, v234, v130, -v101
	s_delay_alu instid0(VALU_DEP_3) | instskip(NEXT) | instid1(VALU_DEP_3)
	v_dual_add_f32 v9, v9, v13 :: v_dual_mul_f32 v19, v238, v135
	v_dual_mul_f32 v21, v240, v137 :: v_dual_add_f32 v11, v11, v99
	v_dual_mul_f32 v105, v239, v135 :: v_dual_mul_f32 v107, v241, v137
	v_dual_mul_f32 v13, v249, v145 :: v_dual_fma_f32 v99, v236, v132, -v103
	s_delay_alu instid0(VALU_DEP_3) | instskip(SKIP_1) | instid1(VALU_DEP_4)
	v_dual_fmac_f32 v17, v237, v132 :: v_dual_add_f32 v11, v11, v97
	v_dual_add_f32 v9, v9, v15 :: v_dual_fmac_f32 v19, v239, v134
	v_dual_mul_f32 v15, v251, v147 :: v_dual_fma_f32 v97, v238, v134, -v105
	s_delay_alu instid0(VALU_DEP_2) | instskip(SKIP_2) | instid1(VALU_DEP_3)
	v_dual_add_f32 v11, v11, v99 :: v_dual_add_f32 v9, v9, v17
	v_dual_mul_f32 v23, v242, v139 :: v_dual_mul_f32 v25, v244, v141
	v_dual_fmac_f32 v21, v241, v136 :: v_dual_fma_f32 v99, v240, v136, -v107
	v_dual_add_f32 v9, v9, v19 :: v_dual_add_f32 v11, v11, v97
	s_delay_alu instid0(VALU_DEP_3) | instskip(SKIP_1) | instid1(VALU_DEP_3)
	v_dual_fmac_f32 v23, v243, v138 :: v_dual_fma_f32 v97, v242, v138, -v109
	v_dual_mul_f32 v27, v246, v143 :: v_dual_mul_f32 v29, v248, v145
	v_dual_add_f32 v9, v9, v21 :: v_dual_add_f32 v11, v11, v99
	v_dual_fmac_f32 v25, v245, v140 :: v_dual_fma_f32 v99, v244, v140, -v111
	s_set_vgpr_msb 1                        ;  msbs: dst=0 src0=1 src1=0 src2=0
	v_dual_mul_f32 v33, v0 /*v256*/, v149 :: v_dual_mul_f32 v35, v2 /*v258*/, v151
	s_set_vgpr_msb 0                        ;  msbs: dst=0 src0=0 src1=0 src2=0
	v_dual_add_f32 v9, v9, v23 :: v_dual_add_f32 v11, v11, v97
	v_fmac_f32_e32 v27, v247, v142
	v_fma_f32 v95, v246, v142, -v95
	s_set_vgpr_msb 1                        ;  msbs: dst=0 src0=1 src1=0 src2=0
	v_dual_mul_f32 v17, v1 /*v257*/, v149 :: v_dual_mul_f32 v19, v3 /*v259*/, v151
	s_set_vgpr_msb 0                        ;  msbs: dst=0 src0=0 src1=0 src2=0
	v_dual_add_f32 v9, v9, v25 :: v_dual_add_f32 v11, v11, v99
	v_fmac_f32_e32 v29, v249, v144
	v_fma_f32 v13, v248, v144, -v13
	s_set_vgpr_msb 1                        ;  msbs: dst=0 src0=1 src1=0 src2=0
	v_fmac_f32_e32 v33, v1 /*v257*/, v148
	s_set_vgpr_msb 0                        ;  msbs: dst=0 src0=0 src1=0 src2=0
	v_add_f32_e32 v9, v9, v27
	v_add_f32_e32 v11, v11, v95
	v_fmac_f32_e32 v31, v251, v146
	v_fma_f32 v15, v250, v146, -v15
	s_set_vgpr_msb 1                        ;  msbs: dst=0 src0=1 src1=0 src2=0
	v_fma_f32 v17, v0 /*v256*/, v148, -v17
	s_set_vgpr_msb 0                        ;  msbs: dst=0 src0=0 src1=0 src2=0
	v_add_f32_e32 v9, v9, v29
	v_add_f32_e32 v11, v11, v13
	s_set_vgpr_msb 1                        ;  msbs: dst=0 src0=1 src1=0 src2=0
	v_mul_f32_e32 v13, v21 /*v277*/, v161
	v_dual_mul_f32 v37, v4 /*v260*/, v153 :: v_dual_mul_f32 v39, v6 /*v262*/, v155
	v_dual_mul_f32 v21, v5 /*v261*/, v153 :: v_dual_mul_f32 v23, v7 /*v263*/, v155
	s_set_vgpr_msb 0                        ;  msbs: dst=0 src0=0 src1=0 src2=0
	v_add_f32_e32 v11, v11, v15
	v_add_f32_e32 v9, v9, v31
	s_set_vgpr_msb 1                        ;  msbs: dst=0 src0=1 src1=0 src2=0
	v_mul_f32_e32 v15, v23 /*v279*/, v163
	v_fmac_f32_e32 v35, v3 /*v259*/, v150
	v_dual_fma_f32 v19, v2 /*v258*/, v150, -v19 :: v_dual_fmac_f32 v37, v5 /*v261*/, v152
	s_set_vgpr_msb 0                        ;  msbs: dst=0 src0=0 src1=0 src2=0
	v_add_f32_e32 v11, v11, v17
	v_add_f32_e32 v9, v9, v33
	s_set_vgpr_msb 1                        ;  msbs: dst=0 src0=1 src1=0 src2=0
	v_dual_mul_f32 v17, v29 /*v285*/, v165 :: v_dual_fma_f32 v21, v4 /*v260*/, v152, -v21
	v_dual_mul_f32 v41, v16 /*v272*/, v157 :: v_dual_mul_f32 v43, v18 /*v274*/, v159
	s_set_vgpr_msb 0                        ;  msbs: dst=0 src0=0 src1=0 src2=0
	v_add_f32_e32 v11, v11, v19
	s_set_vgpr_msb 1                        ;  msbs: dst=0 src0=1 src1=0 src2=0
	v_mul_f32_e32 v19, v31 /*v287*/, v167
	s_set_vgpr_msb 0                        ;  msbs: dst=0 src0=0 src1=0 src2=0
	v_add_f32_e32 v9, v9, v35
	s_set_vgpr_msb 1                        ;  msbs: dst=0 src0=1 src1=0 src2=0
	v_dual_mul_f32 v25, v17 /*v273*/, v157 :: v_dual_mul_f32 v27, v19 /*v275*/, v159
	v_fmac_f32_e32 v39, v7 /*v263*/, v154
	v_dual_fma_f32 v23, v6 /*v262*/, v154, -v23 :: v_dual_fmac_f32 v41, v17 /*v273*/, v156
	s_set_vgpr_msb 0                        ;  msbs: dst=0 src0=0 src1=0 src2=0
	v_add_f32_e32 v11, v11, v21
	v_add_f32_e32 v9, v9, v37
	s_set_vgpr_msb 1                        ;  msbs: dst=0 src0=1 src1=0 src2=0
	v_dual_mul_f32 v21, v33 /*v289*/, v169 :: v_dual_fma_f32 v25, v16 /*v272*/, v156, -v25
	v_dual_mul_f32 v45, v20 /*v276*/, v161 :: v_dual_mul_f32 v47, v22 /*v278*/, v163
	s_set_vgpr_msb 0                        ;  msbs: dst=0 src0=0 src1=0 src2=0
	v_add_f32_e32 v11, v11, v23
	s_set_vgpr_msb 1                        ;  msbs: dst=0 src0=1 src1=0 src2=0
	v_mul_f32_e32 v23, v35 /*v291*/, v171
	s_set_vgpr_msb 0                        ;  msbs: dst=0 src0=0 src1=0 src2=0
	v_add_f32_e32 v9, v9, v39
	s_set_vgpr_msb 1                        ;  msbs: dst=0 src0=1 src1=0 src2=0
	v_fmac_f32_e32 v43, v19 /*v275*/, v158
	v_dual_fma_f32 v27, v18 /*v274*/, v158, -v27 :: v_dual_fmac_f32 v45, v21 /*v277*/, v160
	s_set_vgpr_msb 0                        ;  msbs: dst=0 src0=0 src1=0 src2=0
	v_add_f32_e32 v11, v11, v25
	v_add_f32_e32 v9, v9, v41
	s_set_vgpr_msb 1                        ;  msbs: dst=0 src0=1 src1=0 src2=0
	v_dual_mul_f32 v25, v37 /*v293*/, v173 :: v_dual_fma_f32 v13, v20 /*v276*/, v160, -v13
	v_dual_mul_f32 v49, v28 /*v284*/, v165 :: v_dual_mul_f32 v51, v30 /*v286*/, v167
	s_set_vgpr_msb 0                        ;  msbs: dst=0 src0=0 src1=0 src2=0
	v_add_f32_e32 v11, v11, v27
	s_set_vgpr_msb 1                        ;  msbs: dst=0 src0=1 src1=0 src2=0
	v_mul_f32_e32 v27, v39 /*v295*/, v175
	s_set_vgpr_msb 0                        ;  msbs: dst=0 src0=0 src1=0 src2=0
	v_add_f32_e32 v9, v9, v43
	s_set_vgpr_msb 1                        ;  msbs: dst=0 src0=1 src1=0 src2=0
	;; [unrolled: 15-line block ×11, first 2 shown]
	v_dual_fmac_f32 v83, v63 /*v319*/, v198 :: v_dual_fmac_f32 v85, v65 /*v321*/, v200
	v_dual_fma_f32 v19, v62 /*v318*/, v198, -v19 :: v_dual_fma_f32 v21, v64 /*v320*/, v200, -v21
	s_set_vgpr_msb 0                        ;  msbs: dst=0 src0=0 src1=0 src2=0
	v_add_f32_e32 v11, v11, v17
	v_add_f32_e32 v9, v9, v81
	s_set_vgpr_msb 1                        ;  msbs: dst=0 src0=1 src1=0 src2=0
	v_dual_mul_f32 v89, v68 /*v324*/, v205 :: v_dual_mul_f32 v91, v70 /*v326*/, v207
	s_wait_loadcnt 0x5
	s_set_vgpr_msb 0                        ;  msbs: dst=0 src0=0 src1=0 src2=0
	v_dual_mul_f32 v17, v253, v213 :: v_dual_add_f32 v11, v11, v19
	v_dual_add_f32 v9, v9, v83 :: v_dual_mov_b32 v124, v215
	s_set_vgpr_msb 1                        ;  msbs: dst=0 src0=1 src1=0 src2=0
	v_dual_fmac_f32 v87, v67 /*v323*/, v202 :: v_dual_fmac_f32 v89, v69 /*v325*/, v204
	v_fma_f32 v19, v66 /*v322*/, v202, -v23
	s_set_vgpr_msb 0                        ;  msbs: dst=0 src0=0 src1=0 src2=0
	v_add_f32_e32 v11, v11, v21
	s_set_vgpr_msb 1                        ;  msbs: dst=0 src0=1 src1=0 src2=0
	v_fma_f32 v21, v68 /*v324*/, v204, -v25
	s_set_vgpr_msb 0                        ;  msbs: dst=0 src0=0 src1=0 src2=0
	v_add_f32_e32 v9, v9, v85
	s_set_vgpr_msb 1                        ;  msbs: dst=0 src0=1 src1=0 src2=0
	v_dual_fmac_f32 v91, v71 /*v327*/, v206 :: v_dual_fmac_f32 v93, v73 /*v329*/, v208
	s_set_vgpr_msb 0                        ;  msbs: dst=0 src0=0 src1=0 src2=0
	v_add_f32_e32 v11, v11, v19
	s_set_vgpr_msb 1                        ;  msbs: dst=0 src0=1 src1=0 src2=0
	v_dual_fma_f32 v19, v70 /*v326*/, v206, -v27 :: v_dual_fma_f32 v13, v72 /*v328*/, v208, -v13
	s_wait_loadcnt 0x4
	s_set_vgpr_msb 0                        ;  msbs: dst=0 src0=0 src1=0 src2=0
	v_dual_add_f32 v9, v9, v87 :: v_dual_mov_b32 v128, v219
	s_set_vgpr_msb 0x41                     ;  msbs: dst=1 src0=1 src1=0 src2=0
	v_dual_mul_f32 v91 /*v347*/, v74 /*v330*/, v211 :: v_dual_fma_f32 v90 /*v346*/, v74 /*v330*/, v210, -v15
	s_set_vgpr_msb 1                        ;  msbs: dst=0 src0=1 src1=0 src2=0
	v_pk_mul_f32 v[124:125], v[82:83] /*v[338:339]*/, v[124:125] op_sel_hi:[1,0]
	s_set_vgpr_msb 0                        ;  msbs: dst=0 src0=0 src1=0 src2=0
	v_add_f32_e32 v9, v9, v89
	v_add_f32_e32 v11, v11, v21
	s_set_vgpr_msb 64                       ;  msbs: dst=1 src0=0 src1=0 src2=0
	v_dual_mul_f32 v93 /*v349*/, v252, v213 :: v_dual_fma_f32 v92 /*v348*/, v252, v212, -v17
	s_set_vgpr_msb 0x41                     ;  msbs: dst=1 src0=1 src1=0 src2=0
	v_fmac_f32_e32 v91 /*v347*/, v75 /*v331*/, v210
	s_set_vgpr_msb 0                        ;  msbs: dst=0 src0=0 src1=0 src2=0
	v_add_f32_e32 v9, v9, v91
	v_add_f32_e32 v11, v11, v19
	v_pk_fma_f32 v[136:137], v[254:255], v[214:215], v[124:125] op_sel_hi:[1,0,1]
	v_pk_fma_f32 v[124:125], v[254:255], v[214:215], v[124:125] neg_lo:[0,0,1] neg_hi:[0,0,1]
	s_set_vgpr_msb 1                        ;  msbs: dst=0 src0=1 src1=0 src2=0
	v_pk_mul_f32 v[126:127], v[8:9] /*v[264:265]*/, v[216:217] op_sel:[1,1] op_sel_hi:[0,1]
	s_set_vgpr_msb 0                        ;  msbs: dst=0 src0=0 src1=0 src2=0
	v_add_f32_e32 v133, v9, v93
	v_dual_add_f32 v132, v11, v13 :: v_dual_mov_b32 v125, v137
	s_set_vgpr_msb 64                       ;  msbs: dst=1 src0=0 src1=0 src2=0
	v_fmac_f32_e32 v93 /*v349*/, v253, v212
	s_set_vgpr_msb 1                        ;  msbs: dst=0 src0=1 src1=0 src2=0
	v_pk_fma_f32 v[138:139], v[8:9] /*v[264:265]*/, v[216:217], v[126:127] op_sel_hi:[1,0,1]
	v_pk_mul_f32 v[128:129], v[84:85] /*v[340:341]*/, v[128:129] op_sel_hi:[1,0]
	s_set_vgpr_msb 4                        ;  msbs: dst=0 src0=0 src1=1 src2=0
	v_pk_add_f32 v[132:133], v[132:133], v[90:91] /*v[346:347]*/
	s_set_vgpr_msb 1                        ;  msbs: dst=0 src0=1 src1=0 src2=0
	v_pk_fma_f32 v[126:127], v[8:9] /*v[264:265]*/, v[216:217], v[126:127] neg_lo:[0,0,1] neg_hi:[0,0,1]
	s_wait_loadcnt 0x3
	v_pk_mul_f32 v[130:131], v[12:13] /*v[268:269]*/, v[220:221] op_sel:[1,1] op_sel_hi:[0,1]
	s_set_vgpr_msb 4                        ;  msbs: dst=0 src0=0 src1=1 src2=0
	v_dual_mov_b32 v134, v223 :: v_dual_mov_b32 v127, v139
	v_pk_add_f32 v[132:133], v[132:133], v[92:93] /*v[348:349]*/
	s_set_vgpr_msb 1                        ;  msbs: dst=0 src0=1 src1=0 src2=0
	v_pk_fma_f32 v[138:139], v[10:11] /*v[266:267]*/, v[218:219], v[128:129] op_sel_hi:[1,0,1]
	v_pk_fma_f32 v[128:129], v[10:11] /*v[266:267]*/, v[218:219], v[128:129] neg_lo:[0,0,1] neg_hi:[0,0,1]
	v_pk_mul_f32 v[134:135], v[86:87] /*v[342:343]*/, v[134:135] op_sel_hi:[1,0]
	s_wait_loadcnt 0x2
	v_pk_mul_f32 v[136:137], v[24:25] /*v[280:281]*/, v[224:225] op_sel:[1,1] op_sel_hi:[0,1]
	s_set_vgpr_msb 0                        ;  msbs: dst=0 src0=0 src1=0 src2=0
	v_pk_add_f32 v[124:125], v[132:133], v[124:125]
	s_set_vgpr_msb 1                        ;  msbs: dst=0 src0=1 src1=0 src2=0
	v_pk_fma_f32 v[132:133], v[12:13] /*v[268:269]*/, v[220:221], v[130:131] op_sel_hi:[1,0,1]
	s_set_vgpr_msb 0                        ;  msbs: dst=0 src0=0 src1=0 src2=0
	v_mov_b32_e32 v129, v139
	s_set_vgpr_msb 1                        ;  msbs: dst=0 src0=1 src1=0 src2=0
	v_pk_fma_f32 v[130:131], v[12:13] /*v[268:269]*/, v[220:221], v[130:131] neg_lo:[0,0,1] neg_hi:[0,0,1]
	s_set_vgpr_msb 0                        ;  msbs: dst=0 src0=0 src1=0 src2=0
	v_pk_add_f32 v[124:125], v[124:125], v[126:127]
	v_dual_mov_b32 v126, v227 :: v_dual_mov_b32 v131, v133
	s_set_vgpr_msb 1                        ;  msbs: dst=0 src0=1 src1=0 src2=0
	v_pk_fma_f32 v[132:133], v[14:15] /*v[270:271]*/, v[222:223], v[134:135] op_sel_hi:[1,0,1]
	v_pk_fma_f32 v[134:135], v[14:15] /*v[270:271]*/, v[222:223], v[134:135] neg_lo:[0,0,1] neg_hi:[0,0,1]
	s_set_vgpr_msb 0                        ;  msbs: dst=0 src0=0 src1=0 src2=0
	v_pk_add_f32 v[124:125], v[124:125], v[128:129]
	s_set_vgpr_msb 1                        ;  msbs: dst=0 src0=1 src1=0 src2=0
	v_pk_fma_f32 v[128:129], v[24:25] /*v[280:281]*/, v[224:225], v[136:137] op_sel_hi:[1,0,1]
	v_pk_mul_f32 v[126:127], v[88:89] /*v[344:345]*/, v[126:127] op_sel_hi:[1,0]
	s_set_vgpr_msb 0                        ;  msbs: dst=0 src0=0 src1=0 src2=0
	v_mov_b32_e32 v135, v133
	s_wait_loadcnt_dscnt 0x100
	s_set_vgpr_msb 5                        ;  msbs: dst=0 src0=1 src1=1 src2=0
	v_pk_mul_f32 v[132:133], v[80:81] /*v[336:337]*/, v[76:77] /*v[332:333]*/ op_sel:[1,1] op_sel_hi:[0,1]
	s_set_vgpr_msb 0                        ;  msbs: dst=0 src0=0 src1=0 src2=0
	v_pk_add_f32 v[124:125], v[124:125], v[130:131]
	s_set_vgpr_msb 1                        ;  msbs: dst=0 src0=1 src1=0 src2=0
	v_pk_fma_f32 v[130:131], v[24:25] /*v[280:281]*/, v[224:225], v[136:137] neg_lo:[0,0,1] neg_hi:[0,0,1]
	s_set_vgpr_msb 0                        ;  msbs: dst=0 src0=0 src1=0 src2=0
	v_mov_b32_e32 v131, v129
	s_set_vgpr_msb 1                        ;  msbs: dst=0 src0=1 src1=0 src2=0
	v_pk_fma_f32 v[128:129], v[26:27] /*v[282:283]*/, v[226:227], v[126:127] op_sel_hi:[1,0,1]
	v_pk_fma_f32 v[126:127], v[26:27] /*v[282:283]*/, v[226:227], v[126:127] neg_lo:[0,0,1] neg_hi:[0,0,1]
	s_set_vgpr_msb 0                        ;  msbs: dst=0 src0=0 src1=0 src2=0
	v_pk_add_f32 v[124:125], v[124:125], v[134:135]
	s_delay_alu instid0(VALU_DEP_3)
	v_mov_b32_e32 v127, v129
	s_set_vgpr_msb 5                        ;  msbs: dst=0 src0=1 src1=1 src2=0
	v_pk_fma_f32 v[128:129], v[80:81] /*v[336:337]*/, v[76:77] /*v[332:333]*/, v[132:133] op_sel_hi:[1,0,1]
	s_set_vgpr_msb 0                        ;  msbs: dst=0 src0=0 src1=0 src2=0
	v_pk_add_f32 v[124:125], v[124:125], v[130:131]
	s_set_vgpr_msb 5                        ;  msbs: dst=0 src0=1 src1=1 src2=0
	v_pk_fma_f32 v[130:131], v[80:81] /*v[336:337]*/, v[76:77] /*v[332:333]*/, v[132:133] neg_lo:[0,0,1] neg_hi:[0,0,1]
	s_set_vgpr_msb 0                        ;  msbs: dst=0 src0=0 src1=0 src2=0
	v_mov_b32_e32 v131, v129
	v_pk_add_f32 v[124:125], v[124:125], v[126:127]
	s_delay_alu instid0(VALU_DEP_1) | instskip(SKIP_2) | instid1(VALU_DEP_1)
	v_pk_add_f32 v[124:125], v[124:125], v[130:131]
	s_wait_loadcnt 0x0
	s_set_vgpr_msb 1                        ;  msbs: dst=0 src0=1 src1=0 src2=0
	v_pk_add_f32 v[124:125], v[78:79] /*v[334:335]*/, v[124:125] neg_lo:[0,1] neg_hi:[0,1]
	scratch_store_b64 off, v[124:125], off offset:56
	s_wait_xcnt 0x0
	v_cmpx_lt_u32_e32 6, v0
	s_set_vgpr_msb 0                        ;  msbs: dst=0 src0=0 src1=0 src2=0
	s_cbranch_execz .LBB60_367
; %bb.366:
	scratch_load_b64 v[124:125], off, off offset:48
	v_mov_b64_e32 v[126:127], 0
	scratch_store_b64 off, v[126:127], off offset:48
	s_wait_loadcnt 0x0
	ds_store_b64 v1, v[124:125]
.LBB60_367:
	s_wait_xcnt 0x0
	s_or_b32 exec_lo, exec_lo, s0
	s_wait_storecnt_dscnt 0x0
	s_barrier_signal -1
	s_barrier_wait -1
	s_clause 0xf
	scratch_load_b128 v[128:131], off, off offset:56
	scratch_load_b128 v[136:139], off, off offset:72
	;; [unrolled: 1-line block ×16, first 2 shown]
	ds_load_2addr_b64 v[124:127], v7 offset0:69 offset1:70
	ds_load_2addr_b64 v[132:135], v7 offset0:71 offset1:72
	s_set_vgpr_msb 64                       ;  msbs: dst=1 src0=0 src1=0 src2=0
	s_clause 0x1
	scratch_load_b128 v[0:3] /*v[256:259]*/, off, off offset:312
	scratch_load_b128 v[8:11] /*v[264:267]*/, off, off offset:328
	s_set_vgpr_msb 0                        ;  msbs: dst=0 src0=0 src1=0 src2=0
	ds_load_2addr_b64 v[140:143], v7 offset0:73 offset1:74
	ds_load_2addr_b64 v[148:151], v7 offset0:75 offset1:76
	s_set_vgpr_msb 64                       ;  msbs: dst=1 src0=0 src1=0 src2=0
	s_clause 0x1
	scratch_load_b128 v[16:19] /*v[272:275]*/, off, off offset:344
	scratch_load_b128 v[24:27] /*v[280:283]*/, off, off offset:360
	s_set_vgpr_msb 0                        ;  msbs: dst=0 src0=0 src1=0 src2=0
	;; [unrolled: 7-line block ×3, first 2 shown]
	ds_load_2addr_b64 v[172:175], v7 offset0:81 offset1:82
	ds_load_2addr_b64 v[180:183], v7 offset0:83 offset1:84
	ds_load_2addr_b64 v[188:191], v7 offset0:85 offset1:86
	ds_load_2addr_b64 v[196:199], v7 offset0:87 offset1:88
	ds_load_2addr_b64 v[204:207], v7 offset0:89 offset1:90
	ds_load_2addr_b64 v[212:215], v7 offset0:91 offset1:92
	ds_load_2addr_b64 v[220:223], v7 offset0:93 offset1:94
	ds_load_2addr_b64 v[228:231], v7 offset0:95 offset1:96
	ds_load_2addr_b64 v[236:239], v7 offset0:97 offset1:98
	ds_load_2addr_b64 v[244:247], v7 offset0:99 offset1:100
	ds_load_2addr_b64 v[252:255], v7 offset0:101 offset1:102
	s_set_vgpr_msb 64                       ;  msbs: dst=1 src0=0 src1=0 src2=0
	ds_load_2addr_b64 v[4:7] /*v[260:263]*/, v7 offset0:103 offset1:104
	ds_load_2addr_b64 v[12:15] /*v[268:271]*/, v7 offset0:105 offset1:106
	;; [unrolled: 1-line block ×4, first 2 shown]
	scratch_load_b128 v[48:51] /*v[304:307]*/, off, off offset:408
	ds_load_2addr_b64 v[28:31] /*v[284:287]*/, v7 offset0:109 offset1:110
	ds_load_2addr_b64 v[36:39] /*v[292:295]*/, v7 offset0:111 offset1:112
	s_clause 0x3
	scratch_load_b128 v[52:55] /*v[308:311]*/, off, off offset:424
	scratch_load_b128 v[56:59] /*v[312:315]*/, off, off offset:440
	;; [unrolled: 1-line block ×4, first 2 shown]
	s_mov_b32 s0, exec_lo
	s_wait_loadcnt_dscnt 0x1a16
	s_set_vgpr_msb 0                        ;  msbs: dst=0 src0=0 src1=0 src2=0
	v_dual_mul_f32 v9, v124, v129 :: v_dual_mul_f32 v11, v126, v131
	s_delay_alu instid0(VALU_DEP_1) | instskip(NEXT) | instid1(VALU_DEP_1)
	v_dual_fmac_f32 v9, v125, v128 :: v_dual_fmac_f32 v11, v127, v130
	v_add_f32_e32 v9, 0, v9
	s_wait_loadcnt_dscnt 0x1915
	s_delay_alu instid0(VALU_DEP_1) | instskip(NEXT) | instid1(VALU_DEP_1)
	v_dual_add_f32 v9, v9, v11 :: v_dual_mul_f32 v11, v132, v137
	v_fmac_f32_e32 v11, v133, v136
	s_delay_alu instid0(VALU_DEP_1) | instskip(SKIP_1) | instid1(VALU_DEP_1)
	v_add_f32_e32 v9, v9, v11
	v_mul_f32_e32 v11, v134, v139
	v_fmac_f32_e32 v11, v135, v138
	s_wait_loadcnt_dscnt 0x1814
	s_delay_alu instid0(VALU_DEP_1) | instskip(NEXT) | instid1(VALU_DEP_1)
	v_dual_add_f32 v9, v9, v11 :: v_dual_mul_f32 v11, v140, v145
	v_fmac_f32_e32 v11, v141, v144
	s_wait_loadcnt_dscnt 0x402
	s_set_vgpr_msb 0x45                     ;  msbs: dst=1 src0=1 src1=1 src2=0
	v_dual_mul_f32 v71 /*v327*/, v44 /*v300*/, v49 /*v305*/ :: v_dual_mul_f32 v73 /*v329*/, v46 /*v302*/, v51 /*v307*/
	s_set_vgpr_msb 0                        ;  msbs: dst=0 src0=0 src1=0 src2=0
	v_add_f32_e32 v9, v9, v11
	v_mul_f32_e32 v11, v142, v147
	s_set_vgpr_msb 0x45                     ;  msbs: dst=1 src0=1 src1=1 src2=0
	v_dual_fmac_f32 v71 /*v327*/, v45 /*v301*/, v48 /*v304*/ :: v_dual_fmac_f32 v73 /*v329*/, v47 /*v303*/, v50 /*v306*/
	s_set_vgpr_msb 0                        ;  msbs: dst=0 src0=0 src1=0 src2=0
	s_delay_alu instid0(VALU_DEP_2) | instskip(NEXT) | instid1(VALU_DEP_1)
	v_fmac_f32_e32 v11, v143, v146
	v_dual_add_f32 v9, v9, v11 :: v_dual_mul_f32 v11, v148, v153
	s_delay_alu instid0(VALU_DEP_1) | instskip(NEXT) | instid1(VALU_DEP_1)
	v_fmac_f32_e32 v11, v149, v152
	v_add_f32_e32 v9, v9, v11
	v_mul_f32_e32 v11, v150, v155
	s_delay_alu instid0(VALU_DEP_1) | instskip(NEXT) | instid1(VALU_DEP_1)
	v_fmac_f32_e32 v11, v151, v154
	v_dual_add_f32 v9, v9, v11 :: v_dual_mul_f32 v11, v156, v161
	s_delay_alu instid0(VALU_DEP_1) | instskip(NEXT) | instid1(VALU_DEP_1)
	v_fmac_f32_e32 v11, v157, v160
	v_add_f32_e32 v9, v9, v11
	v_mul_f32_e32 v11, v158, v163
	s_delay_alu instid0(VALU_DEP_1) | instskip(NEXT) | instid1(VALU_DEP_1)
	v_fmac_f32_e32 v11, v159, v162
	v_dual_add_f32 v9, v9, v11 :: v_dual_mul_f32 v11, v164, v169
	s_delay_alu instid0(VALU_DEP_1) | instskip(NEXT) | instid1(VALU_DEP_1)
	v_fmac_f32_e32 v11, v165, v168
	v_add_f32_e32 v9, v9, v11
	v_mul_f32_e32 v11, v166, v171
	s_delay_alu instid0(VALU_DEP_1) | instskip(NEXT) | instid1(VALU_DEP_1)
	v_fmac_f32_e32 v11, v167, v170
	v_dual_add_f32 v9, v9, v11 :: v_dual_mul_f32 v11, v172, v177
	s_delay_alu instid0(VALU_DEP_1) | instskip(NEXT) | instid1(VALU_DEP_1)
	v_fmac_f32_e32 v11, v173, v176
	v_add_f32_e32 v9, v9, v11
	v_mul_f32_e32 v11, v174, v179
	s_delay_alu instid0(VALU_DEP_1) | instskip(NEXT) | instid1(VALU_DEP_1)
	v_fmac_f32_e32 v11, v175, v178
	v_dual_add_f32 v9, v9, v11 :: v_dual_mul_f32 v11, v180, v185
	s_delay_alu instid0(VALU_DEP_1) | instskip(NEXT) | instid1(VALU_DEP_1)
	v_fmac_f32_e32 v11, v181, v184
	v_add_f32_e32 v9, v9, v11
	v_mul_f32_e32 v11, v182, v187
	s_delay_alu instid0(VALU_DEP_1) | instskip(NEXT) | instid1(VALU_DEP_1)
	v_fmac_f32_e32 v11, v183, v186
	v_dual_add_f32 v9, v9, v11 :: v_dual_mul_f32 v11, v188, v193
	s_delay_alu instid0(VALU_DEP_1) | instskip(NEXT) | instid1(VALU_DEP_1)
	v_fmac_f32_e32 v11, v189, v192
	v_add_f32_e32 v9, v9, v11
	v_mul_f32_e32 v11, v190, v195
	s_delay_alu instid0(VALU_DEP_1) | instskip(NEXT) | instid1(VALU_DEP_1)
	v_fmac_f32_e32 v11, v191, v194
	v_dual_add_f32 v9, v9, v11 :: v_dual_mul_f32 v11, v196, v201
	s_delay_alu instid0(VALU_DEP_1) | instskip(NEXT) | instid1(VALU_DEP_1)
	v_fmac_f32_e32 v11, v197, v200
	v_add_f32_e32 v9, v9, v11
	v_mul_f32_e32 v11, v198, v203
	s_delay_alu instid0(VALU_DEP_1) | instskip(NEXT) | instid1(VALU_DEP_1)
	v_fmac_f32_e32 v11, v199, v202
	v_dual_add_f32 v9, v9, v11 :: v_dual_mul_f32 v11, v204, v209
	s_delay_alu instid0(VALU_DEP_1) | instskip(NEXT) | instid1(VALU_DEP_1)
	v_fmac_f32_e32 v11, v205, v208
	v_add_f32_e32 v9, v9, v11
	v_mul_f32_e32 v11, v206, v211
	s_delay_alu instid0(VALU_DEP_1) | instskip(NEXT) | instid1(VALU_DEP_1)
	v_fmac_f32_e32 v11, v207, v210
	v_dual_add_f32 v9, v9, v11 :: v_dual_mul_f32 v11, v212, v217
	s_delay_alu instid0(VALU_DEP_1) | instskip(NEXT) | instid1(VALU_DEP_1)
	v_fmac_f32_e32 v11, v213, v216
	v_add_f32_e32 v9, v9, v11
	v_mul_f32_e32 v11, v214, v219
	s_delay_alu instid0(VALU_DEP_1) | instskip(NEXT) | instid1(VALU_DEP_1)
	v_fmac_f32_e32 v11, v215, v218
	v_dual_add_f32 v9, v9, v11 :: v_dual_mul_f32 v11, v220, v225
	s_delay_alu instid0(VALU_DEP_1) | instskip(NEXT) | instid1(VALU_DEP_1)
	v_fmac_f32_e32 v11, v221, v224
	v_add_f32_e32 v9, v9, v11
	v_mul_f32_e32 v11, v222, v227
	s_delay_alu instid0(VALU_DEP_1) | instskip(NEXT) | instid1(VALU_DEP_1)
	v_fmac_f32_e32 v11, v223, v226
	v_dual_add_f32 v9, v9, v11 :: v_dual_mul_f32 v11, v228, v233
	s_delay_alu instid0(VALU_DEP_1) | instskip(NEXT) | instid1(VALU_DEP_1)
	v_fmac_f32_e32 v11, v229, v232
	v_add_f32_e32 v9, v9, v11
	v_mul_f32_e32 v11, v230, v235
	s_delay_alu instid0(VALU_DEP_1) | instskip(NEXT) | instid1(VALU_DEP_1)
	v_fmac_f32_e32 v11, v231, v234
	v_dual_add_f32 v9, v9, v11 :: v_dual_mul_f32 v11, v236, v241
	s_delay_alu instid0(VALU_DEP_1) | instskip(NEXT) | instid1(VALU_DEP_1)
	v_fmac_f32_e32 v11, v237, v240
	v_add_f32_e32 v9, v9, v11
	v_mul_f32_e32 v11, v238, v243
	s_delay_alu instid0(VALU_DEP_1) | instskip(NEXT) | instid1(VALU_DEP_1)
	v_fmac_f32_e32 v11, v239, v242
	v_dual_add_f32 v9, v9, v11 :: v_dual_mul_f32 v11, v244, v249
	s_delay_alu instid0(VALU_DEP_1) | instskip(NEXT) | instid1(VALU_DEP_1)
	v_fmac_f32_e32 v11, v245, v248
	v_add_f32_e32 v9, v9, v11
	v_mul_f32_e32 v11, v246, v251
	s_delay_alu instid0(VALU_DEP_1) | instskip(NEXT) | instid1(VALU_DEP_1)
	v_fmac_f32_e32 v11, v247, v250
	v_add_f32_e32 v9, v9, v11
	s_set_vgpr_msb 4                        ;  msbs: dst=0 src0=0 src1=1 src2=0
	v_mul_f32_e32 v11, v252, v1 /*v257*/
	s_delay_alu instid0(VALU_DEP_1) | instskip(SKIP_1) | instid1(VALU_DEP_1)
	v_fmac_f32_e32 v11, v253, v0 /*v256*/
	s_set_vgpr_msb 0                        ;  msbs: dst=0 src0=0 src1=0 src2=0
	v_add_f32_e32 v9, v9, v11
	s_set_vgpr_msb 4                        ;  msbs: dst=0 src0=0 src1=1 src2=0
	v_mul_f32_e32 v11, v254, v3 /*v259*/
	s_delay_alu instid0(VALU_DEP_1) | instskip(SKIP_1) | instid1(VALU_DEP_1)
	v_fmac_f32_e32 v11, v255, v2 /*v258*/
	s_set_vgpr_msb 0                        ;  msbs: dst=0 src0=0 src1=0 src2=0
	v_add_f32_e32 v9, v9, v11
	s_set_vgpr_msb 5                        ;  msbs: dst=0 src0=1 src1=1 src2=0
	v_mul_f32_e32 v11, v4 /*v260*/, v9 /*v265*/
	s_delay_alu instid0(VALU_DEP_1) | instskip(SKIP_1) | instid1(VALU_DEP_1)
	v_fmac_f32_e32 v11, v5 /*v261*/, v8 /*v264*/
	s_set_vgpr_msb 0                        ;  msbs: dst=0 src0=0 src1=0 src2=0
	v_add_f32_e32 v9, v9, v11
	s_set_vgpr_msb 5                        ;  msbs: dst=0 src0=1 src1=1 src2=0
	v_mul_f32_e32 v11, v6 /*v262*/, v11 /*v267*/
	s_delay_alu instid0(VALU_DEP_1) | instskip(SKIP_1) | instid1(VALU_DEP_1)
	v_fmac_f32_e32 v11, v7 /*v263*/, v10 /*v266*/
	s_set_vgpr_msb 0                        ;  msbs: dst=0 src0=0 src1=0 src2=0
	v_add_f32_e32 v9, v9, v11
	s_set_vgpr_msb 5                        ;  msbs: dst=0 src0=1 src1=1 src2=0
	v_mul_f32_e32 v11, v12 /*v268*/, v17 /*v273*/
	s_delay_alu instid0(VALU_DEP_1) | instskip(SKIP_1) | instid1(VALU_DEP_1)
	v_fmac_f32_e32 v11, v13 /*v269*/, v16 /*v272*/
	s_set_vgpr_msb 0                        ;  msbs: dst=0 src0=0 src1=0 src2=0
	v_add_f32_e32 v9, v9, v11
	s_set_vgpr_msb 5                        ;  msbs: dst=0 src0=1 src1=1 src2=0
	v_mul_f32_e32 v11, v14 /*v270*/, v19 /*v275*/
	s_delay_alu instid0(VALU_DEP_1) | instskip(SKIP_1) | instid1(VALU_DEP_1)
	v_fmac_f32_e32 v11, v15 /*v271*/, v18 /*v274*/
	s_set_vgpr_msb 0                        ;  msbs: dst=0 src0=0 src1=0 src2=0
	v_add_f32_e32 v9, v9, v11
	s_set_vgpr_msb 5                        ;  msbs: dst=0 src0=1 src1=1 src2=0
	v_mul_f32_e32 v11, v20 /*v276*/, v25 /*v281*/
	s_delay_alu instid0(VALU_DEP_1) | instskip(SKIP_1) | instid1(VALU_DEP_1)
	v_fmac_f32_e32 v11, v21 /*v277*/, v24 /*v280*/
	s_set_vgpr_msb 0                        ;  msbs: dst=0 src0=0 src1=0 src2=0
	v_add_f32_e32 v9, v9, v11
	s_set_vgpr_msb 5                        ;  msbs: dst=0 src0=1 src1=1 src2=0
	v_mul_f32_e32 v11, v22 /*v278*/, v27 /*v283*/
	s_delay_alu instid0(VALU_DEP_1) | instskip(SKIP_1) | instid1(VALU_DEP_1)
	v_fmac_f32_e32 v11, v23 /*v279*/, v26 /*v282*/
	s_set_vgpr_msb 0                        ;  msbs: dst=0 src0=0 src1=0 src2=0
	v_add_f32_e32 v9, v9, v11
	s_wait_dscnt 0x1
	s_set_vgpr_msb 5                        ;  msbs: dst=0 src0=1 src1=1 src2=0
	v_mul_f32_e32 v11, v28 /*v284*/, v33 /*v289*/
	s_delay_alu instid0(VALU_DEP_1) | instskip(SKIP_1) | instid1(VALU_DEP_1)
	v_fmac_f32_e32 v11, v29 /*v285*/, v32 /*v288*/
	s_set_vgpr_msb 0                        ;  msbs: dst=0 src0=0 src1=0 src2=0
	v_add_f32_e32 v9, v9, v11
	s_set_vgpr_msb 5                        ;  msbs: dst=0 src0=1 src1=1 src2=0
	v_mul_f32_e32 v11, v30 /*v286*/, v35 /*v291*/
	s_delay_alu instid0(VALU_DEP_1) | instskip(SKIP_1) | instid1(VALU_DEP_1)
	v_fmac_f32_e32 v11, v31 /*v287*/, v34 /*v290*/
	s_set_vgpr_msb 0                        ;  msbs: dst=0 src0=0 src1=0 src2=0
	v_add_f32_e32 v9, v9, v11
	s_wait_dscnt 0x0
	s_set_vgpr_msb 5                        ;  msbs: dst=0 src0=1 src1=1 src2=0
	v_mul_f32_e32 v11, v36 /*v292*/, v41 /*v297*/
	s_delay_alu instid0(VALU_DEP_1) | instskip(SKIP_1) | instid1(VALU_DEP_1)
	v_fmac_f32_e32 v11, v37 /*v293*/, v40 /*v296*/
	s_set_vgpr_msb 0                        ;  msbs: dst=0 src0=0 src1=0 src2=0
	v_add_f32_e32 v9, v9, v11
	s_set_vgpr_msb 5                        ;  msbs: dst=0 src0=1 src1=1 src2=0
	v_mul_f32_e32 v11, v38 /*v294*/, v43 /*v299*/
	s_delay_alu instid0(VALU_DEP_1) | instskip(SKIP_1) | instid1(VALU_DEP_1)
	v_fmac_f32_e32 v11, v39 /*v295*/, v42 /*v298*/
	s_set_vgpr_msb 64                       ;  msbs: dst=1 src0=0 src1=0 src2=0
	v_add_f32_e32 v69 /*v325*/, v9, v11
	s_set_vgpr_msb 0                        ;  msbs: dst=0 src0=0 src1=0 src2=0
	v_dual_mul_f32 v9, v125, v129 :: v_dual_mul_f32 v11, v127, v131
	s_delay_alu instid0(VALU_DEP_1) | instskip(NEXT) | instid1(VALU_DEP_1)
	v_dual_fma_f32 v9, v124, v128, -v9 :: v_dual_fma_f32 v11, v126, v130, -v11
	v_add_f32_e32 v9, 0, v9
	s_delay_alu instid0(VALU_DEP_1) | instskip(SKIP_1) | instid1(VALU_DEP_1)
	v_add_f32_e32 v9, v9, v11
	v_mul_f32_e32 v11, v133, v137
	v_fma_f32 v11, v132, v136, -v11
	s_delay_alu instid0(VALU_DEP_1) | instskip(SKIP_1) | instid1(VALU_DEP_1)
	v_add_f32_e32 v9, v9, v11
	v_mul_f32_e32 v11, v135, v139
	v_fma_f32 v11, v134, v138, -v11
	ds_load_2addr_b64 v[124:127], v7 offset0:115 offset1:116
	ds_load_2addr_b64 v[128:131], v7 offset0:117 offset1:118
	;; [unrolled: 1-line block ×4, first 2 shown]
	v_add_f32_e32 v9, v9, v11
	v_mul_f32_e32 v11, v141, v145
	s_delay_alu instid0(VALU_DEP_1) | instskip(NEXT) | instid1(VALU_DEP_1)
	v_fma_f32 v11, v140, v144, -v11
	v_add_f32_e32 v9, v9, v11
	v_mul_f32_e32 v11, v143, v147
	s_delay_alu instid0(VALU_DEP_1)
	v_fma_f32 v11, v142, v146, -v11
	s_wait_loadcnt_dscnt 0x303
	s_set_vgpr_msb 4                        ;  msbs: dst=0 src0=0 src1=1 src2=0
	v_pk_mul_f32 v[142:143], v[124:125], v[52:53] /*v[308:309]*/ op_sel:[1,1] op_sel_hi:[0,1]
	s_set_vgpr_msb 0                        ;  msbs: dst=0 src0=0 src1=0 src2=0
	v_add_f32_e32 v9, v9, v11
	v_mul_f32_e32 v11, v149, v153
	s_set_vgpr_msb 4                        ;  msbs: dst=0 src0=0 src1=1 src2=0
	v_pk_fma_f32 v[144:145], v[124:125], v[52:53] /*v[308:309]*/, v[142:143] neg_lo:[0,0,1] neg_hi:[0,0,1]
	v_pk_fma_f32 v[124:125], v[124:125], v[52:53] /*v[308:309]*/, v[142:143] op_sel_hi:[1,0,1]
	s_set_vgpr_msb 1                        ;  msbs: dst=0 src0=1 src1=0 src2=0
	v_mov_b32_e32 v142, v55 /*v311*/
	s_set_vgpr_msb 0                        ;  msbs: dst=0 src0=0 src1=0 src2=0
	s_delay_alu instid0(VALU_DEP_2) | instskip(NEXT) | instid1(VALU_DEP_1)
	v_dual_fma_f32 v11, v148, v152, -v11 :: v_dual_mov_b32 v145, v125
	v_add_f32_e32 v9, v9, v11
	v_mul_f32_e32 v11, v151, v155
	s_delay_alu instid0(VALU_DEP_1) | instskip(NEXT) | instid1(VALU_DEP_1)
	v_fma_f32 v11, v150, v154, -v11
	v_add_f32_e32 v9, v9, v11
	v_mul_f32_e32 v11, v157, v161
	s_delay_alu instid0(VALU_DEP_1) | instskip(NEXT) | instid1(VALU_DEP_1)
	v_fma_f32 v11, v156, v160, -v11
	v_add_f32_e32 v9, v9, v11
	v_mul_f32_e32 v11, v159, v163
	s_delay_alu instid0(VALU_DEP_1) | instskip(NEXT) | instid1(VALU_DEP_1)
	v_fma_f32 v11, v158, v162, -v11
	v_add_f32_e32 v9, v9, v11
	v_mul_f32_e32 v11, v165, v169
	s_delay_alu instid0(VALU_DEP_1) | instskip(NEXT) | instid1(VALU_DEP_1)
	v_fma_f32 v11, v164, v168, -v11
	v_add_f32_e32 v9, v9, v11
	v_mul_f32_e32 v11, v167, v171
	s_delay_alu instid0(VALU_DEP_1) | instskip(NEXT) | instid1(VALU_DEP_1)
	v_fma_f32 v11, v166, v170, -v11
	v_add_f32_e32 v9, v9, v11
	v_mul_f32_e32 v11, v173, v177
	s_delay_alu instid0(VALU_DEP_1) | instskip(NEXT) | instid1(VALU_DEP_1)
	v_fma_f32 v11, v172, v176, -v11
	v_add_f32_e32 v9, v9, v11
	v_mul_f32_e32 v11, v175, v179
	s_delay_alu instid0(VALU_DEP_1) | instskip(NEXT) | instid1(VALU_DEP_1)
	v_fma_f32 v11, v174, v178, -v11
	v_add_f32_e32 v9, v9, v11
	v_mul_f32_e32 v11, v181, v185
	s_delay_alu instid0(VALU_DEP_1) | instskip(NEXT) | instid1(VALU_DEP_1)
	v_fma_f32 v11, v180, v184, -v11
	v_add_f32_e32 v9, v9, v11
	v_mul_f32_e32 v11, v183, v187
	s_delay_alu instid0(VALU_DEP_1) | instskip(NEXT) | instid1(VALU_DEP_1)
	v_fma_f32 v11, v182, v186, -v11
	v_add_f32_e32 v9, v9, v11
	v_mul_f32_e32 v11, v189, v193
	s_delay_alu instid0(VALU_DEP_1) | instskip(NEXT) | instid1(VALU_DEP_1)
	v_fma_f32 v11, v188, v192, -v11
	v_add_f32_e32 v9, v9, v11
	v_mul_f32_e32 v11, v191, v195
	s_delay_alu instid0(VALU_DEP_1) | instskip(NEXT) | instid1(VALU_DEP_1)
	v_fma_f32 v11, v190, v194, -v11
	v_add_f32_e32 v9, v9, v11
	v_mul_f32_e32 v11, v197, v201
	s_delay_alu instid0(VALU_DEP_1) | instskip(NEXT) | instid1(VALU_DEP_1)
	v_fma_f32 v11, v196, v200, -v11
	v_add_f32_e32 v9, v9, v11
	v_mul_f32_e32 v11, v199, v203
	s_delay_alu instid0(VALU_DEP_1) | instskip(NEXT) | instid1(VALU_DEP_1)
	v_fma_f32 v11, v198, v202, -v11
	v_add_f32_e32 v9, v9, v11
	v_mul_f32_e32 v11, v205, v209
	s_delay_alu instid0(VALU_DEP_1) | instskip(NEXT) | instid1(VALU_DEP_1)
	v_fma_f32 v11, v204, v208, -v11
	v_add_f32_e32 v9, v9, v11
	v_mul_f32_e32 v11, v207, v211
	s_delay_alu instid0(VALU_DEP_1) | instskip(NEXT) | instid1(VALU_DEP_1)
	v_fma_f32 v11, v206, v210, -v11
	v_add_f32_e32 v9, v9, v11
	v_mul_f32_e32 v11, v213, v217
	s_delay_alu instid0(VALU_DEP_1) | instskip(NEXT) | instid1(VALU_DEP_1)
	v_fma_f32 v11, v212, v216, -v11
	v_add_f32_e32 v9, v9, v11
	v_mul_f32_e32 v11, v215, v219
	s_delay_alu instid0(VALU_DEP_1) | instskip(NEXT) | instid1(VALU_DEP_1)
	v_fma_f32 v11, v214, v218, -v11
	v_add_f32_e32 v9, v9, v11
	v_mul_f32_e32 v11, v221, v225
	s_delay_alu instid0(VALU_DEP_1) | instskip(NEXT) | instid1(VALU_DEP_1)
	v_fma_f32 v11, v220, v224, -v11
	v_add_f32_e32 v9, v9, v11
	v_mul_f32_e32 v11, v223, v227
	s_delay_alu instid0(VALU_DEP_1) | instskip(NEXT) | instid1(VALU_DEP_1)
	v_fma_f32 v11, v222, v226, -v11
	v_add_f32_e32 v9, v9, v11
	v_mul_f32_e32 v11, v229, v233
	s_delay_alu instid0(VALU_DEP_1) | instskip(NEXT) | instid1(VALU_DEP_1)
	v_fma_f32 v11, v228, v232, -v11
	v_add_f32_e32 v9, v9, v11
	v_mul_f32_e32 v11, v231, v235
	s_delay_alu instid0(VALU_DEP_1) | instskip(NEXT) | instid1(VALU_DEP_1)
	v_fma_f32 v11, v230, v234, -v11
	v_add_f32_e32 v9, v9, v11
	v_mul_f32_e32 v11, v237, v241
	s_delay_alu instid0(VALU_DEP_1) | instskip(NEXT) | instid1(VALU_DEP_1)
	v_fma_f32 v11, v236, v240, -v11
	v_add_f32_e32 v9, v9, v11
	v_mul_f32_e32 v11, v239, v243
	s_delay_alu instid0(VALU_DEP_1) | instskip(NEXT) | instid1(VALU_DEP_1)
	v_fma_f32 v11, v238, v242, -v11
	v_add_f32_e32 v9, v9, v11
	v_mul_f32_e32 v11, v245, v249
	s_delay_alu instid0(VALU_DEP_1) | instskip(NEXT) | instid1(VALU_DEP_1)
	v_fma_f32 v11, v244, v248, -v11
	v_add_f32_e32 v9, v9, v11
	v_mul_f32_e32 v11, v247, v251
	s_delay_alu instid0(VALU_DEP_1) | instskip(NEXT) | instid1(VALU_DEP_1)
	v_fma_f32 v11, v246, v250, -v11
	v_add_f32_e32 v9, v9, v11
	s_set_vgpr_msb 4                        ;  msbs: dst=0 src0=0 src1=1 src2=0
	v_mul_f32_e32 v11, v253, v1 /*v257*/
	s_delay_alu instid0(VALU_DEP_1) | instskip(SKIP_1) | instid1(VALU_DEP_1)
	v_fma_f32 v11, v252, v0 /*v256*/, -v11
	s_set_vgpr_msb 0                        ;  msbs: dst=0 src0=0 src1=0 src2=0
	v_add_f32_e32 v9, v9, v11
	s_set_vgpr_msb 4                        ;  msbs: dst=0 src0=0 src1=1 src2=0
	v_mul_f32_e32 v11, v255, v3 /*v259*/
	s_delay_alu instid0(VALU_DEP_1) | instskip(SKIP_1) | instid1(VALU_DEP_1)
	v_fma_f32 v11, v254, v2 /*v258*/, -v11
	s_set_vgpr_msb 0                        ;  msbs: dst=0 src0=0 src1=0 src2=0
	v_add_f32_e32 v9, v9, v11
	s_set_vgpr_msb 5                        ;  msbs: dst=0 src0=1 src1=1 src2=0
	v_mul_f32_e32 v11, v5 /*v261*/, v9 /*v265*/
	s_delay_alu instid0(VALU_DEP_1) | instskip(SKIP_1) | instid1(VALU_DEP_1)
	v_fma_f32 v11, v4 /*v260*/, v8 /*v264*/, -v11
	s_set_vgpr_msb 0                        ;  msbs: dst=0 src0=0 src1=0 src2=0
	v_add_f32_e32 v9, v9, v11
	s_set_vgpr_msb 5                        ;  msbs: dst=0 src0=1 src1=1 src2=0
	v_mul_f32_e32 v11, v7 /*v263*/, v11 /*v267*/
	s_delay_alu instid0(VALU_DEP_1) | instskip(SKIP_1) | instid1(VALU_DEP_1)
	v_fma_f32 v11, v6 /*v262*/, v10 /*v266*/, -v11
	s_set_vgpr_msb 0                        ;  msbs: dst=0 src0=0 src1=0 src2=0
	v_add_f32_e32 v9, v9, v11
	s_set_vgpr_msb 5                        ;  msbs: dst=0 src0=1 src1=1 src2=0
	v_mul_f32_e32 v11, v13 /*v269*/, v17 /*v273*/
	s_delay_alu instid0(VALU_DEP_1) | instskip(SKIP_1) | instid1(VALU_DEP_1)
	v_fma_f32 v11, v12 /*v268*/, v16 /*v272*/, -v11
	s_set_vgpr_msb 0                        ;  msbs: dst=0 src0=0 src1=0 src2=0
	v_add_f32_e32 v9, v9, v11
	s_set_vgpr_msb 5                        ;  msbs: dst=0 src0=1 src1=1 src2=0
	v_mul_f32_e32 v11, v15 /*v271*/, v19 /*v275*/
	s_delay_alu instid0(VALU_DEP_1) | instskip(SKIP_1) | instid1(VALU_DEP_1)
	v_fma_f32 v11, v14 /*v270*/, v18 /*v274*/, -v11
	s_set_vgpr_msb 0                        ;  msbs: dst=0 src0=0 src1=0 src2=0
	v_add_f32_e32 v9, v9, v11
	s_set_vgpr_msb 5                        ;  msbs: dst=0 src0=1 src1=1 src2=0
	v_mul_f32_e32 v11, v21 /*v277*/, v25 /*v281*/
	s_delay_alu instid0(VALU_DEP_1) | instskip(SKIP_1) | instid1(VALU_DEP_1)
	v_fma_f32 v11, v20 /*v276*/, v24 /*v280*/, -v11
	s_set_vgpr_msb 0                        ;  msbs: dst=0 src0=0 src1=0 src2=0
	v_add_f32_e32 v9, v9, v11
	s_set_vgpr_msb 5                        ;  msbs: dst=0 src0=1 src1=1 src2=0
	v_mul_f32_e32 v11, v23 /*v279*/, v27 /*v283*/
	s_delay_alu instid0(VALU_DEP_1) | instskip(SKIP_1) | instid1(VALU_DEP_1)
	v_fma_f32 v11, v22 /*v278*/, v26 /*v282*/, -v11
	s_set_vgpr_msb 0                        ;  msbs: dst=0 src0=0 src1=0 src2=0
	v_add_f32_e32 v9, v9, v11
	s_set_vgpr_msb 5                        ;  msbs: dst=0 src0=1 src1=1 src2=0
	v_mul_f32_e32 v11, v29 /*v285*/, v33 /*v289*/
	s_delay_alu instid0(VALU_DEP_1) | instskip(SKIP_1) | instid1(VALU_DEP_1)
	v_fma_f32 v11, v28 /*v284*/, v32 /*v288*/, -v11
	s_set_vgpr_msb 0                        ;  msbs: dst=0 src0=0 src1=0 src2=0
	v_add_f32_e32 v9, v9, v11
	s_set_vgpr_msb 5                        ;  msbs: dst=0 src0=1 src1=1 src2=0
	v_mul_f32_e32 v11, v31 /*v287*/, v35 /*v291*/
	s_delay_alu instid0(VALU_DEP_1) | instskip(SKIP_1) | instid1(VALU_DEP_1)
	v_fma_f32 v11, v30 /*v286*/, v34 /*v290*/, -v11
	s_set_vgpr_msb 0                        ;  msbs: dst=0 src0=0 src1=0 src2=0
	v_add_f32_e32 v9, v9, v11
	s_set_vgpr_msb 5                        ;  msbs: dst=0 src0=1 src1=1 src2=0
	v_mul_f32_e32 v11, v37 /*v293*/, v41 /*v297*/
	s_delay_alu instid0(VALU_DEP_1) | instskip(SKIP_1) | instid1(VALU_DEP_1)
	v_fma_f32 v11, v36 /*v292*/, v40 /*v296*/, -v11
	s_set_vgpr_msb 0                        ;  msbs: dst=0 src0=0 src1=0 src2=0
	v_add_f32_e32 v9, v9, v11
	s_set_vgpr_msb 5                        ;  msbs: dst=0 src0=1 src1=1 src2=0
	v_mul_f32_e32 v11, v39 /*v295*/, v43 /*v299*/
	s_delay_alu instid0(VALU_DEP_1) | instskip(SKIP_1) | instid1(VALU_DEP_1)
	v_fma_f32 v11, v38 /*v294*/, v42 /*v298*/, -v11
	s_set_vgpr_msb 64                       ;  msbs: dst=1 src0=0 src1=0 src2=0
	v_add_f32_e32 v68 /*v324*/, v9, v11
	s_set_vgpr_msb 5                        ;  msbs: dst=0 src0=1 src1=1 src2=0
	v_mul_f32_e32 v9, v45 /*v301*/, v49 /*v305*/
	s_set_vgpr_msb 0x45                     ;  msbs: dst=1 src0=1 src1=1 src2=0
	s_delay_alu instid0(VALU_DEP_1) | instskip(SKIP_3) | instid1(VALU_DEP_1)
	v_fma_f32 v70 /*v326*/, v44 /*v300*/, v48 /*v304*/, -v9
	s_set_vgpr_msb 5                        ;  msbs: dst=0 src0=1 src1=1 src2=0
	v_mul_f32_e32 v9, v47 /*v303*/, v51 /*v307*/
	s_set_vgpr_msb 0x45                     ;  msbs: dst=1 src0=1 src1=1 src2=0
	v_fma_f32 v72 /*v328*/, v46 /*v302*/, v50 /*v306*/, -v9
	s_set_vgpr_msb 5                        ;  msbs: dst=0 src0=1 src1=1 src2=0
	v_pk_add_f32 v[140:141], v[68:69] /*v[324:325]*/, v[70:71] /*v[326:327]*/
	s_set_vgpr_msb 4                        ;  msbs: dst=0 src0=0 src1=1 src2=0
	s_delay_alu instid0(VALU_DEP_1) | instskip(SKIP_1) | instid1(VALU_DEP_1)
	v_pk_add_f32 v[140:141], v[140:141], v[72:73] /*v[328:329]*/
	s_set_vgpr_msb 0                        ;  msbs: dst=0 src0=0 src1=0 src2=0
	v_pk_add_f32 v[124:125], v[140:141], v[144:145]
	v_dual_mov_b32 v140, v127 :: v_dual_mov_b32 v141, v126
	s_delay_alu instid0(VALU_DEP_1) | instskip(SKIP_1) | instid1(VALU_DEP_1)
	v_pk_mul_f32 v[140:141], v[140:141], v[142:143] op_sel_hi:[1,0]
	s_set_vgpr_msb 4                        ;  msbs: dst=0 src0=0 src1=1 src2=0
	v_pk_fma_f32 v[142:143], v[126:127], v[54:55] /*v[310:311]*/, v[140:141] neg_lo:[0,0,1] neg_hi:[0,0,1]
	v_pk_fma_f32 v[126:127], v[126:127], v[54:55] /*v[310:311]*/, v[140:141] op_sel_hi:[1,0,1]
	s_delay_alu instid0(VALU_DEP_1) | instskip(SKIP_3) | instid1(VALU_DEP_2)
	v_mov_b32_e32 v143, v127
	s_wait_loadcnt_dscnt 0x202
	v_pk_mul_f32 v[126:127], v[128:129], v[56:57] /*v[312:313]*/ op_sel:[1,1] op_sel_hi:[0,1]
	s_set_vgpr_msb 0                        ;  msbs: dst=0 src0=0 src1=0 src2=0
	v_pk_add_f32 v[124:125], v[124:125], v[142:143]
	s_set_vgpr_msb 4                        ;  msbs: dst=0 src0=0 src1=1 src2=0
	s_delay_alu instid0(VALU_DEP_2)
	v_pk_fma_f32 v[140:141], v[128:129], v[56:57] /*v[312:313]*/, v[126:127] neg_lo:[0,0,1] neg_hi:[0,0,1]
	v_pk_fma_f32 v[126:127], v[128:129], v[56:57] /*v[312:313]*/, v[126:127] op_sel_hi:[1,0,1]
	v_mov_b32_e32 v126, v131
	s_set_vgpr_msb 1                        ;  msbs: dst=0 src0=1 src1=0 src2=0
	v_mov_b32_e32 v128, v59 /*v315*/
	s_set_vgpr_msb 0                        ;  msbs: dst=0 src0=0 src1=0 src2=0
	v_dual_mov_b32 v141, v127 :: v_dual_mov_b32 v127, v130
	s_delay_alu instid0(VALU_DEP_1) | instskip(NEXT) | instid1(VALU_DEP_2)
	v_pk_add_f32 v[124:125], v[124:125], v[140:141]
	v_pk_mul_f32 v[126:127], v[126:127], v[128:129] op_sel_hi:[1,0]
	s_set_vgpr_msb 4                        ;  msbs: dst=0 src0=0 src1=1 src2=0
	s_delay_alu instid0(VALU_DEP_1) | instskip(SKIP_1) | instid1(VALU_DEP_1)
	v_pk_fma_f32 v[128:129], v[130:131], v[58:59] /*v[314:315]*/, v[126:127] neg_lo:[0,0,1] neg_hi:[0,0,1]
	v_pk_fma_f32 v[126:127], v[130:131], v[58:59] /*v[314:315]*/, v[126:127] op_sel_hi:[1,0,1]
	v_mov_b32_e32 v129, v127
	s_wait_loadcnt_dscnt 0x101
	v_pk_mul_f32 v[126:127], v[132:133], v[60:61] /*v[316:317]*/ op_sel:[1,1] op_sel_hi:[0,1]
	s_set_vgpr_msb 0                        ;  msbs: dst=0 src0=0 src1=0 src2=0
	s_delay_alu instid0(VALU_DEP_2) | instskip(SKIP_1) | instid1(VALU_DEP_2)
	v_pk_add_f32 v[124:125], v[124:125], v[128:129]
	s_set_vgpr_msb 4                        ;  msbs: dst=0 src0=0 src1=1 src2=0
	v_pk_fma_f32 v[128:129], v[132:133], v[60:61] /*v[316:317]*/, v[126:127] neg_lo:[0,0,1] neg_hi:[0,0,1]
	v_pk_fma_f32 v[126:127], v[132:133], v[60:61] /*v[316:317]*/, v[126:127] op_sel_hi:[1,0,1]
	s_delay_alu instid0(VALU_DEP_1) | instskip(SKIP_2) | instid1(VALU_DEP_2)
	v_dual_mov_b32 v126, v135 :: v_dual_mov_b32 v129, v127
	v_mov_b32_e32 v127, v134
	s_set_vgpr_msb 0                        ;  msbs: dst=0 src0=0 src1=0 src2=0
	v_pk_add_f32 v[124:125], v[124:125], v[128:129]
	s_set_vgpr_msb 1                        ;  msbs: dst=0 src0=1 src1=0 src2=0
	v_mov_b32_e32 v128, v63 /*v319*/
	s_set_vgpr_msb 0                        ;  msbs: dst=0 src0=0 src1=0 src2=0
	s_delay_alu instid0(VALU_DEP_1) | instskip(SKIP_1) | instid1(VALU_DEP_1)
	v_pk_mul_f32 v[126:127], v[126:127], v[128:129] op_sel_hi:[1,0]
	s_set_vgpr_msb 4                        ;  msbs: dst=0 src0=0 src1=1 src2=0
	v_pk_fma_f32 v[128:129], v[134:135], v[62:63] /*v[318:319]*/, v[126:127] neg_lo:[0,0,1] neg_hi:[0,0,1]
	v_pk_fma_f32 v[126:127], v[134:135], v[62:63] /*v[318:319]*/, v[126:127] op_sel_hi:[1,0,1]
	s_delay_alu instid0(VALU_DEP_1) | instskip(SKIP_3) | instid1(VALU_DEP_2)
	v_mov_b32_e32 v129, v127
	s_wait_loadcnt_dscnt 0x0
	v_pk_mul_f32 v[126:127], v[136:137], v[64:65] /*v[320:321]*/ op_sel:[1,1] op_sel_hi:[0,1]
	s_set_vgpr_msb 0                        ;  msbs: dst=0 src0=0 src1=0 src2=0
	v_pk_add_f32 v[124:125], v[124:125], v[128:129]
	s_set_vgpr_msb 4                        ;  msbs: dst=0 src0=0 src1=1 src2=0
	s_delay_alu instid0(VALU_DEP_2) | instskip(SKIP_1) | instid1(VALU_DEP_1)
	v_pk_fma_f32 v[128:129], v[136:137], v[64:65] /*v[320:321]*/, v[126:127] neg_lo:[0,0,1] neg_hi:[0,0,1]
	v_pk_fma_f32 v[126:127], v[136:137], v[64:65] /*v[320:321]*/, v[126:127] op_sel_hi:[1,0,1]
	v_dual_mov_b32 v126, v139 :: v_dual_mov_b32 v129, v127
	v_mov_b32_e32 v127, v138
	s_set_vgpr_msb 0                        ;  msbs: dst=0 src0=0 src1=0 src2=0
	s_delay_alu instid0(VALU_DEP_2) | instskip(SKIP_3) | instid1(VALU_DEP_1)
	v_pk_add_f32 v[124:125], v[124:125], v[128:129]
	s_set_vgpr_msb 1                        ;  msbs: dst=0 src0=1 src1=0 src2=0
	v_mov_b32_e32 v128, v67 /*v323*/
	s_set_vgpr_msb 0                        ;  msbs: dst=0 src0=0 src1=0 src2=0
	v_pk_mul_f32 v[126:127], v[126:127], v[128:129] op_sel_hi:[1,0]
	s_set_vgpr_msb 4                        ;  msbs: dst=0 src0=0 src1=1 src2=0
	s_delay_alu instid0(VALU_DEP_1) | instskip(SKIP_1) | instid1(VALU_DEP_1)
	v_pk_fma_f32 v[128:129], v[138:139], v[66:67] /*v[322:323]*/, v[126:127] neg_lo:[0,0,1] neg_hi:[0,0,1]
	v_pk_fma_f32 v[126:127], v[138:139], v[66:67] /*v[322:323]*/, v[126:127] op_sel_hi:[1,0,1]
	v_mov_b32_e32 v129, v127
	scratch_load_b64 v[126:127], off, off offset:48
	s_set_vgpr_msb 0                        ;  msbs: dst=0 src0=0 src1=0 src2=0
	v_pk_add_f32 v[124:125], v[124:125], v[128:129]
	s_wait_loadcnt 0x0
	s_delay_alu instid0(VALU_DEP_1)
	v_pk_add_f32 v[124:125], v[126:127], v[124:125] neg_lo:[0,1] neg_hi:[0,1]
	scratch_store_b64 off, v[124:125], off offset:48
	s_wait_xcnt 0x0
	v_cmpx_lt_u32_e32 5, v0
	s_cbranch_execz .LBB60_369
; %bb.368:
	scratch_load_b64 v[124:125], off, off offset:40
	v_mov_b64_e32 v[126:127], 0
	scratch_store_b64 off, v[126:127], off offset:40
	s_wait_loadcnt 0x0
	ds_store_b64 v1, v[124:125]
.LBB60_369:
	s_wait_xcnt 0x0
	s_or_b32 exec_lo, exec_lo, s0
	v_mov_b32_e32 v7, 0
	s_wait_storecnt_dscnt 0x0
	s_barrier_signal -1
	s_barrier_wait -1
	ds_load_b128 v[124:127], v7 offset:544
	ds_load_b128 v[128:131], v7 offset:560
	;; [unrolled: 1-line block ×4, first 2 shown]
	s_clause 0x18
	scratch_load_b128 v[140:143], off, off offset:48
	scratch_load_b128 v[144:147], off, off offset:64
	;; [unrolled: 1-line block ×16, first 2 shown]
	s_set_vgpr_msb 64                       ;  msbs: dst=1 src0=0 src1=0 src2=0
	scratch_load_b128 v[0:3] /*v[256:259]*/, off, off offset:304
	scratch_load_b128 v[8:11] /*v[264:267]*/, off, off offset:320
	;; [unrolled: 1-line block ×8, first 2 shown]
	s_mov_b32 s0, exec_lo
	s_wait_loadcnt_dscnt 0x1703
	s_set_vgpr_msb 0                        ;  msbs: dst=0 src0=0 src1=0 src2=0
	v_mul_f32_e32 v9, v124, v141
	ds_load_b128 v[156:159], v7 offset:608
	ds_load_b128 v[164:167], v7 offset:624
	;; [unrolled: 1-line block ×4, first 2 shown]
	v_dual_fmac_f32 v9, v125, v140 :: v_dual_mul_f32 v11, v126, v143
	ds_load_b128 v[188:191], v7 offset:672
	ds_load_b128 v[196:199], v7 offset:688
	;; [unrolled: 1-line block ×4, first 2 shown]
	v_dual_add_f32 v9, 0, v9 :: v_dual_fmac_f32 v11, v127, v142
	ds_load_b128 v[220:223], v7 offset:736
	ds_load_b128 v[228:231], v7 offset:752
	;; [unrolled: 1-line block ×4, first 2 shown]
	s_wait_loadcnt_dscnt 0x160e
	v_dual_add_f32 v9, v9, v11 :: v_dual_mul_f32 v11, v128, v145
	ds_load_b128 v[252:255], v7 offset:800
	s_set_vgpr_msb 64                       ;  msbs: dst=1 src0=0 src1=0 src2=0
	ds_load_b128 v[4:7] /*v[260:263]*/, v7 offset:816
	ds_load_b128 v[12:15] /*v[268:271]*/, v7 offset:832
	;; [unrolled: 1-line block ×3, first 2 shown]
	s_set_vgpr_msb 0                        ;  msbs: dst=0 src0=0 src1=0 src2=0
	v_fmac_f32_e32 v11, v129, v144
	s_set_vgpr_msb 64                       ;  msbs: dst=1 src0=0 src1=0 src2=0
	ds_load_b128 v[44:47] /*v[300:303]*/, v7 offset:896
	ds_load_b128 v[52:55] /*v[308:311]*/, v7 offset:912
	;; [unrolled: 1-line block ×4, first 2 shown]
	s_set_vgpr_msb 0                        ;  msbs: dst=0 src0=0 src1=0 src2=0
	v_add_f32_e32 v9, v9, v11
	v_mul_f32_e32 v11, v130, v147
	s_set_vgpr_msb 64                       ;  msbs: dst=1 src0=0 src1=0 src2=0
	s_clause 0x3
	scratch_load_b128 v[60:63] /*v[316:319]*/, off, off offset:432
	scratch_load_b128 v[64:67] /*v[320:323]*/, off, off offset:448
	;; [unrolled: 1-line block ×3, first 2 shown]
	scratch_load_b64 v[78:79] /*v[334:335]*/, off, off offset:480
	s_set_vgpr_msb 0                        ;  msbs: dst=0 src0=0 src1=0 src2=0
	v_fmac_f32_e32 v11, v131, v146
	s_wait_loadcnt_dscnt 0x1915
	s_delay_alu instid0(VALU_DEP_1)
	v_dual_add_f32 v9, v9, v11 :: v_dual_mul_f32 v11, v132, v149
	s_wait_loadcnt_dscnt 0x402
	s_set_vgpr_msb 0x45                     ;  msbs: dst=1 src0=1 src1=1 src2=0
	v_dual_mul_f32 v75 /*v331*/, v46 /*v302*/, v51 /*v307*/ :: v_dual_mul_f32 v77 /*v333*/, v52 /*v308*/, v57 /*v313*/
	s_set_vgpr_msb 0                        ;  msbs: dst=0 src0=0 src1=0 src2=0
	v_fmac_f32_e32 v11, v133, v148
	s_set_vgpr_msb 0x45                     ;  msbs: dst=1 src0=1 src1=1 src2=0
	s_delay_alu instid0(VALU_DEP_2) | instskip(SKIP_1) | instid1(VALU_DEP_2)
	v_dual_fmac_f32 v75 /*v331*/, v47 /*v303*/, v50 /*v306*/ :: v_dual_fmac_f32 v77 /*v333*/, v53 /*v309*/, v56 /*v312*/
	s_set_vgpr_msb 0                        ;  msbs: dst=0 src0=0 src1=0 src2=0
	v_add_f32_e32 v9, v9, v11
	v_mul_f32_e32 v11, v134, v151
	s_delay_alu instid0(VALU_DEP_1) | instskip(NEXT) | instid1(VALU_DEP_1)
	v_fmac_f32_e32 v11, v135, v150
	v_dual_add_f32 v9, v9, v11 :: v_dual_mul_f32 v11, v136, v153
	s_delay_alu instid0(VALU_DEP_1) | instskip(NEXT) | instid1(VALU_DEP_1)
	v_fmac_f32_e32 v11, v137, v152
	v_add_f32_e32 v9, v9, v11
	v_mul_f32_e32 v11, v138, v155
	s_delay_alu instid0(VALU_DEP_1) | instskip(NEXT) | instid1(VALU_DEP_1)
	v_fmac_f32_e32 v11, v139, v154
	v_dual_add_f32 v9, v9, v11 :: v_dual_mul_f32 v11, v156, v161
	s_delay_alu instid0(VALU_DEP_1) | instskip(NEXT) | instid1(VALU_DEP_1)
	v_fmac_f32_e32 v11, v157, v160
	;; [unrolled: 7-line block ×13, first 2 shown]
	v_add_f32_e32 v9, v9, v11
	v_mul_f32_e32 v11, v246, v251
	s_delay_alu instid0(VALU_DEP_1) | instskip(NEXT) | instid1(VALU_DEP_1)
	v_fmac_f32_e32 v11, v247, v250
	v_add_f32_e32 v9, v9, v11
	s_set_vgpr_msb 4                        ;  msbs: dst=0 src0=0 src1=1 src2=0
	v_mul_f32_e32 v11, v252, v1 /*v257*/
	s_delay_alu instid0(VALU_DEP_1) | instskip(SKIP_1) | instid1(VALU_DEP_1)
	v_fmac_f32_e32 v11, v253, v0 /*v256*/
	s_set_vgpr_msb 0                        ;  msbs: dst=0 src0=0 src1=0 src2=0
	v_add_f32_e32 v9, v9, v11
	s_set_vgpr_msb 4                        ;  msbs: dst=0 src0=0 src1=1 src2=0
	v_mul_f32_e32 v11, v254, v3 /*v259*/
	s_delay_alu instid0(VALU_DEP_1) | instskip(SKIP_1) | instid1(VALU_DEP_1)
	v_fmac_f32_e32 v11, v255, v2 /*v258*/
	s_set_vgpr_msb 0                        ;  msbs: dst=0 src0=0 src1=0 src2=0
	v_add_f32_e32 v9, v9, v11
	s_set_vgpr_msb 5                        ;  msbs: dst=0 src0=1 src1=1 src2=0
	v_mul_f32_e32 v11, v4 /*v260*/, v9 /*v265*/
	s_delay_alu instid0(VALU_DEP_1) | instskip(SKIP_1) | instid1(VALU_DEP_1)
	v_fmac_f32_e32 v11, v5 /*v261*/, v8 /*v264*/
	s_set_vgpr_msb 0                        ;  msbs: dst=0 src0=0 src1=0 src2=0
	v_add_f32_e32 v9, v9, v11
	s_set_vgpr_msb 5                        ;  msbs: dst=0 src0=1 src1=1 src2=0
	v_mul_f32_e32 v11, v6 /*v262*/, v11 /*v267*/
	s_delay_alu instid0(VALU_DEP_1) | instskip(SKIP_1) | instid1(VALU_DEP_1)
	v_fmac_f32_e32 v11, v7 /*v263*/, v10 /*v266*/
	;; [unrolled: 6-line block ×6, first 2 shown]
	s_set_vgpr_msb 0                        ;  msbs: dst=0 src0=0 src1=0 src2=0
	v_add_f32_e32 v9, v9, v11
	s_wait_dscnt 0x1
	s_set_vgpr_msb 5                        ;  msbs: dst=0 src0=1 src1=1 src2=0
	v_mul_f32_e32 v11, v28 /*v284*/, v33 /*v289*/
	s_delay_alu instid0(VALU_DEP_1) | instskip(SKIP_1) | instid1(VALU_DEP_1)
	v_fmac_f32_e32 v11, v29 /*v285*/, v32 /*v288*/
	s_set_vgpr_msb 0                        ;  msbs: dst=0 src0=0 src1=0 src2=0
	v_add_f32_e32 v9, v9, v11
	s_set_vgpr_msb 5                        ;  msbs: dst=0 src0=1 src1=1 src2=0
	v_mul_f32_e32 v11, v30 /*v286*/, v35 /*v291*/
	s_delay_alu instid0(VALU_DEP_1) | instskip(SKIP_1) | instid1(VALU_DEP_1)
	v_fmac_f32_e32 v11, v31 /*v287*/, v34 /*v290*/
	s_set_vgpr_msb 0                        ;  msbs: dst=0 src0=0 src1=0 src2=0
	v_add_f32_e32 v9, v9, v11
	s_wait_dscnt 0x0
	s_set_vgpr_msb 5                        ;  msbs: dst=0 src0=1 src1=1 src2=0
	v_mul_f32_e32 v11, v36 /*v292*/, v41 /*v297*/
	s_delay_alu instid0(VALU_DEP_1) | instskip(SKIP_1) | instid1(VALU_DEP_1)
	v_fmac_f32_e32 v11, v37 /*v293*/, v40 /*v296*/
	s_set_vgpr_msb 0                        ;  msbs: dst=0 src0=0 src1=0 src2=0
	v_add_f32_e32 v9, v9, v11
	s_set_vgpr_msb 5                        ;  msbs: dst=0 src0=1 src1=1 src2=0
	v_mul_f32_e32 v11, v38 /*v294*/, v43 /*v299*/
	s_delay_alu instid0(VALU_DEP_1) | instskip(SKIP_1) | instid1(VALU_DEP_1)
	v_fmac_f32_e32 v11, v39 /*v295*/, v42 /*v298*/
	s_set_vgpr_msb 0                        ;  msbs: dst=0 src0=0 src1=0 src2=0
	v_add_f32_e32 v9, v9, v11
	s_set_vgpr_msb 5                        ;  msbs: dst=0 src0=1 src1=1 src2=0
	v_mul_f32_e32 v11, v44 /*v300*/, v49 /*v305*/
	s_delay_alu instid0(VALU_DEP_1) | instskip(SKIP_1) | instid1(VALU_DEP_1)
	v_fmac_f32_e32 v11, v45 /*v301*/, v48 /*v304*/
	s_set_vgpr_msb 64                       ;  msbs: dst=1 src0=0 src1=0 src2=0
	v_add_f32_e32 v73 /*v329*/, v9, v11
	s_set_vgpr_msb 0                        ;  msbs: dst=0 src0=0 src1=0 src2=0
	v_dual_mul_f32 v9, v125, v141 :: v_dual_mul_f32 v11, v127, v143
	s_set_vgpr_msb 1                        ;  msbs: dst=0 src0=1 src1=0 src2=0
	v_mov_b32_e32 v141, v54 /*v310*/
	s_set_vgpr_msb 0                        ;  msbs: dst=0 src0=0 src1=0 src2=0
	s_delay_alu instid0(VALU_DEP_2) | instskip(SKIP_2) | instid1(VALU_DEP_2)
	v_dual_fma_f32 v9, v124, v140, -v9 :: v_dual_fma_f32 v11, v126, v142, -v11
	s_set_vgpr_msb 1                        ;  msbs: dst=0 src0=1 src1=0 src2=0
	v_dual_mov_b32 v140, v55 /*v311*/ :: v_dual_mov_b32 v142, v59 /*v315*/
	v_add_f32_e32 v9, 0, v9
	s_set_vgpr_msb 0                        ;  msbs: dst=0 src0=0 src1=0 src2=0
	s_delay_alu instid0(VALU_DEP_2) | instskip(NEXT) | instid1(VALU_DEP_2)
	v_pk_mul_f32 v[140:141], v[140:141], v[142:143] op_sel_hi:[1,0]
	v_add_f32_e32 v9, v9, v11
	v_mul_f32_e32 v11, v129, v145
	s_set_vgpr_msb 5                        ;  msbs: dst=0 src0=1 src1=1 src2=0
	s_delay_alu instid0(VALU_DEP_3) | instskip(SKIP_2) | instid1(VALU_DEP_1)
	v_pk_fma_f32 v[142:143], v[54:55] /*v[310:311]*/, v[58:59] /*v[314:315]*/, v[140:141] neg_lo:[0,0,1] neg_hi:[0,0,1]
	v_pk_fma_f32 v[140:141], v[54:55] /*v[310:311]*/, v[58:59] /*v[314:315]*/, v[140:141] op_sel_hi:[1,0,1]
	s_set_vgpr_msb 0                        ;  msbs: dst=0 src0=0 src1=0 src2=0
	v_dual_fma_f32 v11, v128, v144, -v11 :: v_dual_mov_b32 v143, v141
	s_delay_alu instid0(VALU_DEP_1) | instskip(SKIP_1) | instid1(VALU_DEP_1)
	v_add_f32_e32 v9, v9, v11
	v_mul_f32_e32 v11, v131, v147
	v_fma_f32 v11, v130, v146, -v11
	s_delay_alu instid0(VALU_DEP_1) | instskip(SKIP_1) | instid1(VALU_DEP_1)
	v_add_f32_e32 v9, v9, v11
	v_mul_f32_e32 v11, v133, v149
	v_fma_f32 v11, v132, v148, -v11
	;; [unrolled: 4-line block ×4, first 2 shown]
	ds_load_b128 v[124:127], v7 offset:928
	ds_load_b128 v[128:131], v7 offset:944
	;; [unrolled: 1-line block ×3, first 2 shown]
	ds_load_b64 v[136:137], v7 offset:976
	v_add_f32_e32 v9, v9, v11
	v_mul_f32_e32 v11, v139, v155
	s_delay_alu instid0(VALU_DEP_1) | instskip(NEXT) | instid1(VALU_DEP_1)
	v_fma_f32 v11, v138, v154, -v11
	v_add_f32_e32 v9, v9, v11
	v_mul_f32_e32 v11, v157, v161
	s_wait_loadcnt_dscnt 0x303
	s_set_vgpr_msb 4                        ;  msbs: dst=0 src0=0 src1=1 src2=0
	v_pk_mul_f32 v[140:141], v[124:125], v[60:61] /*v[316:317]*/ op_sel:[1,1] op_sel_hi:[0,1]
	s_set_vgpr_msb 0                        ;  msbs: dst=0 src0=0 src1=0 src2=0
	v_fma_f32 v11, v156, v160, -v11
	s_delay_alu instid0(VALU_DEP_1) | instskip(SKIP_1) | instid1(VALU_DEP_1)
	v_add_f32_e32 v9, v9, v11
	v_mul_f32_e32 v11, v159, v163
	v_fma_f32 v11, v158, v162, -v11
	s_delay_alu instid0(VALU_DEP_1) | instskip(SKIP_1) | instid1(VALU_DEP_1)
	v_add_f32_e32 v9, v9, v11
	v_mul_f32_e32 v11, v165, v169
	;; [unrolled: 4-line block ×23, first 2 shown]
	v_fma_f32 v11, v246, v250, -v11
	s_delay_alu instid0(VALU_DEP_1) | instskip(SKIP_2) | instid1(VALU_DEP_1)
	v_add_f32_e32 v9, v9, v11
	s_set_vgpr_msb 4                        ;  msbs: dst=0 src0=0 src1=1 src2=0
	v_mul_f32_e32 v11, v253, v1 /*v257*/
	v_fma_f32 v11, v252, v0 /*v256*/, -v11
	s_set_vgpr_msb 0                        ;  msbs: dst=0 src0=0 src1=0 src2=0
	s_delay_alu instid0(VALU_DEP_1) | instskip(SKIP_2) | instid1(VALU_DEP_1)
	v_add_f32_e32 v9, v9, v11
	s_set_vgpr_msb 4                        ;  msbs: dst=0 src0=0 src1=1 src2=0
	v_mul_f32_e32 v11, v255, v3 /*v259*/
	v_fma_f32 v11, v254, v2 /*v258*/, -v11
	s_set_vgpr_msb 0                        ;  msbs: dst=0 src0=0 src1=0 src2=0
	s_delay_alu instid0(VALU_DEP_1) | instskip(SKIP_2) | instid1(VALU_DEP_1)
	v_add_f32_e32 v9, v9, v11
	s_set_vgpr_msb 5                        ;  msbs: dst=0 src0=1 src1=1 src2=0
	v_mul_f32_e32 v11, v5 /*v261*/, v9 /*v265*/
	v_fma_f32 v11, v4 /*v260*/, v8 /*v264*/, -v11
	s_set_vgpr_msb 0                        ;  msbs: dst=0 src0=0 src1=0 src2=0
	s_delay_alu instid0(VALU_DEP_1) | instskip(SKIP_2) | instid1(VALU_DEP_1)
	v_add_f32_e32 v9, v9, v11
	s_set_vgpr_msb 5                        ;  msbs: dst=0 src0=1 src1=1 src2=0
	v_mul_f32_e32 v11, v7 /*v263*/, v11 /*v267*/
	v_fma_f32 v11, v6 /*v262*/, v10 /*v266*/, -v11
	;; [unrolled: 6-line block ×11, first 2 shown]
	s_set_vgpr_msb 64                       ;  msbs: dst=1 src0=0 src1=0 src2=0
	s_delay_alu instid0(VALU_DEP_1) | instskip(SKIP_3) | instid1(VALU_DEP_1)
	v_add_f32_e32 v72 /*v328*/, v9, v11
	s_set_vgpr_msb 5                        ;  msbs: dst=0 src0=1 src1=1 src2=0
	v_mul_f32_e32 v9, v47 /*v303*/, v51 /*v307*/
	s_set_vgpr_msb 0x45                     ;  msbs: dst=1 src0=1 src1=1 src2=0
	v_fma_f32 v74 /*v330*/, v46 /*v302*/, v50 /*v306*/, -v9
	s_set_vgpr_msb 5                        ;  msbs: dst=0 src0=1 src1=1 src2=0
	v_mul_f32_e32 v9, v53 /*v309*/, v57 /*v313*/
	s_set_vgpr_msb 0x45                     ;  msbs: dst=1 src0=1 src1=1 src2=0
	s_delay_alu instid0(VALU_DEP_1) | instskip(SKIP_3) | instid1(VALU_DEP_1)
	v_fma_f32 v76 /*v332*/, v52 /*v308*/, v56 /*v312*/, -v9
	s_set_vgpr_msb 5                        ;  msbs: dst=0 src0=1 src1=1 src2=0
	v_pk_add_f32 v[138:139], v[72:73] /*v[328:329]*/, v[74:75] /*v[330:331]*/
	s_set_vgpr_msb 4                        ;  msbs: dst=0 src0=0 src1=1 src2=0
	v_pk_add_f32 v[138:139], v[138:139], v[76:77] /*v[332:333]*/
	s_set_vgpr_msb 0                        ;  msbs: dst=0 src0=0 src1=0 src2=0
	s_delay_alu instid0(VALU_DEP_1)
	v_pk_add_f32 v[138:139], v[138:139], v[142:143]
	s_set_vgpr_msb 4                        ;  msbs: dst=0 src0=0 src1=1 src2=0
	v_pk_fma_f32 v[142:143], v[124:125], v[60:61] /*v[316:317]*/, v[140:141] neg_lo:[0,0,1] neg_hi:[0,0,1]
	v_pk_fma_f32 v[124:125], v[124:125], v[60:61] /*v[316:317]*/, v[140:141] op_sel_hi:[1,0,1]
	s_set_vgpr_msb 1                        ;  msbs: dst=0 src0=1 src1=0 src2=0
	v_mov_b32_e32 v140, v63 /*v319*/
	s_set_vgpr_msb 0                        ;  msbs: dst=0 src0=0 src1=0 src2=0
	s_delay_alu instid0(VALU_DEP_2) | instskip(NEXT) | instid1(VALU_DEP_1)
	v_mov_b32_e32 v143, v125
	v_pk_add_f32 v[124:125], v[138:139], v[142:143]
	v_dual_mov_b32 v138, v127 :: v_dual_mov_b32 v139, v126
	s_delay_alu instid0(VALU_DEP_1) | instskip(SKIP_1) | instid1(VALU_DEP_1)
	v_pk_mul_f32 v[138:139], v[138:139], v[140:141] op_sel_hi:[1,0]
	s_set_vgpr_msb 4                        ;  msbs: dst=0 src0=0 src1=1 src2=0
	v_pk_fma_f32 v[140:141], v[126:127], v[62:63] /*v[318:319]*/, v[138:139] neg_lo:[0,0,1] neg_hi:[0,0,1]
	v_pk_fma_f32 v[126:127], v[126:127], v[62:63] /*v[318:319]*/, v[138:139] op_sel_hi:[1,0,1]
	s_delay_alu instid0(VALU_DEP_1) | instskip(SKIP_3) | instid1(VALU_DEP_2)
	v_mov_b32_e32 v141, v127
	s_wait_loadcnt_dscnt 0x202
	v_pk_mul_f32 v[126:127], v[128:129], v[64:65] /*v[320:321]*/ op_sel:[1,1] op_sel_hi:[0,1]
	s_set_vgpr_msb 0                        ;  msbs: dst=0 src0=0 src1=0 src2=0
	v_pk_add_f32 v[124:125], v[124:125], v[140:141]
	s_set_vgpr_msb 4                        ;  msbs: dst=0 src0=0 src1=1 src2=0
	s_delay_alu instid0(VALU_DEP_2)
	v_pk_fma_f32 v[138:139], v[128:129], v[64:65] /*v[320:321]*/, v[126:127] neg_lo:[0,0,1] neg_hi:[0,0,1]
	v_pk_fma_f32 v[126:127], v[128:129], v[64:65] /*v[320:321]*/, v[126:127] op_sel_hi:[1,0,1]
	v_mov_b32_e32 v126, v131
	s_set_vgpr_msb 1                        ;  msbs: dst=0 src0=1 src1=0 src2=0
	v_mov_b32_e32 v128, v67 /*v323*/
	s_set_vgpr_msb 0                        ;  msbs: dst=0 src0=0 src1=0 src2=0
	v_dual_mov_b32 v139, v127 :: v_dual_mov_b32 v127, v130
	s_delay_alu instid0(VALU_DEP_1) | instskip(NEXT) | instid1(VALU_DEP_2)
	v_pk_add_f32 v[124:125], v[124:125], v[138:139]
	v_pk_mul_f32 v[126:127], v[126:127], v[128:129] op_sel_hi:[1,0]
	s_set_vgpr_msb 4                        ;  msbs: dst=0 src0=0 src1=1 src2=0
	s_delay_alu instid0(VALU_DEP_1) | instskip(SKIP_1) | instid1(VALU_DEP_1)
	v_pk_fma_f32 v[128:129], v[130:131], v[66:67] /*v[322:323]*/, v[126:127] neg_lo:[0,0,1] neg_hi:[0,0,1]
	v_pk_fma_f32 v[126:127], v[130:131], v[66:67] /*v[322:323]*/, v[126:127] op_sel_hi:[1,0,1]
	v_mov_b32_e32 v129, v127
	s_wait_loadcnt_dscnt 0x101
	v_pk_mul_f32 v[126:127], v[132:133], v[68:69] /*v[324:325]*/ op_sel:[1,1] op_sel_hi:[0,1]
	s_set_vgpr_msb 0                        ;  msbs: dst=0 src0=0 src1=0 src2=0
	s_delay_alu instid0(VALU_DEP_2) | instskip(SKIP_1) | instid1(VALU_DEP_2)
	v_pk_add_f32 v[124:125], v[124:125], v[128:129]
	s_set_vgpr_msb 4                        ;  msbs: dst=0 src0=0 src1=1 src2=0
	v_pk_fma_f32 v[128:129], v[132:133], v[68:69] /*v[324:325]*/, v[126:127] neg_lo:[0,0,1] neg_hi:[0,0,1]
	v_pk_fma_f32 v[126:127], v[132:133], v[68:69] /*v[324:325]*/, v[126:127] op_sel_hi:[1,0,1]
	s_delay_alu instid0(VALU_DEP_1) | instskip(SKIP_2) | instid1(VALU_DEP_2)
	v_dual_mov_b32 v126, v135 :: v_dual_mov_b32 v129, v127
	v_mov_b32_e32 v127, v134
	s_set_vgpr_msb 0                        ;  msbs: dst=0 src0=0 src1=0 src2=0
	v_pk_add_f32 v[124:125], v[124:125], v[128:129]
	s_set_vgpr_msb 1                        ;  msbs: dst=0 src0=1 src1=0 src2=0
	v_mov_b32_e32 v128, v71 /*v327*/
	s_set_vgpr_msb 0                        ;  msbs: dst=0 src0=0 src1=0 src2=0
	s_delay_alu instid0(VALU_DEP_1) | instskip(SKIP_1) | instid1(VALU_DEP_1)
	v_pk_mul_f32 v[126:127], v[126:127], v[128:129] op_sel_hi:[1,0]
	s_set_vgpr_msb 4                        ;  msbs: dst=0 src0=0 src1=1 src2=0
	v_pk_fma_f32 v[128:129], v[134:135], v[70:71] /*v[326:327]*/, v[126:127] neg_lo:[0,0,1] neg_hi:[0,0,1]
	v_pk_fma_f32 v[126:127], v[134:135], v[70:71] /*v[326:327]*/, v[126:127] op_sel_hi:[1,0,1]
	s_delay_alu instid0(VALU_DEP_1) | instskip(SKIP_3) | instid1(VALU_DEP_2)
	v_mov_b32_e32 v129, v127
	s_wait_loadcnt_dscnt 0x0
	v_pk_mul_f32 v[126:127], v[136:137], v[78:79] /*v[334:335]*/ op_sel:[1,1] op_sel_hi:[0,1]
	s_set_vgpr_msb 0                        ;  msbs: dst=0 src0=0 src1=0 src2=0
	v_pk_add_f32 v[124:125], v[124:125], v[128:129]
	s_set_vgpr_msb 4                        ;  msbs: dst=0 src0=0 src1=1 src2=0
	s_delay_alu instid0(VALU_DEP_2) | instskip(SKIP_1) | instid1(VALU_DEP_1)
	v_pk_fma_f32 v[128:129], v[136:137], v[78:79] /*v[334:335]*/, v[126:127] neg_lo:[0,0,1] neg_hi:[0,0,1]
	v_pk_fma_f32 v[126:127], v[136:137], v[78:79] /*v[334:335]*/, v[126:127] op_sel_hi:[1,0,1]
	v_mov_b32_e32 v129, v127
	scratch_load_b64 v[126:127], off, off offset:40
	s_set_vgpr_msb 0                        ;  msbs: dst=0 src0=0 src1=0 src2=0
	v_pk_add_f32 v[124:125], v[124:125], v[128:129]
	s_wait_loadcnt 0x0
	s_delay_alu instid0(VALU_DEP_1)
	v_pk_add_f32 v[124:125], v[126:127], v[124:125] neg_lo:[0,1] neg_hi:[0,1]
	scratch_store_b64 off, v[124:125], off offset:40
	s_wait_xcnt 0x0
	v_cmpx_lt_u32_e32 4, v0
	s_cbranch_execz .LBB60_371
; %bb.370:
	scratch_load_b64 v[124:125], off, off offset:32
	v_mov_b64_e32 v[126:127], 0
	scratch_store_b64 off, v[126:127], off offset:32
	s_wait_loadcnt 0x0
	ds_store_b64 v1, v[124:125]
.LBB60_371:
	s_wait_xcnt 0x0
	s_or_b32 exec_lo, exec_lo, s0
	s_wait_storecnt_dscnt 0x0
	s_barrier_signal -1
	s_barrier_wait -1
	s_clause 0xf
	scratch_load_b128 v[128:131], off, off offset:40
	scratch_load_b128 v[136:139], off, off offset:56
	;; [unrolled: 1-line block ×16, first 2 shown]
	ds_load_2addr_b64 v[124:127], v7 offset0:67 offset1:68
	ds_load_2addr_b64 v[132:135], v7 offset0:69 offset1:70
	s_set_vgpr_msb 64                       ;  msbs: dst=1 src0=0 src1=0 src2=0
	s_clause 0x1
	scratch_load_b128 v[0:3] /*v[256:259]*/, off, off offset:296
	scratch_load_b128 v[8:11] /*v[264:267]*/, off, off offset:312
	s_set_vgpr_msb 0                        ;  msbs: dst=0 src0=0 src1=0 src2=0
	ds_load_2addr_b64 v[140:143], v7 offset0:71 offset1:72
	ds_load_2addr_b64 v[148:151], v7 offset0:73 offset1:74
	s_set_vgpr_msb 64                       ;  msbs: dst=1 src0=0 src1=0 src2=0
	s_clause 0x1
	scratch_load_b128 v[16:19] /*v[272:275]*/, off, off offset:328
	scratch_load_b128 v[24:27] /*v[280:283]*/, off, off offset:344
	s_set_vgpr_msb 0                        ;  msbs: dst=0 src0=0 src1=0 src2=0
	;; [unrolled: 7-line block ×4, first 2 shown]
	ds_load_2addr_b64 v[188:191], v7 offset0:83 offset1:84
	ds_load_2addr_b64 v[196:199], v7 offset0:85 offset1:86
	;; [unrolled: 1-line block ×9, first 2 shown]
	s_set_vgpr_msb 64                       ;  msbs: dst=1 src0=0 src1=0 src2=0
	ds_load_2addr_b64 v[4:7] /*v[260:263]*/, v7 offset0:101 offset1:102
	ds_load_2addr_b64 v[12:15] /*v[268:271]*/, v7 offset0:103 offset1:104
	;; [unrolled: 1-line block ×7, first 2 shown]
	s_clause 0x3
	scratch_load_b128 v[60:63] /*v[316:319]*/, off, off offset:424
	scratch_load_b128 v[64:67] /*v[320:323]*/, off, off offset:440
	;; [unrolled: 1-line block ×4, first 2 shown]
	s_mov_b32 s0, exec_lo
	s_wait_loadcnt_dscnt 0x1b17
	s_set_vgpr_msb 0                        ;  msbs: dst=0 src0=0 src1=0 src2=0
	v_dual_mul_f32 v9, v124, v129 :: v_dual_mul_f32 v11, v126, v131
	s_delay_alu instid0(VALU_DEP_1) | instskip(NEXT) | instid1(VALU_DEP_1)
	v_dual_fmac_f32 v9, v125, v128 :: v_dual_fmac_f32 v11, v127, v130
	v_add_f32_e32 v9, 0, v9
	s_wait_loadcnt_dscnt 0x1a16
	s_delay_alu instid0(VALU_DEP_1) | instskip(NEXT) | instid1(VALU_DEP_1)
	v_dual_add_f32 v9, v9, v11 :: v_dual_mul_f32 v11, v132, v137
	v_fmac_f32_e32 v11, v133, v136
	s_delay_alu instid0(VALU_DEP_1)
	v_add_f32_e32 v9, v9, v11
	v_mul_f32_e32 v11, v134, v139
	s_wait_loadcnt_dscnt 0x402
	s_set_vgpr_msb 0x45                     ;  msbs: dst=1 src0=1 src1=1 src2=0
	v_dual_mul_f32 v79 /*v335*/, v52 /*v308*/, v57 /*v313*/ :: v_dual_mul_f32 v81 /*v337*/, v54 /*v310*/, v59 /*v315*/
	s_set_vgpr_msb 0                        ;  msbs: dst=0 src0=0 src1=0 src2=0
	v_fmac_f32_e32 v11, v135, v138
	s_set_vgpr_msb 0x45                     ;  msbs: dst=1 src0=1 src1=1 src2=0
	s_delay_alu instid0(VALU_DEP_2) | instskip(SKIP_1) | instid1(VALU_DEP_2)
	v_dual_fmac_f32 v79 /*v335*/, v53 /*v309*/, v56 /*v312*/ :: v_dual_fmac_f32 v81 /*v337*/, v55 /*v311*/, v58 /*v314*/
	s_set_vgpr_msb 0                        ;  msbs: dst=0 src0=0 src1=0 src2=0
	v_dual_add_f32 v9, v9, v11 :: v_dual_mul_f32 v11, v140, v145
	s_delay_alu instid0(VALU_DEP_1) | instskip(NEXT) | instid1(VALU_DEP_1)
	v_fmac_f32_e32 v11, v141, v144
	v_add_f32_e32 v9, v9, v11
	v_mul_f32_e32 v11, v142, v147
	s_delay_alu instid0(VALU_DEP_1) | instskip(NEXT) | instid1(VALU_DEP_1)
	v_fmac_f32_e32 v11, v143, v146
	v_dual_add_f32 v9, v9, v11 :: v_dual_mul_f32 v11, v148, v153
	s_delay_alu instid0(VALU_DEP_1) | instskip(NEXT) | instid1(VALU_DEP_1)
	v_fmac_f32_e32 v11, v149, v152
	v_add_f32_e32 v9, v9, v11
	v_mul_f32_e32 v11, v150, v155
	s_delay_alu instid0(VALU_DEP_1) | instskip(NEXT) | instid1(VALU_DEP_1)
	v_fmac_f32_e32 v11, v151, v154
	;; [unrolled: 7-line block ×14, first 2 shown]
	v_add_f32_e32 v9, v9, v11
	s_set_vgpr_msb 4                        ;  msbs: dst=0 src0=0 src1=1 src2=0
	v_mul_f32_e32 v11, v252, v1 /*v257*/
	s_delay_alu instid0(VALU_DEP_1) | instskip(SKIP_1) | instid1(VALU_DEP_1)
	v_fmac_f32_e32 v11, v253, v0 /*v256*/
	s_set_vgpr_msb 0                        ;  msbs: dst=0 src0=0 src1=0 src2=0
	v_add_f32_e32 v9, v9, v11
	s_set_vgpr_msb 4                        ;  msbs: dst=0 src0=0 src1=1 src2=0
	v_mul_f32_e32 v11, v254, v3 /*v259*/
	s_delay_alu instid0(VALU_DEP_1) | instskip(SKIP_1) | instid1(VALU_DEP_1)
	v_fmac_f32_e32 v11, v255, v2 /*v258*/
	s_set_vgpr_msb 0                        ;  msbs: dst=0 src0=0 src1=0 src2=0
	v_add_f32_e32 v9, v9, v11
	s_set_vgpr_msb 5                        ;  msbs: dst=0 src0=1 src1=1 src2=0
	v_mul_f32_e32 v11, v4 /*v260*/, v9 /*v265*/
	s_delay_alu instid0(VALU_DEP_1) | instskip(SKIP_1) | instid1(VALU_DEP_1)
	v_fmac_f32_e32 v11, v5 /*v261*/, v8 /*v264*/
	s_set_vgpr_msb 0                        ;  msbs: dst=0 src0=0 src1=0 src2=0
	v_add_f32_e32 v9, v9, v11
	s_set_vgpr_msb 5                        ;  msbs: dst=0 src0=1 src1=1 src2=0
	v_mul_f32_e32 v11, v6 /*v262*/, v11 /*v267*/
	s_delay_alu instid0(VALU_DEP_1) | instskip(SKIP_1) | instid1(VALU_DEP_1)
	v_fmac_f32_e32 v11, v7 /*v263*/, v10 /*v266*/
	;; [unrolled: 6-line block ×6, first 2 shown]
	s_set_vgpr_msb 0                        ;  msbs: dst=0 src0=0 src1=0 src2=0
	v_add_f32_e32 v9, v9, v11
	s_wait_dscnt 0x1
	s_set_vgpr_msb 5                        ;  msbs: dst=0 src0=1 src1=1 src2=0
	v_mul_f32_e32 v11, v28 /*v284*/, v33 /*v289*/
	s_delay_alu instid0(VALU_DEP_1) | instskip(SKIP_1) | instid1(VALU_DEP_1)
	v_fmac_f32_e32 v11, v29 /*v285*/, v32 /*v288*/
	s_set_vgpr_msb 0                        ;  msbs: dst=0 src0=0 src1=0 src2=0
	v_add_f32_e32 v9, v9, v11
	s_set_vgpr_msb 5                        ;  msbs: dst=0 src0=1 src1=1 src2=0
	v_mul_f32_e32 v11, v30 /*v286*/, v35 /*v291*/
	s_delay_alu instid0(VALU_DEP_1) | instskip(SKIP_1) | instid1(VALU_DEP_1)
	v_fmac_f32_e32 v11, v31 /*v287*/, v34 /*v290*/
	s_set_vgpr_msb 0                        ;  msbs: dst=0 src0=0 src1=0 src2=0
	v_add_f32_e32 v9, v9, v11
	s_wait_dscnt 0x0
	s_set_vgpr_msb 5                        ;  msbs: dst=0 src0=1 src1=1 src2=0
	v_mul_f32_e32 v11, v36 /*v292*/, v41 /*v297*/
	s_delay_alu instid0(VALU_DEP_1) | instskip(SKIP_1) | instid1(VALU_DEP_1)
	v_fmac_f32_e32 v11, v37 /*v293*/, v40 /*v296*/
	s_set_vgpr_msb 0                        ;  msbs: dst=0 src0=0 src1=0 src2=0
	v_add_f32_e32 v9, v9, v11
	s_set_vgpr_msb 5                        ;  msbs: dst=0 src0=1 src1=1 src2=0
	v_mul_f32_e32 v11, v38 /*v294*/, v43 /*v299*/
	s_delay_alu instid0(VALU_DEP_1) | instskip(SKIP_1) | instid1(VALU_DEP_1)
	v_fmac_f32_e32 v11, v39 /*v295*/, v42 /*v298*/
	s_set_vgpr_msb 0                        ;  msbs: dst=0 src0=0 src1=0 src2=0
	v_add_f32_e32 v9, v9, v11
	;; [unrolled: 6-line block ×3, first 2 shown]
	s_set_vgpr_msb 5                        ;  msbs: dst=0 src0=1 src1=1 src2=0
	v_mul_f32_e32 v11, v46 /*v302*/, v51 /*v307*/
	s_delay_alu instid0(VALU_DEP_1) | instskip(SKIP_1) | instid1(VALU_DEP_1)
	v_fmac_f32_e32 v11, v47 /*v303*/, v50 /*v306*/
	s_set_vgpr_msb 64                       ;  msbs: dst=1 src0=0 src1=0 src2=0
	v_add_f32_e32 v77 /*v333*/, v9, v11
	s_set_vgpr_msb 0                        ;  msbs: dst=0 src0=0 src1=0 src2=0
	v_dual_mul_f32 v9, v125, v129 :: v_dual_mul_f32 v11, v127, v131
	s_delay_alu instid0(VALU_DEP_1) | instskip(NEXT) | instid1(VALU_DEP_1)
	v_dual_fma_f32 v9, v124, v128, -v9 :: v_dual_fma_f32 v11, v126, v130, -v11
	v_add_f32_e32 v9, 0, v9
	s_delay_alu instid0(VALU_DEP_1) | instskip(SKIP_1) | instid1(VALU_DEP_1)
	v_add_f32_e32 v9, v9, v11
	v_mul_f32_e32 v11, v133, v137
	v_fma_f32 v11, v132, v136, -v11
	s_delay_alu instid0(VALU_DEP_1) | instskip(SKIP_1) | instid1(VALU_DEP_1)
	v_add_f32_e32 v9, v9, v11
	v_mul_f32_e32 v11, v135, v139
	v_fma_f32 v11, v134, v138, -v11
	ds_load_2addr_b64 v[124:127], v7 offset0:115 offset1:116
	ds_load_2addr_b64 v[128:131], v7 offset0:117 offset1:118
	;; [unrolled: 1-line block ×4, first 2 shown]
	v_add_f32_e32 v9, v9, v11
	v_mul_f32_e32 v11, v141, v145
	s_delay_alu instid0(VALU_DEP_1) | instskip(NEXT) | instid1(VALU_DEP_1)
	v_fma_f32 v11, v140, v144, -v11
	v_add_f32_e32 v9, v9, v11
	v_mul_f32_e32 v11, v143, v147
	s_delay_alu instid0(VALU_DEP_1)
	v_fma_f32 v11, v142, v146, -v11
	s_wait_loadcnt_dscnt 0x303
	s_set_vgpr_msb 4                        ;  msbs: dst=0 src0=0 src1=1 src2=0
	v_pk_mul_f32 v[142:143], v[124:125], v[60:61] /*v[316:317]*/ op_sel:[1,1] op_sel_hi:[0,1]
	s_set_vgpr_msb 0                        ;  msbs: dst=0 src0=0 src1=0 src2=0
	v_add_f32_e32 v9, v9, v11
	v_mul_f32_e32 v11, v149, v153
	s_set_vgpr_msb 4                        ;  msbs: dst=0 src0=0 src1=1 src2=0
	v_pk_fma_f32 v[144:145], v[124:125], v[60:61] /*v[316:317]*/, v[142:143] neg_lo:[0,0,1] neg_hi:[0,0,1]
	v_pk_fma_f32 v[124:125], v[124:125], v[60:61] /*v[316:317]*/, v[142:143] op_sel_hi:[1,0,1]
	s_set_vgpr_msb 1                        ;  msbs: dst=0 src0=1 src1=0 src2=0
	v_mov_b32_e32 v142, v63 /*v319*/
	s_set_vgpr_msb 0                        ;  msbs: dst=0 src0=0 src1=0 src2=0
	s_delay_alu instid0(VALU_DEP_2) | instskip(NEXT) | instid1(VALU_DEP_1)
	v_dual_fma_f32 v11, v148, v152, -v11 :: v_dual_mov_b32 v145, v125
	v_add_f32_e32 v9, v9, v11
	v_mul_f32_e32 v11, v151, v155
	s_delay_alu instid0(VALU_DEP_1) | instskip(NEXT) | instid1(VALU_DEP_1)
	v_fma_f32 v11, v150, v154, -v11
	v_add_f32_e32 v9, v9, v11
	v_mul_f32_e32 v11, v157, v161
	s_delay_alu instid0(VALU_DEP_1) | instskip(NEXT) | instid1(VALU_DEP_1)
	v_fma_f32 v11, v156, v160, -v11
	;; [unrolled: 4-line block ×25, first 2 shown]
	v_add_f32_e32 v9, v9, v11
	s_set_vgpr_msb 4                        ;  msbs: dst=0 src0=0 src1=1 src2=0
	v_mul_f32_e32 v11, v253, v1 /*v257*/
	s_delay_alu instid0(VALU_DEP_1) | instskip(SKIP_1) | instid1(VALU_DEP_1)
	v_fma_f32 v11, v252, v0 /*v256*/, -v11
	s_set_vgpr_msb 0                        ;  msbs: dst=0 src0=0 src1=0 src2=0
	v_add_f32_e32 v9, v9, v11
	s_set_vgpr_msb 4                        ;  msbs: dst=0 src0=0 src1=1 src2=0
	v_mul_f32_e32 v11, v255, v3 /*v259*/
	s_delay_alu instid0(VALU_DEP_1) | instskip(SKIP_1) | instid1(VALU_DEP_1)
	v_fma_f32 v11, v254, v2 /*v258*/, -v11
	s_set_vgpr_msb 0                        ;  msbs: dst=0 src0=0 src1=0 src2=0
	v_add_f32_e32 v9, v9, v11
	s_set_vgpr_msb 5                        ;  msbs: dst=0 src0=1 src1=1 src2=0
	v_mul_f32_e32 v11, v5 /*v261*/, v9 /*v265*/
	s_delay_alu instid0(VALU_DEP_1) | instskip(SKIP_1) | instid1(VALU_DEP_1)
	v_fma_f32 v11, v4 /*v260*/, v8 /*v264*/, -v11
	s_set_vgpr_msb 0                        ;  msbs: dst=0 src0=0 src1=0 src2=0
	v_add_f32_e32 v9, v9, v11
	s_set_vgpr_msb 5                        ;  msbs: dst=0 src0=1 src1=1 src2=0
	v_mul_f32_e32 v11, v7 /*v263*/, v11 /*v267*/
	s_delay_alu instid0(VALU_DEP_1) | instskip(SKIP_1) | instid1(VALU_DEP_1)
	v_fma_f32 v11, v6 /*v262*/, v10 /*v266*/, -v11
	;; [unrolled: 6-line block ×12, first 2 shown]
	s_set_vgpr_msb 64                       ;  msbs: dst=1 src0=0 src1=0 src2=0
	v_add_f32_e32 v76 /*v332*/, v9, v11
	s_set_vgpr_msb 5                        ;  msbs: dst=0 src0=1 src1=1 src2=0
	v_mul_f32_e32 v9, v53 /*v309*/, v57 /*v313*/
	s_set_vgpr_msb 0x45                     ;  msbs: dst=1 src0=1 src1=1 src2=0
	s_delay_alu instid0(VALU_DEP_1) | instskip(SKIP_3) | instid1(VALU_DEP_1)
	v_fma_f32 v78 /*v334*/, v52 /*v308*/, v56 /*v312*/, -v9
	s_set_vgpr_msb 5                        ;  msbs: dst=0 src0=1 src1=1 src2=0
	v_mul_f32_e32 v9, v55 /*v311*/, v59 /*v315*/
	s_set_vgpr_msb 0x45                     ;  msbs: dst=1 src0=1 src1=1 src2=0
	v_fma_f32 v80 /*v336*/, v54 /*v310*/, v58 /*v314*/, -v9
	s_set_vgpr_msb 5                        ;  msbs: dst=0 src0=1 src1=1 src2=0
	v_pk_add_f32 v[140:141], v[76:77] /*v[332:333]*/, v[78:79] /*v[334:335]*/
	s_set_vgpr_msb 4                        ;  msbs: dst=0 src0=0 src1=1 src2=0
	s_delay_alu instid0(VALU_DEP_1) | instskip(SKIP_1) | instid1(VALU_DEP_1)
	v_pk_add_f32 v[140:141], v[140:141], v[80:81] /*v[336:337]*/
	s_set_vgpr_msb 0                        ;  msbs: dst=0 src0=0 src1=0 src2=0
	v_pk_add_f32 v[124:125], v[140:141], v[144:145]
	v_dual_mov_b32 v140, v127 :: v_dual_mov_b32 v141, v126
	s_delay_alu instid0(VALU_DEP_1) | instskip(SKIP_1) | instid1(VALU_DEP_1)
	v_pk_mul_f32 v[140:141], v[140:141], v[142:143] op_sel_hi:[1,0]
	s_set_vgpr_msb 4                        ;  msbs: dst=0 src0=0 src1=1 src2=0
	v_pk_fma_f32 v[142:143], v[126:127], v[62:63] /*v[318:319]*/, v[140:141] neg_lo:[0,0,1] neg_hi:[0,0,1]
	v_pk_fma_f32 v[126:127], v[126:127], v[62:63] /*v[318:319]*/, v[140:141] op_sel_hi:[1,0,1]
	s_delay_alu instid0(VALU_DEP_1) | instskip(SKIP_3) | instid1(VALU_DEP_2)
	v_mov_b32_e32 v143, v127
	s_wait_loadcnt_dscnt 0x202
	v_pk_mul_f32 v[126:127], v[128:129], v[64:65] /*v[320:321]*/ op_sel:[1,1] op_sel_hi:[0,1]
	s_set_vgpr_msb 0                        ;  msbs: dst=0 src0=0 src1=0 src2=0
	v_pk_add_f32 v[124:125], v[124:125], v[142:143]
	s_set_vgpr_msb 4                        ;  msbs: dst=0 src0=0 src1=1 src2=0
	s_delay_alu instid0(VALU_DEP_2)
	v_pk_fma_f32 v[140:141], v[128:129], v[64:65] /*v[320:321]*/, v[126:127] neg_lo:[0,0,1] neg_hi:[0,0,1]
	v_pk_fma_f32 v[126:127], v[128:129], v[64:65] /*v[320:321]*/, v[126:127] op_sel_hi:[1,0,1]
	v_mov_b32_e32 v126, v131
	s_set_vgpr_msb 1                        ;  msbs: dst=0 src0=1 src1=0 src2=0
	v_mov_b32_e32 v128, v67 /*v323*/
	s_set_vgpr_msb 0                        ;  msbs: dst=0 src0=0 src1=0 src2=0
	v_dual_mov_b32 v141, v127 :: v_dual_mov_b32 v127, v130
	s_delay_alu instid0(VALU_DEP_1) | instskip(NEXT) | instid1(VALU_DEP_2)
	v_pk_add_f32 v[124:125], v[124:125], v[140:141]
	v_pk_mul_f32 v[126:127], v[126:127], v[128:129] op_sel_hi:[1,0]
	s_set_vgpr_msb 4                        ;  msbs: dst=0 src0=0 src1=1 src2=0
	s_delay_alu instid0(VALU_DEP_1) | instskip(SKIP_1) | instid1(VALU_DEP_1)
	v_pk_fma_f32 v[128:129], v[130:131], v[66:67] /*v[322:323]*/, v[126:127] neg_lo:[0,0,1] neg_hi:[0,0,1]
	v_pk_fma_f32 v[126:127], v[130:131], v[66:67] /*v[322:323]*/, v[126:127] op_sel_hi:[1,0,1]
	v_mov_b32_e32 v129, v127
	s_wait_loadcnt_dscnt 0x101
	v_pk_mul_f32 v[126:127], v[132:133], v[68:69] /*v[324:325]*/ op_sel:[1,1] op_sel_hi:[0,1]
	s_set_vgpr_msb 0                        ;  msbs: dst=0 src0=0 src1=0 src2=0
	s_delay_alu instid0(VALU_DEP_2) | instskip(SKIP_1) | instid1(VALU_DEP_2)
	v_pk_add_f32 v[124:125], v[124:125], v[128:129]
	s_set_vgpr_msb 4                        ;  msbs: dst=0 src0=0 src1=1 src2=0
	v_pk_fma_f32 v[128:129], v[132:133], v[68:69] /*v[324:325]*/, v[126:127] neg_lo:[0,0,1] neg_hi:[0,0,1]
	v_pk_fma_f32 v[126:127], v[132:133], v[68:69] /*v[324:325]*/, v[126:127] op_sel_hi:[1,0,1]
	s_delay_alu instid0(VALU_DEP_1) | instskip(SKIP_2) | instid1(VALU_DEP_2)
	v_dual_mov_b32 v126, v135 :: v_dual_mov_b32 v129, v127
	v_mov_b32_e32 v127, v134
	s_set_vgpr_msb 0                        ;  msbs: dst=0 src0=0 src1=0 src2=0
	v_pk_add_f32 v[124:125], v[124:125], v[128:129]
	s_set_vgpr_msb 1                        ;  msbs: dst=0 src0=1 src1=0 src2=0
	v_mov_b32_e32 v128, v71 /*v327*/
	s_set_vgpr_msb 0                        ;  msbs: dst=0 src0=0 src1=0 src2=0
	s_delay_alu instid0(VALU_DEP_1) | instskip(SKIP_1) | instid1(VALU_DEP_1)
	v_pk_mul_f32 v[126:127], v[126:127], v[128:129] op_sel_hi:[1,0]
	s_set_vgpr_msb 4                        ;  msbs: dst=0 src0=0 src1=1 src2=0
	v_pk_fma_f32 v[128:129], v[134:135], v[70:71] /*v[326:327]*/, v[126:127] neg_lo:[0,0,1] neg_hi:[0,0,1]
	v_pk_fma_f32 v[126:127], v[134:135], v[70:71] /*v[326:327]*/, v[126:127] op_sel_hi:[1,0,1]
	s_delay_alu instid0(VALU_DEP_1) | instskip(SKIP_3) | instid1(VALU_DEP_2)
	v_mov_b32_e32 v129, v127
	s_wait_loadcnt_dscnt 0x0
	v_pk_mul_f32 v[126:127], v[136:137], v[72:73] /*v[328:329]*/ op_sel:[1,1] op_sel_hi:[0,1]
	s_set_vgpr_msb 0                        ;  msbs: dst=0 src0=0 src1=0 src2=0
	v_pk_add_f32 v[124:125], v[124:125], v[128:129]
	s_set_vgpr_msb 4                        ;  msbs: dst=0 src0=0 src1=1 src2=0
	s_delay_alu instid0(VALU_DEP_2) | instskip(SKIP_1) | instid1(VALU_DEP_1)
	v_pk_fma_f32 v[128:129], v[136:137], v[72:73] /*v[328:329]*/, v[126:127] neg_lo:[0,0,1] neg_hi:[0,0,1]
	v_pk_fma_f32 v[126:127], v[136:137], v[72:73] /*v[328:329]*/, v[126:127] op_sel_hi:[1,0,1]
	v_dual_mov_b32 v126, v139 :: v_dual_mov_b32 v129, v127
	v_mov_b32_e32 v127, v138
	s_set_vgpr_msb 0                        ;  msbs: dst=0 src0=0 src1=0 src2=0
	s_delay_alu instid0(VALU_DEP_2) | instskip(SKIP_3) | instid1(VALU_DEP_1)
	v_pk_add_f32 v[124:125], v[124:125], v[128:129]
	s_set_vgpr_msb 1                        ;  msbs: dst=0 src0=1 src1=0 src2=0
	v_mov_b32_e32 v128, v75 /*v331*/
	s_set_vgpr_msb 0                        ;  msbs: dst=0 src0=0 src1=0 src2=0
	v_pk_mul_f32 v[126:127], v[126:127], v[128:129] op_sel_hi:[1,0]
	s_set_vgpr_msb 4                        ;  msbs: dst=0 src0=0 src1=1 src2=0
	s_delay_alu instid0(VALU_DEP_1) | instskip(SKIP_1) | instid1(VALU_DEP_1)
	v_pk_fma_f32 v[128:129], v[138:139], v[74:75] /*v[330:331]*/, v[126:127] neg_lo:[0,0,1] neg_hi:[0,0,1]
	v_pk_fma_f32 v[126:127], v[138:139], v[74:75] /*v[330:331]*/, v[126:127] op_sel_hi:[1,0,1]
	v_mov_b32_e32 v129, v127
	scratch_load_b64 v[126:127], off, off offset:32
	s_set_vgpr_msb 0                        ;  msbs: dst=0 src0=0 src1=0 src2=0
	v_pk_add_f32 v[124:125], v[124:125], v[128:129]
	s_wait_loadcnt 0x0
	s_delay_alu instid0(VALU_DEP_1)
	v_pk_add_f32 v[124:125], v[126:127], v[124:125] neg_lo:[0,1] neg_hi:[0,1]
	scratch_store_b64 off, v[124:125], off offset:32
	s_wait_xcnt 0x0
	v_cmpx_lt_u32_e32 3, v0
	s_cbranch_execz .LBB60_373
; %bb.372:
	scratch_load_b64 v[124:125], off, off offset:24
	v_mov_b64_e32 v[126:127], 0
	scratch_store_b64 off, v[126:127], off offset:24
	s_wait_loadcnt 0x0
	ds_store_b64 v1, v[124:125]
.LBB60_373:
	s_wait_xcnt 0x0
	s_or_b32 exec_lo, exec_lo, s0
	v_mov_b32_e32 v7, 0
	s_wait_storecnt_dscnt 0x0
	s_barrier_signal -1
	s_barrier_wait -1
	ds_load_b128 v[124:127], v7 offset:528
	ds_load_b128 v[128:131], v7 offset:544
	;; [unrolled: 1-line block ×4, first 2 shown]
	s_clause 0x19
	scratch_load_b128 v[140:143], off, off offset:32
	scratch_load_b128 v[144:147], off, off offset:48
	;; [unrolled: 1-line block ×16, first 2 shown]
	s_set_vgpr_msb 64                       ;  msbs: dst=1 src0=0 src1=0 src2=0
	scratch_load_b128 v[0:3] /*v[256:259]*/, off, off offset:288
	scratch_load_b128 v[8:11] /*v[264:267]*/, off, off offset:304
	;; [unrolled: 1-line block ×9, first 2 shown]
	s_mov_b32 s0, exec_lo
	s_wait_loadcnt_dscnt 0x1803
	s_set_vgpr_msb 0                        ;  msbs: dst=0 src0=0 src1=0 src2=0
	v_mul_f32_e32 v9, v124, v141
	ds_load_b128 v[156:159], v7 offset:592
	ds_load_b128 v[164:167], v7 offset:608
	ds_load_b128 v[172:175], v7 offset:624
	ds_load_b128 v[180:183], v7 offset:640
	v_dual_fmac_f32 v9, v125, v140 :: v_dual_mul_f32 v11, v126, v143
	ds_load_b128 v[188:191], v7 offset:656
	ds_load_b128 v[196:199], v7 offset:672
	;; [unrolled: 1-line block ×4, first 2 shown]
	v_dual_add_f32 v9, 0, v9 :: v_dual_fmac_f32 v11, v127, v142
	ds_load_b128 v[220:223], v7 offset:720
	ds_load_b128 v[228:231], v7 offset:736
	;; [unrolled: 1-line block ×4, first 2 shown]
	s_wait_loadcnt_dscnt 0x170e
	v_dual_add_f32 v9, v9, v11 :: v_dual_mul_f32 v11, v128, v145
	ds_load_b128 v[252:255], v7 offset:784
	s_set_vgpr_msb 64                       ;  msbs: dst=1 src0=0 src1=0 src2=0
	ds_load_b128 v[4:7] /*v[260:263]*/, v7 offset:800
	ds_load_b128 v[12:15] /*v[268:271]*/, v7 offset:816
	ds_load_b128 v[20:23] /*v[276:279]*/, v7 offset:832
	s_set_vgpr_msb 0                        ;  msbs: dst=0 src0=0 src1=0 src2=0
	v_fmac_f32_e32 v11, v129, v144
	s_set_vgpr_msb 64                       ;  msbs: dst=1 src0=0 src1=0 src2=0
	ds_load_b128 v[44:47] /*v[300:303]*/, v7 offset:880
	ds_load_b128 v[52:55] /*v[308:311]*/, v7 offset:896
	;; [unrolled: 1-line block ×5, first 2 shown]
	s_set_vgpr_msb 0                        ;  msbs: dst=0 src0=0 src1=0 src2=0
	v_add_f32_e32 v9, v9, v11
	v_mul_f32_e32 v11, v130, v147
	s_set_vgpr_msb 64                       ;  msbs: dst=1 src0=0 src1=0 src2=0
	s_clause 0x3
	scratch_load_b128 v[68:71] /*v[324:327]*/, off, off offset:432
	scratch_load_b128 v[72:75] /*v[328:331]*/, off, off offset:448
	;; [unrolled: 1-line block ×3, first 2 shown]
	scratch_load_b64 v[86:87] /*v[342:343]*/, off, off offset:480
	s_set_vgpr_msb 0                        ;  msbs: dst=0 src0=0 src1=0 src2=0
	v_fmac_f32_e32 v11, v131, v146
	s_wait_loadcnt_dscnt 0x1a16
	s_delay_alu instid0(VALU_DEP_1)
	v_dual_add_f32 v9, v9, v11 :: v_dual_mul_f32 v11, v132, v149
	s_wait_loadcnt_dscnt 0x402
	s_set_vgpr_msb 0x45                     ;  msbs: dst=1 src0=1 src1=1 src2=0
	v_dual_mul_f32 v83 /*v339*/, v54 /*v310*/, v59 /*v315*/ :: v_dual_mul_f32 v85 /*v341*/, v60 /*v316*/, v65 /*v321*/
	s_set_vgpr_msb 0                        ;  msbs: dst=0 src0=0 src1=0 src2=0
	v_fmac_f32_e32 v11, v133, v148
	s_set_vgpr_msb 0x45                     ;  msbs: dst=1 src0=1 src1=1 src2=0
	s_delay_alu instid0(VALU_DEP_2) | instskip(SKIP_1) | instid1(VALU_DEP_2)
	v_dual_fmac_f32 v83 /*v339*/, v55 /*v311*/, v58 /*v314*/ :: v_dual_fmac_f32 v85 /*v341*/, v61 /*v317*/, v64 /*v320*/
	s_set_vgpr_msb 0                        ;  msbs: dst=0 src0=0 src1=0 src2=0
	v_add_f32_e32 v9, v9, v11
	v_mul_f32_e32 v11, v134, v151
	s_delay_alu instid0(VALU_DEP_1) | instskip(NEXT) | instid1(VALU_DEP_1)
	v_fmac_f32_e32 v11, v135, v150
	v_dual_add_f32 v9, v9, v11 :: v_dual_mul_f32 v11, v136, v153
	s_delay_alu instid0(VALU_DEP_1) | instskip(NEXT) | instid1(VALU_DEP_1)
	v_fmac_f32_e32 v11, v137, v152
	v_add_f32_e32 v9, v9, v11
	v_mul_f32_e32 v11, v138, v155
	s_delay_alu instid0(VALU_DEP_1) | instskip(NEXT) | instid1(VALU_DEP_1)
	v_fmac_f32_e32 v11, v139, v154
	v_dual_add_f32 v9, v9, v11 :: v_dual_mul_f32 v11, v156, v161
	s_delay_alu instid0(VALU_DEP_1) | instskip(NEXT) | instid1(VALU_DEP_1)
	v_fmac_f32_e32 v11, v157, v160
	;; [unrolled: 7-line block ×13, first 2 shown]
	v_add_f32_e32 v9, v9, v11
	v_mul_f32_e32 v11, v246, v251
	s_delay_alu instid0(VALU_DEP_1) | instskip(NEXT) | instid1(VALU_DEP_1)
	v_fmac_f32_e32 v11, v247, v250
	v_add_f32_e32 v9, v9, v11
	s_set_vgpr_msb 4                        ;  msbs: dst=0 src0=0 src1=1 src2=0
	v_mul_f32_e32 v11, v252, v1 /*v257*/
	s_delay_alu instid0(VALU_DEP_1) | instskip(SKIP_1) | instid1(VALU_DEP_1)
	v_fmac_f32_e32 v11, v253, v0 /*v256*/
	s_set_vgpr_msb 0                        ;  msbs: dst=0 src0=0 src1=0 src2=0
	v_add_f32_e32 v9, v9, v11
	s_set_vgpr_msb 4                        ;  msbs: dst=0 src0=0 src1=1 src2=0
	v_mul_f32_e32 v11, v254, v3 /*v259*/
	s_delay_alu instid0(VALU_DEP_1) | instskip(SKIP_1) | instid1(VALU_DEP_1)
	v_fmac_f32_e32 v11, v255, v2 /*v258*/
	s_set_vgpr_msb 0                        ;  msbs: dst=0 src0=0 src1=0 src2=0
	v_add_f32_e32 v9, v9, v11
	s_set_vgpr_msb 5                        ;  msbs: dst=0 src0=1 src1=1 src2=0
	v_mul_f32_e32 v11, v4 /*v260*/, v9 /*v265*/
	s_delay_alu instid0(VALU_DEP_1) | instskip(SKIP_1) | instid1(VALU_DEP_1)
	v_fmac_f32_e32 v11, v5 /*v261*/, v8 /*v264*/
	s_set_vgpr_msb 0                        ;  msbs: dst=0 src0=0 src1=0 src2=0
	v_add_f32_e32 v9, v9, v11
	s_set_vgpr_msb 5                        ;  msbs: dst=0 src0=1 src1=1 src2=0
	v_mul_f32_e32 v11, v6 /*v262*/, v11 /*v267*/
	s_delay_alu instid0(VALU_DEP_1) | instskip(SKIP_1) | instid1(VALU_DEP_1)
	v_fmac_f32_e32 v11, v7 /*v263*/, v10 /*v266*/
	;; [unrolled: 6-line block ×6, first 2 shown]
	s_set_vgpr_msb 0                        ;  msbs: dst=0 src0=0 src1=0 src2=0
	v_add_f32_e32 v9, v9, v11
	s_wait_dscnt 0x1
	s_set_vgpr_msb 5                        ;  msbs: dst=0 src0=1 src1=1 src2=0
	v_mul_f32_e32 v11, v28 /*v284*/, v33 /*v289*/
	s_delay_alu instid0(VALU_DEP_1) | instskip(SKIP_1) | instid1(VALU_DEP_1)
	v_fmac_f32_e32 v11, v29 /*v285*/, v32 /*v288*/
	s_set_vgpr_msb 0                        ;  msbs: dst=0 src0=0 src1=0 src2=0
	v_add_f32_e32 v9, v9, v11
	s_set_vgpr_msb 5                        ;  msbs: dst=0 src0=1 src1=1 src2=0
	v_mul_f32_e32 v11, v30 /*v286*/, v35 /*v291*/
	s_delay_alu instid0(VALU_DEP_1) | instskip(SKIP_1) | instid1(VALU_DEP_1)
	v_fmac_f32_e32 v11, v31 /*v287*/, v34 /*v290*/
	s_set_vgpr_msb 0                        ;  msbs: dst=0 src0=0 src1=0 src2=0
	v_add_f32_e32 v9, v9, v11
	s_wait_dscnt 0x0
	s_set_vgpr_msb 5                        ;  msbs: dst=0 src0=1 src1=1 src2=0
	v_mul_f32_e32 v11, v36 /*v292*/, v41 /*v297*/
	s_delay_alu instid0(VALU_DEP_1) | instskip(SKIP_1) | instid1(VALU_DEP_1)
	v_fmac_f32_e32 v11, v37 /*v293*/, v40 /*v296*/
	s_set_vgpr_msb 0                        ;  msbs: dst=0 src0=0 src1=0 src2=0
	v_add_f32_e32 v9, v9, v11
	s_set_vgpr_msb 5                        ;  msbs: dst=0 src0=1 src1=1 src2=0
	v_mul_f32_e32 v11, v38 /*v294*/, v43 /*v299*/
	s_delay_alu instid0(VALU_DEP_1) | instskip(SKIP_1) | instid1(VALU_DEP_1)
	v_fmac_f32_e32 v11, v39 /*v295*/, v42 /*v298*/
	s_set_vgpr_msb 0                        ;  msbs: dst=0 src0=0 src1=0 src2=0
	v_add_f32_e32 v9, v9, v11
	;; [unrolled: 6-line block ×4, first 2 shown]
	s_set_vgpr_msb 5                        ;  msbs: dst=0 src0=1 src1=1 src2=0
	v_mul_f32_e32 v11, v52 /*v308*/, v57 /*v313*/
	s_delay_alu instid0(VALU_DEP_1) | instskip(SKIP_1) | instid1(VALU_DEP_1)
	v_fmac_f32_e32 v11, v53 /*v309*/, v56 /*v312*/
	s_set_vgpr_msb 64                       ;  msbs: dst=1 src0=0 src1=0 src2=0
	v_add_f32_e32 v81 /*v337*/, v9, v11
	s_set_vgpr_msb 0                        ;  msbs: dst=0 src0=0 src1=0 src2=0
	v_dual_mul_f32 v9, v125, v141 :: v_dual_mul_f32 v11, v127, v143
	s_set_vgpr_msb 1                        ;  msbs: dst=0 src0=1 src1=0 src2=0
	v_mov_b32_e32 v141, v62 /*v318*/
	s_set_vgpr_msb 0                        ;  msbs: dst=0 src0=0 src1=0 src2=0
	s_delay_alu instid0(VALU_DEP_2) | instskip(SKIP_2) | instid1(VALU_DEP_2)
	v_dual_fma_f32 v9, v124, v140, -v9 :: v_dual_fma_f32 v11, v126, v142, -v11
	s_set_vgpr_msb 1                        ;  msbs: dst=0 src0=1 src1=0 src2=0
	v_dual_mov_b32 v140, v63 /*v319*/ :: v_dual_mov_b32 v142, v67 /*v323*/
	v_add_f32_e32 v9, 0, v9
	s_set_vgpr_msb 0                        ;  msbs: dst=0 src0=0 src1=0 src2=0
	s_delay_alu instid0(VALU_DEP_2) | instskip(NEXT) | instid1(VALU_DEP_2)
	v_pk_mul_f32 v[140:141], v[140:141], v[142:143] op_sel_hi:[1,0]
	v_add_f32_e32 v9, v9, v11
	v_mul_f32_e32 v11, v129, v145
	s_set_vgpr_msb 5                        ;  msbs: dst=0 src0=1 src1=1 src2=0
	s_delay_alu instid0(VALU_DEP_3) | instskip(SKIP_2) | instid1(VALU_DEP_1)
	v_pk_fma_f32 v[142:143], v[62:63] /*v[318:319]*/, v[66:67] /*v[322:323]*/, v[140:141] neg_lo:[0,0,1] neg_hi:[0,0,1]
	v_pk_fma_f32 v[140:141], v[62:63] /*v[318:319]*/, v[66:67] /*v[322:323]*/, v[140:141] op_sel_hi:[1,0,1]
	s_set_vgpr_msb 0                        ;  msbs: dst=0 src0=0 src1=0 src2=0
	v_dual_fma_f32 v11, v128, v144, -v11 :: v_dual_mov_b32 v143, v141
	s_delay_alu instid0(VALU_DEP_1) | instskip(SKIP_1) | instid1(VALU_DEP_1)
	v_add_f32_e32 v9, v9, v11
	v_mul_f32_e32 v11, v131, v147
	v_fma_f32 v11, v130, v146, -v11
	s_delay_alu instid0(VALU_DEP_1) | instskip(SKIP_1) | instid1(VALU_DEP_1)
	v_add_f32_e32 v9, v9, v11
	v_mul_f32_e32 v11, v133, v149
	v_fma_f32 v11, v132, v148, -v11
	;; [unrolled: 4-line block ×4, first 2 shown]
	ds_load_b128 v[124:127], v7 offset:928
	ds_load_b128 v[128:131], v7 offset:944
	;; [unrolled: 1-line block ×3, first 2 shown]
	ds_load_b64 v[136:137], v7 offset:976
	v_add_f32_e32 v9, v9, v11
	v_mul_f32_e32 v11, v139, v155
	s_delay_alu instid0(VALU_DEP_1) | instskip(NEXT) | instid1(VALU_DEP_1)
	v_fma_f32 v11, v138, v154, -v11
	v_add_f32_e32 v9, v9, v11
	v_mul_f32_e32 v11, v157, v161
	s_wait_loadcnt_dscnt 0x303
	s_set_vgpr_msb 4                        ;  msbs: dst=0 src0=0 src1=1 src2=0
	v_pk_mul_f32 v[140:141], v[124:125], v[68:69] /*v[324:325]*/ op_sel:[1,1] op_sel_hi:[0,1]
	s_set_vgpr_msb 0                        ;  msbs: dst=0 src0=0 src1=0 src2=0
	v_fma_f32 v11, v156, v160, -v11
	s_delay_alu instid0(VALU_DEP_1) | instskip(SKIP_1) | instid1(VALU_DEP_1)
	v_add_f32_e32 v9, v9, v11
	v_mul_f32_e32 v11, v159, v163
	v_fma_f32 v11, v158, v162, -v11
	s_delay_alu instid0(VALU_DEP_1) | instskip(SKIP_1) | instid1(VALU_DEP_1)
	v_add_f32_e32 v9, v9, v11
	v_mul_f32_e32 v11, v165, v169
	;; [unrolled: 4-line block ×23, first 2 shown]
	v_fma_f32 v11, v246, v250, -v11
	s_delay_alu instid0(VALU_DEP_1) | instskip(SKIP_2) | instid1(VALU_DEP_1)
	v_add_f32_e32 v9, v9, v11
	s_set_vgpr_msb 4                        ;  msbs: dst=0 src0=0 src1=1 src2=0
	v_mul_f32_e32 v11, v253, v1 /*v257*/
	v_fma_f32 v11, v252, v0 /*v256*/, -v11
	s_set_vgpr_msb 0                        ;  msbs: dst=0 src0=0 src1=0 src2=0
	s_delay_alu instid0(VALU_DEP_1) | instskip(SKIP_2) | instid1(VALU_DEP_1)
	v_add_f32_e32 v9, v9, v11
	s_set_vgpr_msb 4                        ;  msbs: dst=0 src0=0 src1=1 src2=0
	v_mul_f32_e32 v11, v255, v3 /*v259*/
	v_fma_f32 v11, v254, v2 /*v258*/, -v11
	s_set_vgpr_msb 0                        ;  msbs: dst=0 src0=0 src1=0 src2=0
	s_delay_alu instid0(VALU_DEP_1) | instskip(SKIP_2) | instid1(VALU_DEP_1)
	v_add_f32_e32 v9, v9, v11
	s_set_vgpr_msb 5                        ;  msbs: dst=0 src0=1 src1=1 src2=0
	v_mul_f32_e32 v11, v5 /*v261*/, v9 /*v265*/
	v_fma_f32 v11, v4 /*v260*/, v8 /*v264*/, -v11
	s_set_vgpr_msb 0                        ;  msbs: dst=0 src0=0 src1=0 src2=0
	s_delay_alu instid0(VALU_DEP_1) | instskip(SKIP_2) | instid1(VALU_DEP_1)
	v_add_f32_e32 v9, v9, v11
	s_set_vgpr_msb 5                        ;  msbs: dst=0 src0=1 src1=1 src2=0
	v_mul_f32_e32 v11, v7 /*v263*/, v11 /*v267*/
	v_fma_f32 v11, v6 /*v262*/, v10 /*v266*/, -v11
	;; [unrolled: 6-line block ×13, first 2 shown]
	s_set_vgpr_msb 64                       ;  msbs: dst=1 src0=0 src1=0 src2=0
	s_delay_alu instid0(VALU_DEP_1) | instskip(SKIP_3) | instid1(VALU_DEP_1)
	v_add_f32_e32 v80 /*v336*/, v9, v11
	s_set_vgpr_msb 5                        ;  msbs: dst=0 src0=1 src1=1 src2=0
	v_mul_f32_e32 v9, v55 /*v311*/, v59 /*v315*/
	s_set_vgpr_msb 0x45                     ;  msbs: dst=1 src0=1 src1=1 src2=0
	v_fma_f32 v82 /*v338*/, v54 /*v310*/, v58 /*v314*/, -v9
	s_set_vgpr_msb 5                        ;  msbs: dst=0 src0=1 src1=1 src2=0
	v_mul_f32_e32 v9, v61 /*v317*/, v65 /*v321*/
	s_set_vgpr_msb 0x45                     ;  msbs: dst=1 src0=1 src1=1 src2=0
	s_delay_alu instid0(VALU_DEP_1) | instskip(SKIP_3) | instid1(VALU_DEP_1)
	v_fma_f32 v84 /*v340*/, v60 /*v316*/, v64 /*v320*/, -v9
	s_set_vgpr_msb 5                        ;  msbs: dst=0 src0=1 src1=1 src2=0
	v_pk_add_f32 v[138:139], v[80:81] /*v[336:337]*/, v[82:83] /*v[338:339]*/
	s_set_vgpr_msb 4                        ;  msbs: dst=0 src0=0 src1=1 src2=0
	v_pk_add_f32 v[138:139], v[138:139], v[84:85] /*v[340:341]*/
	s_set_vgpr_msb 0                        ;  msbs: dst=0 src0=0 src1=0 src2=0
	s_delay_alu instid0(VALU_DEP_1)
	v_pk_add_f32 v[138:139], v[138:139], v[142:143]
	s_set_vgpr_msb 4                        ;  msbs: dst=0 src0=0 src1=1 src2=0
	v_pk_fma_f32 v[142:143], v[124:125], v[68:69] /*v[324:325]*/, v[140:141] neg_lo:[0,0,1] neg_hi:[0,0,1]
	v_pk_fma_f32 v[124:125], v[124:125], v[68:69] /*v[324:325]*/, v[140:141] op_sel_hi:[1,0,1]
	s_set_vgpr_msb 1                        ;  msbs: dst=0 src0=1 src1=0 src2=0
	v_mov_b32_e32 v140, v71 /*v327*/
	s_set_vgpr_msb 0                        ;  msbs: dst=0 src0=0 src1=0 src2=0
	s_delay_alu instid0(VALU_DEP_2) | instskip(NEXT) | instid1(VALU_DEP_1)
	v_mov_b32_e32 v143, v125
	v_pk_add_f32 v[124:125], v[138:139], v[142:143]
	v_dual_mov_b32 v138, v127 :: v_dual_mov_b32 v139, v126
	s_delay_alu instid0(VALU_DEP_1) | instskip(SKIP_1) | instid1(VALU_DEP_1)
	v_pk_mul_f32 v[138:139], v[138:139], v[140:141] op_sel_hi:[1,0]
	s_set_vgpr_msb 4                        ;  msbs: dst=0 src0=0 src1=1 src2=0
	v_pk_fma_f32 v[140:141], v[126:127], v[70:71] /*v[326:327]*/, v[138:139] neg_lo:[0,0,1] neg_hi:[0,0,1]
	v_pk_fma_f32 v[126:127], v[126:127], v[70:71] /*v[326:327]*/, v[138:139] op_sel_hi:[1,0,1]
	s_delay_alu instid0(VALU_DEP_1) | instskip(SKIP_3) | instid1(VALU_DEP_2)
	v_mov_b32_e32 v141, v127
	s_wait_loadcnt_dscnt 0x202
	v_pk_mul_f32 v[126:127], v[128:129], v[72:73] /*v[328:329]*/ op_sel:[1,1] op_sel_hi:[0,1]
	s_set_vgpr_msb 0                        ;  msbs: dst=0 src0=0 src1=0 src2=0
	v_pk_add_f32 v[124:125], v[124:125], v[140:141]
	s_set_vgpr_msb 4                        ;  msbs: dst=0 src0=0 src1=1 src2=0
	s_delay_alu instid0(VALU_DEP_2)
	v_pk_fma_f32 v[138:139], v[128:129], v[72:73] /*v[328:329]*/, v[126:127] neg_lo:[0,0,1] neg_hi:[0,0,1]
	v_pk_fma_f32 v[126:127], v[128:129], v[72:73] /*v[328:329]*/, v[126:127] op_sel_hi:[1,0,1]
	v_mov_b32_e32 v126, v131
	s_set_vgpr_msb 1                        ;  msbs: dst=0 src0=1 src1=0 src2=0
	v_mov_b32_e32 v128, v75 /*v331*/
	s_set_vgpr_msb 0                        ;  msbs: dst=0 src0=0 src1=0 src2=0
	v_dual_mov_b32 v139, v127 :: v_dual_mov_b32 v127, v130
	s_delay_alu instid0(VALU_DEP_1) | instskip(NEXT) | instid1(VALU_DEP_2)
	v_pk_add_f32 v[124:125], v[124:125], v[138:139]
	v_pk_mul_f32 v[126:127], v[126:127], v[128:129] op_sel_hi:[1,0]
	s_set_vgpr_msb 4                        ;  msbs: dst=0 src0=0 src1=1 src2=0
	s_delay_alu instid0(VALU_DEP_1) | instskip(SKIP_1) | instid1(VALU_DEP_1)
	v_pk_fma_f32 v[128:129], v[130:131], v[74:75] /*v[330:331]*/, v[126:127] neg_lo:[0,0,1] neg_hi:[0,0,1]
	v_pk_fma_f32 v[126:127], v[130:131], v[74:75] /*v[330:331]*/, v[126:127] op_sel_hi:[1,0,1]
	v_mov_b32_e32 v129, v127
	s_wait_loadcnt_dscnt 0x101
	v_pk_mul_f32 v[126:127], v[132:133], v[76:77] /*v[332:333]*/ op_sel:[1,1] op_sel_hi:[0,1]
	s_set_vgpr_msb 0                        ;  msbs: dst=0 src0=0 src1=0 src2=0
	s_delay_alu instid0(VALU_DEP_2) | instskip(SKIP_1) | instid1(VALU_DEP_2)
	v_pk_add_f32 v[124:125], v[124:125], v[128:129]
	s_set_vgpr_msb 4                        ;  msbs: dst=0 src0=0 src1=1 src2=0
	v_pk_fma_f32 v[128:129], v[132:133], v[76:77] /*v[332:333]*/, v[126:127] neg_lo:[0,0,1] neg_hi:[0,0,1]
	v_pk_fma_f32 v[126:127], v[132:133], v[76:77] /*v[332:333]*/, v[126:127] op_sel_hi:[1,0,1]
	s_delay_alu instid0(VALU_DEP_1) | instskip(SKIP_2) | instid1(VALU_DEP_2)
	v_dual_mov_b32 v126, v135 :: v_dual_mov_b32 v129, v127
	v_mov_b32_e32 v127, v134
	s_set_vgpr_msb 0                        ;  msbs: dst=0 src0=0 src1=0 src2=0
	v_pk_add_f32 v[124:125], v[124:125], v[128:129]
	s_set_vgpr_msb 1                        ;  msbs: dst=0 src0=1 src1=0 src2=0
	v_mov_b32_e32 v128, v79 /*v335*/
	s_set_vgpr_msb 0                        ;  msbs: dst=0 src0=0 src1=0 src2=0
	s_delay_alu instid0(VALU_DEP_1) | instskip(SKIP_1) | instid1(VALU_DEP_1)
	v_pk_mul_f32 v[126:127], v[126:127], v[128:129] op_sel_hi:[1,0]
	s_set_vgpr_msb 4                        ;  msbs: dst=0 src0=0 src1=1 src2=0
	v_pk_fma_f32 v[128:129], v[134:135], v[78:79] /*v[334:335]*/, v[126:127] neg_lo:[0,0,1] neg_hi:[0,0,1]
	v_pk_fma_f32 v[126:127], v[134:135], v[78:79] /*v[334:335]*/, v[126:127] op_sel_hi:[1,0,1]
	s_delay_alu instid0(VALU_DEP_1) | instskip(SKIP_3) | instid1(VALU_DEP_2)
	v_mov_b32_e32 v129, v127
	s_wait_loadcnt_dscnt 0x0
	v_pk_mul_f32 v[126:127], v[136:137], v[86:87] /*v[342:343]*/ op_sel:[1,1] op_sel_hi:[0,1]
	s_set_vgpr_msb 0                        ;  msbs: dst=0 src0=0 src1=0 src2=0
	v_pk_add_f32 v[124:125], v[124:125], v[128:129]
	s_set_vgpr_msb 4                        ;  msbs: dst=0 src0=0 src1=1 src2=0
	s_delay_alu instid0(VALU_DEP_2) | instskip(SKIP_1) | instid1(VALU_DEP_1)
	v_pk_fma_f32 v[128:129], v[136:137], v[86:87] /*v[342:343]*/, v[126:127] neg_lo:[0,0,1] neg_hi:[0,0,1]
	v_pk_fma_f32 v[126:127], v[136:137], v[86:87] /*v[342:343]*/, v[126:127] op_sel_hi:[1,0,1]
	v_mov_b32_e32 v129, v127
	scratch_load_b64 v[126:127], off, off offset:24
	s_set_vgpr_msb 0                        ;  msbs: dst=0 src0=0 src1=0 src2=0
	v_pk_add_f32 v[124:125], v[124:125], v[128:129]
	s_wait_loadcnt 0x0
	s_delay_alu instid0(VALU_DEP_1)
	v_pk_add_f32 v[124:125], v[126:127], v[124:125] neg_lo:[0,1] neg_hi:[0,1]
	scratch_store_b64 off, v[124:125], off offset:24
	s_wait_xcnt 0x0
	v_cmpx_lt_u32_e32 2, v0
	s_cbranch_execz .LBB60_375
; %bb.374:
	scratch_load_b64 v[124:125], off, off offset:16
	v_mov_b64_e32 v[126:127], 0
	scratch_store_b64 off, v[126:127], off offset:16
	s_wait_loadcnt 0x0
	ds_store_b64 v1, v[124:125]
.LBB60_375:
	s_wait_xcnt 0x0
	s_or_b32 exec_lo, exec_lo, s0
	s_wait_storecnt_dscnt 0x0
	s_barrier_signal -1
	s_barrier_wait -1
	s_clause 0xf
	scratch_load_b128 v[128:131], off, off offset:24
	scratch_load_b128 v[136:139], off, off offset:40
	scratch_load_b128 v[144:147], off, off offset:56
	scratch_load_b128 v[152:155], off, off offset:72
	scratch_load_b128 v[160:163], off, off offset:88
	scratch_load_b128 v[168:171], off, off offset:104
	scratch_load_b128 v[176:179], off, off offset:120
	scratch_load_b128 v[184:187], off, off offset:136
	scratch_load_b128 v[192:195], off, off offset:152
	scratch_load_b128 v[200:203], off, off offset:168
	scratch_load_b128 v[208:211], off, off offset:184
	scratch_load_b128 v[216:219], off, off offset:200
	scratch_load_b128 v[224:227], off, off offset:216
	scratch_load_b128 v[232:235], off, off offset:232
	scratch_load_b128 v[240:243], off, off offset:248
	scratch_load_b128 v[248:251], off, off offset:264
	ds_load_2addr_b64 v[124:127], v7 offset0:65 offset1:66
	ds_load_2addr_b64 v[132:135], v7 offset0:67 offset1:68
	s_set_vgpr_msb 64                       ;  msbs: dst=1 src0=0 src1=0 src2=0
	s_clause 0x1
	scratch_load_b128 v[0:3] /*v[256:259]*/, off, off offset:280
	scratch_load_b128 v[8:11] /*v[264:267]*/, off, off offset:296
	s_set_vgpr_msb 0                        ;  msbs: dst=0 src0=0 src1=0 src2=0
	ds_load_2addr_b64 v[140:143], v7 offset0:69 offset1:70
	ds_load_2addr_b64 v[148:151], v7 offset0:71 offset1:72
	s_set_vgpr_msb 64                       ;  msbs: dst=1 src0=0 src1=0 src2=0
	s_clause 0x1
	scratch_load_b128 v[16:19] /*v[272:275]*/, off, off offset:312
	scratch_load_b128 v[24:27] /*v[280:283]*/, off, off offset:328
	s_set_vgpr_msb 0                        ;  msbs: dst=0 src0=0 src1=0 src2=0
	;; [unrolled: 7-line block ×4, first 2 shown]
	ds_load_2addr_b64 v[188:191], v7 offset0:81 offset1:82
	ds_load_2addr_b64 v[196:199], v7 offset0:83 offset1:84
	ds_load_2addr_b64 v[204:207], v7 offset0:85 offset1:86
	ds_load_2addr_b64 v[212:215], v7 offset0:87 offset1:88
	ds_load_2addr_b64 v[220:223], v7 offset0:89 offset1:90
	ds_load_2addr_b64 v[228:231], v7 offset0:91 offset1:92
	ds_load_2addr_b64 v[236:239], v7 offset0:93 offset1:94
	ds_load_2addr_b64 v[244:247], v7 offset0:95 offset1:96
	ds_load_2addr_b64 v[252:255], v7 offset0:97 offset1:98
	s_set_vgpr_msb 64                       ;  msbs: dst=1 src0=0 src1=0 src2=0
	ds_load_2addr_b64 v[4:7] /*v[260:263]*/, v7 offset0:99 offset1:100
	ds_load_2addr_b64 v[12:15] /*v[268:271]*/, v7 offset0:101 offset1:102
	;; [unrolled: 1-line block ×4, first 2 shown]
	scratch_load_b128 v[64:67] /*v[320:323]*/, off, off offset:408
	ds_load_2addr_b64 v[28:31] /*v[284:287]*/, v7 offset0:105 offset1:106
	ds_load_2addr_b64 v[36:39] /*v[292:295]*/, v7 offset0:107 offset1:108
	;; [unrolled: 1-line block ×4, first 2 shown]
	s_clause 0x3
	scratch_load_b128 v[68:71] /*v[324:327]*/, off, off offset:424
	scratch_load_b128 v[72:75] /*v[328:331]*/, off, off offset:440
	scratch_load_b128 v[76:79] /*v[332:335]*/, off, off offset:456
	scratch_load_b128 v[80:83] /*v[336:339]*/, off, off offset:472
	s_mov_b32 s0, exec_lo
	s_wait_loadcnt_dscnt 0x1c18
	s_set_vgpr_msb 0                        ;  msbs: dst=0 src0=0 src1=0 src2=0
	v_dual_mul_f32 v9, v124, v129 :: v_dual_mul_f32 v11, v126, v131
	s_delay_alu instid0(VALU_DEP_1) | instskip(NEXT) | instid1(VALU_DEP_1)
	v_dual_fmac_f32 v9, v125, v128 :: v_dual_fmac_f32 v11, v127, v130
	v_add_f32_e32 v9, 0, v9
	s_wait_loadcnt_dscnt 0x1b17
	s_delay_alu instid0(VALU_DEP_1) | instskip(NEXT) | instid1(VALU_DEP_1)
	v_dual_add_f32 v9, v9, v11 :: v_dual_mul_f32 v11, v132, v137
	v_fmac_f32_e32 v11, v133, v136
	s_delay_alu instid0(VALU_DEP_1) | instskip(SKIP_1) | instid1(VALU_DEP_1)
	v_add_f32_e32 v9, v9, v11
	v_mul_f32_e32 v11, v134, v139
	v_fmac_f32_e32 v11, v135, v138
	s_wait_loadcnt_dscnt 0x1a16
	s_delay_alu instid0(VALU_DEP_1) | instskip(NEXT) | instid1(VALU_DEP_1)
	v_dual_add_f32 v9, v9, v11 :: v_dual_mul_f32 v11, v140, v145
	v_fmac_f32_e32 v11, v141, v144
	s_wait_loadcnt_dscnt 0x404
	s_set_vgpr_msb 0x45                     ;  msbs: dst=1 src0=1 src1=1 src2=0
	v_dual_mul_f32 v87 /*v343*/, v60 /*v316*/, v65 /*v321*/ :: v_dual_mul_f32 v89 /*v345*/, v62 /*v318*/, v67 /*v323*/
	s_set_vgpr_msb 0                        ;  msbs: dst=0 src0=0 src1=0 src2=0
	v_add_f32_e32 v9, v9, v11
	v_mul_f32_e32 v11, v142, v147
	s_set_vgpr_msb 0x45                     ;  msbs: dst=1 src0=1 src1=1 src2=0
	v_dual_fmac_f32 v87 /*v343*/, v61 /*v317*/, v64 /*v320*/ :: v_dual_fmac_f32 v89 /*v345*/, v63 /*v319*/, v66 /*v322*/
	s_set_vgpr_msb 0                        ;  msbs: dst=0 src0=0 src1=0 src2=0
	s_delay_alu instid0(VALU_DEP_2) | instskip(NEXT) | instid1(VALU_DEP_1)
	v_fmac_f32_e32 v11, v143, v146
	v_dual_add_f32 v9, v9, v11 :: v_dual_mul_f32 v11, v148, v153
	s_delay_alu instid0(VALU_DEP_1) | instskip(NEXT) | instid1(VALU_DEP_1)
	v_fmac_f32_e32 v11, v149, v152
	v_add_f32_e32 v9, v9, v11
	v_mul_f32_e32 v11, v150, v155
	s_delay_alu instid0(VALU_DEP_1) | instskip(NEXT) | instid1(VALU_DEP_1)
	v_fmac_f32_e32 v11, v151, v154
	v_dual_add_f32 v9, v9, v11 :: v_dual_mul_f32 v11, v156, v161
	s_delay_alu instid0(VALU_DEP_1) | instskip(NEXT) | instid1(VALU_DEP_1)
	v_fmac_f32_e32 v11, v157, v160
	v_add_f32_e32 v9, v9, v11
	v_mul_f32_e32 v11, v158, v163
	s_delay_alu instid0(VALU_DEP_1) | instskip(NEXT) | instid1(VALU_DEP_1)
	;; [unrolled: 7-line block ×13, first 2 shown]
	v_fmac_f32_e32 v11, v247, v250
	v_add_f32_e32 v9, v9, v11
	s_set_vgpr_msb 4                        ;  msbs: dst=0 src0=0 src1=1 src2=0
	v_mul_f32_e32 v11, v252, v1 /*v257*/
	s_delay_alu instid0(VALU_DEP_1) | instskip(SKIP_1) | instid1(VALU_DEP_1)
	v_fmac_f32_e32 v11, v253, v0 /*v256*/
	s_set_vgpr_msb 0                        ;  msbs: dst=0 src0=0 src1=0 src2=0
	v_add_f32_e32 v9, v9, v11
	s_set_vgpr_msb 4                        ;  msbs: dst=0 src0=0 src1=1 src2=0
	v_mul_f32_e32 v11, v254, v3 /*v259*/
	s_delay_alu instid0(VALU_DEP_1) | instskip(SKIP_1) | instid1(VALU_DEP_1)
	v_fmac_f32_e32 v11, v255, v2 /*v258*/
	s_set_vgpr_msb 0                        ;  msbs: dst=0 src0=0 src1=0 src2=0
	v_add_f32_e32 v9, v9, v11
	s_set_vgpr_msb 5                        ;  msbs: dst=0 src0=1 src1=1 src2=0
	v_mul_f32_e32 v11, v4 /*v260*/, v9 /*v265*/
	s_delay_alu instid0(VALU_DEP_1) | instskip(SKIP_1) | instid1(VALU_DEP_1)
	v_fmac_f32_e32 v11, v5 /*v261*/, v8 /*v264*/
	s_set_vgpr_msb 0                        ;  msbs: dst=0 src0=0 src1=0 src2=0
	v_add_f32_e32 v9, v9, v11
	s_set_vgpr_msb 5                        ;  msbs: dst=0 src0=1 src1=1 src2=0
	v_mul_f32_e32 v11, v6 /*v262*/, v11 /*v267*/
	s_delay_alu instid0(VALU_DEP_1) | instskip(SKIP_1) | instid1(VALU_DEP_1)
	v_fmac_f32_e32 v11, v7 /*v263*/, v10 /*v266*/
	;; [unrolled: 6-line block ×6, first 2 shown]
	s_set_vgpr_msb 0                        ;  msbs: dst=0 src0=0 src1=0 src2=0
	v_add_f32_e32 v9, v9, v11
	s_wait_dscnt 0x3
	s_set_vgpr_msb 5                        ;  msbs: dst=0 src0=1 src1=1 src2=0
	v_mul_f32_e32 v11, v28 /*v284*/, v33 /*v289*/
	s_delay_alu instid0(VALU_DEP_1) | instskip(SKIP_1) | instid1(VALU_DEP_1)
	v_fmac_f32_e32 v11, v29 /*v285*/, v32 /*v288*/
	s_set_vgpr_msb 0                        ;  msbs: dst=0 src0=0 src1=0 src2=0
	v_add_f32_e32 v9, v9, v11
	s_set_vgpr_msb 5                        ;  msbs: dst=0 src0=1 src1=1 src2=0
	v_mul_f32_e32 v11, v30 /*v286*/, v35 /*v291*/
	s_delay_alu instid0(VALU_DEP_1) | instskip(SKIP_1) | instid1(VALU_DEP_1)
	v_fmac_f32_e32 v11, v31 /*v287*/, v34 /*v290*/
	s_set_vgpr_msb 0                        ;  msbs: dst=0 src0=0 src1=0 src2=0
	v_add_f32_e32 v9, v9, v11
	s_wait_dscnt 0x2
	s_set_vgpr_msb 5                        ;  msbs: dst=0 src0=1 src1=1 src2=0
	v_mul_f32_e32 v11, v36 /*v292*/, v41 /*v297*/
	s_delay_alu instid0(VALU_DEP_1) | instskip(SKIP_1) | instid1(VALU_DEP_1)
	v_fmac_f32_e32 v11, v37 /*v293*/, v40 /*v296*/
	s_set_vgpr_msb 0                        ;  msbs: dst=0 src0=0 src1=0 src2=0
	v_add_f32_e32 v9, v9, v11
	s_set_vgpr_msb 5                        ;  msbs: dst=0 src0=1 src1=1 src2=0
	v_mul_f32_e32 v11, v38 /*v294*/, v43 /*v299*/
	s_delay_alu instid0(VALU_DEP_1) | instskip(SKIP_1) | instid1(VALU_DEP_1)
	v_fmac_f32_e32 v11, v39 /*v295*/, v42 /*v298*/
	;; [unrolled: 13-line block ×4, first 2 shown]
	s_set_vgpr_msb 64                       ;  msbs: dst=1 src0=0 src1=0 src2=0
	v_add_f32_e32 v85 /*v341*/, v9, v11
	s_set_vgpr_msb 0                        ;  msbs: dst=0 src0=0 src1=0 src2=0
	v_dual_mul_f32 v9, v125, v129 :: v_dual_mul_f32 v11, v127, v131
	s_delay_alu instid0(VALU_DEP_1) | instskip(NEXT) | instid1(VALU_DEP_1)
	v_dual_fma_f32 v9, v124, v128, -v9 :: v_dual_fma_f32 v11, v126, v130, -v11
	v_add_f32_e32 v9, 0, v9
	s_delay_alu instid0(VALU_DEP_1) | instskip(SKIP_1) | instid1(VALU_DEP_1)
	v_add_f32_e32 v9, v9, v11
	v_mul_f32_e32 v11, v133, v137
	v_fma_f32 v11, v132, v136, -v11
	s_delay_alu instid0(VALU_DEP_1) | instskip(SKIP_1) | instid1(VALU_DEP_1)
	v_add_f32_e32 v9, v9, v11
	v_mul_f32_e32 v11, v135, v139
	v_fma_f32 v11, v134, v138, -v11
	ds_load_2addr_b64 v[124:127], v7 offset0:115 offset1:116
	ds_load_2addr_b64 v[128:131], v7 offset0:117 offset1:118
	ds_load_2addr_b64 v[132:135], v7 offset0:119 offset1:120
	ds_load_2addr_b64 v[136:139], v7 offset0:121 offset1:122
	v_add_f32_e32 v9, v9, v11
	v_mul_f32_e32 v11, v141, v145
	s_delay_alu instid0(VALU_DEP_1) | instskip(NEXT) | instid1(VALU_DEP_1)
	v_fma_f32 v11, v140, v144, -v11
	v_add_f32_e32 v9, v9, v11
	v_mul_f32_e32 v11, v143, v147
	s_delay_alu instid0(VALU_DEP_1)
	v_fma_f32 v11, v142, v146, -v11
	s_wait_loadcnt_dscnt 0x303
	s_set_vgpr_msb 4                        ;  msbs: dst=0 src0=0 src1=1 src2=0
	v_pk_mul_f32 v[142:143], v[124:125], v[68:69] /*v[324:325]*/ op_sel:[1,1] op_sel_hi:[0,1]
	s_set_vgpr_msb 0                        ;  msbs: dst=0 src0=0 src1=0 src2=0
	v_add_f32_e32 v9, v9, v11
	v_mul_f32_e32 v11, v149, v153
	s_set_vgpr_msb 4                        ;  msbs: dst=0 src0=0 src1=1 src2=0
	v_pk_fma_f32 v[144:145], v[124:125], v[68:69] /*v[324:325]*/, v[142:143] neg_lo:[0,0,1] neg_hi:[0,0,1]
	v_pk_fma_f32 v[124:125], v[124:125], v[68:69] /*v[324:325]*/, v[142:143] op_sel_hi:[1,0,1]
	s_set_vgpr_msb 1                        ;  msbs: dst=0 src0=1 src1=0 src2=0
	v_mov_b32_e32 v142, v71 /*v327*/
	s_set_vgpr_msb 0                        ;  msbs: dst=0 src0=0 src1=0 src2=0
	s_delay_alu instid0(VALU_DEP_2) | instskip(NEXT) | instid1(VALU_DEP_1)
	v_dual_fma_f32 v11, v148, v152, -v11 :: v_dual_mov_b32 v145, v125
	v_add_f32_e32 v9, v9, v11
	v_mul_f32_e32 v11, v151, v155
	s_delay_alu instid0(VALU_DEP_1) | instskip(NEXT) | instid1(VALU_DEP_1)
	v_fma_f32 v11, v150, v154, -v11
	v_add_f32_e32 v9, v9, v11
	v_mul_f32_e32 v11, v157, v161
	s_delay_alu instid0(VALU_DEP_1) | instskip(NEXT) | instid1(VALU_DEP_1)
	v_fma_f32 v11, v156, v160, -v11
	;; [unrolled: 4-line block ×25, first 2 shown]
	v_add_f32_e32 v9, v9, v11
	s_set_vgpr_msb 4                        ;  msbs: dst=0 src0=0 src1=1 src2=0
	v_mul_f32_e32 v11, v253, v1 /*v257*/
	s_delay_alu instid0(VALU_DEP_1) | instskip(SKIP_1) | instid1(VALU_DEP_1)
	v_fma_f32 v11, v252, v0 /*v256*/, -v11
	s_set_vgpr_msb 0                        ;  msbs: dst=0 src0=0 src1=0 src2=0
	v_add_f32_e32 v9, v9, v11
	s_set_vgpr_msb 4                        ;  msbs: dst=0 src0=0 src1=1 src2=0
	v_mul_f32_e32 v11, v255, v3 /*v259*/
	s_delay_alu instid0(VALU_DEP_1) | instskip(SKIP_1) | instid1(VALU_DEP_1)
	v_fma_f32 v11, v254, v2 /*v258*/, -v11
	s_set_vgpr_msb 0                        ;  msbs: dst=0 src0=0 src1=0 src2=0
	v_add_f32_e32 v9, v9, v11
	s_set_vgpr_msb 5                        ;  msbs: dst=0 src0=1 src1=1 src2=0
	v_mul_f32_e32 v11, v5 /*v261*/, v9 /*v265*/
	s_delay_alu instid0(VALU_DEP_1) | instskip(SKIP_1) | instid1(VALU_DEP_1)
	v_fma_f32 v11, v4 /*v260*/, v8 /*v264*/, -v11
	s_set_vgpr_msb 0                        ;  msbs: dst=0 src0=0 src1=0 src2=0
	v_add_f32_e32 v9, v9, v11
	s_set_vgpr_msb 5                        ;  msbs: dst=0 src0=1 src1=1 src2=0
	v_mul_f32_e32 v11, v7 /*v263*/, v11 /*v267*/
	s_delay_alu instid0(VALU_DEP_1) | instskip(SKIP_1) | instid1(VALU_DEP_1)
	v_fma_f32 v11, v6 /*v262*/, v10 /*v266*/, -v11
	;; [unrolled: 6-line block ×14, first 2 shown]
	s_set_vgpr_msb 64                       ;  msbs: dst=1 src0=0 src1=0 src2=0
	v_add_f32_e32 v84 /*v340*/, v9, v11
	s_set_vgpr_msb 5                        ;  msbs: dst=0 src0=1 src1=1 src2=0
	v_mul_f32_e32 v9, v61 /*v317*/, v65 /*v321*/
	s_set_vgpr_msb 0x45                     ;  msbs: dst=1 src0=1 src1=1 src2=0
	s_delay_alu instid0(VALU_DEP_1) | instskip(SKIP_3) | instid1(VALU_DEP_1)
	v_fma_f32 v86 /*v342*/, v60 /*v316*/, v64 /*v320*/, -v9
	s_set_vgpr_msb 5                        ;  msbs: dst=0 src0=1 src1=1 src2=0
	v_mul_f32_e32 v9, v63 /*v319*/, v67 /*v323*/
	s_set_vgpr_msb 0x45                     ;  msbs: dst=1 src0=1 src1=1 src2=0
	v_fma_f32 v88 /*v344*/, v62 /*v318*/, v66 /*v322*/, -v9
	s_set_vgpr_msb 5                        ;  msbs: dst=0 src0=1 src1=1 src2=0
	v_pk_add_f32 v[140:141], v[84:85] /*v[340:341]*/, v[86:87] /*v[342:343]*/
	s_set_vgpr_msb 4                        ;  msbs: dst=0 src0=0 src1=1 src2=0
	s_delay_alu instid0(VALU_DEP_1) | instskip(SKIP_1) | instid1(VALU_DEP_1)
	v_pk_add_f32 v[140:141], v[140:141], v[88:89] /*v[344:345]*/
	s_set_vgpr_msb 0                        ;  msbs: dst=0 src0=0 src1=0 src2=0
	v_pk_add_f32 v[124:125], v[140:141], v[144:145]
	v_dual_mov_b32 v140, v127 :: v_dual_mov_b32 v141, v126
	s_delay_alu instid0(VALU_DEP_1) | instskip(SKIP_1) | instid1(VALU_DEP_1)
	v_pk_mul_f32 v[140:141], v[140:141], v[142:143] op_sel_hi:[1,0]
	s_set_vgpr_msb 4                        ;  msbs: dst=0 src0=0 src1=1 src2=0
	v_pk_fma_f32 v[142:143], v[126:127], v[70:71] /*v[326:327]*/, v[140:141] neg_lo:[0,0,1] neg_hi:[0,0,1]
	v_pk_fma_f32 v[126:127], v[126:127], v[70:71] /*v[326:327]*/, v[140:141] op_sel_hi:[1,0,1]
	s_delay_alu instid0(VALU_DEP_1) | instskip(SKIP_3) | instid1(VALU_DEP_2)
	v_mov_b32_e32 v143, v127
	s_wait_loadcnt_dscnt 0x202
	v_pk_mul_f32 v[126:127], v[128:129], v[72:73] /*v[328:329]*/ op_sel:[1,1] op_sel_hi:[0,1]
	s_set_vgpr_msb 0                        ;  msbs: dst=0 src0=0 src1=0 src2=0
	v_pk_add_f32 v[124:125], v[124:125], v[142:143]
	s_set_vgpr_msb 4                        ;  msbs: dst=0 src0=0 src1=1 src2=0
	s_delay_alu instid0(VALU_DEP_2)
	v_pk_fma_f32 v[140:141], v[128:129], v[72:73] /*v[328:329]*/, v[126:127] neg_lo:[0,0,1] neg_hi:[0,0,1]
	v_pk_fma_f32 v[126:127], v[128:129], v[72:73] /*v[328:329]*/, v[126:127] op_sel_hi:[1,0,1]
	v_mov_b32_e32 v126, v131
	s_set_vgpr_msb 1                        ;  msbs: dst=0 src0=1 src1=0 src2=0
	v_mov_b32_e32 v128, v75 /*v331*/
	s_set_vgpr_msb 0                        ;  msbs: dst=0 src0=0 src1=0 src2=0
	v_dual_mov_b32 v141, v127 :: v_dual_mov_b32 v127, v130
	s_delay_alu instid0(VALU_DEP_1) | instskip(NEXT) | instid1(VALU_DEP_2)
	v_pk_add_f32 v[124:125], v[124:125], v[140:141]
	v_pk_mul_f32 v[126:127], v[126:127], v[128:129] op_sel_hi:[1,0]
	s_set_vgpr_msb 4                        ;  msbs: dst=0 src0=0 src1=1 src2=0
	s_delay_alu instid0(VALU_DEP_1) | instskip(SKIP_1) | instid1(VALU_DEP_1)
	v_pk_fma_f32 v[128:129], v[130:131], v[74:75] /*v[330:331]*/, v[126:127] neg_lo:[0,0,1] neg_hi:[0,0,1]
	v_pk_fma_f32 v[126:127], v[130:131], v[74:75] /*v[330:331]*/, v[126:127] op_sel_hi:[1,0,1]
	v_mov_b32_e32 v129, v127
	s_wait_loadcnt_dscnt 0x101
	v_pk_mul_f32 v[126:127], v[132:133], v[76:77] /*v[332:333]*/ op_sel:[1,1] op_sel_hi:[0,1]
	s_set_vgpr_msb 0                        ;  msbs: dst=0 src0=0 src1=0 src2=0
	s_delay_alu instid0(VALU_DEP_2) | instskip(SKIP_1) | instid1(VALU_DEP_2)
	v_pk_add_f32 v[124:125], v[124:125], v[128:129]
	s_set_vgpr_msb 4                        ;  msbs: dst=0 src0=0 src1=1 src2=0
	v_pk_fma_f32 v[128:129], v[132:133], v[76:77] /*v[332:333]*/, v[126:127] neg_lo:[0,0,1] neg_hi:[0,0,1]
	v_pk_fma_f32 v[126:127], v[132:133], v[76:77] /*v[332:333]*/, v[126:127] op_sel_hi:[1,0,1]
	s_delay_alu instid0(VALU_DEP_1) | instskip(SKIP_2) | instid1(VALU_DEP_2)
	v_dual_mov_b32 v126, v135 :: v_dual_mov_b32 v129, v127
	v_mov_b32_e32 v127, v134
	s_set_vgpr_msb 0                        ;  msbs: dst=0 src0=0 src1=0 src2=0
	v_pk_add_f32 v[124:125], v[124:125], v[128:129]
	s_set_vgpr_msb 1                        ;  msbs: dst=0 src0=1 src1=0 src2=0
	v_mov_b32_e32 v128, v79 /*v335*/
	s_set_vgpr_msb 0                        ;  msbs: dst=0 src0=0 src1=0 src2=0
	s_delay_alu instid0(VALU_DEP_1) | instskip(SKIP_1) | instid1(VALU_DEP_1)
	v_pk_mul_f32 v[126:127], v[126:127], v[128:129] op_sel_hi:[1,0]
	s_set_vgpr_msb 4                        ;  msbs: dst=0 src0=0 src1=1 src2=0
	v_pk_fma_f32 v[128:129], v[134:135], v[78:79] /*v[334:335]*/, v[126:127] neg_lo:[0,0,1] neg_hi:[0,0,1]
	v_pk_fma_f32 v[126:127], v[134:135], v[78:79] /*v[334:335]*/, v[126:127] op_sel_hi:[1,0,1]
	s_delay_alu instid0(VALU_DEP_1) | instskip(SKIP_3) | instid1(VALU_DEP_2)
	v_mov_b32_e32 v129, v127
	s_wait_loadcnt_dscnt 0x0
	v_pk_mul_f32 v[126:127], v[136:137], v[80:81] /*v[336:337]*/ op_sel:[1,1] op_sel_hi:[0,1]
	s_set_vgpr_msb 0                        ;  msbs: dst=0 src0=0 src1=0 src2=0
	v_pk_add_f32 v[124:125], v[124:125], v[128:129]
	s_set_vgpr_msb 4                        ;  msbs: dst=0 src0=0 src1=1 src2=0
	s_delay_alu instid0(VALU_DEP_2) | instskip(SKIP_1) | instid1(VALU_DEP_1)
	v_pk_fma_f32 v[128:129], v[136:137], v[80:81] /*v[336:337]*/, v[126:127] neg_lo:[0,0,1] neg_hi:[0,0,1]
	v_pk_fma_f32 v[126:127], v[136:137], v[80:81] /*v[336:337]*/, v[126:127] op_sel_hi:[1,0,1]
	v_dual_mov_b32 v126, v139 :: v_dual_mov_b32 v129, v127
	v_mov_b32_e32 v127, v138
	s_set_vgpr_msb 0                        ;  msbs: dst=0 src0=0 src1=0 src2=0
	s_delay_alu instid0(VALU_DEP_2) | instskip(SKIP_3) | instid1(VALU_DEP_1)
	v_pk_add_f32 v[124:125], v[124:125], v[128:129]
	s_set_vgpr_msb 1                        ;  msbs: dst=0 src0=1 src1=0 src2=0
	v_mov_b32_e32 v128, v83 /*v339*/
	s_set_vgpr_msb 0                        ;  msbs: dst=0 src0=0 src1=0 src2=0
	v_pk_mul_f32 v[126:127], v[126:127], v[128:129] op_sel_hi:[1,0]
	s_set_vgpr_msb 4                        ;  msbs: dst=0 src0=0 src1=1 src2=0
	s_delay_alu instid0(VALU_DEP_1) | instskip(SKIP_1) | instid1(VALU_DEP_1)
	v_pk_fma_f32 v[128:129], v[138:139], v[82:83] /*v[338:339]*/, v[126:127] neg_lo:[0,0,1] neg_hi:[0,0,1]
	v_pk_fma_f32 v[126:127], v[138:139], v[82:83] /*v[338:339]*/, v[126:127] op_sel_hi:[1,0,1]
	v_mov_b32_e32 v129, v127
	scratch_load_b64 v[126:127], off, off offset:16
	s_set_vgpr_msb 0                        ;  msbs: dst=0 src0=0 src1=0 src2=0
	v_pk_add_f32 v[124:125], v[124:125], v[128:129]
	s_wait_loadcnt 0x0
	s_delay_alu instid0(VALU_DEP_1)
	v_pk_add_f32 v[124:125], v[126:127], v[124:125] neg_lo:[0,1] neg_hi:[0,1]
	scratch_store_b64 off, v[124:125], off offset:16
	s_wait_xcnt 0x0
	v_cmpx_lt_u32_e32 1, v0
	s_cbranch_execz .LBB60_377
; %bb.376:
	scratch_load_b64 v[124:125], off, off offset:8
	v_mov_b64_e32 v[126:127], 0
	scratch_store_b64 off, v[126:127], off offset:8
	s_wait_loadcnt 0x0
	ds_store_b64 v1, v[124:125]
.LBB60_377:
	s_wait_xcnt 0x0
	s_or_b32 exec_lo, exec_lo, s0
	s_wait_storecnt_dscnt 0x0
	s_barrier_signal -1
	s_barrier_wait -1
	s_clause 0x1f
	scratch_load_b128 v[126:129], off, off offset:16
	scratch_load_b128 v[130:133], off, off offset:32
	;; [unrolled: 1-line block ×29, first 2 shown]
	s_set_vgpr_msb 64                       ;  msbs: dst=1 src0=0 src1=0 src2=0
	scratch_load_b64 v[102:103] /*v[358:359]*/, off, off offset:480
	scratch_load_b64 v[104:105] /*v[360:361]*/, off, off offset:8
	s_set_vgpr_msb 0                        ;  msbs: dst=0 src0=0 src1=0 src2=0
	v_dual_mov_b32 v124, 0 :: v_dual_ashrrev_i32 v99, 31, v98
	ds_load_b128 v[242:245], v124 offset:512
	ds_load_b128 v[246:249], v124 offset:528
	;; [unrolled: 1-line block ×4, first 2 shown]
	s_set_vgpr_msb 64                       ;  msbs: dst=1 src0=0 src1=0 src2=0
	ds_load_b128 v[2:5] /*v[258:261]*/, v124 offset:576
	ds_load_b128 v[6:9] /*v[262:265]*/, v124 offset:592
	;; [unrolled: 1-line block ×25, first 2 shown]
	ds_load_b64 v[106:107] /*v[362:363]*/, v124 offset:976
	s_wait_dscnt 0x14
	s_set_vgpr_msb 0x41                     ;  msbs: dst=1 src0=1 src1=0 src2=0
	v_dual_mov_b32 v108 /*v364*/, v25 /*v281*/ :: v_dual_mov_b32 v109 /*v365*/, v24 /*v280*/
	s_wait_dscnt 0x11
	v_dual_mov_b32 v110 /*v366*/, v37 /*v293*/ :: v_dual_mov_b32 v111 /*v367*/, v36 /*v292*/
	s_wait_dscnt 0x10
	v_dual_mov_b32 v112 /*v368*/, v41 /*v297*/ :: v_dual_mov_b32 v113 /*v369*/, v40 /*v296*/
	s_wait_dscnt 0xd
	v_dual_mov_b32 v114 /*v370*/, v53 /*v309*/ :: v_dual_mov_b32 v115 /*v371*/, v52 /*v308*/
	s_set_vgpr_msb 0                        ;  msbs: dst=0 src0=0 src1=0 src2=0
	v_dual_ashrrev_i32 v7, 31, v6 :: v_dual_ashrrev_i32 v9, 31, v8
	v_dual_ashrrev_i32 v11, 31, v10 :: v_dual_ashrrev_i32 v13, 31, v12
	;; [unrolled: 1-line block ×23, first 2 shown]
	s_mov_b32 s0, exec_lo
	s_wait_loadcnt 0x1e
	v_dual_mul_f32 v101, v242, v127 :: v_dual_mul_f32 v103, v244, v129
	v_dual_mul_f32 v105, v243, v127 :: v_dual_mul_f32 v107, v245, v129
	s_wait_loadcnt 0x1d
	v_dual_mul_f32 v109, v246, v131 :: v_dual_mul_f32 v111, v248, v133
	s_delay_alu instid0(VALU_DEP_3) | instskip(NEXT) | instid1(VALU_DEP_3)
	v_dual_fmac_f32 v101, v243, v126 :: v_dual_fmac_f32 v103, v245, v128
	v_dual_fma_f32 v105, v242, v126, -v105 :: v_dual_fma_f32 v107, v244, v128, -v107
	v_dual_mul_f32 v117, v247, v131 :: v_dual_mul_f32 v119, v249, v133
	s_delay_alu instid0(VALU_DEP_3) | instskip(NEXT) | instid1(VALU_DEP_2)
	v_dual_add_f32 v101, 0, v101 :: v_dual_fmac_f32 v109, v247, v130
	v_dual_add_f32 v105, 0, v105 :: v_dual_fma_f32 v117, v246, v130, -v117
	s_wait_loadcnt 0x1c
	v_dual_mul_f32 v113, v250, v135 :: v_dual_mul_f32 v115, v252, v137
	s_delay_alu instid0(VALU_DEP_3) | instskip(NEXT) | instid1(VALU_DEP_3)
	v_add_f32_e32 v101, v101, v103
	v_add_f32_e32 v103, v105, v107
	v_dual_mul_f32 v121, v251, v135 :: v_dual_mul_f32 v123, v253, v137
	s_delay_alu instid0(VALU_DEP_4) | instskip(NEXT) | instid1(VALU_DEP_3)
	v_dual_fma_f32 v107, v248, v132, -v119 :: v_dual_fmac_f32 v113, v251, v134
	v_dual_fmac_f32 v111, v249, v132 :: v_dual_add_f32 v103, v103, v117
	s_delay_alu instid0(VALU_DEP_3) | instskip(SKIP_2) | instid1(VALU_DEP_3)
	v_dual_add_f32 v101, v101, v109 :: v_dual_fma_f32 v117, v250, v134, -v121
	s_wait_loadcnt 0x1b
	v_dual_mul_f32 v125, v254, v139 :: v_dual_mul_f32 v133, v255, v139
	v_dual_add_f32 v103, v103, v107 :: v_dual_fmac_f32 v115, v253, v136
	s_delay_alu instid0(VALU_DEP_3)
	v_dual_add_f32 v101, v101, v111 :: v_dual_fma_f32 v111, v252, v136, -v123
	s_set_vgpr_msb 1                        ;  msbs: dst=0 src0=1 src1=0 src2=0
	v_mul_f32_e32 v135, v1 /*v257*/, v141
	s_set_vgpr_msb 0                        ;  msbs: dst=0 src0=0 src1=0 src2=0
	v_dual_add_f32 v103, v103, v117 :: v_dual_fma_f32 v117, v254, v138, -v133
	v_dual_add_f32 v101, v101, v113 :: v_dual_fmac_f32 v125, v255, v138
	s_wait_loadcnt 0x1a
	s_set_vgpr_msb 1                        ;  msbs: dst=0 src0=1 src1=0 src2=0
	v_dual_mul_f32 v127, v0 /*v256*/, v141 :: v_dual_mul_f32 v129, v2 /*v258*/, v143
	s_set_vgpr_msb 0                        ;  msbs: dst=0 src0=0 src1=0 src2=0
	v_add_f32_e32 v103, v103, v111
	s_set_vgpr_msb 1                        ;  msbs: dst=0 src0=1 src1=0 src2=0
	v_dual_mul_f32 v131, v4 /*v260*/, v145 :: v_dual_mul_f32 v137, v3 /*v259*/, v143
	s_wait_loadcnt 0x19
	v_mul_f32_e32 v141, v6 /*v262*/, v147
	s_set_vgpr_msb 0                        ;  msbs: dst=0 src0=0 src1=0 src2=0
	v_dual_add_f32 v101, v101, v115 :: v_dual_add_f32 v103, v103, v117
	s_set_vgpr_msb 1                        ;  msbs: dst=0 src0=1 src1=0 src2=0
	v_dual_fma_f32 v115, v0 /*v256*/, v140, -v135 :: v_dual_fmac_f32 v129, v3 /*v259*/, v142
	v_dual_mul_f32 v139, v5 /*v261*/, v145 :: v_dual_mul_f32 v145, v7 /*v263*/, v147
	s_wait_loadcnt_dscnt 0x802
	v_dual_fmac_f32 v127, v1 /*v257*/, v140 :: v_dual_mul_f32 v117, v96 /*v352*/, v217
	s_set_vgpr_msb 0                        ;  msbs: dst=0 src0=0 src1=0 src2=0
	v_add_f32_e32 v101, v101, v125
	s_set_vgpr_msb 1                        ;  msbs: dst=0 src0=1 src1=0 src2=0
	v_dual_fma_f32 v119, v2 /*v258*/, v142, -v137 :: v_dual_fmac_f32 v131, v5 /*v261*/, v144
	s_set_vgpr_msb 0                        ;  msbs: dst=0 src0=0 src1=0 src2=0
	v_add_f32_e32 v103, v103, v115
	s_wait_loadcnt_dscnt 0x701
	s_set_vgpr_msb 1                        ;  msbs: dst=0 src0=1 src1=0 src2=0
	v_dual_mul_f32 v115, v98 /*v354*/, v219 :: v_dual_fma_f32 v121, v4 /*v260*/, v144, -v139
	v_dual_fmac_f32 v141, v7 /*v263*/, v146 :: v_dual_mul_f32 v143, v8 /*v264*/, v149
	v_mul_f32_e32 v147, v9 /*v265*/, v149
	s_set_vgpr_msb 0                        ;  msbs: dst=0 src0=0 src1=0 src2=0
	v_add_f32_e32 v103, v103, v119
	v_add_f32_e32 v101, v101, v127
	s_set_vgpr_msb 1                        ;  msbs: dst=0 src0=1 src1=0 src2=0
	v_dual_mul_f32 v149, v10 /*v266*/, v151 :: v_dual_mul_f32 v151, v11 /*v267*/, v151
	v_dual_mul_f32 v119, v100 /*v356*/, v221 :: v_dual_fma_f32 v123, v6 /*v262*/, v146, -v145
	s_set_vgpr_msb 0                        ;  msbs: dst=0 src0=0 src1=0 src2=0
	v_add_f32_e32 v103, v103, v121
	v_add_f32_e32 v101, v101, v129
	s_set_vgpr_msb 1                        ;  msbs: dst=0 src0=1 src1=0 src2=0
	v_dual_fma_f32 v125, v8 /*v264*/, v148, -v147 :: v_dual_fmac_f32 v149, v11 /*v267*/, v150
	s_set_vgpr_msb 0x41                     ;  msbs: dst=1 src0=1 src1=0 src2=0
	v_dual_mul_f32 v116 /*v372*/, v12 /*v268*/, v153 :: v_dual_mul_f32 v117 /*v373*/, v14 /*v270*/, v155
	s_set_vgpr_msb 0                        ;  msbs: dst=0 src0=0 src1=0 src2=0
	v_add_f32_e32 v103, v103, v123
	v_add_f32_e32 v101, v101, v131
	s_set_vgpr_msb 1                        ;  msbs: dst=0 src0=1 src1=0 src2=0
	v_dual_mul_f32 v153, v13 /*v269*/, v153 :: v_dual_mul_f32 v155, v15 /*v271*/, v155
	s_set_vgpr_msb 0x41                     ;  msbs: dst=1 src0=1 src1=0 src2=0
	v_dual_mul_f32 v120 /*v376*/, v28 /*v284*/, v161 :: v_dual_mul_f32 v121 /*v377*/, v30 /*v286*/, v163
	s_set_vgpr_msb 1                        ;  msbs: dst=0 src0=1 src1=0 src2=0
	v_dual_mul_f32 v161, v29 /*v285*/, v161 :: v_dual_mul_f32 v126, v86 /*v342*/, v207
	s_wait_loadcnt 0x6
	v_dual_mul_f32 v121, v18 /*v274*/, v223 :: v_dual_fmac_f32 v143, v9 /*v265*/, v148
	v_dual_mul_f32 v127, v20 /*v276*/, v225 :: v_dual_fma_f32 v123, v10 /*v266*/, v150, -v151
	s_set_vgpr_msb 0                        ;  msbs: dst=0 src0=0 src1=0 src2=0
	v_add_f32_e32 v103, v103, v125
	v_add_f32_e32 v101, v101, v141
	s_set_vgpr_msb 1                        ;  msbs: dst=0 src0=1 src1=0 src2=0
	v_dual_fma_f32 v125, v12 /*v268*/, v152, -v153 :: v_dual_fmac_f32 v126, v87 /*v343*/, v206
	s_set_vgpr_msb 0x41                     ;  msbs: dst=1 src0=1 src1=0 src2=0
	v_dual_mul_f32 v142 /*v398*/, v84 /*v340*/, v205 :: v_dual_fmac_f32 v116 /*v372*/, v13 /*v269*/, v152
	s_set_vgpr_msb 0                        ;  msbs: dst=0 src0=0 src1=0 src2=0
	v_add_f32_e32 v103, v103, v123
	v_add_f32_e32 v101, v101, v143
	s_set_vgpr_msb 0x41                     ;  msbs: dst=1 src0=1 src1=0 src2=0
	v_dual_mul_f32 v118 /*v374*/, v16 /*v272*/, v157 :: v_dual_mul_f32 v119 /*v375*/, v26 /*v282*/, v159
	v_fmac_f32_e32 v117 /*v373*/, v15 /*v271*/, v154
	s_set_vgpr_msb 0                        ;  msbs: dst=0 src0=0 src1=0 src2=0
	v_add_f32_e32 v103, v103, v125
	v_add_f32_e32 v101, v101, v149
	s_set_vgpr_msb 0x41                     ;  msbs: dst=1 src0=1 src1=0 src2=0
	v_dual_fmac_f32 v118 /*v374*/, v17 /*v273*/, v156 :: v_dual_fmac_f32 v119 /*v375*/, v27 /*v283*/, v158
	v_dual_fmac_f32 v120 /*v376*/, v29 /*v285*/, v160 :: v_dual_mul_f32 v122 /*v378*/, v32 /*v288*/, v165
	v_mul_f32_e32 v123 /*v379*/, v42 /*v298*/, v167
	s_set_vgpr_msb 4                        ;  msbs: dst=0 src0=0 src1=1 src2=0
	v_add_f32_e32 v101, v101, v116 /*v372*/
	s_set_vgpr_msb 0x41                     ;  msbs: dst=1 src0=1 src1=0 src2=0
	v_dual_fmac_f32 v121 /*v377*/, v31 /*v287*/, v162 :: v_dual_mul_f32 v124 /*v380*/, v44 /*v300*/, v169
	v_dual_mul_f32 v125 /*v381*/, v46 /*v302*/, v171 :: v_dual_fmac_f32 v122 /*v378*/, v33 /*v289*/, v164
	s_set_vgpr_msb 4                        ;  msbs: dst=0 src0=0 src1=1 src2=0
	v_add_f32_e32 v101, v101, v117 /*v373*/
	s_set_vgpr_msb 0x41                     ;  msbs: dst=1 src0=1 src1=0 src2=0
	v_dual_fmac_f32 v123 /*v379*/, v43 /*v299*/, v166 :: v_dual_fmac_f32 v124 /*v380*/, v45 /*v301*/, v168
	v_dual_mul_f32 v126 /*v382*/, v48 /*v304*/, v173 :: v_dual_mul_f32 v127 /*v383*/, v54 /*v310*/, v175
	s_set_vgpr_msb 4                        ;  msbs: dst=0 src0=0 src1=1 src2=0
	v_add_f32_e32 v101, v101, v118 /*v374*/
	s_set_vgpr_msb 0x41                     ;  msbs: dst=1 src0=1 src1=0 src2=0
	v_dual_fmac_f32 v125 /*v381*/, v47 /*v303*/, v170 :: v_dual_mul_f32 v128 /*v384*/, v56 /*v312*/, v177
	v_dual_mul_f32 v129 /*v385*/, v58 /*v314*/, v179 :: v_dual_fmac_f32 v126 /*v382*/, v49 /*v305*/, v172
	s_set_vgpr_msb 4                        ;  msbs: dst=0 src0=0 src1=1 src2=0
	v_add_f32_e32 v101, v101, v119 /*v375*/
	s_set_vgpr_msb 0x41                     ;  msbs: dst=1 src0=1 src1=0 src2=0
	v_dual_fmac_f32 v127 /*v383*/, v55 /*v311*/, v174 :: v_dual_fmac_f32 v128 /*v384*/, v57 /*v313*/, v176
	v_dual_mul_f32 v130 /*v386*/, v60 /*v316*/, v181 :: v_dual_mul_f32 v131 /*v387*/, v62 /*v318*/, v183
	;; [unrolled: 10-line block ×4, first 2 shown]
	s_set_vgpr_msb 4                        ;  msbs: dst=0 src0=0 src1=1 src2=0
	v_add_f32_e32 v101, v101, v124 /*v380*/
	s_set_vgpr_msb 0x41                     ;  msbs: dst=1 src0=1 src1=0 src2=0
	v_dual_fmac_f32 v137 /*v393*/, v75 /*v331*/, v194 :: v_dual_mul_f32 v140 /*v396*/, v80 /*v336*/, v201
	v_dual_mul_f32 v141 /*v397*/, v82 /*v338*/, v203 :: v_dual_fmac_f32 v138 /*v394*/, v77 /*v333*/, v196
	s_set_vgpr_msb 4                        ;  msbs: dst=0 src0=0 src1=1 src2=0
	v_add_f32_e32 v101, v101, v125 /*v381*/
	s_set_vgpr_msb 0x41                     ;  msbs: dst=1 src0=1 src1=0 src2=0
	v_dual_fmac_f32 v139 /*v395*/, v79 /*v335*/, v198 :: v_dual_fmac_f32 v140 /*v396*/, v81 /*v337*/, v200
	v_dual_fmac_f32 v141 /*v397*/, v83 /*v339*/, v202 :: v_dual_fmac_f32 v142 /*v398*/, v85 /*v341*/, v204
	s_set_vgpr_msb 4                        ;  msbs: dst=0 src0=0 src1=1 src2=0
	v_add_f32_e32 v101, v101, v126 /*v382*/
	s_set_vgpr_msb 1                        ;  msbs: dst=0 src0=1 src1=0 src2=0
	v_dual_mul_f32 v157, v17 /*v273*/, v157 :: v_dual_mul_f32 v159, v27 /*v283*/, v159
	v_dual_mul_f32 v128, v88 /*v344*/, v209 :: v_dual_mul_f32 v105, v90 /*v346*/, v211
	s_set_vgpr_msb 4                        ;  msbs: dst=0 src0=0 src1=1 src2=0
	v_add_f32_e32 v101, v101, v127 /*v383*/
	s_set_vgpr_msb 1                        ;  msbs: dst=0 src0=1 src1=0 src2=0
	v_dual_mul_f32 v123, v43 /*v299*/, v167 :: v_dual_fma_f32 v130, v14 /*v270*/, v154, -v155
	v_fma_f32 v131, v16 /*v272*/, v156, -v157
	v_fmac_f32_e32 v128, v89 /*v345*/, v208
	s_set_vgpr_msb 4                        ;  msbs: dst=0 src0=0 src1=1 src2=0
	v_add_f32_e32 v101, v101, v128 /*v384*/
	s_set_vgpr_msb 1                        ;  msbs: dst=0 src0=1 src1=0 src2=0
	v_dual_mul_f32 v109, v92 /*v348*/, v213 :: v_dual_mul_f32 v107, v94 /*v350*/, v215
	v_fma_f32 v132, v26 /*v282*/, v158, -v159
	v_fmac_f32_e32 v105, v91 /*v347*/, v210
	s_set_vgpr_msb 4                        ;  msbs: dst=0 src0=0 src1=1 src2=0
	v_add_f32_e32 v101, v101, v129 /*v385*/
	s_set_vgpr_msb 1                        ;  msbs: dst=0 src0=1 src1=0 src2=0
	v_dual_mul_f32 v113, v31 /*v287*/, v163 :: v_dual_mul_f32 v111, v33 /*v289*/, v165
	v_fma_f32 v133, v28 /*v284*/, v160, -v161
	v_fmac_f32_e32 v109, v93 /*v349*/, v212
	s_set_vgpr_msb 4                        ;  msbs: dst=0 src0=0 src1=1 src2=0
	v_add_f32_e32 v101, v101, v130 /*v386*/
	s_set_vgpr_msb 1                        ;  msbs: dst=0 src0=1 src1=0 src2=0
	v_dual_fma_f32 v113, v30 /*v286*/, v162, -v113 :: v_dual_fma_f32 v111, v32 /*v288*/, v164, -v111
	v_dual_fmac_f32 v107, v95 /*v351*/, v214 :: v_dual_fmac_f32 v117, v97 /*v353*/, v216
	s_set_vgpr_msb 4                        ;  msbs: dst=0 src0=0 src1=1 src2=0
	v_add_f32_e32 v101, v101, v131 /*v387*/
	s_wait_loadcnt 0x5
	s_set_vgpr_msb 1                        ;  msbs: dst=0 src0=1 src1=0 src2=0
	v_dual_mul_f32 v129, v22 /*v278*/, v227 :: v_dual_mul_f32 v125, v45 /*v301*/, v169
	v_fma_f32 v123, v42 /*v298*/, v166, -v123
	v_fmac_f32_e32 v115, v99 /*v355*/, v218
	s_set_vgpr_msb 4                        ;  msbs: dst=0 src0=0 src1=1 src2=0
	v_add_f32_e32 v101, v101, v132 /*v388*/
	s_set_vgpr_msb 1                        ;  msbs: dst=0 src0=1 src1=0 src2=0
	v_dual_fmac_f32 v119, v101 /*v357*/, v220 :: v_dual_fmac_f32 v121, v19 /*v275*/, v222
	v_fma_f32 v125, v44 /*v300*/, v168, -v125
	s_wait_loadcnt 0x3
	s_set_vgpr_msb 4                        ;  msbs: dst=0 src0=0 src1=1 src2=0
	v_mov_b32_e32 v140, v237
	v_add_f32_e32 v101, v101, v133 /*v389*/
	s_set_vgpr_msb 1                        ;  msbs: dst=0 src0=1 src1=0 src2=0
	v_mul_f32_e32 v134, v99 /*v355*/, v219
	s_delay_alu instid0(VALU_DEP_3) | instskip(SKIP_2) | instid1(VALU_DEP_1)
	v_pk_mul_f32 v[140:141], v[112:113] /*v[368:369]*/, v[140:141] op_sel_hi:[1,0]
	s_set_vgpr_msb 4                        ;  msbs: dst=0 src0=0 src1=1 src2=0
	v_add_f32_e32 v101, v101, v134 /*v390*/
	v_add_f32_e32 v101, v101, v135 /*v391*/
	s_delay_alu instid0(VALU_DEP_1) | instskip(NEXT) | instid1(VALU_DEP_1)
	v_add_f32_e32 v101, v101, v136 /*v392*/
	v_add_f32_e32 v101, v101, v137 /*v393*/
	s_delay_alu instid0(VALU_DEP_1) | instskip(NEXT) | instid1(VALU_DEP_1)
	;; [unrolled: 3-line block ×3, first 2 shown]
	v_add_f32_e32 v101, v101, v140 /*v396*/
	v_add_f32_e32 v101, v101, v141 /*v397*/
	s_delay_alu instid0(VALU_DEP_1) | instskip(SKIP_1) | instid1(VALU_DEP_1)
	v_add_f32_e32 v101, v101, v142 /*v398*/
	s_set_vgpr_msb 0                        ;  msbs: dst=0 src0=0 src1=0 src2=0
	v_add_f32_e32 v101, v101, v126
	s_set_vgpr_msb 1                        ;  msbs: dst=0 src0=1 src1=0 src2=0
	v_mul_f32_e32 v126, v19 /*v275*/, v223
	s_set_vgpr_msb 0                        ;  msbs: dst=0 src0=0 src1=0 src2=0
	v_add_f32_e32 v103, v103, v130
	s_set_vgpr_msb 1                        ;  msbs: dst=0 src0=1 src1=0 src2=0
	v_mul_f32_e32 v130, v47 /*v303*/, v171
	s_set_vgpr_msb 0                        ;  msbs: dst=0 src0=0 src1=0 src2=0
	v_add_f32_e32 v101, v101, v128
	v_dual_mov_b32 v128, v229 :: v_dual_add_f32 v103, v103, v131
	s_set_vgpr_msb 1                        ;  msbs: dst=0 src0=1 src1=0 src2=0
	v_dual_mul_f32 v131, v49 /*v305*/, v173 :: v_dual_fma_f32 v130, v46 /*v302*/, v170, -v130
	s_set_vgpr_msb 0                        ;  msbs: dst=0 src0=0 src1=0 src2=0
	v_add_f32_e32 v101, v101, v105
	s_set_vgpr_msb 1                        ;  msbs: dst=0 src0=1 src1=0 src2=0
	v_mul_f32_e32 v105, v23 /*v279*/, v227
	s_set_vgpr_msb 0                        ;  msbs: dst=0 src0=0 src1=0 src2=0
	v_add_f32_e32 v103, v103, v132
	s_set_vgpr_msb 1                        ;  msbs: dst=0 src0=1 src1=0 src2=0
	v_dual_mul_f32 v132, v55 /*v311*/, v175 :: v_dual_fma_f32 v131, v48 /*v304*/, v172, -v131
	s_set_vgpr_msb 0                        ;  msbs: dst=0 src0=0 src1=0 src2=0
	v_add_f32_e32 v101, v101, v109
	s_set_vgpr_msb 1                        ;  msbs: dst=0 src0=1 src1=0 src2=0
	v_pk_mul_f32 v[136:137], v[108:109] /*v[364:365]*/, v[128:129] op_sel_hi:[1,0]
	s_set_vgpr_msb 0                        ;  msbs: dst=0 src0=0 src1=0 src2=0
	v_add_f32_e32 v103, v103, v133
	s_set_vgpr_msb 1                        ;  msbs: dst=0 src0=1 src1=0 src2=0
	v_dual_mul_f32 v133, v57 /*v313*/, v177 :: v_dual_fma_f32 v132, v54 /*v310*/, v174, -v132
	s_set_vgpr_msb 0                        ;  msbs: dst=0 src0=0 src1=0 src2=0
	v_add_f32_e32 v101, v101, v107
	s_set_vgpr_msb 1                        ;  msbs: dst=0 src0=1 src1=0 src2=0
	v_fma_f32 v128, v22 /*v278*/, v226, -v105
	s_set_vgpr_msb 0                        ;  msbs: dst=0 src0=0 src1=0 src2=0
	v_add_f32_e32 v103, v103, v113
	s_set_vgpr_msb 1                        ;  msbs: dst=0 src0=1 src1=0 src2=0
	v_dual_mul_f32 v113, v59 /*v315*/, v179 :: v_dual_fma_f32 v133, v56 /*v312*/, v176, -v133
	s_set_vgpr_msb 0                        ;  msbs: dst=0 src0=0 src1=0 src2=0
	v_dual_add_f32 v101, v101, v117 :: v_dual_ashrrev_i32 v105, 31, v104
	v_add_f32_e32 v103, v103, v111
	s_set_vgpr_msb 1                        ;  msbs: dst=0 src0=1 src1=0 src2=0
	v_dual_mul_f32 v111, v61 /*v317*/, v181 :: v_dual_fma_f32 v113, v58 /*v314*/, v178, -v113
	s_set_vgpr_msb 0                        ;  msbs: dst=0 src0=0 src1=0 src2=0
	v_add_f32_e32 v101, v101, v115
	s_set_vgpr_msb 1                        ;  msbs: dst=0 src0=1 src1=0 src2=0
	v_fmac_f32_e32 v129, v23 /*v279*/, v226
	s_set_vgpr_msb 0                        ;  msbs: dst=0 src0=0 src1=0 src2=0
	v_add_f32_e32 v103, v103, v123
	s_set_vgpr_msb 1                        ;  msbs: dst=0 src0=1 src1=0 src2=0
	v_dual_mul_f32 v123, v63 /*v319*/, v183 :: v_dual_fma_f32 v111, v60 /*v316*/, v180, -v111
	s_set_vgpr_msb 0                        ;  msbs: dst=0 src0=0 src1=0 src2=0
	v_add_f32_e32 v101, v101, v119
	s_set_vgpr_msb 1                        ;  msbs: dst=0 src0=1 src1=0 src2=0
	v_pk_fma_f32 v[142:143], v[24:25] /*v[280:281]*/, v[228:229], v[136:137] op_sel_hi:[1,0,1]
	s_set_vgpr_msb 0                        ;  msbs: dst=0 src0=0 src1=0 src2=0
	v_add_f32_e32 v103, v103, v125
	s_set_vgpr_msb 1                        ;  msbs: dst=0 src0=1 src1=0 src2=0
	v_dual_mul_f32 v125, v65 /*v321*/, v185 :: v_dual_fma_f32 v123, v62 /*v318*/, v182, -v123
	s_set_vgpr_msb 0                        ;  msbs: dst=0 src0=0 src1=0 src2=0
	v_dual_add_f32 v139, v101, v121 :: v_dual_ashrrev_i32 v101, 31, v100
	v_add_f32_e32 v103, v103, v130
	s_set_vgpr_msb 1                        ;  msbs: dst=0 src0=1 src1=0 src2=0
	v_dual_mul_f32 v130, v67 /*v323*/, v187 :: v_dual_fma_f32 v125, v64 /*v320*/, v184, -v125
	v_pk_fma_f32 v[136:137], v[24:25] /*v[280:281]*/, v[228:229], v[136:137] neg_lo:[0,0,1] neg_hi:[0,0,1]
	s_set_vgpr_msb 0                        ;  msbs: dst=0 src0=0 src1=0 src2=0
	v_mov_b32_e32 v137, v143
	v_add_f32_e32 v103, v103, v131
	s_set_vgpr_msb 1                        ;  msbs: dst=0 src0=1 src1=0 src2=0
	v_dual_mul_f32 v131, v69 /*v325*/, v189 :: v_dual_fma_f32 v130, v66 /*v322*/, v186, -v130
	v_fma_f32 v107, v98 /*v354*/, v218, -v134
	s_set_vgpr_msb 0                        ;  msbs: dst=0 src0=0 src1=0 src2=0
	v_dual_ashrrev_i32 v115, 31, v114 :: v_dual_add_f32 v103, v103, v132
	s_set_vgpr_msb 1                        ;  msbs: dst=0 src0=1 src1=0 src2=0
	v_dual_mul_f32 v132, v71 /*v327*/, v191 :: v_dual_fma_f32 v131, v68 /*v324*/, v188, -v131
	v_dual_ashrrev_i32 v117, 31, v116 :: v_dual_ashrrev_i32 v119, 31, v118
	s_set_vgpr_msb 0                        ;  msbs: dst=0 src0=0 src1=0 src2=0
	v_add_f32_e32 v103, v103, v133
	s_set_vgpr_msb 1                        ;  msbs: dst=0 src0=1 src1=0 src2=0
	v_dual_mul_f32 v133, v73 /*v329*/, v193 :: v_dual_fma_f32 v132, v70 /*v326*/, v190, -v132
	s_set_vgpr_msb 0                        ;  msbs: dst=0 src0=0 src1=0 src2=0
	s_delay_alu instid0(VALU_DEP_2) | instskip(SKIP_1) | instid1(VALU_DEP_2)
	v_dual_ashrrev_i32 v121, 31, v120 :: v_dual_add_f32 v103, v103, v113
	s_set_vgpr_msb 1                        ;  msbs: dst=0 src0=1 src1=0 src2=0
	v_dual_mul_f32 v113, v75 /*v331*/, v195 :: v_dual_fma_f32 v133, v72 /*v328*/, v192, -v133
	s_set_vgpr_msb 0                        ;  msbs: dst=0 src0=0 src1=0 src2=0
	s_delay_alu instid0(VALU_DEP_2) | instskip(SKIP_1) | instid1(VALU_DEP_2)
	v_add_f32_e32 v103, v103, v111
	s_set_vgpr_msb 1                        ;  msbs: dst=0 src0=1 src1=0 src2=0
	v_dual_mul_f32 v111, v77 /*v333*/, v197 :: v_dual_fma_f32 v113, v74 /*v330*/, v194, -v113
	s_set_vgpr_msb 0                        ;  msbs: dst=0 src0=0 src1=0 src2=0
	s_delay_alu instid0(VALU_DEP_2) | instskip(SKIP_1) | instid1(VALU_DEP_2)
	v_add_f32_e32 v103, v103, v123
	;; [unrolled: 5-line block ×6, first 2 shown]
	s_set_vgpr_msb 1                        ;  msbs: dst=0 src0=1 src1=0 src2=0
	v_dual_mul_f32 v132, v87 /*v343*/, v207 :: v_dual_fma_f32 v131, v84 /*v340*/, v204, -v131
	s_set_vgpr_msb 0                        ;  msbs: dst=0 src0=0 src1=0 src2=0
	s_delay_alu instid0(VALU_DEP_2)
	v_add_f32_e32 v103, v103, v133
	s_set_vgpr_msb 1                        ;  msbs: dst=0 src0=1 src1=0 src2=0
	v_mul_f32_e32 v133, v89 /*v345*/, v209
	v_mul_f32_e32 v135, v101 /*v357*/, v221
	s_set_vgpr_msb 0                        ;  msbs: dst=0 src0=0 src1=0 src2=0
	v_add_f32_e32 v103, v103, v113
	s_set_vgpr_msb 1                        ;  msbs: dst=0 src0=1 src1=0 src2=0
	v_mul_f32_e32 v113, v91 /*v347*/, v211
	s_set_vgpr_msb 0                        ;  msbs: dst=0 src0=0 src1=0 src2=0
	s_delay_alu instid0(VALU_DEP_2) | instskip(SKIP_1) | instid1(VALU_DEP_2)
	v_add_f32_e32 v103, v103, v111
	s_set_vgpr_msb 1                        ;  msbs: dst=0 src0=1 src1=0 src2=0
	v_dual_mul_f32 v111, v93 /*v349*/, v213 :: v_dual_fma_f32 v113, v90 /*v346*/, v210, -v113
	s_set_vgpr_msb 0                        ;  msbs: dst=0 src0=0 src1=0 src2=0
	s_delay_alu instid0(VALU_DEP_2) | instskip(SKIP_1) | instid1(VALU_DEP_2)
	v_add_f32_e32 v103, v103, v123
	s_set_vgpr_msb 1                        ;  msbs: dst=0 src0=1 src1=0 src2=0
	v_dual_mul_f32 v123, v95 /*v351*/, v215 :: v_dual_fma_f32 v111, v92 /*v348*/, v212, -v111
	s_set_vgpr_msb 0                        ;  msbs: dst=0 src0=0 src1=0 src2=0
	s_delay_alu instid0(VALU_DEP_2) | instskip(SKIP_3) | instid1(VALU_DEP_2)
	v_add_f32_e32 v103, v103, v125
	s_set_vgpr_msb 1                        ;  msbs: dst=0 src0=1 src1=0 src2=0
	v_mul_f32_e32 v125, v97 /*v353*/, v217
	s_set_vgpr_msb 0                        ;  msbs: dst=0 src0=0 src1=0 src2=0
	v_add_f32_e32 v103, v103, v130
	s_set_vgpr_msb 1                        ;  msbs: dst=0 src0=1 src1=0 src2=0
	s_delay_alu instid0(VALU_DEP_2) | instskip(SKIP_1) | instid1(VALU_DEP_2)
	v_dual_fma_f32 v130, v86 /*v342*/, v206, -v132 :: v_dual_fma_f32 v109, v96 /*v352*/, v216, -v125
	s_set_vgpr_msb 0                        ;  msbs: dst=0 src0=0 src1=0 src2=0
	v_dual_mov_b32 v132, v233 :: v_dual_add_f32 v103, v103, v131
	s_set_vgpr_msb 1                        ;  msbs: dst=0 src0=1 src1=0 src2=0
	v_dual_fma_f32 v131, v88 /*v344*/, v208, -v133 :: v_dual_mul_f32 v133, v21 /*v277*/, v225
	v_fmac_f32_e32 v127, v21 /*v277*/, v224
	s_set_vgpr_msb 0                        ;  msbs: dst=0 src0=0 src1=0 src2=0
	v_add_f32_e32 v103, v103, v130
	s_delay_alu instid0(VALU_DEP_1) | instskip(SKIP_3) | instid1(VALU_DEP_2)
	v_add_f32_e32 v103, v103, v131
	s_set_vgpr_msb 1                        ;  msbs: dst=0 src0=1 src1=0 src2=0
	v_pk_mul_f32 v[130:131], v[34:35] /*v[290:291]*/, v[230:231] op_sel:[1,1] op_sel_hi:[0,1]
	s_set_vgpr_msb 0                        ;  msbs: dst=0 src0=0 src1=0 src2=0
	v_add_f32_e32 v103, v103, v113
	s_set_vgpr_msb 1                        ;  msbs: dst=0 src0=1 src1=0 src2=0
	v_fma_f32 v113, v94 /*v350*/, v214, -v123
	s_set_vgpr_msb 0                        ;  msbs: dst=0 src0=0 src1=0 src2=0
	s_delay_alu instid0(VALU_DEP_2) | instskip(NEXT) | instid1(VALU_DEP_1)
	v_dual_ashrrev_i32 v123, 31, v122 :: v_dual_add_f32 v103, v103, v111
	v_dual_ashrrev_i32 v111, 31, v110 :: v_dual_add_f32 v103, v103, v113
	s_delay_alu instid0(VALU_DEP_1)
	v_dual_ashrrev_i32 v113, 31, v112 :: v_dual_add_f32 v103, v103, v109
	s_set_vgpr_msb 1                        ;  msbs: dst=0 src0=1 src1=0 src2=0
	v_fma_f32 v109, v100 /*v356*/, v220, -v135
	v_pk_mul_f32 v[134:135], v[38:39] /*v[294:295]*/, v[234:235] op_sel:[1,1] op_sel_hi:[0,1]
	s_set_vgpr_msb 0                        ;  msbs: dst=0 src0=0 src1=0 src2=0
	v_add_f32_e32 v103, v103, v107
	s_set_vgpr_msb 1                        ;  msbs: dst=0 src0=1 src1=0 src2=0
	v_dual_fma_f32 v107, v18 /*v274*/, v222, -v126 :: v_dual_fma_f32 v126, v20 /*v276*/, v224, -v133
	v_pk_mul_f32 v[132:133], v[110:111] /*v[366:367]*/, v[132:133] op_sel_hi:[1,0]
	s_set_vgpr_msb 0                        ;  msbs: dst=0 src0=0 src1=0 src2=0
	v_dual_add_f32 v103, v103, v109 :: v_dual_ashrrev_i32 v109, 31, v108
	s_delay_alu instid0(VALU_DEP_1) | instskip(SKIP_1) | instid1(VALU_DEP_2)
	v_dual_add_f32 v138, v103, v107 :: v_dual_ashrrev_i32 v103, 31, v102
	v_ashrrev_i32_e32 v107, 31, v106
	v_pk_add_f32 v[126:127], v[138:139], v[126:127]
	s_set_vgpr_msb 1                        ;  msbs: dst=0 src0=1 src1=0 src2=0
	v_pk_fma_f32 v[138:139], v[34:35] /*v[290:291]*/, v[230:231], v[130:131] op_sel_hi:[1,0,1]
	v_pk_fma_f32 v[130:131], v[34:35] /*v[290:291]*/, v[230:231], v[130:131] neg_lo:[0,0,1] neg_hi:[0,0,1]
	s_set_vgpr_msb 0                        ;  msbs: dst=0 src0=0 src1=0 src2=0
	v_pk_add_f32 v[126:127], v[126:127], v[128:129]
	s_delay_alu instid0(VALU_DEP_3)
	v_mov_b32_e32 v131, v139
	s_set_vgpr_msb 1                        ;  msbs: dst=0 src0=1 src1=0 src2=0
	v_pk_fma_f32 v[138:139], v[36:37] /*v[292:293]*/, v[232:233], v[132:133] op_sel_hi:[1,0,1]
	v_pk_fma_f32 v[132:133], v[36:37] /*v[292:293]*/, v[232:233], v[132:133] neg_lo:[0,0,1] neg_hi:[0,0,1]
	s_wait_loadcnt 0x2
	v_pk_mul_f32 v[128:129], v[50:51] /*v[306:307]*/, v[238:239] op_sel:[1,1] op_sel_hi:[0,1]
	s_set_vgpr_msb 0                        ;  msbs: dst=0 src0=0 src1=0 src2=0
	v_pk_add_f32 v[126:127], v[126:127], v[136:137]
	s_set_vgpr_msb 1                        ;  msbs: dst=0 src0=1 src1=0 src2=0
	v_pk_fma_f32 v[136:137], v[38:39] /*v[294:295]*/, v[234:235], v[134:135] op_sel_hi:[1,0,1]
	s_set_vgpr_msb 0                        ;  msbs: dst=0 src0=0 src1=0 src2=0
	v_mov_b32_e32 v133, v139
	s_set_vgpr_msb 1                        ;  msbs: dst=0 src0=1 src1=0 src2=0
	v_pk_fma_f32 v[134:135], v[38:39] /*v[294:295]*/, v[234:235], v[134:135] neg_lo:[0,0,1] neg_hi:[0,0,1]
	v_pk_fma_f32 v[138:139], v[40:41] /*v[296:297]*/, v[236:237], v[140:141] neg_lo:[0,0,1] neg_hi:[0,0,1]
	s_set_vgpr_msb 0                        ;  msbs: dst=0 src0=0 src1=0 src2=0
	v_pk_add_f32 v[126:127], v[126:127], v[130:131]
	v_dual_mov_b32 v130, v241 :: v_dual_mov_b32 v135, v137
	s_set_vgpr_msb 1                        ;  msbs: dst=0 src0=1 src1=0 src2=0
	v_pk_fma_f32 v[136:137], v[40:41] /*v[296:297]*/, v[236:237], v[140:141] op_sel_hi:[1,0,1]
	s_set_vgpr_msb 0                        ;  msbs: dst=0 src0=0 src1=0 src2=0
	v_pk_add_f32 v[126:127], v[126:127], v[132:133]
	s_set_vgpr_msb 1                        ;  msbs: dst=0 src0=1 src1=0 src2=0
	v_pk_fma_f32 v[132:133], v[50:51] /*v[306:307]*/, v[238:239], v[128:129] op_sel_hi:[1,0,1]
	v_pk_mul_f32 v[130:131], v[114:115] /*v[370:371]*/, v[130:131] op_sel_hi:[1,0]
	s_set_vgpr_msb 0                        ;  msbs: dst=0 src0=0 src1=0 src2=0
	v_mov_b32_e32 v139, v137
	s_set_vgpr_msb 1                        ;  msbs: dst=0 src0=1 src1=0 src2=0
	v_pk_fma_f32 v[128:129], v[50:51] /*v[306:307]*/, v[238:239], v[128:129] neg_lo:[0,0,1] neg_hi:[0,0,1]
	s_set_vgpr_msb 0                        ;  msbs: dst=0 src0=0 src1=0 src2=0
	v_pk_add_f32 v[126:127], v[126:127], v[134:135]
	v_mov_b32_e32 v129, v133
	s_set_vgpr_msb 1                        ;  msbs: dst=0 src0=1 src1=0 src2=0
	v_pk_fma_f32 v[132:133], v[52:53] /*v[308:309]*/, v[240:241], v[130:131] op_sel_hi:[1,0,1]
	s_wait_loadcnt_dscnt 0x100
	s_set_vgpr_msb 5                        ;  msbs: dst=0 src0=1 src1=1 src2=0
	v_pk_mul_f32 v[134:135], v[106:107] /*v[362:363]*/, v[102:103] /*v[358:359]*/ op_sel:[1,1] op_sel_hi:[0,1]
	s_set_vgpr_msb 1                        ;  msbs: dst=0 src0=1 src1=0 src2=0
	v_pk_fma_f32 v[130:131], v[52:53] /*v[308:309]*/, v[240:241], v[130:131] neg_lo:[0,0,1] neg_hi:[0,0,1]
	s_set_vgpr_msb 0                        ;  msbs: dst=0 src0=0 src1=0 src2=0
	v_pk_add_f32 v[126:127], v[126:127], v[138:139]
	v_mov_b32_e32 v131, v133
	s_set_vgpr_msb 5                        ;  msbs: dst=0 src0=1 src1=1 src2=0
	v_pk_fma_f32 v[132:133], v[106:107] /*v[362:363]*/, v[102:103] /*v[358:359]*/, v[134:135] neg_lo:[0,0,1] neg_hi:[0,0,1]
	s_set_vgpr_msb 0                        ;  msbs: dst=0 src0=0 src1=0 src2=0
	v_pk_add_f32 v[126:127], v[126:127], v[128:129]
	s_set_vgpr_msb 5                        ;  msbs: dst=0 src0=1 src1=1 src2=0
	v_pk_fma_f32 v[128:129], v[106:107] /*v[362:363]*/, v[102:103] /*v[358:359]*/, v[134:135] op_sel_hi:[1,0,1]
	s_set_vgpr_msb 0                        ;  msbs: dst=0 src0=0 src1=0 src2=0
	s_delay_alu instid0(VALU_DEP_2) | instskip(NEXT) | instid1(VALU_DEP_2)
	v_pk_add_f32 v[126:127], v[126:127], v[130:131]
	v_mov_b32_e32 v133, v129
	s_delay_alu instid0(VALU_DEP_1) | instskip(SKIP_2) | instid1(VALU_DEP_1)
	v_pk_add_f32 v[126:127], v[126:127], v[132:133]
	s_wait_loadcnt 0x0
	s_set_vgpr_msb 1                        ;  msbs: dst=0 src0=1 src1=0 src2=0
	v_pk_add_f32 v[126:127], v[104:105] /*v[360:361]*/, v[126:127] neg_lo:[0,1] neg_hi:[0,1]
	scratch_store_b64 off, v[126:127], off offset:8
	s_wait_xcnt 0x0
	v_cmpx_ne_u32_e32 0, v0
	s_set_vgpr_msb 0                        ;  msbs: dst=0 src0=0 src1=0 src2=0
	s_cbranch_execz .LBB60_379
; %bb.378:
	scratch_load_b64 v[126:127], off, off
	v_mov_b64_e32 v[128:129], 0
	scratch_store_b64 off, v[128:129], off
	s_wait_loadcnt 0x0
	ds_store_b64 v1, v[126:127]
.LBB60_379:
	s_wait_xcnt 0x0
	s_or_b32 exec_lo, exec_lo, s0
	s_wait_storecnt_dscnt 0x0
	s_barrier_signal -1
	s_barrier_wait -1
	s_clause 0x19
	scratch_load_b128 v[126:129], off, off offset:8
	scratch_load_b128 v[130:133], off, off offset:24
	;; [unrolled: 1-line block ×26, first 2 shown]
	ds_load_2addr_b64 v[230:233], v124 offset0:63 offset1:64
	ds_load_2addr_b64 v[234:237], v124 offset0:65 offset1:66
	;; [unrolled: 1-line block ×7, first 2 shown]
	s_set_vgpr_msb 64                       ;  msbs: dst=1 src0=0 src1=0 src2=0
	ds_load_2addr_b64 v[2:5] /*v[258:261]*/, v124 offset0:77 offset1:78
	scratch_load_b128 v[6:9] /*v[262:265]*/, off, off offset:424
	ds_load_2addr_b64 v[10:13] /*v[266:269]*/, v124 offset0:79 offset1:80
	ds_load_2addr_b64 v[14:17] /*v[270:273]*/, v124 offset0:81 offset1:82
	ds_load_2addr_b64 v[18:21] /*v[274:277]*/, v124 offset0:83 offset1:84
	ds_load_2addr_b64 v[22:25] /*v[278:281]*/, v124 offset0:85 offset1:86
	ds_load_2addr_b64 v[26:29] /*v[282:285]*/, v124 offset0:87 offset1:88
	ds_load_2addr_b64 v[30:33] /*v[286:289]*/, v124 offset0:89 offset1:90
	ds_load_2addr_b64 v[34:37] /*v[290:293]*/, v124 offset0:115 offset1:116
	scratch_load_b128 v[38:41] /*v[294:297]*/, off, off offset:440
	ds_load_2addr_b64 v[42:45] /*v[298:301]*/, v124 offset0:117 offset1:118
	ds_load_2addr_b64 v[46:49] /*v[302:305]*/, v124 offset0:119 offset1:120
	;; [unrolled: 1-line block ×11, first 2 shown]
	scratch_load_b128 v[86:89] /*v[342:345]*/, off, off offset:456
	ds_load_2addr_b64 v[90:93] /*v[346:349]*/, v124 offset0:107 offset1:108
	ds_load_2addr_b64 v[94:97] /*v[350:353]*/, v124 offset0:109 offset1:110
	;; [unrolled: 1-line block ×4, first 2 shown]
	s_clause 0x2
	scratch_load_b128 v[106:109] /*v[362:365]*/, off, off offset:472
	s_set_vgpr_msb 0                        ;  msbs: dst=0 src0=0 src1=0 src2=0
	scratch_load_b64 v[0:1], off, off
	s_and_b32 vcc_lo, exec_lo, s18
	s_wait_dscnt 0xe
	s_set_vgpr_msb 0x41                     ;  msbs: dst=1 src0=1 src1=0 src2=0
	v_dual_mov_b32 v110 /*v366*/, v45 /*v301*/ :: v_dual_mov_b32 v111 /*v367*/, v44 /*v300*/
	s_wait_dscnt 0xd
	v_dual_mov_b32 v112 /*v368*/, v49 /*v305*/ :: v_dual_mov_b32 v113 /*v369*/, v48 /*v304*/
	s_wait_dscnt 0xa
	v_dual_mov_b32 v114 /*v370*/, v61 /*v317*/ :: v_dual_mov_b32 v115 /*v371*/, v60 /*v316*/
	s_set_vgpr_msb 1                        ;  msbs: dst=0 src0=1 src1=0 src2=0
	v_dual_mov_b32 v124, v37 /*v293*/ :: v_dual_mov_b32 v125, v36 /*v292*/
	s_wait_loadcnt 0x1e
	s_set_vgpr_msb 64                       ;  msbs: dst=1 src0=0 src1=0 src2=0
	v_dual_mul_f32 v116 /*v372*/, v230, v127 :: v_dual_mul_f32 v118 /*v374*/, v232, v129
	s_set_vgpr_msb 0                        ;  msbs: dst=0 src0=0 src1=0 src2=0
	v_dual_mul_f32 v127, v231, v127 :: v_dual_mul_f32 v129, v233, v129
	s_wait_loadcnt 0x1b
	s_set_vgpr_msb 64                       ;  msbs: dst=1 src0=0 src1=0 src2=0
	v_dual_mul_f32 v124 /*v380*/, v242, v139 :: v_dual_mul_f32 v125 /*v381*/, v244, v141
	s_wait_loadcnt 0x18
	v_dual_mul_f32 v130 /*v386*/, v254, v151 :: v_dual_fmac_f32 v116 /*v372*/, v231, v126
	s_set_vgpr_msb 0                        ;  msbs: dst=0 src0=0 src1=0 src2=0
	v_dual_mul_f32 v139, v243, v139 :: v_dual_fma_f32 v126, v230, v126, -v127
	s_set_vgpr_msb 64                       ;  msbs: dst=1 src0=0 src1=0 src2=0
	v_dual_mul_f32 v120 /*v376*/, v234, v131 :: v_dual_mul_f32 v121 /*v377*/, v236, v133
	s_set_vgpr_msb 0                        ;  msbs: dst=0 src0=0 src1=0 src2=0
	v_dual_mul_f32 v131, v235, v131 :: v_dual_mul_f32 v133, v237, v133
	v_mul_f32_e32 v127, v245, v141
	s_set_vgpr_msb 64                       ;  msbs: dst=1 src0=0 src1=0 src2=0
	v_dual_fmac_f32 v118 /*v374*/, v233, v128 :: v_dual_fmac_f32 v120 /*v376*/, v235, v130
	s_set_vgpr_msb 0                        ;  msbs: dst=0 src0=0 src1=0 src2=0
	v_dual_fma_f32 v128, v232, v128, -v129 :: v_dual_add_f32 v126, 0, v126
	v_dual_mul_f32 v141, v247, v143 :: v_dual_fma_f32 v130, v234, v130, -v131
	s_set_vgpr_msb 64                       ;  msbs: dst=1 src0=0 src1=0 src2=0
	v_dual_mul_f32 v122 /*v378*/, v238, v135 :: v_dual_mul_f32 v123 /*v379*/, v240, v137
	s_set_vgpr_msb 0                        ;  msbs: dst=0 src0=0 src1=0 src2=0
	v_dual_add_f32 v126, v126, v128 :: v_dual_mul_f32 v135, v239, v135
	v_mul_f32_e32 v137, v241, v137
	v_dual_mul_f32 v128, v249, v145 :: v_dual_fma_f32 v131, v236, v132, -v133
	s_delay_alu instid0(VALU_DEP_3)
	v_add_f32_e32 v126, v126, v130
	s_set_vgpr_msb 64                       ;  msbs: dst=1 src0=0 src1=0 src2=0
	v_dual_fmac_f32 v121 /*v377*/, v237, v132 :: v_dual_fmac_f32 v122 /*v378*/, v239, v134
	s_set_vgpr_msb 0                        ;  msbs: dst=0 src0=0 src1=0 src2=0
	v_dual_fma_f32 v132, v238, v134, -v135 :: v_dual_fma_f32 v133, v240, v136, -v137
	v_dual_add_f32 v126, v126, v131 :: v_dual_mul_f32 v131, v253, v149
	v_dual_fma_f32 v134, v242, v138, -v139 :: v_dual_fma_f32 v128, v248, v144, -v128
	v_fma_f32 v127, v244, v140, -v127
	s_delay_alu instid0(VALU_DEP_3) | instskip(NEXT) | instid1(VALU_DEP_4)
	v_dual_add_f32 v126, v126, v132 :: v_dual_mul_f32 v132, v255, v151
	v_dual_fma_f32 v135, v246, v142, -v141 :: v_dual_fma_f32 v131, v252, v148, -v131
	s_delay_alu instid0(VALU_DEP_2)
	v_dual_mul_f32 v130, v251, v147 :: v_dual_add_f32 v126, v126, v133
	s_set_vgpr_msb 1                        ;  msbs: dst=0 src0=1 src1=0 src2=0
	v_mul_f32_e32 v133, v1 /*v257*/, v153
	s_set_vgpr_msb 0                        ;  msbs: dst=0 src0=0 src1=0 src2=0
	v_fma_f32 v132, v254, v150, -v132
	s_wait_loadcnt_dscnt 0xa05
	s_set_vgpr_msb 0x41                     ;  msbs: dst=1 src0=1 src1=0 src2=0
	v_dual_mul_f32 v157 /*v413*/, v76 /*v332*/, v205 :: v_dual_mul_f32 v158 /*v414*/, v78 /*v334*/, v207
	s_set_vgpr_msb 0                        ;  msbs: dst=0 src0=0 src1=0 src2=0
	v_add_f32_e32 v126, v126, v134
	v_fma_f32 v130, v250, v146, -v130
	s_set_vgpr_msb 1                        ;  msbs: dst=0 src0=1 src1=0 src2=0
	v_mul_f32_e32 v134, v3 /*v259*/, v155
	s_wait_loadcnt_dscnt 0x904
	s_set_vgpr_msb 0x41                     ;  msbs: dst=1 src0=1 src1=0 src2=0
	v_dual_mul_f32 v159 /*v415*/, v80 /*v336*/, v209 :: v_dual_mul_f32 v160 /*v416*/, v82 /*v338*/, v211
	s_set_vgpr_msb 0                        ;  msbs: dst=0 src0=0 src1=0 src2=0
	v_add_f32_e32 v126, v126, v127
	s_set_vgpr_msb 1                        ;  msbs: dst=0 src0=1 src1=0 src2=0
	v_mul_f32_e32 v127, v5 /*v261*/, v157
	s_wait_loadcnt_dscnt 0x803
	s_set_vgpr_msb 0x41                     ;  msbs: dst=1 src0=1 src1=0 src2=0
	v_dual_mul_f32 v161 /*v417*/, v84 /*v340*/, v213 :: v_dual_mul_f32 v162 /*v418*/, v90 /*v346*/, v215
	s_set_vgpr_msb 64                       ;  msbs: dst=1 src0=0 src1=0 src2=0
	v_dual_fmac_f32 v123 /*v379*/, v241, v136 :: v_dual_fmac_f32 v124 /*v380*/, v243, v138
	s_set_vgpr_msb 0                        ;  msbs: dst=0 src0=0 src1=0 src2=0
	v_add_f32_e32 v126, v126, v135
	s_set_vgpr_msb 1                        ;  msbs: dst=0 src0=1 src1=0 src2=0
	v_mul_f32_e32 v135, v11 /*v267*/, v159
	s_set_vgpr_msb 0x41                     ;  msbs: dst=1 src0=1 src1=0 src2=0
	v_dual_fmac_f32 v158 /*v414*/, v79 /*v335*/, v206 :: v_dual_fmac_f32 v159 /*v415*/, v81 /*v337*/, v208
	s_set_vgpr_msb 1                        ;  msbs: dst=0 src0=1 src1=0 src2=0
	v_fma_f32 v133, v0 /*v256*/, v152, -v133
	s_set_vgpr_msb 0                        ;  msbs: dst=0 src0=0 src1=0 src2=0
	v_add_f32_e32 v126, v126, v128
	s_set_vgpr_msb 1                        ;  msbs: dst=0 src0=1 src1=0 src2=0
	v_mul_f32_e32 v128, v13 /*v269*/, v161
	s_set_vgpr_msb 4                        ;  msbs: dst=0 src0=0 src1=1 src2=0
	v_add_f32_e32 v129, 0, v116 /*v372*/
	s_set_vgpr_msb 1                        ;  msbs: dst=0 src0=1 src1=0 src2=0
	v_fma_f32 v134, v2 /*v258*/, v154, -v134
	s_set_vgpr_msb 0x41                     ;  msbs: dst=1 src0=1 src1=0 src2=0
	v_dual_fmac_f32 v160 /*v416*/, v83 /*v339*/, v210 :: v_dual_fmac_f32 v161 /*v417*/, v85 /*v341*/, v212
	s_set_vgpr_msb 0                        ;  msbs: dst=0 src0=0 src1=0 src2=0
	v_add_f32_e32 v126, v126, v130
	s_set_vgpr_msb 1                        ;  msbs: dst=0 src0=1 src1=0 src2=0
	v_dual_mul_f32 v130, v15 /*v271*/, v163 :: v_dual_fma_f32 v127, v4 /*v260*/, v156, -v127
	s_set_vgpr_msb 4                        ;  msbs: dst=0 src0=0 src1=1 src2=0
	v_add_f32_e32 v129, v129, v118 /*v374*/
	s_wait_loadcnt_dscnt 0x702
	s_set_vgpr_msb 0x41                     ;  msbs: dst=1 src0=1 src1=0 src2=0
	v_dual_mul_f32 v163 /*v419*/, v92 /*v348*/, v217 :: v_dual_mul_f32 v164 /*v420*/, v94 /*v350*/, v219
	s_set_vgpr_msb 0                        ;  msbs: dst=0 src0=0 src1=0 src2=0
	v_add_f32_e32 v126, v126, v131
	s_set_vgpr_msb 1                        ;  msbs: dst=0 src0=1 src1=0 src2=0
	v_dual_mul_f32 v131, v17 /*v273*/, v165 :: v_dual_fma_f32 v135, v10 /*v266*/, v158, -v135
	s_set_vgpr_msb 4                        ;  msbs: dst=0 src0=0 src1=1 src2=0
	v_add_f32_e32 v129, v129, v120 /*v376*/
	s_set_vgpr_msb 0x41                     ;  msbs: dst=1 src0=1 src1=0 src2=0
	v_dual_fmac_f32 v162 /*v418*/, v91 /*v347*/, v214 :: v_dual_fmac_f32 v163 /*v419*/, v93 /*v349*/, v216
	s_set_vgpr_msb 0                        ;  msbs: dst=0 src0=0 src1=0 src2=0
	v_add_f32_e32 v126, v126, v132
	s_set_vgpr_msb 1                        ;  msbs: dst=0 src0=1 src1=0 src2=0
	v_dual_mul_f32 v132, v19 /*v275*/, v167 :: v_dual_fma_f32 v128, v12 /*v268*/, v160, -v128
	s_set_vgpr_msb 4                        ;  msbs: dst=0 src0=0 src1=1 src2=0
	v_add_f32_e32 v129, v129, v121 /*v377*/
	s_set_vgpr_msb 64                       ;  msbs: dst=1 src0=0 src1=0 src2=0
	v_dual_mul_f32 v126 /*v382*/, v246, v143 :: v_dual_mul_f32 v127 /*v383*/, v248, v145
	s_set_vgpr_msb 0                        ;  msbs: dst=0 src0=0 src1=0 src2=0
	v_add_f32_e32 v126, v126, v133
	s_set_vgpr_msb 1                        ;  msbs: dst=0 src0=1 src1=0 src2=0
	v_dual_mul_f32 v133, v21 /*v277*/, v169 :: v_dual_fma_f32 v130, v14 /*v270*/, v162, -v130
	s_set_vgpr_msb 4                        ;  msbs: dst=0 src0=0 src1=1 src2=0
	v_add_f32_e32 v129, v129, v122 /*v378*/
	s_set_vgpr_msb 1                        ;  msbs: dst=0 src0=1 src1=0 src2=0
	v_fma_f32 v131, v16 /*v272*/, v164, -v131
	s_set_vgpr_msb 0                        ;  msbs: dst=0 src0=0 src1=0 src2=0
	v_add_f32_e32 v126, v126, v134
	s_set_vgpr_msb 1                        ;  msbs: dst=0 src0=1 src1=0 src2=0
	v_mul_f32_e32 v134, v23 /*v279*/, v171
	s_set_vgpr_msb 64                       ;  msbs: dst=1 src0=0 src1=0 src2=0
	v_dual_fmac_f32 v125 /*v381*/, v245, v140 :: v_dual_fmac_f32 v126 /*v382*/, v247, v142
	s_set_vgpr_msb 1                        ;  msbs: dst=0 src0=1 src1=0 src2=0
	v_fma_f32 v132, v18 /*v274*/, v166, -v132
	s_set_vgpr_msb 0                        ;  msbs: dst=0 src0=0 src1=0 src2=0
	v_add_f32_e32 v126, v126, v127
	s_set_vgpr_msb 1                        ;  msbs: dst=0 src0=1 src1=0 src2=0
	v_mul_f32_e32 v127, v25 /*v281*/, v173
	s_set_vgpr_msb 64                       ;  msbs: dst=1 src0=0 src1=0 src2=0
	v_dual_mul_f32 v128 /*v384*/, v250, v147 :: v_dual_mul_f32 v129 /*v385*/, v252, v149
	s_set_vgpr_msb 1                        ;  msbs: dst=0 src0=1 src1=0 src2=0
	v_fma_f32 v133, v20 /*v276*/, v168, -v133
	s_set_vgpr_msb 0                        ;  msbs: dst=0 src0=0 src1=0 src2=0
	v_add_f32_e32 v126, v126, v135
	s_set_vgpr_msb 1                        ;  msbs: dst=0 src0=1 src1=0 src2=0
	v_mul_f32_e32 v135, v27 /*v283*/, v175
	s_set_vgpr_msb 64                       ;  msbs: dst=1 src0=0 src1=0 src2=0
	v_dual_fmac_f32 v127 /*v383*/, v249, v144 :: v_dual_fmac_f32 v128 /*v384*/, v251, v146
	s_set_vgpr_msb 1                        ;  msbs: dst=0 src0=1 src1=0 src2=0
	v_fma_f32 v134, v22 /*v278*/, v170, -v134
	s_set_vgpr_msb 0                        ;  msbs: dst=0 src0=0 src1=0 src2=0
	v_add_f32_e32 v126, v126, v128
	s_set_vgpr_msb 1                        ;  msbs: dst=0 src0=1 src1=0 src2=0
	v_mul_f32_e32 v128, v29 /*v285*/, v177
	s_set_vgpr_msb 64                       ;  msbs: dst=1 src0=0 src1=0 src2=0
	v_dual_fmac_f32 v129 /*v385*/, v253, v148 :: v_dual_fmac_f32 v130 /*v386*/, v255, v150
	s_set_vgpr_msb 1                        ;  msbs: dst=0 src0=1 src1=0 src2=0
	v_fma_f32 v127, v24 /*v280*/, v172, -v127
	s_set_vgpr_msb 0                        ;  msbs: dst=0 src0=0 src1=0 src2=0
	v_add_f32_e32 v126, v126, v130
	s_set_vgpr_msb 1                        ;  msbs: dst=0 src0=1 src1=0 src2=0
	v_mul_f32_e32 v130, v31 /*v287*/, v179
	s_set_vgpr_msb 0x41                     ;  msbs: dst=1 src0=1 src1=0 src2=0
	v_dual_mul_f32 v131 /*v387*/, v0 /*v256*/, v153 :: v_dual_mul_f32 v132 /*v388*/, v2 /*v258*/, v155
	s_set_vgpr_msb 1                        ;  msbs: dst=0 src0=1 src1=0 src2=0
	v_fma_f32 v135, v26 /*v282*/, v174, -v135
	s_set_vgpr_msb 0                        ;  msbs: dst=0 src0=0 src1=0 src2=0
	v_add_f32_e32 v126, v126, v131
	s_set_vgpr_msb 1                        ;  msbs: dst=0 src0=1 src1=0 src2=0
	v_mul_f32_e32 v131, v33 /*v289*/, v181
	s_wait_loadcnt_dscnt 0x500
	s_set_vgpr_msb 0x41                     ;  msbs: dst=1 src0=1 src1=0 src2=0
	v_dual_mul_f32 v119 /*v375*/, v104 /*v360*/, v229 :: v_dual_fmac_f32 v131 /*v387*/, v1 /*v257*/, v152
	s_set_vgpr_msb 1                        ;  msbs: dst=0 src0=1 src1=0 src2=0
	v_fma_f32 v128, v28 /*v284*/, v176, -v128
	s_set_vgpr_msb 0                        ;  msbs: dst=0 src0=0 src1=0 src2=0
	v_add_f32_e32 v126, v126, v132
	s_set_vgpr_msb 1                        ;  msbs: dst=0 src0=1 src1=0 src2=0
	v_mul_f32_e32 v132, v51 /*v307*/, v183
	s_set_vgpr_msb 0x41                     ;  msbs: dst=1 src0=1 src1=0 src2=0
	v_dual_mul_f32 v133 /*v389*/, v4 /*v260*/, v157 :: v_dual_mul_f32 v134 /*v390*/, v10 /*v266*/, v159
	s_set_vgpr_msb 1                        ;  msbs: dst=0 src0=1 src1=0 src2=0
	v_fma_f32 v130, v30 /*v286*/, v178, -v130
	s_set_vgpr_msb 0                        ;  msbs: dst=0 src0=0 src1=0 src2=0
	v_add_f32_e32 v126, v126, v133
	s_set_vgpr_msb 1                        ;  msbs: dst=0 src0=1 src1=0 src2=0
	v_mul_f32_e32 v133, v53 /*v309*/, v185
	s_set_vgpr_msb 0x41                     ;  msbs: dst=1 src0=1 src1=0 src2=0
	v_dual_fmac_f32 v132 /*v388*/, v3 /*v259*/, v154 :: v_dual_fmac_f32 v133 /*v389*/, v5 /*v261*/, v156
	s_set_vgpr_msb 1                        ;  msbs: dst=0 src0=1 src1=0 src2=0
	v_fma_f32 v131, v32 /*v288*/, v180, -v131
	s_set_vgpr_msb 0                        ;  msbs: dst=0 src0=0 src1=0 src2=0
	v_add_f32_e32 v126, v126, v134
	s_set_vgpr_msb 1                        ;  msbs: dst=0 src0=1 src1=0 src2=0
	v_mul_f32_e32 v134, v55 /*v311*/, v187
	s_set_vgpr_msb 0x41                     ;  msbs: dst=1 src0=1 src1=0 src2=0
	v_dual_mul_f32 v135 /*v391*/, v12 /*v268*/, v161 :: v_dual_mul_f32 v136 /*v392*/, v14 /*v270*/, v163
	s_set_vgpr_msb 1                        ;  msbs: dst=0 src0=1 src1=0 src2=0
	v_fma_f32 v132, v50 /*v306*/, v182, -v132
	s_set_vgpr_msb 0                        ;  msbs: dst=0 src0=0 src1=0 src2=0
	v_add_f32_e32 v126, v126, v127
	s_set_vgpr_msb 1                        ;  msbs: dst=0 src0=1 src1=0 src2=0
	v_mul_f32_e32 v127, v57 /*v313*/, v189
	s_set_vgpr_msb 0x41                     ;  msbs: dst=1 src0=1 src1=0 src2=0
	v_dual_fmac_f32 v134 /*v390*/, v11 /*v267*/, v158 :: v_dual_fmac_f32 v135 /*v391*/, v13 /*v269*/, v160
	;; [unrolled: 16-line block ×6, first 2 shown]
	s_set_vgpr_msb 1                        ;  msbs: dst=0 src0=1 src1=0 src2=0
	v_fma_f32 v133, v72 /*v328*/, v200, -v133
	s_set_vgpr_msb 0                        ;  msbs: dst=0 src0=0 src1=0 src2=0
	v_add_f32_e32 v126, v126, v135
	s_set_vgpr_msb 1                        ;  msbs: dst=0 src0=1 src1=0 src2=0
	v_mul_f32_e32 v135, v79 /*v335*/, v207
	s_set_vgpr_msb 0x41                     ;  msbs: dst=1 src0=1 src1=0 src2=0
	v_dual_mul_f32 v145 /*v401*/, v32 /*v288*/, v181 :: v_dual_mul_f32 v146 /*v402*/, v50 /*v306*/, v183
	s_set_vgpr_msb 1                        ;  msbs: dst=0 src0=1 src1=0 src2=0
	v_fma_f32 v134, v74 /*v330*/, v202, -v134
	s_set_vgpr_msb 0                        ;  msbs: dst=0 src0=0 src1=0 src2=0
	v_add_f32_e32 v126, v126, v128
	s_set_vgpr_msb 1                        ;  msbs: dst=0 src0=1 src1=0 src2=0
	v_mul_f32_e32 v128, v81 /*v337*/, v209
	v_mul_f32_e32 v136, v97 /*v353*/, v221
	s_set_vgpr_msb 0x41                     ;  msbs: dst=1 src0=1 src1=0 src2=0
	v_dual_fmac_f32 v144 /*v400*/, v31 /*v287*/, v178 :: v_dual_fmac_f32 v145 /*v401*/, v33 /*v289*/, v180
	s_set_vgpr_msb 0                        ;  msbs: dst=0 src0=0 src1=0 src2=0
	v_add_f32_e32 v126, v126, v130
	s_set_vgpr_msb 1                        ;  msbs: dst=0 src0=1 src1=0 src2=0
	v_dual_mul_f32 v130, v83 /*v339*/, v211 :: v_dual_fma_f32 v127, v76 /*v332*/, v204, -v127
	s_set_vgpr_msb 0x41                     ;  msbs: dst=1 src0=1 src1=0 src2=0
	v_dual_mul_f32 v147 /*v403*/, v52 /*v308*/, v185 :: v_dual_mul_f32 v148 /*v404*/, v54 /*v310*/, v187
	s_set_vgpr_msb 0                        ;  msbs: dst=0 src0=0 src1=0 src2=0
	v_add_f32_e32 v126, v126, v131
	s_set_vgpr_msb 1                        ;  msbs: dst=0 src0=1 src1=0 src2=0
	v_dual_mul_f32 v131, v85 /*v341*/, v213 :: v_dual_fma_f32 v135, v78 /*v334*/, v206, -v135
	v_fma_f32 v130, v82 /*v338*/, v210, -v130
	s_set_vgpr_msb 0x41                     ;  msbs: dst=1 src0=1 src1=0 src2=0
	v_dual_fmac_f32 v146 /*v402*/, v51 /*v307*/, v182 :: v_dual_fmac_f32 v147 /*v403*/, v53 /*v309*/, v184
	s_set_vgpr_msb 0                        ;  msbs: dst=0 src0=0 src1=0 src2=0
	v_add_f32_e32 v126, v126, v132
	s_set_vgpr_msb 1                        ;  msbs: dst=0 src0=1 src1=0 src2=0
	v_mul_f32_e32 v132, v91 /*v347*/, v215
	v_mul_f32_e32 v137, v103 /*v359*/, v227
	s_set_vgpr_msb 0x41                     ;  msbs: dst=1 src0=1 src1=0 src2=0
	v_dual_mul_f32 v149 /*v405*/, v56 /*v312*/, v189 :: v_dual_mul_f32 v150 /*v406*/, v62 /*v318*/, v191
	s_set_vgpr_msb 0                        ;  msbs: dst=0 src0=0 src1=0 src2=0
	v_add_f32_e32 v126, v126, v133
	s_set_vgpr_msb 1                        ;  msbs: dst=0 src0=1 src1=0 src2=0
	v_mul_f32_e32 v133, v93 /*v349*/, v217
	v_mul_f32_e32 v138, v105 /*v361*/, v229
	s_set_vgpr_msb 0x41                     ;  msbs: dst=1 src0=1 src1=0 src2=0
	v_dual_fmac_f32 v148 /*v404*/, v55 /*v311*/, v186 :: v_dual_fmac_f32 v149 /*v405*/, v57 /*v313*/, v188
	s_set_vgpr_msb 0                        ;  msbs: dst=0 src0=0 src1=0 src2=0
	v_add_f32_e32 v126, v126, v134
	s_set_vgpr_msb 1                        ;  msbs: dst=0 src0=1 src1=0 src2=0
	v_mul_f32_e32 v134, v95 /*v351*/, v219
	s_set_vgpr_msb 0x41                     ;  msbs: dst=1 src0=1 src1=0 src2=0
	v_dual_mul_f32 v151 /*v407*/, v64 /*v320*/, v193 :: v_dual_mul_f32 v152 /*v408*/, v66 /*v322*/, v195
	v_fmac_f32_e32 v150 /*v406*/, v63 /*v319*/, v190
	s_set_vgpr_msb 0                        ;  msbs: dst=0 src0=0 src1=0 src2=0
	v_add_f32_e32 v126, v126, v127
	s_set_vgpr_msb 1                        ;  msbs: dst=0 src0=1 src1=0 src2=0
	v_fma_f32 v127, v80 /*v336*/, v208, -v128
	s_set_vgpr_msb 0x41                     ;  msbs: dst=1 src0=1 src1=0 src2=0
	v_dual_fmac_f32 v151 /*v407*/, v65 /*v321*/, v192 :: v_dual_mul_f32 v153 /*v409*/, v68 /*v324*/, v197
	v_mul_f32_e32 v154 /*v410*/, v70 /*v326*/, v199
	s_set_vgpr_msb 0                        ;  msbs: dst=0 src0=0 src1=0 src2=0
	v_add_f32_e32 v126, v126, v135
	s_set_vgpr_msb 0x41                     ;  msbs: dst=1 src0=1 src1=0 src2=0
	v_dual_fmac_f32 v152 /*v408*/, v67 /*v323*/, v194 :: v_dual_mul_f32 v155 /*v411*/, v72 /*v328*/, v201
	v_dual_mul_f32 v156 /*v412*/, v74 /*v330*/, v203 :: v_dual_fmac_f32 v153 /*v409*/, v69 /*v325*/, v196
	s_set_vgpr_msb 0                        ;  msbs: dst=0 src0=0 src1=0 src2=0
	v_add_f32_e32 v126, v126, v127
	s_set_vgpr_msb 1                        ;  msbs: dst=0 src0=1 src1=0 src2=0
	v_fma_f32 v127, v84 /*v340*/, v212, -v131
	v_fma_f32 v131, v92 /*v348*/, v216, -v133
	s_set_vgpr_msb 0x41                     ;  msbs: dst=1 src0=1 src1=0 src2=0
	v_fma_f32 v118 /*v374*/, v104 /*v360*/, v228, -v138
	v_dual_fmac_f32 v154 /*v410*/, v71 /*v327*/, v198 :: v_dual_fmac_f32 v155 /*v411*/, v73 /*v329*/, v200
	s_set_vgpr_msb 0                        ;  msbs: dst=0 src0=0 src1=0 src2=0
	v_add_f32_e32 v126, v126, v130
	s_set_vgpr_msb 1                        ;  msbs: dst=0 src0=1 src1=0 src2=0
	v_fma_f32 v130, v90 /*v346*/, v214, -v132
	s_set_vgpr_msb 0x41                     ;  msbs: dst=1 src0=1 src1=0 src2=0
	v_fma_f32 v116 /*v372*/, v102 /*v358*/, v226, -v137
	v_dual_fmac_f32 v156 /*v412*/, v75 /*v331*/, v202 :: v_dual_fmac_f32 v157 /*v413*/, v77 /*v333*/, v204
	s_set_vgpr_msb 0                        ;  msbs: dst=0 src0=0 src1=0 src2=0
	v_add_f32_e32 v126, v126, v127
	s_set_vgpr_msb 0x41                     ;  msbs: dst=1 src0=1 src1=0 src2=0
	v_dual_mul_f32 v165 /*v421*/, v96 /*v352*/, v221 :: v_dual_mul_f32 v166 /*v422*/, v98 /*v354*/, v223
	v_fmac_f32_e32 v164 /*v420*/, v95 /*v351*/, v218
	s_set_vgpr_msb 1                        ;  msbs: dst=0 src0=1 src1=0 src2=0
	v_fma_f32 v132, v94 /*v350*/, v218, -v134
	s_set_vgpr_msb 0                        ;  msbs: dst=0 src0=0 src1=0 src2=0
	v_add_f32_e32 v130, v126, v130
	s_wait_loadcnt 0x4
	s_set_vgpr_msb 5                        ;  msbs: dst=0 src0=1 src1=1 src2=0
	v_pk_mul_f32 v[126:127], v[34:35] /*v[290:291]*/, v[6:7] /*v[262:263]*/ op_sel:[1,1] op_sel_hi:[0,1]
	s_set_vgpr_msb 0x41                     ;  msbs: dst=1 src0=1 src1=0 src2=0
	v_dual_fmac_f32 v165 /*v421*/, v97 /*v353*/, v220 :: v_dual_mul_f32 v167 /*v423*/, v100 /*v356*/, v225
	v_mul_f32_e32 v117 /*v373*/, v102 /*v358*/, v227
	s_set_vgpr_msb 0                        ;  msbs: dst=0 src0=0 src1=0 src2=0
	v_add_f32_e32 v130, v130, v131
	s_set_vgpr_msb 5                        ;  msbs: dst=0 src0=1 src1=1 src2=0
	v_pk_fma_f32 v[138:139], v[34:35] /*v[290:291]*/, v[6:7] /*v[262:263]*/, v[126:127] op_sel_hi:[1,0,1]
	s_set_vgpr_msb 4                        ;  msbs: dst=0 src0=0 src1=1 src2=0
	v_add_f32_e32 v129, v129, v123 /*v379*/
	s_set_vgpr_msb 5                        ;  msbs: dst=0 src0=1 src1=1 src2=0
	v_pk_fma_f32 v[126:127], v[34:35] /*v[290:291]*/, v[6:7] /*v[262:263]*/, v[126:127] neg_lo:[0,0,1] neg_hi:[0,0,1]
	s_set_vgpr_msb 0x41                     ;  msbs: dst=1 src0=1 src1=0 src2=0
	v_dual_fmac_f32 v166 /*v422*/, v99 /*v355*/, v222 :: v_dual_fmac_f32 v167 /*v423*/, v101 /*v357*/, v224
	s_set_vgpr_msb 4                        ;  msbs: dst=0 src0=0 src1=1 src2=0
	v_dual_mov_b32 v127, v139 :: v_dual_add_f32 v129, v129, v124 /*v380*/
	s_set_vgpr_msb 0x41                     ;  msbs: dst=1 src0=1 src1=0 src2=0
	v_dual_fmac_f32 v117 /*v373*/, v103 /*v359*/, v226 :: v_dual_fmac_f32 v119 /*v375*/, v105 /*v361*/, v228
	s_set_vgpr_msb 1                        ;  msbs: dst=0 src0=1 src1=0 src2=0
	v_mul_f32_e32 v135, v101 /*v357*/, v225
	s_set_vgpr_msb 4                        ;  msbs: dst=0 src0=0 src1=1 src2=0
	v_add_f32_e32 v129, v129, v125 /*v381*/
	s_delay_alu instid0(VALU_DEP_1) | instskip(NEXT) | instid1(VALU_DEP_1)
	v_add_f32_e32 v129, v129, v126 /*v382*/
	v_add_f32_e32 v129, v129, v127 /*v383*/
	s_delay_alu instid0(VALU_DEP_1) | instskip(NEXT) | instid1(VALU_DEP_1)
	v_add_f32_e32 v129, v129, v128 /*v384*/
	;; [unrolled: 3-line block ×16, first 2 shown]
	v_add_f32_e32 v129, v129, v157 /*v413*/
	s_delay_alu instid0(VALU_DEP_1)
	v_add_f32_e32 v128, v129, v158 /*v414*/
	s_set_vgpr_msb 1                        ;  msbs: dst=0 src0=1 src1=0 src2=0
	v_dual_mul_f32 v129, v99 /*v355*/, v223 :: v_dual_fma_f32 v134, v96 /*v352*/, v220, -v136
	v_fma_f32 v136, v100 /*v356*/, v224, -v135
	s_set_vgpr_msb 4                        ;  msbs: dst=0 src0=0 src1=1 src2=0
	v_add_f32_e32 v128, v128, v159 /*v415*/
	s_set_vgpr_msb 1                        ;  msbs: dst=0 src0=1 src1=0 src2=0
	v_fma_f32 v129, v98 /*v354*/, v222, -v129
	s_set_vgpr_msb 4                        ;  msbs: dst=0 src0=0 src1=1 src2=0
	s_delay_alu instid0(VALU_DEP_2) | instskip(NEXT) | instid1(VALU_DEP_1)
	v_add_f32_e32 v128, v128, v160 /*v416*/
	v_add_f32_e32 v128, v128, v161 /*v417*/
	s_delay_alu instid0(VALU_DEP_1) | instskip(NEXT) | instid1(VALU_DEP_1)
	v_add_f32_e32 v128, v128, v162 /*v418*/
	v_add_f32_e32 v133, v128, v163 /*v419*/
	s_set_vgpr_msb 1                        ;  msbs: dst=0 src0=1 src1=0 src2=0
	v_mov_b32_e32 v128, v9 /*v265*/
	s_set_vgpr_msb 0                        ;  msbs: dst=0 src0=0 src1=0 src2=0
	v_add_f32_e32 v132, v130, v132
	s_wait_loadcnt 0x3
	s_set_vgpr_msb 5                        ;  msbs: dst=0 src0=1 src1=1 src2=0
	v_pk_mul_f32 v[130:131], v[42:43] /*v[298:299]*/, v[38:39] /*v[294:295]*/ op_sel:[1,1] op_sel_hi:[0,1]
	s_set_vgpr_msb 4                        ;  msbs: dst=0 src0=0 src1=1 src2=0
	v_add_f32_e32 v133, v133, v164 /*v420*/
	s_set_vgpr_msb 0                        ;  msbs: dst=0 src0=0 src1=0 src2=0
	v_add_f32_e32 v134, v132, v134
	s_set_vgpr_msb 5                        ;  msbs: dst=0 src0=1 src1=1 src2=0
	v_mov_b32_e32 v132, v41 /*v297*/
	v_pk_fma_f32 v[140:141], v[42:43] /*v[298:299]*/, v[38:39] /*v[294:295]*/, v[130:131] op_sel_hi:[1,0,1]
	s_set_vgpr_msb 4                        ;  msbs: dst=0 src0=0 src1=1 src2=0
	v_add_f32_e32 v133, v133, v165 /*v421*/
	s_set_vgpr_msb 5                        ;  msbs: dst=0 src0=1 src1=1 src2=0
	v_pk_fma_f32 v[130:131], v[42:43] /*v[298:299]*/, v[38:39] /*v[294:295]*/, v[130:131] neg_lo:[0,0,1] neg_hi:[0,0,1]
	s_set_vgpr_msb 0                        ;  msbs: dst=0 src0=0 src1=0 src2=0
	v_add_f32_e32 v129, v134, v129
	s_wait_loadcnt 0x2
	s_set_vgpr_msb 5                        ;  msbs: dst=0 src0=1 src1=1 src2=0
	v_pk_mul_f32 v[134:135], v[46:47] /*v[302:303]*/, v[86:87] /*v[342:343]*/ op_sel:[1,1] op_sel_hi:[0,1]
	s_set_vgpr_msb 4                        ;  msbs: dst=0 src0=0 src1=1 src2=0
	v_mov_b32_e32 v131, v141
	v_add_f32_e32 v133, v133, v166 /*v422*/
	s_set_vgpr_msb 0                        ;  msbs: dst=0 src0=0 src1=0 src2=0
	v_add_f32_e32 v136, v129, v136
	v_pk_mul_f32 v[124:125], v[124:125], v[128:129] op_sel_hi:[1,0]
	s_set_vgpr_msb 4                        ;  msbs: dst=0 src0=0 src1=1 src2=0
	v_add_f32_e32 v137, v133, v167 /*v423*/
	s_set_vgpr_msb 1                        ;  msbs: dst=0 src0=1 src1=0 src2=0
	v_pk_mul_f32 v[132:133], v[110:111] /*v[366:367]*/, v[132:133] op_sel_hi:[1,0]
	s_set_vgpr_msb 5                        ;  msbs: dst=0 src0=1 src1=1 src2=0
	v_pk_fma_f32 v[138:139], v[36:37] /*v[292:293]*/, v[8:9] /*v[264:265]*/, v[124:125] op_sel_hi:[1,0,1]
	v_pk_fma_f32 v[124:125], v[36:37] /*v[292:293]*/, v[8:9] /*v[264:265]*/, v[124:125] neg_lo:[0,0,1] neg_hi:[0,0,1]
	s_set_vgpr_msb 4                        ;  msbs: dst=0 src0=0 src1=1 src2=0
	v_pk_add_f32 v[128:129], v[136:137], v[116:117] /*v[372:373]*/
	s_set_vgpr_msb 1                        ;  msbs: dst=0 src0=1 src1=0 src2=0
	v_mov_b32_e32 v136, v89 /*v345*/
	s_set_vgpr_msb 0                        ;  msbs: dst=0 src0=0 src1=0 src2=0
	v_mov_b32_e32 v125, v139
	s_set_vgpr_msb 5                        ;  msbs: dst=0 src0=1 src1=1 src2=0
	v_pk_fma_f32 v[138:139], v[44:45] /*v[300:301]*/, v[40:41] /*v[296:297]*/, v[132:133] op_sel_hi:[1,0,1]
	s_set_vgpr_msb 4                        ;  msbs: dst=0 src0=0 src1=1 src2=0
	v_pk_add_f32 v[128:129], v[128:129], v[118:119] /*v[374:375]*/
	s_set_vgpr_msb 5                        ;  msbs: dst=0 src0=1 src1=1 src2=0
	v_pk_fma_f32 v[132:133], v[44:45] /*v[300:301]*/, v[40:41] /*v[296:297]*/, v[132:133] neg_lo:[0,0,1] neg_hi:[0,0,1]
	s_set_vgpr_msb 0                        ;  msbs: dst=0 src0=0 src1=0 src2=0
	v_mov_b32_e32 v133, v139
	v_pk_add_f32 v[126:127], v[128:129], v[126:127]
	s_wait_loadcnt 0x1
	s_set_vgpr_msb 5                        ;  msbs: dst=0 src0=1 src1=1 src2=0
	v_pk_mul_f32 v[128:129], v[58:59] /*v[314:315]*/, v[106:107] /*v[362:363]*/ op_sel:[1,1] op_sel_hi:[0,1]
	s_set_vgpr_msb 0                        ;  msbs: dst=0 src0=0 src1=0 src2=0
	v_pk_add_f32 v[124:125], v[126:127], v[124:125]
	s_set_vgpr_msb 5                        ;  msbs: dst=0 src0=1 src1=1 src2=0
	v_pk_fma_f32 v[126:127], v[46:47] /*v[302:303]*/, v[86:87] /*v[342:343]*/, v[134:135] op_sel_hi:[1,0,1]
	v_mov_b32_e32 v126, v109 /*v365*/
	s_set_vgpr_msb 1                        ;  msbs: dst=0 src0=1 src1=0 src2=0
	v_pk_mul_f32 v[136:137], v[112:113] /*v[368:369]*/, v[136:137] op_sel_hi:[1,0]
	s_set_vgpr_msb 0                        ;  msbs: dst=0 src0=0 src1=0 src2=0
	v_pk_add_f32 v[124:125], v[124:125], v[130:131]
	s_set_vgpr_msb 5                        ;  msbs: dst=0 src0=1 src1=1 src2=0
	v_pk_fma_f32 v[130:131], v[46:47] /*v[302:303]*/, v[86:87] /*v[342:343]*/, v[134:135] neg_lo:[0,0,1] neg_hi:[0,0,1]
	s_set_vgpr_msb 0                        ;  msbs: dst=0 src0=0 src1=0 src2=0
	v_mov_b32_e32 v131, v127
	s_set_vgpr_msb 5                        ;  msbs: dst=0 src0=1 src1=1 src2=0
	v_pk_fma_f32 v[134:135], v[48:49] /*v[304:305]*/, v[88:89] /*v[344:345]*/, v[136:137] op_sel_hi:[1,0,1]
	v_pk_fma_f32 v[136:137], v[48:49] /*v[304:305]*/, v[88:89] /*v[344:345]*/, v[136:137] neg_lo:[0,0,1] neg_hi:[0,0,1]
	s_set_vgpr_msb 0                        ;  msbs: dst=0 src0=0 src1=0 src2=0
	v_pk_add_f32 v[124:125], v[124:125], v[132:133]
	s_set_vgpr_msb 5                        ;  msbs: dst=0 src0=1 src1=1 src2=0
	v_pk_fma_f32 v[132:133], v[58:59] /*v[314:315]*/, v[106:107] /*v[362:363]*/, v[128:129] op_sel_hi:[1,0,1]
	s_set_vgpr_msb 1                        ;  msbs: dst=0 src0=1 src1=0 src2=0
	v_pk_mul_f32 v[126:127], v[114:115] /*v[370:371]*/, v[126:127] op_sel_hi:[1,0]
	s_set_vgpr_msb 0                        ;  msbs: dst=0 src0=0 src1=0 src2=0
	v_mov_b32_e32 v137, v135
	s_set_vgpr_msb 5                        ;  msbs: dst=0 src0=1 src1=1 src2=0
	v_pk_fma_f32 v[128:129], v[58:59] /*v[314:315]*/, v[106:107] /*v[362:363]*/, v[128:129] neg_lo:[0,0,1] neg_hi:[0,0,1]
	s_set_vgpr_msb 0                        ;  msbs: dst=0 src0=0 src1=0 src2=0
	v_pk_add_f32 v[124:125], v[124:125], v[130:131]
	v_mov_b32_e32 v129, v133
	s_set_vgpr_msb 5                        ;  msbs: dst=0 src0=1 src1=1 src2=0
	v_pk_fma_f32 v[130:131], v[60:61] /*v[316:317]*/, v[108:109] /*v[364:365]*/, v[126:127] op_sel_hi:[1,0,1]
	v_pk_fma_f32 v[126:127], v[60:61] /*v[316:317]*/, v[108:109] /*v[364:365]*/, v[126:127] neg_lo:[0,0,1] neg_hi:[0,0,1]
	s_set_vgpr_msb 0                        ;  msbs: dst=0 src0=0 src1=0 src2=0
	v_pk_add_f32 v[124:125], v[124:125], v[136:137]
	s_delay_alu instid0(VALU_DEP_3) | instskip(NEXT) | instid1(VALU_DEP_2)
	v_mov_b32_e32 v127, v131
	v_pk_add_f32 v[124:125], v[124:125], v[128:129]
	s_delay_alu instid0(VALU_DEP_1) | instskip(SKIP_1) | instid1(VALU_DEP_1)
	v_pk_add_f32 v[124:125], v[124:125], v[126:127]
	s_wait_loadcnt 0x0
	v_pk_add_f32 v[0:1], v[0:1], v[124:125] neg_lo:[0,1] neg_hi:[0,1]
	scratch_store_b64 off, v[0:1], off
	s_cbranch_vccz .LBB60_500
; %bb.380:
	s_wait_xcnt 0x0
	v_mov_b32_e32 v0, 0
	global_load_b32 v1, v0, s[2:3] offset:236
	s_wait_loadcnt 0x0
	v_cmp_ne_u32_e32 vcc_lo, 60, v1
	s_cbranch_vccz .LBB60_382
; %bb.381:
	v_lshlrev_b32_e32 v1, 3, v1
	scratch_load_b64 v[124:125], v1, off offset:-8
	scratch_load_b64 v[126:127], off, off offset:472
	s_wait_loadcnt 0x1
	scratch_store_b64 off, v[124:125], off offset:472
	s_wait_loadcnt 0x0
	scratch_store_b64 v1, v[126:127], off offset:-8
.LBB60_382:
	global_load_b32 v0, v0, s[2:3] offset:232
	s_wait_loadcnt 0x0
	v_cmp_eq_u32_e32 vcc_lo, 59, v0
	s_cbranch_vccnz .LBB60_384
; %bb.383:
	s_wait_xcnt 0x0
	v_lshlrev_b32_e32 v0, 3, v0
	s_delay_alu instid0(VALU_DEP_1)
	v_mov_b32_e32 v126, v0
	scratch_load_b64 v[0:1], v126, off offset:-8
	scratch_load_b64 v[124:125], off, off offset:464
	s_wait_loadcnt 0x1
	scratch_store_b64 off, v[0:1], off offset:464
	s_wait_loadcnt 0x0
	scratch_store_b64 v126, v[124:125], off offset:-8
.LBB60_384:
	s_wait_xcnt 0x0
	v_mov_b32_e32 v0, 0
	global_load_b32 v1, v0, s[2:3] offset:228
	s_wait_loadcnt 0x0
	v_cmp_eq_u32_e32 vcc_lo, 58, v1
	s_cbranch_vccnz .LBB60_386
; %bb.385:
	v_lshlrev_b32_e32 v1, 3, v1
	scratch_load_b64 v[124:125], v1, off offset:-8
	scratch_load_b64 v[126:127], off, off offset:456
	s_wait_loadcnt 0x1
	scratch_store_b64 off, v[124:125], off offset:456
	s_wait_loadcnt 0x0
	scratch_store_b64 v1, v[126:127], off offset:-8
.LBB60_386:
	global_load_b32 v0, v0, s[2:3] offset:224
	s_wait_loadcnt 0x0
	v_cmp_eq_u32_e32 vcc_lo, 57, v0
	s_cbranch_vccnz .LBB60_388
; %bb.387:
	s_wait_xcnt 0x0
	v_lshlrev_b32_e32 v0, 3, v0
	s_delay_alu instid0(VALU_DEP_1)
	v_mov_b32_e32 v126, v0
	scratch_load_b64 v[0:1], v126, off offset:-8
	scratch_load_b64 v[124:125], off, off offset:448
	s_wait_loadcnt 0x1
	scratch_store_b64 off, v[0:1], off offset:448
	s_wait_loadcnt 0x0
	scratch_store_b64 v126, v[124:125], off offset:-8
.LBB60_388:
	s_wait_xcnt 0x0
	v_mov_b32_e32 v0, 0
	global_load_b32 v1, v0, s[2:3] offset:220
	s_wait_loadcnt 0x0
	v_cmp_eq_u32_e32 vcc_lo, 56, v1
	s_cbranch_vccnz .LBB60_390
; %bb.389:
	v_lshlrev_b32_e32 v1, 3, v1
	scratch_load_b64 v[124:125], v1, off offset:-8
	scratch_load_b64 v[126:127], off, off offset:440
	s_wait_loadcnt 0x1
	scratch_store_b64 off, v[124:125], off offset:440
	s_wait_loadcnt 0x0
	scratch_store_b64 v1, v[126:127], off offset:-8
.LBB60_390:
	;; [unrolled: 31-line block ×29, first 2 shown]
	global_load_b32 v124, v0, s[2:3]
	scratch_load_b64 v[0:1], off, off
	s_wait_loadcnt 0x1
	v_cmp_eq_u32_e32 vcc_lo, 1, v124
	s_cbranch_vccnz .LBB60_500
; %bb.499:
	v_lshlrev_b32_e32 v124, 3, v124
	s_delay_alu instid0(VALU_DEP_1)
	v_mov_b32_e32 v126, v124
	scratch_load_b64 v[124:125], v126, off offset:-8
	s_wait_loadcnt 0x0
	scratch_store_b64 off, v[124:125], off
	scratch_store_b64 v126, v[0:1], off offset:-8
	scratch_load_b64 v[0:1], off, off
.LBB60_500:
	v_lshl_add_u64 v[124:125], v[6:7], 3, s[4:5]
	v_lshl_add_u64 v[126:127], v[8:9], 3, s[4:5]
	;; [unrolled: 1-line block ×4, first 2 shown]
	s_clause 0x1d
	scratch_load_b128 v[120:123], off, off offset:8
	scratch_load_b128 v[128:131], off, off offset:24
	;; [unrolled: 1-line block ×30, first 2 shown]
	v_lshl_add_u64 v[10:11], v[10:11], 3, s[4:5]
	v_lshl_add_u64 v[12:13], v[12:13], 3, s[4:5]
	;; [unrolled: 1-line block ×55, first 2 shown]
	s_wait_loadcnt 0x1e
	global_store_b64 v[2:3], v[0:1], off
	s_wait_loadcnt 0x1d
	s_clause 0x1
	global_store_b64 v[4:5], v[120:121], off
	global_store_b64 v[124:125], v[122:123], off
	s_wait_loadcnt 0x1c
	s_clause 0x1
	global_store_b64 v[126:127], v[128:129], off
	;; [unrolled: 4-line block ×30, first 2 shown]
	global_store_b64 v[8:9], v[242:243], off
	s_sendmsg sendmsg(MSG_DEALLOC_VGPRS)
	s_endpgm
	.section	.rodata,"a",@progbits
	.p2align	6, 0x0
	.amdhsa_kernel _ZN9rocsolver6v33100L18getri_kernel_smallILi61E19rocblas_complex_numIfEPS3_EEvT1_iilPiilS6_bb
		.amdhsa_group_segment_fixed_size 984
		.amdhsa_private_segment_fixed_size 496
		.amdhsa_kernarg_size 60
		.amdhsa_user_sgpr_count 2
		.amdhsa_user_sgpr_dispatch_ptr 0
		.amdhsa_user_sgpr_queue_ptr 0
		.amdhsa_user_sgpr_kernarg_segment_ptr 1
		.amdhsa_user_sgpr_dispatch_id 0
		.amdhsa_user_sgpr_kernarg_preload_length 0
		.amdhsa_user_sgpr_kernarg_preload_offset 0
		.amdhsa_user_sgpr_private_segment_size 0
		.amdhsa_wavefront_size32 1
		.amdhsa_uses_dynamic_stack 0
		.amdhsa_enable_private_segment 1
		.amdhsa_system_sgpr_workgroup_id_x 1
		.amdhsa_system_sgpr_workgroup_id_y 0
		.amdhsa_system_sgpr_workgroup_id_z 0
		.amdhsa_system_sgpr_workgroup_info 0
		.amdhsa_system_vgpr_workitem_id 0
		.amdhsa_next_free_vgpr 424
		.amdhsa_next_free_sgpr 19
		.amdhsa_named_barrier_count 0
		.amdhsa_reserve_vcc 1
		.amdhsa_float_round_mode_32 0
		.amdhsa_float_round_mode_16_64 0
		.amdhsa_float_denorm_mode_32 3
		.amdhsa_float_denorm_mode_16_64 3
		.amdhsa_fp16_overflow 0
		.amdhsa_memory_ordered 1
		.amdhsa_forward_progress 1
		.amdhsa_inst_pref_size 255
		.amdhsa_round_robin_scheduling 0
		.amdhsa_exception_fp_ieee_invalid_op 0
		.amdhsa_exception_fp_denorm_src 0
		.amdhsa_exception_fp_ieee_div_zero 0
		.amdhsa_exception_fp_ieee_overflow 0
		.amdhsa_exception_fp_ieee_underflow 0
		.amdhsa_exception_fp_ieee_inexact 0
		.amdhsa_exception_int_div_zero 0
	.end_amdhsa_kernel
	.section	.text._ZN9rocsolver6v33100L18getri_kernel_smallILi61E19rocblas_complex_numIfEPS3_EEvT1_iilPiilS6_bb,"axG",@progbits,_ZN9rocsolver6v33100L18getri_kernel_smallILi61E19rocblas_complex_numIfEPS3_EEvT1_iilPiilS6_bb,comdat
.Lfunc_end60:
	.size	_ZN9rocsolver6v33100L18getri_kernel_smallILi61E19rocblas_complex_numIfEPS3_EEvT1_iilPiilS6_bb, .Lfunc_end60-_ZN9rocsolver6v33100L18getri_kernel_smallILi61E19rocblas_complex_numIfEPS3_EEvT1_iilPiilS6_bb
                                        ; -- End function
	.set _ZN9rocsolver6v33100L18getri_kernel_smallILi61E19rocblas_complex_numIfEPS3_EEvT1_iilPiilS6_bb.num_vgpr, 424
	.set _ZN9rocsolver6v33100L18getri_kernel_smallILi61E19rocblas_complex_numIfEPS3_EEvT1_iilPiilS6_bb.num_agpr, 0
	.set _ZN9rocsolver6v33100L18getri_kernel_smallILi61E19rocblas_complex_numIfEPS3_EEvT1_iilPiilS6_bb.numbered_sgpr, 19
	.set _ZN9rocsolver6v33100L18getri_kernel_smallILi61E19rocblas_complex_numIfEPS3_EEvT1_iilPiilS6_bb.num_named_barrier, 0
	.set _ZN9rocsolver6v33100L18getri_kernel_smallILi61E19rocblas_complex_numIfEPS3_EEvT1_iilPiilS6_bb.private_seg_size, 496
	.set _ZN9rocsolver6v33100L18getri_kernel_smallILi61E19rocblas_complex_numIfEPS3_EEvT1_iilPiilS6_bb.uses_vcc, 1
	.set _ZN9rocsolver6v33100L18getri_kernel_smallILi61E19rocblas_complex_numIfEPS3_EEvT1_iilPiilS6_bb.uses_flat_scratch, 1
	.set _ZN9rocsolver6v33100L18getri_kernel_smallILi61E19rocblas_complex_numIfEPS3_EEvT1_iilPiilS6_bb.has_dyn_sized_stack, 0
	.set _ZN9rocsolver6v33100L18getri_kernel_smallILi61E19rocblas_complex_numIfEPS3_EEvT1_iilPiilS6_bb.has_recursion, 0
	.set _ZN9rocsolver6v33100L18getri_kernel_smallILi61E19rocblas_complex_numIfEPS3_EEvT1_iilPiilS6_bb.has_indirect_call, 0
	.section	.AMDGPU.csdata,"",@progbits
; Kernel info:
; codeLenInByte = 135244
; TotalNumSgprs: 21
; NumVgprs: 424
; ScratchSize: 496
; MemoryBound: 0
; FloatMode: 240
; IeeeMode: 1
; LDSByteSize: 984 bytes/workgroup (compile time only)
; SGPRBlocks: 0
; VGPRBlocks: 26
; NumSGPRsForWavesPerEU: 21
; NumVGPRsForWavesPerEU: 424
; NamedBarCnt: 0
; Occupancy: 2
; WaveLimiterHint : 1
; COMPUTE_PGM_RSRC2:SCRATCH_EN: 1
; COMPUTE_PGM_RSRC2:USER_SGPR: 2
; COMPUTE_PGM_RSRC2:TRAP_HANDLER: 0
; COMPUTE_PGM_RSRC2:TGID_X_EN: 1
; COMPUTE_PGM_RSRC2:TGID_Y_EN: 0
; COMPUTE_PGM_RSRC2:TGID_Z_EN: 0
; COMPUTE_PGM_RSRC2:TIDIG_COMP_CNT: 0
	.section	.text._ZN9rocsolver6v33100L18getri_kernel_smallILi62E19rocblas_complex_numIfEPS3_EEvT1_iilPiilS6_bb,"axG",@progbits,_ZN9rocsolver6v33100L18getri_kernel_smallILi62E19rocblas_complex_numIfEPS3_EEvT1_iilPiilS6_bb,comdat
	.globl	_ZN9rocsolver6v33100L18getri_kernel_smallILi62E19rocblas_complex_numIfEPS3_EEvT1_iilPiilS6_bb ; -- Begin function _ZN9rocsolver6v33100L18getri_kernel_smallILi62E19rocblas_complex_numIfEPS3_EEvT1_iilPiilS6_bb
	.p2align	8
	.type	_ZN9rocsolver6v33100L18getri_kernel_smallILi62E19rocblas_complex_numIfEPS3_EEvT1_iilPiilS6_bb,@function
_ZN9rocsolver6v33100L18getri_kernel_smallILi62E19rocblas_complex_numIfEPS3_EEvT1_iilPiilS6_bb: ; @_ZN9rocsolver6v33100L18getri_kernel_smallILi62E19rocblas_complex_numIfEPS3_EEvT1_iilPiilS6_bb
; %bb.0:
	s_mov_b32 s2, exec_lo
	v_cmpx_gt_u32_e32 62, v0
	s_cbranch_execz .LBB61_262
; %bb.1:
	s_clause 0x2
	s_load_b32 s2, s[0:1], 0x38
	s_load_b128 s[12:15], s[0:1], 0x10
	s_load_b128 s[4:7], s[0:1], 0x28
	s_getreg_b32 s9, hwreg(HW_REG_IB_STS2, 6, 4)
	s_wait_kmcnt 0x0
	s_bitcmp1_b32 s2, 8
	s_cselect_b32 s18, -1, 0
	s_bfe_u32 s3, ttmp6, 0x4000c
	s_and_b32 s8, ttmp6, 15
	s_add_co_i32 s3, s3, 1
	s_delay_alu instid0(SALU_CYCLE_1) | instskip(NEXT) | instid1(SALU_CYCLE_1)
	s_mul_i32 s3, ttmp9, s3
	s_add_co_i32 s8, s8, s3
	s_cmp_eq_u32 s9, 0
	s_cselect_b32 s16, ttmp9, s8
	s_bfe_u32 s2, s2, 0x10008
	s_ashr_i32 s17, s16, 31
	s_cmp_eq_u32 s2, 0
                                        ; implicit-def: $sgpr2_sgpr3
	s_cbranch_scc1 .LBB61_3
; %bb.2:
	s_load_b32 s2, s[0:1], 0x20
	s_mul_u64 s[4:5], s[4:5], s[16:17]
	s_delay_alu instid0(SALU_CYCLE_1) | instskip(NEXT) | instid1(SALU_CYCLE_1)
	s_lshl_b64 s[4:5], s[4:5], 2
	s_add_nc_u64 s[4:5], s[14:15], s[4:5]
	s_wait_kmcnt 0x0
	s_ashr_i32 s3, s2, 31
	s_delay_alu instid0(SALU_CYCLE_1) | instskip(NEXT) | instid1(SALU_CYCLE_1)
	s_lshl_b64 s[2:3], s[2:3], 2
	s_add_nc_u64 s[2:3], s[4:5], s[2:3]
.LBB61_3:
	s_clause 0x1
	s_load_b128 s[8:11], s[0:1], 0x0
	s_load_b32 s14, s[0:1], 0x38
	s_wait_xcnt 0x0
	s_mul_u64 s[0:1], s[12:13], s[16:17]
	v_lshlrev_b32_e32 v126, 3, v0
	s_lshl_b64 s[0:1], s[0:1], 3
	v_mov_b32_e32 v127, 0
	s_wait_kmcnt 0x0
	v_add3_u32 v6, s11, s11, v0
	s_ashr_i32 s5, s10, 31
	s_mov_b32 s4, s10
	s_add_nc_u64 s[0:1], s[8:9], s[0:1]
	s_lshl_b64 s[4:5], s[4:5], 3
	v_add_nc_u32_e32 v8, s11, v6
	s_add_nc_u64 s[4:5], s[0:1], s[4:5]
	s_ashr_i32 s1, s11, 31
	s_mov_b32 s0, s11
	s_bitcmp0_b32 s14, 0
	v_add_nc_u32_e32 v10, s11, v8
	v_add_nc_u64_e32 v[2:3], s[4:5], v[126:127]
	s_delay_alu instid0(VALU_DEP_2) | instskip(NEXT) | instid1(VALU_DEP_2)
	v_add_nc_u32_e32 v12, s11, v10
	v_lshl_add_u64 v[4:5], s[0:1], 3, v[2:3]
	s_mov_b32 s1, -1
	s_delay_alu instid0(VALU_DEP_2) | instskip(SKIP_4) | instid1(VALU_DEP_1)
	v_add_nc_u32_e32 v14, s11, v12
	s_clause 0x1
	global_load_b64 v[128:129], v0, s[4:5] scale_offset
	global_load_b64 v[130:131], v[4:5], off
	v_add_nc_u32_e32 v16, s11, v14
	v_add_nc_u32_e32 v18, s11, v16
	s_clause 0x3
	global_load_b64 v[132:133], v6, s[4:5] scale_offset
	global_load_b64 v[134:135], v8, s[4:5] scale_offset
	global_load_b64 v[136:137], v10, s[4:5] scale_offset
	global_load_b64 v[138:139], v12, s[4:5] scale_offset
	v_add_nc_u32_e32 v20, s11, v18
	s_delay_alu instid0(VALU_DEP_1) | instskip(NEXT) | instid1(VALU_DEP_1)
	v_add_nc_u32_e32 v22, s11, v20
	v_add_nc_u32_e32 v24, s11, v22
	s_delay_alu instid0(VALU_DEP_1)
	v_add_nc_u32_e32 v26, s11, v24
	s_clause 0x3
	global_load_b64 v[140:141], v14, s[4:5] scale_offset
	global_load_b64 v[142:143], v16, s[4:5] scale_offset
	global_load_b64 v[144:145], v18, s[4:5] scale_offset
	global_load_b64 v[146:147], v20, s[4:5] scale_offset
	v_add_nc_u32_e32 v28, s11, v26
	s_delay_alu instid0(VALU_DEP_1)
	v_add_nc_u32_e32 v30, s11, v28
	s_clause 0x3
	global_load_b64 v[148:149], v22, s[4:5] scale_offset
	global_load_b64 v[150:151], v24, s[4:5] scale_offset
	global_load_b64 v[152:153], v26, s[4:5] scale_offset
	global_load_b64 v[154:155], v28, s[4:5] scale_offset
	v_add_nc_u32_e32 v32, s11, v30
	s_delay_alu instid0(VALU_DEP_1) | instskip(NEXT) | instid1(VALU_DEP_1)
	v_add_nc_u32_e32 v34, s11, v32
	v_add_nc_u32_e32 v36, s11, v34
	s_delay_alu instid0(VALU_DEP_1) | instskip(NEXT) | instid1(VALU_DEP_1)
	v_add_nc_u32_e32 v38, s11, v36
	v_add_nc_u32_e32 v40, s11, v38
	s_delay_alu instid0(VALU_DEP_1)
	v_add_nc_u32_e32 v42, s11, v40
	s_clause 0x3
	global_load_b64 v[156:157], v30, s[4:5] scale_offset
	global_load_b64 v[158:159], v32, s[4:5] scale_offset
	global_load_b64 v[160:161], v34, s[4:5] scale_offset
	global_load_b64 v[162:163], v36, s[4:5] scale_offset
	v_add_nc_u32_e32 v44, s11, v42
	s_delay_alu instid0(VALU_DEP_1) | instskip(NEXT) | instid1(VALU_DEP_1)
	v_add_nc_u32_e32 v46, s11, v44
	v_add_nc_u32_e32 v48, s11, v46
	s_delay_alu instid0(VALU_DEP_1)
	v_add_nc_u32_e32 v50, s11, v48
	s_clause 0x3
	global_load_b64 v[164:165], v38, s[4:5] scale_offset
	global_load_b64 v[166:167], v40, s[4:5] scale_offset
	global_load_b64 v[168:169], v42, s[4:5] scale_offset
	global_load_b64 v[170:171], v44, s[4:5] scale_offset
	v_add_nc_u32_e32 v52, s11, v50
	s_delay_alu instid0(VALU_DEP_1)
	v_add_nc_u32_e32 v54, s11, v52
	s_clause 0x3
	global_load_b64 v[172:173], v46, s[4:5] scale_offset
	global_load_b64 v[174:175], v48, s[4:5] scale_offset
	global_load_b64 v[176:177], v50, s[4:5] scale_offset
	global_load_b64 v[178:179], v52, s[4:5] scale_offset
	v_add_nc_u32_e32 v56, s11, v54
	s_delay_alu instid0(VALU_DEP_1) | instskip(NEXT) | instid1(VALU_DEP_1)
	v_add_nc_u32_e32 v58, s11, v56
	v_add_nc_u32_e32 v60, s11, v58
	s_delay_alu instid0(VALU_DEP_1) | instskip(NEXT) | instid1(VALU_DEP_1)
	v_add_nc_u32_e32 v62, s11, v60
	v_add_nc_u32_e32 v64, s11, v62
	s_delay_alu instid0(VALU_DEP_1)
	;; [unrolled: 33-line block ×3, first 2 shown]
	v_add_nc_u32_e32 v90, s11, v88
	s_clause 0x3
	global_load_b64 v[204:205], v78, s[4:5] scale_offset
	global_load_b64 v[206:207], v80, s[4:5] scale_offset
	;; [unrolled: 1-line block ×4, first 2 shown]
	v_add_nc_u32_e32 v92, s11, v90
	s_delay_alu instid0(VALU_DEP_1)
	v_add_nc_u32_e32 v94, s11, v92
	s_clause 0x3
	global_load_b64 v[212:213], v86, s[4:5] scale_offset
	global_load_b64 v[214:215], v88, s[4:5] scale_offset
	;; [unrolled: 1-line block ×4, first 2 shown]
	v_add_nc_u32_e32 v96, s11, v94
	s_delay_alu instid0(VALU_DEP_1) | instskip(NEXT) | instid1(VALU_DEP_1)
	v_add_nc_u32_e32 v98, s11, v96
	v_add_nc_u32_e32 v100, s11, v98
	s_delay_alu instid0(VALU_DEP_1) | instskip(NEXT) | instid1(VALU_DEP_1)
	v_add_nc_u32_e32 v102, s11, v100
	v_add_nc_u32_e32 v104, s11, v102
	s_delay_alu instid0(VALU_DEP_1)
	v_add_nc_u32_e32 v106, s11, v104
	s_clause 0x3
	global_load_b64 v[220:221], v94, s[4:5] scale_offset
	global_load_b64 v[222:223], v96, s[4:5] scale_offset
	;; [unrolled: 1-line block ×4, first 2 shown]
	v_add_nc_u32_e32 v108, s11, v106
	s_delay_alu instid0(VALU_DEP_1) | instskip(NEXT) | instid1(VALU_DEP_1)
	v_add_nc_u32_e32 v110, s11, v108
	v_add_nc_u32_e32 v112, s11, v110
	s_delay_alu instid0(VALU_DEP_1)
	v_add_nc_u32_e32 v114, s11, v112
	s_clause 0x3
	global_load_b64 v[228:229], v102, s[4:5] scale_offset
	global_load_b64 v[230:231], v104, s[4:5] scale_offset
	;; [unrolled: 1-line block ×4, first 2 shown]
	v_add_nc_u32_e32 v116, s11, v114
	s_delay_alu instid0(VALU_DEP_1)
	v_add_nc_u32_e32 v118, s11, v116
	s_clause 0x3
	global_load_b64 v[236:237], v110, s[4:5] scale_offset
	global_load_b64 v[238:239], v112, s[4:5] scale_offset
	;; [unrolled: 1-line block ×4, first 2 shown]
	v_add_nc_u32_e32 v120, s11, v118
	s_delay_alu instid0(VALU_DEP_1) | instskip(NEXT) | instid1(VALU_DEP_1)
	v_add_nc_u32_e32 v122, s11, v120
	v_add_nc_u32_e32 v124, s11, v122
	s_clause 0x3
	global_load_b64 v[244:245], v118, s[4:5] scale_offset
	global_load_b64 v[246:247], v120, s[4:5] scale_offset
	;; [unrolled: 1-line block ×4, first 2 shown]
	s_wait_loadcnt 0x3c
	scratch_store_b128 off, v[128:131], off
	s_wait_loadcnt 0x3a
	scratch_store_b128 off, v[132:135], off offset:16
	s_wait_loadcnt 0x38
	scratch_store_b128 off, v[136:139], off offset:32
	;; [unrolled: 2-line block ×30, first 2 shown]
	s_cbranch_scc1 .LBB61_260
; %bb.4:
	v_cmp_eq_u32_e64 s0, 0, v0
	s_wait_xcnt 0x0
	s_and_saveexec_b32 s1, s0
; %bb.5:
	v_mov_b32_e32 v1, 0
	ds_store_b32 v1, v1 offset:992
; %bb.6:
	s_or_b32 exec_lo, exec_lo, s1
	s_wait_storecnt_dscnt 0x0
	s_barrier_signal -1
	s_barrier_wait -1
	scratch_load_b64 v[128:129], v0, off scale_offset
	s_wait_loadcnt 0x0
	v_cmp_eq_f32_e32 vcc_lo, 0, v128
	v_cmp_eq_f32_e64 s1, 0, v129
	s_and_b32 s1, vcc_lo, s1
	s_delay_alu instid0(SALU_CYCLE_1)
	s_and_saveexec_b32 s8, s1
	s_cbranch_execz .LBB61_10
; %bb.7:
	v_mov_b32_e32 v1, 0
	s_mov_b32 s9, 0
	ds_load_b32 v7, v1 offset:992
	s_wait_dscnt 0x0
	v_readfirstlane_b32 s1, v7
	v_add_nc_u32_e32 v7, 1, v0
	s_cmp_eq_u32 s1, 0
	s_delay_alu instid0(VALU_DEP_1) | instskip(SKIP_1) | instid1(SALU_CYCLE_1)
	v_cmp_gt_i32_e32 vcc_lo, s1, v7
	s_cselect_b32 s10, -1, 0
	s_or_b32 s10, s10, vcc_lo
	s_delay_alu instid0(SALU_CYCLE_1)
	s_and_b32 exec_lo, exec_lo, s10
	s_cbranch_execz .LBB61_10
; %bb.8:
	v_mov_b32_e32 v9, s1
.LBB61_9:                               ; =>This Inner Loop Header: Depth=1
	ds_cmpstore_rtn_b32 v9, v1, v7, v9 offset:992
	s_wait_dscnt 0x0
	v_cmp_ne_u32_e32 vcc_lo, 0, v9
	v_cmp_le_i32_e64 s1, v9, v7
	s_and_b32 s1, vcc_lo, s1
	s_delay_alu instid0(SALU_CYCLE_1) | instskip(NEXT) | instid1(SALU_CYCLE_1)
	s_and_b32 s1, exec_lo, s1
	s_or_b32 s9, s1, s9
	s_delay_alu instid0(SALU_CYCLE_1)
	s_and_not1_b32 exec_lo, exec_lo, s9
	s_cbranch_execnz .LBB61_9
.LBB61_10:
	s_or_b32 exec_lo, exec_lo, s8
	v_mov_b32_e32 v1, 0
	s_barrier_signal -1
	s_barrier_wait -1
	ds_load_b32 v7, v1 offset:992
	s_and_saveexec_b32 s1, s0
	s_cbranch_execz .LBB61_12
; %bb.11:
	s_lshl_b64 s[8:9], s[16:17], 2
	s_delay_alu instid0(SALU_CYCLE_1)
	s_add_nc_u64 s[8:9], s[6:7], s[8:9]
	s_wait_dscnt 0x0
	global_store_b32 v1, v7, s[8:9]
.LBB61_12:
	s_wait_xcnt 0x0
	s_or_b32 exec_lo, exec_lo, s1
	s_wait_dscnt 0x0
	v_cmp_ne_u32_e32 vcc_lo, 0, v7
	s_mov_b32 s1, 0
	s_cbranch_vccnz .LBB61_260
; %bb.13:
	v_lshl_add_u32 v7, v0, 3, 0
                                        ; implicit-def: $vgpr131
                                        ; implicit-def: $vgpr132
	scratch_load_b64 v[128:129], v7, off
	s_wait_loadcnt 0x0
	v_cmp_ngt_f32_e64 s1, |v128|, |v129|
	s_wait_xcnt 0x0
	s_and_saveexec_b32 s8, s1
	s_delay_alu instid0(SALU_CYCLE_1)
	s_xor_b32 s1, exec_lo, s8
	s_cbranch_execz .LBB61_15
; %bb.14:
	v_div_scale_f32 v1, null, v129, v129, v128
	v_div_scale_f32 v13, vcc_lo, v128, v129, v128
	s_delay_alu instid0(VALU_DEP_2) | instskip(SKIP_1) | instid1(TRANS32_DEP_1)
	v_rcp_f32_e32 v9, v1
	v_nop
	v_fma_f32 v11, -v1, v9, 1.0
	s_delay_alu instid0(VALU_DEP_1) | instskip(NEXT) | instid1(VALU_DEP_1)
	v_fmac_f32_e32 v9, v11, v9
	v_mul_f32_e32 v11, v13, v9
	s_delay_alu instid0(VALU_DEP_1) | instskip(NEXT) | instid1(VALU_DEP_1)
	v_fma_f32 v15, -v1, v11, v13
	v_fmac_f32_e32 v11, v15, v9
	s_delay_alu instid0(VALU_DEP_1) | instskip(NEXT) | instid1(VALU_DEP_1)
	v_fma_f32 v1, -v1, v11, v13
	v_div_fmas_f32 v1, v1, v9, v11
	s_delay_alu instid0(VALU_DEP_1) | instskip(NEXT) | instid1(VALU_DEP_1)
	v_div_fixup_f32 v1, v1, v129, v128
	v_fmac_f32_e32 v129, v128, v1
	s_delay_alu instid0(VALU_DEP_1) | instskip(NEXT) | instid1(VALU_DEP_1)
	v_div_scale_f32 v9, null, v129, v129, -1.0
	v_rcp_f32_e32 v11, v9
	v_nop
	s_delay_alu instid0(TRANS32_DEP_1) | instskip(NEXT) | instid1(VALU_DEP_1)
	v_fma_f32 v13, -v9, v11, 1.0
	v_fmac_f32_e32 v11, v13, v11
	v_div_scale_f32 v13, vcc_lo, -1.0, v129, -1.0
	s_delay_alu instid0(VALU_DEP_1) | instskip(NEXT) | instid1(VALU_DEP_1)
	v_mul_f32_e32 v15, v13, v11
	v_fma_f32 v17, -v9, v15, v13
	s_delay_alu instid0(VALU_DEP_1) | instskip(NEXT) | instid1(VALU_DEP_1)
	v_fmac_f32_e32 v15, v17, v11
	v_fma_f32 v9, -v9, v15, v13
	s_delay_alu instid0(VALU_DEP_1) | instskip(NEXT) | instid1(VALU_DEP_1)
	v_div_fmas_f32 v9, v9, v11, v15
	v_div_fixup_f32 v131, v9, v129, -1.0
                                        ; implicit-def: $vgpr128_vgpr129
	s_delay_alu instid0(VALU_DEP_1) | instskip(NEXT) | instid1(VALU_DEP_1)
	v_mul_f32_e32 v132, v1, v131
	v_xor_b32_e32 v130, 0x80000000, v132
.LBB61_15:
	s_and_not1_saveexec_b32 s1, s1
	s_cbranch_execz .LBB61_17
; %bb.16:
	v_div_scale_f32 v1, null, v128, v128, v129
	v_div_scale_f32 v13, vcc_lo, v129, v128, v129
	s_delay_alu instid0(VALU_DEP_2) | instskip(SKIP_1) | instid1(TRANS32_DEP_1)
	v_rcp_f32_e32 v9, v1
	v_nop
	v_fma_f32 v11, -v1, v9, 1.0
	s_delay_alu instid0(VALU_DEP_1) | instskip(NEXT) | instid1(VALU_DEP_1)
	v_fmac_f32_e32 v9, v11, v9
	v_mul_f32_e32 v11, v13, v9
	s_delay_alu instid0(VALU_DEP_1) | instskip(NEXT) | instid1(VALU_DEP_1)
	v_fma_f32 v15, -v1, v11, v13
	v_fmac_f32_e32 v11, v15, v9
	s_delay_alu instid0(VALU_DEP_1) | instskip(NEXT) | instid1(VALU_DEP_1)
	v_fma_f32 v1, -v1, v11, v13
	v_div_fmas_f32 v1, v1, v9, v11
	s_delay_alu instid0(VALU_DEP_1) | instskip(NEXT) | instid1(VALU_DEP_1)
	v_div_fixup_f32 v1, v1, v128, v129
	v_fmac_f32_e32 v128, v129, v1
	s_delay_alu instid0(VALU_DEP_1) | instskip(SKIP_1) | instid1(VALU_DEP_2)
	v_div_scale_f32 v9, null, v128, v128, 1.0
	v_div_scale_f32 v15, vcc_lo, 1.0, v128, 1.0
	v_rcp_f32_e32 v11, v9
	v_nop
	s_delay_alu instid0(TRANS32_DEP_1) | instskip(NEXT) | instid1(VALU_DEP_1)
	v_fma_f32 v13, -v9, v11, 1.0
	v_fmac_f32_e32 v11, v13, v11
	s_delay_alu instid0(VALU_DEP_1) | instskip(NEXT) | instid1(VALU_DEP_1)
	v_mul_f32_e32 v13, v15, v11
	v_fma_f32 v17, -v9, v13, v15
	s_delay_alu instid0(VALU_DEP_1) | instskip(NEXT) | instid1(VALU_DEP_1)
	v_fmac_f32_e32 v13, v17, v11
	v_fma_f32 v9, -v9, v13, v15
	s_delay_alu instid0(VALU_DEP_1) | instskip(NEXT) | instid1(VALU_DEP_1)
	v_div_fmas_f32 v9, v9, v11, v13
	v_div_fixup_f32 v130, v9, v128, 1.0
	s_delay_alu instid0(VALU_DEP_1)
	v_xor_b32_e32 v132, 0x80000000, v130
	v_mul_f32_e64 v131, v1, -v130
.LBB61_17:
	s_or_b32 exec_lo, exec_lo, s1
	scratch_store_b64 v7, v[130:131], off
	scratch_load_b64 v[128:129], off, off offset:8
	v_xor_b32_e32 v133, 0x80000000, v131
	v_add_nc_u32_e32 v1, 0x1f0, v126
	s_wait_loadcnt 0x0
	ds_store_2addr_b64 v126, v[132:133], v[128:129] offset1:62
	s_wait_storecnt_dscnt 0x0
	s_barrier_signal -1
	s_barrier_wait -1
	s_wait_xcnt 0x0
	s_and_saveexec_b32 s1, s0
	s_cbranch_execz .LBB61_19
; %bb.18:
	scratch_load_b64 v[128:129], v7, off
	ds_load_b64 v[130:131], v1
	s_wait_loadcnt_dscnt 0x0
	v_pk_mul_f32 v[134:135], v[130:131], v[128:129] op_sel:[1,1] op_sel_hi:[0,1]
	s_delay_alu instid0(VALU_DEP_1) | instskip(SKIP_2) | instid1(VALU_DEP_3)
	v_pk_fma_f32 v[136:137], v[130:131], v[128:129], v[134:135] op_sel_hi:[1,0,1]
	v_mov_b32_e32 v9, 0
	v_pk_fma_f32 v[128:129], v[130:131], v[128:129], v[134:135] neg_lo:[0,0,1] neg_hi:[0,0,1]
	v_mov_b32_e32 v129, v137
	ds_load_b64 v[132:133], v9 offset:8
	v_pk_add_f32 v[128:129], v[128:129], 0 op_sel_hi:[1,0]
	s_wait_dscnt 0x0
	s_delay_alu instid0(VALU_DEP_1) | instskip(NEXT) | instid1(VALU_DEP_1)
	v_pk_mul_f32 v[130:131], v[128:129], v[132:133] op_sel:[1,1] op_sel_hi:[0,1]
	v_pk_fma_f32 v[134:135], v[128:129], v[132:133], v[130:131] op_sel_hi:[1,0,1]
	v_pk_fma_f32 v[128:129], v[128:129], v[132:133], v[130:131] neg_lo:[0,0,1] neg_hi:[0,0,1]
	s_delay_alu instid0(VALU_DEP_2)
	v_mov_b32_e32 v129, v135
	scratch_store_b64 off, v[128:129], off offset:8
.LBB61_19:
	s_wait_xcnt 0x0
	s_or_b32 exec_lo, exec_lo, s1
	s_wait_storecnt 0x0
	s_barrier_signal -1
	s_barrier_wait -1
	scratch_load_b64 v[128:129], off, off offset:16
	s_mov_b32 s1, exec_lo
	s_wait_loadcnt 0x0
	ds_store_b64 v1, v[128:129]
	s_wait_dscnt 0x0
	s_barrier_signal -1
	s_barrier_wait -1
	v_cmpx_gt_u32_e32 2, v0
	s_cbranch_execz .LBB61_23
; %bb.20:
	scratch_load_b64 v[128:129], v7, off
	ds_load_b64 v[130:131], v1
	s_wait_loadcnt_dscnt 0x0
	v_pk_mul_f32 v[132:133], v[130:131], v[128:129] op_sel:[1,1] op_sel_hi:[0,1]
	s_delay_alu instid0(VALU_DEP_1) | instskip(SKIP_1) | instid1(VALU_DEP_2)
	v_pk_fma_f32 v[134:135], v[130:131], v[128:129], v[132:133] op_sel_hi:[1,0,1]
	v_pk_fma_f32 v[128:129], v[130:131], v[128:129], v[132:133] neg_lo:[0,0,1] neg_hi:[0,0,1]
	v_mov_b32_e32 v129, v135
	s_delay_alu instid0(VALU_DEP_1)
	v_pk_add_f32 v[128:129], v[128:129], 0 op_sel_hi:[1,0]
	s_and_saveexec_b32 s8, s0
	s_cbranch_execz .LBB61_22
; %bb.21:
	scratch_load_b64 v[130:131], off, off offset:8
	v_mov_b32_e32 v7, 0
	ds_load_b64 v[132:133], v7 offset:504
	s_wait_loadcnt_dscnt 0x0
	v_pk_mul_f32 v[134:135], v[132:133], v[130:131] op_sel:[1,1] op_sel_hi:[0,1]
	s_delay_alu instid0(VALU_DEP_1) | instskip(SKIP_1) | instid1(VALU_DEP_2)
	v_pk_fma_f32 v[136:137], v[132:133], v[130:131], v[134:135] op_sel_hi:[1,0,1]
	v_pk_fma_f32 v[130:131], v[132:133], v[130:131], v[134:135] neg_lo:[0,0,1] neg_hi:[0,0,1]
	v_mov_b32_e32 v131, v137
	s_delay_alu instid0(VALU_DEP_1)
	v_pk_add_f32 v[128:129], v[128:129], v[130:131]
.LBB61_22:
	s_or_b32 exec_lo, exec_lo, s8
	v_mov_b32_e32 v7, 0
	ds_load_b64 v[130:131], v7 offset:16
	s_wait_dscnt 0x0
	v_pk_mul_f32 v[132:133], v[128:129], v[130:131] op_sel:[1,1] op_sel_hi:[0,1]
	s_delay_alu instid0(VALU_DEP_1) | instskip(SKIP_1) | instid1(VALU_DEP_2)
	v_pk_fma_f32 v[134:135], v[128:129], v[130:131], v[132:133] op_sel_hi:[1,0,1]
	v_pk_fma_f32 v[128:129], v[128:129], v[130:131], v[132:133] neg_lo:[0,0,1] neg_hi:[0,0,1]
	v_mov_b32_e32 v129, v135
	scratch_store_b64 off, v[128:129], off offset:16
.LBB61_23:
	s_wait_xcnt 0x0
	s_or_b32 exec_lo, exec_lo, s1
	s_wait_storecnt 0x0
	s_barrier_signal -1
	s_barrier_wait -1
	scratch_load_b64 v[128:129], off, off offset:24
	v_add_nc_u32_e32 v7, -1, v0
	s_mov_b32 s0, exec_lo
	s_wait_loadcnt 0x0
	ds_store_b64 v1, v[128:129]
	s_wait_dscnt 0x0
	s_barrier_signal -1
	s_barrier_wait -1
	v_cmpx_gt_u32_e32 3, v0
	s_cbranch_execz .LBB61_27
; %bb.24:
	v_dual_mov_b32 v128, 0 :: v_dual_add_nc_u32 v9, -1, v0
	v_add_nc_u32_e32 v11, 0x1f0, v126
	v_mov_b32_e32 v13, v126
	s_mov_b32 s1, 0
	s_delay_alu instid0(VALU_DEP_3)
	v_mov_b32_e32 v129, v128
.LBB61_25:                              ; =>This Inner Loop Header: Depth=1
	scratch_load_b64 v[130:131], v13, off
	ds_load_b64 v[132:133], v11
	s_wait_xcnt 0x0
	v_dual_add_nc_u32 v11, 8, v11 :: v_dual_add_nc_u32 v13, 8, v13
	s_wait_loadcnt_dscnt 0x0
	v_pk_mul_f32 v[134:135], v[132:133], v[130:131] op_sel:[1,1] op_sel_hi:[0,1]
	s_delay_alu instid0(VALU_DEP_1) | instskip(SKIP_2) | instid1(VALU_DEP_3)
	v_pk_fma_f32 v[136:137], v[132:133], v[130:131], v[134:135] op_sel_hi:[1,0,1]
	v_add_nc_u32_e32 v9, 1, v9
	v_pk_fma_f32 v[130:131], v[132:133], v[130:131], v[134:135] neg_lo:[0,0,1] neg_hi:[0,0,1]
	v_mov_b32_e32 v131, v137
	s_delay_alu instid0(VALU_DEP_3) | instskip(NEXT) | instid1(VALU_DEP_2)
	v_cmp_lt_u32_e32 vcc_lo, 1, v9
	v_pk_add_f32 v[128:129], v[128:129], v[130:131]
	s_or_b32 s1, vcc_lo, s1
	s_delay_alu instid0(SALU_CYCLE_1)
	s_and_not1_b32 exec_lo, exec_lo, s1
	s_cbranch_execnz .LBB61_25
; %bb.26:
	s_or_b32 exec_lo, exec_lo, s1
	v_mov_b32_e32 v9, 0
	ds_load_b64 v[130:131], v9 offset:24
	s_wait_dscnt 0x0
	v_pk_mul_f32 v[132:133], v[128:129], v[130:131] op_sel:[1,1] op_sel_hi:[0,1]
	s_delay_alu instid0(VALU_DEP_1) | instskip(SKIP_1) | instid1(VALU_DEP_2)
	v_pk_fma_f32 v[134:135], v[128:129], v[130:131], v[132:133] op_sel_hi:[1,0,1]
	v_pk_fma_f32 v[128:129], v[128:129], v[130:131], v[132:133] neg_lo:[0,0,1] neg_hi:[0,0,1]
	v_mov_b32_e32 v129, v135
	scratch_store_b64 off, v[128:129], off offset:24
.LBB61_27:
	s_wait_xcnt 0x0
	s_or_b32 exec_lo, exec_lo, s0
	s_wait_storecnt 0x0
	s_barrier_signal -1
	s_barrier_wait -1
	scratch_load_b64 v[128:129], off, off offset:32
	s_mov_b32 s0, exec_lo
	s_wait_loadcnt 0x0
	ds_store_b64 v1, v[128:129]
	s_wait_dscnt 0x0
	s_barrier_signal -1
	s_barrier_wait -1
	v_cmpx_gt_u32_e32 4, v0
	s_cbranch_execz .LBB61_31
; %bb.28:
	v_dual_mov_b32 v128, 0 :: v_dual_add_nc_u32 v9, -1, v0
	v_add_nc_u32_e32 v11, 0x1f0, v126
	v_mov_b32_e32 v13, v126
	s_mov_b32 s1, 0
	s_delay_alu instid0(VALU_DEP_3)
	v_mov_b32_e32 v129, v128
.LBB61_29:                              ; =>This Inner Loop Header: Depth=1
	scratch_load_b64 v[130:131], v13, off
	ds_load_b64 v[132:133], v11
	s_wait_xcnt 0x0
	v_dual_add_nc_u32 v11, 8, v11 :: v_dual_add_nc_u32 v13, 8, v13
	s_wait_loadcnt_dscnt 0x0
	v_pk_mul_f32 v[134:135], v[132:133], v[130:131] op_sel:[1,1] op_sel_hi:[0,1]
	s_delay_alu instid0(VALU_DEP_1) | instskip(SKIP_2) | instid1(VALU_DEP_3)
	v_pk_fma_f32 v[136:137], v[132:133], v[130:131], v[134:135] op_sel_hi:[1,0,1]
	v_add_nc_u32_e32 v9, 1, v9
	v_pk_fma_f32 v[130:131], v[132:133], v[130:131], v[134:135] neg_lo:[0,0,1] neg_hi:[0,0,1]
	v_mov_b32_e32 v131, v137
	s_delay_alu instid0(VALU_DEP_3) | instskip(NEXT) | instid1(VALU_DEP_2)
	v_cmp_lt_u32_e32 vcc_lo, 2, v9
	v_pk_add_f32 v[128:129], v[128:129], v[130:131]
	s_or_b32 s1, vcc_lo, s1
	s_delay_alu instid0(SALU_CYCLE_1)
	s_and_not1_b32 exec_lo, exec_lo, s1
	s_cbranch_execnz .LBB61_29
; %bb.30:
	s_or_b32 exec_lo, exec_lo, s1
	v_mov_b32_e32 v9, 0
	ds_load_b64 v[130:131], v9 offset:32
	s_wait_dscnt 0x0
	v_pk_mul_f32 v[132:133], v[128:129], v[130:131] op_sel:[1,1] op_sel_hi:[0,1]
	s_delay_alu instid0(VALU_DEP_1) | instskip(SKIP_1) | instid1(VALU_DEP_2)
	v_pk_fma_f32 v[134:135], v[128:129], v[130:131], v[132:133] op_sel_hi:[1,0,1]
	v_pk_fma_f32 v[128:129], v[128:129], v[130:131], v[132:133] neg_lo:[0,0,1] neg_hi:[0,0,1]
	v_mov_b32_e32 v129, v135
	scratch_store_b64 off, v[128:129], off offset:32
.LBB61_31:
	s_wait_xcnt 0x0
	s_or_b32 exec_lo, exec_lo, s0
	s_wait_storecnt 0x0
	s_barrier_signal -1
	s_barrier_wait -1
	scratch_load_b64 v[128:129], off, off offset:40
	;; [unrolled: 52-line block ×19, first 2 shown]
	s_mov_b32 s0, exec_lo
	s_wait_loadcnt 0x0
	ds_store_b64 v1, v[128:129]
	s_wait_dscnt 0x0
	s_barrier_signal -1
	s_barrier_wait -1
	v_cmpx_gt_u32_e32 22, v0
	s_cbranch_execz .LBB61_103
; %bb.100:
	v_dual_mov_b32 v128, 0 :: v_dual_add_nc_u32 v9, -1, v0
	v_add_nc_u32_e32 v11, 0x1f0, v126
	v_mov_b32_e32 v13, v126
	s_mov_b32 s1, 0
	s_delay_alu instid0(VALU_DEP_3)
	v_mov_b32_e32 v129, v128
.LBB61_101:                             ; =>This Inner Loop Header: Depth=1
	scratch_load_b64 v[130:131], v13, off
	ds_load_b64 v[132:133], v11
	s_wait_xcnt 0x0
	v_dual_add_nc_u32 v11, 8, v11 :: v_dual_add_nc_u32 v13, 8, v13
	s_wait_loadcnt_dscnt 0x0
	v_pk_mul_f32 v[134:135], v[132:133], v[130:131] op_sel:[1,1] op_sel_hi:[0,1]
	s_delay_alu instid0(VALU_DEP_1) | instskip(SKIP_2) | instid1(VALU_DEP_3)
	v_pk_fma_f32 v[136:137], v[132:133], v[130:131], v[134:135] op_sel_hi:[1,0,1]
	v_add_nc_u32_e32 v9, 1, v9
	v_pk_fma_f32 v[130:131], v[132:133], v[130:131], v[134:135] neg_lo:[0,0,1] neg_hi:[0,0,1]
	v_mov_b32_e32 v131, v137
	s_delay_alu instid0(VALU_DEP_3) | instskip(NEXT) | instid1(VALU_DEP_2)
	v_cmp_lt_u32_e32 vcc_lo, 20, v9
	v_pk_add_f32 v[128:129], v[128:129], v[130:131]
	s_or_b32 s1, vcc_lo, s1
	s_delay_alu instid0(SALU_CYCLE_1)
	s_and_not1_b32 exec_lo, exec_lo, s1
	s_cbranch_execnz .LBB61_101
; %bb.102:
	s_or_b32 exec_lo, exec_lo, s1
	v_mov_b32_e32 v9, 0
	ds_load_b64 v[130:131], v9 offset:176
	s_wait_dscnt 0x0
	v_pk_mul_f32 v[132:133], v[128:129], v[130:131] op_sel:[1,1] op_sel_hi:[0,1]
	s_delay_alu instid0(VALU_DEP_1) | instskip(SKIP_1) | instid1(VALU_DEP_2)
	v_pk_fma_f32 v[134:135], v[128:129], v[130:131], v[132:133] op_sel_hi:[1,0,1]
	v_pk_fma_f32 v[128:129], v[128:129], v[130:131], v[132:133] neg_lo:[0,0,1] neg_hi:[0,0,1]
	v_mov_b32_e32 v129, v135
	scratch_store_b64 off, v[128:129], off offset:176
.LBB61_103:
	s_wait_xcnt 0x0
	s_or_b32 exec_lo, exec_lo, s0
	s_wait_storecnt 0x0
	s_barrier_signal -1
	s_barrier_wait -1
	scratch_load_b64 v[128:129], off, off offset:184
	s_mov_b32 s0, exec_lo
	s_wait_loadcnt 0x0
	ds_store_b64 v1, v[128:129]
	s_wait_dscnt 0x0
	s_barrier_signal -1
	s_barrier_wait -1
	v_cmpx_gt_u32_e32 23, v0
	s_cbranch_execz .LBB61_107
; %bb.104:
	v_dual_mov_b32 v128, 0 :: v_dual_add_nc_u32 v9, -1, v0
	v_add_nc_u32_e32 v11, 0x1f0, v126
	v_mov_b32_e32 v13, v126
	s_mov_b32 s1, 0
	s_delay_alu instid0(VALU_DEP_3)
	v_mov_b32_e32 v129, v128
.LBB61_105:                             ; =>This Inner Loop Header: Depth=1
	scratch_load_b64 v[130:131], v13, off
	ds_load_b64 v[132:133], v11
	s_wait_xcnt 0x0
	v_dual_add_nc_u32 v11, 8, v11 :: v_dual_add_nc_u32 v13, 8, v13
	s_wait_loadcnt_dscnt 0x0
	v_pk_mul_f32 v[134:135], v[132:133], v[130:131] op_sel:[1,1] op_sel_hi:[0,1]
	s_delay_alu instid0(VALU_DEP_1) | instskip(SKIP_2) | instid1(VALU_DEP_3)
	v_pk_fma_f32 v[136:137], v[132:133], v[130:131], v[134:135] op_sel_hi:[1,0,1]
	v_add_nc_u32_e32 v9, 1, v9
	v_pk_fma_f32 v[130:131], v[132:133], v[130:131], v[134:135] neg_lo:[0,0,1] neg_hi:[0,0,1]
	v_mov_b32_e32 v131, v137
	s_delay_alu instid0(VALU_DEP_3) | instskip(NEXT) | instid1(VALU_DEP_2)
	v_cmp_lt_u32_e32 vcc_lo, 21, v9
	v_pk_add_f32 v[128:129], v[128:129], v[130:131]
	s_or_b32 s1, vcc_lo, s1
	s_delay_alu instid0(SALU_CYCLE_1)
	s_and_not1_b32 exec_lo, exec_lo, s1
	s_cbranch_execnz .LBB61_105
; %bb.106:
	s_or_b32 exec_lo, exec_lo, s1
	v_mov_b32_e32 v9, 0
	ds_load_b64 v[130:131], v9 offset:184
	s_wait_dscnt 0x0
	v_pk_mul_f32 v[132:133], v[128:129], v[130:131] op_sel:[1,1] op_sel_hi:[0,1]
	s_delay_alu instid0(VALU_DEP_1) | instskip(SKIP_1) | instid1(VALU_DEP_2)
	v_pk_fma_f32 v[134:135], v[128:129], v[130:131], v[132:133] op_sel_hi:[1,0,1]
	v_pk_fma_f32 v[128:129], v[128:129], v[130:131], v[132:133] neg_lo:[0,0,1] neg_hi:[0,0,1]
	v_mov_b32_e32 v129, v135
	scratch_store_b64 off, v[128:129], off offset:184
.LBB61_107:
	s_wait_xcnt 0x0
	s_or_b32 exec_lo, exec_lo, s0
	s_wait_storecnt 0x0
	s_barrier_signal -1
	s_barrier_wait -1
	scratch_load_b64 v[128:129], off, off offset:192
	;; [unrolled: 52-line block ×39, first 2 shown]
	s_mov_b32 s0, exec_lo
	s_wait_loadcnt 0x0
	ds_store_b64 v1, v[128:129]
	s_wait_dscnt 0x0
	s_barrier_signal -1
	s_barrier_wait -1
	v_cmpx_ne_u32_e32 61, v0
	s_cbranch_execz .LBB61_259
; %bb.256:
	v_dual_mov_b32 v128, 0 :: v_dual_mov_b32 v9, v126
	s_mov_b32 s1, 0
	s_delay_alu instid0(VALU_DEP_1)
	v_mov_b32_e32 v129, v128
.LBB61_257:                             ; =>This Inner Loop Header: Depth=1
	scratch_load_b64 v[126:127], v9, off
	ds_load_b64 v[130:131], v1
	v_add_nc_u32_e32 v1, 8, v1
	s_wait_xcnt 0x0
	v_add_nc_u32_e32 v9, 8, v9
	s_wait_loadcnt_dscnt 0x0
	v_pk_mul_f32 v[132:133], v[130:131], v[126:127] op_sel:[1,1] op_sel_hi:[0,1]
	s_delay_alu instid0(VALU_DEP_1) | instskip(SKIP_2) | instid1(VALU_DEP_3)
	v_pk_fma_f32 v[134:135], v[130:131], v[126:127], v[132:133] op_sel_hi:[1,0,1]
	v_add_nc_u32_e32 v7, 1, v7
	v_pk_fma_f32 v[126:127], v[130:131], v[126:127], v[132:133] neg_lo:[0,0,1] neg_hi:[0,0,1]
	v_mov_b32_e32 v127, v135
	s_delay_alu instid0(VALU_DEP_3) | instskip(NEXT) | instid1(VALU_DEP_2)
	v_cmp_lt_u32_e32 vcc_lo, 59, v7
	v_pk_add_f32 v[128:129], v[128:129], v[126:127]
	s_or_b32 s1, vcc_lo, s1
	s_delay_alu instid0(SALU_CYCLE_1)
	s_and_not1_b32 exec_lo, exec_lo, s1
	s_cbranch_execnz .LBB61_257
; %bb.258:
	s_or_b32 exec_lo, exec_lo, s1
	v_mov_b32_e32 v1, 0
	ds_load_b64 v[126:127], v1 offset:488
	s_wait_dscnt 0x0
	v_pk_mul_f32 v[130:131], v[128:129], v[126:127] op_sel:[1,1] op_sel_hi:[0,1]
	s_delay_alu instid0(VALU_DEP_1) | instskip(SKIP_1) | instid1(VALU_DEP_2)
	v_pk_fma_f32 v[132:133], v[128:129], v[126:127], v[130:131] op_sel_hi:[1,0,1]
	v_pk_fma_f32 v[126:127], v[128:129], v[126:127], v[130:131] neg_lo:[0,0,1] neg_hi:[0,0,1]
	v_mov_b32_e32 v127, v133
	scratch_store_b64 off, v[126:127], off offset:488
.LBB61_259:
	s_wait_xcnt 0x0
	s_or_b32 exec_lo, exec_lo, s0
	s_mov_b32 s1, -1
	s_wait_storecnt 0x0
	s_barrier_signal -1
	s_barrier_wait -1
.LBB61_260:
	s_and_b32 vcc_lo, exec_lo, s1
	s_cbranch_vccz .LBB61_262
; %bb.261:
	v_mov_b32_e32 v1, 0
	s_lshl_b64 s[0:1], s[16:17], 2
	s_delay_alu instid0(SALU_CYCLE_1)
	s_add_nc_u64 s[0:1], s[6:7], s[0:1]
	global_load_b32 v1, v1, s[0:1]
	s_wait_loadcnt 0x0
	v_cmp_ne_u32_e32 vcc_lo, 0, v1
	s_cbranch_vccz .LBB61_263
.LBB61_262:
	s_sendmsg sendmsg(MSG_DEALLOC_VGPRS)
	s_endpgm
.LBB61_263:
	s_wait_xcnt 0x0
	v_lshl_add_u32 v1, v0, 3, 0x1f0
	s_mov_b32 s0, exec_lo
	v_cmpx_eq_u32_e32 61, v0
	s_cbranch_execz .LBB61_265
; %bb.264:
	scratch_load_b64 v[126:127], off, off offset:480
	v_mov_b64_e32 v[128:129], 0
	scratch_store_b64 off, v[128:129], off offset:480
	s_wait_loadcnt 0x0
	ds_store_b64 v1, v[126:127]
.LBB61_265:
	s_wait_xcnt 0x0
	s_or_b32 exec_lo, exec_lo, s0
	s_wait_storecnt_dscnt 0x0
	s_barrier_signal -1
	s_barrier_wait -1
	s_clause 0x1
	scratch_load_b64 v[126:127], off, off offset:488
	scratch_load_b64 v[128:129], off, off offset:480
	v_mov_b32_e32 v7, 0
	s_mov_b32 s0, exec_lo
	ds_load_b64 v[130:131], v7 offset:984
	s_wait_loadcnt_dscnt 0x100
	v_pk_mul_f32 v[132:133], v[130:131], v[126:127] op_sel:[1,1] op_sel_hi:[0,1]
	s_delay_alu instid0(VALU_DEP_1) | instskip(SKIP_1) | instid1(VALU_DEP_2)
	v_pk_fma_f32 v[134:135], v[130:131], v[126:127], v[132:133] op_sel_hi:[1,0,1]
	v_pk_fma_f32 v[126:127], v[130:131], v[126:127], v[132:133] neg_lo:[0,0,1] neg_hi:[0,0,1]
	v_mov_b32_e32 v127, v135
	s_delay_alu instid0(VALU_DEP_1) | instskip(SKIP_1) | instid1(VALU_DEP_1)
	v_pk_add_f32 v[126:127], v[126:127], 0 op_sel_hi:[1,0]
	s_wait_loadcnt 0x0
	v_pk_add_f32 v[126:127], v[128:129], v[126:127] neg_lo:[0,1] neg_hi:[0,1]
	scratch_store_b64 off, v[126:127], off offset:480
	s_wait_xcnt 0x0
	v_cmpx_lt_u32_e32 59, v0
	s_cbranch_execz .LBB61_267
; %bb.266:
	scratch_load_b64 v[126:127], off, off offset:472
	v_mov_b64_e32 v[128:129], 0
	scratch_store_b64 off, v[128:129], off offset:472
	s_wait_loadcnt 0x0
	ds_store_b64 v1, v[126:127]
.LBB61_267:
	s_wait_xcnt 0x0
	s_or_b32 exec_lo, exec_lo, s0
	s_wait_storecnt_dscnt 0x0
	s_barrier_signal -1
	s_barrier_wait -1
	s_clause 0x1
	scratch_load_b128 v[126:129], off, off offset:480
	scratch_load_b64 v[134:135], off, off offset:472
	ds_load_b128 v[130:133], v7 offset:976
	s_mov_b32 s0, exec_lo
	s_wait_dscnt 0x0
	v_dual_mov_b32 v136, v133 :: v_dual_mov_b32 v137, v132
	s_wait_loadcnt 0x1
	v_pk_mul_f32 v[138:139], v[130:131], v[126:127] op_sel:[1,1] op_sel_hi:[0,1]
	s_delay_alu instid0(VALU_DEP_1) | instskip(SKIP_2) | instid1(VALU_DEP_3)
	v_pk_fma_f32 v[142:143], v[130:131], v[126:127], v[138:139] op_sel_hi:[1,0,1]
	v_mov_b32_e32 v140, v129
	v_pk_fma_f32 v[126:127], v[130:131], v[126:127], v[138:139] neg_lo:[0,0,1] neg_hi:[0,0,1]
	v_mov_b32_e32 v127, v143
	s_delay_alu instid0(VALU_DEP_3) | instskip(NEXT) | instid1(VALU_DEP_2)
	v_pk_mul_f32 v[136:137], v[136:137], v[140:141] op_sel_hi:[1,0]
	v_pk_add_f32 v[126:127], v[126:127], 0 op_sel_hi:[1,0]
	s_delay_alu instid0(VALU_DEP_2) | instskip(SKIP_1) | instid1(VALU_DEP_2)
	v_pk_fma_f32 v[130:131], v[132:133], v[128:129], v[136:137] op_sel_hi:[1,0,1]
	v_pk_fma_f32 v[128:129], v[132:133], v[128:129], v[136:137] neg_lo:[0,0,1] neg_hi:[0,0,1]
	v_mov_b32_e32 v129, v131
	s_delay_alu instid0(VALU_DEP_1) | instskip(SKIP_1) | instid1(VALU_DEP_1)
	v_pk_add_f32 v[126:127], v[126:127], v[128:129]
	s_wait_loadcnt 0x0
	v_pk_add_f32 v[126:127], v[134:135], v[126:127] neg_lo:[0,1] neg_hi:[0,1]
	scratch_store_b64 off, v[126:127], off offset:472
	s_wait_xcnt 0x0
	v_cmpx_lt_u32_e32 58, v0
	s_cbranch_execz .LBB61_269
; %bb.268:
	scratch_load_b64 v[126:127], off, off offset:464
	v_mov_b64_e32 v[128:129], 0
	scratch_store_b64 off, v[128:129], off offset:464
	s_wait_loadcnt 0x0
	ds_store_b64 v1, v[126:127]
.LBB61_269:
	s_wait_xcnt 0x0
	s_or_b32 exec_lo, exec_lo, s0
	s_wait_storecnt_dscnt 0x0
	s_barrier_signal -1
	s_barrier_wait -1
	s_clause 0x2
	scratch_load_b128 v[126:129], off, off offset:472
	scratch_load_b64 v[134:135], off, off offset:488
	scratch_load_b64 v[136:137], off, off offset:464
	v_mov_b32_e32 v7, 0
	ds_load_2addr_b64 v[130:133], v7 offset0:121 offset1:122
	ds_load_b64 v[138:139], v7 offset:984
	s_mov_b32 s0, exec_lo
	s_wait_dscnt 0x1
	v_dual_mov_b32 v140, v133 :: v_dual_mov_b32 v141, v132
	s_wait_loadcnt 0x2
	v_mov_b32_e32 v144, v129
	v_pk_mul_f32 v[142:143], v[130:131], v[126:127] op_sel:[1,1] op_sel_hi:[0,1]
	s_delay_alu instid0(VALU_DEP_2) | instskip(NEXT) | instid1(VALU_DEP_2)
	v_pk_mul_f32 v[140:141], v[140:141], v[144:145] op_sel_hi:[1,0]
	v_pk_fma_f32 v[146:147], v[130:131], v[126:127], v[142:143] op_sel_hi:[1,0,1]
	v_pk_fma_f32 v[126:127], v[130:131], v[126:127], v[142:143] neg_lo:[0,0,1] neg_hi:[0,0,1]
	s_wait_loadcnt_dscnt 0x100
	v_pk_mul_f32 v[142:143], v[138:139], v[134:135] op_sel:[1,1] op_sel_hi:[0,1]
	v_pk_fma_f32 v[130:131], v[132:133], v[128:129], v[140:141] op_sel_hi:[1,0,1]
	v_mov_b32_e32 v127, v147
	v_pk_fma_f32 v[128:129], v[132:133], v[128:129], v[140:141] neg_lo:[0,0,1] neg_hi:[0,0,1]
	s_delay_alu instid0(VALU_DEP_4) | instskip(NEXT) | instid1(VALU_DEP_4)
	v_pk_fma_f32 v[132:133], v[138:139], v[134:135], v[142:143] neg_lo:[0,0,1] neg_hi:[0,0,1]
	v_mov_b32_e32 v129, v131
	s_delay_alu instid0(VALU_DEP_4) | instskip(SKIP_1) | instid1(VALU_DEP_2)
	v_pk_add_f32 v[126:127], v[126:127], 0 op_sel_hi:[1,0]
	v_pk_fma_f32 v[130:131], v[138:139], v[134:135], v[142:143] op_sel_hi:[1,0,1]
	v_pk_add_f32 v[126:127], v[126:127], v[128:129]
	s_delay_alu instid0(VALU_DEP_2) | instskip(NEXT) | instid1(VALU_DEP_1)
	v_mov_b32_e32 v133, v131
	v_pk_add_f32 v[126:127], v[126:127], v[132:133]
	s_wait_loadcnt 0x0
	s_delay_alu instid0(VALU_DEP_1)
	v_pk_add_f32 v[126:127], v[136:137], v[126:127] neg_lo:[0,1] neg_hi:[0,1]
	scratch_store_b64 off, v[126:127], off offset:464
	s_wait_xcnt 0x0
	v_cmpx_lt_u32_e32 57, v0
	s_cbranch_execz .LBB61_271
; %bb.270:
	scratch_load_b64 v[126:127], off, off offset:456
	v_mov_b64_e32 v[128:129], 0
	scratch_store_b64 off, v[128:129], off offset:456
	s_wait_loadcnt 0x0
	ds_store_b64 v1, v[126:127]
.LBB61_271:
	s_wait_xcnt 0x0
	s_or_b32 exec_lo, exec_lo, s0
	s_wait_storecnt_dscnt 0x0
	s_barrier_signal -1
	s_barrier_wait -1
	s_clause 0x2
	scratch_load_b128 v[126:129], off, off offset:464
	scratch_load_b128 v[130:133], off, off offset:480
	scratch_load_b64 v[142:143], off, off offset:456
	ds_load_b128 v[134:137], v7 offset:960
	ds_load_b128 v[138:141], v7 offset:976
	s_mov_b32 s0, exec_lo
	s_wait_dscnt 0x1
	v_dual_mov_b32 v144, v137 :: v_dual_mov_b32 v145, v136
	s_wait_loadcnt_dscnt 0x200
	v_dual_mov_b32 v150, v141 :: v_dual_mov_b32 v148, v129
	v_pk_mul_f32 v[146:147], v[134:135], v[126:127] op_sel:[1,1] op_sel_hi:[0,1]
	s_delay_alu instid0(VALU_DEP_2) | instskip(NEXT) | instid1(VALU_DEP_2)
	v_pk_mul_f32 v[144:145], v[144:145], v[148:149] op_sel_hi:[1,0]
	v_pk_fma_f32 v[152:153], v[134:135], v[126:127], v[146:147] op_sel_hi:[1,0,1]
	v_pk_fma_f32 v[126:127], v[134:135], v[126:127], v[146:147] neg_lo:[0,0,1] neg_hi:[0,0,1]
	v_mov_b32_e32 v151, v140
	s_wait_loadcnt 0x1
	v_pk_mul_f32 v[148:149], v[138:139], v[130:131] op_sel:[1,1] op_sel_hi:[0,1]
	v_pk_fma_f32 v[134:135], v[136:137], v[128:129], v[144:145] op_sel_hi:[1,0,1]
	v_dual_mov_b32 v127, v153 :: v_dual_mov_b32 v134, v133
	v_pk_fma_f32 v[128:129], v[136:137], v[128:129], v[144:145] neg_lo:[0,0,1] neg_hi:[0,0,1]
	s_delay_alu instid0(VALU_DEP_4) | instskip(NEXT) | instid1(VALU_DEP_4)
	v_pk_fma_f32 v[146:147], v[138:139], v[130:131], v[148:149] op_sel_hi:[1,0,1]
	v_mov_b32_e32 v129, v135
	s_delay_alu instid0(VALU_DEP_4) | instskip(SKIP_2) | instid1(VALU_DEP_3)
	v_pk_add_f32 v[126:127], v[126:127], 0 op_sel_hi:[1,0]
	v_pk_mul_f32 v[134:135], v[150:151], v[134:135] op_sel_hi:[1,0]
	v_pk_fma_f32 v[130:131], v[138:139], v[130:131], v[148:149] neg_lo:[0,0,1] neg_hi:[0,0,1]
	v_pk_add_f32 v[126:127], v[126:127], v[128:129]
	s_delay_alu instid0(VALU_DEP_3) | instskip(SKIP_2) | instid1(VALU_DEP_3)
	v_pk_fma_f32 v[128:129], v[140:141], v[132:133], v[134:135] op_sel_hi:[1,0,1]
	v_mov_b32_e32 v131, v147
	v_pk_fma_f32 v[132:133], v[140:141], v[132:133], v[134:135] neg_lo:[0,0,1] neg_hi:[0,0,1]
	v_mov_b32_e32 v133, v129
	s_delay_alu instid0(VALU_DEP_3) | instskip(NEXT) | instid1(VALU_DEP_1)
	v_pk_add_f32 v[126:127], v[126:127], v[130:131]
	v_pk_add_f32 v[126:127], v[126:127], v[132:133]
	s_wait_loadcnt 0x0
	s_delay_alu instid0(VALU_DEP_1)
	v_pk_add_f32 v[126:127], v[142:143], v[126:127] neg_lo:[0,1] neg_hi:[0,1]
	scratch_store_b64 off, v[126:127], off offset:456
	s_wait_xcnt 0x0
	v_cmpx_lt_u32_e32 56, v0
	s_cbranch_execz .LBB61_273
; %bb.272:
	scratch_load_b64 v[126:127], off, off offset:448
	v_mov_b64_e32 v[128:129], 0
	scratch_store_b64 off, v[128:129], off offset:448
	s_wait_loadcnt 0x0
	ds_store_b64 v1, v[126:127]
.LBB61_273:
	s_wait_xcnt 0x0
	s_or_b32 exec_lo, exec_lo, s0
	s_wait_storecnt_dscnt 0x0
	s_barrier_signal -1
	s_barrier_wait -1
	s_clause 0x3
	scratch_load_b128 v[126:129], off, off offset:456
	scratch_load_b128 v[130:133], off, off offset:472
	scratch_load_b64 v[142:143], off, off offset:488
	scratch_load_b64 v[144:145], off, off offset:448
	v_mov_b32_e32 v7, 0
	ds_load_2addr_b64 v[134:137], v7 offset0:119 offset1:120
	ds_load_2addr_b64 v[138:141], v7 offset0:121 offset1:122
	s_mov_b32 s0, exec_lo
	s_wait_dscnt 0x1
	v_dual_mov_b32 v146, v137 :: v_dual_mov_b32 v147, v136
	ds_load_b64 v[152:153], v7 offset:984
	s_wait_dscnt 0x1
	v_dual_mov_b32 v154, v141 :: v_dual_mov_b32 v155, v140
	s_wait_loadcnt 0x3
	v_pk_mul_f32 v[148:149], v[134:135], v[126:127] op_sel:[1,1] op_sel_hi:[0,1]
	v_mov_b32_e32 v150, v129
	s_delay_alu instid0(VALU_DEP_2) | instskip(NEXT) | instid1(VALU_DEP_2)
	v_pk_fma_f32 v[156:157], v[134:135], v[126:127], v[148:149] op_sel_hi:[1,0,1]
	v_pk_mul_f32 v[146:147], v[146:147], v[150:151] op_sel_hi:[1,0]
	v_pk_fma_f32 v[126:127], v[134:135], v[126:127], v[148:149] neg_lo:[0,0,1] neg_hi:[0,0,1]
	s_wait_loadcnt 0x2
	v_pk_mul_f32 v[150:151], v[138:139], v[130:131] op_sel:[1,1] op_sel_hi:[0,1]
	v_dual_mov_b32 v156, v133 :: v_dual_mov_b32 v127, v157
	v_pk_fma_f32 v[134:135], v[136:137], v[128:129], v[146:147] op_sel_hi:[1,0,1]
	v_pk_fma_f32 v[128:129], v[136:137], v[128:129], v[146:147] neg_lo:[0,0,1] neg_hi:[0,0,1]
	s_delay_alu instid0(VALU_DEP_4) | instskip(NEXT) | instid1(VALU_DEP_4)
	v_pk_fma_f32 v[148:149], v[138:139], v[130:131], v[150:151] op_sel_hi:[1,0,1]
	v_pk_mul_f32 v[154:155], v[154:155], v[156:157] op_sel_hi:[1,0]
	v_pk_add_f32 v[126:127], v[126:127], 0 op_sel_hi:[1,0]
	v_mov_b32_e32 v129, v135
	v_pk_fma_f32 v[130:131], v[138:139], v[130:131], v[150:151] neg_lo:[0,0,1] neg_hi:[0,0,1]
	v_mov_b32_e32 v131, v149
	v_pk_fma_f32 v[134:135], v[140:141], v[132:133], v[154:155] op_sel_hi:[1,0,1]
	v_pk_fma_f32 v[132:133], v[140:141], v[132:133], v[154:155] neg_lo:[0,0,1] neg_hi:[0,0,1]
	v_pk_add_f32 v[126:127], v[126:127], v[128:129]
	s_wait_loadcnt_dscnt 0x100
	v_pk_mul_f32 v[128:129], v[152:153], v[142:143] op_sel:[1,1] op_sel_hi:[0,1]
	s_delay_alu instid0(VALU_DEP_2) | instskip(NEXT) | instid1(VALU_DEP_2)
	v_pk_add_f32 v[126:127], v[126:127], v[130:131]
	v_pk_fma_f32 v[130:131], v[152:153], v[142:143], v[128:129] op_sel_hi:[1,0,1]
	v_mov_b32_e32 v133, v135
	v_pk_fma_f32 v[128:129], v[152:153], v[142:143], v[128:129] neg_lo:[0,0,1] neg_hi:[0,0,1]
	s_delay_alu instid0(VALU_DEP_3) | instskip(NEXT) | instid1(VALU_DEP_3)
	v_mov_b32_e32 v129, v131
	v_pk_add_f32 v[126:127], v[126:127], v[132:133]
	s_delay_alu instid0(VALU_DEP_1) | instskip(SKIP_1) | instid1(VALU_DEP_1)
	v_pk_add_f32 v[126:127], v[126:127], v[128:129]
	s_wait_loadcnt 0x0
	v_pk_add_f32 v[126:127], v[144:145], v[126:127] neg_lo:[0,1] neg_hi:[0,1]
	scratch_store_b64 off, v[126:127], off offset:448
	s_wait_xcnt 0x0
	v_cmpx_lt_u32_e32 55, v0
	s_cbranch_execz .LBB61_275
; %bb.274:
	scratch_load_b64 v[126:127], off, off offset:440
	v_mov_b64_e32 v[128:129], 0
	scratch_store_b64 off, v[128:129], off offset:440
	s_wait_loadcnt 0x0
	ds_store_b64 v1, v[126:127]
.LBB61_275:
	s_wait_xcnt 0x0
	s_or_b32 exec_lo, exec_lo, s0
	s_wait_storecnt_dscnt 0x0
	s_barrier_signal -1
	s_barrier_wait -1
	s_clause 0x3
	scratch_load_b128 v[126:129], off, off offset:448
	scratch_load_b128 v[130:133], off, off offset:464
	;; [unrolled: 1-line block ×3, first 2 shown]
	scratch_load_b64 v[150:151], off, off offset:440
	ds_load_b128 v[138:141], v7 offset:944
	ds_load_b128 v[142:145], v7 offset:960
	;; [unrolled: 1-line block ×3, first 2 shown]
	s_mov_b32 s0, exec_lo
	s_wait_dscnt 0x2
	v_dual_mov_b32 v152, v141 :: v_dual_mov_b32 v153, v140
	s_wait_dscnt 0x1
	v_dual_mov_b32 v154, v145 :: v_dual_mov_b32 v155, v144
	;; [unrolled: 2-line block ×3, first 2 shown]
	s_wait_loadcnt 0x3
	v_pk_mul_f32 v[156:157], v[138:139], v[126:127] op_sel:[1,1] op_sel_hi:[0,1]
	v_mov_b32_e32 v158, v129
	s_delay_alu instid0(VALU_DEP_2) | instskip(NEXT) | instid1(VALU_DEP_2)
	v_pk_fma_f32 v[162:163], v[138:139], v[126:127], v[156:157] op_sel_hi:[1,0,1]
	v_pk_mul_f32 v[152:153], v[152:153], v[158:159] op_sel_hi:[1,0]
	v_pk_fma_f32 v[126:127], v[138:139], v[126:127], v[156:157] neg_lo:[0,0,1] neg_hi:[0,0,1]
	s_wait_loadcnt 0x2
	v_pk_mul_f32 v[158:159], v[142:143], v[130:131] op_sel:[1,1] op_sel_hi:[0,1]
	v_mov_b32_e32 v162, v133
	v_pk_fma_f32 v[138:139], v[140:141], v[128:129], v[152:153] op_sel_hi:[1,0,1]
	v_mov_b32_e32 v127, v163
	v_pk_fma_f32 v[128:129], v[140:141], v[128:129], v[152:153] neg_lo:[0,0,1] neg_hi:[0,0,1]
	v_pk_fma_f32 v[156:157], v[142:143], v[130:131], v[158:159] op_sel_hi:[1,0,1]
	v_pk_mul_f32 v[154:155], v[154:155], v[162:163] op_sel_hi:[1,0]
	v_mov_b32_e32 v129, v139
	v_pk_add_f32 v[126:127], v[126:127], 0 op_sel_hi:[1,0]
	v_pk_fma_f32 v[130:131], v[142:143], v[130:131], v[158:159] neg_lo:[0,0,1] neg_hi:[0,0,1]
	s_wait_loadcnt 0x1
	v_pk_mul_f32 v[138:139], v[146:147], v[134:135] op_sel:[1,1] op_sel_hi:[0,1]
	v_mov_b32_e32 v131, v157
	v_pk_fma_f32 v[140:141], v[144:145], v[132:133], v[154:155] op_sel_hi:[1,0,1]
	v_pk_add_f32 v[126:127], v[126:127], v[128:129]
	v_mov_b32_e32 v128, v137
	v_pk_fma_f32 v[132:133], v[144:145], v[132:133], v[154:155] neg_lo:[0,0,1] neg_hi:[0,0,1]
	v_pk_fma_f32 v[142:143], v[146:147], v[134:135], v[138:139] op_sel_hi:[1,0,1]
	v_mov_b32_e32 v133, v141
	v_pk_add_f32 v[126:127], v[126:127], v[130:131]
	v_pk_mul_f32 v[128:129], v[160:161], v[128:129] op_sel_hi:[1,0]
	v_pk_fma_f32 v[130:131], v[146:147], v[134:135], v[138:139] neg_lo:[0,0,1] neg_hi:[0,0,1]
	v_mov_b32_e32 v131, v143
	s_delay_alu instid0(VALU_DEP_4) | instskip(NEXT) | instid1(VALU_DEP_4)
	v_pk_add_f32 v[126:127], v[126:127], v[132:133]
	v_pk_fma_f32 v[132:133], v[148:149], v[136:137], v[128:129] op_sel_hi:[1,0,1]
	v_pk_fma_f32 v[128:129], v[148:149], v[136:137], v[128:129] neg_lo:[0,0,1] neg_hi:[0,0,1]
	s_delay_alu instid0(VALU_DEP_3) | instskip(NEXT) | instid1(VALU_DEP_3)
	v_pk_add_f32 v[126:127], v[126:127], v[130:131]
	v_mov_b32_e32 v129, v133
	s_delay_alu instid0(VALU_DEP_1) | instskip(SKIP_1) | instid1(VALU_DEP_1)
	v_pk_add_f32 v[126:127], v[126:127], v[128:129]
	s_wait_loadcnt 0x0
	v_pk_add_f32 v[126:127], v[150:151], v[126:127] neg_lo:[0,1] neg_hi:[0,1]
	scratch_store_b64 off, v[126:127], off offset:440
	s_wait_xcnt 0x0
	v_cmpx_lt_u32_e32 54, v0
	s_cbranch_execz .LBB61_277
; %bb.276:
	scratch_load_b64 v[126:127], off, off offset:432
	v_mov_b64_e32 v[128:129], 0
	scratch_store_b64 off, v[128:129], off offset:432
	s_wait_loadcnt 0x0
	ds_store_b64 v1, v[126:127]
.LBB61_277:
	s_wait_xcnt 0x0
	s_or_b32 exec_lo, exec_lo, s0
	s_wait_storecnt_dscnt 0x0
	s_barrier_signal -1
	s_barrier_wait -1
	s_clause 0x4
	scratch_load_b128 v[126:129], off, off offset:440
	scratch_load_b128 v[130:133], off, off offset:456
	;; [unrolled: 1-line block ×3, first 2 shown]
	scratch_load_b64 v[150:151], off, off offset:488
	scratch_load_b64 v[152:153], off, off offset:432
	v_mov_b32_e32 v7, 0
	ds_load_2addr_b64 v[138:141], v7 offset0:117 offset1:118
	ds_load_2addr_b64 v[142:145], v7 offset0:119 offset1:120
	;; [unrolled: 1-line block ×3, first 2 shown]
	ds_load_b64 v[154:155], v7 offset:984
	s_mov_b32 s0, exec_lo
	s_wait_dscnt 0x3
	v_dual_mov_b32 v156, v141 :: v_dual_mov_b32 v157, v140
	s_wait_dscnt 0x2
	v_dual_mov_b32 v158, v145 :: v_dual_mov_b32 v159, v144
	;; [unrolled: 2-line block ×3, first 2 shown]
	s_wait_loadcnt 0x4
	v_pk_mul_f32 v[160:161], v[138:139], v[126:127] op_sel:[1,1] op_sel_hi:[0,1]
	v_mov_b32_e32 v162, v129
	s_wait_loadcnt 0x3
	v_pk_mul_f32 v[166:167], v[142:143], v[130:131] op_sel:[1,1] op_sel_hi:[0,1]
	s_wait_loadcnt 0x2
	v_pk_mul_f32 v[170:171], v[146:147], v[134:135] op_sel:[1,1] op_sel_hi:[0,1]
	v_pk_fma_f32 v[168:169], v[138:139], v[126:127], v[160:161] op_sel_hi:[1,0,1]
	v_pk_mul_f32 v[156:157], v[156:157], v[162:163] op_sel_hi:[1,0]
	v_pk_fma_f32 v[126:127], v[138:139], v[126:127], v[160:161] neg_lo:[0,0,1] neg_hi:[0,0,1]
	v_mov_b32_e32 v162, v133
	v_pk_fma_f32 v[160:161], v[142:143], v[130:131], v[166:167] op_sel_hi:[1,0,1]
	v_mov_b32_e32 v127, v169
	v_pk_fma_f32 v[138:139], v[140:141], v[128:129], v[156:157] op_sel_hi:[1,0,1]
	v_pk_fma_f32 v[128:129], v[140:141], v[128:129], v[156:157] neg_lo:[0,0,1] neg_hi:[0,0,1]
	v_pk_mul_f32 v[158:159], v[158:159], v[162:163] op_sel_hi:[1,0]
	v_pk_fma_f32 v[130:131], v[142:143], v[130:131], v[166:167] neg_lo:[0,0,1] neg_hi:[0,0,1]
	v_pk_add_f32 v[126:127], v[126:127], 0 op_sel_hi:[1,0]
	v_dual_mov_b32 v129, v139 :: v_dual_mov_b32 v138, v137
	s_delay_alu instid0(VALU_DEP_4) | instskip(SKIP_2) | instid1(VALU_DEP_4)
	v_pk_fma_f32 v[140:141], v[144:145], v[132:133], v[158:159] op_sel_hi:[1,0,1]
	v_mov_b32_e32 v131, v161
	v_pk_fma_f32 v[132:133], v[144:145], v[132:133], v[158:159] neg_lo:[0,0,1] neg_hi:[0,0,1]
	v_pk_add_f32 v[126:127], v[126:127], v[128:129]
	v_pk_fma_f32 v[128:129], v[146:147], v[134:135], v[170:171] op_sel_hi:[1,0,1]
	v_pk_mul_f32 v[138:139], v[164:165], v[138:139] op_sel_hi:[1,0]
	v_mov_b32_e32 v133, v141
	s_delay_alu instid0(VALU_DEP_4)
	v_pk_add_f32 v[126:127], v[126:127], v[130:131]
	v_pk_fma_f32 v[130:131], v[146:147], v[134:135], v[170:171] neg_lo:[0,0,1] neg_hi:[0,0,1]
	v_mov_b32_e32 v131, v129
	v_pk_fma_f32 v[128:129], v[148:149], v[136:137], v[138:139] op_sel_hi:[1,0,1]
	v_pk_fma_f32 v[134:135], v[148:149], v[136:137], v[138:139] neg_lo:[0,0,1] neg_hi:[0,0,1]
	v_pk_add_f32 v[126:127], v[126:127], v[132:133]
	s_wait_loadcnt_dscnt 0x100
	v_pk_mul_f32 v[132:133], v[154:155], v[150:151] op_sel:[1,1] op_sel_hi:[0,1]
	v_mov_b32_e32 v135, v129
	s_delay_alu instid0(VALU_DEP_3) | instskip(NEXT) | instid1(VALU_DEP_3)
	v_pk_add_f32 v[126:127], v[126:127], v[130:131]
	v_pk_fma_f32 v[128:129], v[154:155], v[150:151], v[132:133] op_sel_hi:[1,0,1]
	v_pk_fma_f32 v[130:131], v[154:155], v[150:151], v[132:133] neg_lo:[0,0,1] neg_hi:[0,0,1]
	s_delay_alu instid0(VALU_DEP_3) | instskip(NEXT) | instid1(VALU_DEP_3)
	v_pk_add_f32 v[126:127], v[126:127], v[134:135]
	v_mov_b32_e32 v131, v129
	s_delay_alu instid0(VALU_DEP_1) | instskip(SKIP_1) | instid1(VALU_DEP_1)
	v_pk_add_f32 v[126:127], v[126:127], v[130:131]
	s_wait_loadcnt 0x0
	v_pk_add_f32 v[126:127], v[152:153], v[126:127] neg_lo:[0,1] neg_hi:[0,1]
	scratch_store_b64 off, v[126:127], off offset:432
	s_wait_xcnt 0x0
	v_cmpx_lt_u32_e32 53, v0
	s_cbranch_execz .LBB61_279
; %bb.278:
	scratch_load_b64 v[126:127], off, off offset:424
	v_mov_b64_e32 v[128:129], 0
	scratch_store_b64 off, v[128:129], off offset:424
	s_wait_loadcnt 0x0
	ds_store_b64 v1, v[126:127]
.LBB61_279:
	s_wait_xcnt 0x0
	s_or_b32 exec_lo, exec_lo, s0
	s_wait_storecnt_dscnt 0x0
	s_barrier_signal -1
	s_barrier_wait -1
	s_clause 0x4
	scratch_load_b128 v[126:129], off, off offset:432
	scratch_load_b128 v[130:133], off, off offset:448
	;; [unrolled: 1-line block ×4, first 2 shown]
	scratch_load_b64 v[158:159], off, off offset:424
	ds_load_b128 v[142:145], v7 offset:928
	ds_load_b128 v[146:149], v7 offset:944
	;; [unrolled: 1-line block ×4, first 2 shown]
	s_mov_b32 s0, exec_lo
	s_wait_dscnt 0x3
	v_dual_mov_b32 v160, v145 :: v_dual_mov_b32 v161, v144
	s_wait_dscnt 0x2
	v_dual_mov_b32 v162, v149 :: v_dual_mov_b32 v163, v148
	;; [unrolled: 2-line block ×3, first 2 shown]
	v_dual_mov_b32 v165, v152 :: v_dual_mov_b32 v170, v157
	s_wait_loadcnt 0x4
	v_mov_b32_e32 v168, v129
	v_pk_mul_f32 v[166:167], v[142:143], v[126:127] op_sel:[1,1] op_sel_hi:[0,1]
	s_wait_loadcnt 0x3
	v_pk_mul_f32 v[172:173], v[146:147], v[130:131] op_sel:[1,1] op_sel_hi:[0,1]
	s_wait_loadcnt 0x2
	v_pk_mul_f32 v[176:177], v[150:151], v[134:135] op_sel:[1,1] op_sel_hi:[0,1]
	v_pk_mul_f32 v[160:161], v[160:161], v[168:169] op_sel_hi:[1,0]
	v_pk_fma_f32 v[174:175], v[142:143], v[126:127], v[166:167] op_sel_hi:[1,0,1]
	v_pk_fma_f32 v[126:127], v[142:143], v[126:127], v[166:167] neg_lo:[0,0,1] neg_hi:[0,0,1]
	v_mov_b32_e32 v168, v133
	v_pk_fma_f32 v[166:167], v[146:147], v[130:131], v[172:173] op_sel_hi:[1,0,1]
	v_pk_fma_f32 v[142:143], v[144:145], v[128:129], v[160:161] op_sel_hi:[1,0,1]
	v_mov_b32_e32 v127, v175
	v_pk_fma_f32 v[128:129], v[144:145], v[128:129], v[160:161] neg_lo:[0,0,1] neg_hi:[0,0,1]
	v_pk_mul_f32 v[162:163], v[162:163], v[168:169] op_sel_hi:[1,0]
	s_delay_alu instid0(VALU_DEP_4) | instskip(NEXT) | instid1(VALU_DEP_4)
	v_dual_mov_b32 v142, v137 :: v_dual_mov_b32 v129, v143
	v_pk_add_f32 v[126:127], v[126:127], 0 op_sel_hi:[1,0]
	v_pk_fma_f32 v[130:131], v[146:147], v[130:131], v[172:173] neg_lo:[0,0,1] neg_hi:[0,0,1]
	v_mov_b32_e32 v131, v167
	v_pk_fma_f32 v[144:145], v[148:149], v[132:133], v[162:163] op_sel_hi:[1,0,1]
	v_pk_mul_f32 v[142:143], v[164:165], v[142:143] op_sel_hi:[1,0]
	v_pk_add_f32 v[126:127], v[126:127], v[128:129]
	v_pk_fma_f32 v[128:129], v[150:151], v[134:135], v[176:177] op_sel_hi:[1,0,1]
	v_pk_fma_f32 v[132:133], v[148:149], v[132:133], v[162:163] neg_lo:[0,0,1] neg_hi:[0,0,1]
	v_mov_b32_e32 v133, v145
	v_pk_fma_f32 v[134:135], v[150:151], v[134:135], v[176:177] neg_lo:[0,0,1] neg_hi:[0,0,1]
	v_pk_add_f32 v[126:127], v[126:127], v[130:131]
	v_mov_b32_e32 v135, v129
	v_pk_fma_f32 v[128:129], v[152:153], v[136:137], v[142:143] op_sel_hi:[1,0,1]
	s_wait_loadcnt 0x1
	v_pk_mul_f32 v[130:131], v[154:155], v[138:139] op_sel:[1,1] op_sel_hi:[0,1]
	v_mov_b32_e32 v128, v141
	v_pk_add_f32 v[126:127], v[126:127], v[132:133]
	v_pk_fma_f32 v[136:137], v[152:153], v[136:137], v[142:143] neg_lo:[0,0,1] neg_hi:[0,0,1]
	v_mov_b32_e32 v137, v129
	v_pk_fma_f32 v[132:133], v[154:155], v[138:139], v[130:131] op_sel_hi:[1,0,1]
	v_pk_mul_f32 v[128:129], v[170:171], v[128:129] op_sel_hi:[1,0]
	v_pk_add_f32 v[126:127], v[126:127], v[134:135]
	v_pk_fma_f32 v[130:131], v[154:155], v[138:139], v[130:131] neg_lo:[0,0,1] neg_hi:[0,0,1]
	s_delay_alu instid0(VALU_DEP_4) | instskip(NEXT) | instid1(VALU_DEP_4)
	v_mov_b32_e32 v131, v133
	v_pk_fma_f32 v[132:133], v[156:157], v[140:141], v[128:129] op_sel_hi:[1,0,1]
	s_delay_alu instid0(VALU_DEP_4) | instskip(SKIP_1) | instid1(VALU_DEP_3)
	v_pk_add_f32 v[126:127], v[126:127], v[136:137]
	v_pk_fma_f32 v[128:129], v[156:157], v[140:141], v[128:129] neg_lo:[0,0,1] neg_hi:[0,0,1]
	v_mov_b32_e32 v129, v133
	s_delay_alu instid0(VALU_DEP_3) | instskip(NEXT) | instid1(VALU_DEP_1)
	v_pk_add_f32 v[126:127], v[126:127], v[130:131]
	v_pk_add_f32 v[126:127], v[126:127], v[128:129]
	s_wait_loadcnt 0x0
	s_delay_alu instid0(VALU_DEP_1)
	v_pk_add_f32 v[126:127], v[158:159], v[126:127] neg_lo:[0,1] neg_hi:[0,1]
	scratch_store_b64 off, v[126:127], off offset:424
	s_wait_xcnt 0x0
	v_cmpx_lt_u32_e32 52, v0
	s_cbranch_execz .LBB61_281
; %bb.280:
	scratch_load_b64 v[126:127], off, off offset:416
	v_mov_b64_e32 v[128:129], 0
	scratch_store_b64 off, v[128:129], off offset:416
	s_wait_loadcnt 0x0
	ds_store_b64 v1, v[126:127]
.LBB61_281:
	s_wait_xcnt 0x0
	s_or_b32 exec_lo, exec_lo, s0
	s_wait_storecnt_dscnt 0x0
	s_barrier_signal -1
	s_barrier_wait -1
	s_clause 0x5
	scratch_load_b128 v[126:129], off, off offset:424
	scratch_load_b128 v[130:133], off, off offset:440
	;; [unrolled: 1-line block ×4, first 2 shown]
	scratch_load_b64 v[158:159], off, off offset:488
	scratch_load_b64 v[160:161], off, off offset:416
	v_mov_b32_e32 v7, 0
	ds_load_2addr_b64 v[142:145], v7 offset0:115 offset1:116
	ds_load_2addr_b64 v[146:149], v7 offset0:117 offset1:118
	;; [unrolled: 1-line block ×4, first 2 shown]
	ds_load_b64 v[162:163], v7 offset:984
	s_mov_b32 s0, exec_lo
	s_wait_dscnt 0x4
	v_dual_mov_b32 v164, v145 :: v_dual_mov_b32 v165, v144
	s_wait_dscnt 0x1
	v_dual_mov_b32 v166, v149 :: v_dual_mov_b32 v171, v156
	v_dual_mov_b32 v167, v148 :: v_dual_mov_b32 v168, v153
	;; [unrolled: 1-line block ×3, first 2 shown]
	s_wait_loadcnt 0x5
	v_dual_mov_b32 v172, v129 :: v_dual_mul_f32 v173, v142, v127
	v_mul_f32_e32 v9, v143, v127
	s_wait_loadcnt 0x4
	v_pk_mul_f32 v[174:175], v[146:147], v[130:131] op_sel:[1,1] op_sel_hi:[0,1]
	v_mov_b32_e32 v176, v133
	s_wait_loadcnt 0x3
	v_pk_mul_f32 v[178:179], v[150:151], v[134:135] op_sel:[1,1] op_sel_hi:[0,1]
	v_pk_mul_f32 v[164:165], v[164:165], v[172:173] op_sel_hi:[1,0]
	v_fmac_f32_e32 v173, v143, v126
	v_dual_fma_f32 v172, v142, v126, -v9 :: v_dual_mov_b32 v126, v137
	v_pk_fma_f32 v[180:181], v[146:147], v[130:131], v[174:175] op_sel_hi:[1,0,1]
	s_delay_alu instid0(VALU_DEP_4)
	v_pk_fma_f32 v[142:143], v[144:145], v[128:129], v[164:165] op_sel_hi:[1,0,1]
	v_pk_fma_f32 v[128:129], v[144:145], v[128:129], v[164:165] neg_lo:[0,0,1] neg_hi:[0,0,1]
	v_pk_mul_f32 v[166:167], v[166:167], v[176:177] op_sel_hi:[1,0]
	v_pk_add_f32 v[172:173], v[172:173], 0 op_sel_hi:[1,0]
	v_pk_fma_f32 v[130:131], v[146:147], v[130:131], v[174:175] neg_lo:[0,0,1] neg_hi:[0,0,1]
	v_dual_mov_b32 v129, v143 :: v_dual_mov_b32 v131, v181
	s_delay_alu instid0(VALU_DEP_4) | instskip(SKIP_2) | instid1(VALU_DEP_4)
	v_pk_fma_f32 v[144:145], v[148:149], v[132:133], v[166:167] op_sel_hi:[1,0,1]
	v_pk_fma_f32 v[132:133], v[148:149], v[132:133], v[166:167] neg_lo:[0,0,1] neg_hi:[0,0,1]
	v_pk_fma_f32 v[146:147], v[150:151], v[134:135], v[178:179] op_sel_hi:[1,0,1]
	v_pk_add_f32 v[128:129], v[172:173], v[128:129]
	v_pk_mul_f32 v[126:127], v[168:169], v[126:127] op_sel_hi:[1,0]
	v_mov_b32_e32 v133, v145
	v_pk_fma_f32 v[134:135], v[150:151], v[134:135], v[178:179] neg_lo:[0,0,1] neg_hi:[0,0,1]
	s_wait_loadcnt 0x2
	v_pk_mul_f32 v[142:143], v[154:155], v[138:139] op_sel:[1,1] op_sel_hi:[0,1]
	v_pk_add_f32 v[128:129], v[128:129], v[130:131]
	v_mov_b32_e32 v130, v141
	v_pk_fma_f32 v[144:145], v[152:153], v[136:137], v[126:127] op_sel_hi:[1,0,1]
	v_mov_b32_e32 v135, v147
	v_pk_fma_f32 v[126:127], v[152:153], v[136:137], v[126:127] neg_lo:[0,0,1] neg_hi:[0,0,1]
	v_pk_add_f32 v[128:129], v[128:129], v[132:133]
	v_pk_fma_f32 v[132:133], v[154:155], v[138:139], v[142:143] op_sel_hi:[1,0,1]
	v_pk_mul_f32 v[130:131], v[170:171], v[130:131] op_sel_hi:[1,0]
	v_mov_b32_e32 v127, v145
	s_delay_alu instid0(VALU_DEP_4)
	v_pk_add_f32 v[128:129], v[128:129], v[134:135]
	v_pk_fma_f32 v[134:135], v[154:155], v[138:139], v[142:143] neg_lo:[0,0,1] neg_hi:[0,0,1]
	v_mov_b32_e32 v135, v133
	v_pk_fma_f32 v[132:133], v[156:157], v[140:141], v[130:131] op_sel_hi:[1,0,1]
	v_pk_fma_f32 v[130:131], v[156:157], v[140:141], v[130:131] neg_lo:[0,0,1] neg_hi:[0,0,1]
	v_pk_add_f32 v[126:127], v[128:129], v[126:127]
	s_wait_loadcnt_dscnt 0x100
	v_pk_mul_f32 v[128:129], v[162:163], v[158:159] op_sel:[1,1] op_sel_hi:[0,1]
	v_mov_b32_e32 v131, v133
	s_delay_alu instid0(VALU_DEP_3) | instskip(NEXT) | instid1(VALU_DEP_3)
	v_pk_add_f32 v[126:127], v[126:127], v[134:135]
	v_pk_fma_f32 v[132:133], v[162:163], v[158:159], v[128:129] op_sel_hi:[1,0,1]
	v_pk_fma_f32 v[128:129], v[162:163], v[158:159], v[128:129] neg_lo:[0,0,1] neg_hi:[0,0,1]
	s_delay_alu instid0(VALU_DEP_3) | instskip(NEXT) | instid1(VALU_DEP_3)
	v_pk_add_f32 v[126:127], v[126:127], v[130:131]
	v_mov_b32_e32 v129, v133
	s_delay_alu instid0(VALU_DEP_1) | instskip(SKIP_1) | instid1(VALU_DEP_1)
	v_pk_add_f32 v[126:127], v[126:127], v[128:129]
	s_wait_loadcnt 0x0
	v_pk_add_f32 v[126:127], v[160:161], v[126:127] neg_lo:[0,1] neg_hi:[0,1]
	scratch_store_b64 off, v[126:127], off offset:416
	s_wait_xcnt 0x0
	v_cmpx_lt_u32_e32 51, v0
	s_cbranch_execz .LBB61_283
; %bb.282:
	scratch_load_b64 v[126:127], off, off offset:408
	v_mov_b64_e32 v[128:129], 0
	scratch_store_b64 off, v[128:129], off offset:408
	s_wait_loadcnt 0x0
	ds_store_b64 v1, v[126:127]
.LBB61_283:
	s_wait_xcnt 0x0
	s_or_b32 exec_lo, exec_lo, s0
	s_wait_storecnt_dscnt 0x0
	s_barrier_signal -1
	s_barrier_wait -1
	s_clause 0x5
	scratch_load_b128 v[126:129], off, off offset:416
	scratch_load_b128 v[130:133], off, off offset:432
	scratch_load_b128 v[134:137], off, off offset:448
	scratch_load_b128 v[138:141], off, off offset:464
	scratch_load_b128 v[142:145], off, off offset:480
	scratch_load_b64 v[166:167], off, off offset:408
	ds_load_b128 v[146:149], v7 offset:928
	ds_load_b128 v[150:153], v7 offset:944
	;; [unrolled: 1-line block ×5, first 2 shown]
	s_mov_b32 s0, exec_lo
	s_wait_dscnt 0x4
	v_dual_mov_b32 v168, v149 :: v_dual_mov_b32 v169, v148
	s_wait_dscnt 0x3
	v_dual_mov_b32 v170, v153 :: v_dual_mov_b32 v171, v152
	;; [unrolled: 2-line block ×4, first 2 shown]
	s_wait_loadcnt_dscnt 0x500
	v_dual_mul_f32 v177, v162, v127 :: v_dual_mul_f32 v179, v164, v129
	v_dual_mul_f32 v7, v163, v127 :: v_dual_mul_f32 v9, v165, v129
	s_wait_loadcnt 0x4
	v_pk_mul_f32 v[180:181], v[146:147], v[130:131] op_sel:[1,1] op_sel_hi:[0,1]
	s_wait_loadcnt 0x3
	v_dual_mov_b32 v182, v133 :: v_dual_mov_b32 v186, v137
	v_dual_fmac_f32 v177, v163, v126 :: v_dual_fma_f32 v176, v162, v126, -v7
	v_dual_fmac_f32 v179, v165, v128 :: v_dual_fma_f32 v178, v164, v128, -v9
	v_pk_fma_f32 v[126:127], v[146:147], v[130:131], v[180:181] op_sel_hi:[1,0,1]
	s_delay_alu instid0(VALU_DEP_4) | instskip(NEXT) | instid1(VALU_DEP_4)
	v_pk_mul_f32 v[128:129], v[168:169], v[182:183] op_sel_hi:[1,0]
	v_pk_add_f32 v[162:163], v[176:177], 0 op_sel_hi:[1,0]
	v_pk_fma_f32 v[130:131], v[146:147], v[130:131], v[180:181] neg_lo:[0,0,1] neg_hi:[0,0,1]
	v_pk_mul_f32 v[184:185], v[150:151], v[134:135] op_sel:[1,1] op_sel_hi:[0,1]
	v_mov_b32_e32 v131, v127
	v_pk_fma_f32 v[126:127], v[148:149], v[132:133], v[128:129] op_sel_hi:[1,0,1]
	v_pk_add_f32 v[146:147], v[162:163], v[178:179]
	v_pk_fma_f32 v[128:129], v[148:149], v[132:133], v[128:129] neg_lo:[0,0,1] neg_hi:[0,0,1]
	v_pk_fma_f32 v[162:163], v[150:151], v[134:135], v[184:185] op_sel_hi:[1,0,1]
	v_pk_mul_f32 v[168:169], v[170:171], v[186:187] op_sel_hi:[1,0]
	v_mov_b32_e32 v129, v127
	v_pk_add_f32 v[126:127], v[146:147], v[130:131]
	s_wait_loadcnt 0x2
	v_pk_mul_f32 v[164:165], v[154:155], v[138:139] op_sel:[1,1] op_sel_hi:[0,1]
	v_mov_b32_e32 v130, v141
	v_pk_fma_f32 v[132:133], v[150:151], v[134:135], v[184:185] neg_lo:[0,0,1] neg_hi:[0,0,1]
	v_mov_b32_e32 v133, v163
	v_pk_fma_f32 v[134:135], v[152:153], v[136:137], v[168:169] op_sel_hi:[1,0,1]
	v_pk_add_f32 v[126:127], v[126:127], v[128:129]
	v_pk_fma_f32 v[128:129], v[154:155], v[138:139], v[164:165] op_sel_hi:[1,0,1]
	v_pk_mul_f32 v[130:131], v[172:173], v[130:131] op_sel_hi:[1,0]
	v_pk_fma_f32 v[136:137], v[152:153], v[136:137], v[168:169] neg_lo:[0,0,1] neg_hi:[0,0,1]
	v_mov_b32_e32 v137, v135
	v_pk_add_f32 v[126:127], v[126:127], v[132:133]
	v_pk_fma_f32 v[134:135], v[154:155], v[138:139], v[164:165] neg_lo:[0,0,1] neg_hi:[0,0,1]
	v_mov_b32_e32 v135, v129
	v_pk_fma_f32 v[128:129], v[156:157], v[140:141], v[130:131] op_sel_hi:[1,0,1]
	s_wait_loadcnt 0x1
	v_pk_mul_f32 v[132:133], v[158:159], v[142:143] op_sel:[1,1] op_sel_hi:[0,1]
	v_pk_add_f32 v[126:127], v[126:127], v[136:137]
	v_mov_b32_e32 v128, v145
	v_pk_fma_f32 v[130:131], v[156:157], v[140:141], v[130:131] neg_lo:[0,0,1] neg_hi:[0,0,1]
	v_mov_b32_e32 v131, v129
	v_pk_fma_f32 v[136:137], v[158:159], v[142:143], v[132:133] op_sel_hi:[1,0,1]
	v_pk_add_f32 v[126:127], v[126:127], v[134:135]
	v_pk_mul_f32 v[128:129], v[174:175], v[128:129] op_sel_hi:[1,0]
	v_pk_fma_f32 v[132:133], v[158:159], v[142:143], v[132:133] neg_lo:[0,0,1] neg_hi:[0,0,1]
	s_delay_alu instid0(VALU_DEP_3) | instskip(NEXT) | instid1(VALU_DEP_3)
	v_pk_add_f32 v[126:127], v[126:127], v[130:131]
	v_pk_fma_f32 v[130:131], v[160:161], v[144:145], v[128:129] op_sel_hi:[1,0,1]
	v_mov_b32_e32 v133, v137
	v_pk_fma_f32 v[128:129], v[160:161], v[144:145], v[128:129] neg_lo:[0,0,1] neg_hi:[0,0,1]
	s_delay_alu instid0(VALU_DEP_3) | instskip(NEXT) | instid1(VALU_DEP_3)
	v_mov_b32_e32 v129, v131
	v_pk_add_f32 v[126:127], v[126:127], v[132:133]
	s_delay_alu instid0(VALU_DEP_1) | instskip(SKIP_1) | instid1(VALU_DEP_1)
	v_pk_add_f32 v[126:127], v[126:127], v[128:129]
	s_wait_loadcnt 0x0
	v_pk_add_f32 v[126:127], v[166:167], v[126:127] neg_lo:[0,1] neg_hi:[0,1]
	scratch_store_b64 off, v[126:127], off offset:408
	s_wait_xcnt 0x0
	v_cmpx_lt_u32_e32 50, v0
	s_cbranch_execz .LBB61_285
; %bb.284:
	scratch_load_b64 v[126:127], off, off offset:400
	v_mov_b64_e32 v[128:129], 0
	scratch_store_b64 off, v[128:129], off offset:400
	s_wait_loadcnt 0x0
	ds_store_b64 v1, v[126:127]
.LBB61_285:
	s_wait_xcnt 0x0
	s_or_b32 exec_lo, exec_lo, s0
	s_wait_storecnt_dscnt 0x0
	s_barrier_signal -1
	s_barrier_wait -1
	s_clause 0x6
	scratch_load_b128 v[126:129], off, off offset:408
	scratch_load_b128 v[130:133], off, off offset:424
	;; [unrolled: 1-line block ×5, first 2 shown]
	scratch_load_b64 v[166:167], off, off offset:488
	scratch_load_b64 v[168:169], off, off offset:400
	v_mov_b32_e32 v7, 0
	ds_load_2addr_b64 v[146:149], v7 offset0:115 offset1:116
	ds_load_2addr_b64 v[150:153], v7 offset0:117 offset1:118
	;; [unrolled: 1-line block ×5, first 2 shown]
	ds_load_b64 v[170:171], v7 offset:984
	s_mov_b32 s0, exec_lo
	s_wait_dscnt 0x5
	v_dual_mov_b32 v172, v149 :: v_dual_mov_b32 v173, v148
	s_wait_dscnt 0x2
	v_dual_mov_b32 v174, v153 :: v_dual_mov_b32 v179, v160
	v_dual_mov_b32 v175, v152 :: v_dual_mov_b32 v176, v157
	;; [unrolled: 1-line block ×3, first 2 shown]
	s_wait_loadcnt_dscnt 0x601
	v_dual_mul_f32 v9, v162, v127 :: v_dual_mul_f32 v11, v163, v127
	v_dual_mul_f32 v13, v165, v129 :: v_dual_mul_f32 v181, v164, v129
	s_wait_loadcnt 0x5
	v_dual_mul_f32 v183, v146, v131 :: v_dual_mul_f32 v15, v147, v131
	s_wait_loadcnt 0x4
	v_dual_mov_b32 v182, v133 :: v_dual_mov_b32 v186, v137
	v_dual_fmac_f32 v9, v163, v126 :: v_dual_fma_f32 v11, v162, v126, -v11
	v_fmac_f32_e32 v181, v165, v128
	v_pk_mul_f32 v[184:185], v[150:151], v[134:135] op_sel:[1,1] op_sel_hi:[0,1]
	s_delay_alu instid0(VALU_DEP_3)
	v_dual_fma_f32 v180, v164, v128, -v13 :: v_dual_add_f32 v129, 0, v9
	v_pk_mul_f32 v[126:127], v[172:173], v[182:183] op_sel_hi:[1,0]
	s_wait_loadcnt 0x3
	v_dual_add_f32 v128, 0, v11 :: v_dual_mov_b32 v162, v141
	v_fmac_f32_e32 v183, v147, v130
	v_fma_f32 v182, v146, v130, -v15
	v_pk_fma_f32 v[130:131], v[148:149], v[132:133], v[126:127] op_sel_hi:[1,0,1]
	s_delay_alu instid0(VALU_DEP_4) | instskip(SKIP_4) | instid1(VALU_DEP_4)
	v_pk_add_f32 v[128:129], v[128:129], v[180:181]
	v_pk_fma_f32 v[146:147], v[150:151], v[134:135], v[184:185] op_sel_hi:[1,0,1]
	v_pk_fma_f32 v[126:127], v[148:149], v[132:133], v[126:127] neg_lo:[0,0,1] neg_hi:[0,0,1]
	v_pk_fma_f32 v[132:133], v[150:151], v[134:135], v[184:185] neg_lo:[0,0,1] neg_hi:[0,0,1]
	v_pk_mul_f32 v[164:165], v[174:175], v[186:187] op_sel_hi:[1,0]
	v_dual_mov_b32 v127, v131 :: v_dual_mov_b32 v133, v147
	v_pk_add_f32 v[128:129], v[128:129], v[182:183]
	v_pk_mul_f32 v[188:189], v[154:155], v[138:139] op_sel:[1,1] op_sel_hi:[0,1]
	s_delay_alu instid0(VALU_DEP_4)
	v_pk_fma_f32 v[134:135], v[152:153], v[136:137], v[164:165] op_sel_hi:[1,0,1]
	v_pk_fma_f32 v[136:137], v[152:153], v[136:137], v[164:165] neg_lo:[0,0,1] neg_hi:[0,0,1]
	v_pk_mul_f32 v[146:147], v[176:177], v[162:163] op_sel_hi:[1,0]
	v_pk_add_f32 v[126:127], v[128:129], v[126:127]
	v_pk_fma_f32 v[128:129], v[154:155], v[138:139], v[188:189] op_sel_hi:[1,0,1]
	s_wait_loadcnt 0x2
	v_dual_mov_b32 v137, v135 :: v_dual_mov_b32 v128, v145
	v_pk_mul_f32 v[130:131], v[158:159], v[142:143] op_sel:[1,1] op_sel_hi:[0,1]
	v_pk_add_f32 v[126:127], v[126:127], v[132:133]
	v_pk_fma_f32 v[132:133], v[154:155], v[138:139], v[188:189] neg_lo:[0,0,1] neg_hi:[0,0,1]
	v_pk_fma_f32 v[134:135], v[156:157], v[140:141], v[146:147] op_sel_hi:[1,0,1]
	v_mov_b32_e32 v133, v129
	v_pk_fma_f32 v[138:139], v[156:157], v[140:141], v[146:147] neg_lo:[0,0,1] neg_hi:[0,0,1]
	v_pk_add_f32 v[126:127], v[126:127], v[136:137]
	v_pk_fma_f32 v[136:137], v[158:159], v[142:143], v[130:131] op_sel_hi:[1,0,1]
	v_pk_mul_f32 v[128:129], v[178:179], v[128:129] op_sel_hi:[1,0]
	v_mov_b32_e32 v139, v135
	v_pk_fma_f32 v[130:131], v[158:159], v[142:143], v[130:131] neg_lo:[0,0,1] neg_hi:[0,0,1]
	v_pk_add_f32 v[126:127], v[126:127], v[132:133]
	s_wait_loadcnt_dscnt 0x100
	v_pk_mul_f32 v[134:135], v[170:171], v[166:167] op_sel:[1,1] op_sel_hi:[0,1]
	v_pk_fma_f32 v[132:133], v[160:161], v[144:145], v[128:129] op_sel_hi:[1,0,1]
	v_mov_b32_e32 v131, v137
	v_pk_fma_f32 v[128:129], v[160:161], v[144:145], v[128:129] neg_lo:[0,0,1] neg_hi:[0,0,1]
	v_pk_add_f32 v[126:127], v[126:127], v[138:139]
	s_delay_alu instid0(VALU_DEP_4) | instskip(SKIP_1) | instid1(VALU_DEP_3)
	v_mov_b32_e32 v129, v133
	v_pk_fma_f32 v[132:133], v[170:171], v[166:167], v[134:135] neg_lo:[0,0,1] neg_hi:[0,0,1]
	v_pk_add_f32 v[126:127], v[126:127], v[130:131]
	v_pk_fma_f32 v[130:131], v[170:171], v[166:167], v[134:135] op_sel_hi:[1,0,1]
	s_delay_alu instid0(VALU_DEP_2) | instskip(NEXT) | instid1(VALU_DEP_2)
	v_pk_add_f32 v[126:127], v[126:127], v[128:129]
	v_mov_b32_e32 v133, v131
	s_delay_alu instid0(VALU_DEP_1) | instskip(SKIP_1) | instid1(VALU_DEP_1)
	v_pk_add_f32 v[126:127], v[126:127], v[132:133]
	s_wait_loadcnt 0x0
	v_pk_add_f32 v[126:127], v[168:169], v[126:127] neg_lo:[0,1] neg_hi:[0,1]
	scratch_store_b64 off, v[126:127], off offset:400
	s_wait_xcnt 0x0
	v_cmpx_lt_u32_e32 49, v0
	s_cbranch_execz .LBB61_287
; %bb.286:
	scratch_load_b64 v[126:127], off, off offset:392
	v_mov_b64_e32 v[128:129], 0
	scratch_store_b64 off, v[128:129], off offset:392
	s_wait_loadcnt 0x0
	ds_store_b64 v1, v[126:127]
.LBB61_287:
	s_wait_xcnt 0x0
	s_or_b32 exec_lo, exec_lo, s0
	s_wait_storecnt_dscnt 0x0
	s_barrier_signal -1
	s_barrier_wait -1
	s_clause 0x6
	scratch_load_b128 v[126:129], off, off offset:400
	scratch_load_b128 v[130:133], off, off offset:416
	;; [unrolled: 1-line block ×6, first 2 shown]
	scratch_load_b64 v[174:175], off, off offset:392
	ds_load_b128 v[150:153], v7 offset:928
	ds_load_b128 v[154:157], v7 offset:944
	;; [unrolled: 1-line block ×6, first 2 shown]
	s_mov_b32 s0, exec_lo
	s_wait_dscnt 0x5
	v_dual_mov_b32 v176, v153 :: v_dual_mov_b32 v177, v152
	s_wait_dscnt 0x4
	v_dual_mov_b32 v178, v157 :: v_dual_mov_b32 v179, v156
	;; [unrolled: 2-line block ×4, first 2 shown]
	s_wait_loadcnt_dscnt 0x601
	v_dual_mul_f32 v7, v166, v127 :: v_dual_mul_f32 v9, v168, v129
	v_dual_mul_f32 v11, v167, v127 :: v_dual_mul_f32 v13, v169, v129
	s_wait_loadcnt 0x4
	s_delay_alu instid0(VALU_DEP_2)
	v_dual_mov_b32 v190, v137 :: v_dual_fmac_f32 v7, v167, v126
	s_wait_dscnt 0x0
	v_dual_mul_f32 v185, v170, v131 :: v_dual_mul_f32 v187, v172, v133
	v_dual_fma_f32 v11, v166, v126, -v11 :: v_dual_fmac_f32 v9, v169, v128
	v_dual_mul_f32 v15, v171, v131 :: v_dual_mul_f32 v17, v173, v133
	v_dual_fma_f32 v13, v168, v128, -v13 :: v_dual_add_f32 v7, 0, v7
	s_wait_loadcnt 0x3
	s_delay_alu instid0(VALU_DEP_3) | instskip(SKIP_3) | instid1(VALU_DEP_4)
	v_dual_add_f32 v11, 0, v11 :: v_dual_mov_b32 v128, v141
	v_pk_mul_f32 v[188:189], v[150:151], v[134:135] op_sel:[1,1] op_sel_hi:[0,1]
	v_dual_fmac_f32 v185, v171, v130 :: v_dual_fma_f32 v184, v170, v130, -v15
	v_dual_add_f32 v131, v7, v9 :: v_dual_fmac_f32 v187, v173, v132
	v_dual_add_f32 v130, v11, v13 :: v_dual_fma_f32 v186, v172, v132, -v17
	s_delay_alu instid0(VALU_DEP_4) | instskip(SKIP_2) | instid1(VALU_DEP_4)
	v_pk_fma_f32 v[132:133], v[150:151], v[134:135], v[188:189] op_sel_hi:[1,0,1]
	v_pk_mul_f32 v[166:167], v[176:177], v[190:191] op_sel_hi:[1,0]
	v_pk_fma_f32 v[134:135], v[150:151], v[134:135], v[188:189] neg_lo:[0,0,1] neg_hi:[0,0,1]
	v_pk_add_f32 v[130:131], v[130:131], v[184:185]
	v_pk_mul_f32 v[126:127], v[154:155], v[138:139] op_sel:[1,1] op_sel_hi:[0,1]
	v_mov_b32_e32 v135, v133
	v_pk_fma_f32 v[132:133], v[152:153], v[136:137], v[166:167] op_sel_hi:[1,0,1]
	v_pk_fma_f32 v[136:137], v[152:153], v[136:137], v[166:167] neg_lo:[0,0,1] neg_hi:[0,0,1]
	v_pk_add_f32 v[130:131], v[130:131], v[186:187]
	v_pk_fma_f32 v[150:151], v[154:155], v[138:139], v[126:127] op_sel_hi:[1,0,1]
	v_pk_mul_f32 v[128:129], v[178:179], v[128:129] op_sel_hi:[1,0]
	v_mov_b32_e32 v137, v133
	v_pk_fma_f32 v[126:127], v[154:155], v[138:139], v[126:127] neg_lo:[0,0,1] neg_hi:[0,0,1]
	v_pk_add_f32 v[130:131], v[130:131], v[134:135]
	s_wait_loadcnt 0x2
	v_pk_mul_f32 v[168:169], v[158:159], v[142:143] op_sel:[1,1] op_sel_hi:[0,1]
	v_dual_mov_b32 v132, v145 :: v_dual_mov_b32 v127, v151
	v_pk_fma_f32 v[134:135], v[156:157], v[140:141], v[128:129] op_sel_hi:[1,0,1]
	v_pk_add_f32 v[130:131], v[130:131], v[136:137]
	v_pk_fma_f32 v[128:129], v[156:157], v[140:141], v[128:129] neg_lo:[0,0,1] neg_hi:[0,0,1]
	v_pk_fma_f32 v[136:137], v[158:159], v[142:143], v[168:169] op_sel_hi:[1,0,1]
	v_pk_mul_f32 v[132:133], v[180:181], v[132:133] op_sel_hi:[1,0]
	v_mov_b32_e32 v129, v135
	v_pk_add_f32 v[126:127], v[130:131], v[126:127]
	v_pk_fma_f32 v[134:135], v[158:159], v[142:143], v[168:169] neg_lo:[0,0,1] neg_hi:[0,0,1]
	s_wait_loadcnt 0x1
	v_pk_mul_f32 v[130:131], v[162:163], v[146:147] op_sel:[1,1] op_sel_hi:[0,1]
	v_mov_b32_e32 v135, v137
	v_pk_fma_f32 v[136:137], v[160:161], v[144:145], v[132:133] op_sel_hi:[1,0,1]
	v_pk_add_f32 v[126:127], v[126:127], v[128:129]
	v_mov_b32_e32 v128, v149
	v_pk_fma_f32 v[132:133], v[160:161], v[144:145], v[132:133] neg_lo:[0,0,1] neg_hi:[0,0,1]
	v_pk_fma_f32 v[138:139], v[162:163], v[146:147], v[130:131] op_sel_hi:[1,0,1]
	v_mov_b32_e32 v133, v137
	v_pk_add_f32 v[126:127], v[126:127], v[134:135]
	v_pk_mul_f32 v[128:129], v[182:183], v[128:129] op_sel_hi:[1,0]
	v_pk_fma_f32 v[130:131], v[162:163], v[146:147], v[130:131] neg_lo:[0,0,1] neg_hi:[0,0,1]
	s_delay_alu instid0(VALU_DEP_3) | instskip(NEXT) | instid1(VALU_DEP_3)
	v_pk_add_f32 v[126:127], v[126:127], v[132:133]
	v_pk_fma_f32 v[132:133], v[164:165], v[148:149], v[128:129] op_sel_hi:[1,0,1]
	v_mov_b32_e32 v131, v139
	v_pk_fma_f32 v[128:129], v[164:165], v[148:149], v[128:129] neg_lo:[0,0,1] neg_hi:[0,0,1]
	s_delay_alu instid0(VALU_DEP_3) | instskip(NEXT) | instid1(VALU_DEP_3)
	v_mov_b32_e32 v129, v133
	v_pk_add_f32 v[126:127], v[126:127], v[130:131]
	s_delay_alu instid0(VALU_DEP_1) | instskip(SKIP_1) | instid1(VALU_DEP_1)
	v_pk_add_f32 v[126:127], v[126:127], v[128:129]
	s_wait_loadcnt 0x0
	v_pk_add_f32 v[126:127], v[174:175], v[126:127] neg_lo:[0,1] neg_hi:[0,1]
	scratch_store_b64 off, v[126:127], off offset:392
	s_wait_xcnt 0x0
	v_cmpx_lt_u32_e32 48, v0
	s_cbranch_execz .LBB61_289
; %bb.288:
	scratch_load_b64 v[126:127], off, off offset:384
	v_mov_b64_e32 v[128:129], 0
	scratch_store_b64 off, v[128:129], off offset:384
	s_wait_loadcnt 0x0
	ds_store_b64 v1, v[126:127]
.LBB61_289:
	s_wait_xcnt 0x0
	s_or_b32 exec_lo, exec_lo, s0
	s_wait_storecnt_dscnt 0x0
	s_barrier_signal -1
	s_barrier_wait -1
	s_clause 0x7
	scratch_load_b128 v[126:129], off, off offset:392
	scratch_load_b128 v[130:133], off, off offset:408
	scratch_load_b128 v[134:137], off, off offset:424
	scratch_load_b128 v[138:141], off, off offset:440
	scratch_load_b128 v[142:145], off, off offset:456
	scratch_load_b128 v[146:149], off, off offset:472
	scratch_load_b64 v[174:175], off, off offset:488
	scratch_load_b64 v[176:177], off, off offset:384
	v_mov_b32_e32 v7, 0
	ds_load_2addr_b64 v[150:153], v7 offset0:115 offset1:116
	ds_load_2addr_b64 v[154:157], v7 offset0:117 offset1:118
	ds_load_2addr_b64 v[158:161], v7 offset0:119 offset1:120
	ds_load_2addr_b64 v[162:165], v7 offset0:121 offset1:122
	ds_load_2addr_b64 v[166:169], v7 offset0:111 offset1:112
	ds_load_2addr_b64 v[170:173], v7 offset0:113 offset1:114
	ds_load_b64 v[178:179], v7 offset:984
	s_mov_b32 s0, exec_lo
	s_wait_dscnt 0x6
	v_dual_mov_b32 v180, v153 :: v_dual_mov_b32 v181, v152
	s_wait_dscnt 0x3
	v_dual_mov_b32 v182, v157 :: v_dual_mov_b32 v187, v164
	v_dual_mov_b32 v183, v156 :: v_dual_mov_b32 v184, v161
	;; [unrolled: 1-line block ×3, first 2 shown]
	s_wait_loadcnt_dscnt 0x702
	v_dual_mul_f32 v9, v166, v127 :: v_dual_mul_f32 v15, v167, v127
	v_dual_mul_f32 v17, v169, v129 :: v_dual_mul_f32 v11, v168, v129
	s_wait_loadcnt_dscnt 0x601
	s_delay_alu instid0(VALU_DEP_2) | instskip(NEXT) | instid1(VALU_DEP_3)
	v_dual_mul_f32 v13, v170, v131 :: v_dual_fmac_f32 v9, v167, v126
	v_dual_fma_f32 v15, v166, v126, -v15 :: v_dual_mul_f32 v19, v171, v131
	v_mul_f32_e32 v21, v173, v133
	s_wait_loadcnt 0x4
	v_dual_mov_b32 v126, v141 :: v_dual_fma_f32 v17, v168, v128, -v17
	v_dual_fmac_f32 v11, v169, v128 :: v_dual_add_f32 v9, 0, v9
	v_dual_add_f32 v15, 0, v15 :: v_dual_fmac_f32 v13, v171, v130
	v_dual_mul_f32 v189, v172, v133 :: v_dual_mul_f32 v191, v150, v135
	v_dual_mul_f32 v23, v151, v135 :: v_dual_mov_b32 v190, v137
	s_delay_alu instid0(VALU_DEP_4) | instskip(NEXT) | instid1(VALU_DEP_3)
	v_dual_fma_f32 v19, v170, v130, -v19 :: v_dual_add_f32 v9, v9, v11
	v_dual_add_f32 v11, v15, v17 :: v_dual_fmac_f32 v189, v173, v132
	v_pk_mul_f32 v[192:193], v[154:155], v[138:139] op_sel:[1,1] op_sel_hi:[0,1]
	s_delay_alu instid0(VALU_DEP_3)
	v_dual_fma_f32 v188, v172, v132, -v21 :: v_dual_add_f32 v133, v9, v13
	v_pk_mul_f32 v[130:131], v[180:181], v[190:191] op_sel_hi:[1,0]
	s_wait_loadcnt 0x3
	v_dual_add_f32 v132, v11, v19 :: v_dual_mov_b32 v166, v145
	v_fmac_f32_e32 v191, v151, v134
	v_fma_f32 v190, v150, v134, -v23
	v_pk_fma_f32 v[134:135], v[152:153], v[136:137], v[130:131] op_sel_hi:[1,0,1]
	s_delay_alu instid0(VALU_DEP_4) | instskip(SKIP_4) | instid1(VALU_DEP_4)
	v_pk_add_f32 v[132:133], v[132:133], v[188:189]
	v_pk_fma_f32 v[150:151], v[154:155], v[138:139], v[192:193] op_sel_hi:[1,0,1]
	v_pk_fma_f32 v[130:131], v[152:153], v[136:137], v[130:131] neg_lo:[0,0,1] neg_hi:[0,0,1]
	v_pk_fma_f32 v[136:137], v[154:155], v[138:139], v[192:193] neg_lo:[0,0,1] neg_hi:[0,0,1]
	v_pk_mul_f32 v[126:127], v[182:183], v[126:127] op_sel_hi:[1,0]
	v_dual_mov_b32 v131, v135 :: v_dual_mov_b32 v137, v151
	v_pk_add_f32 v[132:133], v[132:133], v[190:191]
	v_pk_mul_f32 v[128:129], v[158:159], v[142:143] op_sel:[1,1] op_sel_hi:[0,1]
	s_delay_alu instid0(VALU_DEP_4)
	v_pk_fma_f32 v[138:139], v[156:157], v[140:141], v[126:127] op_sel_hi:[1,0,1]
	v_pk_fma_f32 v[126:127], v[156:157], v[140:141], v[126:127] neg_lo:[0,0,1] neg_hi:[0,0,1]
	v_pk_mul_f32 v[150:151], v[184:185], v[166:167] op_sel_hi:[1,0]
	v_pk_add_f32 v[130:131], v[132:133], v[130:131]
	v_pk_fma_f32 v[132:133], v[158:159], v[142:143], v[128:129] op_sel_hi:[1,0,1]
	s_wait_loadcnt 0x2
	v_dual_mov_b32 v127, v139 :: v_dual_mov_b32 v132, v149
	v_pk_fma_f32 v[128:129], v[158:159], v[142:143], v[128:129] neg_lo:[0,0,1] neg_hi:[0,0,1]
	v_pk_add_f32 v[130:131], v[130:131], v[136:137]
	v_pk_mul_f32 v[134:135], v[162:163], v[146:147] op_sel:[1,1] op_sel_hi:[0,1]
	v_pk_fma_f32 v[136:137], v[160:161], v[144:145], v[150:151] op_sel_hi:[1,0,1]
	v_mov_b32_e32 v129, v133
	v_pk_fma_f32 v[138:139], v[160:161], v[144:145], v[150:151] neg_lo:[0,0,1] neg_hi:[0,0,1]
	v_pk_add_f32 v[126:127], v[130:131], v[126:127]
	v_pk_fma_f32 v[130:131], v[162:163], v[146:147], v[134:135] op_sel_hi:[1,0,1]
	v_pk_mul_f32 v[132:133], v[186:187], v[132:133] op_sel_hi:[1,0]
	v_mov_b32_e32 v139, v137
	s_delay_alu instid0(VALU_DEP_4)
	v_pk_add_f32 v[126:127], v[126:127], v[128:129]
	v_pk_fma_f32 v[128:129], v[162:163], v[146:147], v[134:135] neg_lo:[0,0,1] neg_hi:[0,0,1]
	v_mov_b32_e32 v129, v131
	v_pk_fma_f32 v[130:131], v[164:165], v[148:149], v[132:133] op_sel_hi:[1,0,1]
	s_wait_loadcnt_dscnt 0x100
	v_pk_mul_f32 v[134:135], v[178:179], v[174:175] op_sel:[1,1] op_sel_hi:[0,1]
	v_pk_add_f32 v[126:127], v[126:127], v[138:139]
	v_pk_fma_f32 v[132:133], v[164:165], v[148:149], v[132:133] neg_lo:[0,0,1] neg_hi:[0,0,1]
	v_mov_b32_e32 v133, v131
	s_delay_alu instid0(VALU_DEP_4) | instskip(NEXT) | instid1(VALU_DEP_4)
	v_pk_fma_f32 v[130:131], v[178:179], v[174:175], v[134:135] neg_lo:[0,0,1] neg_hi:[0,0,1]
	v_pk_add_f32 v[126:127], v[126:127], v[128:129]
	v_pk_fma_f32 v[128:129], v[178:179], v[174:175], v[134:135] op_sel_hi:[1,0,1]
	s_delay_alu instid0(VALU_DEP_2) | instskip(NEXT) | instid1(VALU_DEP_2)
	v_pk_add_f32 v[126:127], v[126:127], v[132:133]
	v_mov_b32_e32 v131, v129
	s_delay_alu instid0(VALU_DEP_1) | instskip(SKIP_1) | instid1(VALU_DEP_1)
	v_pk_add_f32 v[126:127], v[126:127], v[130:131]
	s_wait_loadcnt 0x0
	v_pk_add_f32 v[126:127], v[176:177], v[126:127] neg_lo:[0,1] neg_hi:[0,1]
	scratch_store_b64 off, v[126:127], off offset:384
	s_wait_xcnt 0x0
	v_cmpx_lt_u32_e32 47, v0
	s_cbranch_execz .LBB61_291
; %bb.290:
	scratch_load_b64 v[126:127], off, off offset:376
	v_mov_b64_e32 v[128:129], 0
	scratch_store_b64 off, v[128:129], off offset:376
	s_wait_loadcnt 0x0
	ds_store_b64 v1, v[126:127]
.LBB61_291:
	s_wait_xcnt 0x0
	s_or_b32 exec_lo, exec_lo, s0
	s_wait_storecnt_dscnt 0x0
	s_barrier_signal -1
	s_barrier_wait -1
	s_clause 0x7
	scratch_load_b128 v[126:129], off, off offset:384
	scratch_load_b128 v[130:133], off, off offset:400
	;; [unrolled: 1-line block ×7, first 2 shown]
	scratch_load_b64 v[182:183], off, off offset:376
	ds_load_b128 v[154:157], v7 offset:928
	ds_load_b128 v[158:161], v7 offset:944
	;; [unrolled: 1-line block ×7, first 2 shown]
	s_mov_b32 s0, exec_lo
	s_wait_dscnt 0x6
	v_dual_mov_b32 v184, v157 :: v_dual_mov_b32 v185, v156
	s_wait_dscnt 0x5
	v_dual_mov_b32 v186, v161 :: v_dual_mov_b32 v187, v160
	s_wait_dscnt 0x4
	v_dual_mov_b32 v188, v165 :: v_dual_mov_b32 v189, v164
	s_wait_dscnt 0x3
	v_dual_mov_b32 v190, v169 :: v_dual_mov_b32 v191, v168
	s_wait_loadcnt_dscnt 0x702
	v_dual_mul_f32 v7, v170, v127 :: v_dual_mul_f32 v9, v172, v129
	v_dual_mul_f32 v15, v171, v127 :: v_dual_mul_f32 v17, v173, v129
	s_wait_loadcnt_dscnt 0x601
	v_dual_mul_f32 v11, v174, v131 :: v_dual_mul_f32 v13, v176, v133
	s_delay_alu instid0(VALU_DEP_3) | instskip(NEXT) | instid1(VALU_DEP_3)
	v_dual_fmac_f32 v7, v171, v126 :: v_dual_fmac_f32 v9, v173, v128
	v_dual_fma_f32 v15, v170, v126, -v15 :: v_dual_fma_f32 v17, v172, v128, -v17
	v_dual_mul_f32 v19, v175, v131 :: v_dual_mul_f32 v21, v177, v133
	s_wait_loadcnt 0x4
	s_delay_alu instid0(VALU_DEP_3) | instskip(NEXT) | instid1(VALU_DEP_3)
	v_dual_add_f32 v7, 0, v7 :: v_dual_mov_b32 v128, v141
	v_dual_add_f32 v15, 0, v15 :: v_dual_fmac_f32 v11, v175, v130
	s_delay_alu instid0(VALU_DEP_2) | instskip(SKIP_2) | instid1(VALU_DEP_3)
	v_dual_fma_f32 v19, v174, v130, -v19 :: v_dual_add_f32 v7, v7, v9
	s_wait_dscnt 0x0
	v_dual_mul_f32 v193, v178, v135 :: v_dual_mul_f32 v195, v180, v137
	v_dual_add_f32 v9, v15, v17 :: v_dual_fmac_f32 v13, v177, v132
	v_dual_mul_f32 v23, v179, v135 :: v_dual_mul_f32 v25, v181, v137
	v_dual_fma_f32 v15, v176, v132, -v21 :: v_dual_add_f32 v7, v7, v11
	s_delay_alu instid0(VALU_DEP_3) | instskip(SKIP_3) | instid1(VALU_DEP_3)
	v_dual_add_f32 v9, v9, v19 :: v_dual_fmac_f32 v193, v179, v134
	v_pk_mul_f32 v[126:127], v[154:155], v[138:139] op_sel:[1,1] op_sel_hi:[0,1]
	s_wait_loadcnt 0x3
	v_dual_mov_b32 v132, v145 :: v_dual_fma_f32 v192, v178, v134, -v23
	v_dual_add_f32 v135, v7, v13 :: v_dual_add_f32 v134, v9, v15
	v_dual_fmac_f32 v195, v181, v136 :: v_dual_fma_f32 v194, v180, v136, -v25
	v_pk_fma_f32 v[136:137], v[154:155], v[138:139], v[126:127] op_sel_hi:[1,0,1]
	v_pk_mul_f32 v[128:129], v[184:185], v[128:129] op_sel_hi:[1,0]
	s_delay_alu instid0(VALU_DEP_4)
	v_pk_add_f32 v[134:135], v[134:135], v[192:193]
	v_pk_fma_f32 v[126:127], v[154:155], v[138:139], v[126:127] neg_lo:[0,0,1] neg_hi:[0,0,1]
	v_pk_mul_f32 v[130:131], v[158:159], v[142:143] op_sel:[1,1] op_sel_hi:[0,1]
	v_mov_b32_e32 v127, v137
	v_pk_fma_f32 v[136:137], v[156:157], v[140:141], v[128:129] op_sel_hi:[1,0,1]
	v_pk_add_f32 v[134:135], v[134:135], v[194:195]
	v_pk_fma_f32 v[128:129], v[156:157], v[140:141], v[128:129] neg_lo:[0,0,1] neg_hi:[0,0,1]
	v_pk_fma_f32 v[138:139], v[158:159], v[142:143], v[130:131] op_sel_hi:[1,0,1]
	v_pk_mul_f32 v[132:133], v[186:187], v[132:133] op_sel_hi:[1,0]
	v_mov_b32_e32 v129, v137
	v_pk_add_f32 v[126:127], v[134:135], v[126:127]
	s_wait_loadcnt 0x2
	v_pk_mul_f32 v[170:171], v[162:163], v[146:147] op_sel:[1,1] op_sel_hi:[0,1]
	v_mov_b32_e32 v134, v149
	v_pk_fma_f32 v[130:131], v[158:159], v[142:143], v[130:131] neg_lo:[0,0,1] neg_hi:[0,0,1]
	v_mov_b32_e32 v131, v139
	v_pk_fma_f32 v[136:137], v[160:161], v[144:145], v[132:133] op_sel_hi:[1,0,1]
	v_pk_add_f32 v[126:127], v[126:127], v[128:129]
	v_pk_fma_f32 v[128:129], v[162:163], v[146:147], v[170:171] op_sel_hi:[1,0,1]
	v_pk_mul_f32 v[134:135], v[188:189], v[134:135] op_sel_hi:[1,0]
	v_pk_fma_f32 v[132:133], v[160:161], v[144:145], v[132:133] neg_lo:[0,0,1] neg_hi:[0,0,1]
	v_mov_b32_e32 v133, v137
	v_pk_add_f32 v[126:127], v[126:127], v[130:131]
	v_pk_fma_f32 v[136:137], v[162:163], v[146:147], v[170:171] neg_lo:[0,0,1] neg_hi:[0,0,1]
	v_mov_b32_e32 v137, v129
	v_pk_fma_f32 v[128:129], v[164:165], v[148:149], v[134:135] op_sel_hi:[1,0,1]
	s_wait_loadcnt 0x1
	v_pk_mul_f32 v[130:131], v[166:167], v[150:151] op_sel:[1,1] op_sel_hi:[0,1]
	v_pk_add_f32 v[126:127], v[126:127], v[132:133]
	v_mov_b32_e32 v128, v153
	v_pk_fma_f32 v[134:135], v[164:165], v[148:149], v[134:135] neg_lo:[0,0,1] neg_hi:[0,0,1]
	v_mov_b32_e32 v135, v129
	v_pk_fma_f32 v[132:133], v[166:167], v[150:151], v[130:131] op_sel_hi:[1,0,1]
	v_pk_add_f32 v[126:127], v[126:127], v[136:137]
	v_pk_mul_f32 v[128:129], v[190:191], v[128:129] op_sel_hi:[1,0]
	v_pk_fma_f32 v[130:131], v[166:167], v[150:151], v[130:131] neg_lo:[0,0,1] neg_hi:[0,0,1]
	s_delay_alu instid0(VALU_DEP_4) | instskip(NEXT) | instid1(VALU_DEP_4)
	v_mov_b32_e32 v131, v133
	v_pk_add_f32 v[126:127], v[126:127], v[134:135]
	s_delay_alu instid0(VALU_DEP_4) | instskip(SKIP_1) | instid1(VALU_DEP_2)
	v_pk_fma_f32 v[132:133], v[168:169], v[152:153], v[128:129] op_sel_hi:[1,0,1]
	v_pk_fma_f32 v[128:129], v[168:169], v[152:153], v[128:129] neg_lo:[0,0,1] neg_hi:[0,0,1]
	v_mov_b32_e32 v129, v133
	s_delay_alu instid0(VALU_DEP_4) | instskip(NEXT) | instid1(VALU_DEP_1)
	v_pk_add_f32 v[126:127], v[126:127], v[130:131]
	v_pk_add_f32 v[126:127], v[126:127], v[128:129]
	s_wait_loadcnt 0x0
	s_delay_alu instid0(VALU_DEP_1)
	v_pk_add_f32 v[126:127], v[182:183], v[126:127] neg_lo:[0,1] neg_hi:[0,1]
	scratch_store_b64 off, v[126:127], off offset:376
	s_wait_xcnt 0x0
	v_cmpx_lt_u32_e32 46, v0
	s_cbranch_execz .LBB61_293
; %bb.292:
	scratch_load_b64 v[126:127], off, off offset:368
	v_mov_b64_e32 v[128:129], 0
	scratch_store_b64 off, v[128:129], off offset:368
	s_wait_loadcnt 0x0
	ds_store_b64 v1, v[126:127]
.LBB61_293:
	s_wait_xcnt 0x0
	s_or_b32 exec_lo, exec_lo, s0
	s_wait_storecnt_dscnt 0x0
	s_barrier_signal -1
	s_barrier_wait -1
	s_clause 0x8
	scratch_load_b128 v[126:129], off, off offset:376
	scratch_load_b128 v[130:133], off, off offset:392
	;; [unrolled: 1-line block ×7, first 2 shown]
	scratch_load_b64 v[182:183], off, off offset:488
	scratch_load_b64 v[184:185], off, off offset:368
	v_mov_b32_e32 v7, 0
	ds_load_2addr_b64 v[154:157], v7 offset0:115 offset1:116
	ds_load_2addr_b64 v[158:161], v7 offset0:117 offset1:118
	;; [unrolled: 1-line block ×7, first 2 shown]
	ds_load_b64 v[186:187], v7 offset:984
	s_mov_b32 s0, exec_lo
	s_wait_dscnt 0x7
	v_dual_mov_b32 v188, v157 :: v_dual_mov_b32 v189, v156
	s_wait_dscnt 0x4
	v_dual_mov_b32 v190, v161 :: v_dual_mov_b32 v195, v168
	v_dual_mov_b32 v191, v160 :: v_dual_mov_b32 v192, v165
	;; [unrolled: 1-line block ×3, first 2 shown]
	s_wait_loadcnt_dscnt 0x803
	v_dual_mul_f32 v9, v170, v127 :: v_dual_mul_f32 v19, v171, v127
	v_dual_mul_f32 v21, v173, v129 :: v_dual_mul_f32 v11, v172, v129
	s_wait_loadcnt_dscnt 0x702
	v_mul_f32_e32 v13, v174, v131
	s_wait_loadcnt 0x5
	v_dual_mul_f32 v31, v155, v139 :: v_dual_fma_f32 v19, v170, v126, -v19
	v_dual_fmac_f32 v9, v171, v126 :: v_dual_mov_b32 v126, v141
	v_dual_mul_f32 v23, v175, v131 :: v_dual_mul_f32 v25, v177, v133
	v_dual_fmac_f32 v11, v173, v128 :: v_dual_fma_f32 v21, v172, v128, -v21
	s_delay_alu instid0(VALU_DEP_3) | instskip(SKIP_3) | instid1(VALU_DEP_3)
	v_dual_add_f32 v9, 0, v9 :: v_dual_add_f32 v19, 0, v19
	s_wait_dscnt 0x1
	v_dual_mul_f32 v15, v176, v133 :: v_dual_mul_f32 v17, v178, v135
	v_dual_fmac_f32 v13, v175, v130 :: v_dual_fma_f32 v23, v174, v130, -v23
	v_dual_add_f32 v9, v9, v11 :: v_dual_add_f32 v11, v19, v21
	v_dual_mul_f32 v27, v179, v135 :: v_dual_mul_f32 v29, v181, v137
	s_wait_loadcnt 0x4
	v_dual_mov_b32 v130, v145 :: v_dual_fma_f32 v19, v176, v132, -v25
	s_delay_alu instid0(VALU_DEP_3) | instskip(SKIP_2) | instid1(VALU_DEP_2)
	v_dual_fmac_f32 v15, v177, v132 :: v_dual_add_f32 v11, v11, v23
	v_dual_add_f32 v9, v9, v13 :: v_dual_fmac_f32 v17, v179, v134
	v_dual_mul_f32 v197, v180, v137 :: v_dual_mul_f32 v199, v154, v139
	v_dual_fma_f32 v13, v178, v134, -v27 :: v_dual_add_f32 v9, v9, v15
	s_delay_alu instid0(VALU_DEP_2) | instskip(SKIP_1) | instid1(VALU_DEP_3)
	v_dual_add_f32 v11, v11, v19 :: v_dual_fmac_f32 v197, v181, v136
	v_pk_mul_f32 v[128:129], v[158:159], v[142:143] op_sel:[1,1] op_sel_hi:[0,1]
	v_dual_fma_f32 v196, v180, v136, -v29 :: v_dual_add_f32 v135, v9, v17
	v_pk_mul_f32 v[126:127], v[188:189], v[126:127] op_sel_hi:[1,0]
	s_wait_loadcnt 0x3
	v_dual_add_f32 v134, v11, v13 :: v_dual_mov_b32 v136, v149
	v_fmac_f32_e32 v199, v155, v138
	v_fma_f32 v198, v154, v138, -v31
	v_pk_fma_f32 v[138:139], v[156:157], v[140:141], v[126:127] op_sel_hi:[1,0,1]
	s_delay_alu instid0(VALU_DEP_4) | instskip(SKIP_4) | instid1(VALU_DEP_4)
	v_pk_add_f32 v[134:135], v[134:135], v[196:197]
	v_pk_fma_f32 v[154:155], v[158:159], v[142:143], v[128:129] op_sel_hi:[1,0,1]
	v_pk_fma_f32 v[126:127], v[156:157], v[140:141], v[126:127] neg_lo:[0,0,1] neg_hi:[0,0,1]
	v_pk_fma_f32 v[128:129], v[158:159], v[142:143], v[128:129] neg_lo:[0,0,1] neg_hi:[0,0,1]
	v_pk_mul_f32 v[130:131], v[190:191], v[130:131] op_sel_hi:[1,0]
	v_dual_mov_b32 v127, v139 :: v_dual_mov_b32 v129, v155
	v_pk_add_f32 v[134:135], v[134:135], v[198:199]
	v_pk_mul_f32 v[132:133], v[162:163], v[146:147] op_sel:[1,1] op_sel_hi:[0,1]
	s_delay_alu instid0(VALU_DEP_4)
	v_pk_fma_f32 v[140:141], v[160:161], v[144:145], v[130:131] op_sel_hi:[1,0,1]
	v_pk_fma_f32 v[130:131], v[160:161], v[144:145], v[130:131] neg_lo:[0,0,1] neg_hi:[0,0,1]
	v_pk_mul_f32 v[136:137], v[192:193], v[136:137] op_sel_hi:[1,0]
	v_pk_add_f32 v[126:127], v[134:135], v[126:127]
	v_pk_fma_f32 v[134:135], v[162:163], v[146:147], v[132:133] op_sel_hi:[1,0,1]
	v_mov_b32_e32 v131, v141
	v_pk_fma_f32 v[132:133], v[162:163], v[146:147], v[132:133] neg_lo:[0,0,1] neg_hi:[0,0,1]
	s_wait_loadcnt 0x2
	v_pk_mul_f32 v[138:139], v[166:167], v[150:151] op_sel:[1,1] op_sel_hi:[0,1]
	v_pk_add_f32 v[126:127], v[126:127], v[128:129]
	v_dual_mov_b32 v128, v153 :: v_dual_mov_b32 v133, v135
	v_pk_fma_f32 v[134:135], v[164:165], v[148:149], v[136:137] op_sel_hi:[1,0,1]
	v_pk_fma_f32 v[136:137], v[164:165], v[148:149], v[136:137] neg_lo:[0,0,1] neg_hi:[0,0,1]
	s_delay_alu instid0(VALU_DEP_4)
	v_pk_add_f32 v[126:127], v[126:127], v[130:131]
	v_pk_fma_f32 v[130:131], v[166:167], v[150:151], v[138:139] op_sel_hi:[1,0,1]
	v_pk_mul_f32 v[128:129], v[194:195], v[128:129] op_sel_hi:[1,0]
	v_mov_b32_e32 v137, v135
	s_wait_loadcnt_dscnt 0x100
	v_pk_mul_f32 v[134:135], v[186:187], v[182:183] op_sel:[1,1] op_sel_hi:[0,1]
	v_pk_add_f32 v[126:127], v[126:127], v[132:133]
	v_pk_fma_f32 v[132:133], v[166:167], v[150:151], v[138:139] neg_lo:[0,0,1] neg_hi:[0,0,1]
	v_mov_b32_e32 v133, v131
	v_pk_fma_f32 v[130:131], v[168:169], v[152:153], v[128:129] op_sel_hi:[1,0,1]
	v_pk_fma_f32 v[128:129], v[168:169], v[152:153], v[128:129] neg_lo:[0,0,1] neg_hi:[0,0,1]
	v_pk_add_f32 v[126:127], v[126:127], v[136:137]
	s_delay_alu instid0(VALU_DEP_3) | instskip(SKIP_1) | instid1(VALU_DEP_3)
	v_mov_b32_e32 v129, v131
	v_pk_fma_f32 v[130:131], v[186:187], v[182:183], v[134:135] op_sel_hi:[1,0,1]
	v_pk_add_f32 v[126:127], v[126:127], v[132:133]
	v_pk_fma_f32 v[132:133], v[186:187], v[182:183], v[134:135] neg_lo:[0,0,1] neg_hi:[0,0,1]
	s_delay_alu instid0(VALU_DEP_3) | instskip(NEXT) | instid1(VALU_DEP_3)
	v_mov_b32_e32 v133, v131
	v_pk_add_f32 v[126:127], v[126:127], v[128:129]
	s_delay_alu instid0(VALU_DEP_1) | instskip(SKIP_1) | instid1(VALU_DEP_1)
	v_pk_add_f32 v[126:127], v[126:127], v[132:133]
	s_wait_loadcnt 0x0
	v_pk_add_f32 v[126:127], v[184:185], v[126:127] neg_lo:[0,1] neg_hi:[0,1]
	scratch_store_b64 off, v[126:127], off offset:368
	s_wait_xcnt 0x0
	v_cmpx_lt_u32_e32 45, v0
	s_cbranch_execz .LBB61_295
; %bb.294:
	scratch_load_b64 v[126:127], off, off offset:360
	v_mov_b64_e32 v[128:129], 0
	scratch_store_b64 off, v[128:129], off offset:360
	s_wait_loadcnt 0x0
	ds_store_b64 v1, v[126:127]
.LBB61_295:
	s_wait_xcnt 0x0
	s_or_b32 exec_lo, exec_lo, s0
	s_wait_storecnt_dscnt 0x0
	s_barrier_signal -1
	s_barrier_wait -1
	s_clause 0x8
	scratch_load_b128 v[126:129], off, off offset:368
	scratch_load_b128 v[130:133], off, off offset:384
	;; [unrolled: 1-line block ×8, first 2 shown]
	scratch_load_b64 v[190:191], off, off offset:360
	ds_load_b128 v[158:161], v7 offset:928
	ds_load_b128 v[162:165], v7 offset:944
	;; [unrolled: 1-line block ×8, first 2 shown]
	s_mov_b32 s0, exec_lo
	s_wait_dscnt 0x7
	v_dual_mov_b32 v192, v161 :: v_dual_mov_b32 v193, v160
	s_wait_dscnt 0x6
	v_dual_mov_b32 v194, v165 :: v_dual_mov_b32 v195, v164
	;; [unrolled: 2-line block ×4, first 2 shown]
	s_wait_loadcnt_dscnt 0x803
	v_dual_mul_f32 v7, v174, v127 :: v_dual_mul_f32 v9, v176, v129
	v_dual_mul_f32 v19, v175, v127 :: v_dual_mul_f32 v21, v177, v129
	s_wait_loadcnt_dscnt 0x702
	v_dual_mul_f32 v11, v178, v131 :: v_dual_mul_f32 v13, v180, v133
	s_delay_alu instid0(VALU_DEP_3) | instskip(SKIP_3) | instid1(VALU_DEP_3)
	v_dual_fmac_f32 v7, v175, v126 :: v_dual_fmac_f32 v9, v177, v128
	s_wait_loadcnt_dscnt 0x500
	v_dual_fma_f32 v19, v174, v126, -v19 :: v_dual_mul_f32 v31, v187, v139
	v_dual_mul_f32 v23, v179, v131 :: v_dual_mul_f32 v25, v181, v133
	v_dual_fma_f32 v21, v176, v128, -v21 :: v_dual_add_f32 v7, 0, v7
	s_delay_alu instid0(VALU_DEP_3) | instskip(SKIP_1) | instid1(VALU_DEP_3)
	v_dual_add_f32 v19, 0, v19 :: v_dual_mul_f32 v33, v189, v141
	v_dual_fmac_f32 v11, v179, v130 :: v_dual_fmac_f32 v13, v181, v132
	v_dual_fma_f32 v23, v178, v130, -v23 :: v_dual_add_f32 v7, v7, v9
	s_delay_alu instid0(VALU_DEP_3) | instskip(SKIP_4) | instid1(VALU_DEP_3)
	v_dual_add_f32 v9, v19, v21 :: v_dual_fma_f32 v19, v180, v132, -v25
	v_dual_mul_f32 v15, v182, v135 :: v_dual_mul_f32 v17, v184, v137
	v_dual_mul_f32 v27, v183, v135 :: v_dual_mul_f32 v29, v185, v137
	s_wait_loadcnt 0x4
	v_dual_add_f32 v7, v7, v11 :: v_dual_mov_b32 v128, v145
	v_dual_add_f32 v9, v9, v23 :: v_dual_fmac_f32 v15, v183, v134
	s_delay_alu instid0(VALU_DEP_2) | instskip(SKIP_1) | instid1(VALU_DEP_3)
	v_dual_fma_f32 v11, v182, v134, -v27 :: v_dual_add_f32 v7, v7, v13
	v_dual_mul_f32 v201, v186, v139 :: v_dual_mul_f32 v203, v188, v141
	v_dual_add_f32 v9, v9, v19 :: v_dual_fma_f32 v13, v184, v136, -v29
	s_delay_alu instid0(VALU_DEP_3) | instskip(SKIP_1) | instid1(VALU_DEP_3)
	v_dual_fmac_f32 v17, v185, v136 :: v_dual_add_f32 v7, v7, v15
	v_pk_mul_f32 v[126:127], v[158:159], v[142:143] op_sel:[1,1] op_sel_hi:[0,1]
	v_dual_add_f32 v9, v9, v11 :: v_dual_fmac_f32 v201, v187, v138
	s_wait_loadcnt 0x3
	v_dual_mov_b32 v132, v149 :: v_dual_fma_f32 v200, v186, v138, -v31
	v_dual_add_f32 v135, v7, v17 :: v_dual_fmac_f32 v203, v189, v140
	s_delay_alu instid0(VALU_DEP_3) | instskip(SKIP_3) | instid1(VALU_DEP_4)
	v_dual_add_f32 v134, v9, v13 :: v_dual_fma_f32 v202, v188, v140, -v33
	v_pk_fma_f32 v[136:137], v[158:159], v[142:143], v[126:127] op_sel_hi:[1,0,1]
	v_pk_mul_f32 v[128:129], v[192:193], v[128:129] op_sel_hi:[1,0]
	v_pk_fma_f32 v[126:127], v[158:159], v[142:143], v[126:127] neg_lo:[0,0,1] neg_hi:[0,0,1]
	v_pk_add_f32 v[134:135], v[134:135], v[200:201]
	v_pk_mul_f32 v[130:131], v[162:163], v[146:147] op_sel:[1,1] op_sel_hi:[0,1]
	v_mov_b32_e32 v127, v137
	v_pk_fma_f32 v[136:137], v[160:161], v[144:145], v[128:129] op_sel_hi:[1,0,1]
	v_pk_fma_f32 v[128:129], v[160:161], v[144:145], v[128:129] neg_lo:[0,0,1] neg_hi:[0,0,1]
	v_pk_add_f32 v[134:135], v[134:135], v[202:203]
	v_pk_fma_f32 v[140:141], v[162:163], v[146:147], v[130:131] op_sel_hi:[1,0,1]
	v_pk_mul_f32 v[132:133], v[194:195], v[132:133] op_sel_hi:[1,0]
	v_mov_b32_e32 v129, v137
	s_wait_loadcnt 0x2
	v_pk_mul_f32 v[138:139], v[166:167], v[150:151] op_sel:[1,1] op_sel_hi:[0,1]
	v_pk_add_f32 v[126:127], v[134:135], v[126:127]
	v_mov_b32_e32 v134, v153
	v_pk_fma_f32 v[130:131], v[162:163], v[146:147], v[130:131] neg_lo:[0,0,1] neg_hi:[0,0,1]
	v_mov_b32_e32 v131, v141
	v_pk_fma_f32 v[136:137], v[164:165], v[148:149], v[132:133] op_sel_hi:[1,0,1]
	v_pk_add_f32 v[126:127], v[126:127], v[128:129]
	v_pk_fma_f32 v[128:129], v[166:167], v[150:151], v[138:139] op_sel_hi:[1,0,1]
	v_pk_mul_f32 v[134:135], v[196:197], v[134:135] op_sel_hi:[1,0]
	v_pk_fma_f32 v[132:133], v[164:165], v[148:149], v[132:133] neg_lo:[0,0,1] neg_hi:[0,0,1]
	v_mov_b32_e32 v133, v137
	v_pk_add_f32 v[126:127], v[126:127], v[130:131]
	v_pk_fma_f32 v[136:137], v[166:167], v[150:151], v[138:139] neg_lo:[0,0,1] neg_hi:[0,0,1]
	v_mov_b32_e32 v137, v129
	v_pk_fma_f32 v[128:129], v[168:169], v[152:153], v[134:135] op_sel_hi:[1,0,1]
	s_wait_loadcnt 0x1
	v_pk_mul_f32 v[130:131], v[170:171], v[154:155] op_sel:[1,1] op_sel_hi:[0,1]
	v_pk_add_f32 v[126:127], v[126:127], v[132:133]
	v_mov_b32_e32 v128, v157
	v_pk_fma_f32 v[134:135], v[168:169], v[152:153], v[134:135] neg_lo:[0,0,1] neg_hi:[0,0,1]
	v_mov_b32_e32 v135, v129
	v_pk_fma_f32 v[132:133], v[170:171], v[154:155], v[130:131] op_sel_hi:[1,0,1]
	v_pk_add_f32 v[126:127], v[126:127], v[136:137]
	v_pk_mul_f32 v[128:129], v[198:199], v[128:129] op_sel_hi:[1,0]
	v_pk_fma_f32 v[130:131], v[170:171], v[154:155], v[130:131] neg_lo:[0,0,1] neg_hi:[0,0,1]
	s_delay_alu instid0(VALU_DEP_4) | instskip(NEXT) | instid1(VALU_DEP_4)
	v_mov_b32_e32 v131, v133
	v_pk_add_f32 v[126:127], v[126:127], v[134:135]
	s_delay_alu instid0(VALU_DEP_4) | instskip(SKIP_1) | instid1(VALU_DEP_2)
	v_pk_fma_f32 v[132:133], v[172:173], v[156:157], v[128:129] op_sel_hi:[1,0,1]
	v_pk_fma_f32 v[128:129], v[172:173], v[156:157], v[128:129] neg_lo:[0,0,1] neg_hi:[0,0,1]
	v_mov_b32_e32 v129, v133
	s_delay_alu instid0(VALU_DEP_4) | instskip(NEXT) | instid1(VALU_DEP_1)
	v_pk_add_f32 v[126:127], v[126:127], v[130:131]
	v_pk_add_f32 v[126:127], v[126:127], v[128:129]
	s_wait_loadcnt 0x0
	s_delay_alu instid0(VALU_DEP_1)
	v_pk_add_f32 v[126:127], v[190:191], v[126:127] neg_lo:[0,1] neg_hi:[0,1]
	scratch_store_b64 off, v[126:127], off offset:360
	s_wait_xcnt 0x0
	v_cmpx_lt_u32_e32 44, v0
	s_cbranch_execz .LBB61_297
; %bb.296:
	scratch_load_b64 v[126:127], off, off offset:352
	v_mov_b64_e32 v[128:129], 0
	scratch_store_b64 off, v[128:129], off offset:352
	s_wait_loadcnt 0x0
	ds_store_b64 v1, v[126:127]
.LBB61_297:
	s_wait_xcnt 0x0
	s_or_b32 exec_lo, exec_lo, s0
	s_wait_storecnt_dscnt 0x0
	s_barrier_signal -1
	s_barrier_wait -1
	s_clause 0x9
	scratch_load_b128 v[126:129], off, off offset:360
	scratch_load_b128 v[130:133], off, off offset:376
	;; [unrolled: 1-line block ×8, first 2 shown]
	scratch_load_b64 v[190:191], off, off offset:488
	scratch_load_b64 v[192:193], off, off offset:352
	v_mov_b32_e32 v7, 0
	ds_load_2addr_b64 v[158:161], v7 offset0:115 offset1:116
	ds_load_2addr_b64 v[162:165], v7 offset0:117 offset1:118
	;; [unrolled: 1-line block ×8, first 2 shown]
	ds_load_b64 v[194:195], v7 offset:984
	s_mov_b32 s0, exec_lo
	s_wait_dscnt 0x8
	v_dual_mov_b32 v196, v161 :: v_dual_mov_b32 v197, v160
	s_wait_dscnt 0x5
	v_dual_mov_b32 v198, v165 :: v_dual_mov_b32 v203, v172
	v_dual_mov_b32 v199, v164 :: v_dual_mov_b32 v200, v169
	;; [unrolled: 1-line block ×3, first 2 shown]
	s_wait_loadcnt_dscnt 0x904
	v_dual_mul_f32 v9, v174, v127 :: v_dual_mul_f32 v23, v175, v127
	v_dual_mul_f32 v25, v177, v129 :: v_dual_mul_f32 v11, v176, v129
	s_wait_loadcnt_dscnt 0x803
	v_mul_f32_e32 v13, v178, v131
	s_wait_loadcnt_dscnt 0x601
	v_dual_mul_f32 v35, v187, v139 :: v_dual_fma_f32 v23, v174, v126, -v23
	v_dual_fmac_f32 v9, v175, v126 :: v_dual_mul_f32 v37, v189, v141
	v_dual_mul_f32 v27, v179, v131 :: v_dual_mul_f32 v29, v181, v133
	v_dual_fmac_f32 v11, v177, v128 :: v_dual_fma_f32 v25, v176, v128, -v25
	s_delay_alu instid0(VALU_DEP_3) | instskip(SKIP_3) | instid1(VALU_DEP_3)
	v_dual_add_f32 v9, 0, v9 :: v_dual_add_f32 v23, 0, v23
	v_dual_mul_f32 v15, v180, v133 :: v_dual_mul_f32 v17, v182, v135
	s_wait_loadcnt 0x5
	v_dual_mul_f32 v39, v159, v143 :: v_dual_fma_f32 v27, v178, v130, -v27
	v_dual_fmac_f32 v13, v179, v130 :: v_dual_add_f32 v9, v9, v11
	v_dual_add_f32 v11, v23, v25 :: v_dual_mov_b32 v126, v145
	v_dual_mul_f32 v31, v183, v135 :: v_dual_mul_f32 v33, v185, v137
	v_dual_fmac_f32 v15, v181, v132 :: v_dual_fma_f32 v23, v180, v132, -v29
	s_delay_alu instid0(VALU_DEP_3) | instskip(SKIP_1) | instid1(VALU_DEP_4)
	v_dual_add_f32 v9, v9, v13 :: v_dual_add_f32 v11, v11, v27
	v_dual_mul_f32 v19, v184, v137 :: v_dual_mul_f32 v21, v186, v139
	v_dual_fmac_f32 v17, v183, v134 :: v_dual_fma_f32 v13, v182, v134, -v31
	s_delay_alu instid0(VALU_DEP_3) | instskip(SKIP_3) | instid1(VALU_DEP_3)
	v_dual_add_f32 v9, v9, v15 :: v_dual_fma_f32 v15, v184, v136, -v33
	s_wait_loadcnt 0x4
	v_dual_add_f32 v11, v11, v23 :: v_dual_mov_b32 v130, v149
	v_fmac_f32_e32 v19, v185, v136
	v_dual_add_f32 v9, v9, v17 :: v_dual_fmac_f32 v21, v187, v138
	s_delay_alu instid0(VALU_DEP_3) | instskip(SKIP_1) | instid1(VALU_DEP_3)
	v_add_f32_e32 v11, v11, v13
	v_dual_mul_f32 v205, v188, v141 :: v_dual_mul_f32 v207, v158, v143
	v_dual_fma_f32 v13, v186, v138, -v35 :: v_dual_add_f32 v9, v9, v19
	s_delay_alu instid0(VALU_DEP_2) | instskip(SKIP_1) | instid1(VALU_DEP_3)
	v_dual_add_f32 v11, v11, v15 :: v_dual_fmac_f32 v205, v189, v140
	v_pk_mul_f32 v[128:129], v[162:163], v[146:147] op_sel:[1,1] op_sel_hi:[0,1]
	v_dual_fma_f32 v204, v188, v140, -v37 :: v_dual_add_f32 v135, v9, v21
	v_pk_mul_f32 v[126:127], v[196:197], v[126:127] op_sel_hi:[1,0]
	s_wait_loadcnt 0x3
	v_dual_add_f32 v134, v11, v13 :: v_dual_mov_b32 v136, v153
	v_pk_fma_f32 v[140:141], v[162:163], v[146:147], v[128:129] op_sel_hi:[1,0,1]
	v_fmac_f32_e32 v207, v159, v142
	v_pk_fma_f32 v[138:139], v[160:161], v[144:145], v[126:127] op_sel_hi:[1,0,1]
	v_fma_f32 v206, v158, v142, -v39
	v_pk_add_f32 v[134:135], v[134:135], v[204:205]
	v_pk_fma_f32 v[126:127], v[160:161], v[144:145], v[126:127] neg_lo:[0,0,1] neg_hi:[0,0,1]
	v_pk_fma_f32 v[128:129], v[162:163], v[146:147], v[128:129] neg_lo:[0,0,1] neg_hi:[0,0,1]
	v_pk_mul_f32 v[130:131], v[198:199], v[130:131] op_sel_hi:[1,0]
	v_dual_mov_b32 v127, v139 :: v_dual_mov_b32 v129, v141
	v_pk_add_f32 v[134:135], v[134:135], v[206:207]
	v_pk_mul_f32 v[132:133], v[166:167], v[150:151] op_sel:[1,1] op_sel_hi:[0,1]
	s_delay_alu instid0(VALU_DEP_4)
	v_pk_fma_f32 v[140:141], v[164:165], v[148:149], v[130:131] op_sel_hi:[1,0,1]
	v_pk_fma_f32 v[130:131], v[164:165], v[148:149], v[130:131] neg_lo:[0,0,1] neg_hi:[0,0,1]
	v_pk_mul_f32 v[136:137], v[200:201], v[136:137] op_sel_hi:[1,0]
	v_pk_add_f32 v[126:127], v[134:135], v[126:127]
	v_pk_fma_f32 v[134:135], v[166:167], v[150:151], v[132:133] op_sel_hi:[1,0,1]
	v_mov_b32_e32 v131, v141
	v_pk_fma_f32 v[132:133], v[166:167], v[150:151], v[132:133] neg_lo:[0,0,1] neg_hi:[0,0,1]
	s_wait_loadcnt 0x2
	v_pk_mul_f32 v[138:139], v[170:171], v[154:155] op_sel:[1,1] op_sel_hi:[0,1]
	v_pk_add_f32 v[126:127], v[126:127], v[128:129]
	v_dual_mov_b32 v128, v157 :: v_dual_mov_b32 v133, v135
	v_pk_fma_f32 v[134:135], v[168:169], v[152:153], v[136:137] op_sel_hi:[1,0,1]
	v_pk_fma_f32 v[136:137], v[168:169], v[152:153], v[136:137] neg_lo:[0,0,1] neg_hi:[0,0,1]
	s_delay_alu instid0(VALU_DEP_4)
	v_pk_add_f32 v[126:127], v[126:127], v[130:131]
	v_pk_fma_f32 v[130:131], v[170:171], v[154:155], v[138:139] op_sel_hi:[1,0,1]
	v_pk_mul_f32 v[128:129], v[202:203], v[128:129] op_sel_hi:[1,0]
	v_mov_b32_e32 v137, v135
	s_wait_loadcnt_dscnt 0x100
	v_pk_mul_f32 v[134:135], v[194:195], v[190:191] op_sel:[1,1] op_sel_hi:[0,1]
	v_pk_add_f32 v[126:127], v[126:127], v[132:133]
	v_pk_fma_f32 v[132:133], v[170:171], v[154:155], v[138:139] neg_lo:[0,0,1] neg_hi:[0,0,1]
	v_mov_b32_e32 v133, v131
	v_pk_fma_f32 v[130:131], v[172:173], v[156:157], v[128:129] op_sel_hi:[1,0,1]
	v_pk_fma_f32 v[128:129], v[172:173], v[156:157], v[128:129] neg_lo:[0,0,1] neg_hi:[0,0,1]
	v_pk_add_f32 v[126:127], v[126:127], v[136:137]
	s_delay_alu instid0(VALU_DEP_3) | instskip(SKIP_1) | instid1(VALU_DEP_3)
	v_mov_b32_e32 v129, v131
	v_pk_fma_f32 v[130:131], v[194:195], v[190:191], v[134:135] op_sel_hi:[1,0,1]
	v_pk_add_f32 v[126:127], v[126:127], v[132:133]
	v_pk_fma_f32 v[132:133], v[194:195], v[190:191], v[134:135] neg_lo:[0,0,1] neg_hi:[0,0,1]
	s_delay_alu instid0(VALU_DEP_3) | instskip(NEXT) | instid1(VALU_DEP_3)
	v_mov_b32_e32 v133, v131
	v_pk_add_f32 v[126:127], v[126:127], v[128:129]
	s_delay_alu instid0(VALU_DEP_1) | instskip(SKIP_1) | instid1(VALU_DEP_1)
	v_pk_add_f32 v[126:127], v[126:127], v[132:133]
	s_wait_loadcnt 0x0
	v_pk_add_f32 v[126:127], v[192:193], v[126:127] neg_lo:[0,1] neg_hi:[0,1]
	scratch_store_b64 off, v[126:127], off offset:352
	s_wait_xcnt 0x0
	v_cmpx_lt_u32_e32 43, v0
	s_cbranch_execz .LBB61_299
; %bb.298:
	scratch_load_b64 v[126:127], off, off offset:344
	v_mov_b64_e32 v[128:129], 0
	scratch_store_b64 off, v[128:129], off offset:344
	s_wait_loadcnt 0x0
	ds_store_b64 v1, v[126:127]
.LBB61_299:
	s_wait_xcnt 0x0
	s_or_b32 exec_lo, exec_lo, s0
	s_wait_storecnt_dscnt 0x0
	s_barrier_signal -1
	s_barrier_wait -1
	s_clause 0x9
	scratch_load_b128 v[126:129], off, off offset:352
	scratch_load_b128 v[130:133], off, off offset:368
	;; [unrolled: 1-line block ×9, first 2 shown]
	scratch_load_b64 v[198:199], off, off offset:344
	ds_load_b128 v[162:165], v7 offset:928
	ds_load_b128 v[166:169], v7 offset:944
	;; [unrolled: 1-line block ×9, first 2 shown]
	s_mov_b32 s0, exec_lo
	s_wait_dscnt 0x8
	v_dual_mov_b32 v200, v165 :: v_dual_mov_b32 v201, v164
	s_wait_dscnt 0x7
	v_dual_mov_b32 v202, v169 :: v_dual_mov_b32 v203, v168
	;; [unrolled: 2-line block ×4, first 2 shown]
	s_wait_loadcnt_dscnt 0x904
	v_dual_mul_f32 v7, v178, v127 :: v_dual_mul_f32 v9, v180, v129
	v_dual_mul_f32 v23, v179, v127 :: v_dual_mul_f32 v25, v181, v129
	s_wait_loadcnt_dscnt 0x803
	v_dual_mul_f32 v11, v182, v131 :: v_dual_mul_f32 v13, v184, v133
	s_delay_alu instid0(VALU_DEP_3) | instskip(SKIP_3) | instid1(VALU_DEP_3)
	v_dual_fmac_f32 v7, v179, v126 :: v_dual_fmac_f32 v9, v181, v128
	s_wait_loadcnt_dscnt 0x601
	v_dual_fma_f32 v23, v178, v126, -v23 :: v_dual_mul_f32 v35, v191, v139
	v_dual_mul_f32 v27, v183, v131 :: v_dual_mul_f32 v29, v185, v133
	v_dual_fma_f32 v25, v180, v128, -v25 :: v_dual_add_f32 v7, 0, v7
	s_delay_alu instid0(VALU_DEP_3) | instskip(SKIP_1) | instid1(VALU_DEP_3)
	v_dual_add_f32 v23, 0, v23 :: v_dual_mul_f32 v37, v193, v141
	v_dual_fmac_f32 v11, v183, v130 :: v_dual_fmac_f32 v13, v185, v132
	v_dual_fma_f32 v27, v182, v130, -v27 :: v_dual_add_f32 v7, v7, v9
	s_delay_alu instid0(VALU_DEP_3) | instskip(SKIP_2) | instid1(VALU_DEP_4)
	v_dual_add_f32 v9, v23, v25 :: v_dual_fma_f32 v25, v184, v132, -v29
	v_dual_mul_f32 v15, v186, v135 :: v_dual_mul_f32 v17, v188, v137
	v_dual_mul_f32 v31, v187, v135 :: v_dual_mul_f32 v33, v189, v137
	v_add_f32_e32 v7, v7, v11
	s_delay_alu instid0(VALU_DEP_3) | instskip(NEXT) | instid1(VALU_DEP_3)
	v_dual_add_f32 v9, v9, v27 :: v_dual_fmac_f32 v15, v187, v134
	v_fma_f32 v27, v186, v134, -v31
	v_dual_mul_f32 v19, v190, v139 :: v_dual_mul_f32 v21, v192, v141
	s_delay_alu instid0(VALU_DEP_4) | instskip(NEXT) | instid1(VALU_DEP_4)
	v_dual_add_f32 v7, v7, v13 :: v_dual_fmac_f32 v17, v189, v136
	v_dual_add_f32 v9, v9, v25 :: v_dual_fma_f32 v13, v188, v136, -v33
	s_wait_loadcnt 0x4
	s_delay_alu instid0(VALU_DEP_2) | instskip(NEXT) | instid1(VALU_DEP_2)
	v_dual_mov_b32 v128, v149 :: v_dual_add_f32 v7, v7, v15
	v_dual_fmac_f32 v19, v191, v138 :: v_dual_add_f32 v9, v9, v27
	v_fma_f32 v15, v190, v138, -v35
	s_wait_dscnt 0x0
	v_dual_mul_f32 v209, v194, v143 :: v_dual_mul_f32 v211, v196, v145
	v_add_f32_e32 v7, v7, v17
	v_dual_add_f32 v9, v9, v13 :: v_dual_fma_f32 v13, v192, v140, -v37
	v_dual_mul_f32 v23, v195, v143 :: v_dual_mul_f32 v11, v197, v145
	s_delay_alu instid0(VALU_DEP_3) | instskip(NEXT) | instid1(VALU_DEP_3)
	v_dual_fmac_f32 v21, v193, v140 :: v_dual_add_f32 v7, v7, v19
	v_dual_add_f32 v9, v9, v15 :: v_dual_fmac_f32 v209, v195, v142
	v_pk_mul_f32 v[126:127], v[162:163], v[146:147] op_sel:[1,1] op_sel_hi:[0,1]
	s_wait_loadcnt 0x3
	v_dual_mov_b32 v132, v153 :: v_dual_fma_f32 v208, v194, v142, -v23
	v_dual_add_f32 v135, v7, v21 :: v_dual_fmac_f32 v211, v197, v144
	v_dual_add_f32 v134, v9, v13 :: v_dual_fma_f32 v210, v196, v144, -v11
	v_pk_fma_f32 v[136:137], v[162:163], v[146:147], v[126:127] op_sel_hi:[1,0,1]
	v_pk_mul_f32 v[128:129], v[200:201], v[128:129] op_sel_hi:[1,0]
	v_pk_fma_f32 v[126:127], v[162:163], v[146:147], v[126:127] neg_lo:[0,0,1] neg_hi:[0,0,1]
	s_delay_alu instid0(VALU_DEP_4)
	v_pk_add_f32 v[134:135], v[134:135], v[208:209]
	v_pk_mul_f32 v[130:131], v[166:167], v[150:151] op_sel:[1,1] op_sel_hi:[0,1]
	v_mov_b32_e32 v127, v137
	v_pk_fma_f32 v[136:137], v[164:165], v[148:149], v[128:129] op_sel_hi:[1,0,1]
	v_pk_fma_f32 v[128:129], v[164:165], v[148:149], v[128:129] neg_lo:[0,0,1] neg_hi:[0,0,1]
	v_pk_add_f32 v[134:135], v[134:135], v[210:211]
	v_pk_fma_f32 v[140:141], v[166:167], v[150:151], v[130:131] op_sel_hi:[1,0,1]
	v_pk_mul_f32 v[132:133], v[202:203], v[132:133] op_sel_hi:[1,0]
	v_mov_b32_e32 v129, v137
	s_wait_loadcnt 0x2
	v_pk_mul_f32 v[138:139], v[170:171], v[154:155] op_sel:[1,1] op_sel_hi:[0,1]
	v_pk_add_f32 v[126:127], v[134:135], v[126:127]
	v_mov_b32_e32 v134, v157
	v_pk_fma_f32 v[130:131], v[166:167], v[150:151], v[130:131] neg_lo:[0,0,1] neg_hi:[0,0,1]
	v_mov_b32_e32 v131, v141
	v_pk_fma_f32 v[136:137], v[168:169], v[152:153], v[132:133] op_sel_hi:[1,0,1]
	v_pk_add_f32 v[126:127], v[126:127], v[128:129]
	v_pk_fma_f32 v[128:129], v[170:171], v[154:155], v[138:139] op_sel_hi:[1,0,1]
	v_pk_mul_f32 v[134:135], v[204:205], v[134:135] op_sel_hi:[1,0]
	v_pk_fma_f32 v[132:133], v[168:169], v[152:153], v[132:133] neg_lo:[0,0,1] neg_hi:[0,0,1]
	v_mov_b32_e32 v133, v137
	v_pk_add_f32 v[126:127], v[126:127], v[130:131]
	v_pk_fma_f32 v[136:137], v[170:171], v[154:155], v[138:139] neg_lo:[0,0,1] neg_hi:[0,0,1]
	v_mov_b32_e32 v137, v129
	v_pk_fma_f32 v[128:129], v[172:173], v[156:157], v[134:135] op_sel_hi:[1,0,1]
	s_wait_loadcnt 0x1
	v_pk_mul_f32 v[130:131], v[174:175], v[158:159] op_sel:[1,1] op_sel_hi:[0,1]
	v_pk_add_f32 v[126:127], v[126:127], v[132:133]
	v_mov_b32_e32 v128, v161
	v_pk_fma_f32 v[134:135], v[172:173], v[156:157], v[134:135] neg_lo:[0,0,1] neg_hi:[0,0,1]
	v_mov_b32_e32 v135, v129
	v_pk_fma_f32 v[132:133], v[174:175], v[158:159], v[130:131] op_sel_hi:[1,0,1]
	v_pk_add_f32 v[126:127], v[126:127], v[136:137]
	v_pk_mul_f32 v[128:129], v[206:207], v[128:129] op_sel_hi:[1,0]
	v_pk_fma_f32 v[130:131], v[174:175], v[158:159], v[130:131] neg_lo:[0,0,1] neg_hi:[0,0,1]
	s_delay_alu instid0(VALU_DEP_4) | instskip(NEXT) | instid1(VALU_DEP_4)
	v_mov_b32_e32 v131, v133
	v_pk_add_f32 v[126:127], v[126:127], v[134:135]
	s_delay_alu instid0(VALU_DEP_4) | instskip(SKIP_1) | instid1(VALU_DEP_2)
	v_pk_fma_f32 v[132:133], v[176:177], v[160:161], v[128:129] op_sel_hi:[1,0,1]
	v_pk_fma_f32 v[128:129], v[176:177], v[160:161], v[128:129] neg_lo:[0,0,1] neg_hi:[0,0,1]
	v_mov_b32_e32 v129, v133
	s_delay_alu instid0(VALU_DEP_4) | instskip(NEXT) | instid1(VALU_DEP_1)
	v_pk_add_f32 v[126:127], v[126:127], v[130:131]
	v_pk_add_f32 v[126:127], v[126:127], v[128:129]
	s_wait_loadcnt 0x0
	s_delay_alu instid0(VALU_DEP_1)
	v_pk_add_f32 v[126:127], v[198:199], v[126:127] neg_lo:[0,1] neg_hi:[0,1]
	scratch_store_b64 off, v[126:127], off offset:344
	s_wait_xcnt 0x0
	v_cmpx_lt_u32_e32 42, v0
	s_cbranch_execz .LBB61_301
; %bb.300:
	scratch_load_b64 v[126:127], off, off offset:336
	v_mov_b64_e32 v[128:129], 0
	scratch_store_b64 off, v[128:129], off offset:336
	s_wait_loadcnt 0x0
	ds_store_b64 v1, v[126:127]
.LBB61_301:
	s_wait_xcnt 0x0
	s_or_b32 exec_lo, exec_lo, s0
	s_wait_storecnt_dscnt 0x0
	s_barrier_signal -1
	s_barrier_wait -1
	s_clause 0xa
	scratch_load_b128 v[126:129], off, off offset:344
	scratch_load_b128 v[130:133], off, off offset:360
	;; [unrolled: 1-line block ×9, first 2 shown]
	scratch_load_b64 v[198:199], off, off offset:488
	scratch_load_b64 v[200:201], off, off offset:336
	v_mov_b32_e32 v7, 0
	ds_load_2addr_b64 v[162:165], v7 offset0:115 offset1:116
	ds_load_2addr_b64 v[166:169], v7 offset0:117 offset1:118
	;; [unrolled: 1-line block ×9, first 2 shown]
	ds_load_b64 v[202:203], v7 offset:984
	s_mov_b32 s0, exec_lo
	s_wait_dscnt 0x9
	v_dual_mov_b32 v204, v165 :: v_dual_mov_b32 v205, v164
	s_wait_dscnt 0x6
	v_dual_mov_b32 v206, v169 :: v_dual_mov_b32 v211, v176
	v_dual_mov_b32 v207, v168 :: v_dual_mov_b32 v208, v173
	;; [unrolled: 1-line block ×3, first 2 shown]
	s_wait_loadcnt_dscnt 0xa05
	v_dual_mul_f32 v9, v178, v127 :: v_dual_mul_f32 v27, v179, v127
	v_dual_mul_f32 v29, v181, v129 :: v_dual_mul_f32 v11, v180, v129
	s_wait_loadcnt_dscnt 0x904
	v_mul_f32_e32 v13, v182, v131
	s_wait_loadcnt_dscnt 0x702
	v_dual_mul_f32 v39, v191, v139 :: v_dual_fma_f32 v27, v178, v126, -v27
	v_dual_fmac_f32 v9, v179, v126 :: v_dual_mul_f32 v41, v193, v141
	v_dual_mul_f32 v31, v183, v131 :: v_dual_mul_f32 v33, v185, v133
	v_dual_fmac_f32 v11, v181, v128 :: v_dual_fma_f32 v29, v180, v128, -v29
	s_delay_alu instid0(VALU_DEP_3) | instskip(SKIP_3) | instid1(VALU_DEP_3)
	v_dual_add_f32 v9, 0, v9 :: v_dual_add_f32 v27, 0, v27
	v_dual_mul_f32 v15, v184, v133 :: v_dual_mul_f32 v17, v186, v135
	s_wait_loadcnt_dscnt 0x601
	v_dual_mul_f32 v43, v195, v143 :: v_dual_fma_f32 v31, v182, v130, -v31
	v_dual_fmac_f32 v13, v183, v130 :: v_dual_add_f32 v9, v9, v11
	s_delay_alu instid0(VALU_DEP_3) | instskip(SKIP_2) | instid1(VALU_DEP_3)
	v_dual_add_f32 v11, v27, v29 :: v_dual_fmac_f32 v15, v185, v132
	v_dual_mul_f32 v35, v187, v135 :: v_dual_mul_f32 v37, v189, v137
	v_dual_mul_f32 v27, v197, v145 :: v_dual_fma_f32 v29, v184, v132, -v33
	v_dual_add_f32 v9, v9, v13 :: v_dual_add_f32 v11, v11, v31
	v_dual_mul_f32 v19, v188, v137 :: v_dual_mul_f32 v21, v190, v139
	s_wait_loadcnt 0x5
	v_dual_mul_f32 v13, v163, v147 :: v_dual_fma_f32 v31, v186, v134, -v35
	s_delay_alu instid0(VALU_DEP_3) | instskip(SKIP_2) | instid1(VALU_DEP_2)
	v_dual_fmac_f32 v17, v187, v134 :: v_dual_add_f32 v9, v9, v15
	v_dual_add_f32 v11, v11, v29 :: v_dual_mov_b32 v126, v149
	v_dual_fmac_f32 v19, v189, v136 :: v_dual_fma_f32 v15, v188, v136, -v37
	v_dual_add_f32 v9, v9, v17 :: v_dual_add_f32 v11, v11, v31
	v_dual_mul_f32 v23, v192, v141 :: v_dual_mul_f32 v25, v194, v143
	v_dual_fmac_f32 v21, v191, v138 :: v_dual_fma_f32 v17, v190, v138, -v39
	s_delay_alu instid0(VALU_DEP_3) | instskip(SKIP_3) | instid1(VALU_DEP_3)
	v_add_f32_e32 v9, v9, v19
	s_wait_loadcnt 0x4
	v_dual_add_f32 v11, v11, v15 :: v_dual_mov_b32 v130, v153
	v_dual_fmac_f32 v23, v193, v140 :: v_dual_fma_f32 v15, v192, v140, -v41
	v_dual_add_f32 v9, v9, v21 :: v_dual_fmac_f32 v25, v195, v142
	s_delay_alu instid0(VALU_DEP_3) | instskip(SKIP_1) | instid1(VALU_DEP_3)
	v_add_f32_e32 v11, v11, v17
	v_dual_mul_f32 v213, v196, v145 :: v_dual_mul_f32 v215, v162, v147
	v_dual_fma_f32 v17, v194, v142, -v43 :: v_dual_add_f32 v9, v9, v23
	s_delay_alu instid0(VALU_DEP_2) | instskip(SKIP_2) | instid1(VALU_DEP_4)
	v_dual_add_f32 v11, v11, v15 :: v_dual_fmac_f32 v213, v197, v144
	v_fma_f32 v212, v196, v144, -v27
	v_pk_mul_f32 v[126:127], v[204:205], v[126:127] op_sel_hi:[1,0]
	v_add_f32_e32 v135, v9, v25
	s_wait_loadcnt 0x3
	v_dual_add_f32 v134, v11, v17 :: v_dual_mov_b32 v136, v157
	v_pk_mul_f32 v[128:129], v[166:167], v[150:151] op_sel:[1,1] op_sel_hi:[0,1]
	v_dual_fmac_f32 v215, v163, v146 :: v_dual_fma_f32 v214, v162, v146, -v13
	v_pk_fma_f32 v[138:139], v[164:165], v[148:149], v[126:127] op_sel_hi:[1,0,1]
	s_delay_alu instid0(VALU_DEP_4)
	v_pk_add_f32 v[134:135], v[134:135], v[212:213]
	v_pk_fma_f32 v[126:127], v[164:165], v[148:149], v[126:127] neg_lo:[0,0,1] neg_hi:[0,0,1]
	v_pk_fma_f32 v[140:141], v[166:167], v[150:151], v[128:129] op_sel_hi:[1,0,1]
	v_pk_mul_f32 v[130:131], v[206:207], v[130:131] op_sel_hi:[1,0]
	v_mov_b32_e32 v127, v139
	v_pk_add_f32 v[134:135], v[134:135], v[214:215]
	v_pk_fma_f32 v[128:129], v[166:167], v[150:151], v[128:129] neg_lo:[0,0,1] neg_hi:[0,0,1]
	v_pk_mul_f32 v[132:133], v[170:171], v[154:155] op_sel:[1,1] op_sel_hi:[0,1]
	v_mov_b32_e32 v129, v141
	v_pk_fma_f32 v[140:141], v[168:169], v[152:153], v[130:131] op_sel_hi:[1,0,1]
	v_pk_add_f32 v[126:127], v[134:135], v[126:127]
	v_pk_fma_f32 v[130:131], v[168:169], v[152:153], v[130:131] neg_lo:[0,0,1] neg_hi:[0,0,1]
	v_pk_fma_f32 v[134:135], v[170:171], v[154:155], v[132:133] op_sel_hi:[1,0,1]
	v_pk_mul_f32 v[136:137], v[208:209], v[136:137] op_sel_hi:[1,0]
	v_mov_b32_e32 v131, v141
	v_pk_add_f32 v[126:127], v[126:127], v[128:129]
	v_pk_fma_f32 v[132:133], v[170:171], v[154:155], v[132:133] neg_lo:[0,0,1] neg_hi:[0,0,1]
	s_wait_loadcnt 0x2
	v_pk_mul_f32 v[138:139], v[174:175], v[158:159] op_sel:[1,1] op_sel_hi:[0,1]
	v_dual_mov_b32 v128, v161 :: v_dual_mov_b32 v133, v135
	v_pk_fma_f32 v[134:135], v[172:173], v[156:157], v[136:137] op_sel_hi:[1,0,1]
	v_pk_add_f32 v[126:127], v[126:127], v[130:131]
	v_pk_fma_f32 v[136:137], v[172:173], v[156:157], v[136:137] neg_lo:[0,0,1] neg_hi:[0,0,1]
	v_pk_fma_f32 v[130:131], v[174:175], v[158:159], v[138:139] op_sel_hi:[1,0,1]
	v_pk_mul_f32 v[128:129], v[210:211], v[128:129] op_sel_hi:[1,0]
	v_mov_b32_e32 v137, v135
	v_pk_add_f32 v[126:127], v[126:127], v[132:133]
	v_pk_fma_f32 v[132:133], v[174:175], v[158:159], v[138:139] neg_lo:[0,0,1] neg_hi:[0,0,1]
	v_mov_b32_e32 v133, v131
	v_pk_fma_f32 v[130:131], v[176:177], v[160:161], v[128:129] op_sel_hi:[1,0,1]
	s_wait_loadcnt_dscnt 0x100
	v_pk_mul_f32 v[134:135], v[202:203], v[198:199] op_sel:[1,1] op_sel_hi:[0,1]
	v_pk_add_f32 v[126:127], v[126:127], v[136:137]
	v_pk_fma_f32 v[128:129], v[176:177], v[160:161], v[128:129] neg_lo:[0,0,1] neg_hi:[0,0,1]
	v_mov_b32_e32 v129, v131
	s_delay_alu instid0(VALU_DEP_4) | instskip(NEXT) | instid1(VALU_DEP_4)
	v_pk_fma_f32 v[130:131], v[202:203], v[198:199], v[134:135] op_sel_hi:[1,0,1]
	v_pk_add_f32 v[126:127], v[126:127], v[132:133]
	v_pk_fma_f32 v[132:133], v[202:203], v[198:199], v[134:135] neg_lo:[0,0,1] neg_hi:[0,0,1]
	s_delay_alu instid0(VALU_DEP_3) | instskip(NEXT) | instid1(VALU_DEP_3)
	v_mov_b32_e32 v133, v131
	v_pk_add_f32 v[126:127], v[126:127], v[128:129]
	s_delay_alu instid0(VALU_DEP_1) | instskip(SKIP_1) | instid1(VALU_DEP_1)
	v_pk_add_f32 v[126:127], v[126:127], v[132:133]
	s_wait_loadcnt 0x0
	v_pk_add_f32 v[126:127], v[200:201], v[126:127] neg_lo:[0,1] neg_hi:[0,1]
	scratch_store_b64 off, v[126:127], off offset:336
	s_wait_xcnt 0x0
	v_cmpx_lt_u32_e32 41, v0
	s_cbranch_execz .LBB61_303
; %bb.302:
	scratch_load_b64 v[126:127], off, off offset:328
	v_mov_b64_e32 v[128:129], 0
	scratch_store_b64 off, v[128:129], off offset:328
	s_wait_loadcnt 0x0
	ds_store_b64 v1, v[126:127]
.LBB61_303:
	s_wait_xcnt 0x0
	s_or_b32 exec_lo, exec_lo, s0
	s_wait_storecnt_dscnt 0x0
	s_barrier_signal -1
	s_barrier_wait -1
	s_clause 0xa
	scratch_load_b128 v[126:129], off, off offset:336
	scratch_load_b128 v[130:133], off, off offset:352
	;; [unrolled: 1-line block ×10, first 2 shown]
	scratch_load_b64 v[206:207], off, off offset:328
	ds_load_b128 v[166:169], v7 offset:928
	ds_load_b128 v[170:173], v7 offset:944
	;; [unrolled: 1-line block ×10, first 2 shown]
	s_mov_b32 s0, exec_lo
	s_wait_dscnt 0x9
	v_dual_mov_b32 v208, v169 :: v_dual_mov_b32 v209, v168
	s_wait_dscnt 0x8
	v_dual_mov_b32 v210, v173 :: v_dual_mov_b32 v211, v172
	;; [unrolled: 2-line block ×4, first 2 shown]
	s_wait_loadcnt_dscnt 0xa05
	v_dual_mul_f32 v7, v182, v127 :: v_dual_mul_f32 v9, v184, v129
	v_dual_mul_f32 v27, v183, v127 :: v_dual_mul_f32 v29, v185, v129
	s_wait_loadcnt_dscnt 0x904
	v_dual_mul_f32 v11, v186, v131 :: v_dual_mul_f32 v13, v188, v133
	s_delay_alu instid0(VALU_DEP_3) | instskip(SKIP_3) | instid1(VALU_DEP_3)
	v_dual_fmac_f32 v7, v183, v126 :: v_dual_fmac_f32 v9, v185, v128
	s_wait_loadcnt_dscnt 0x702
	v_dual_fma_f32 v27, v182, v126, -v27 :: v_dual_mul_f32 v39, v195, v139
	v_dual_mul_f32 v31, v187, v131 :: v_dual_mul_f32 v33, v189, v133
	v_dual_fma_f32 v29, v184, v128, -v29 :: v_dual_add_f32 v7, 0, v7
	s_delay_alu instid0(VALU_DEP_3) | instskip(SKIP_1) | instid1(VALU_DEP_3)
	v_dual_add_f32 v27, 0, v27 :: v_dual_mul_f32 v41, v197, v141
	v_dual_fmac_f32 v11, v187, v130 :: v_dual_fmac_f32 v13, v189, v132
	v_dual_fma_f32 v31, v186, v130, -v31 :: v_dual_add_f32 v7, v7, v9
	s_delay_alu instid0(VALU_DEP_3) | instskip(SKIP_2) | instid1(VALU_DEP_4)
	v_dual_add_f32 v9, v27, v29 :: v_dual_fma_f32 v29, v188, v132, -v33
	v_dual_mul_f32 v15, v190, v135 :: v_dual_mul_f32 v17, v192, v137
	v_dual_mul_f32 v35, v191, v135 :: v_dual_mul_f32 v37, v193, v137
	v_add_f32_e32 v7, v7, v11
	s_delay_alu instid0(VALU_DEP_3) | instskip(NEXT) | instid1(VALU_DEP_3)
	v_dual_add_f32 v9, v9, v31 :: v_dual_fmac_f32 v15, v191, v134
	v_fma_f32 v31, v190, v134, -v35
	v_dual_mul_f32 v19, v194, v139 :: v_dual_mul_f32 v21, v196, v141
	s_delay_alu instid0(VALU_DEP_4) | instskip(SKIP_2) | instid1(VALU_DEP_2)
	v_dual_add_f32 v7, v7, v13 :: v_dual_fmac_f32 v17, v193, v136
	s_wait_loadcnt_dscnt 0x500
	v_dual_add_f32 v9, v9, v29 :: v_dual_mul_f32 v13, v203, v147
	v_dual_fma_f32 v29, v192, v136, -v37 :: v_dual_add_f32 v7, v7, v15
	v_mul_f32_e32 v15, v205, v149
	s_delay_alu instid0(VALU_DEP_3) | instskip(NEXT) | instid1(VALU_DEP_3)
	v_dual_add_f32 v9, v9, v31 :: v_dual_fmac_f32 v19, v195, v138
	v_dual_fma_f32 v31, v194, v138, -v39 :: v_dual_add_f32 v7, v7, v17
	v_fmac_f32_e32 v21, v197, v140
	s_delay_alu instid0(VALU_DEP_3) | instskip(SKIP_4) | instid1(VALU_DEP_3)
	v_dual_add_f32 v9, v9, v29 :: v_dual_fma_f32 v17, v196, v140, -v41
	v_dual_mul_f32 v23, v198, v143 :: v_dual_mul_f32 v25, v200, v145
	v_dual_mul_f32 v27, v199, v143 :: v_dual_mul_f32 v11, v201, v145
	s_wait_loadcnt 0x4
	v_dual_add_f32 v7, v7, v19 :: v_dual_mov_b32 v128, v153
	v_dual_add_f32 v9, v9, v31 :: v_dual_fmac_f32 v23, v199, v142
	s_delay_alu instid0(VALU_DEP_2) | instskip(SKIP_1) | instid1(VALU_DEP_3)
	v_dual_fma_f32 v19, v198, v142, -v27 :: v_dual_add_f32 v7, v7, v21
	v_dual_mul_f32 v217, v202, v147 :: v_dual_mul_f32 v219, v204, v149
	v_dual_add_f32 v9, v9, v17 :: v_dual_fma_f32 v11, v200, v144, -v11
	s_delay_alu instid0(VALU_DEP_3) | instskip(SKIP_1) | instid1(VALU_DEP_3)
	v_dual_fmac_f32 v25, v201, v144 :: v_dual_add_f32 v7, v7, v23
	v_pk_mul_f32 v[126:127], v[166:167], v[150:151] op_sel:[1,1] op_sel_hi:[0,1]
	v_dual_add_f32 v9, v9, v19 :: v_dual_fmac_f32 v217, v203, v146
	s_wait_loadcnt 0x3
	v_dual_mov_b32 v132, v157 :: v_dual_fma_f32 v216, v202, v146, -v13
	s_delay_alu instid0(VALU_DEP_2)
	v_dual_add_f32 v135, v7, v25 :: v_dual_add_f32 v134, v9, v11
	v_fmac_f32_e32 v219, v205, v148
	v_pk_fma_f32 v[136:137], v[166:167], v[150:151], v[126:127] op_sel_hi:[1,0,1]
	v_fma_f32 v218, v204, v148, -v15
	v_pk_mul_f32 v[128:129], v[208:209], v[128:129] op_sel_hi:[1,0]
	v_pk_add_f32 v[134:135], v[134:135], v[216:217]
	v_pk_fma_f32 v[126:127], v[166:167], v[150:151], v[126:127] neg_lo:[0,0,1] neg_hi:[0,0,1]
	v_pk_mul_f32 v[130:131], v[170:171], v[154:155] op_sel:[1,1] op_sel_hi:[0,1]
	v_mov_b32_e32 v127, v137
	v_pk_fma_f32 v[136:137], v[168:169], v[152:153], v[128:129] op_sel_hi:[1,0,1]
	v_pk_add_f32 v[134:135], v[134:135], v[218:219]
	v_pk_fma_f32 v[128:129], v[168:169], v[152:153], v[128:129] neg_lo:[0,0,1] neg_hi:[0,0,1]
	v_pk_fma_f32 v[140:141], v[170:171], v[154:155], v[130:131] op_sel_hi:[1,0,1]
	v_pk_mul_f32 v[132:133], v[210:211], v[132:133] op_sel_hi:[1,0]
	v_mov_b32_e32 v129, v137
	v_pk_add_f32 v[126:127], v[134:135], v[126:127]
	s_wait_loadcnt 0x2
	v_pk_mul_f32 v[138:139], v[174:175], v[158:159] op_sel:[1,1] op_sel_hi:[0,1]
	v_mov_b32_e32 v134, v161
	v_pk_fma_f32 v[130:131], v[170:171], v[154:155], v[130:131] neg_lo:[0,0,1] neg_hi:[0,0,1]
	v_pk_fma_f32 v[136:137], v[172:173], v[156:157], v[132:133] op_sel_hi:[1,0,1]
	v_mov_b32_e32 v131, v141
	v_pk_add_f32 v[126:127], v[126:127], v[128:129]
	v_pk_fma_f32 v[128:129], v[174:175], v[158:159], v[138:139] op_sel_hi:[1,0,1]
	v_pk_mul_f32 v[134:135], v[212:213], v[134:135] op_sel_hi:[1,0]
	v_pk_fma_f32 v[132:133], v[172:173], v[156:157], v[132:133] neg_lo:[0,0,1] neg_hi:[0,0,1]
	v_mov_b32_e32 v133, v137
	v_pk_add_f32 v[126:127], v[126:127], v[130:131]
	v_pk_fma_f32 v[136:137], v[174:175], v[158:159], v[138:139] neg_lo:[0,0,1] neg_hi:[0,0,1]
	v_mov_b32_e32 v137, v129
	v_pk_fma_f32 v[128:129], v[176:177], v[160:161], v[134:135] op_sel_hi:[1,0,1]
	s_wait_loadcnt 0x1
	v_pk_mul_f32 v[130:131], v[178:179], v[162:163] op_sel:[1,1] op_sel_hi:[0,1]
	v_pk_add_f32 v[126:127], v[126:127], v[132:133]
	v_mov_b32_e32 v128, v165
	v_pk_fma_f32 v[134:135], v[176:177], v[160:161], v[134:135] neg_lo:[0,0,1] neg_hi:[0,0,1]
	s_delay_alu instid0(VALU_DEP_4)
	v_pk_fma_f32 v[132:133], v[178:179], v[162:163], v[130:131] op_sel_hi:[1,0,1]
	v_mov_b32_e32 v135, v129
	v_pk_add_f32 v[126:127], v[126:127], v[136:137]
	v_pk_mul_f32 v[128:129], v[214:215], v[128:129] op_sel_hi:[1,0]
	v_pk_fma_f32 v[130:131], v[178:179], v[162:163], v[130:131] neg_lo:[0,0,1] neg_hi:[0,0,1]
	v_mov_b32_e32 v131, v133
	s_delay_alu instid0(VALU_DEP_4) | instskip(NEXT) | instid1(VALU_DEP_4)
	v_pk_add_f32 v[126:127], v[126:127], v[134:135]
	v_pk_fma_f32 v[132:133], v[180:181], v[164:165], v[128:129] op_sel_hi:[1,0,1]
	v_pk_fma_f32 v[128:129], v[180:181], v[164:165], v[128:129] neg_lo:[0,0,1] neg_hi:[0,0,1]
	s_delay_alu instid0(VALU_DEP_3) | instskip(NEXT) | instid1(VALU_DEP_3)
	v_pk_add_f32 v[126:127], v[126:127], v[130:131]
	v_mov_b32_e32 v129, v133
	s_delay_alu instid0(VALU_DEP_1) | instskip(SKIP_1) | instid1(VALU_DEP_1)
	v_pk_add_f32 v[126:127], v[126:127], v[128:129]
	s_wait_loadcnt 0x0
	v_pk_add_f32 v[126:127], v[206:207], v[126:127] neg_lo:[0,1] neg_hi:[0,1]
	scratch_store_b64 off, v[126:127], off offset:328
	s_wait_xcnt 0x0
	v_cmpx_lt_u32_e32 40, v0
	s_cbranch_execz .LBB61_305
; %bb.304:
	scratch_load_b64 v[126:127], off, off offset:320
	v_mov_b64_e32 v[128:129], 0
	scratch_store_b64 off, v[128:129], off offset:320
	s_wait_loadcnt 0x0
	ds_store_b64 v1, v[126:127]
.LBB61_305:
	s_wait_xcnt 0x0
	s_or_b32 exec_lo, exec_lo, s0
	s_wait_storecnt_dscnt 0x0
	s_barrier_signal -1
	s_barrier_wait -1
	s_clause 0xb
	scratch_load_b128 v[126:129], off, off offset:328
	scratch_load_b128 v[130:133], off, off offset:344
	scratch_load_b128 v[134:137], off, off offset:360
	scratch_load_b128 v[138:141], off, off offset:376
	scratch_load_b128 v[142:145], off, off offset:392
	scratch_load_b128 v[146:149], off, off offset:408
	scratch_load_b128 v[150:153], off, off offset:424
	scratch_load_b128 v[154:157], off, off offset:440
	scratch_load_b128 v[158:161], off, off offset:456
	scratch_load_b128 v[162:165], off, off offset:472
	scratch_load_b64 v[206:207], off, off offset:488
	scratch_load_b64 v[208:209], off, off offset:320
	v_mov_b32_e32 v7, 0
	ds_load_2addr_b64 v[166:169], v7 offset0:115 offset1:116
	ds_load_2addr_b64 v[170:173], v7 offset0:117 offset1:118
	;; [unrolled: 1-line block ×10, first 2 shown]
	ds_load_b64 v[210:211], v7 offset:984
	s_mov_b32 s0, exec_lo
	s_wait_dscnt 0xa
	v_dual_mov_b32 v212, v169 :: v_dual_mov_b32 v213, v168
	s_wait_dscnt 0x7
	v_dual_mov_b32 v214, v173 :: v_dual_mov_b32 v219, v180
	v_dual_mov_b32 v215, v172 :: v_dual_mov_b32 v216, v177
	;; [unrolled: 1-line block ×3, first 2 shown]
	s_wait_loadcnt_dscnt 0xb06
	v_dual_mul_f32 v9, v182, v127 :: v_dual_mul_f32 v31, v183, v127
	v_dual_mul_f32 v33, v185, v129 :: v_dual_mul_f32 v11, v184, v129
	s_wait_loadcnt_dscnt 0xa05
	v_mul_f32_e32 v13, v186, v131
	s_wait_loadcnt_dscnt 0x803
	v_dual_mul_f32 v43, v195, v139 :: v_dual_fma_f32 v31, v182, v126, -v31
	v_dual_fmac_f32 v9, v183, v126 :: v_dual_mul_f32 v45, v197, v141
	v_dual_mul_f32 v35, v187, v131 :: v_dual_mul_f32 v37, v189, v133
	v_dual_fmac_f32 v11, v185, v128 :: v_dual_fma_f32 v33, v184, v128, -v33
	s_delay_alu instid0(VALU_DEP_3) | instskip(SKIP_3) | instid1(VALU_DEP_3)
	v_dual_add_f32 v9, 0, v9 :: v_dual_add_f32 v31, 0, v31
	v_dual_mul_f32 v15, v188, v133 :: v_dual_mul_f32 v17, v190, v135
	s_wait_loadcnt_dscnt 0x702
	v_dual_mul_f32 v47, v199, v143 :: v_dual_fma_f32 v35, v186, v130, -v35
	v_dual_fmac_f32 v13, v187, v130 :: v_dual_add_f32 v9, v9, v11
	s_delay_alu instid0(VALU_DEP_3) | instskip(SKIP_2) | instid1(VALU_DEP_3)
	v_dual_add_f32 v11, v31, v33 :: v_dual_fmac_f32 v15, v189, v132
	v_dual_mul_f32 v39, v191, v135 :: v_dual_mul_f32 v41, v193, v137
	v_dual_mul_f32 v31, v201, v145 :: v_dual_fma_f32 v33, v188, v132, -v37
	v_dual_add_f32 v9, v9, v13 :: v_dual_add_f32 v11, v11, v35
	v_dual_mul_f32 v19, v192, v137 :: v_dual_mul_f32 v21, v194, v139
	s_wait_loadcnt_dscnt 0x601
	v_dual_mul_f32 v13, v203, v147 :: v_dual_fma_f32 v35, v190, v134, -v39
	s_delay_alu instid0(VALU_DEP_3) | instskip(NEXT) | instid1(VALU_DEP_3)
	v_dual_fmac_f32 v17, v191, v134 :: v_dual_add_f32 v9, v9, v15
	v_dual_add_f32 v11, v11, v33 :: v_dual_fmac_f32 v19, v193, v136
	v_dual_mul_f32 v15, v205, v149 :: v_dual_fma_f32 v33, v192, v136, -v41
	s_delay_alu instid0(VALU_DEP_2) | instskip(SKIP_3) | instid1(VALU_DEP_3)
	v_dual_add_f32 v9, v9, v17 :: v_dual_add_f32 v11, v11, v35
	v_dual_mul_f32 v23, v196, v141 :: v_dual_mul_f32 v25, v198, v143
	s_wait_loadcnt 0x5
	v_dual_mul_f32 v17, v167, v151 :: v_dual_fma_f32 v35, v194, v138, -v43
	v_dual_fmac_f32 v21, v195, v138 :: v_dual_add_f32 v9, v9, v19
	v_dual_add_f32 v11, v11, v33 :: v_dual_mov_b32 v126, v153
	v_dual_fmac_f32 v23, v197, v140 :: v_dual_fma_f32 v19, v196, v140, -v45
	s_delay_alu instid0(VALU_DEP_2) | instskip(SKIP_2) | instid1(VALU_DEP_3)
	v_dual_add_f32 v9, v9, v21 :: v_dual_add_f32 v11, v11, v35
	v_dual_mul_f32 v27, v200, v145 :: v_dual_mul_f32 v29, v202, v147
	v_dual_fmac_f32 v25, v199, v142 :: v_dual_fma_f32 v21, v198, v142, -v47
	v_add_f32_e32 v9, v9, v23
	s_wait_loadcnt 0x4
	v_dual_add_f32 v11, v11, v19 :: v_dual_mov_b32 v130, v157
	v_fmac_f32_e32 v27, v201, v144
	s_delay_alu instid0(VALU_DEP_3) | instskip(SKIP_1) | instid1(VALU_DEP_4)
	v_dual_fma_f32 v19, v200, v144, -v31 :: v_dual_add_f32 v9, v9, v25
	v_fmac_f32_e32 v29, v203, v146
	v_add_f32_e32 v11, v11, v21
	v_dual_mul_f32 v221, v204, v149 :: v_dual_mul_f32 v223, v166, v151
	s_delay_alu instid0(VALU_DEP_4) | instskip(NEXT) | instid1(VALU_DEP_2)
	v_dual_fma_f32 v13, v202, v146, -v13 :: v_dual_add_f32 v9, v9, v27
	v_dual_add_f32 v11, v11, v19 :: v_dual_fmac_f32 v221, v205, v148
	v_fma_f32 v220, v204, v148, -v15
	v_pk_mul_f32 v[126:127], v[212:213], v[126:127] op_sel_hi:[1,0]
	s_delay_alu instid0(VALU_DEP_4)
	v_add_f32_e32 v135, v9, v29
	s_wait_loadcnt 0x3
	v_dual_add_f32 v134, v11, v13 :: v_dual_mov_b32 v136, v161
	v_pk_mul_f32 v[128:129], v[170:171], v[154:155] op_sel:[1,1] op_sel_hi:[0,1]
	v_dual_fmac_f32 v223, v167, v150 :: v_dual_fma_f32 v222, v166, v150, -v17
	v_pk_fma_f32 v[138:139], v[168:169], v[152:153], v[126:127] op_sel_hi:[1,0,1]
	s_delay_alu instid0(VALU_DEP_4)
	v_pk_add_f32 v[134:135], v[134:135], v[220:221]
	v_pk_fma_f32 v[126:127], v[168:169], v[152:153], v[126:127] neg_lo:[0,0,1] neg_hi:[0,0,1]
	v_pk_fma_f32 v[140:141], v[170:171], v[154:155], v[128:129] op_sel_hi:[1,0,1]
	v_pk_mul_f32 v[130:131], v[214:215], v[130:131] op_sel_hi:[1,0]
	v_mov_b32_e32 v127, v139
	v_pk_add_f32 v[134:135], v[134:135], v[222:223]
	v_pk_fma_f32 v[128:129], v[170:171], v[154:155], v[128:129] neg_lo:[0,0,1] neg_hi:[0,0,1]
	v_pk_mul_f32 v[132:133], v[174:175], v[158:159] op_sel:[1,1] op_sel_hi:[0,1]
	v_mov_b32_e32 v129, v141
	v_pk_fma_f32 v[140:141], v[172:173], v[156:157], v[130:131] op_sel_hi:[1,0,1]
	v_pk_add_f32 v[126:127], v[134:135], v[126:127]
	v_pk_fma_f32 v[130:131], v[172:173], v[156:157], v[130:131] neg_lo:[0,0,1] neg_hi:[0,0,1]
	v_pk_fma_f32 v[134:135], v[174:175], v[158:159], v[132:133] op_sel_hi:[1,0,1]
	v_pk_mul_f32 v[136:137], v[216:217], v[136:137] op_sel_hi:[1,0]
	v_mov_b32_e32 v131, v141
	v_pk_add_f32 v[126:127], v[126:127], v[128:129]
	v_pk_fma_f32 v[132:133], v[174:175], v[158:159], v[132:133] neg_lo:[0,0,1] neg_hi:[0,0,1]
	s_wait_loadcnt 0x2
	v_pk_mul_f32 v[138:139], v[178:179], v[162:163] op_sel:[1,1] op_sel_hi:[0,1]
	v_dual_mov_b32 v128, v165 :: v_dual_mov_b32 v133, v135
	v_pk_fma_f32 v[134:135], v[176:177], v[160:161], v[136:137] op_sel_hi:[1,0,1]
	v_pk_add_f32 v[126:127], v[126:127], v[130:131]
	v_pk_fma_f32 v[136:137], v[176:177], v[160:161], v[136:137] neg_lo:[0,0,1] neg_hi:[0,0,1]
	v_pk_fma_f32 v[130:131], v[178:179], v[162:163], v[138:139] op_sel_hi:[1,0,1]
	v_pk_mul_f32 v[128:129], v[218:219], v[128:129] op_sel_hi:[1,0]
	v_mov_b32_e32 v137, v135
	v_pk_add_f32 v[126:127], v[126:127], v[132:133]
	v_pk_fma_f32 v[132:133], v[178:179], v[162:163], v[138:139] neg_lo:[0,0,1] neg_hi:[0,0,1]
	v_mov_b32_e32 v133, v131
	v_pk_fma_f32 v[130:131], v[180:181], v[164:165], v[128:129] op_sel_hi:[1,0,1]
	s_wait_loadcnt_dscnt 0x100
	v_pk_mul_f32 v[134:135], v[210:211], v[206:207] op_sel:[1,1] op_sel_hi:[0,1]
	v_pk_add_f32 v[126:127], v[126:127], v[136:137]
	v_pk_fma_f32 v[128:129], v[180:181], v[164:165], v[128:129] neg_lo:[0,0,1] neg_hi:[0,0,1]
	v_mov_b32_e32 v129, v131
	s_delay_alu instid0(VALU_DEP_4) | instskip(NEXT) | instid1(VALU_DEP_4)
	v_pk_fma_f32 v[130:131], v[210:211], v[206:207], v[134:135] op_sel_hi:[1,0,1]
	v_pk_add_f32 v[126:127], v[126:127], v[132:133]
	v_pk_fma_f32 v[132:133], v[210:211], v[206:207], v[134:135] neg_lo:[0,0,1] neg_hi:[0,0,1]
	s_delay_alu instid0(VALU_DEP_3) | instskip(NEXT) | instid1(VALU_DEP_3)
	v_mov_b32_e32 v133, v131
	v_pk_add_f32 v[126:127], v[126:127], v[128:129]
	s_delay_alu instid0(VALU_DEP_1) | instskip(SKIP_1) | instid1(VALU_DEP_1)
	v_pk_add_f32 v[126:127], v[126:127], v[132:133]
	s_wait_loadcnt 0x0
	v_pk_add_f32 v[126:127], v[208:209], v[126:127] neg_lo:[0,1] neg_hi:[0,1]
	scratch_store_b64 off, v[126:127], off offset:320
	s_wait_xcnt 0x0
	v_cmpx_lt_u32_e32 39, v0
	s_cbranch_execz .LBB61_307
; %bb.306:
	scratch_load_b64 v[126:127], off, off offset:312
	v_mov_b64_e32 v[128:129], 0
	scratch_store_b64 off, v[128:129], off offset:312
	s_wait_loadcnt 0x0
	ds_store_b64 v1, v[126:127]
.LBB61_307:
	s_wait_xcnt 0x0
	s_or_b32 exec_lo, exec_lo, s0
	s_wait_storecnt_dscnt 0x0
	s_barrier_signal -1
	s_barrier_wait -1
	s_clause 0xb
	scratch_load_b128 v[126:129], off, off offset:320
	scratch_load_b128 v[130:133], off, off offset:336
	;; [unrolled: 1-line block ×11, first 2 shown]
	scratch_load_b64 v[214:215], off, off offset:312
	ds_load_b128 v[170:173], v7 offset:928
	ds_load_b128 v[174:177], v7 offset:944
	ds_load_b128 v[178:181], v7 offset:960
	ds_load_b128 v[182:185], v7 offset:976
	ds_load_b128 v[186:189], v7 offset:816
	ds_load_b128 v[190:193], v7 offset:832
	ds_load_b128 v[194:197], v7 offset:848
	ds_load_b128 v[198:201], v7 offset:864
	ds_load_b128 v[202:205], v7 offset:880
	ds_load_b128 v[206:209], v7 offset:896
	ds_load_b128 v[210:213], v7 offset:912
	s_mov_b32 s0, exec_lo
	s_wait_dscnt 0xa
	v_dual_mov_b32 v216, v173 :: v_dual_mov_b32 v217, v172
	s_wait_dscnt 0x9
	v_dual_mov_b32 v218, v177 :: v_dual_mov_b32 v219, v176
	;; [unrolled: 2-line block ×4, first 2 shown]
	s_wait_loadcnt_dscnt 0xb06
	v_dual_mul_f32 v7, v186, v127 :: v_dual_mul_f32 v9, v188, v129
	v_dual_mul_f32 v31, v187, v127 :: v_dual_mul_f32 v33, v189, v129
	s_wait_loadcnt_dscnt 0xa05
	v_dual_mul_f32 v11, v190, v131 :: v_dual_mul_f32 v13, v192, v133
	s_delay_alu instid0(VALU_DEP_3) | instskip(SKIP_3) | instid1(VALU_DEP_3)
	v_dual_fmac_f32 v7, v187, v126 :: v_dual_fmac_f32 v9, v189, v128
	s_wait_loadcnt_dscnt 0x803
	v_dual_fma_f32 v31, v186, v126, -v31 :: v_dual_mul_f32 v43, v199, v139
	v_dual_mul_f32 v35, v191, v131 :: v_dual_mul_f32 v37, v193, v133
	v_dual_fma_f32 v33, v188, v128, -v33 :: v_dual_add_f32 v7, 0, v7
	s_delay_alu instid0(VALU_DEP_3) | instskip(SKIP_1) | instid1(VALU_DEP_3)
	v_dual_add_f32 v31, 0, v31 :: v_dual_mul_f32 v45, v201, v141
	v_dual_fmac_f32 v11, v191, v130 :: v_dual_fmac_f32 v13, v193, v132
	v_dual_fma_f32 v35, v190, v130, -v35 :: v_dual_add_f32 v7, v7, v9
	s_delay_alu instid0(VALU_DEP_3) | instskip(SKIP_2) | instid1(VALU_DEP_4)
	v_dual_add_f32 v9, v31, v33 :: v_dual_fma_f32 v33, v192, v132, -v37
	v_dual_mul_f32 v15, v194, v135 :: v_dual_mul_f32 v17, v196, v137
	v_dual_mul_f32 v39, v195, v135 :: v_dual_mul_f32 v41, v197, v137
	v_add_f32_e32 v7, v7, v11
	s_delay_alu instid0(VALU_DEP_3) | instskip(NEXT) | instid1(VALU_DEP_3)
	v_dual_add_f32 v9, v9, v35 :: v_dual_fmac_f32 v15, v195, v134
	v_fma_f32 v35, v194, v134, -v39
	v_dual_mul_f32 v19, v198, v139 :: v_dual_mul_f32 v21, v200, v141
	s_delay_alu instid0(VALU_DEP_4) | instskip(SKIP_2) | instid1(VALU_DEP_2)
	v_dual_add_f32 v7, v7, v13 :: v_dual_fmac_f32 v17, v197, v136
	s_wait_loadcnt_dscnt 0x601
	v_dual_add_f32 v9, v9, v33 :: v_dual_mul_f32 v13, v207, v147
	v_dual_fma_f32 v33, v196, v136, -v41 :: v_dual_add_f32 v7, v7, v15
	v_mul_f32_e32 v15, v209, v149
	s_delay_alu instid0(VALU_DEP_3) | instskip(NEXT) | instid1(VALU_DEP_3)
	v_dual_add_f32 v9, v9, v35 :: v_dual_fmac_f32 v19, v199, v138
	v_dual_fma_f32 v35, v198, v138, -v43 :: v_dual_add_f32 v7, v7, v17
	v_fmac_f32_e32 v21, v201, v140
	s_wait_loadcnt_dscnt 0x500
	s_delay_alu instid0(VALU_DEP_3) | instskip(SKIP_3) | instid1(VALU_DEP_3)
	v_dual_add_f32 v9, v9, v33 :: v_dual_mul_f32 v17, v211, v151
	v_dual_mul_f32 v23, v202, v143 :: v_dual_mul_f32 v25, v204, v145
	v_dual_mul_f32 v31, v203, v143 :: v_dual_mul_f32 v11, v205, v145
	v_dual_fma_f32 v33, v200, v140, -v45 :: v_dual_add_f32 v7, v7, v19
	v_dual_add_f32 v9, v9, v35 :: v_dual_fmac_f32 v23, v203, v142
	s_delay_alu instid0(VALU_DEP_3) | instskip(NEXT) | instid1(VALU_DEP_3)
	v_dual_mul_f32 v19, v213, v153 :: v_dual_fma_f32 v31, v202, v142, -v31
	v_dual_add_f32 v7, v7, v21 :: v_dual_fmac_f32 v25, v205, v144
	s_delay_alu instid0(VALU_DEP_3) | instskip(SKIP_2) | instid1(VALU_DEP_3)
	v_dual_add_f32 v9, v9, v33 :: v_dual_fma_f32 v11, v204, v144, -v11
	v_dual_mul_f32 v27, v206, v147 :: v_dual_mul_f32 v29, v208, v149
	s_wait_loadcnt 0x4
	v_dual_add_f32 v7, v7, v23 :: v_dual_mov_b32 v128, v157
	s_delay_alu instid0(VALU_DEP_2) | instskip(NEXT) | instid1(VALU_DEP_2)
	v_dual_add_f32 v9, v9, v31 :: v_dual_fmac_f32 v27, v207, v146
	v_dual_fma_f32 v13, v206, v146, -v13 :: v_dual_add_f32 v7, v7, v25
	v_dual_mul_f32 v225, v210, v151 :: v_dual_mul_f32 v227, v212, v153
	s_delay_alu instid0(VALU_DEP_3) | instskip(NEXT) | instid1(VALU_DEP_3)
	v_dual_add_f32 v9, v9, v11 :: v_dual_fma_f32 v11, v208, v148, -v15
	v_dual_fmac_f32 v29, v209, v148 :: v_dual_add_f32 v7, v7, v27
	v_pk_mul_f32 v[126:127], v[170:171], v[154:155] op_sel:[1,1] op_sel_hi:[0,1]
	s_delay_alu instid0(VALU_DEP_3) | instskip(SKIP_2) | instid1(VALU_DEP_2)
	v_dual_add_f32 v9, v9, v13 :: v_dual_fmac_f32 v225, v211, v150
	s_wait_loadcnt 0x3
	v_dual_mov_b32 v132, v161 :: v_dual_fma_f32 v224, v210, v150, -v17
	v_dual_add_f32 v135, v7, v29 :: v_dual_add_f32 v134, v9, v11
	v_fmac_f32_e32 v227, v213, v152
	v_pk_fma_f32 v[136:137], v[170:171], v[154:155], v[126:127] op_sel_hi:[1,0,1]
	v_fma_f32 v226, v212, v152, -v19
	v_pk_mul_f32 v[128:129], v[216:217], v[128:129] op_sel_hi:[1,0]
	v_pk_add_f32 v[134:135], v[134:135], v[224:225]
	v_pk_fma_f32 v[126:127], v[170:171], v[154:155], v[126:127] neg_lo:[0,0,1] neg_hi:[0,0,1]
	v_pk_mul_f32 v[130:131], v[174:175], v[158:159] op_sel:[1,1] op_sel_hi:[0,1]
	v_mov_b32_e32 v127, v137
	v_pk_fma_f32 v[136:137], v[172:173], v[156:157], v[128:129] op_sel_hi:[1,0,1]
	v_pk_add_f32 v[134:135], v[134:135], v[226:227]
	v_pk_fma_f32 v[128:129], v[172:173], v[156:157], v[128:129] neg_lo:[0,0,1] neg_hi:[0,0,1]
	v_pk_fma_f32 v[140:141], v[174:175], v[158:159], v[130:131] op_sel_hi:[1,0,1]
	v_pk_mul_f32 v[132:133], v[218:219], v[132:133] op_sel_hi:[1,0]
	v_mov_b32_e32 v129, v137
	v_pk_add_f32 v[126:127], v[134:135], v[126:127]
	s_wait_loadcnt 0x2
	v_pk_mul_f32 v[138:139], v[178:179], v[162:163] op_sel:[1,1] op_sel_hi:[0,1]
	v_mov_b32_e32 v134, v165
	v_pk_fma_f32 v[130:131], v[174:175], v[158:159], v[130:131] neg_lo:[0,0,1] neg_hi:[0,0,1]
	v_pk_fma_f32 v[136:137], v[176:177], v[160:161], v[132:133] op_sel_hi:[1,0,1]
	v_mov_b32_e32 v131, v141
	v_pk_add_f32 v[126:127], v[126:127], v[128:129]
	v_pk_fma_f32 v[128:129], v[178:179], v[162:163], v[138:139] op_sel_hi:[1,0,1]
	v_pk_mul_f32 v[134:135], v[220:221], v[134:135] op_sel_hi:[1,0]
	v_pk_fma_f32 v[132:133], v[176:177], v[160:161], v[132:133] neg_lo:[0,0,1] neg_hi:[0,0,1]
	v_mov_b32_e32 v133, v137
	v_pk_add_f32 v[126:127], v[126:127], v[130:131]
	v_pk_fma_f32 v[136:137], v[178:179], v[162:163], v[138:139] neg_lo:[0,0,1] neg_hi:[0,0,1]
	v_mov_b32_e32 v137, v129
	v_pk_fma_f32 v[128:129], v[180:181], v[164:165], v[134:135] op_sel_hi:[1,0,1]
	s_wait_loadcnt 0x1
	v_pk_mul_f32 v[130:131], v[182:183], v[166:167] op_sel:[1,1] op_sel_hi:[0,1]
	v_pk_add_f32 v[126:127], v[126:127], v[132:133]
	v_mov_b32_e32 v128, v169
	v_pk_fma_f32 v[134:135], v[180:181], v[164:165], v[134:135] neg_lo:[0,0,1] neg_hi:[0,0,1]
	s_delay_alu instid0(VALU_DEP_4)
	v_pk_fma_f32 v[132:133], v[182:183], v[166:167], v[130:131] op_sel_hi:[1,0,1]
	v_mov_b32_e32 v135, v129
	v_pk_add_f32 v[126:127], v[126:127], v[136:137]
	v_pk_mul_f32 v[128:129], v[222:223], v[128:129] op_sel_hi:[1,0]
	v_pk_fma_f32 v[130:131], v[182:183], v[166:167], v[130:131] neg_lo:[0,0,1] neg_hi:[0,0,1]
	v_mov_b32_e32 v131, v133
	s_delay_alu instid0(VALU_DEP_4) | instskip(NEXT) | instid1(VALU_DEP_4)
	v_pk_add_f32 v[126:127], v[126:127], v[134:135]
	v_pk_fma_f32 v[132:133], v[184:185], v[168:169], v[128:129] op_sel_hi:[1,0,1]
	v_pk_fma_f32 v[128:129], v[184:185], v[168:169], v[128:129] neg_lo:[0,0,1] neg_hi:[0,0,1]
	s_delay_alu instid0(VALU_DEP_3) | instskip(NEXT) | instid1(VALU_DEP_3)
	v_pk_add_f32 v[126:127], v[126:127], v[130:131]
	v_mov_b32_e32 v129, v133
	s_delay_alu instid0(VALU_DEP_1) | instskip(SKIP_1) | instid1(VALU_DEP_1)
	v_pk_add_f32 v[126:127], v[126:127], v[128:129]
	s_wait_loadcnt 0x0
	v_pk_add_f32 v[126:127], v[214:215], v[126:127] neg_lo:[0,1] neg_hi:[0,1]
	scratch_store_b64 off, v[126:127], off offset:312
	s_wait_xcnt 0x0
	v_cmpx_lt_u32_e32 38, v0
	s_cbranch_execz .LBB61_309
; %bb.308:
	scratch_load_b64 v[126:127], off, off offset:304
	v_mov_b64_e32 v[128:129], 0
	scratch_store_b64 off, v[128:129], off offset:304
	s_wait_loadcnt 0x0
	ds_store_b64 v1, v[126:127]
.LBB61_309:
	s_wait_xcnt 0x0
	s_or_b32 exec_lo, exec_lo, s0
	s_wait_storecnt_dscnt 0x0
	s_barrier_signal -1
	s_barrier_wait -1
	s_clause 0xc
	scratch_load_b128 v[126:129], off, off offset:312
	scratch_load_b128 v[130:133], off, off offset:328
	scratch_load_b128 v[134:137], off, off offset:344
	scratch_load_b128 v[138:141], off, off offset:360
	scratch_load_b128 v[142:145], off, off offset:376
	scratch_load_b128 v[146:149], off, off offset:392
	scratch_load_b128 v[150:153], off, off offset:408
	scratch_load_b128 v[154:157], off, off offset:424
	scratch_load_b128 v[158:161], off, off offset:440
	scratch_load_b128 v[162:165], off, off offset:456
	scratch_load_b128 v[166:169], off, off offset:472
	scratch_load_b64 v[214:215], off, off offset:488
	scratch_load_b64 v[216:217], off, off offset:304
	v_mov_b32_e32 v7, 0
	ds_load_2addr_b64 v[170:173], v7 offset0:115 offset1:116
	ds_load_2addr_b64 v[174:177], v7 offset0:117 offset1:118
	ds_load_2addr_b64 v[178:181], v7 offset0:119 offset1:120
	ds_load_2addr_b64 v[182:185], v7 offset0:121 offset1:122
	ds_load_2addr_b64 v[186:189], v7 offset0:101 offset1:102
	ds_load_2addr_b64 v[190:193], v7 offset0:103 offset1:104
	ds_load_2addr_b64 v[194:197], v7 offset0:105 offset1:106
	ds_load_2addr_b64 v[198:201], v7 offset0:107 offset1:108
	ds_load_2addr_b64 v[202:205], v7 offset0:109 offset1:110
	ds_load_2addr_b64 v[206:209], v7 offset0:113 offset1:114
	ds_load_2addr_b64 v[210:213], v7 offset0:111 offset1:112
	ds_load_b64 v[218:219], v7 offset:984
	s_mov_b32 s0, exec_lo
	s_wait_dscnt 0xb
	v_dual_mov_b32 v220, v173 :: v_dual_mov_b32 v221, v172
	s_wait_dscnt 0x8
	v_dual_mov_b32 v222, v177 :: v_dual_mov_b32 v227, v184
	v_dual_mov_b32 v223, v176 :: v_dual_mov_b32 v224, v181
	;; [unrolled: 1-line block ×3, first 2 shown]
	s_wait_loadcnt_dscnt 0xc07
	v_dual_mul_f32 v9, v186, v127 :: v_dual_mul_f32 v35, v187, v127
	v_dual_mul_f32 v37, v189, v129 :: v_dual_mul_f32 v11, v188, v129
	s_wait_loadcnt_dscnt 0xb06
	v_mul_f32_e32 v13, v190, v131
	s_wait_loadcnt_dscnt 0x904
	v_dual_mul_f32 v47, v199, v139 :: v_dual_fma_f32 v35, v186, v126, -v35
	v_dual_fmac_f32 v9, v187, v126 :: v_dual_mul_f32 v49, v201, v141
	v_dual_mul_f32 v39, v191, v131 :: v_dual_mul_f32 v41, v193, v133
	v_dual_fmac_f32 v11, v189, v128 :: v_dual_fma_f32 v37, v188, v128, -v37
	s_delay_alu instid0(VALU_DEP_3) | instskip(SKIP_3) | instid1(VALU_DEP_3)
	v_dual_add_f32 v9, 0, v9 :: v_dual_add_f32 v35, 0, v35
	v_dual_mul_f32 v15, v192, v133 :: v_dual_mul_f32 v17, v194, v135
	s_wait_loadcnt_dscnt 0x803
	v_dual_mul_f32 v51, v203, v143 :: v_dual_fma_f32 v39, v190, v130, -v39
	v_dual_fmac_f32 v13, v191, v130 :: v_dual_add_f32 v9, v9, v11
	s_delay_alu instid0(VALU_DEP_3) | instskip(SKIP_2) | instid1(VALU_DEP_3)
	v_dual_add_f32 v11, v35, v37 :: v_dual_fmac_f32 v15, v193, v132
	v_dual_mul_f32 v43, v195, v135 :: v_dual_mul_f32 v45, v197, v137
	v_dual_mul_f32 v35, v205, v145 :: v_dual_fma_f32 v37, v192, v132, -v41
	v_dual_add_f32 v9, v9, v13 :: v_dual_add_f32 v11, v11, v39
	v_dual_mul_f32 v19, v196, v137 :: v_dual_mul_f32 v21, v198, v139
	s_wait_loadcnt_dscnt 0x701
	v_dual_mul_f32 v13, v211, v147 :: v_dual_fma_f32 v39, v194, v134, -v43
	s_delay_alu instid0(VALU_DEP_3) | instskip(NEXT) | instid1(VALU_DEP_3)
	v_dual_fmac_f32 v17, v195, v134 :: v_dual_add_f32 v9, v9, v15
	v_dual_add_f32 v11, v11, v37 :: v_dual_fmac_f32 v19, v197, v136
	v_dual_mul_f32 v15, v213, v149 :: v_dual_fma_f32 v37, v196, v136, -v45
	s_delay_alu instid0(VALU_DEP_2) | instskip(SKIP_3) | instid1(VALU_DEP_3)
	v_dual_add_f32 v9, v9, v17 :: v_dual_add_f32 v11, v11, v39
	v_dual_mul_f32 v23, v200, v141 :: v_dual_mul_f32 v25, v202, v143
	s_wait_loadcnt 0x6
	v_dual_mul_f32 v17, v207, v151 :: v_dual_fma_f32 v39, v198, v138, -v47
	v_dual_fmac_f32 v21, v199, v138 :: v_dual_add_f32 v9, v9, v19
	s_delay_alu instid0(VALU_DEP_3) | instskip(SKIP_1) | instid1(VALU_DEP_2)
	v_dual_add_f32 v11, v11, v37 :: v_dual_fmac_f32 v23, v201, v140
	v_dual_mul_f32 v19, v209, v153 :: v_dual_fma_f32 v37, v200, v140, -v49
	v_dual_add_f32 v9, v9, v21 :: v_dual_add_f32 v11, v11, v39
	v_dual_mul_f32 v27, v204, v145 :: v_dual_mul_f32 v29, v210, v147
	s_wait_loadcnt 0x5
	v_dual_mul_f32 v21, v171, v155 :: v_dual_fma_f32 v39, v202, v142, -v51
	s_delay_alu instid0(VALU_DEP_3) | instskip(SKIP_2) | instid1(VALU_DEP_3)
	v_dual_fmac_f32 v25, v203, v142 :: v_dual_add_f32 v9, v9, v23
	v_dual_add_f32 v11, v11, v37 :: v_dual_mov_b32 v126, v157
	v_fmac_f32_e32 v27, v205, v144
	v_dual_fma_f32 v23, v204, v144, -v35 :: v_dual_add_f32 v9, v9, v25
	s_delay_alu instid0(VALU_DEP_3) | instskip(SKIP_1) | instid1(VALU_DEP_3)
	v_dual_add_f32 v11, v11, v39 :: v_dual_mul_f32 v31, v212, v149
	v_dual_mul_f32 v33, v206, v151 :: v_dual_fmac_f32 v29, v211, v146
	v_dual_add_f32 v9, v9, v27 :: v_dual_fma_f32 v13, v210, v146, -v13
	s_wait_loadcnt 0x4
	s_delay_alu instid0(VALU_DEP_3) | instskip(SKIP_3) | instid1(VALU_DEP_4)
	v_dual_add_f32 v11, v11, v23 :: v_dual_mov_b32 v130, v161
	v_fma_f32 v15, v212, v148, -v15
	v_fmac_f32_e32 v31, v213, v148
	v_dual_add_f32 v9, v9, v29 :: v_dual_fmac_f32 v33, v207, v150
	v_add_f32_e32 v11, v11, v13
	v_dual_mul_f32 v229, v208, v153 :: v_dual_mul_f32 v231, v170, v155
	s_delay_alu instid0(VALU_DEP_3) | instskip(NEXT) | instid1(VALU_DEP_2)
	v_dual_fma_f32 v13, v206, v150, -v17 :: v_dual_add_f32 v9, v9, v31
	v_dual_add_f32 v11, v11, v15 :: v_dual_fmac_f32 v229, v209, v152
	v_fma_f32 v228, v208, v152, -v19
	v_pk_mul_f32 v[126:127], v[220:221], v[126:127] op_sel_hi:[1,0]
	s_delay_alu instid0(VALU_DEP_4)
	v_add_f32_e32 v135, v9, v33
	s_wait_loadcnt 0x3
	v_dual_add_f32 v134, v11, v13 :: v_dual_mov_b32 v136, v165
	v_pk_mul_f32 v[128:129], v[174:175], v[158:159] op_sel:[1,1] op_sel_hi:[0,1]
	v_dual_fmac_f32 v231, v171, v154 :: v_dual_fma_f32 v230, v170, v154, -v21
	v_pk_fma_f32 v[138:139], v[172:173], v[156:157], v[126:127] op_sel_hi:[1,0,1]
	s_delay_alu instid0(VALU_DEP_4)
	v_pk_add_f32 v[134:135], v[134:135], v[228:229]
	v_pk_fma_f32 v[126:127], v[172:173], v[156:157], v[126:127] neg_lo:[0,0,1] neg_hi:[0,0,1]
	v_pk_fma_f32 v[140:141], v[174:175], v[158:159], v[128:129] op_sel_hi:[1,0,1]
	v_pk_mul_f32 v[130:131], v[222:223], v[130:131] op_sel_hi:[1,0]
	v_mov_b32_e32 v127, v139
	v_pk_add_f32 v[134:135], v[134:135], v[230:231]
	v_pk_fma_f32 v[128:129], v[174:175], v[158:159], v[128:129] neg_lo:[0,0,1] neg_hi:[0,0,1]
	v_pk_mul_f32 v[132:133], v[178:179], v[162:163] op_sel:[1,1] op_sel_hi:[0,1]
	v_mov_b32_e32 v129, v141
	v_pk_fma_f32 v[140:141], v[176:177], v[160:161], v[130:131] op_sel_hi:[1,0,1]
	v_pk_add_f32 v[126:127], v[134:135], v[126:127]
	v_pk_fma_f32 v[130:131], v[176:177], v[160:161], v[130:131] neg_lo:[0,0,1] neg_hi:[0,0,1]
	v_pk_fma_f32 v[134:135], v[178:179], v[162:163], v[132:133] op_sel_hi:[1,0,1]
	v_pk_mul_f32 v[136:137], v[224:225], v[136:137] op_sel_hi:[1,0]
	v_mov_b32_e32 v131, v141
	v_pk_add_f32 v[126:127], v[126:127], v[128:129]
	v_pk_fma_f32 v[132:133], v[178:179], v[162:163], v[132:133] neg_lo:[0,0,1] neg_hi:[0,0,1]
	s_wait_loadcnt 0x2
	v_pk_mul_f32 v[138:139], v[182:183], v[166:167] op_sel:[1,1] op_sel_hi:[0,1]
	v_dual_mov_b32 v128, v169 :: v_dual_mov_b32 v133, v135
	v_pk_fma_f32 v[134:135], v[180:181], v[164:165], v[136:137] op_sel_hi:[1,0,1]
	v_pk_add_f32 v[126:127], v[126:127], v[130:131]
	v_pk_fma_f32 v[136:137], v[180:181], v[164:165], v[136:137] neg_lo:[0,0,1] neg_hi:[0,0,1]
	v_pk_fma_f32 v[130:131], v[182:183], v[166:167], v[138:139] op_sel_hi:[1,0,1]
	v_pk_mul_f32 v[128:129], v[226:227], v[128:129] op_sel_hi:[1,0]
	v_mov_b32_e32 v137, v135
	v_pk_add_f32 v[126:127], v[126:127], v[132:133]
	v_pk_fma_f32 v[132:133], v[182:183], v[166:167], v[138:139] neg_lo:[0,0,1] neg_hi:[0,0,1]
	v_mov_b32_e32 v133, v131
	v_pk_fma_f32 v[130:131], v[184:185], v[168:169], v[128:129] op_sel_hi:[1,0,1]
	s_wait_loadcnt_dscnt 0x100
	v_pk_mul_f32 v[134:135], v[218:219], v[214:215] op_sel:[1,1] op_sel_hi:[0,1]
	v_pk_add_f32 v[126:127], v[126:127], v[136:137]
	v_pk_fma_f32 v[128:129], v[184:185], v[168:169], v[128:129] neg_lo:[0,0,1] neg_hi:[0,0,1]
	v_mov_b32_e32 v129, v131
	s_delay_alu instid0(VALU_DEP_4) | instskip(NEXT) | instid1(VALU_DEP_4)
	v_pk_fma_f32 v[130:131], v[218:219], v[214:215], v[134:135] op_sel_hi:[1,0,1]
	v_pk_add_f32 v[126:127], v[126:127], v[132:133]
	v_pk_fma_f32 v[132:133], v[218:219], v[214:215], v[134:135] neg_lo:[0,0,1] neg_hi:[0,0,1]
	s_delay_alu instid0(VALU_DEP_3) | instskip(NEXT) | instid1(VALU_DEP_3)
	v_mov_b32_e32 v133, v131
	v_pk_add_f32 v[126:127], v[126:127], v[128:129]
	s_delay_alu instid0(VALU_DEP_1) | instskip(SKIP_1) | instid1(VALU_DEP_1)
	v_pk_add_f32 v[126:127], v[126:127], v[132:133]
	s_wait_loadcnt 0x0
	v_pk_add_f32 v[126:127], v[216:217], v[126:127] neg_lo:[0,1] neg_hi:[0,1]
	scratch_store_b64 off, v[126:127], off offset:304
	s_wait_xcnt 0x0
	v_cmpx_lt_u32_e32 37, v0
	s_cbranch_execz .LBB61_311
; %bb.310:
	scratch_load_b64 v[126:127], off, off offset:296
	v_mov_b64_e32 v[128:129], 0
	scratch_store_b64 off, v[128:129], off offset:296
	s_wait_loadcnt 0x0
	ds_store_b64 v1, v[126:127]
.LBB61_311:
	s_wait_xcnt 0x0
	s_or_b32 exec_lo, exec_lo, s0
	s_wait_storecnt_dscnt 0x0
	s_barrier_signal -1
	s_barrier_wait -1
	s_clause 0xc
	scratch_load_b128 v[126:129], off, off offset:304
	scratch_load_b128 v[130:133], off, off offset:320
	;; [unrolled: 1-line block ×12, first 2 shown]
	scratch_load_b64 v[222:223], off, off offset:296
	ds_load_b128 v[174:177], v7 offset:928
	ds_load_b128 v[178:181], v7 offset:944
	;; [unrolled: 1-line block ×12, first 2 shown]
	s_mov_b32 s0, exec_lo
	s_wait_dscnt 0xb
	v_dual_mov_b32 v224, v177 :: v_dual_mov_b32 v225, v176
	s_wait_dscnt 0xa
	v_dual_mov_b32 v226, v181 :: v_dual_mov_b32 v227, v180
	s_wait_dscnt 0x9
	v_dual_mov_b32 v228, v185 :: v_dual_mov_b32 v229, v184
	s_wait_dscnt 0x8
	v_dual_mov_b32 v230, v189 :: v_dual_mov_b32 v231, v188
	s_wait_loadcnt_dscnt 0xc07
	v_dual_mul_f32 v7, v190, v127 :: v_dual_mul_f32 v9, v192, v129
	v_dual_mul_f32 v35, v191, v127 :: v_dual_mul_f32 v37, v193, v129
	s_wait_loadcnt_dscnt 0xb06
	v_dual_mul_f32 v11, v194, v131 :: v_dual_mul_f32 v13, v196, v133
	s_delay_alu instid0(VALU_DEP_3) | instskip(SKIP_3) | instid1(VALU_DEP_3)
	v_dual_fmac_f32 v7, v191, v126 :: v_dual_fmac_f32 v9, v193, v128
	s_wait_loadcnt_dscnt 0x904
	v_dual_fma_f32 v35, v190, v126, -v35 :: v_dual_mul_f32 v47, v203, v139
	v_dual_mul_f32 v39, v195, v131 :: v_dual_mul_f32 v41, v197, v133
	v_dual_fma_f32 v37, v192, v128, -v37 :: v_dual_add_f32 v7, 0, v7
	s_delay_alu instid0(VALU_DEP_3) | instskip(SKIP_1) | instid1(VALU_DEP_3)
	v_dual_add_f32 v35, 0, v35 :: v_dual_mul_f32 v49, v205, v141
	v_dual_fmac_f32 v11, v195, v130 :: v_dual_fmac_f32 v13, v197, v132
	v_dual_fma_f32 v39, v194, v130, -v39 :: v_dual_add_f32 v7, v7, v9
	s_delay_alu instid0(VALU_DEP_3) | instskip(SKIP_2) | instid1(VALU_DEP_4)
	v_dual_add_f32 v9, v35, v37 :: v_dual_fma_f32 v37, v196, v132, -v41
	v_dual_mul_f32 v15, v198, v135 :: v_dual_mul_f32 v17, v200, v137
	v_dual_mul_f32 v43, v199, v135 :: v_dual_mul_f32 v45, v201, v137
	v_add_f32_e32 v7, v7, v11
	s_delay_alu instid0(VALU_DEP_3) | instskip(NEXT) | instid1(VALU_DEP_3)
	v_dual_add_f32 v9, v9, v39 :: v_dual_fmac_f32 v15, v199, v134
	v_fma_f32 v39, v198, v134, -v43
	v_dual_mul_f32 v19, v202, v139 :: v_dual_mul_f32 v21, v204, v141
	s_delay_alu instid0(VALU_DEP_4) | instskip(SKIP_2) | instid1(VALU_DEP_2)
	v_dual_add_f32 v7, v7, v13 :: v_dual_fmac_f32 v17, v201, v136
	s_wait_loadcnt_dscnt 0x702
	v_dual_add_f32 v9, v9, v37 :: v_dual_mul_f32 v13, v211, v147
	v_dual_fma_f32 v37, v200, v136, -v45 :: v_dual_add_f32 v7, v7, v15
	v_mul_f32_e32 v15, v213, v149
	s_delay_alu instid0(VALU_DEP_3) | instskip(NEXT) | instid1(VALU_DEP_3)
	v_dual_add_f32 v9, v9, v39 :: v_dual_fmac_f32 v19, v203, v138
	v_dual_fma_f32 v39, v202, v138, -v47 :: v_dual_add_f32 v7, v7, v17
	v_fmac_f32_e32 v21, v205, v140
	s_wait_loadcnt_dscnt 0x601
	s_delay_alu instid0(VALU_DEP_3) | instskip(SKIP_3) | instid1(VALU_DEP_3)
	v_dual_add_f32 v9, v9, v37 :: v_dual_mul_f32 v17, v215, v151
	v_dual_mul_f32 v23, v206, v143 :: v_dual_mul_f32 v25, v208, v145
	v_dual_mul_f32 v35, v207, v143 :: v_dual_mul_f32 v11, v209, v145
	v_dual_fma_f32 v37, v204, v140, -v49 :: v_dual_add_f32 v7, v7, v19
	v_dual_add_f32 v9, v9, v39 :: v_dual_fmac_f32 v23, v207, v142
	s_delay_alu instid0(VALU_DEP_3) | instskip(NEXT) | instid1(VALU_DEP_3)
	v_dual_mul_f32 v19, v217, v153 :: v_dual_fma_f32 v35, v206, v142, -v35
	v_dual_add_f32 v7, v7, v21 :: v_dual_fmac_f32 v25, v209, v144
	s_wait_loadcnt_dscnt 0x500
	s_delay_alu instid0(VALU_DEP_3) | instskip(SKIP_1) | instid1(VALU_DEP_3)
	v_dual_add_f32 v9, v9, v37 :: v_dual_mul_f32 v21, v219, v155
	v_dual_mul_f32 v27, v210, v147 :: v_dual_mul_f32 v29, v212, v149
	v_dual_fma_f32 v11, v208, v144, -v11 :: v_dual_add_f32 v7, v7, v23
	s_delay_alu instid0(VALU_DEP_2) | instskip(SKIP_1) | instid1(VALU_DEP_2)
	v_dual_add_f32 v9, v9, v35 :: v_dual_fmac_f32 v27, v211, v146
	v_dual_mul_f32 v23, v221, v157 :: v_dual_fma_f32 v13, v210, v146, -v13
	v_dual_add_f32 v7, v7, v25 :: v_dual_add_f32 v9, v9, v11
	v_dual_mul_f32 v31, v214, v151 :: v_dual_mul_f32 v33, v216, v153
	v_dual_fmac_f32 v29, v213, v148 :: v_dual_fma_f32 v11, v212, v148, -v15
	s_delay_alu instid0(VALU_DEP_3) | instskip(SKIP_1) | instid1(VALU_DEP_3)
	v_dual_add_f32 v7, v7, v27 :: v_dual_add_f32 v9, v9, v13
	s_wait_loadcnt 0x4
	v_dual_mov_b32 v128, v161 :: v_dual_fmac_f32 v31, v215, v150
	s_delay_alu instid0(VALU_DEP_2) | instskip(NEXT) | instid1(VALU_DEP_3)
	v_dual_fma_f32 v13, v214, v150, -v17 :: v_dual_add_f32 v7, v7, v29
	v_dual_add_f32 v9, v9, v11 :: v_dual_fma_f32 v11, v216, v152, -v19
	v_dual_mul_f32 v233, v218, v155 :: v_dual_mul_f32 v235, v220, v157
	s_delay_alu instid0(VALU_DEP_3) | instskip(NEXT) | instid1(VALU_DEP_2)
	v_dual_fmac_f32 v33, v217, v152 :: v_dual_add_f32 v7, v7, v31
	v_dual_add_f32 v9, v9, v13 :: v_dual_fmac_f32 v233, v219, v154
	v_pk_mul_f32 v[126:127], v[174:175], v[158:159] op_sel:[1,1] op_sel_hi:[0,1]
	s_wait_loadcnt 0x3
	v_dual_mov_b32 v132, v165 :: v_dual_fma_f32 v232, v218, v154, -v21
	s_delay_alu instid0(VALU_DEP_3)
	v_dual_add_f32 v135, v7, v33 :: v_dual_add_f32 v134, v9, v11
	v_fmac_f32_e32 v235, v221, v156
	v_pk_fma_f32 v[136:137], v[174:175], v[158:159], v[126:127] op_sel_hi:[1,0,1]
	v_fma_f32 v234, v220, v156, -v23
	v_pk_mul_f32 v[128:129], v[224:225], v[128:129] op_sel_hi:[1,0]
	v_pk_add_f32 v[134:135], v[134:135], v[232:233]
	v_pk_fma_f32 v[126:127], v[174:175], v[158:159], v[126:127] neg_lo:[0,0,1] neg_hi:[0,0,1]
	v_pk_mul_f32 v[130:131], v[178:179], v[162:163] op_sel:[1,1] op_sel_hi:[0,1]
	v_mov_b32_e32 v127, v137
	v_pk_fma_f32 v[136:137], v[176:177], v[160:161], v[128:129] op_sel_hi:[1,0,1]
	v_pk_add_f32 v[134:135], v[134:135], v[234:235]
	v_pk_fma_f32 v[128:129], v[176:177], v[160:161], v[128:129] neg_lo:[0,0,1] neg_hi:[0,0,1]
	v_pk_fma_f32 v[140:141], v[178:179], v[162:163], v[130:131] op_sel_hi:[1,0,1]
	v_pk_mul_f32 v[132:133], v[226:227], v[132:133] op_sel_hi:[1,0]
	v_mov_b32_e32 v129, v137
	v_pk_add_f32 v[126:127], v[134:135], v[126:127]
	s_wait_loadcnt 0x2
	v_pk_mul_f32 v[138:139], v[182:183], v[166:167] op_sel:[1,1] op_sel_hi:[0,1]
	v_mov_b32_e32 v134, v169
	v_pk_fma_f32 v[130:131], v[178:179], v[162:163], v[130:131] neg_lo:[0,0,1] neg_hi:[0,0,1]
	v_pk_fma_f32 v[136:137], v[180:181], v[164:165], v[132:133] op_sel_hi:[1,0,1]
	v_mov_b32_e32 v131, v141
	v_pk_add_f32 v[126:127], v[126:127], v[128:129]
	v_pk_fma_f32 v[128:129], v[182:183], v[166:167], v[138:139] op_sel_hi:[1,0,1]
	v_pk_mul_f32 v[134:135], v[228:229], v[134:135] op_sel_hi:[1,0]
	v_pk_fma_f32 v[132:133], v[180:181], v[164:165], v[132:133] neg_lo:[0,0,1] neg_hi:[0,0,1]
	v_mov_b32_e32 v133, v137
	v_pk_add_f32 v[126:127], v[126:127], v[130:131]
	v_pk_fma_f32 v[136:137], v[182:183], v[166:167], v[138:139] neg_lo:[0,0,1] neg_hi:[0,0,1]
	v_mov_b32_e32 v137, v129
	v_pk_fma_f32 v[128:129], v[184:185], v[168:169], v[134:135] op_sel_hi:[1,0,1]
	s_wait_loadcnt 0x1
	v_pk_mul_f32 v[130:131], v[186:187], v[170:171] op_sel:[1,1] op_sel_hi:[0,1]
	v_pk_add_f32 v[126:127], v[126:127], v[132:133]
	v_mov_b32_e32 v128, v173
	v_pk_fma_f32 v[134:135], v[184:185], v[168:169], v[134:135] neg_lo:[0,0,1] neg_hi:[0,0,1]
	s_delay_alu instid0(VALU_DEP_4)
	v_pk_fma_f32 v[132:133], v[186:187], v[170:171], v[130:131] op_sel_hi:[1,0,1]
	v_mov_b32_e32 v135, v129
	v_pk_add_f32 v[126:127], v[126:127], v[136:137]
	v_pk_mul_f32 v[128:129], v[230:231], v[128:129] op_sel_hi:[1,0]
	v_pk_fma_f32 v[130:131], v[186:187], v[170:171], v[130:131] neg_lo:[0,0,1] neg_hi:[0,0,1]
	v_mov_b32_e32 v131, v133
	s_delay_alu instid0(VALU_DEP_4) | instskip(NEXT) | instid1(VALU_DEP_4)
	v_pk_add_f32 v[126:127], v[126:127], v[134:135]
	v_pk_fma_f32 v[132:133], v[188:189], v[172:173], v[128:129] op_sel_hi:[1,0,1]
	v_pk_fma_f32 v[128:129], v[188:189], v[172:173], v[128:129] neg_lo:[0,0,1] neg_hi:[0,0,1]
	s_delay_alu instid0(VALU_DEP_3) | instskip(NEXT) | instid1(VALU_DEP_3)
	v_pk_add_f32 v[126:127], v[126:127], v[130:131]
	v_mov_b32_e32 v129, v133
	s_delay_alu instid0(VALU_DEP_1) | instskip(SKIP_1) | instid1(VALU_DEP_1)
	v_pk_add_f32 v[126:127], v[126:127], v[128:129]
	s_wait_loadcnt 0x0
	v_pk_add_f32 v[126:127], v[222:223], v[126:127] neg_lo:[0,1] neg_hi:[0,1]
	scratch_store_b64 off, v[126:127], off offset:296
	s_wait_xcnt 0x0
	v_cmpx_lt_u32_e32 36, v0
	s_cbranch_execz .LBB61_313
; %bb.312:
	scratch_load_b64 v[126:127], off, off offset:288
	v_mov_b64_e32 v[128:129], 0
	scratch_store_b64 off, v[128:129], off offset:288
	s_wait_loadcnt 0x0
	ds_store_b64 v1, v[126:127]
.LBB61_313:
	s_wait_xcnt 0x0
	s_or_b32 exec_lo, exec_lo, s0
	s_wait_storecnt_dscnt 0x0
	s_barrier_signal -1
	s_barrier_wait -1
	s_clause 0xd
	scratch_load_b128 v[126:129], off, off offset:296
	scratch_load_b128 v[130:133], off, off offset:312
	;; [unrolled: 1-line block ×12, first 2 shown]
	scratch_load_b64 v[222:223], off, off offset:488
	scratch_load_b64 v[224:225], off, off offset:288
	v_mov_b32_e32 v7, 0
	ds_load_2addr_b64 v[174:177], v7 offset0:115 offset1:116
	ds_load_2addr_b64 v[178:181], v7 offset0:117 offset1:118
	;; [unrolled: 1-line block ×12, first 2 shown]
	ds_load_b64 v[226:227], v7 offset:984
	s_mov_b32 s0, exec_lo
	s_wait_dscnt 0xc
	v_dual_mov_b32 v228, v177 :: v_dual_mov_b32 v229, v176
	s_wait_dscnt 0x9
	v_dual_mov_b32 v230, v181 :: v_dual_mov_b32 v235, v188
	v_dual_mov_b32 v231, v180 :: v_dual_mov_b32 v232, v185
	;; [unrolled: 1-line block ×3, first 2 shown]
	s_wait_loadcnt_dscnt 0xd08
	v_dual_mul_f32 v9, v190, v127 :: v_dual_mul_f32 v39, v191, v127
	v_dual_mul_f32 v41, v193, v129 :: v_dual_mul_f32 v11, v192, v129
	s_wait_loadcnt_dscnt 0xc07
	v_mul_f32_e32 v13, v194, v131
	s_wait_loadcnt_dscnt 0xa05
	v_dual_mul_f32 v51, v203, v139 :: v_dual_fma_f32 v39, v190, v126, -v39
	v_dual_fmac_f32 v9, v191, v126 :: v_dual_mul_f32 v53, v205, v141
	v_dual_mul_f32 v43, v195, v131 :: v_dual_mul_f32 v45, v197, v133
	v_dual_fmac_f32 v11, v193, v128 :: v_dual_fma_f32 v41, v192, v128, -v41
	s_delay_alu instid0(VALU_DEP_3) | instskip(SKIP_3) | instid1(VALU_DEP_3)
	v_dual_add_f32 v9, 0, v9 :: v_dual_add_f32 v39, 0, v39
	v_dual_mul_f32 v15, v196, v133 :: v_dual_mul_f32 v17, v198, v135
	s_wait_loadcnt_dscnt 0x904
	v_dual_mul_f32 v55, v207, v143 :: v_dual_fma_f32 v43, v194, v130, -v43
	v_dual_fmac_f32 v13, v195, v130 :: v_dual_add_f32 v9, v9, v11
	s_delay_alu instid0(VALU_DEP_3) | instskip(SKIP_2) | instid1(VALU_DEP_3)
	v_dual_add_f32 v11, v39, v41 :: v_dual_fmac_f32 v15, v197, v132
	v_dual_mul_f32 v47, v199, v135 :: v_dual_mul_f32 v49, v201, v137
	v_dual_mul_f32 v39, v209, v145 :: v_dual_fma_f32 v41, v196, v132, -v45
	v_dual_add_f32 v9, v9, v13 :: v_dual_add_f32 v11, v11, v43
	v_dual_mul_f32 v19, v200, v137 :: v_dual_mul_f32 v21, v202, v139
	s_wait_loadcnt_dscnt 0x803
	v_dual_mul_f32 v13, v211, v147 :: v_dual_fma_f32 v43, v198, v134, -v47
	s_delay_alu instid0(VALU_DEP_3) | instskip(NEXT) | instid1(VALU_DEP_3)
	v_dual_fmac_f32 v17, v199, v134 :: v_dual_add_f32 v9, v9, v15
	v_dual_add_f32 v11, v11, v41 :: v_dual_fmac_f32 v19, v201, v136
	v_dual_mul_f32 v15, v213, v149 :: v_dual_fma_f32 v41, v200, v136, -v49
	s_delay_alu instid0(VALU_DEP_2) | instskip(SKIP_3) | instid1(VALU_DEP_3)
	v_dual_add_f32 v9, v9, v17 :: v_dual_add_f32 v11, v11, v43
	v_dual_mul_f32 v23, v204, v141 :: v_dual_mul_f32 v25, v206, v143
	s_wait_loadcnt_dscnt 0x702
	v_dual_mul_f32 v17, v215, v151 :: v_dual_fma_f32 v43, v202, v138, -v51
	v_dual_fmac_f32 v21, v203, v138 :: v_dual_add_f32 v9, v9, v19
	s_delay_alu instid0(VALU_DEP_3) | instskip(SKIP_1) | instid1(VALU_DEP_2)
	v_dual_add_f32 v11, v11, v41 :: v_dual_fmac_f32 v23, v205, v140
	v_dual_mul_f32 v19, v217, v153 :: v_dual_fma_f32 v41, v204, v140, -v53
	v_dual_add_f32 v9, v9, v21 :: v_dual_add_f32 v11, v11, v43
	v_dual_mul_f32 v27, v208, v145 :: v_dual_mul_f32 v29, v210, v147
	s_wait_loadcnt_dscnt 0x601
	v_dual_mul_f32 v21, v219, v155 :: v_dual_fma_f32 v43, v206, v142, -v55
	s_delay_alu instid0(VALU_DEP_3) | instskip(NEXT) | instid1(VALU_DEP_3)
	v_dual_fmac_f32 v25, v207, v142 :: v_dual_add_f32 v9, v9, v23
	v_dual_add_f32 v11, v11, v41 :: v_dual_fmac_f32 v27, v209, v144
	v_dual_mul_f32 v23, v221, v157 :: v_dual_fma_f32 v39, v208, v144, -v39
	s_delay_alu instid0(VALU_DEP_2) | instskip(SKIP_3) | instid1(VALU_DEP_3)
	v_dual_add_f32 v9, v9, v25 :: v_dual_add_f32 v11, v11, v43
	v_dual_mul_f32 v31, v212, v149 :: v_dual_mul_f32 v33, v214, v151
	s_wait_loadcnt 0x5
	v_dual_mul_f32 v25, v175, v159 :: v_dual_fma_f32 v13, v210, v146, -v13
	v_dual_fmac_f32 v29, v211, v146 :: v_dual_add_f32 v9, v9, v27
	v_dual_add_f32 v11, v11, v39 :: v_dual_mov_b32 v126, v161
	v_fmac_f32_e32 v31, v213, v148
	s_delay_alu instid0(VALU_DEP_3) | instskip(NEXT) | instid1(VALU_DEP_3)
	v_dual_fma_f32 v15, v212, v148, -v15 :: v_dual_add_f32 v9, v9, v29
	v_add_f32_e32 v11, v11, v13
	v_dual_mul_f32 v35, v216, v153 :: v_dual_mul_f32 v37, v218, v155
	s_delay_alu instid0(VALU_DEP_3) | instskip(NEXT) | instid1(VALU_DEP_3)
	v_dual_fmac_f32 v33, v215, v150 :: v_dual_add_f32 v9, v9, v31
	v_dual_fma_f32 v13, v214, v150, -v17 :: v_dual_add_f32 v11, v11, v15
	s_wait_loadcnt 0x4
	v_dual_mov_b32 v130, v165 :: v_dual_fma_f32 v15, v216, v152, -v19
	v_fmac_f32_e32 v35, v217, v152
	v_dual_add_f32 v9, v9, v33 :: v_dual_fmac_f32 v37, v219, v154
	v_add_f32_e32 v11, v11, v13
	v_dual_mul_f32 v237, v220, v157 :: v_dual_mul_f32 v239, v174, v159
	s_delay_alu instid0(VALU_DEP_3) | instskip(NEXT) | instid1(VALU_DEP_2)
	v_dual_fma_f32 v13, v218, v154, -v21 :: v_dual_add_f32 v9, v9, v35
	v_dual_add_f32 v11, v11, v15 :: v_dual_fmac_f32 v237, v221, v156
	v_fma_f32 v236, v220, v156, -v23
	v_pk_mul_f32 v[126:127], v[228:229], v[126:127] op_sel_hi:[1,0]
	s_delay_alu instid0(VALU_DEP_4)
	v_add_f32_e32 v135, v9, v37
	s_wait_loadcnt 0x3
	v_dual_add_f32 v134, v11, v13 :: v_dual_mov_b32 v136, v169
	v_pk_mul_f32 v[128:129], v[178:179], v[162:163] op_sel:[1,1] op_sel_hi:[0,1]
	v_dual_fmac_f32 v239, v175, v158 :: v_dual_fma_f32 v238, v174, v158, -v25
	v_pk_fma_f32 v[138:139], v[176:177], v[160:161], v[126:127] op_sel_hi:[1,0,1]
	s_delay_alu instid0(VALU_DEP_4)
	v_pk_add_f32 v[134:135], v[134:135], v[236:237]
	v_pk_fma_f32 v[126:127], v[176:177], v[160:161], v[126:127] neg_lo:[0,0,1] neg_hi:[0,0,1]
	v_pk_fma_f32 v[140:141], v[178:179], v[162:163], v[128:129] op_sel_hi:[1,0,1]
	v_pk_mul_f32 v[130:131], v[230:231], v[130:131] op_sel_hi:[1,0]
	v_mov_b32_e32 v127, v139
	v_pk_add_f32 v[134:135], v[134:135], v[238:239]
	v_pk_fma_f32 v[128:129], v[178:179], v[162:163], v[128:129] neg_lo:[0,0,1] neg_hi:[0,0,1]
	v_pk_mul_f32 v[132:133], v[182:183], v[166:167] op_sel:[1,1] op_sel_hi:[0,1]
	v_mov_b32_e32 v129, v141
	v_pk_fma_f32 v[140:141], v[180:181], v[164:165], v[130:131] op_sel_hi:[1,0,1]
	v_pk_add_f32 v[126:127], v[134:135], v[126:127]
	v_pk_fma_f32 v[130:131], v[180:181], v[164:165], v[130:131] neg_lo:[0,0,1] neg_hi:[0,0,1]
	v_pk_fma_f32 v[134:135], v[182:183], v[166:167], v[132:133] op_sel_hi:[1,0,1]
	v_pk_mul_f32 v[136:137], v[232:233], v[136:137] op_sel_hi:[1,0]
	v_mov_b32_e32 v131, v141
	v_pk_add_f32 v[126:127], v[126:127], v[128:129]
	v_pk_fma_f32 v[132:133], v[182:183], v[166:167], v[132:133] neg_lo:[0,0,1] neg_hi:[0,0,1]
	s_wait_loadcnt 0x2
	v_pk_mul_f32 v[138:139], v[186:187], v[170:171] op_sel:[1,1] op_sel_hi:[0,1]
	v_dual_mov_b32 v128, v173 :: v_dual_mov_b32 v133, v135
	v_pk_fma_f32 v[134:135], v[184:185], v[168:169], v[136:137] op_sel_hi:[1,0,1]
	v_pk_add_f32 v[126:127], v[126:127], v[130:131]
	v_pk_fma_f32 v[136:137], v[184:185], v[168:169], v[136:137] neg_lo:[0,0,1] neg_hi:[0,0,1]
	v_pk_fma_f32 v[130:131], v[186:187], v[170:171], v[138:139] op_sel_hi:[1,0,1]
	v_pk_mul_f32 v[128:129], v[234:235], v[128:129] op_sel_hi:[1,0]
	v_mov_b32_e32 v137, v135
	v_pk_add_f32 v[126:127], v[126:127], v[132:133]
	v_pk_fma_f32 v[132:133], v[186:187], v[170:171], v[138:139] neg_lo:[0,0,1] neg_hi:[0,0,1]
	v_mov_b32_e32 v133, v131
	v_pk_fma_f32 v[130:131], v[188:189], v[172:173], v[128:129] op_sel_hi:[1,0,1]
	s_wait_loadcnt_dscnt 0x100
	v_pk_mul_f32 v[134:135], v[226:227], v[222:223] op_sel:[1,1] op_sel_hi:[0,1]
	v_pk_add_f32 v[126:127], v[126:127], v[136:137]
	v_pk_fma_f32 v[128:129], v[188:189], v[172:173], v[128:129] neg_lo:[0,0,1] neg_hi:[0,0,1]
	v_mov_b32_e32 v129, v131
	s_delay_alu instid0(VALU_DEP_4) | instskip(NEXT) | instid1(VALU_DEP_4)
	v_pk_fma_f32 v[130:131], v[226:227], v[222:223], v[134:135] op_sel_hi:[1,0,1]
	v_pk_add_f32 v[126:127], v[126:127], v[132:133]
	v_pk_fma_f32 v[132:133], v[226:227], v[222:223], v[134:135] neg_lo:[0,0,1] neg_hi:[0,0,1]
	s_delay_alu instid0(VALU_DEP_3) | instskip(NEXT) | instid1(VALU_DEP_3)
	v_mov_b32_e32 v133, v131
	v_pk_add_f32 v[126:127], v[126:127], v[128:129]
	s_delay_alu instid0(VALU_DEP_1) | instskip(SKIP_1) | instid1(VALU_DEP_1)
	v_pk_add_f32 v[126:127], v[126:127], v[132:133]
	s_wait_loadcnt 0x0
	v_pk_add_f32 v[126:127], v[224:225], v[126:127] neg_lo:[0,1] neg_hi:[0,1]
	scratch_store_b64 off, v[126:127], off offset:288
	s_wait_xcnt 0x0
	v_cmpx_lt_u32_e32 35, v0
	s_cbranch_execz .LBB61_315
; %bb.314:
	scratch_load_b64 v[126:127], off, off offset:280
	v_mov_b64_e32 v[128:129], 0
	scratch_store_b64 off, v[128:129], off offset:280
	s_wait_loadcnt 0x0
	ds_store_b64 v1, v[126:127]
.LBB61_315:
	s_wait_xcnt 0x0
	s_or_b32 exec_lo, exec_lo, s0
	s_wait_storecnt_dscnt 0x0
	s_barrier_signal -1
	s_barrier_wait -1
	s_clause 0xd
	scratch_load_b128 v[126:129], off, off offset:288
	scratch_load_b128 v[130:133], off, off offset:304
	;; [unrolled: 1-line block ×13, first 2 shown]
	scratch_load_b64 v[230:231], off, off offset:280
	ds_load_b128 v[178:181], v7 offset:928
	ds_load_b128 v[182:185], v7 offset:944
	;; [unrolled: 1-line block ×13, first 2 shown]
	s_mov_b32 s0, exec_lo
	s_wait_dscnt 0xc
	v_dual_mov_b32 v232, v181 :: v_dual_mov_b32 v233, v180
	s_wait_dscnt 0xb
	v_dual_mov_b32 v234, v185 :: v_dual_mov_b32 v235, v184
	;; [unrolled: 2-line block ×4, first 2 shown]
	s_wait_loadcnt_dscnt 0xd08
	v_dual_mul_f32 v7, v194, v127 :: v_dual_mul_f32 v9, v196, v129
	v_dual_mul_f32 v39, v195, v127 :: v_dual_mul_f32 v41, v197, v129
	s_wait_loadcnt_dscnt 0xc07
	v_dual_mul_f32 v11, v198, v131 :: v_dual_mul_f32 v13, v200, v133
	s_delay_alu instid0(VALU_DEP_3) | instskip(SKIP_3) | instid1(VALU_DEP_3)
	v_dual_fmac_f32 v7, v195, v126 :: v_dual_fmac_f32 v9, v197, v128
	s_wait_loadcnt_dscnt 0xa05
	v_dual_fma_f32 v39, v194, v126, -v39 :: v_dual_mul_f32 v51, v207, v139
	v_dual_mul_f32 v43, v199, v131 :: v_dual_mul_f32 v45, v201, v133
	v_dual_fma_f32 v41, v196, v128, -v41 :: v_dual_add_f32 v7, 0, v7
	s_delay_alu instid0(VALU_DEP_3) | instskip(SKIP_1) | instid1(VALU_DEP_3)
	v_dual_add_f32 v39, 0, v39 :: v_dual_mul_f32 v53, v209, v141
	v_dual_fmac_f32 v11, v199, v130 :: v_dual_fmac_f32 v13, v201, v132
	v_dual_fma_f32 v43, v198, v130, -v43 :: v_dual_add_f32 v7, v7, v9
	s_delay_alu instid0(VALU_DEP_3) | instskip(SKIP_2) | instid1(VALU_DEP_4)
	v_dual_add_f32 v9, v39, v41 :: v_dual_fma_f32 v41, v200, v132, -v45
	v_dual_mul_f32 v15, v202, v135 :: v_dual_mul_f32 v17, v204, v137
	v_dual_mul_f32 v47, v203, v135 :: v_dual_mul_f32 v49, v205, v137
	v_add_f32_e32 v7, v7, v11
	s_delay_alu instid0(VALU_DEP_3) | instskip(NEXT) | instid1(VALU_DEP_3)
	v_dual_add_f32 v9, v9, v43 :: v_dual_fmac_f32 v15, v203, v134
	v_fma_f32 v43, v202, v134, -v47
	v_dual_mul_f32 v19, v206, v139 :: v_dual_mul_f32 v21, v208, v141
	s_delay_alu instid0(VALU_DEP_4) | instskip(SKIP_2) | instid1(VALU_DEP_2)
	v_dual_add_f32 v7, v7, v13 :: v_dual_fmac_f32 v17, v205, v136
	s_wait_loadcnt_dscnt 0x802
	v_dual_add_f32 v9, v9, v41 :: v_dual_mul_f32 v13, v219, v147
	v_dual_fma_f32 v41, v204, v136, -v49 :: v_dual_add_f32 v7, v7, v15
	v_mul_f32_e32 v15, v221, v149
	s_delay_alu instid0(VALU_DEP_3) | instskip(NEXT) | instid1(VALU_DEP_3)
	v_dual_add_f32 v9, v9, v43 :: v_dual_fmac_f32 v19, v207, v138
	v_dual_fma_f32 v43, v206, v138, -v51 :: v_dual_add_f32 v7, v7, v17
	v_fmac_f32_e32 v21, v209, v140
	s_wait_loadcnt_dscnt 0x701
	s_delay_alu instid0(VALU_DEP_3) | instskip(SKIP_3) | instid1(VALU_DEP_3)
	v_dual_add_f32 v9, v9, v41 :: v_dual_mul_f32 v17, v223, v151
	v_dual_mul_f32 v23, v214, v143 :: v_dual_mul_f32 v25, v216, v145
	v_dual_mul_f32 v39, v215, v143 :: v_dual_mul_f32 v11, v217, v145
	v_dual_fma_f32 v41, v208, v140, -v53 :: v_dual_add_f32 v7, v7, v19
	v_dual_add_f32 v9, v9, v43 :: v_dual_fmac_f32 v23, v215, v142
	s_delay_alu instid0(VALU_DEP_3) | instskip(NEXT) | instid1(VALU_DEP_3)
	v_dual_mul_f32 v19, v225, v153 :: v_dual_fma_f32 v39, v214, v142, -v39
	v_dual_add_f32 v7, v7, v21 :: v_dual_fmac_f32 v25, v217, v144
	s_wait_loadcnt_dscnt 0x600
	s_delay_alu instid0(VALU_DEP_3) | instskip(SKIP_1) | instid1(VALU_DEP_3)
	v_dual_add_f32 v9, v9, v41 :: v_dual_mul_f32 v21, v227, v155
	v_dual_mul_f32 v27, v218, v147 :: v_dual_mul_f32 v29, v220, v149
	v_dual_fma_f32 v11, v216, v144, -v11 :: v_dual_add_f32 v7, v7, v23
	s_delay_alu instid0(VALU_DEP_2) | instskip(SKIP_1) | instid1(VALU_DEP_2)
	v_dual_add_f32 v9, v9, v39 :: v_dual_fmac_f32 v27, v219, v146
	v_dual_mul_f32 v23, v229, v157 :: v_dual_fma_f32 v13, v218, v146, -v13
	v_dual_add_f32 v7, v7, v25 :: v_dual_add_f32 v9, v9, v11
	v_dual_mul_f32 v31, v222, v151 :: v_dual_mul_f32 v33, v224, v153
	s_wait_loadcnt 0x5
	v_dual_mul_f32 v11, v211, v159 :: v_dual_fmac_f32 v29, v221, v148
	s_delay_alu instid0(VALU_DEP_3) | instskip(NEXT) | instid1(VALU_DEP_3)
	v_dual_fma_f32 v15, v220, v148, -v15 :: v_dual_add_f32 v7, v7, v27
	v_dual_add_f32 v9, v9, v13 :: v_dual_fmac_f32 v31, v223, v150
	v_dual_mul_f32 v13, v213, v161 :: v_dual_fma_f32 v17, v222, v150, -v17
	s_delay_alu instid0(VALU_DEP_2) | instskip(SKIP_2) | instid1(VALU_DEP_3)
	v_dual_add_f32 v7, v7, v29 :: v_dual_add_f32 v9, v9, v15
	v_dual_mul_f32 v35, v226, v155 :: v_dual_mul_f32 v37, v228, v157
	v_dual_fmac_f32 v33, v225, v152 :: v_dual_fma_f32 v15, v224, v152, -v19
	v_dual_add_f32 v7, v7, v31 :: v_dual_add_f32 v9, v9, v17
	s_wait_loadcnt 0x4
	s_delay_alu instid0(VALU_DEP_3) | instskip(NEXT) | instid1(VALU_DEP_2)
	v_dual_mov_b32 v128, v165 :: v_dual_fmac_f32 v35, v227, v154
	v_dual_fma_f32 v17, v226, v154, -v21 :: v_dual_add_f32 v7, v7, v33
	s_delay_alu instid0(VALU_DEP_3) | instskip(SKIP_1) | instid1(VALU_DEP_3)
	v_dual_add_f32 v9, v9, v15 :: v_dual_fma_f32 v15, v228, v156, -v23
	v_dual_mul_f32 v241, v210, v159 :: v_dual_mul_f32 v243, v212, v161
	v_dual_fmac_f32 v37, v229, v156 :: v_dual_add_f32 v7, v7, v35
	s_delay_alu instid0(VALU_DEP_2) | instskip(SKIP_3) | instid1(VALU_DEP_3)
	v_dual_add_f32 v9, v9, v17 :: v_dual_fmac_f32 v241, v211, v158
	v_pk_mul_f32 v[126:127], v[178:179], v[162:163] op_sel:[1,1] op_sel_hi:[0,1]
	s_wait_loadcnt 0x3
	v_dual_mov_b32 v132, v169 :: v_dual_fma_f32 v240, v210, v158, -v11
	v_dual_add_f32 v135, v7, v37 :: v_dual_add_f32 v134, v9, v15
	v_dual_fmac_f32 v243, v213, v160 :: v_dual_fma_f32 v242, v212, v160, -v13
	v_pk_fma_f32 v[136:137], v[178:179], v[162:163], v[126:127] op_sel_hi:[1,0,1]
	v_pk_mul_f32 v[128:129], v[232:233], v[128:129] op_sel_hi:[1,0]
	s_delay_alu instid0(VALU_DEP_4)
	v_pk_add_f32 v[134:135], v[134:135], v[240:241]
	v_pk_fma_f32 v[126:127], v[178:179], v[162:163], v[126:127] neg_lo:[0,0,1] neg_hi:[0,0,1]
	v_pk_mul_f32 v[130:131], v[182:183], v[166:167] op_sel:[1,1] op_sel_hi:[0,1]
	v_mov_b32_e32 v127, v137
	v_pk_fma_f32 v[136:137], v[180:181], v[164:165], v[128:129] op_sel_hi:[1,0,1]
	v_pk_add_f32 v[134:135], v[134:135], v[242:243]
	v_pk_fma_f32 v[128:129], v[180:181], v[164:165], v[128:129] neg_lo:[0,0,1] neg_hi:[0,0,1]
	v_pk_fma_f32 v[140:141], v[182:183], v[166:167], v[130:131] op_sel_hi:[1,0,1]
	v_pk_mul_f32 v[132:133], v[234:235], v[132:133] op_sel_hi:[1,0]
	v_mov_b32_e32 v129, v137
	v_pk_add_f32 v[126:127], v[134:135], v[126:127]
	s_wait_loadcnt 0x2
	v_pk_mul_f32 v[138:139], v[186:187], v[170:171] op_sel:[1,1] op_sel_hi:[0,1]
	v_mov_b32_e32 v134, v173
	v_pk_fma_f32 v[130:131], v[182:183], v[166:167], v[130:131] neg_lo:[0,0,1] neg_hi:[0,0,1]
	v_mov_b32_e32 v131, v141
	v_pk_fma_f32 v[136:137], v[184:185], v[168:169], v[132:133] op_sel_hi:[1,0,1]
	v_pk_add_f32 v[126:127], v[126:127], v[128:129]
	v_pk_fma_f32 v[128:129], v[186:187], v[170:171], v[138:139] op_sel_hi:[1,0,1]
	v_pk_mul_f32 v[134:135], v[236:237], v[134:135] op_sel_hi:[1,0]
	v_pk_fma_f32 v[132:133], v[184:185], v[168:169], v[132:133] neg_lo:[0,0,1] neg_hi:[0,0,1]
	v_mov_b32_e32 v133, v137
	v_pk_add_f32 v[126:127], v[126:127], v[130:131]
	v_pk_fma_f32 v[136:137], v[186:187], v[170:171], v[138:139] neg_lo:[0,0,1] neg_hi:[0,0,1]
	v_mov_b32_e32 v137, v129
	v_pk_fma_f32 v[128:129], v[188:189], v[172:173], v[134:135] op_sel_hi:[1,0,1]
	s_wait_loadcnt 0x1
	v_pk_mul_f32 v[130:131], v[190:191], v[174:175] op_sel:[1,1] op_sel_hi:[0,1]
	v_pk_add_f32 v[126:127], v[126:127], v[132:133]
	v_mov_b32_e32 v128, v177
	v_pk_fma_f32 v[134:135], v[188:189], v[172:173], v[134:135] neg_lo:[0,0,1] neg_hi:[0,0,1]
	v_mov_b32_e32 v135, v129
	v_pk_fma_f32 v[132:133], v[190:191], v[174:175], v[130:131] op_sel_hi:[1,0,1]
	v_pk_add_f32 v[126:127], v[126:127], v[136:137]
	v_pk_mul_f32 v[128:129], v[238:239], v[128:129] op_sel_hi:[1,0]
	v_pk_fma_f32 v[130:131], v[190:191], v[174:175], v[130:131] neg_lo:[0,0,1] neg_hi:[0,0,1]
	s_delay_alu instid0(VALU_DEP_4) | instskip(NEXT) | instid1(VALU_DEP_4)
	v_mov_b32_e32 v131, v133
	v_pk_add_f32 v[126:127], v[126:127], v[134:135]
	s_delay_alu instid0(VALU_DEP_4) | instskip(SKIP_1) | instid1(VALU_DEP_2)
	v_pk_fma_f32 v[132:133], v[192:193], v[176:177], v[128:129] op_sel_hi:[1,0,1]
	v_pk_fma_f32 v[128:129], v[192:193], v[176:177], v[128:129] neg_lo:[0,0,1] neg_hi:[0,0,1]
	v_mov_b32_e32 v129, v133
	s_delay_alu instid0(VALU_DEP_4) | instskip(NEXT) | instid1(VALU_DEP_1)
	v_pk_add_f32 v[126:127], v[126:127], v[130:131]
	v_pk_add_f32 v[126:127], v[126:127], v[128:129]
	s_wait_loadcnt 0x0
	s_delay_alu instid0(VALU_DEP_1)
	v_pk_add_f32 v[126:127], v[230:231], v[126:127] neg_lo:[0,1] neg_hi:[0,1]
	scratch_store_b64 off, v[126:127], off offset:280
	s_wait_xcnt 0x0
	v_cmpx_lt_u32_e32 34, v0
	s_cbranch_execz .LBB61_317
; %bb.316:
	scratch_load_b64 v[126:127], off, off offset:272
	v_mov_b64_e32 v[128:129], 0
	scratch_store_b64 off, v[128:129], off offset:272
	s_wait_loadcnt 0x0
	ds_store_b64 v1, v[126:127]
.LBB61_317:
	s_wait_xcnt 0x0
	s_or_b32 exec_lo, exec_lo, s0
	s_wait_storecnt_dscnt 0x0
	s_barrier_signal -1
	s_barrier_wait -1
	s_clause 0xe
	scratch_load_b128 v[126:129], off, off offset:280
	scratch_load_b128 v[130:133], off, off offset:296
	;; [unrolled: 1-line block ×13, first 2 shown]
	scratch_load_b64 v[230:231], off, off offset:488
	scratch_load_b64 v[232:233], off, off offset:272
	v_mov_b32_e32 v7, 0
	ds_load_2addr_b64 v[178:181], v7 offset0:115 offset1:116
	ds_load_2addr_b64 v[182:185], v7 offset0:117 offset1:118
	ds_load_2addr_b64 v[186:189], v7 offset0:119 offset1:120
	ds_load_2addr_b64 v[190:193], v7 offset0:121 offset1:122
	ds_load_2addr_b64 v[194:197], v7 offset0:97 offset1:98
	ds_load_2addr_b64 v[198:201], v7 offset0:99 offset1:100
	ds_load_2addr_b64 v[202:205], v7 offset0:101 offset1:102
	ds_load_2addr_b64 v[206:209], v7 offset0:113 offset1:114
	ds_load_2addr_b64 v[210:213], v7 offset0:103 offset1:104
	ds_load_2addr_b64 v[214:217], v7 offset0:105 offset1:106
	ds_load_2addr_b64 v[218:221], v7 offset0:107 offset1:108
	ds_load_2addr_b64 v[222:225], v7 offset0:109 offset1:110
	ds_load_2addr_b64 v[226:229], v7 offset0:111 offset1:112
	ds_load_b64 v[234:235], v7 offset:984
	s_mov_b32 s0, exec_lo
	s_wait_dscnt 0xd
	v_dual_mov_b32 v236, v181 :: v_dual_mov_b32 v237, v180
	s_wait_dscnt 0xa
	v_dual_mov_b32 v238, v185 :: v_dual_mov_b32 v243, v192
	v_dual_mov_b32 v239, v184 :: v_dual_mov_b32 v240, v189
	;; [unrolled: 1-line block ×3, first 2 shown]
	s_wait_loadcnt_dscnt 0xe09
	v_dual_mul_f32 v9, v194, v127 :: v_dual_mul_f32 v43, v195, v127
	v_dual_mul_f32 v45, v197, v129 :: v_dual_mul_f32 v11, v196, v129
	s_wait_loadcnt_dscnt 0xd08
	v_mul_f32_e32 v13, v198, v131
	s_wait_loadcnt_dscnt 0xb05
	v_dual_mul_f32 v55, v211, v139 :: v_dual_fma_f32 v43, v194, v126, -v43
	v_dual_fmac_f32 v9, v195, v126 :: v_dual_mul_f32 v57, v213, v141
	v_dual_mul_f32 v47, v199, v131 :: v_dual_mul_f32 v49, v201, v133
	v_dual_fmac_f32 v11, v197, v128 :: v_dual_fma_f32 v45, v196, v128, -v45
	s_delay_alu instid0(VALU_DEP_3) | instskip(SKIP_3) | instid1(VALU_DEP_3)
	v_dual_add_f32 v9, 0, v9 :: v_dual_add_f32 v43, 0, v43
	v_dual_mul_f32 v15, v200, v133 :: v_dual_mul_f32 v17, v202, v135
	s_wait_loadcnt_dscnt 0xa04
	v_dual_mul_f32 v59, v215, v143 :: v_dual_fma_f32 v47, v198, v130, -v47
	v_dual_fmac_f32 v13, v199, v130 :: v_dual_add_f32 v9, v9, v11
	s_delay_alu instid0(VALU_DEP_3) | instskip(SKIP_2) | instid1(VALU_DEP_3)
	v_dual_add_f32 v11, v43, v45 :: v_dual_fmac_f32 v15, v201, v132
	v_dual_mul_f32 v51, v203, v135 :: v_dual_mul_f32 v53, v205, v137
	v_dual_mul_f32 v43, v217, v145 :: v_dual_fma_f32 v45, v200, v132, -v49
	v_dual_add_f32 v9, v9, v13 :: v_dual_add_f32 v11, v11, v47
	v_dual_mul_f32 v19, v204, v137 :: v_dual_mul_f32 v21, v210, v139
	s_wait_loadcnt_dscnt 0x903
	v_dual_mul_f32 v13, v219, v147 :: v_dual_fma_f32 v47, v202, v134, -v51
	s_delay_alu instid0(VALU_DEP_3) | instskip(NEXT) | instid1(VALU_DEP_3)
	v_dual_fmac_f32 v17, v203, v134 :: v_dual_add_f32 v9, v9, v15
	v_dual_add_f32 v11, v11, v45 :: v_dual_fmac_f32 v19, v205, v136
	v_dual_mul_f32 v15, v221, v149 :: v_dual_fma_f32 v45, v204, v136, -v53
	s_delay_alu instid0(VALU_DEP_2) | instskip(SKIP_3) | instid1(VALU_DEP_3)
	v_dual_add_f32 v9, v9, v17 :: v_dual_add_f32 v11, v11, v47
	v_dual_mul_f32 v23, v212, v141 :: v_dual_mul_f32 v25, v214, v143
	s_wait_loadcnt_dscnt 0x802
	v_dual_mul_f32 v17, v223, v151 :: v_dual_fma_f32 v47, v210, v138, -v55
	v_dual_fmac_f32 v21, v211, v138 :: v_dual_add_f32 v9, v9, v19
	s_delay_alu instid0(VALU_DEP_3) | instskip(SKIP_1) | instid1(VALU_DEP_2)
	v_dual_add_f32 v11, v11, v45 :: v_dual_fmac_f32 v23, v213, v140
	v_dual_mul_f32 v19, v225, v153 :: v_dual_fma_f32 v45, v212, v140, -v57
	v_dual_add_f32 v9, v9, v21 :: v_dual_add_f32 v11, v11, v47
	v_dual_mul_f32 v27, v216, v145 :: v_dual_mul_f32 v29, v218, v147
	s_wait_loadcnt_dscnt 0x701
	v_dual_mul_f32 v21, v227, v155 :: v_dual_fma_f32 v47, v214, v142, -v59
	s_delay_alu instid0(VALU_DEP_3) | instskip(NEXT) | instid1(VALU_DEP_3)
	v_dual_fmac_f32 v25, v215, v142 :: v_dual_add_f32 v9, v9, v23
	v_dual_add_f32 v11, v11, v45 :: v_dual_fmac_f32 v27, v217, v144
	v_dual_mul_f32 v23, v229, v157 :: v_dual_fma_f32 v43, v216, v144, -v43
	s_delay_alu instid0(VALU_DEP_2) | instskip(SKIP_3) | instid1(VALU_DEP_3)
	v_dual_add_f32 v9, v9, v25 :: v_dual_add_f32 v11, v11, v47
	v_dual_mul_f32 v31, v220, v149 :: v_dual_mul_f32 v33, v222, v151
	s_wait_loadcnt 0x6
	v_dual_mul_f32 v25, v207, v159 :: v_dual_fma_f32 v13, v218, v146, -v13
	v_dual_fmac_f32 v29, v219, v146 :: v_dual_add_f32 v9, v9, v27
	v_dual_add_f32 v11, v11, v43 :: v_dual_mul_f32 v27, v209, v161
	v_fmac_f32_e32 v31, v221, v148
	s_delay_alu instid0(VALU_DEP_3) | instskip(NEXT) | instid1(VALU_DEP_3)
	v_dual_fma_f32 v15, v220, v148, -v15 :: v_dual_add_f32 v9, v9, v29
	v_add_f32_e32 v11, v11, v13
	v_dual_mul_f32 v35, v224, v153 :: v_dual_mul_f32 v37, v226, v155
	s_wait_loadcnt 0x5
	v_dual_mul_f32 v13, v179, v163 :: v_dual_fma_f32 v17, v222, v150, -v17
	v_dual_fmac_f32 v33, v223, v150 :: v_dual_add_f32 v9, v9, v31
	v_dual_add_f32 v11, v11, v15 :: v_dual_mov_b32 v126, v165
	v_fmac_f32_e32 v35, v225, v152
	s_delay_alu instid0(VALU_DEP_3) | instskip(NEXT) | instid1(VALU_DEP_3)
	v_dual_fma_f32 v15, v224, v152, -v19 :: v_dual_add_f32 v9, v9, v33
	v_add_f32_e32 v11, v11, v17
	v_dual_mul_f32 v39, v228, v157 :: v_dual_mul_f32 v41, v206, v159
	s_delay_alu instid0(VALU_DEP_3) | instskip(NEXT) | instid1(VALU_DEP_3)
	v_dual_fmac_f32 v37, v227, v154 :: v_dual_add_f32 v9, v9, v35
	v_dual_fma_f32 v17, v226, v154, -v21 :: v_dual_add_f32 v11, v11, v15
	s_wait_loadcnt 0x4
	v_dual_mov_b32 v130, v169 :: v_dual_fma_f32 v15, v228, v156, -v23
	v_fmac_f32_e32 v39, v229, v156
	v_dual_add_f32 v9, v9, v37 :: v_dual_fmac_f32 v41, v207, v158
	v_add_f32_e32 v11, v11, v17
	v_dual_mul_f32 v245, v208, v161 :: v_dual_mul_f32 v247, v178, v163
	s_delay_alu instid0(VALU_DEP_3) | instskip(NEXT) | instid1(VALU_DEP_2)
	v_dual_fma_f32 v17, v206, v158, -v25 :: v_dual_add_f32 v9, v9, v39
	v_dual_add_f32 v11, v11, v15 :: v_dual_fmac_f32 v245, v209, v160
	v_fma_f32 v244, v208, v160, -v27
	v_pk_mul_f32 v[126:127], v[236:237], v[126:127] op_sel_hi:[1,0]
	s_delay_alu instid0(VALU_DEP_4)
	v_add_f32_e32 v135, v9, v41
	s_wait_loadcnt 0x3
	v_dual_add_f32 v134, v11, v17 :: v_dual_mov_b32 v136, v173
	v_pk_mul_f32 v[128:129], v[182:183], v[166:167] op_sel:[1,1] op_sel_hi:[0,1]
	v_dual_fmac_f32 v247, v179, v162 :: v_dual_fma_f32 v246, v178, v162, -v13
	v_pk_fma_f32 v[138:139], v[180:181], v[164:165], v[126:127] op_sel_hi:[1,0,1]
	s_delay_alu instid0(VALU_DEP_4)
	v_pk_add_f32 v[134:135], v[134:135], v[244:245]
	v_pk_fma_f32 v[126:127], v[180:181], v[164:165], v[126:127] neg_lo:[0,0,1] neg_hi:[0,0,1]
	v_pk_fma_f32 v[140:141], v[182:183], v[166:167], v[128:129] op_sel_hi:[1,0,1]
	v_pk_mul_f32 v[130:131], v[238:239], v[130:131] op_sel_hi:[1,0]
	v_mov_b32_e32 v127, v139
	v_pk_add_f32 v[134:135], v[134:135], v[246:247]
	v_pk_fma_f32 v[128:129], v[182:183], v[166:167], v[128:129] neg_lo:[0,0,1] neg_hi:[0,0,1]
	v_pk_mul_f32 v[132:133], v[186:187], v[170:171] op_sel:[1,1] op_sel_hi:[0,1]
	v_mov_b32_e32 v129, v141
	v_pk_fma_f32 v[140:141], v[184:185], v[168:169], v[130:131] op_sel_hi:[1,0,1]
	v_pk_add_f32 v[126:127], v[134:135], v[126:127]
	v_pk_fma_f32 v[130:131], v[184:185], v[168:169], v[130:131] neg_lo:[0,0,1] neg_hi:[0,0,1]
	v_pk_fma_f32 v[134:135], v[186:187], v[170:171], v[132:133] op_sel_hi:[1,0,1]
	v_pk_mul_f32 v[136:137], v[240:241], v[136:137] op_sel_hi:[1,0]
	v_mov_b32_e32 v131, v141
	v_pk_add_f32 v[126:127], v[126:127], v[128:129]
	v_pk_fma_f32 v[132:133], v[186:187], v[170:171], v[132:133] neg_lo:[0,0,1] neg_hi:[0,0,1]
	s_wait_loadcnt 0x2
	v_pk_mul_f32 v[138:139], v[190:191], v[174:175] op_sel:[1,1] op_sel_hi:[0,1]
	v_dual_mov_b32 v128, v177 :: v_dual_mov_b32 v133, v135
	v_pk_fma_f32 v[134:135], v[188:189], v[172:173], v[136:137] op_sel_hi:[1,0,1]
	v_pk_add_f32 v[126:127], v[126:127], v[130:131]
	v_pk_fma_f32 v[136:137], v[188:189], v[172:173], v[136:137] neg_lo:[0,0,1] neg_hi:[0,0,1]
	v_pk_fma_f32 v[130:131], v[190:191], v[174:175], v[138:139] op_sel_hi:[1,0,1]
	v_pk_mul_f32 v[128:129], v[242:243], v[128:129] op_sel_hi:[1,0]
	v_mov_b32_e32 v137, v135
	v_pk_add_f32 v[126:127], v[126:127], v[132:133]
	v_pk_fma_f32 v[132:133], v[190:191], v[174:175], v[138:139] neg_lo:[0,0,1] neg_hi:[0,0,1]
	v_mov_b32_e32 v133, v131
	v_pk_fma_f32 v[130:131], v[192:193], v[176:177], v[128:129] op_sel_hi:[1,0,1]
	s_wait_loadcnt_dscnt 0x100
	v_pk_mul_f32 v[134:135], v[234:235], v[230:231] op_sel:[1,1] op_sel_hi:[0,1]
	v_pk_add_f32 v[126:127], v[126:127], v[136:137]
	v_pk_fma_f32 v[128:129], v[192:193], v[176:177], v[128:129] neg_lo:[0,0,1] neg_hi:[0,0,1]
	v_mov_b32_e32 v129, v131
	s_delay_alu instid0(VALU_DEP_4) | instskip(NEXT) | instid1(VALU_DEP_4)
	v_pk_fma_f32 v[130:131], v[234:235], v[230:231], v[134:135] op_sel_hi:[1,0,1]
	v_pk_add_f32 v[126:127], v[126:127], v[132:133]
	v_pk_fma_f32 v[132:133], v[234:235], v[230:231], v[134:135] neg_lo:[0,0,1] neg_hi:[0,0,1]
	s_delay_alu instid0(VALU_DEP_3) | instskip(NEXT) | instid1(VALU_DEP_3)
	v_mov_b32_e32 v133, v131
	v_pk_add_f32 v[126:127], v[126:127], v[128:129]
	s_delay_alu instid0(VALU_DEP_1) | instskip(SKIP_1) | instid1(VALU_DEP_1)
	v_pk_add_f32 v[126:127], v[126:127], v[132:133]
	s_wait_loadcnt 0x0
	v_pk_add_f32 v[126:127], v[232:233], v[126:127] neg_lo:[0,1] neg_hi:[0,1]
	scratch_store_b64 off, v[126:127], off offset:272
	s_wait_xcnt 0x0
	v_cmpx_lt_u32_e32 33, v0
	s_cbranch_execz .LBB61_319
; %bb.318:
	scratch_load_b64 v[126:127], off, off offset:264
	v_mov_b64_e32 v[128:129], 0
	scratch_store_b64 off, v[128:129], off offset:264
	s_wait_loadcnt 0x0
	ds_store_b64 v1, v[126:127]
.LBB61_319:
	s_wait_xcnt 0x0
	s_or_b32 exec_lo, exec_lo, s0
	s_wait_storecnt_dscnt 0x0
	s_barrier_signal -1
	s_barrier_wait -1
	s_clause 0xe
	scratch_load_b128 v[126:129], off, off offset:272
	scratch_load_b128 v[130:133], off, off offset:288
	;; [unrolled: 1-line block ×14, first 2 shown]
	scratch_load_b64 v[238:239], off, off offset:264
	ds_load_b128 v[182:185], v7 offset:928
	ds_load_b128 v[186:189], v7 offset:944
	;; [unrolled: 1-line block ×14, first 2 shown]
	s_mov_b32 s0, exec_lo
	s_wait_dscnt 0xd
	v_dual_mov_b32 v240, v185 :: v_dual_mov_b32 v241, v184
	s_wait_dscnt 0xc
	v_dual_mov_b32 v242, v189 :: v_dual_mov_b32 v243, v188
	;; [unrolled: 2-line block ×4, first 2 shown]
	s_wait_loadcnt_dscnt 0xe09
	v_dual_mul_f32 v7, v198, v127 :: v_dual_mul_f32 v9, v200, v129
	v_dual_mul_f32 v43, v199, v127 :: v_dual_mul_f32 v45, v201, v129
	s_wait_loadcnt_dscnt 0xd08
	v_dual_mul_f32 v11, v202, v131 :: v_dual_mul_f32 v13, v204, v133
	s_delay_alu instid0(VALU_DEP_3) | instskip(SKIP_3) | instid1(VALU_DEP_3)
	v_dual_fmac_f32 v7, v199, v126 :: v_dual_fmac_f32 v9, v201, v128
	s_wait_loadcnt_dscnt 0xb06
	v_dual_fma_f32 v43, v198, v126, -v43 :: v_dual_mul_f32 v55, v211, v139
	v_dual_mul_f32 v47, v203, v131 :: v_dual_mul_f32 v49, v205, v133
	v_dual_fma_f32 v45, v200, v128, -v45 :: v_dual_add_f32 v7, 0, v7
	s_delay_alu instid0(VALU_DEP_3) | instskip(SKIP_1) | instid1(VALU_DEP_3)
	v_dual_add_f32 v43, 0, v43 :: v_dual_mul_f32 v57, v213, v141
	v_dual_fmac_f32 v11, v203, v130 :: v_dual_fmac_f32 v13, v205, v132
	v_dual_fma_f32 v47, v202, v130, -v47 :: v_dual_add_f32 v7, v7, v9
	s_delay_alu instid0(VALU_DEP_3) | instskip(SKIP_2) | instid1(VALU_DEP_4)
	v_dual_add_f32 v9, v43, v45 :: v_dual_fma_f32 v45, v204, v132, -v49
	v_dual_mul_f32 v15, v206, v135 :: v_dual_mul_f32 v17, v208, v137
	v_dual_mul_f32 v51, v207, v135 :: v_dual_mul_f32 v53, v209, v137
	v_add_f32_e32 v7, v7, v11
	s_delay_alu instid0(VALU_DEP_3) | instskip(NEXT) | instid1(VALU_DEP_3)
	v_dual_add_f32 v9, v9, v47 :: v_dual_fmac_f32 v15, v207, v134
	v_fma_f32 v47, v206, v134, -v51
	v_dual_mul_f32 v19, v210, v139 :: v_dual_mul_f32 v21, v212, v141
	s_delay_alu instid0(VALU_DEP_4) | instskip(SKIP_2) | instid1(VALU_DEP_2)
	v_dual_add_f32 v7, v7, v13 :: v_dual_fmac_f32 v17, v209, v136
	s_wait_loadcnt_dscnt 0x904
	v_dual_add_f32 v9, v9, v45 :: v_dual_mul_f32 v13, v219, v147
	v_dual_fma_f32 v45, v208, v136, -v53 :: v_dual_add_f32 v7, v7, v15
	v_mul_f32_e32 v15, v221, v149
	s_delay_alu instid0(VALU_DEP_3) | instskip(NEXT) | instid1(VALU_DEP_3)
	v_dual_add_f32 v9, v9, v47 :: v_dual_fmac_f32 v19, v211, v138
	v_dual_fma_f32 v47, v210, v138, -v55 :: v_dual_add_f32 v7, v7, v17
	v_fmac_f32_e32 v21, v213, v140
	s_wait_loadcnt_dscnt 0x803
	s_delay_alu instid0(VALU_DEP_3) | instskip(SKIP_3) | instid1(VALU_DEP_3)
	v_dual_add_f32 v9, v9, v45 :: v_dual_mul_f32 v17, v223, v151
	v_dual_mul_f32 v23, v214, v143 :: v_dual_mul_f32 v25, v216, v145
	v_dual_mul_f32 v43, v215, v143 :: v_dual_mul_f32 v11, v217, v145
	v_dual_fma_f32 v45, v212, v140, -v57 :: v_dual_add_f32 v7, v7, v19
	v_dual_add_f32 v9, v9, v47 :: v_dual_fmac_f32 v23, v215, v142
	s_delay_alu instid0(VALU_DEP_3) | instskip(NEXT) | instid1(VALU_DEP_3)
	v_dual_mul_f32 v19, v225, v153 :: v_dual_fma_f32 v43, v214, v142, -v43
	v_dual_add_f32 v7, v7, v21 :: v_dual_fmac_f32 v25, v217, v144
	s_wait_loadcnt_dscnt 0x702
	s_delay_alu instid0(VALU_DEP_3) | instskip(SKIP_1) | instid1(VALU_DEP_3)
	v_dual_add_f32 v9, v9, v45 :: v_dual_mul_f32 v21, v227, v155
	v_dual_mul_f32 v27, v218, v147 :: v_dual_mul_f32 v29, v220, v149
	v_dual_fma_f32 v11, v216, v144, -v11 :: v_dual_add_f32 v7, v7, v23
	s_delay_alu instid0(VALU_DEP_2) | instskip(SKIP_1) | instid1(VALU_DEP_2)
	v_dual_add_f32 v9, v9, v43 :: v_dual_fmac_f32 v27, v219, v146
	v_dual_mul_f32 v23, v229, v157 :: v_dual_fma_f32 v13, v218, v146, -v13
	v_dual_add_f32 v7, v7, v25 :: v_dual_add_f32 v9, v9, v11
	v_dual_mul_f32 v31, v222, v151 :: v_dual_mul_f32 v33, v224, v153
	s_wait_loadcnt_dscnt 0x601
	v_dual_mul_f32 v11, v231, v159 :: v_dual_fmac_f32 v29, v221, v148
	s_delay_alu instid0(VALU_DEP_3) | instskip(NEXT) | instid1(VALU_DEP_3)
	v_dual_fma_f32 v15, v220, v148, -v15 :: v_dual_add_f32 v7, v7, v27
	v_dual_add_f32 v9, v9, v13 :: v_dual_fmac_f32 v31, v223, v150
	v_dual_mul_f32 v13, v233, v161 :: v_dual_fma_f32 v17, v222, v150, -v17
	s_delay_alu instid0(VALU_DEP_2) | instskip(SKIP_3) | instid1(VALU_DEP_3)
	v_dual_add_f32 v7, v7, v29 :: v_dual_add_f32 v9, v9, v15
	v_dual_mul_f32 v35, v226, v155 :: v_dual_mul_f32 v37, v228, v157
	s_wait_loadcnt_dscnt 0x500
	v_dual_mul_f32 v15, v235, v163 :: v_dual_fmac_f32 v33, v225, v152
	v_dual_fma_f32 v19, v224, v152, -v19 :: v_dual_add_f32 v7, v7, v31
	s_delay_alu instid0(VALU_DEP_3) | instskip(SKIP_1) | instid1(VALU_DEP_2)
	v_dual_add_f32 v9, v9, v17 :: v_dual_fmac_f32 v35, v227, v154
	v_dual_mul_f32 v17, v237, v165 :: v_dual_fma_f32 v21, v226, v154, -v21
	v_dual_add_f32 v7, v7, v33 :: v_dual_add_f32 v9, v9, v19
	v_dual_mul_f32 v39, v230, v159 :: v_dual_mul_f32 v41, v232, v161
	v_dual_fmac_f32 v37, v229, v156 :: v_dual_fma_f32 v19, v228, v156, -v23
	s_delay_alu instid0(VALU_DEP_3) | instskip(SKIP_1) | instid1(VALU_DEP_3)
	v_dual_add_f32 v7, v7, v35 :: v_dual_add_f32 v9, v9, v21
	s_wait_loadcnt 0x4
	v_dual_mov_b32 v128, v169 :: v_dual_fmac_f32 v39, v231, v158
	s_delay_alu instid0(VALU_DEP_2) | instskip(NEXT) | instid1(VALU_DEP_3)
	v_dual_fma_f32 v11, v230, v158, -v11 :: v_dual_add_f32 v7, v7, v37
	v_dual_add_f32 v9, v9, v19 :: v_dual_fma_f32 v13, v232, v160, -v13
	v_dual_mul_f32 v249, v234, v163 :: v_dual_mul_f32 v251, v236, v165
	s_delay_alu instid0(VALU_DEP_3) | instskip(NEXT) | instid1(VALU_DEP_2)
	v_dual_fmac_f32 v41, v233, v160 :: v_dual_add_f32 v7, v7, v39
	v_dual_add_f32 v9, v9, v11 :: v_dual_fmac_f32 v249, v235, v162
	v_pk_mul_f32 v[126:127], v[182:183], v[166:167] op_sel:[1,1] op_sel_hi:[0,1]
	s_wait_loadcnt 0x3
	v_dual_mov_b32 v132, v173 :: v_dual_fma_f32 v248, v234, v162, -v15
	v_dual_add_f32 v135, v7, v41 :: v_dual_fmac_f32 v251, v237, v164
	v_dual_add_f32 v134, v9, v13 :: v_dual_fma_f32 v250, v236, v164, -v17
	v_pk_fma_f32 v[136:137], v[182:183], v[166:167], v[126:127] op_sel_hi:[1,0,1]
	v_pk_mul_f32 v[128:129], v[240:241], v[128:129] op_sel_hi:[1,0]
	v_pk_fma_f32 v[126:127], v[182:183], v[166:167], v[126:127] neg_lo:[0,0,1] neg_hi:[0,0,1]
	s_delay_alu instid0(VALU_DEP_4)
	v_pk_add_f32 v[134:135], v[134:135], v[248:249]
	v_pk_mul_f32 v[130:131], v[186:187], v[170:171] op_sel:[1,1] op_sel_hi:[0,1]
	v_mov_b32_e32 v127, v137
	v_pk_fma_f32 v[136:137], v[184:185], v[168:169], v[128:129] op_sel_hi:[1,0,1]
	v_pk_fma_f32 v[128:129], v[184:185], v[168:169], v[128:129] neg_lo:[0,0,1] neg_hi:[0,0,1]
	v_pk_add_f32 v[134:135], v[134:135], v[250:251]
	v_pk_fma_f32 v[140:141], v[186:187], v[170:171], v[130:131] op_sel_hi:[1,0,1]
	v_pk_mul_f32 v[132:133], v[242:243], v[132:133] op_sel_hi:[1,0]
	v_mov_b32_e32 v129, v137
	s_wait_loadcnt 0x2
	v_pk_mul_f32 v[138:139], v[190:191], v[174:175] op_sel:[1,1] op_sel_hi:[0,1]
	v_pk_add_f32 v[126:127], v[134:135], v[126:127]
	v_mov_b32_e32 v134, v177
	v_pk_fma_f32 v[130:131], v[186:187], v[170:171], v[130:131] neg_lo:[0,0,1] neg_hi:[0,0,1]
	v_mov_b32_e32 v131, v141
	v_pk_fma_f32 v[136:137], v[188:189], v[172:173], v[132:133] op_sel_hi:[1,0,1]
	v_pk_add_f32 v[126:127], v[126:127], v[128:129]
	v_pk_fma_f32 v[128:129], v[190:191], v[174:175], v[138:139] op_sel_hi:[1,0,1]
	v_pk_mul_f32 v[134:135], v[244:245], v[134:135] op_sel_hi:[1,0]
	v_pk_fma_f32 v[132:133], v[188:189], v[172:173], v[132:133] neg_lo:[0,0,1] neg_hi:[0,0,1]
	v_mov_b32_e32 v133, v137
	v_pk_add_f32 v[126:127], v[126:127], v[130:131]
	v_pk_fma_f32 v[136:137], v[190:191], v[174:175], v[138:139] neg_lo:[0,0,1] neg_hi:[0,0,1]
	v_mov_b32_e32 v137, v129
	v_pk_fma_f32 v[128:129], v[192:193], v[176:177], v[134:135] op_sel_hi:[1,0,1]
	s_wait_loadcnt 0x1
	v_pk_mul_f32 v[130:131], v[194:195], v[178:179] op_sel:[1,1] op_sel_hi:[0,1]
	v_pk_add_f32 v[126:127], v[126:127], v[132:133]
	v_mov_b32_e32 v128, v181
	v_pk_fma_f32 v[134:135], v[192:193], v[176:177], v[134:135] neg_lo:[0,0,1] neg_hi:[0,0,1]
	v_mov_b32_e32 v135, v129
	v_pk_fma_f32 v[132:133], v[194:195], v[178:179], v[130:131] op_sel_hi:[1,0,1]
	v_pk_add_f32 v[126:127], v[126:127], v[136:137]
	v_pk_mul_f32 v[128:129], v[246:247], v[128:129] op_sel_hi:[1,0]
	v_pk_fma_f32 v[130:131], v[194:195], v[178:179], v[130:131] neg_lo:[0,0,1] neg_hi:[0,0,1]
	s_delay_alu instid0(VALU_DEP_4) | instskip(NEXT) | instid1(VALU_DEP_4)
	v_mov_b32_e32 v131, v133
	v_pk_add_f32 v[126:127], v[126:127], v[134:135]
	s_delay_alu instid0(VALU_DEP_4) | instskip(SKIP_1) | instid1(VALU_DEP_2)
	v_pk_fma_f32 v[132:133], v[196:197], v[180:181], v[128:129] op_sel_hi:[1,0,1]
	v_pk_fma_f32 v[128:129], v[196:197], v[180:181], v[128:129] neg_lo:[0,0,1] neg_hi:[0,0,1]
	v_mov_b32_e32 v129, v133
	s_delay_alu instid0(VALU_DEP_4) | instskip(NEXT) | instid1(VALU_DEP_1)
	v_pk_add_f32 v[126:127], v[126:127], v[130:131]
	v_pk_add_f32 v[126:127], v[126:127], v[128:129]
	s_wait_loadcnt 0x0
	s_delay_alu instid0(VALU_DEP_1)
	v_pk_add_f32 v[126:127], v[238:239], v[126:127] neg_lo:[0,1] neg_hi:[0,1]
	scratch_store_b64 off, v[126:127], off offset:264
	s_wait_xcnt 0x0
	v_cmpx_lt_u32_e32 32, v0
	s_cbranch_execz .LBB61_321
; %bb.320:
	scratch_load_b64 v[126:127], off, off offset:256
	v_mov_b64_e32 v[128:129], 0
	scratch_store_b64 off, v[128:129], off offset:256
	s_wait_loadcnt 0x0
	ds_store_b64 v1, v[126:127]
.LBB61_321:
	s_wait_xcnt 0x0
	s_or_b32 exec_lo, exec_lo, s0
	s_wait_storecnt_dscnt 0x0
	s_barrier_signal -1
	s_barrier_wait -1
	s_clause 0xf
	scratch_load_b128 v[126:129], off, off offset:264
	scratch_load_b128 v[130:133], off, off offset:280
	;; [unrolled: 1-line block ×14, first 2 shown]
	scratch_load_b64 v[238:239], off, off offset:488
	scratch_load_b64 v[240:241], off, off offset:256
	v_mov_b32_e32 v7, 0
	ds_load_2addr_b64 v[182:185], v7 offset0:115 offset1:116
	ds_load_2addr_b64 v[186:189], v7 offset0:117 offset1:118
	;; [unrolled: 1-line block ×14, first 2 shown]
	ds_load_b64 v[242:243], v7 offset:984
	s_mov_b32 s0, exec_lo
	s_wait_dscnt 0xe
	v_dual_mov_b32 v244, v185 :: v_dual_mov_b32 v245, v184
	s_wait_dscnt 0xb
	v_dual_mov_b32 v246, v189 :: v_dual_mov_b32 v251, v196
	v_dual_mov_b32 v247, v188 :: v_dual_mov_b32 v248, v193
	v_dual_mov_b32 v249, v192 :: v_dual_mov_b32 v250, v197
	s_wait_loadcnt_dscnt 0xf0a
	v_dual_mul_f32 v9, v198, v127 :: v_dual_mul_f32 v47, v199, v127
	v_dual_mul_f32 v49, v201, v129 :: v_dual_mul_f32 v11, v200, v129
	s_wait_loadcnt_dscnt 0xe09
	v_mul_f32_e32 v13, v202, v131
	s_wait_loadcnt_dscnt 0xc07
	v_dual_mul_f32 v59, v211, v139 :: v_dual_fma_f32 v47, v198, v126, -v47
	v_dual_fmac_f32 v9, v199, v126 :: v_dual_mul_f32 v61, v213, v141
	v_dual_mul_f32 v51, v203, v131 :: v_dual_mul_f32 v53, v205, v133
	v_dual_fmac_f32 v11, v201, v128 :: v_dual_fma_f32 v49, v200, v128, -v49
	s_delay_alu instid0(VALU_DEP_3) | instskip(SKIP_3) | instid1(VALU_DEP_3)
	v_dual_add_f32 v9, 0, v9 :: v_dual_add_f32 v47, 0, v47
	v_dual_mul_f32 v15, v204, v133 :: v_dual_mul_f32 v17, v206, v135
	s_wait_loadcnt_dscnt 0xb06
	v_dual_mul_f32 v63, v215, v143 :: v_dual_fma_f32 v51, v202, v130, -v51
	v_dual_fmac_f32 v13, v203, v130 :: v_dual_add_f32 v9, v9, v11
	s_delay_alu instid0(VALU_DEP_3) | instskip(SKIP_2) | instid1(VALU_DEP_3)
	v_dual_add_f32 v11, v47, v49 :: v_dual_fmac_f32 v15, v205, v132
	v_dual_mul_f32 v55, v207, v135 :: v_dual_mul_f32 v57, v209, v137
	v_dual_mul_f32 v47, v217, v145 :: v_dual_fma_f32 v49, v204, v132, -v53
	v_dual_add_f32 v9, v9, v13 :: v_dual_add_f32 v11, v11, v51
	v_dual_mul_f32 v19, v208, v137 :: v_dual_mul_f32 v21, v210, v139
	s_wait_loadcnt_dscnt 0xa05
	v_dual_mul_f32 v13, v219, v147 :: v_dual_fma_f32 v51, v206, v134, -v55
	s_delay_alu instid0(VALU_DEP_3) | instskip(NEXT) | instid1(VALU_DEP_3)
	v_dual_fmac_f32 v17, v207, v134 :: v_dual_add_f32 v9, v9, v15
	v_dual_add_f32 v11, v11, v49 :: v_dual_fmac_f32 v19, v209, v136
	v_dual_mul_f32 v15, v221, v149 :: v_dual_fma_f32 v49, v208, v136, -v57
	s_delay_alu instid0(VALU_DEP_2) | instskip(SKIP_3) | instid1(VALU_DEP_3)
	v_dual_add_f32 v9, v9, v17 :: v_dual_add_f32 v11, v11, v51
	v_dual_mul_f32 v23, v212, v141 :: v_dual_mul_f32 v25, v214, v143
	s_wait_loadcnt_dscnt 0x904
	v_dual_mul_f32 v17, v223, v151 :: v_dual_fma_f32 v51, v210, v138, -v59
	v_dual_fmac_f32 v21, v211, v138 :: v_dual_add_f32 v9, v9, v19
	s_delay_alu instid0(VALU_DEP_3) | instskip(SKIP_1) | instid1(VALU_DEP_2)
	v_dual_add_f32 v11, v11, v49 :: v_dual_fmac_f32 v23, v213, v140
	v_dual_mul_f32 v19, v225, v153 :: v_dual_fma_f32 v49, v212, v140, -v61
	v_dual_add_f32 v9, v9, v21 :: v_dual_add_f32 v11, v11, v51
	v_dual_mul_f32 v27, v216, v145 :: v_dual_mul_f32 v29, v218, v147
	s_wait_loadcnt_dscnt 0x803
	v_dual_mul_f32 v21, v227, v155 :: v_dual_fma_f32 v51, v214, v142, -v63
	s_delay_alu instid0(VALU_DEP_3) | instskip(NEXT) | instid1(VALU_DEP_3)
	v_dual_fmac_f32 v25, v215, v142 :: v_dual_add_f32 v9, v9, v23
	v_dual_add_f32 v11, v11, v49 :: v_dual_fmac_f32 v27, v217, v144
	v_dual_mul_f32 v23, v229, v157 :: v_dual_fma_f32 v47, v216, v144, -v47
	s_delay_alu instid0(VALU_DEP_2) | instskip(SKIP_3) | instid1(VALU_DEP_3)
	v_dual_add_f32 v9, v9, v25 :: v_dual_add_f32 v11, v11, v51
	v_dual_mul_f32 v31, v220, v149 :: v_dual_mul_f32 v33, v222, v151
	s_wait_loadcnt_dscnt 0x702
	v_dual_mul_f32 v25, v231, v159 :: v_dual_fma_f32 v13, v218, v146, -v13
	v_dual_fmac_f32 v29, v219, v146 :: v_dual_add_f32 v9, v9, v27
	v_dual_add_f32 v11, v11, v47 :: v_dual_mul_f32 v27, v233, v161
	v_fmac_f32_e32 v31, v221, v148
	s_delay_alu instid0(VALU_DEP_3) | instskip(NEXT) | instid1(VALU_DEP_3)
	v_dual_fma_f32 v15, v220, v148, -v15 :: v_dual_add_f32 v9, v9, v29
	v_add_f32_e32 v11, v11, v13
	v_dual_mul_f32 v35, v224, v153 :: v_dual_mul_f32 v37, v226, v155
	s_wait_loadcnt_dscnt 0x601
	v_dual_mul_f32 v13, v235, v163 :: v_dual_fma_f32 v17, v222, v150, -v17
	v_dual_fmac_f32 v33, v223, v150 :: v_dual_add_f32 v9, v9, v31
	v_dual_add_f32 v11, v11, v15 :: v_dual_mul_f32 v15, v237, v165
	v_fmac_f32_e32 v35, v225, v152
	s_delay_alu instid0(VALU_DEP_3) | instskip(NEXT) | instid1(VALU_DEP_3)
	v_dual_fma_f32 v19, v224, v152, -v19 :: v_dual_add_f32 v9, v9, v33
	v_add_f32_e32 v11, v11, v17
	v_dual_mul_f32 v39, v228, v157 :: v_dual_mul_f32 v41, v230, v159
	s_wait_loadcnt 0x5
	v_dual_mul_f32 v17, v183, v167 :: v_dual_fma_f32 v21, v226, v154, -v21
	v_dual_fmac_f32 v37, v227, v154 :: v_dual_add_f32 v9, v9, v35
	v_dual_add_f32 v11, v11, v19 :: v_dual_mov_b32 v126, v169
	v_fmac_f32_e32 v39, v229, v156
	s_delay_alu instid0(VALU_DEP_3) | instskip(NEXT) | instid1(VALU_DEP_3)
	v_dual_fma_f32 v19, v228, v156, -v23 :: v_dual_add_f32 v9, v9, v37
	v_add_f32_e32 v11, v11, v21
	v_dual_mul_f32 v43, v232, v161 :: v_dual_mul_f32 v45, v234, v163
	s_delay_alu instid0(VALU_DEP_3) | instskip(NEXT) | instid1(VALU_DEP_3)
	v_dual_fmac_f32 v41, v231, v158 :: v_dual_add_f32 v9, v9, v39
	v_dual_fma_f32 v21, v230, v158, -v25 :: v_dual_add_f32 v11, v11, v19
	s_wait_loadcnt 0x4
	v_dual_mov_b32 v130, v173 :: v_dual_fma_f32 v19, v232, v160, -v27
	v_fmac_f32_e32 v43, v233, v160
	v_dual_add_f32 v9, v9, v41 :: v_dual_fmac_f32 v45, v235, v162
	v_add_f32_e32 v11, v11, v21
	v_dual_mul_f32 v253, v236, v165 :: v_dual_mul_f32 v255, v182, v167
	s_delay_alu instid0(VALU_DEP_3) | instskip(NEXT) | instid1(VALU_DEP_2)
	v_dual_fma_f32 v13, v234, v162, -v13 :: v_dual_add_f32 v9, v9, v43
	v_dual_add_f32 v11, v11, v19 :: v_dual_fmac_f32 v253, v237, v164
	v_fma_f32 v252, v236, v164, -v15
	v_pk_mul_f32 v[126:127], v[244:245], v[126:127] op_sel_hi:[1,0]
	s_delay_alu instid0(VALU_DEP_4)
	v_add_f32_e32 v135, v9, v45
	s_wait_loadcnt 0x3
	v_dual_add_f32 v134, v11, v13 :: v_dual_mov_b32 v136, v177
	v_pk_mul_f32 v[128:129], v[186:187], v[170:171] op_sel:[1,1] op_sel_hi:[0,1]
	v_dual_fmac_f32 v255, v183, v166 :: v_dual_fma_f32 v254, v182, v166, -v17
	v_pk_fma_f32 v[138:139], v[184:185], v[168:169], v[126:127] op_sel_hi:[1,0,1]
	s_delay_alu instid0(VALU_DEP_4)
	v_pk_add_f32 v[134:135], v[134:135], v[252:253]
	v_pk_fma_f32 v[126:127], v[184:185], v[168:169], v[126:127] neg_lo:[0,0,1] neg_hi:[0,0,1]
	v_pk_fma_f32 v[140:141], v[186:187], v[170:171], v[128:129] op_sel_hi:[1,0,1]
	v_pk_mul_f32 v[130:131], v[246:247], v[130:131] op_sel_hi:[1,0]
	v_mov_b32_e32 v127, v139
	v_pk_add_f32 v[134:135], v[134:135], v[254:255]
	v_pk_fma_f32 v[128:129], v[186:187], v[170:171], v[128:129] neg_lo:[0,0,1] neg_hi:[0,0,1]
	v_pk_mul_f32 v[132:133], v[190:191], v[174:175] op_sel:[1,1] op_sel_hi:[0,1]
	v_mov_b32_e32 v129, v141
	v_pk_fma_f32 v[140:141], v[188:189], v[172:173], v[130:131] op_sel_hi:[1,0,1]
	v_pk_add_f32 v[126:127], v[134:135], v[126:127]
	v_pk_fma_f32 v[130:131], v[188:189], v[172:173], v[130:131] neg_lo:[0,0,1] neg_hi:[0,0,1]
	v_pk_fma_f32 v[134:135], v[190:191], v[174:175], v[132:133] op_sel_hi:[1,0,1]
	v_pk_mul_f32 v[136:137], v[248:249], v[136:137] op_sel_hi:[1,0]
	v_mov_b32_e32 v131, v141
	v_pk_add_f32 v[126:127], v[126:127], v[128:129]
	v_pk_fma_f32 v[132:133], v[190:191], v[174:175], v[132:133] neg_lo:[0,0,1] neg_hi:[0,0,1]
	s_wait_loadcnt 0x2
	v_pk_mul_f32 v[138:139], v[194:195], v[178:179] op_sel:[1,1] op_sel_hi:[0,1]
	v_dual_mov_b32 v128, v181 :: v_dual_mov_b32 v133, v135
	v_pk_fma_f32 v[134:135], v[192:193], v[176:177], v[136:137] op_sel_hi:[1,0,1]
	v_pk_add_f32 v[126:127], v[126:127], v[130:131]
	v_pk_fma_f32 v[136:137], v[192:193], v[176:177], v[136:137] neg_lo:[0,0,1] neg_hi:[0,0,1]
	v_pk_fma_f32 v[130:131], v[194:195], v[178:179], v[138:139] op_sel_hi:[1,0,1]
	v_pk_mul_f32 v[128:129], v[250:251], v[128:129] op_sel_hi:[1,0]
	v_mov_b32_e32 v137, v135
	v_pk_add_f32 v[126:127], v[126:127], v[132:133]
	v_pk_fma_f32 v[132:133], v[194:195], v[178:179], v[138:139] neg_lo:[0,0,1] neg_hi:[0,0,1]
	v_mov_b32_e32 v133, v131
	v_pk_fma_f32 v[130:131], v[196:197], v[180:181], v[128:129] op_sel_hi:[1,0,1]
	s_wait_loadcnt_dscnt 0x100
	v_pk_mul_f32 v[134:135], v[242:243], v[238:239] op_sel:[1,1] op_sel_hi:[0,1]
	v_pk_add_f32 v[126:127], v[126:127], v[136:137]
	v_pk_fma_f32 v[128:129], v[196:197], v[180:181], v[128:129] neg_lo:[0,0,1] neg_hi:[0,0,1]
	v_mov_b32_e32 v129, v131
	s_delay_alu instid0(VALU_DEP_4) | instskip(NEXT) | instid1(VALU_DEP_4)
	v_pk_fma_f32 v[130:131], v[242:243], v[238:239], v[134:135] op_sel_hi:[1,0,1]
	v_pk_add_f32 v[126:127], v[126:127], v[132:133]
	v_pk_fma_f32 v[132:133], v[242:243], v[238:239], v[134:135] neg_lo:[0,0,1] neg_hi:[0,0,1]
	s_delay_alu instid0(VALU_DEP_3) | instskip(NEXT) | instid1(VALU_DEP_3)
	v_mov_b32_e32 v133, v131
	v_pk_add_f32 v[126:127], v[126:127], v[128:129]
	s_delay_alu instid0(VALU_DEP_1) | instskip(SKIP_1) | instid1(VALU_DEP_1)
	v_pk_add_f32 v[126:127], v[126:127], v[132:133]
	s_wait_loadcnt 0x0
	v_pk_add_f32 v[126:127], v[240:241], v[126:127] neg_lo:[0,1] neg_hi:[0,1]
	scratch_store_b64 off, v[126:127], off offset:256
	s_wait_xcnt 0x0
	v_cmpx_lt_u32_e32 31, v0
	s_cbranch_execz .LBB61_323
; %bb.322:
	scratch_load_b64 v[126:127], off, off offset:248
	v_mov_b64_e32 v[128:129], 0
	scratch_store_b64 off, v[128:129], off offset:248
	s_wait_loadcnt 0x0
	ds_store_b64 v1, v[126:127]
.LBB61_323:
	s_wait_xcnt 0x0
	s_or_b32 exec_lo, exec_lo, s0
	s_wait_storecnt_dscnt 0x0
	s_barrier_signal -1
	s_barrier_wait -1
	s_clause 0xf
	scratch_load_b128 v[126:129], off, off offset:256
	scratch_load_b128 v[130:133], off, off offset:272
	;; [unrolled: 1-line block ×15, first 2 shown]
	scratch_load_b64 v[246:247], off, off offset:248
	ds_load_b128 v[186:189], v7 offset:928
	ds_load_b128 v[190:193], v7 offset:944
	;; [unrolled: 1-line block ×15, first 2 shown]
	s_mov_b32 s0, exec_lo
	s_wait_dscnt 0xe
	v_dual_mov_b32 v248, v189 :: v_dual_mov_b32 v249, v188
	s_wait_dscnt 0xd
	v_dual_mov_b32 v250, v193 :: v_dual_mov_b32 v251, v192
	s_wait_dscnt 0xc
	v_dual_mov_b32 v252, v197 :: v_dual_mov_b32 v253, v196
	s_wait_dscnt 0xb
	v_dual_mov_b32 v254, v201 :: v_dual_mov_b32 v255, v200
	s_wait_loadcnt_dscnt 0xf0a
	v_dual_mul_f32 v7, v202, v127 :: v_dual_mul_f32 v9, v204, v129
	v_dual_mul_f32 v47, v203, v127 :: v_dual_mul_f32 v49, v205, v129
	s_wait_loadcnt_dscnt 0xe09
	v_dual_mul_f32 v11, v206, v131 :: v_dual_mul_f32 v13, v208, v133
	s_delay_alu instid0(VALU_DEP_3) | instskip(SKIP_3) | instid1(VALU_DEP_3)
	v_dual_fmac_f32 v7, v203, v126 :: v_dual_fmac_f32 v9, v205, v128
	s_wait_loadcnt_dscnt 0xc06
	v_dual_fma_f32 v47, v202, v126, -v47 :: v_dual_mul_f32 v59, v219, v139
	v_dual_mul_f32 v51, v207, v131 :: v_dual_mul_f32 v53, v209, v133
	v_dual_fma_f32 v49, v204, v128, -v49 :: v_dual_add_f32 v7, 0, v7
	s_delay_alu instid0(VALU_DEP_3) | instskip(SKIP_1) | instid1(VALU_DEP_3)
	v_dual_add_f32 v47, 0, v47 :: v_dual_mul_f32 v61, v221, v141
	v_dual_fmac_f32 v11, v207, v130 :: v_dual_fmac_f32 v13, v209, v132
	v_dual_fma_f32 v51, v206, v130, -v51 :: v_dual_add_f32 v7, v7, v9
	s_delay_alu instid0(VALU_DEP_3) | instskip(SKIP_2) | instid1(VALU_DEP_4)
	v_dual_add_f32 v9, v47, v49 :: v_dual_fma_f32 v49, v208, v132, -v53
	v_dual_mul_f32 v15, v214, v135 :: v_dual_mul_f32 v17, v216, v137
	v_dual_mul_f32 v55, v215, v135 :: v_dual_mul_f32 v57, v217, v137
	v_add_f32_e32 v7, v7, v11
	s_delay_alu instid0(VALU_DEP_3) | instskip(NEXT) | instid1(VALU_DEP_3)
	v_dual_add_f32 v9, v9, v51 :: v_dual_fmac_f32 v15, v215, v134
	v_fma_f32 v51, v214, v134, -v55
	v_dual_mul_f32 v19, v218, v139 :: v_dual_mul_f32 v21, v220, v141
	s_delay_alu instid0(VALU_DEP_4) | instskip(SKIP_2) | instid1(VALU_DEP_2)
	v_dual_add_f32 v7, v7, v13 :: v_dual_fmac_f32 v17, v217, v136
	s_wait_loadcnt_dscnt 0xa04
	v_dual_add_f32 v9, v9, v49 :: v_dual_mul_f32 v13, v227, v147
	v_dual_fma_f32 v49, v216, v136, -v57 :: v_dual_add_f32 v7, v7, v15
	v_mul_f32_e32 v15, v229, v149
	s_delay_alu instid0(VALU_DEP_3) | instskip(NEXT) | instid1(VALU_DEP_3)
	v_dual_add_f32 v9, v9, v51 :: v_dual_fmac_f32 v19, v219, v138
	v_dual_fma_f32 v51, v218, v138, -v59 :: v_dual_add_f32 v7, v7, v17
	v_fmac_f32_e32 v21, v221, v140
	s_wait_loadcnt_dscnt 0x903
	s_delay_alu instid0(VALU_DEP_3) | instskip(SKIP_3) | instid1(VALU_DEP_3)
	v_dual_add_f32 v9, v9, v49 :: v_dual_mul_f32 v17, v231, v151
	v_dual_mul_f32 v23, v222, v143 :: v_dual_mul_f32 v25, v224, v145
	v_dual_mul_f32 v47, v223, v143 :: v_dual_mul_f32 v11, v225, v145
	v_dual_fma_f32 v49, v220, v140, -v61 :: v_dual_add_f32 v7, v7, v19
	v_dual_add_f32 v9, v9, v51 :: v_dual_fmac_f32 v23, v223, v142
	s_delay_alu instid0(VALU_DEP_3) | instskip(NEXT) | instid1(VALU_DEP_3)
	v_dual_mul_f32 v19, v233, v153 :: v_dual_fma_f32 v47, v222, v142, -v47
	v_dual_add_f32 v7, v7, v21 :: v_dual_fmac_f32 v25, v225, v144
	s_wait_loadcnt_dscnt 0x802
	s_delay_alu instid0(VALU_DEP_3) | instskip(SKIP_1) | instid1(VALU_DEP_3)
	v_dual_add_f32 v9, v9, v49 :: v_dual_mul_f32 v21, v235, v155
	v_dual_mul_f32 v27, v226, v147 :: v_dual_mul_f32 v29, v228, v149
	v_dual_fma_f32 v11, v224, v144, -v11 :: v_dual_add_f32 v7, v7, v23
	s_delay_alu instid0(VALU_DEP_2) | instskip(SKIP_1) | instid1(VALU_DEP_2)
	v_dual_add_f32 v9, v9, v47 :: v_dual_fmac_f32 v27, v227, v146
	v_dual_mul_f32 v23, v237, v157 :: v_dual_fma_f32 v13, v226, v146, -v13
	v_dual_add_f32 v7, v7, v25 :: v_dual_add_f32 v9, v9, v11
	v_dual_mul_f32 v31, v230, v151 :: v_dual_mul_f32 v33, v232, v153
	s_wait_loadcnt_dscnt 0x701
	v_dual_mul_f32 v11, v239, v159 :: v_dual_fmac_f32 v29, v229, v148
	s_delay_alu instid0(VALU_DEP_3) | instskip(NEXT) | instid1(VALU_DEP_3)
	v_dual_fma_f32 v15, v228, v148, -v15 :: v_dual_add_f32 v7, v7, v27
	v_dual_add_f32 v9, v9, v13 :: v_dual_fmac_f32 v31, v231, v150
	v_dual_mul_f32 v13, v241, v161 :: v_dual_fma_f32 v17, v230, v150, -v17
	s_delay_alu instid0(VALU_DEP_2) | instskip(SKIP_3) | instid1(VALU_DEP_3)
	v_dual_add_f32 v7, v7, v29 :: v_dual_add_f32 v9, v9, v15
	v_dual_mul_f32 v35, v234, v155 :: v_dual_mul_f32 v37, v236, v157
	s_wait_loadcnt_dscnt 0x600
	v_dual_mul_f32 v15, v243, v163 :: v_dual_fmac_f32 v33, v233, v152
	v_dual_fma_f32 v19, v232, v152, -v19 :: v_dual_add_f32 v7, v7, v31
	s_delay_alu instid0(VALU_DEP_3) | instskip(SKIP_1) | instid1(VALU_DEP_2)
	v_dual_add_f32 v9, v9, v17 :: v_dual_fmac_f32 v35, v235, v154
	v_dual_mul_f32 v17, v245, v165 :: v_dual_fma_f32 v21, v234, v154, -v21
	v_dual_add_f32 v7, v7, v33 :: v_dual_add_f32 v9, v9, v19
	v_dual_mul_f32 v39, v238, v159 :: v_dual_mul_f32 v41, v240, v161
	s_wait_loadcnt 0x5
	v_dual_mul_f32 v19, v211, v167 :: v_dual_fmac_f32 v37, v237, v156
	s_delay_alu instid0(VALU_DEP_3) | instskip(NEXT) | instid1(VALU_DEP_3)
	v_dual_fma_f32 v23, v236, v156, -v23 :: v_dual_add_f32 v7, v7, v35
	v_dual_add_f32 v9, v9, v21 :: v_dual_fmac_f32 v39, v239, v158
	v_dual_mul_f32 v21, v213, v169 :: v_dual_fma_f32 v11, v238, v158, -v11
	s_delay_alu instid0(VALU_DEP_2) | instskip(SKIP_1) | instid1(VALU_DEP_2)
	v_dual_add_f32 v7, v7, v37 :: v_dual_add_f32 v9, v9, v23
	v_dual_mul_f32 v43, v242, v163 :: v_dual_mul_f32 v45, v244, v165
	v_dual_fmac_f32 v41, v241, v160 :: v_dual_add_f32 v7, v7, v39
	s_delay_alu instid0(VALU_DEP_3) | instskip(SKIP_1) | instid1(VALU_DEP_3)
	v_dual_fma_f32 v13, v240, v160, -v13 :: v_dual_add_f32 v9, v9, v11
	s_wait_loadcnt 0x4
	v_dual_mov_b32 v128, v173 :: v_dual_fmac_f32 v43, v243, v162
	s_delay_alu instid0(VALU_DEP_3) | instskip(NEXT) | instid1(VALU_DEP_3)
	v_dual_fma_f32 v11, v242, v162, -v15 :: v_dual_add_f32 v7, v7, v41
	v_dual_add_f32 v9, v9, v13 :: v_dual_fma_f32 v13, v244, v164, -v17
	s_set_vgpr_msb 64                       ;  msbs: dst=1 src0=0 src1=0 src2=0
	v_dual_mul_f32 v1 /*v257*/, v210, v167 :: v_dual_mul_f32 v3 /*v259*/, v212, v169
	s_set_vgpr_msb 0                        ;  msbs: dst=0 src0=0 src1=0 src2=0
	v_dual_fmac_f32 v45, v245, v164 :: v_dual_add_f32 v7, v7, v43
	v_add_f32_e32 v9, v9, v11
	v_pk_mul_f32 v[126:127], v[186:187], v[170:171] op_sel:[1,1] op_sel_hi:[0,1]
	s_set_vgpr_msb 64                       ;  msbs: dst=1 src0=0 src1=0 src2=0
	v_dual_fmac_f32 v1 /*v257*/, v211, v166 :: v_dual_fmac_f32 v3 /*v259*/, v213, v168
	v_dual_fma_f32 v0 /*v256*/, v210, v166, -v19 :: v_dual_fma_f32 v2 /*v258*/, v212, v168, -v21
	s_set_vgpr_msb 0                        ;  msbs: dst=0 src0=0 src1=0 src2=0
	v_add_f32_e32 v135, v7, v45
	v_add_f32_e32 v134, v9, v13
	v_pk_fma_f32 v[136:137], v[186:187], v[170:171], v[126:127] op_sel_hi:[1,0,1]
	v_pk_mul_f32 v[128:129], v[248:249], v[128:129] op_sel_hi:[1,0]
	v_pk_fma_f32 v[126:127], v[186:187], v[170:171], v[126:127] neg_lo:[0,0,1] neg_hi:[0,0,1]
	s_wait_loadcnt 0x3
	v_pk_mul_f32 v[130:131], v[190:191], v[174:175] op_sel:[1,1] op_sel_hi:[0,1]
	s_set_vgpr_msb 4                        ;  msbs: dst=0 src0=0 src1=1 src2=0
	v_pk_add_f32 v[134:135], v[134:135], v[0:1] /*v[256:257]*/
	v_dual_mov_b32 v132, v177 :: v_dual_mov_b32 v127, v137
	s_set_vgpr_msb 0                        ;  msbs: dst=0 src0=0 src1=0 src2=0
	v_pk_fma_f32 v[136:137], v[188:189], v[172:173], v[128:129] op_sel_hi:[1,0,1]
	v_pk_fma_f32 v[128:129], v[188:189], v[172:173], v[128:129] neg_lo:[0,0,1] neg_hi:[0,0,1]
	s_set_vgpr_msb 4                        ;  msbs: dst=0 src0=0 src1=1 src2=0
	v_pk_add_f32 v[134:135], v[134:135], v[2:3] /*v[258:259]*/
	s_set_vgpr_msb 0                        ;  msbs: dst=0 src0=0 src1=0 src2=0
	v_pk_fma_f32 v[140:141], v[190:191], v[174:175], v[130:131] op_sel_hi:[1,0,1]
	v_pk_mul_f32 v[132:133], v[250:251], v[132:133] op_sel_hi:[1,0]
	v_mov_b32_e32 v129, v137
	s_wait_loadcnt 0x2
	v_pk_mul_f32 v[138:139], v[194:195], v[178:179] op_sel:[1,1] op_sel_hi:[0,1]
	v_pk_add_f32 v[126:127], v[134:135], v[126:127]
	v_mov_b32_e32 v134, v181
	v_pk_fma_f32 v[130:131], v[190:191], v[174:175], v[130:131] neg_lo:[0,0,1] neg_hi:[0,0,1]
	v_pk_fma_f32 v[136:137], v[192:193], v[176:177], v[132:133] op_sel_hi:[1,0,1]
	v_mov_b32_e32 v131, v141
	v_pk_add_f32 v[126:127], v[126:127], v[128:129]
	v_pk_fma_f32 v[128:129], v[194:195], v[178:179], v[138:139] op_sel_hi:[1,0,1]
	v_pk_mul_f32 v[134:135], v[252:253], v[134:135] op_sel_hi:[1,0]
	v_pk_fma_f32 v[132:133], v[192:193], v[176:177], v[132:133] neg_lo:[0,0,1] neg_hi:[0,0,1]
	v_mov_b32_e32 v133, v137
	v_pk_add_f32 v[126:127], v[126:127], v[130:131]
	v_pk_fma_f32 v[136:137], v[194:195], v[178:179], v[138:139] neg_lo:[0,0,1] neg_hi:[0,0,1]
	v_mov_b32_e32 v137, v129
	v_pk_fma_f32 v[128:129], v[196:197], v[180:181], v[134:135] op_sel_hi:[1,0,1]
	s_wait_loadcnt 0x1
	v_pk_mul_f32 v[130:131], v[198:199], v[182:183] op_sel:[1,1] op_sel_hi:[0,1]
	v_pk_add_f32 v[126:127], v[126:127], v[132:133]
	v_mov_b32_e32 v128, v185
	v_pk_fma_f32 v[134:135], v[196:197], v[180:181], v[134:135] neg_lo:[0,0,1] neg_hi:[0,0,1]
	s_delay_alu instid0(VALU_DEP_4)
	v_pk_fma_f32 v[132:133], v[198:199], v[182:183], v[130:131] op_sel_hi:[1,0,1]
	v_mov_b32_e32 v135, v129
	v_pk_add_f32 v[126:127], v[126:127], v[136:137]
	v_pk_mul_f32 v[128:129], v[254:255], v[128:129] op_sel_hi:[1,0]
	v_pk_fma_f32 v[130:131], v[198:199], v[182:183], v[130:131] neg_lo:[0,0,1] neg_hi:[0,0,1]
	v_mov_b32_e32 v131, v133
	s_delay_alu instid0(VALU_DEP_4) | instskip(NEXT) | instid1(VALU_DEP_4)
	v_pk_add_f32 v[126:127], v[126:127], v[134:135]
	v_pk_fma_f32 v[132:133], v[200:201], v[184:185], v[128:129] op_sel_hi:[1,0,1]
	v_pk_fma_f32 v[128:129], v[200:201], v[184:185], v[128:129] neg_lo:[0,0,1] neg_hi:[0,0,1]
	s_delay_alu instid0(VALU_DEP_3) | instskip(NEXT) | instid1(VALU_DEP_3)
	v_pk_add_f32 v[126:127], v[126:127], v[130:131]
	v_mov_b32_e32 v129, v133
	s_delay_alu instid0(VALU_DEP_1) | instskip(SKIP_1) | instid1(VALU_DEP_1)
	v_pk_add_f32 v[126:127], v[126:127], v[128:129]
	s_wait_loadcnt 0x0
	v_pk_add_f32 v[126:127], v[246:247], v[126:127] neg_lo:[0,1] neg_hi:[0,1]
	scratch_store_b64 off, v[126:127], off offset:248
	s_wait_xcnt 0x0
	v_cmpx_lt_u32_e32 30, v0
	s_cbranch_execz .LBB61_325
; %bb.324:
	scratch_load_b64 v[126:127], off, off offset:240
	v_mov_b64_e32 v[128:129], 0
	scratch_store_b64 off, v[128:129], off offset:240
	s_wait_loadcnt 0x0
	ds_store_b64 v1, v[126:127]
.LBB61_325:
	s_wait_xcnt 0x0
	s_or_b32 exec_lo, exec_lo, s0
	s_wait_storecnt_dscnt 0x0
	s_barrier_signal -1
	s_barrier_wait -1
	s_clause 0x10
	scratch_load_b128 v[126:129], off, off offset:248
	scratch_load_b128 v[130:133], off, off offset:264
	;; [unrolled: 1-line block ×15, first 2 shown]
	scratch_load_b64 v[246:247], off, off offset:488
	scratch_load_b64 v[248:249], off, off offset:240
	v_mov_b32_e32 v7, 0
	ds_load_2addr_b64 v[186:189], v7 offset0:115 offset1:116
	ds_load_2addr_b64 v[190:193], v7 offset0:117 offset1:118
	;; [unrolled: 1-line block ×15, first 2 shown]
	ds_load_b64 v[250:251], v7 offset:984
	s_mov_b32 s0, exec_lo
	s_wait_dscnt 0xe
	v_dual_mov_b32 v252, v189 :: v_dual_mov_b32 v255, v192
	v_dual_mov_b32 v253, v188 :: v_dual_mov_b32 v254, v193
	s_wait_dscnt 0xd
	s_set_vgpr_msb 64                       ;  msbs: dst=1 src0=0 src1=0 src2=0
	v_dual_mov_b32 v0 /*v256*/, v197 :: v_dual_mov_b32 v1 /*v257*/, v196
	s_wait_dscnt 0xc
	v_dual_mov_b32 v2 /*v258*/, v201 :: v_dual_mov_b32 v3 /*v259*/, v200
	s_wait_loadcnt_dscnt 0x100b
	s_set_vgpr_msb 0                        ;  msbs: dst=0 src0=0 src1=0 src2=0
	v_dual_mul_f32 v9, v202, v127 :: v_dual_mul_f32 v51, v203, v127
	v_dual_mul_f32 v53, v205, v129 :: v_dual_mul_f32 v11, v204, v129
	s_wait_loadcnt_dscnt 0xf09
	v_mul_f32_e32 v13, v210, v131
	s_wait_loadcnt_dscnt 0xd07
	v_dual_mul_f32 v63, v219, v139 :: v_dual_fma_f32 v51, v202, v126, -v51
	v_dual_fmac_f32 v9, v203, v126 :: v_dual_mul_f32 v65, v221, v141
	v_dual_mul_f32 v55, v211, v131 :: v_dual_mul_f32 v57, v213, v133
	v_dual_fmac_f32 v11, v205, v128 :: v_dual_fma_f32 v53, v204, v128, -v53
	s_delay_alu instid0(VALU_DEP_3) | instskip(SKIP_3) | instid1(VALU_DEP_3)
	v_dual_add_f32 v9, 0, v9 :: v_dual_add_f32 v51, 0, v51
	v_dual_mul_f32 v15, v212, v133 :: v_dual_mul_f32 v17, v214, v135
	s_wait_loadcnt_dscnt 0xc06
	v_dual_mul_f32 v67, v223, v143 :: v_dual_fma_f32 v55, v210, v130, -v55
	v_dual_fmac_f32 v13, v211, v130 :: v_dual_add_f32 v9, v9, v11
	s_delay_alu instid0(VALU_DEP_3) | instskip(SKIP_2) | instid1(VALU_DEP_3)
	v_dual_add_f32 v11, v51, v53 :: v_dual_fmac_f32 v15, v213, v132
	v_dual_mul_f32 v59, v215, v135 :: v_dual_mul_f32 v61, v217, v137
	v_dual_mul_f32 v51, v225, v145 :: v_dual_fma_f32 v53, v212, v132, -v57
	v_dual_add_f32 v9, v9, v13 :: v_dual_add_f32 v11, v11, v55
	v_dual_mul_f32 v19, v216, v137 :: v_dual_mul_f32 v21, v218, v139
	s_wait_loadcnt_dscnt 0xb05
	v_dual_mul_f32 v13, v227, v147 :: v_dual_fma_f32 v55, v214, v134, -v59
	s_delay_alu instid0(VALU_DEP_3) | instskip(NEXT) | instid1(VALU_DEP_3)
	v_dual_fmac_f32 v17, v215, v134 :: v_dual_add_f32 v9, v9, v15
	v_dual_add_f32 v11, v11, v53 :: v_dual_fmac_f32 v19, v217, v136
	v_dual_mul_f32 v15, v229, v149 :: v_dual_fma_f32 v53, v216, v136, -v61
	s_delay_alu instid0(VALU_DEP_2) | instskip(SKIP_3) | instid1(VALU_DEP_3)
	v_dual_add_f32 v9, v9, v17 :: v_dual_add_f32 v11, v11, v55
	v_dual_mul_f32 v23, v220, v141 :: v_dual_mul_f32 v25, v222, v143
	s_wait_loadcnt_dscnt 0xa04
	v_dual_mul_f32 v17, v231, v151 :: v_dual_fma_f32 v55, v218, v138, -v63
	v_dual_fmac_f32 v21, v219, v138 :: v_dual_add_f32 v9, v9, v19
	s_delay_alu instid0(VALU_DEP_3) | instskip(SKIP_1) | instid1(VALU_DEP_2)
	v_dual_add_f32 v11, v11, v53 :: v_dual_fmac_f32 v23, v221, v140
	v_dual_mul_f32 v19, v233, v153 :: v_dual_fma_f32 v53, v220, v140, -v65
	v_dual_add_f32 v9, v9, v21 :: v_dual_add_f32 v11, v11, v55
	v_dual_mul_f32 v27, v224, v145 :: v_dual_mul_f32 v29, v226, v147
	s_wait_loadcnt_dscnt 0x903
	v_dual_mul_f32 v21, v235, v155 :: v_dual_fma_f32 v55, v222, v142, -v67
	s_delay_alu instid0(VALU_DEP_3) | instskip(NEXT) | instid1(VALU_DEP_3)
	v_dual_fmac_f32 v25, v223, v142 :: v_dual_add_f32 v9, v9, v23
	v_dual_add_f32 v11, v11, v53 :: v_dual_fmac_f32 v27, v225, v144
	v_dual_mul_f32 v23, v237, v157 :: v_dual_fma_f32 v51, v224, v144, -v51
	s_delay_alu instid0(VALU_DEP_2) | instskip(SKIP_3) | instid1(VALU_DEP_3)
	v_dual_add_f32 v9, v9, v25 :: v_dual_add_f32 v11, v11, v55
	v_dual_mul_f32 v31, v228, v149 :: v_dual_mul_f32 v33, v230, v151
	s_wait_loadcnt_dscnt 0x802
	v_dual_mul_f32 v25, v239, v159 :: v_dual_fma_f32 v13, v226, v146, -v13
	v_dual_fmac_f32 v29, v227, v146 :: v_dual_add_f32 v9, v9, v27
	v_dual_add_f32 v11, v11, v51 :: v_dual_mul_f32 v27, v241, v161
	v_fmac_f32_e32 v31, v229, v148
	s_delay_alu instid0(VALU_DEP_3) | instskip(NEXT) | instid1(VALU_DEP_3)
	v_dual_fma_f32 v15, v228, v148, -v15 :: v_dual_add_f32 v9, v9, v29
	v_add_f32_e32 v11, v11, v13
	v_dual_mul_f32 v35, v232, v153 :: v_dual_mul_f32 v37, v234, v155
	s_wait_loadcnt_dscnt 0x701
	v_dual_mul_f32 v13, v243, v163 :: v_dual_fma_f32 v17, v230, v150, -v17
	v_dual_fmac_f32 v33, v231, v150 :: v_dual_add_f32 v9, v9, v31
	v_dual_add_f32 v11, v11, v15 :: v_dual_mul_f32 v15, v245, v165
	v_fmac_f32_e32 v35, v233, v152
	s_delay_alu instid0(VALU_DEP_3) | instskip(NEXT) | instid1(VALU_DEP_3)
	v_dual_fma_f32 v19, v232, v152, -v19 :: v_dual_add_f32 v9, v9, v33
	v_add_f32_e32 v11, v11, v17
	v_dual_mul_f32 v39, v236, v157 :: v_dual_mul_f32 v41, v238, v159
	s_wait_loadcnt 0x6
	v_dual_mul_f32 v17, v207, v167 :: v_dual_fma_f32 v21, v234, v154, -v21
	v_dual_fmac_f32 v37, v235, v154 :: v_dual_add_f32 v9, v9, v35
	v_dual_add_f32 v11, v11, v19 :: v_dual_mul_f32 v19, v209, v169
	v_fmac_f32_e32 v39, v237, v156
	s_delay_alu instid0(VALU_DEP_3) | instskip(NEXT) | instid1(VALU_DEP_3)
	v_dual_fma_f32 v23, v236, v156, -v23 :: v_dual_add_f32 v9, v9, v37
	v_add_f32_e32 v11, v11, v21
	v_dual_mul_f32 v43, v240, v161 :: v_dual_mul_f32 v45, v242, v163
	s_wait_loadcnt 0x5
	v_dual_mul_f32 v21, v187, v171 :: v_dual_fma_f32 v25, v238, v158, -v25
	v_dual_fmac_f32 v41, v239, v158 :: v_dual_add_f32 v9, v9, v39
	v_dual_add_f32 v11, v11, v23 :: v_dual_mov_b32 v126, v173
	v_fmac_f32_e32 v43, v241, v160
	s_delay_alu instid0(VALU_DEP_3) | instskip(NEXT) | instid1(VALU_DEP_3)
	v_dual_fma_f32 v23, v240, v160, -v27 :: v_dual_add_f32 v9, v9, v41
	v_add_f32_e32 v11, v11, v25
	v_dual_mul_f32 v47, v244, v165 :: v_dual_mul_f32 v49, v206, v167
	s_delay_alu instid0(VALU_DEP_3) | instskip(NEXT) | instid1(VALU_DEP_3)
	v_dual_fmac_f32 v45, v243, v162 :: v_dual_add_f32 v9, v9, v43
	v_dual_fma_f32 v13, v242, v162, -v13 :: v_dual_add_f32 v11, v11, v23
	s_wait_loadcnt 0x4
	v_dual_mov_b32 v130, v177 :: v_dual_fma_f32 v15, v244, v164, -v15
	v_fmac_f32_e32 v47, v245, v164
	v_dual_add_f32 v9, v9, v45 :: v_dual_fmac_f32 v49, v207, v166
	v_add_f32_e32 v11, v11, v13
	s_set_vgpr_msb 64                       ;  msbs: dst=1 src0=0 src1=0 src2=0
	v_dual_mul_f32 v5 /*v261*/, v208, v169 :: v_dual_mul_f32 v7 /*v263*/, v186, v171
	s_set_vgpr_msb 0                        ;  msbs: dst=0 src0=0 src1=0 src2=0
	v_dual_fma_f32 v13, v206, v166, -v17 :: v_dual_add_f32 v9, v9, v47
	v_add_f32_e32 v11, v11, v15
	s_set_vgpr_msb 64                       ;  msbs: dst=1 src0=0 src1=0 src2=0
	v_dual_fmac_f32 v5 /*v261*/, v209, v168 :: v_dual_fmac_f32 v7 /*v263*/, v187, v170
	v_dual_fma_f32 v4 /*v260*/, v208, v168, -v19 :: v_dual_fma_f32 v6 /*v262*/, v186, v170, -v21
	s_set_vgpr_msb 0                        ;  msbs: dst=0 src0=0 src1=0 src2=0
	v_pk_mul_f32 v[126:127], v[252:253], v[126:127] op_sel_hi:[1,0]
	v_add_f32_e32 v135, v9, v49
	s_wait_loadcnt 0x3
	v_dual_add_f32 v134, v11, v13 :: v_dual_mov_b32 v136, v181
	v_pk_mul_f32 v[128:129], v[190:191], v[174:175] op_sel:[1,1] op_sel_hi:[0,1]
	v_pk_fma_f32 v[138:139], v[188:189], v[172:173], v[126:127] op_sel_hi:[1,0,1]
	v_pk_fma_f32 v[126:127], v[188:189], v[172:173], v[126:127] neg_lo:[0,0,1] neg_hi:[0,0,1]
	s_set_vgpr_msb 4                        ;  msbs: dst=0 src0=0 src1=1 src2=0
	v_pk_add_f32 v[134:135], v[134:135], v[4:5] /*v[260:261]*/
	s_set_vgpr_msb 0                        ;  msbs: dst=0 src0=0 src1=0 src2=0
	v_pk_mul_f32 v[130:131], v[254:255], v[130:131] op_sel_hi:[1,0]
	v_pk_fma_f32 v[140:141], v[190:191], v[174:175], v[128:129] op_sel_hi:[1,0,1]
	v_mov_b32_e32 v127, v139
	v_pk_fma_f32 v[128:129], v[190:191], v[174:175], v[128:129] neg_lo:[0,0,1] neg_hi:[0,0,1]
	s_set_vgpr_msb 4                        ;  msbs: dst=0 src0=0 src1=1 src2=0
	v_pk_add_f32 v[134:135], v[134:135], v[6:7] /*v[262:263]*/
	s_set_vgpr_msb 0                        ;  msbs: dst=0 src0=0 src1=0 src2=0
	v_pk_mul_f32 v[132:133], v[194:195], v[178:179] op_sel:[1,1] op_sel_hi:[0,1]
	v_mov_b32_e32 v129, v141
	v_pk_fma_f32 v[140:141], v[192:193], v[176:177], v[130:131] op_sel_hi:[1,0,1]
	v_pk_fma_f32 v[130:131], v[192:193], v[176:177], v[130:131] neg_lo:[0,0,1] neg_hi:[0,0,1]
	v_pk_add_f32 v[126:127], v[134:135], v[126:127]
	v_pk_fma_f32 v[134:135], v[194:195], v[178:179], v[132:133] op_sel_hi:[1,0,1]
	s_set_vgpr_msb 1                        ;  msbs: dst=0 src0=1 src1=0 src2=0
	v_pk_mul_f32 v[136:137], v[0:1] /*v[256:257]*/, v[136:137] op_sel_hi:[1,0]
	s_set_vgpr_msb 0                        ;  msbs: dst=0 src0=0 src1=0 src2=0
	v_mov_b32_e32 v131, v141
	v_pk_fma_f32 v[132:133], v[194:195], v[178:179], v[132:133] neg_lo:[0,0,1] neg_hi:[0,0,1]
	v_pk_add_f32 v[126:127], v[126:127], v[128:129]
	s_wait_loadcnt 0x2
	v_pk_mul_f32 v[138:139], v[198:199], v[182:183] op_sel:[1,1] op_sel_hi:[0,1]
	v_dual_mov_b32 v128, v185 :: v_dual_mov_b32 v133, v135
	v_pk_fma_f32 v[134:135], v[196:197], v[180:181], v[136:137] op_sel_hi:[1,0,1]
	v_pk_add_f32 v[126:127], v[126:127], v[130:131]
	v_pk_fma_f32 v[136:137], v[196:197], v[180:181], v[136:137] neg_lo:[0,0,1] neg_hi:[0,0,1]
	v_pk_fma_f32 v[130:131], v[198:199], v[182:183], v[138:139] op_sel_hi:[1,0,1]
	s_set_vgpr_msb 1                        ;  msbs: dst=0 src0=1 src1=0 src2=0
	v_pk_mul_f32 v[128:129], v[2:3] /*v[258:259]*/, v[128:129] op_sel_hi:[1,0]
	s_set_vgpr_msb 0                        ;  msbs: dst=0 src0=0 src1=0 src2=0
	v_mov_b32_e32 v137, v135
	v_pk_add_f32 v[126:127], v[126:127], v[132:133]
	v_pk_fma_f32 v[132:133], v[198:199], v[182:183], v[138:139] neg_lo:[0,0,1] neg_hi:[0,0,1]
	v_mov_b32_e32 v133, v131
	v_pk_fma_f32 v[130:131], v[200:201], v[184:185], v[128:129] op_sel_hi:[1,0,1]
	s_wait_loadcnt_dscnt 0x100
	v_pk_mul_f32 v[134:135], v[250:251], v[246:247] op_sel:[1,1] op_sel_hi:[0,1]
	v_pk_add_f32 v[126:127], v[126:127], v[136:137]
	v_pk_fma_f32 v[128:129], v[200:201], v[184:185], v[128:129] neg_lo:[0,0,1] neg_hi:[0,0,1]
	v_mov_b32_e32 v129, v131
	s_delay_alu instid0(VALU_DEP_4) | instskip(NEXT) | instid1(VALU_DEP_4)
	v_pk_fma_f32 v[130:131], v[250:251], v[246:247], v[134:135] op_sel_hi:[1,0,1]
	v_pk_add_f32 v[126:127], v[126:127], v[132:133]
	v_pk_fma_f32 v[132:133], v[250:251], v[246:247], v[134:135] neg_lo:[0,0,1] neg_hi:[0,0,1]
	s_delay_alu instid0(VALU_DEP_3) | instskip(NEXT) | instid1(VALU_DEP_3)
	v_mov_b32_e32 v133, v131
	v_pk_add_f32 v[126:127], v[126:127], v[128:129]
	s_delay_alu instid0(VALU_DEP_1) | instskip(SKIP_1) | instid1(VALU_DEP_1)
	v_pk_add_f32 v[126:127], v[126:127], v[132:133]
	s_wait_loadcnt 0x0
	v_pk_add_f32 v[126:127], v[248:249], v[126:127] neg_lo:[0,1] neg_hi:[0,1]
	scratch_store_b64 off, v[126:127], off offset:240
	s_wait_xcnt 0x0
	v_cmpx_lt_u32_e32 29, v0
	s_cbranch_execz .LBB61_327
; %bb.326:
	scratch_load_b64 v[126:127], off, off offset:232
	v_mov_b64_e32 v[128:129], 0
	scratch_store_b64 off, v[128:129], off offset:232
	s_wait_loadcnt 0x0
	ds_store_b64 v1, v[126:127]
.LBB61_327:
	s_wait_xcnt 0x0
	s_or_b32 exec_lo, exec_lo, s0
	s_wait_storecnt_dscnt 0x0
	s_barrier_signal -1
	s_barrier_wait -1
	s_clause 0x10
	scratch_load_b128 v[126:129], off, off offset:240
	scratch_load_b128 v[130:133], off, off offset:256
	;; [unrolled: 1-line block ×16, first 2 shown]
	scratch_load_b64 v[254:255], off, off offset:232
	ds_load_b128 v[190:193], v7 offset:928
	ds_load_b128 v[194:197], v7 offset:944
	ds_load_b128 v[198:201], v7 offset:960
	ds_load_b128 v[202:205], v7 offset:976
	ds_load_b128 v[206:209], v7 offset:736
	ds_load_b128 v[210:213], v7 offset:752
	ds_load_b128 v[214:217], v7 offset:768
	ds_load_b128 v[218:221], v7 offset:784
	ds_load_b128 v[222:225], v7 offset:800
	ds_load_b128 v[226:229], v7 offset:816
	ds_load_b128 v[230:233], v7 offset:832
	ds_load_b128 v[234:237], v7 offset:848
	ds_load_b128 v[238:241], v7 offset:864
	ds_load_b128 v[242:245], v7 offset:880
	ds_load_b128 v[246:249], v7 offset:896
	ds_load_b128 v[250:253], v7 offset:912
	s_mov_b32 s0, exec_lo
	s_wait_dscnt 0xf
	s_set_vgpr_msb 64                       ;  msbs: dst=1 src0=0 src1=0 src2=0
	v_dual_mov_b32 v0 /*v256*/, v193 :: v_dual_mov_b32 v1 /*v257*/, v192
	s_wait_dscnt 0xe
	v_dual_mov_b32 v2 /*v258*/, v197 :: v_dual_mov_b32 v3 /*v259*/, v196
	s_wait_dscnt 0xd
	;; [unrolled: 2-line block ×3, first 2 shown]
	v_dual_mov_b32 v6 /*v262*/, v205 :: v_dual_mov_b32 v7 /*v263*/, v204
	s_wait_loadcnt_dscnt 0x100b
	s_set_vgpr_msb 0                        ;  msbs: dst=0 src0=0 src1=0 src2=0
	v_dual_mul_f32 v7, v206, v127 :: v_dual_mul_f32 v9, v208, v129
	v_dual_mul_f32 v51, v207, v127 :: v_dual_mul_f32 v53, v209, v129
	s_wait_loadcnt_dscnt 0xf0a
	v_dual_mul_f32 v11, v210, v131 :: v_dual_mul_f32 v13, v212, v133
	s_delay_alu instid0(VALU_DEP_3) | instskip(SKIP_3) | instid1(VALU_DEP_3)
	v_dual_fmac_f32 v7, v207, v126 :: v_dual_fmac_f32 v9, v209, v128
	s_wait_loadcnt_dscnt 0xd08
	v_dual_fma_f32 v51, v206, v126, -v51 :: v_dual_mul_f32 v63, v219, v139
	v_dual_mul_f32 v55, v211, v131 :: v_dual_mul_f32 v57, v213, v133
	v_dual_fma_f32 v53, v208, v128, -v53 :: v_dual_add_f32 v7, 0, v7
	s_delay_alu instid0(VALU_DEP_3) | instskip(SKIP_1) | instid1(VALU_DEP_3)
	v_dual_add_f32 v51, 0, v51 :: v_dual_mul_f32 v65, v221, v141
	v_dual_fmac_f32 v11, v211, v130 :: v_dual_fmac_f32 v13, v213, v132
	v_dual_fma_f32 v55, v210, v130, -v55 :: v_dual_add_f32 v7, v7, v9
	s_delay_alu instid0(VALU_DEP_3) | instskip(SKIP_2) | instid1(VALU_DEP_4)
	v_dual_add_f32 v9, v51, v53 :: v_dual_fma_f32 v53, v212, v132, -v57
	v_dual_mul_f32 v15, v214, v135 :: v_dual_mul_f32 v17, v216, v137
	v_dual_mul_f32 v59, v215, v135 :: v_dual_mul_f32 v61, v217, v137
	v_add_f32_e32 v7, v7, v11
	s_delay_alu instid0(VALU_DEP_3) | instskip(NEXT) | instid1(VALU_DEP_3)
	v_dual_add_f32 v9, v9, v55 :: v_dual_fmac_f32 v15, v215, v134
	v_fma_f32 v55, v214, v134, -v59
	v_dual_mul_f32 v19, v218, v139 :: v_dual_mul_f32 v21, v220, v141
	s_delay_alu instid0(VALU_DEP_4) | instskip(SKIP_2) | instid1(VALU_DEP_2)
	v_dual_add_f32 v7, v7, v13 :: v_dual_fmac_f32 v17, v217, v136
	s_wait_loadcnt_dscnt 0xb06
	v_dual_add_f32 v9, v9, v53 :: v_dual_mul_f32 v13, v227, v147
	v_dual_fma_f32 v53, v216, v136, -v61 :: v_dual_add_f32 v7, v7, v15
	v_mul_f32_e32 v15, v229, v149
	s_delay_alu instid0(VALU_DEP_3) | instskip(NEXT) | instid1(VALU_DEP_3)
	v_dual_add_f32 v9, v9, v55 :: v_dual_fmac_f32 v19, v219, v138
	v_dual_fma_f32 v55, v218, v138, -v63 :: v_dual_add_f32 v7, v7, v17
	v_fmac_f32_e32 v21, v221, v140
	s_wait_loadcnt_dscnt 0xa05
	s_delay_alu instid0(VALU_DEP_3) | instskip(SKIP_3) | instid1(VALU_DEP_3)
	v_dual_add_f32 v9, v9, v53 :: v_dual_mul_f32 v17, v231, v151
	v_dual_mul_f32 v23, v222, v143 :: v_dual_mul_f32 v25, v224, v145
	v_dual_mul_f32 v51, v223, v143 :: v_dual_mul_f32 v11, v225, v145
	v_dual_fma_f32 v53, v220, v140, -v65 :: v_dual_add_f32 v7, v7, v19
	v_dual_add_f32 v9, v9, v55 :: v_dual_fmac_f32 v23, v223, v142
	s_delay_alu instid0(VALU_DEP_3) | instskip(NEXT) | instid1(VALU_DEP_3)
	v_dual_mul_f32 v19, v233, v153 :: v_dual_fma_f32 v51, v222, v142, -v51
	v_dual_add_f32 v7, v7, v21 :: v_dual_fmac_f32 v25, v225, v144
	s_wait_loadcnt_dscnt 0x904
	s_delay_alu instid0(VALU_DEP_3) | instskip(SKIP_1) | instid1(VALU_DEP_3)
	v_dual_add_f32 v9, v9, v53 :: v_dual_mul_f32 v21, v235, v155
	v_dual_mul_f32 v27, v226, v147 :: v_dual_mul_f32 v29, v228, v149
	v_dual_fma_f32 v11, v224, v144, -v11 :: v_dual_add_f32 v7, v7, v23
	s_delay_alu instid0(VALU_DEP_2) | instskip(SKIP_1) | instid1(VALU_DEP_2)
	v_dual_add_f32 v9, v9, v51 :: v_dual_fmac_f32 v27, v227, v146
	v_dual_mul_f32 v23, v237, v157 :: v_dual_fma_f32 v13, v226, v146, -v13
	v_dual_add_f32 v7, v7, v25 :: v_dual_add_f32 v9, v9, v11
	v_dual_mul_f32 v31, v230, v151 :: v_dual_mul_f32 v33, v232, v153
	s_wait_loadcnt_dscnt 0x803
	v_dual_mul_f32 v11, v239, v159 :: v_dual_fmac_f32 v29, v229, v148
	s_delay_alu instid0(VALU_DEP_3) | instskip(NEXT) | instid1(VALU_DEP_3)
	v_dual_fma_f32 v15, v228, v148, -v15 :: v_dual_add_f32 v7, v7, v27
	v_dual_add_f32 v9, v9, v13 :: v_dual_fmac_f32 v31, v231, v150
	v_dual_mul_f32 v13, v241, v161 :: v_dual_fma_f32 v17, v230, v150, -v17
	s_delay_alu instid0(VALU_DEP_2) | instskip(SKIP_3) | instid1(VALU_DEP_3)
	v_dual_add_f32 v7, v7, v29 :: v_dual_add_f32 v9, v9, v15
	v_dual_mul_f32 v35, v234, v155 :: v_dual_mul_f32 v37, v236, v157
	s_wait_loadcnt_dscnt 0x702
	v_dual_mul_f32 v15, v243, v163 :: v_dual_fmac_f32 v33, v233, v152
	v_dual_fma_f32 v19, v232, v152, -v19 :: v_dual_add_f32 v7, v7, v31
	s_delay_alu instid0(VALU_DEP_3) | instskip(SKIP_1) | instid1(VALU_DEP_2)
	v_dual_add_f32 v9, v9, v17 :: v_dual_fmac_f32 v35, v235, v154
	v_dual_mul_f32 v17, v245, v165 :: v_dual_fma_f32 v21, v234, v154, -v21
	v_dual_add_f32 v7, v7, v33 :: v_dual_add_f32 v9, v9, v19
	v_dual_mul_f32 v39, v238, v159 :: v_dual_mul_f32 v41, v240, v161
	s_wait_loadcnt_dscnt 0x601
	v_dual_mul_f32 v19, v247, v167 :: v_dual_fmac_f32 v37, v237, v156
	s_delay_alu instid0(VALU_DEP_3) | instskip(NEXT) | instid1(VALU_DEP_3)
	v_dual_fma_f32 v23, v236, v156, -v23 :: v_dual_add_f32 v7, v7, v35
	v_dual_add_f32 v9, v9, v21 :: v_dual_fmac_f32 v39, v239, v158
	v_dual_mul_f32 v21, v249, v169 :: v_dual_fma_f32 v11, v238, v158, -v11
	s_delay_alu instid0(VALU_DEP_2) | instskip(SKIP_3) | instid1(VALU_DEP_3)
	v_dual_add_f32 v7, v7, v37 :: v_dual_add_f32 v9, v9, v23
	v_dual_mul_f32 v43, v242, v163 :: v_dual_mul_f32 v45, v244, v165
	s_wait_loadcnt_dscnt 0x500
	v_dual_mul_f32 v23, v251, v171 :: v_dual_fmac_f32 v41, v241, v160
	v_dual_fma_f32 v13, v240, v160, -v13 :: v_dual_add_f32 v7, v7, v39
	s_delay_alu instid0(VALU_DEP_3) | instskip(SKIP_1) | instid1(VALU_DEP_3)
	v_dual_add_f32 v9, v9, v11 :: v_dual_fmac_f32 v43, v243, v162
	v_dual_mul_f32 v11, v253, v173 :: v_dual_fma_f32 v15, v242, v162, -v15
	v_dual_add_f32 v7, v7, v41 :: v_dual_fmac_f32 v45, v245, v164
	s_delay_alu instid0(VALU_DEP_3) | instskip(SKIP_2) | instid1(VALU_DEP_3)
	v_dual_add_f32 v9, v9, v13 :: v_dual_fma_f32 v13, v244, v164, -v17
	v_dual_mul_f32 v47, v246, v167 :: v_dual_mul_f32 v49, v248, v169
	s_wait_loadcnt 0x4
	v_dual_add_f32 v7, v7, v43 :: v_dual_mov_b32 v128, v177
	s_delay_alu instid0(VALU_DEP_2) | instskip(NEXT) | instid1(VALU_DEP_2)
	v_dual_add_f32 v9, v9, v15 :: v_dual_fmac_f32 v47, v247, v166
	v_dual_fma_f32 v15, v246, v166, -v19 :: v_dual_add_f32 v7, v7, v45
	s_set_vgpr_msb 64                       ;  msbs: dst=1 src0=0 src1=0 src2=0
	v_dual_mul_f32 v9 /*v265*/, v250, v171 :: v_dual_mul_f32 v11 /*v267*/, v252, v173
	s_set_vgpr_msb 0                        ;  msbs: dst=0 src0=0 src1=0 src2=0
	v_dual_add_f32 v9, v9, v13 :: v_dual_fma_f32 v13, v248, v168, -v21
	v_dual_fmac_f32 v49, v249, v168 :: v_dual_add_f32 v7, v7, v47
	v_pk_mul_f32 v[126:127], v[190:191], v[174:175] op_sel:[1,1] op_sel_hi:[0,1]
	s_delay_alu instid0(VALU_DEP_3)
	v_add_f32_e32 v9, v9, v15
	s_set_vgpr_msb 64                       ;  msbs: dst=1 src0=0 src1=0 src2=0
	v_dual_fmac_f32 v9 /*v265*/, v251, v170 :: v_dual_fmac_f32 v11 /*v267*/, v253, v172
	v_fma_f32 v8 /*v264*/, v250, v170, -v23
	s_set_vgpr_msb 0                        ;  msbs: dst=0 src0=0 src1=0 src2=0
	v_add_f32_e32 v135, v7, v49
	v_add_f32_e32 v134, v9, v13
	s_set_vgpr_msb 64                       ;  msbs: dst=1 src0=0 src1=0 src2=0
	v_fma_f32 v10 /*v266*/, v252, v172, -v11
	s_set_vgpr_msb 0                        ;  msbs: dst=0 src0=0 src1=0 src2=0
	v_pk_fma_f32 v[136:137], v[190:191], v[174:175], v[126:127] op_sel_hi:[1,0,1]
	s_set_vgpr_msb 1                        ;  msbs: dst=0 src0=1 src1=0 src2=0
	v_pk_mul_f32 v[128:129], v[0:1] /*v[256:257]*/, v[128:129] op_sel_hi:[1,0]
	s_set_vgpr_msb 0                        ;  msbs: dst=0 src0=0 src1=0 src2=0
	v_pk_fma_f32 v[126:127], v[190:191], v[174:175], v[126:127] neg_lo:[0,0,1] neg_hi:[0,0,1]
	s_set_vgpr_msb 4                        ;  msbs: dst=0 src0=0 src1=1 src2=0
	v_pk_add_f32 v[134:135], v[134:135], v[8:9] /*v[264:265]*/
	s_wait_loadcnt 0x3
	s_set_vgpr_msb 0                        ;  msbs: dst=0 src0=0 src1=0 src2=0
	v_pk_mul_f32 v[130:131], v[194:195], v[178:179] op_sel:[1,1] op_sel_hi:[0,1]
	v_dual_mov_b32 v132, v181 :: v_dual_mov_b32 v127, v137
	v_pk_fma_f32 v[136:137], v[192:193], v[176:177], v[128:129] op_sel_hi:[1,0,1]
	s_set_vgpr_msb 4                        ;  msbs: dst=0 src0=0 src1=1 src2=0
	v_pk_add_f32 v[134:135], v[134:135], v[10:11] /*v[266:267]*/
	s_set_vgpr_msb 0                        ;  msbs: dst=0 src0=0 src1=0 src2=0
	v_pk_fma_f32 v[128:129], v[192:193], v[176:177], v[128:129] neg_lo:[0,0,1] neg_hi:[0,0,1]
	v_pk_fma_f32 v[140:141], v[194:195], v[178:179], v[130:131] op_sel_hi:[1,0,1]
	s_set_vgpr_msb 1                        ;  msbs: dst=0 src0=1 src1=0 src2=0
	v_pk_mul_f32 v[132:133], v[2:3] /*v[258:259]*/, v[132:133] op_sel_hi:[1,0]
	s_set_vgpr_msb 0                        ;  msbs: dst=0 src0=0 src1=0 src2=0
	v_mov_b32_e32 v129, v137
	v_pk_add_f32 v[126:127], v[134:135], v[126:127]
	s_wait_loadcnt 0x2
	v_pk_mul_f32 v[138:139], v[198:199], v[182:183] op_sel:[1,1] op_sel_hi:[0,1]
	v_mov_b32_e32 v134, v185
	v_pk_fma_f32 v[130:131], v[194:195], v[178:179], v[130:131] neg_lo:[0,0,1] neg_hi:[0,0,1]
	v_pk_fma_f32 v[136:137], v[196:197], v[180:181], v[132:133] op_sel_hi:[1,0,1]
	v_mov_b32_e32 v131, v141
	v_pk_add_f32 v[126:127], v[126:127], v[128:129]
	v_pk_fma_f32 v[128:129], v[198:199], v[182:183], v[138:139] op_sel_hi:[1,0,1]
	s_set_vgpr_msb 1                        ;  msbs: dst=0 src0=1 src1=0 src2=0
	v_pk_mul_f32 v[134:135], v[4:5] /*v[260:261]*/, v[134:135] op_sel_hi:[1,0]
	s_set_vgpr_msb 0                        ;  msbs: dst=0 src0=0 src1=0 src2=0
	v_pk_fma_f32 v[132:133], v[196:197], v[180:181], v[132:133] neg_lo:[0,0,1] neg_hi:[0,0,1]
	v_mov_b32_e32 v133, v137
	v_pk_add_f32 v[126:127], v[126:127], v[130:131]
	v_pk_fma_f32 v[136:137], v[198:199], v[182:183], v[138:139] neg_lo:[0,0,1] neg_hi:[0,0,1]
	v_mov_b32_e32 v137, v129
	v_pk_fma_f32 v[128:129], v[200:201], v[184:185], v[134:135] op_sel_hi:[1,0,1]
	s_wait_loadcnt 0x1
	v_pk_mul_f32 v[130:131], v[202:203], v[186:187] op_sel:[1,1] op_sel_hi:[0,1]
	v_pk_add_f32 v[126:127], v[126:127], v[132:133]
	v_mov_b32_e32 v128, v189
	v_pk_fma_f32 v[134:135], v[200:201], v[184:185], v[134:135] neg_lo:[0,0,1] neg_hi:[0,0,1]
	s_delay_alu instid0(VALU_DEP_4)
	v_pk_fma_f32 v[132:133], v[202:203], v[186:187], v[130:131] op_sel_hi:[1,0,1]
	v_mov_b32_e32 v135, v129
	v_pk_add_f32 v[126:127], v[126:127], v[136:137]
	s_set_vgpr_msb 1                        ;  msbs: dst=0 src0=1 src1=0 src2=0
	v_pk_mul_f32 v[128:129], v[6:7] /*v[262:263]*/, v[128:129] op_sel_hi:[1,0]
	s_set_vgpr_msb 0                        ;  msbs: dst=0 src0=0 src1=0 src2=0
	v_pk_fma_f32 v[130:131], v[202:203], v[186:187], v[130:131] neg_lo:[0,0,1] neg_hi:[0,0,1]
	v_mov_b32_e32 v131, v133
	v_pk_add_f32 v[126:127], v[126:127], v[134:135]
	v_pk_fma_f32 v[132:133], v[204:205], v[188:189], v[128:129] op_sel_hi:[1,0,1]
	v_pk_fma_f32 v[128:129], v[204:205], v[188:189], v[128:129] neg_lo:[0,0,1] neg_hi:[0,0,1]
	s_delay_alu instid0(VALU_DEP_3) | instskip(NEXT) | instid1(VALU_DEP_3)
	v_pk_add_f32 v[126:127], v[126:127], v[130:131]
	v_mov_b32_e32 v129, v133
	s_delay_alu instid0(VALU_DEP_1) | instskip(SKIP_1) | instid1(VALU_DEP_1)
	v_pk_add_f32 v[126:127], v[126:127], v[128:129]
	s_wait_loadcnt 0x0
	v_pk_add_f32 v[126:127], v[254:255], v[126:127] neg_lo:[0,1] neg_hi:[0,1]
	scratch_store_b64 off, v[126:127], off offset:232
	s_wait_xcnt 0x0
	v_cmpx_lt_u32_e32 28, v0
	s_cbranch_execz .LBB61_329
; %bb.328:
	scratch_load_b64 v[126:127], off, off offset:224
	v_mov_b64_e32 v[128:129], 0
	scratch_store_b64 off, v[128:129], off offset:224
	s_wait_loadcnt 0x0
	ds_store_b64 v1, v[126:127]
.LBB61_329:
	s_wait_xcnt 0x0
	s_or_b32 exec_lo, exec_lo, s0
	s_wait_storecnt_dscnt 0x0
	s_barrier_signal -1
	s_barrier_wait -1
	s_clause 0x12
	scratch_load_b128 v[126:129], off, off offset:232
	scratch_load_b128 v[130:133], off, off offset:248
	;; [unrolled: 1-line block ×16, first 2 shown]
	scratch_load_b64 v[254:255], off, off offset:488
	s_set_vgpr_msb 64                       ;  msbs: dst=1 src0=0 src1=0 src2=0
	scratch_load_b64 v[0:1] /*v[256:257]*/, off, off offset:224
	s_set_vgpr_msb 0                        ;  msbs: dst=0 src0=0 src1=0 src2=0
	v_mov_b32_e32 v7, 0
	ds_load_2addr_b64 v[190:193], v7 offset0:115 offset1:116
	ds_load_2addr_b64 v[194:197], v7 offset0:117 offset1:118
	;; [unrolled: 1-line block ×16, first 2 shown]
	s_set_vgpr_msb 64                       ;  msbs: dst=1 src0=0 src1=0 src2=0
	ds_load_b64 v[2:3] /*v[258:259]*/, v7 offset:984
	s_mov_b32 s0, exec_lo
	s_wait_dscnt 0x10
	v_dual_mov_b32 v4 /*v260*/, v193 :: v_dual_mov_b32 v5 /*v261*/, v192
	s_wait_dscnt 0xf
	v_dual_mov_b32 v6 /*v262*/, v197 :: v_dual_mov_b32 v7 /*v263*/, v196
	;; [unrolled: 2-line block ×4, first 2 shown]
	s_wait_loadcnt_dscnt 0x110c
	s_set_vgpr_msb 0                        ;  msbs: dst=0 src0=0 src1=0 src2=0
	v_dual_mul_f32 v9, v206, v127 :: v_dual_mul_f32 v55, v207, v127
	v_dual_mul_f32 v57, v209, v129 :: v_dual_mul_f32 v11, v208, v129
	s_wait_loadcnt_dscnt 0x100b
	v_mul_f32_e32 v13, v210, v131
	s_wait_loadcnt_dscnt 0xe09
	v_dual_mul_f32 v67, v219, v139 :: v_dual_fma_f32 v55, v206, v126, -v55
	v_dual_fmac_f32 v9, v207, v126 :: v_dual_mul_f32 v69, v221, v141
	v_dual_mul_f32 v59, v211, v131 :: v_dual_mul_f32 v61, v213, v133
	v_dual_fmac_f32 v11, v209, v128 :: v_dual_fma_f32 v57, v208, v128, -v57
	s_delay_alu instid0(VALU_DEP_3) | instskip(SKIP_3) | instid1(VALU_DEP_3)
	v_dual_add_f32 v9, 0, v9 :: v_dual_add_f32 v55, 0, v55
	v_dual_mul_f32 v15, v212, v133 :: v_dual_mul_f32 v17, v214, v135
	s_wait_loadcnt_dscnt 0xd08
	v_dual_mul_f32 v71, v223, v143 :: v_dual_fma_f32 v59, v210, v130, -v59
	v_dual_fmac_f32 v13, v211, v130 :: v_dual_add_f32 v9, v9, v11
	s_delay_alu instid0(VALU_DEP_3) | instskip(SKIP_2) | instid1(VALU_DEP_3)
	v_dual_add_f32 v11, v55, v57 :: v_dual_fmac_f32 v15, v213, v132
	v_dual_mul_f32 v63, v215, v135 :: v_dual_mul_f32 v65, v217, v137
	v_dual_mul_f32 v55, v225, v145 :: v_dual_fma_f32 v57, v212, v132, -v61
	v_dual_add_f32 v9, v9, v13 :: v_dual_add_f32 v11, v11, v59
	v_dual_mul_f32 v19, v216, v137 :: v_dual_mul_f32 v21, v218, v139
	s_wait_loadcnt_dscnt 0xc07
	v_dual_mul_f32 v13, v227, v147 :: v_dual_fma_f32 v59, v214, v134, -v63
	s_delay_alu instid0(VALU_DEP_3) | instskip(NEXT) | instid1(VALU_DEP_3)
	v_dual_fmac_f32 v17, v215, v134 :: v_dual_add_f32 v9, v9, v15
	v_dual_add_f32 v11, v11, v57 :: v_dual_fmac_f32 v19, v217, v136
	v_dual_mul_f32 v15, v229, v149 :: v_dual_fma_f32 v57, v216, v136, -v65
	s_delay_alu instid0(VALU_DEP_2) | instskip(SKIP_3) | instid1(VALU_DEP_3)
	v_dual_add_f32 v9, v9, v17 :: v_dual_add_f32 v11, v11, v59
	v_dual_mul_f32 v23, v220, v141 :: v_dual_mul_f32 v25, v222, v143
	s_wait_loadcnt_dscnt 0xb06
	v_dual_mul_f32 v17, v231, v151 :: v_dual_fma_f32 v59, v218, v138, -v67
	v_dual_fmac_f32 v21, v219, v138 :: v_dual_add_f32 v9, v9, v19
	s_delay_alu instid0(VALU_DEP_3) | instskip(SKIP_1) | instid1(VALU_DEP_2)
	v_dual_add_f32 v11, v11, v57 :: v_dual_fmac_f32 v23, v221, v140
	v_dual_mul_f32 v19, v233, v153 :: v_dual_fma_f32 v57, v220, v140, -v69
	v_dual_add_f32 v9, v9, v21 :: v_dual_add_f32 v11, v11, v59
	v_dual_mul_f32 v27, v224, v145 :: v_dual_mul_f32 v29, v226, v147
	s_wait_loadcnt_dscnt 0xa05
	v_dual_mul_f32 v21, v235, v155 :: v_dual_fma_f32 v59, v222, v142, -v71
	s_delay_alu instid0(VALU_DEP_3) | instskip(NEXT) | instid1(VALU_DEP_3)
	v_dual_fmac_f32 v25, v223, v142 :: v_dual_add_f32 v9, v9, v23
	v_dual_add_f32 v11, v11, v57 :: v_dual_fmac_f32 v27, v225, v144
	v_dual_mul_f32 v23, v237, v157 :: v_dual_fma_f32 v55, v224, v144, -v55
	s_delay_alu instid0(VALU_DEP_2) | instskip(SKIP_3) | instid1(VALU_DEP_3)
	v_dual_add_f32 v9, v9, v25 :: v_dual_add_f32 v11, v11, v59
	v_dual_mul_f32 v31, v228, v149 :: v_dual_mul_f32 v33, v230, v151
	s_wait_loadcnt_dscnt 0x904
	v_dual_mul_f32 v25, v239, v159 :: v_dual_fma_f32 v13, v226, v146, -v13
	v_dual_fmac_f32 v29, v227, v146 :: v_dual_add_f32 v9, v9, v27
	v_dual_add_f32 v11, v11, v55 :: v_dual_mul_f32 v27, v241, v161
	v_fmac_f32_e32 v31, v229, v148
	s_delay_alu instid0(VALU_DEP_3) | instskip(NEXT) | instid1(VALU_DEP_3)
	v_dual_fma_f32 v15, v228, v148, -v15 :: v_dual_add_f32 v9, v9, v29
	v_add_f32_e32 v11, v11, v13
	v_dual_mul_f32 v35, v232, v153 :: v_dual_mul_f32 v37, v234, v155
	s_wait_loadcnt_dscnt 0x803
	v_dual_mul_f32 v13, v243, v163 :: v_dual_fma_f32 v17, v230, v150, -v17
	v_dual_fmac_f32 v33, v231, v150 :: v_dual_add_f32 v9, v9, v31
	v_dual_add_f32 v11, v11, v15 :: v_dual_mul_f32 v15, v245, v165
	v_fmac_f32_e32 v35, v233, v152
	s_delay_alu instid0(VALU_DEP_3) | instskip(NEXT) | instid1(VALU_DEP_3)
	v_dual_fma_f32 v19, v232, v152, -v19 :: v_dual_add_f32 v9, v9, v33
	v_add_f32_e32 v11, v11, v17
	;; [unrolled: 9-line block ×4, first 2 shown]
	v_dual_mul_f32 v47, v244, v165 :: v_dual_mul_f32 v49, v246, v167
	s_wait_loadcnt 0x5
	v_dual_mul_f32 v25, v191, v175 :: v_dual_fma_f32 v13, v242, v162, -v13
	v_dual_fmac_f32 v45, v243, v162 :: v_dual_add_f32 v9, v9, v43
	v_dual_add_f32 v11, v11, v27 :: v_dual_mov_b32 v126, v177
	v_fmac_f32_e32 v47, v245, v164
	s_delay_alu instid0(VALU_DEP_3) | instskip(NEXT) | instid1(VALU_DEP_3)
	v_dual_fma_f32 v15, v244, v164, -v15 :: v_dual_add_f32 v9, v9, v45
	v_add_f32_e32 v11, v11, v13
	v_dual_mul_f32 v51, v248, v169 :: v_dual_mul_f32 v53, v250, v171
	s_delay_alu instid0(VALU_DEP_3) | instskip(NEXT) | instid1(VALU_DEP_3)
	v_dual_fmac_f32 v49, v247, v166 :: v_dual_add_f32 v9, v9, v47
	v_dual_fma_f32 v13, v246, v166, -v17 :: v_dual_add_f32 v11, v11, v15
	s_wait_loadcnt 0x4
	v_dual_mov_b32 v130, v181 :: v_dual_fma_f32 v15, v248, v168, -v19
	v_fmac_f32_e32 v51, v249, v168
	v_dual_add_f32 v9, v9, v49 :: v_dual_fmac_f32 v53, v251, v170
	v_add_f32_e32 v11, v11, v13
	s_set_vgpr_msb 64                       ;  msbs: dst=1 src0=0 src1=0 src2=0
	v_dual_mul_f32 v13 /*v269*/, v252, v173 :: v_dual_mul_f32 v15 /*v271*/, v190, v175
	s_set_vgpr_msb 0                        ;  msbs: dst=0 src0=0 src1=0 src2=0
	v_dual_fma_f32 v13, v250, v170, -v21 :: v_dual_add_f32 v9, v9, v51
	v_add_f32_e32 v11, v11, v15
	s_set_vgpr_msb 64                       ;  msbs: dst=1 src0=0 src1=0 src2=0
	v_dual_fmac_f32 v13 /*v269*/, v253, v172 :: v_dual_fmac_f32 v15 /*v271*/, v191, v174
	v_dual_fma_f32 v12 /*v268*/, v252, v172, -v23 :: v_dual_fma_f32 v14 /*v270*/, v190, v174, -v25
	s_set_vgpr_msb 1                        ;  msbs: dst=0 src0=1 src1=0 src2=0
	v_pk_mul_f32 v[126:127], v[4:5] /*v[260:261]*/, v[126:127] op_sel_hi:[1,0]
	s_set_vgpr_msb 0                        ;  msbs: dst=0 src0=0 src1=0 src2=0
	v_add_f32_e32 v135, v9, v53
	s_wait_loadcnt 0x3
	v_dual_add_f32 v134, v11, v13 :: v_dual_mov_b32 v136, v185
	v_pk_mul_f32 v[128:129], v[194:195], v[178:179] op_sel:[1,1] op_sel_hi:[0,1]
	v_pk_fma_f32 v[138:139], v[192:193], v[176:177], v[126:127] op_sel_hi:[1,0,1]
	v_pk_fma_f32 v[126:127], v[192:193], v[176:177], v[126:127] neg_lo:[0,0,1] neg_hi:[0,0,1]
	s_set_vgpr_msb 4                        ;  msbs: dst=0 src0=0 src1=1 src2=0
	v_pk_add_f32 v[134:135], v[134:135], v[12:13] /*v[268:269]*/
	s_set_vgpr_msb 1                        ;  msbs: dst=0 src0=1 src1=0 src2=0
	v_pk_mul_f32 v[130:131], v[6:7] /*v[262:263]*/, v[130:131] op_sel_hi:[1,0]
	s_set_vgpr_msb 0                        ;  msbs: dst=0 src0=0 src1=0 src2=0
	v_pk_fma_f32 v[140:141], v[194:195], v[178:179], v[128:129] op_sel_hi:[1,0,1]
	v_mov_b32_e32 v127, v139
	v_pk_fma_f32 v[128:129], v[194:195], v[178:179], v[128:129] neg_lo:[0,0,1] neg_hi:[0,0,1]
	s_set_vgpr_msb 4                        ;  msbs: dst=0 src0=0 src1=1 src2=0
	v_pk_add_f32 v[134:135], v[134:135], v[14:15] /*v[270:271]*/
	s_set_vgpr_msb 0                        ;  msbs: dst=0 src0=0 src1=0 src2=0
	v_pk_mul_f32 v[132:133], v[198:199], v[182:183] op_sel:[1,1] op_sel_hi:[0,1]
	v_mov_b32_e32 v129, v141
	v_pk_fma_f32 v[140:141], v[196:197], v[180:181], v[130:131] op_sel_hi:[1,0,1]
	v_pk_fma_f32 v[130:131], v[196:197], v[180:181], v[130:131] neg_lo:[0,0,1] neg_hi:[0,0,1]
	v_pk_add_f32 v[126:127], v[134:135], v[126:127]
	v_pk_fma_f32 v[134:135], v[198:199], v[182:183], v[132:133] op_sel_hi:[1,0,1]
	s_set_vgpr_msb 1                        ;  msbs: dst=0 src0=1 src1=0 src2=0
	v_pk_mul_f32 v[136:137], v[8:9] /*v[264:265]*/, v[136:137] op_sel_hi:[1,0]
	s_set_vgpr_msb 0                        ;  msbs: dst=0 src0=0 src1=0 src2=0
	v_mov_b32_e32 v131, v141
	v_pk_fma_f32 v[132:133], v[198:199], v[182:183], v[132:133] neg_lo:[0,0,1] neg_hi:[0,0,1]
	v_pk_add_f32 v[126:127], v[126:127], v[128:129]
	s_wait_loadcnt 0x2
	v_pk_mul_f32 v[138:139], v[202:203], v[186:187] op_sel:[1,1] op_sel_hi:[0,1]
	v_dual_mov_b32 v128, v189 :: v_dual_mov_b32 v133, v135
	v_pk_fma_f32 v[134:135], v[200:201], v[184:185], v[136:137] op_sel_hi:[1,0,1]
	v_pk_add_f32 v[126:127], v[126:127], v[130:131]
	v_pk_fma_f32 v[136:137], v[200:201], v[184:185], v[136:137] neg_lo:[0,0,1] neg_hi:[0,0,1]
	v_pk_fma_f32 v[130:131], v[202:203], v[186:187], v[138:139] op_sel_hi:[1,0,1]
	s_set_vgpr_msb 1                        ;  msbs: dst=0 src0=1 src1=0 src2=0
	v_pk_mul_f32 v[128:129], v[10:11] /*v[266:267]*/, v[128:129] op_sel_hi:[1,0]
	s_set_vgpr_msb 0                        ;  msbs: dst=0 src0=0 src1=0 src2=0
	v_mov_b32_e32 v137, v135
	v_pk_add_f32 v[126:127], v[126:127], v[132:133]
	v_pk_fma_f32 v[132:133], v[202:203], v[186:187], v[138:139] neg_lo:[0,0,1] neg_hi:[0,0,1]
	v_mov_b32_e32 v133, v131
	v_pk_fma_f32 v[130:131], v[204:205], v[188:189], v[128:129] op_sel_hi:[1,0,1]
	s_wait_loadcnt_dscnt 0x100
	s_set_vgpr_msb 1                        ;  msbs: dst=0 src0=1 src1=0 src2=0
	v_pk_mul_f32 v[134:135], v[2:3] /*v[258:259]*/, v[254:255] op_sel:[1,1] op_sel_hi:[0,1]
	s_set_vgpr_msb 0                        ;  msbs: dst=0 src0=0 src1=0 src2=0
	v_pk_add_f32 v[126:127], v[126:127], v[136:137]
	v_pk_fma_f32 v[128:129], v[204:205], v[188:189], v[128:129] neg_lo:[0,0,1] neg_hi:[0,0,1]
	v_mov_b32_e32 v129, v131
	s_set_vgpr_msb 1                        ;  msbs: dst=0 src0=1 src1=0 src2=0
	v_pk_fma_f32 v[130:131], v[2:3] /*v[258:259]*/, v[254:255], v[134:135] op_sel_hi:[1,0,1]
	s_set_vgpr_msb 0                        ;  msbs: dst=0 src0=0 src1=0 src2=0
	v_pk_add_f32 v[126:127], v[126:127], v[132:133]
	s_set_vgpr_msb 1                        ;  msbs: dst=0 src0=1 src1=0 src2=0
	v_pk_fma_f32 v[132:133], v[2:3] /*v[258:259]*/, v[254:255], v[134:135] neg_lo:[0,0,1] neg_hi:[0,0,1]
	s_set_vgpr_msb 0                        ;  msbs: dst=0 src0=0 src1=0 src2=0
	v_mov_b32_e32 v133, v131
	v_pk_add_f32 v[126:127], v[126:127], v[128:129]
	s_delay_alu instid0(VALU_DEP_1) | instskip(SKIP_2) | instid1(VALU_DEP_1)
	v_pk_add_f32 v[126:127], v[126:127], v[132:133]
	s_wait_loadcnt 0x0
	s_set_vgpr_msb 1                        ;  msbs: dst=0 src0=1 src1=0 src2=0
	v_pk_add_f32 v[126:127], v[0:1] /*v[256:257]*/, v[126:127] neg_lo:[0,1] neg_hi:[0,1]
	scratch_store_b64 off, v[126:127], off offset:224
	s_wait_xcnt 0x0
	v_cmpx_lt_u32_e32 27, v0
	s_set_vgpr_msb 0                        ;  msbs: dst=0 src0=0 src1=0 src2=0
	s_cbranch_execz .LBB61_331
; %bb.330:
	scratch_load_b64 v[126:127], off, off offset:216
	v_mov_b64_e32 v[128:129], 0
	scratch_store_b64 off, v[128:129], off offset:216
	s_wait_loadcnt 0x0
	ds_store_b64 v1, v[126:127]
.LBB61_331:
	s_wait_xcnt 0x0
	s_or_b32 exec_lo, exec_lo, s0
	s_wait_storecnt_dscnt 0x0
	s_barrier_signal -1
	s_barrier_wait -1
	s_clause 0x12
	scratch_load_b128 v[126:129], off, off offset:224
	scratch_load_b128 v[130:133], off, off offset:240
	;; [unrolled: 1-line block ×17, first 2 shown]
	s_set_vgpr_msb 64                       ;  msbs: dst=1 src0=0 src1=0 src2=0
	scratch_load_b64 v[6:7] /*v[262:263]*/, off, off offset:216
	s_set_vgpr_msb 0                        ;  msbs: dst=0 src0=0 src1=0 src2=0
	ds_load_b128 v[194:197], v7 offset:928
	ds_load_b128 v[198:201], v7 offset:944
	;; [unrolled: 1-line block ×16, first 2 shown]
	s_set_vgpr_msb 64                       ;  msbs: dst=1 src0=0 src1=0 src2=0
	ds_load_b128 v[2:5] /*v[258:261]*/, v7 offset:896
	s_mov_b32 s0, exec_lo
	s_wait_dscnt 0x10
	v_dual_mov_b32 v8 /*v264*/, v197 :: v_dual_mov_b32 v9 /*v265*/, v196
	s_wait_dscnt 0xf
	v_dual_mov_b32 v10 /*v266*/, v201 :: v_dual_mov_b32 v11 /*v267*/, v200
	;; [unrolled: 2-line block ×4, first 2 shown]
	s_wait_loadcnt_dscnt 0x110b
	s_set_vgpr_msb 0                        ;  msbs: dst=0 src0=0 src1=0 src2=0
	v_dual_mul_f32 v7, v214, v127 :: v_dual_mul_f32 v9, v216, v129
	s_wait_loadcnt_dscnt 0x100a
	v_dual_mul_f32 v55, v215, v127 :: v_dual_mul_f32 v61, v221, v133
	s_wait_loadcnt_dscnt 0xf09
	v_mul_f32_e32 v63, v223, v135
	v_dual_fmac_f32 v7, v215, v126 :: v_dual_fmac_f32 v9, v217, v128
	s_delay_alu instid0(VALU_DEP_3)
	v_dual_mul_f32 v57, v217, v129 :: v_dual_fma_f32 v55, v214, v126, -v55
	v_dual_mul_f32 v11, v218, v131 :: v_dual_mul_f32 v13, v220, v133
	s_wait_loadcnt_dscnt 0x701
	v_mul_f32_e32 v47, v254, v167
	s_wait_loadcnt_dscnt 0x600
	s_set_vgpr_msb 1                        ;  msbs: dst=0 src0=1 src1=0 src2=0
	v_dual_mul_f32 v53, v4 /*v260*/, v173 :: v_dual_add_f32 v7, 0, v7
	s_set_vgpr_msb 0                        ;  msbs: dst=0 src0=0 src1=0 src2=0
	v_dual_mul_f32 v59, v219, v131 :: v_dual_mul_f32 v65, v225, v137
	v_dual_mul_f32 v67, v227, v139 :: v_dual_fma_f32 v57, v216, v128, -v57
	v_dual_add_f32 v55, 0, v55 :: v_dual_mul_f32 v69, v229, v141
	v_dual_fmac_f32 v11, v219, v130 :: v_dual_fmac_f32 v13, v221, v132
	s_delay_alu instid0(VALU_DEP_4) | instskip(NEXT) | instid1(VALU_DEP_3)
	v_dual_fma_f32 v59, v218, v130, -v59 :: v_dual_add_f32 v7, v7, v9
	v_dual_add_f32 v9, v55, v57 :: v_dual_fma_f32 v57, v220, v132, -v61
	v_dual_mul_f32 v15, v222, v135 :: v_dual_mul_f32 v17, v224, v137
	s_delay_alu instid0(VALU_DEP_3) | instskip(NEXT) | instid1(VALU_DEP_3)
	v_add_f32_e32 v7, v7, v11
	v_dual_add_f32 v9, v9, v59 :: v_dual_fma_f32 v59, v222, v134, -v63
	s_delay_alu instid0(VALU_DEP_3) | instskip(SKIP_1) | instid1(VALU_DEP_4)
	v_dual_fmac_f32 v15, v223, v134 :: v_dual_mul_f32 v19, v226, v139
	v_mul_f32_e32 v21, v228, v141
	v_dual_add_f32 v7, v7, v13 :: v_dual_fmac_f32 v17, v225, v136
	s_delay_alu instid0(VALU_DEP_4) | instskip(NEXT) | instid1(VALU_DEP_2)
	v_dual_add_f32 v9, v9, v57 :: v_dual_mul_f32 v13, v235, v147
	v_dual_fma_f32 v57, v224, v136, -v65 :: v_dual_add_f32 v7, v7, v15
	v_mul_f32_e32 v15, v237, v149
	s_delay_alu instid0(VALU_DEP_3) | instskip(NEXT) | instid1(VALU_DEP_3)
	v_dual_add_f32 v9, v9, v59 :: v_dual_fmac_f32 v19, v227, v138
	v_dual_fma_f32 v59, v226, v138, -v67 :: v_dual_add_f32 v7, v7, v17
	v_fmac_f32_e32 v21, v229, v140
	s_delay_alu instid0(VALU_DEP_3) | instskip(SKIP_3) | instid1(VALU_DEP_3)
	v_dual_add_f32 v9, v9, v57 :: v_dual_mul_f32 v17, v239, v151
	v_dual_mul_f32 v23, v230, v143 :: v_dual_mul_f32 v25, v232, v145
	v_dual_mul_f32 v55, v231, v143 :: v_dual_mul_f32 v11, v233, v145
	v_dual_fma_f32 v57, v228, v140, -v69 :: v_dual_add_f32 v7, v7, v19
	v_dual_add_f32 v9, v9, v59 :: v_dual_fmac_f32 v23, v231, v142
	s_delay_alu instid0(VALU_DEP_3) | instskip(NEXT) | instid1(VALU_DEP_3)
	v_dual_mul_f32 v19, v241, v153 :: v_dual_fma_f32 v55, v230, v142, -v55
	v_dual_add_f32 v7, v7, v21 :: v_dual_fmac_f32 v25, v233, v144
	s_delay_alu instid0(VALU_DEP_3) | instskip(SKIP_1) | instid1(VALU_DEP_3)
	v_dual_add_f32 v9, v9, v57 :: v_dual_mul_f32 v21, v243, v155
	v_dual_mul_f32 v27, v234, v147 :: v_dual_mul_f32 v29, v236, v149
	v_dual_fma_f32 v11, v232, v144, -v11 :: v_dual_add_f32 v7, v7, v23
	s_delay_alu instid0(VALU_DEP_2) | instskip(SKIP_1) | instid1(VALU_DEP_2)
	v_dual_add_f32 v9, v9, v55 :: v_dual_fmac_f32 v27, v235, v146
	v_dual_mul_f32 v23, v245, v157 :: v_dual_fma_f32 v13, v234, v146, -v13
	v_dual_add_f32 v7, v7, v25 :: v_dual_add_f32 v9, v9, v11
	v_dual_mul_f32 v31, v238, v151 :: v_dual_mul_f32 v33, v240, v153
	v_dual_mul_f32 v11, v247, v159 :: v_dual_fmac_f32 v29, v237, v148
	s_delay_alu instid0(VALU_DEP_3) | instskip(NEXT) | instid1(VALU_DEP_3)
	v_dual_fma_f32 v15, v236, v148, -v15 :: v_dual_add_f32 v7, v7, v27
	v_dual_add_f32 v9, v9, v13 :: v_dual_fmac_f32 v31, v239, v150
	v_dual_mul_f32 v13, v249, v161 :: v_dual_fma_f32 v17, v238, v150, -v17
	s_delay_alu instid0(VALU_DEP_2) | instskip(SKIP_2) | instid1(VALU_DEP_3)
	v_dual_add_f32 v7, v7, v29 :: v_dual_add_f32 v9, v9, v15
	v_dual_mul_f32 v35, v242, v155 :: v_dual_mul_f32 v37, v244, v157
	v_dual_mul_f32 v15, v251, v163 :: v_dual_fmac_f32 v33, v241, v152
	v_dual_fma_f32 v19, v240, v152, -v19 :: v_dual_add_f32 v7, v7, v31
	s_delay_alu instid0(VALU_DEP_3) | instskip(SKIP_1) | instid1(VALU_DEP_2)
	v_dual_add_f32 v9, v9, v17 :: v_dual_fmac_f32 v35, v243, v154
	v_dual_mul_f32 v17, v253, v165 :: v_dual_fma_f32 v21, v242, v154, -v21
	v_dual_add_f32 v7, v7, v33 :: v_dual_add_f32 v9, v9, v19
	v_dual_mul_f32 v39, v246, v159 :: v_dual_mul_f32 v41, v248, v161
	v_dual_mul_f32 v19, v255, v167 :: v_dual_fmac_f32 v37, v245, v156
	s_delay_alu instid0(VALU_DEP_3) | instskip(NEXT) | instid1(VALU_DEP_3)
	v_dual_fma_f32 v23, v244, v156, -v23 :: v_dual_add_f32 v7, v7, v35
	v_dual_add_f32 v9, v9, v21 :: v_dual_fmac_f32 v39, v247, v158
	v_fma_f32 v11, v246, v158, -v11
	v_dual_mul_f32 v43, v250, v163 :: v_dual_mul_f32 v45, v252, v165
	s_delay_alu instid0(VALU_DEP_3) | instskip(SKIP_1) | instid1(VALU_DEP_3)
	v_dual_add_f32 v7, v7, v37 :: v_dual_add_f32 v9, v9, v23
	v_fma_f32 v13, v248, v160, -v13
	v_dual_fmac_f32 v41, v249, v160 :: v_dual_fmac_f32 v43, v251, v162
	s_delay_alu instid0(VALU_DEP_3) | instskip(NEXT) | instid1(VALU_DEP_4)
	v_add_f32_e32 v7, v7, v39
	v_dual_add_f32 v9, v9, v11 :: v_dual_fma_f32 v15, v250, v162, -v15
	s_set_vgpr_msb 1                        ;  msbs: dst=0 src0=1 src1=0 src2=0
	v_dual_mul_f32 v49, v0 /*v256*/, v169 :: v_dual_mul_f32 v51, v2 /*v258*/, v171
	s_set_vgpr_msb 0                        ;  msbs: dst=0 src0=0 src1=0 src2=0
	v_add_f32_e32 v7, v7, v41
	s_wait_loadcnt 0x5
	v_dual_add_f32 v9, v9, v13 :: v_dual_mul_f32 v13, v211, v175
	v_fmac_f32_e32 v45, v253, v164
	s_delay_alu instid0(VALU_DEP_3) | instskip(NEXT) | instid1(VALU_DEP_3)
	v_dual_fma_f32 v17, v252, v164, -v17 :: v_dual_add_f32 v7, v7, v43
	v_add_f32_e32 v9, v9, v15
	s_set_vgpr_msb 1                        ;  msbs: dst=0 src0=1 src1=0 src2=0
	v_dual_mul_f32 v21, v1 /*v257*/, v169 :: v_dual_mul_f32 v23, v3 /*v259*/, v171
	s_set_vgpr_msb 0                        ;  msbs: dst=0 src0=0 src1=0 src2=0
	v_dual_mul_f32 v15, v213, v177 :: v_dual_fmac_f32 v47, v255, v166
	v_dual_fma_f32 v19, v254, v166, -v19 :: v_dual_add_f32 v7, v7, v45
	v_add_f32_e32 v9, v9, v17
	s_set_vgpr_msb 1                        ;  msbs: dst=0 src0=1 src1=0 src2=0
	v_dual_mul_f32 v11, v5 /*v261*/, v173 :: v_dual_fma_f32 v17, v0 /*v256*/, v168, -v21
	v_dual_fmac_f32 v49, v1 /*v257*/, v168 :: v_dual_fmac_f32 v51, v3 /*v259*/, v170
	s_set_vgpr_msb 0                        ;  msbs: dst=0 src0=0 src1=0 src2=0
	v_add_f32_e32 v7, v7, v47
	v_add_f32_e32 v9, v9, v19
	s_set_vgpr_msb 1                        ;  msbs: dst=0 src0=1 src1=0 src2=0
	v_dual_fma_f32 v19, v2 /*v258*/, v170, -v23 :: v_dual_fmac_f32 v53, v5 /*v261*/, v172
	s_set_vgpr_msb 64                       ;  msbs: dst=1 src0=0 src1=0 src2=0
	v_dual_mul_f32 v17 /*v273*/, v210, v175 :: v_dual_mul_f32 v19 /*v275*/, v212, v177
	s_set_vgpr_msb 0                        ;  msbs: dst=0 src0=0 src1=0 src2=0
	v_add_f32_e32 v7, v7, v49
	v_add_f32_e32 v9, v9, v17
	s_wait_loadcnt 0x4
	v_mov_b32_e32 v128, v181
	s_set_vgpr_msb 1                        ;  msbs: dst=0 src0=1 src1=0 src2=0
	v_fma_f32 v11, v4 /*v260*/, v172, -v11
	s_set_vgpr_msb 0                        ;  msbs: dst=0 src0=0 src1=0 src2=0
	v_pk_mul_f32 v[126:127], v[194:195], v[178:179] op_sel:[1,1] op_sel_hi:[0,1]
	v_add_f32_e32 v7, v7, v51
	v_add_f32_e32 v9, v9, v19
	s_set_vgpr_msb 64                       ;  msbs: dst=1 src0=0 src1=0 src2=0
	v_dual_fmac_f32 v17 /*v273*/, v211, v174 :: v_dual_fmac_f32 v19 /*v275*/, v213, v176
	v_dual_fma_f32 v16 /*v272*/, v210, v174, -v13 :: v_dual_fma_f32 v18 /*v274*/, v212, v176, -v15
	s_set_vgpr_msb 0                        ;  msbs: dst=0 src0=0 src1=0 src2=0
	v_dual_add_f32 v135, v7, v53 :: v_dual_add_f32 v134, v9, v11
	v_pk_fma_f32 v[136:137], v[194:195], v[178:179], v[126:127] op_sel_hi:[1,0,1]
	s_set_vgpr_msb 1                        ;  msbs: dst=0 src0=1 src1=0 src2=0
	v_pk_mul_f32 v[128:129], v[8:9] /*v[264:265]*/, v[128:129] op_sel_hi:[1,0]
	s_set_vgpr_msb 0                        ;  msbs: dst=0 src0=0 src1=0 src2=0
	v_pk_fma_f32 v[126:127], v[194:195], v[178:179], v[126:127] neg_lo:[0,0,1] neg_hi:[0,0,1]
	s_wait_loadcnt 0x3
	v_pk_mul_f32 v[130:131], v[198:199], v[182:183] op_sel:[1,1] op_sel_hi:[0,1]
	s_set_vgpr_msb 4                        ;  msbs: dst=0 src0=0 src1=1 src2=0
	v_pk_add_f32 v[134:135], v[134:135], v[16:17] /*v[272:273]*/
	v_dual_mov_b32 v132, v185 :: v_dual_mov_b32 v127, v137
	s_set_vgpr_msb 0                        ;  msbs: dst=0 src0=0 src1=0 src2=0
	v_pk_fma_f32 v[136:137], v[196:197], v[180:181], v[128:129] op_sel_hi:[1,0,1]
	v_pk_fma_f32 v[128:129], v[196:197], v[180:181], v[128:129] neg_lo:[0,0,1] neg_hi:[0,0,1]
	s_set_vgpr_msb 4                        ;  msbs: dst=0 src0=0 src1=1 src2=0
	v_pk_add_f32 v[134:135], v[134:135], v[18:19] /*v[274:275]*/
	s_set_vgpr_msb 0                        ;  msbs: dst=0 src0=0 src1=0 src2=0
	v_pk_fma_f32 v[140:141], v[198:199], v[182:183], v[130:131] op_sel_hi:[1,0,1]
	s_set_vgpr_msb 1                        ;  msbs: dst=0 src0=1 src1=0 src2=0
	v_pk_mul_f32 v[132:133], v[10:11] /*v[266:267]*/, v[132:133] op_sel_hi:[1,0]
	s_set_vgpr_msb 0                        ;  msbs: dst=0 src0=0 src1=0 src2=0
	v_mov_b32_e32 v129, v137
	s_wait_loadcnt 0x2
	v_pk_mul_f32 v[138:139], v[202:203], v[186:187] op_sel:[1,1] op_sel_hi:[0,1]
	v_pk_add_f32 v[126:127], v[134:135], v[126:127]
	v_mov_b32_e32 v134, v189
	v_pk_fma_f32 v[130:131], v[198:199], v[182:183], v[130:131] neg_lo:[0,0,1] neg_hi:[0,0,1]
	v_pk_fma_f32 v[136:137], v[200:201], v[184:185], v[132:133] op_sel_hi:[1,0,1]
	v_mov_b32_e32 v131, v141
	v_pk_add_f32 v[126:127], v[126:127], v[128:129]
	v_pk_fma_f32 v[128:129], v[202:203], v[186:187], v[138:139] op_sel_hi:[1,0,1]
	s_set_vgpr_msb 1                        ;  msbs: dst=0 src0=1 src1=0 src2=0
	v_pk_mul_f32 v[134:135], v[12:13] /*v[268:269]*/, v[134:135] op_sel_hi:[1,0]
	s_set_vgpr_msb 0                        ;  msbs: dst=0 src0=0 src1=0 src2=0
	v_pk_fma_f32 v[132:133], v[200:201], v[184:185], v[132:133] neg_lo:[0,0,1] neg_hi:[0,0,1]
	v_mov_b32_e32 v133, v137
	v_pk_add_f32 v[126:127], v[126:127], v[130:131]
	v_pk_fma_f32 v[136:137], v[202:203], v[186:187], v[138:139] neg_lo:[0,0,1] neg_hi:[0,0,1]
	v_mov_b32_e32 v137, v129
	v_pk_fma_f32 v[128:129], v[204:205], v[188:189], v[134:135] op_sel_hi:[1,0,1]
	s_wait_loadcnt 0x1
	v_pk_mul_f32 v[130:131], v[206:207], v[190:191] op_sel:[1,1] op_sel_hi:[0,1]
	v_pk_add_f32 v[126:127], v[126:127], v[132:133]
	v_mov_b32_e32 v128, v193
	v_pk_fma_f32 v[134:135], v[204:205], v[188:189], v[134:135] neg_lo:[0,0,1] neg_hi:[0,0,1]
	s_delay_alu instid0(VALU_DEP_4)
	v_pk_fma_f32 v[132:133], v[206:207], v[190:191], v[130:131] op_sel_hi:[1,0,1]
	v_mov_b32_e32 v135, v129
	v_pk_add_f32 v[126:127], v[126:127], v[136:137]
	s_set_vgpr_msb 1                        ;  msbs: dst=0 src0=1 src1=0 src2=0
	v_pk_mul_f32 v[128:129], v[14:15] /*v[270:271]*/, v[128:129] op_sel_hi:[1,0]
	s_set_vgpr_msb 0                        ;  msbs: dst=0 src0=0 src1=0 src2=0
	v_pk_fma_f32 v[130:131], v[206:207], v[190:191], v[130:131] neg_lo:[0,0,1] neg_hi:[0,0,1]
	v_mov_b32_e32 v131, v133
	v_pk_add_f32 v[126:127], v[126:127], v[134:135]
	v_pk_fma_f32 v[132:133], v[208:209], v[192:193], v[128:129] op_sel_hi:[1,0,1]
	v_pk_fma_f32 v[128:129], v[208:209], v[192:193], v[128:129] neg_lo:[0,0,1] neg_hi:[0,0,1]
	s_delay_alu instid0(VALU_DEP_3) | instskip(NEXT) | instid1(VALU_DEP_3)
	v_pk_add_f32 v[126:127], v[126:127], v[130:131]
	v_mov_b32_e32 v129, v133
	s_delay_alu instid0(VALU_DEP_1) | instskip(SKIP_2) | instid1(VALU_DEP_1)
	v_pk_add_f32 v[126:127], v[126:127], v[128:129]
	s_wait_loadcnt 0x0
	s_set_vgpr_msb 1                        ;  msbs: dst=0 src0=1 src1=0 src2=0
	v_pk_add_f32 v[126:127], v[6:7] /*v[262:263]*/, v[126:127] neg_lo:[0,1] neg_hi:[0,1]
	scratch_store_b64 off, v[126:127], off offset:216
	s_wait_xcnt 0x0
	v_cmpx_lt_u32_e32 26, v0
	s_set_vgpr_msb 0                        ;  msbs: dst=0 src0=0 src1=0 src2=0
	s_cbranch_execz .LBB61_333
; %bb.332:
	scratch_load_b64 v[126:127], off, off offset:208
	v_mov_b64_e32 v[128:129], 0
	scratch_store_b64 off, v[128:129], off offset:208
	s_wait_loadcnt 0x0
	ds_store_b64 v1, v[126:127]
.LBB61_333:
	s_wait_xcnt 0x0
	s_or_b32 exec_lo, exec_lo, s0
	s_wait_storecnt_dscnt 0x0
	s_barrier_signal -1
	s_barrier_wait -1
	s_clause 0x13
	scratch_load_b128 v[126:129], off, off offset:216
	scratch_load_b128 v[130:133], off, off offset:232
	;; [unrolled: 1-line block ×17, first 2 shown]
	s_set_vgpr_msb 64                       ;  msbs: dst=1 src0=0 src1=0 src2=0
	scratch_load_b64 v[6:7] /*v[262:263]*/, off, off offset:488
	scratch_load_b64 v[8:9] /*v[264:265]*/, off, off offset:208
	s_set_vgpr_msb 0                        ;  msbs: dst=0 src0=0 src1=0 src2=0
	v_mov_b32_e32 v7, 0
	ds_load_2addr_b64 v[194:197], v7 offset0:115 offset1:116
	ds_load_2addr_b64 v[198:201], v7 offset0:117 offset1:118
	ds_load_2addr_b64 v[202:205], v7 offset0:119 offset1:120
	ds_load_2addr_b64 v[206:209], v7 offset0:113 offset1:114
	ds_load_2addr_b64 v[210:213], v7 offset0:121 offset1:122
	ds_load_2addr_b64 v[214:217], v7 offset0:89 offset1:90
	ds_load_2addr_b64 v[218:221], v7 offset0:91 offset1:92
	ds_load_2addr_b64 v[222:225], v7 offset0:93 offset1:94
	ds_load_2addr_b64 v[226:229], v7 offset0:95 offset1:96
	ds_load_2addr_b64 v[230:233], v7 offset0:97 offset1:98
	ds_load_2addr_b64 v[234:237], v7 offset0:99 offset1:100
	ds_load_2addr_b64 v[238:241], v7 offset0:101 offset1:102
	ds_load_2addr_b64 v[242:245], v7 offset0:103 offset1:104
	ds_load_2addr_b64 v[246:249], v7 offset0:105 offset1:106
	ds_load_2addr_b64 v[250:253], v7 offset0:107 offset1:108
	ds_load_2addr_b64 v[254:257], v7 offset0:109 offset1:110
	s_set_vgpr_msb 64                       ;  msbs: dst=1 src0=0 src1=0 src2=0
	ds_load_2addr_b64 v[2:5] /*v[258:261]*/, v7 offset0:111 offset1:112
	ds_load_b64 v[10:11] /*v[266:267]*/, v7 offset:984
	s_mov_b32 s0, exec_lo
	s_wait_dscnt 0x11
	v_dual_mov_b32 v12 /*v268*/, v197 :: v_dual_mov_b32 v13 /*v269*/, v196
	s_wait_dscnt 0x10
	v_dual_mov_b32 v14 /*v270*/, v201 :: v_dual_mov_b32 v15 /*v271*/, v200
	;; [unrolled: 2-line block ×4, first 2 shown]
	s_wait_loadcnt_dscnt 0x120c
	s_set_vgpr_msb 0                        ;  msbs: dst=0 src0=0 src1=0 src2=0
	v_dual_mul_f32 v9, v214, v127 :: v_dual_mul_f32 v59, v215, v127
	s_wait_loadcnt_dscnt 0x110b
	v_mul_f32_e32 v65, v221, v133
	v_dual_mul_f32 v11, v216, v129 :: v_dual_mul_f32 v13, v218, v131
	s_wait_loadcnt_dscnt 0x100a
	v_dual_mul_f32 v67, v223, v135 :: v_dual_fma_f32 v59, v214, v126, -v59
	s_delay_alu instid0(VALU_DEP_2)
	v_dual_fmac_f32 v9, v215, v126 :: v_dual_fmac_f32 v11, v217, v128
	v_dual_mul_f32 v61, v217, v129 :: v_dual_mul_f32 v63, v219, v131
	s_wait_loadcnt 0x6
	v_dual_mul_f32 v69, v225, v137 :: v_dual_mul_f32 v57, v206, v175
	s_wait_dscnt 0x1
	s_set_vgpr_msb 1                        ;  msbs: dst=0 src0=1 src1=0 src2=0
	v_dual_mul_f32 v55, v4 /*v260*/, v173 :: v_dual_add_f32 v59, 0, v59
	s_set_vgpr_msb 0                        ;  msbs: dst=0 src0=0 src1=0 src2=0
	v_dual_fma_f32 v61, v216, v128, -v61 :: v_dual_add_f32 v9, 0, v9
	v_dual_mul_f32 v15, v220, v133 :: v_dual_mul_f32 v17, v222, v135
	v_dual_mul_f32 v75, v231, v143 :: v_dual_fma_f32 v63, v218, v130, -v63
	s_delay_alu instid0(VALU_DEP_3) | instskip(NEXT) | instid1(VALU_DEP_3)
	v_dual_fmac_f32 v13, v219, v130 :: v_dual_add_f32 v9, v9, v11
	v_dual_add_f32 v11, v59, v61 :: v_dual_fmac_f32 v15, v221, v132
	v_dual_mul_f32 v59, v233, v145 :: v_dual_fma_f32 v61, v220, v132, -v65
	s_delay_alu instid0(VALU_DEP_2) | instskip(SKIP_2) | instid1(VALU_DEP_3)
	v_dual_add_f32 v9, v9, v13 :: v_dual_add_f32 v11, v11, v63
	v_dual_mul_f32 v19, v224, v137 :: v_dual_mul_f32 v21, v226, v139
	v_dual_mul_f32 v13, v235, v147 :: v_dual_fma_f32 v63, v222, v134, -v67
	v_dual_fmac_f32 v17, v223, v134 :: v_dual_add_f32 v9, v9, v15
	s_delay_alu instid0(VALU_DEP_3) | instskip(SKIP_2) | instid1(VALU_DEP_3)
	v_dual_add_f32 v11, v11, v61 :: v_dual_fmac_f32 v19, v225, v136
	v_dual_mul_f32 v71, v227, v139 :: v_dual_mul_f32 v73, v229, v141
	v_dual_mul_f32 v15, v237, v149 :: v_dual_fma_f32 v61, v224, v136, -v69
	v_dual_add_f32 v9, v9, v17 :: v_dual_add_f32 v11, v11, v63
	v_dual_mul_f32 v23, v228, v141 :: v_dual_mul_f32 v25, v230, v143
	s_delay_alu instid0(VALU_DEP_4) | instskip(NEXT) | instid1(VALU_DEP_3)
	v_dual_mul_f32 v17, v239, v151 :: v_dual_fma_f32 v63, v226, v138, -v71
	v_dual_fmac_f32 v21, v227, v138 :: v_dual_add_f32 v9, v9, v19
	s_delay_alu instid0(VALU_DEP_3) | instskip(SKIP_1) | instid1(VALU_DEP_2)
	v_dual_add_f32 v11, v11, v61 :: v_dual_fmac_f32 v23, v229, v140
	v_dual_mul_f32 v19, v241, v153 :: v_dual_fma_f32 v61, v228, v140, -v73
	v_dual_add_f32 v9, v9, v21 :: v_dual_add_f32 v11, v11, v63
	v_dual_mul_f32 v27, v232, v145 :: v_dual_mul_f32 v29, v234, v147
	v_dual_mul_f32 v21, v243, v155 :: v_dual_fma_f32 v63, v230, v142, -v75
	s_delay_alu instid0(VALU_DEP_3) | instskip(NEXT) | instid1(VALU_DEP_3)
	v_dual_fmac_f32 v25, v231, v142 :: v_dual_add_f32 v9, v9, v23
	v_dual_add_f32 v11, v11, v61 :: v_dual_fmac_f32 v27, v233, v144
	v_dual_mul_f32 v23, v245, v157 :: v_dual_fma_f32 v59, v232, v144, -v59
	s_delay_alu instid0(VALU_DEP_2) | instskip(SKIP_2) | instid1(VALU_DEP_3)
	v_dual_add_f32 v9, v9, v25 :: v_dual_add_f32 v11, v11, v63
	v_dual_mul_f32 v31, v236, v149 :: v_dual_mul_f32 v33, v238, v151
	v_dual_mul_f32 v25, v247, v159 :: v_dual_fma_f32 v13, v234, v146, -v13
	v_dual_fmac_f32 v29, v235, v146 :: v_dual_add_f32 v9, v9, v27
	s_delay_alu instid0(VALU_DEP_4) | instskip(NEXT) | instid1(VALU_DEP_4)
	v_dual_add_f32 v11, v11, v59 :: v_dual_mul_f32 v27, v249, v161
	v_fmac_f32_e32 v31, v237, v148
	s_delay_alu instid0(VALU_DEP_3) | instskip(NEXT) | instid1(VALU_DEP_3)
	v_dual_fma_f32 v15, v236, v148, -v15 :: v_dual_add_f32 v9, v9, v29
	v_add_f32_e32 v11, v11, v13
	v_dual_mul_f32 v35, v240, v153 :: v_dual_mul_f32 v37, v242, v155
	v_dual_mul_f32 v13, v251, v163 :: v_dual_fma_f32 v17, v238, v150, -v17
	s_delay_alu instid0(VALU_DEP_4) | instskip(NEXT) | instid1(VALU_DEP_4)
	v_dual_fmac_f32 v33, v239, v150 :: v_dual_add_f32 v9, v9, v31
	v_dual_add_f32 v11, v11, v15 :: v_dual_mul_f32 v15, v253, v165
	s_delay_alu instid0(VALU_DEP_4) | instskip(NEXT) | instid1(VALU_DEP_3)
	v_fmac_f32_e32 v35, v241, v152
	v_dual_fma_f32 v19, v240, v152, -v19 :: v_dual_add_f32 v9, v9, v33
	s_delay_alu instid0(VALU_DEP_3) | instskip(SKIP_2) | instid1(VALU_DEP_4)
	v_add_f32_e32 v11, v11, v17
	v_dual_mul_f32 v39, v244, v157 :: v_dual_mul_f32 v41, v246, v159
	v_dual_mul_f32 v17, v255, v167 :: v_dual_fma_f32 v21, v242, v154, -v21
	v_dual_fmac_f32 v37, v243, v154 :: v_dual_add_f32 v9, v9, v35
	s_delay_alu instid0(VALU_DEP_3) | instskip(SKIP_2) | instid1(VALU_DEP_4)
	v_dual_add_f32 v11, v11, v19 :: v_dual_fmac_f32 v39, v245, v156
	v_fma_f32 v23, v244, v156, -v23
	v_dual_mul_f32 v43, v248, v161 :: v_dual_mul_f32 v45, v250, v163
	v_add_f32_e32 v9, v9, v37
	s_delay_alu instid0(VALU_DEP_4) | instskip(NEXT) | instid1(VALU_DEP_3)
	v_dual_add_f32 v11, v11, v21 :: v_dual_fma_f32 v25, v246, v158, -v25
	v_dual_fmac_f32 v41, v247, v158 :: v_dual_fmac_f32 v43, v249, v160
	s_delay_alu instid0(VALU_DEP_3) | instskip(NEXT) | instid1(VALU_DEP_3)
	v_add_f32_e32 v9, v9, v39
	v_dual_add_f32 v11, v11, v23 :: v_dual_fma_f32 v27, v248, v160, -v27
	v_dual_mul_f32 v47, v252, v165 :: v_dual_mul_f32 v49, v254, v167
	s_delay_alu instid0(VALU_DEP_3) | instskip(NEXT) | instid1(VALU_DEP_3)
	v_add_f32_e32 v9, v9, v41
	v_dual_add_f32 v11, v11, v25 :: v_dual_fma_f32 v13, v250, v162, -v13
	s_delay_alu instid0(VALU_DEP_3) | instskip(NEXT) | instid1(VALU_DEP_3)
	v_dual_fmac_f32 v45, v251, v162 :: v_dual_fmac_f32 v47, v253, v164
	v_add_f32_e32 v9, v9, v43
	s_delay_alu instid0(VALU_DEP_3)
	v_dual_add_f32 v11, v11, v27 :: v_dual_fma_f32 v15, v252, v164, -v15
	s_set_vgpr_msb 1                        ;  msbs: dst=0 src0=1 src1=0 src2=0
	v_dual_mul_f32 v51, v0 /*v256*/, v169 :: v_dual_mul_f32 v53, v2 /*v258*/, v171
	s_set_vgpr_msb 0                        ;  msbs: dst=0 src0=0 src1=0 src2=0
	v_add_f32_e32 v9, v9, v45
	v_dual_add_f32 v11, v11, v13 :: v_dual_fma_f32 v17, v254, v166, -v17
	s_set_vgpr_msb 1                        ;  msbs: dst=0 src0=1 src1=0 src2=0
	v_dual_mul_f32 v19, v1 /*v257*/, v169 :: v_dual_mul_f32 v21, v3 /*v259*/, v171
	s_set_vgpr_msb 0                        ;  msbs: dst=0 src0=0 src1=0 src2=0
	v_dual_fmac_f32 v49, v255, v166 :: v_dual_add_f32 v9, v9, v47
	v_add_f32_e32 v11, v11, v15
	s_set_vgpr_msb 1                        ;  msbs: dst=0 src0=1 src1=0 src2=0
	v_dual_mul_f32 v23, v5 /*v261*/, v173 :: v_dual_fma_f32 v15, v0 /*v256*/, v168, -v19
	v_dual_fmac_f32 v51, v1 /*v257*/, v168 :: v_dual_fmac_f32 v53, v3 /*v259*/, v170
	s_set_vgpr_msb 0                        ;  msbs: dst=0 src0=0 src1=0 src2=0
	v_add_f32_e32 v9, v9, v49
	v_add_f32_e32 v11, v11, v17
	s_set_vgpr_msb 1                        ;  msbs: dst=0 src0=1 src1=0 src2=0
	v_dual_fma_f32 v17, v2 /*v258*/, v170, -v21 :: v_dual_fmac_f32 v55, v5 /*v261*/, v172
	s_set_vgpr_msb 0                        ;  msbs: dst=0 src0=0 src1=0 src2=0
	v_dual_mul_f32 v25, v207, v175 :: v_dual_mul_f32 v27, v209, v177
	v_add_f32_e32 v9, v9, v51
	s_wait_loadcnt 0x4
	v_dual_add_f32 v11, v11, v15 :: v_dual_mov_b32 v130, v185
	s_set_vgpr_msb 1                        ;  msbs: dst=0 src0=1 src1=0 src2=0
	v_fma_f32 v15, v4 /*v260*/, v172, -v23
	s_set_vgpr_msb 64                       ;  msbs: dst=1 src0=0 src1=0 src2=0
	v_dual_mul_f32 v21 /*v277*/, v208, v177 :: v_dual_mul_f32 v23 /*v279*/, v194, v179
	s_set_vgpr_msb 0                        ;  msbs: dst=0 src0=0 src1=0 src2=0
	v_dual_add_f32 v9, v9, v53 :: v_dual_fmac_f32 v57, v207, v174
	v_dual_add_f32 v11, v11, v17 :: v_dual_fma_f32 v17, v206, v174, -v25
	v_dual_mul_f32 v13, v195, v179 :: v_dual_mov_b32 v126, v181
	s_set_vgpr_msb 64                       ;  msbs: dst=1 src0=0 src1=0 src2=0
	v_dual_fmac_f32 v21 /*v277*/, v209, v176 :: v_dual_fmac_f32 v23 /*v279*/, v195, v178
	s_set_vgpr_msb 0                        ;  msbs: dst=0 src0=0 src1=0 src2=0
	v_add_f32_e32 v11, v11, v15
	v_add_f32_e32 v9, v9, v55
	s_set_vgpr_msb 64                       ;  msbs: dst=1 src0=0 src1=0 src2=0
	v_dual_fma_f32 v20 /*v276*/, v208, v176, -v27 :: v_dual_fma_f32 v22 /*v278*/, v194, v178, -v13
	s_set_vgpr_msb 1                        ;  msbs: dst=0 src0=1 src1=0 src2=0
	v_pk_mul_f32 v[126:127], v[12:13] /*v[268:269]*/, v[126:127] op_sel_hi:[1,0]
	s_set_vgpr_msb 0                        ;  msbs: dst=0 src0=0 src1=0 src2=0
	v_add_f32_e32 v134, v11, v17
	v_add_f32_e32 v135, v9, v57
	v_pk_mul_f32 v[128:129], v[198:199], v[182:183] op_sel:[1,1] op_sel_hi:[0,1]
	s_set_vgpr_msb 1                        ;  msbs: dst=0 src0=1 src1=0 src2=0
	v_pk_mul_f32 v[130:131], v[14:15] /*v[270:271]*/, v[130:131] op_sel_hi:[1,0]
	s_set_vgpr_msb 0                        ;  msbs: dst=0 src0=0 src1=0 src2=0
	v_pk_fma_f32 v[138:139], v[196:197], v[180:181], v[126:127] op_sel_hi:[1,0,1]
	v_pk_fma_f32 v[126:127], v[196:197], v[180:181], v[126:127] neg_lo:[0,0,1] neg_hi:[0,0,1]
	s_set_vgpr_msb 4                        ;  msbs: dst=0 src0=0 src1=1 src2=0
	v_pk_add_f32 v[134:135], v[134:135], v[20:21] /*v[276:277]*/
	s_wait_loadcnt 0x3
	v_mov_b32_e32 v136, v189
	s_set_vgpr_msb 0                        ;  msbs: dst=0 src0=0 src1=0 src2=0
	v_pk_fma_f32 v[140:141], v[198:199], v[182:183], v[128:129] op_sel_hi:[1,0,1]
	v_mov_b32_e32 v127, v139
	v_pk_fma_f32 v[128:129], v[198:199], v[182:183], v[128:129] neg_lo:[0,0,1] neg_hi:[0,0,1]
	s_set_vgpr_msb 4                        ;  msbs: dst=0 src0=0 src1=1 src2=0
	v_pk_add_f32 v[134:135], v[134:135], v[22:23] /*v[278:279]*/
	s_set_vgpr_msb 0                        ;  msbs: dst=0 src0=0 src1=0 src2=0
	v_pk_mul_f32 v[132:133], v[202:203], v[186:187] op_sel:[1,1] op_sel_hi:[0,1]
	v_mov_b32_e32 v129, v141
	v_pk_fma_f32 v[140:141], v[200:201], v[184:185], v[130:131] op_sel_hi:[1,0,1]
	v_pk_fma_f32 v[130:131], v[200:201], v[184:185], v[130:131] neg_lo:[0,0,1] neg_hi:[0,0,1]
	v_pk_add_f32 v[126:127], v[134:135], v[126:127]
	v_pk_fma_f32 v[134:135], v[202:203], v[186:187], v[132:133] op_sel_hi:[1,0,1]
	s_set_vgpr_msb 1                        ;  msbs: dst=0 src0=1 src1=0 src2=0
	v_pk_mul_f32 v[136:137], v[16:17] /*v[272:273]*/, v[136:137] op_sel_hi:[1,0]
	s_set_vgpr_msb 0                        ;  msbs: dst=0 src0=0 src1=0 src2=0
	v_mov_b32_e32 v131, v141
	v_pk_fma_f32 v[132:133], v[202:203], v[186:187], v[132:133] neg_lo:[0,0,1] neg_hi:[0,0,1]
	v_pk_add_f32 v[126:127], v[126:127], v[128:129]
	s_wait_loadcnt 0x2
	v_pk_mul_f32 v[138:139], v[210:211], v[190:191] op_sel:[1,1] op_sel_hi:[0,1]
	v_dual_mov_b32 v128, v193 :: v_dual_mov_b32 v133, v135
	v_pk_fma_f32 v[134:135], v[204:205], v[188:189], v[136:137] op_sel_hi:[1,0,1]
	v_pk_add_f32 v[126:127], v[126:127], v[130:131]
	v_pk_fma_f32 v[136:137], v[204:205], v[188:189], v[136:137] neg_lo:[0,0,1] neg_hi:[0,0,1]
	v_pk_fma_f32 v[130:131], v[210:211], v[190:191], v[138:139] op_sel_hi:[1,0,1]
	s_set_vgpr_msb 1                        ;  msbs: dst=0 src0=1 src1=0 src2=0
	v_pk_mul_f32 v[128:129], v[18:19] /*v[274:275]*/, v[128:129] op_sel_hi:[1,0]
	s_set_vgpr_msb 0                        ;  msbs: dst=0 src0=0 src1=0 src2=0
	v_mov_b32_e32 v137, v135
	v_pk_add_f32 v[126:127], v[126:127], v[132:133]
	v_pk_fma_f32 v[132:133], v[210:211], v[190:191], v[138:139] neg_lo:[0,0,1] neg_hi:[0,0,1]
	v_mov_b32_e32 v133, v131
	v_pk_fma_f32 v[130:131], v[212:213], v[192:193], v[128:129] op_sel_hi:[1,0,1]
	s_wait_loadcnt_dscnt 0x100
	s_set_vgpr_msb 5                        ;  msbs: dst=0 src0=1 src1=1 src2=0
	v_pk_mul_f32 v[134:135], v[10:11] /*v[266:267]*/, v[6:7] /*v[262:263]*/ op_sel:[1,1] op_sel_hi:[0,1]
	s_set_vgpr_msb 0                        ;  msbs: dst=0 src0=0 src1=0 src2=0
	v_pk_add_f32 v[126:127], v[126:127], v[136:137]
	v_pk_fma_f32 v[128:129], v[212:213], v[192:193], v[128:129] neg_lo:[0,0,1] neg_hi:[0,0,1]
	v_mov_b32_e32 v129, v131
	s_set_vgpr_msb 5                        ;  msbs: dst=0 src0=1 src1=1 src2=0
	v_pk_fma_f32 v[130:131], v[10:11] /*v[266:267]*/, v[6:7] /*v[262:263]*/, v[134:135] op_sel_hi:[1,0,1]
	s_set_vgpr_msb 0                        ;  msbs: dst=0 src0=0 src1=0 src2=0
	v_pk_add_f32 v[126:127], v[126:127], v[132:133]
	s_set_vgpr_msb 5                        ;  msbs: dst=0 src0=1 src1=1 src2=0
	v_pk_fma_f32 v[132:133], v[10:11] /*v[266:267]*/, v[6:7] /*v[262:263]*/, v[134:135] neg_lo:[0,0,1] neg_hi:[0,0,1]
	s_set_vgpr_msb 0                        ;  msbs: dst=0 src0=0 src1=0 src2=0
	v_mov_b32_e32 v133, v131
	v_pk_add_f32 v[126:127], v[126:127], v[128:129]
	s_delay_alu instid0(VALU_DEP_1) | instskip(SKIP_2) | instid1(VALU_DEP_1)
	v_pk_add_f32 v[126:127], v[126:127], v[132:133]
	s_wait_loadcnt 0x0
	s_set_vgpr_msb 1                        ;  msbs: dst=0 src0=1 src1=0 src2=0
	v_pk_add_f32 v[126:127], v[8:9] /*v[264:265]*/, v[126:127] neg_lo:[0,1] neg_hi:[0,1]
	scratch_store_b64 off, v[126:127], off offset:208
	s_wait_xcnt 0x0
	v_cmpx_lt_u32_e32 25, v0
	s_set_vgpr_msb 0                        ;  msbs: dst=0 src0=0 src1=0 src2=0
	s_cbranch_execz .LBB61_335
; %bb.334:
	scratch_load_b64 v[126:127], off, off offset:200
	v_mov_b64_e32 v[128:129], 0
	scratch_store_b64 off, v[128:129], off offset:200
	s_wait_loadcnt 0x0
	ds_store_b64 v1, v[126:127]
.LBB61_335:
	s_wait_xcnt 0x0
	s_or_b32 exec_lo, exec_lo, s0
	s_wait_storecnt_dscnt 0x0
	s_barrier_signal -1
	s_barrier_wait -1
	s_clause 0x13
	scratch_load_b128 v[126:129], off, off offset:208
	scratch_load_b128 v[130:133], off, off offset:224
	;; [unrolled: 1-line block ×18, first 2 shown]
	s_set_vgpr_msb 64                       ;  msbs: dst=1 src0=0 src1=0 src2=0
	scratch_load_b64 v[14:15] /*v[270:271]*/, off, off offset:200
	s_set_vgpr_msb 0                        ;  msbs: dst=0 src0=0 src1=0 src2=0
	ds_load_b128 v[198:201], v7 offset:928
	ds_load_b128 v[202:205], v7 offset:944
	;; [unrolled: 1-line block ×15, first 2 shown]
	s_set_vgpr_msb 64                       ;  msbs: dst=1 src0=0 src1=0 src2=0
	ds_load_b128 v[2:5] /*v[258:261]*/, v7 offset:880
	ds_load_b128 v[6:9] /*v[262:265]*/, v7 offset:896
	;; [unrolled: 1-line block ×3, first 2 shown]
	s_mov_b32 s0, exec_lo
	s_wait_dscnt 0x11
	v_dual_mov_b32 v16 /*v272*/, v201 :: v_dual_mov_b32 v17 /*v273*/, v200
	s_wait_dscnt 0x10
	v_dual_mov_b32 v18 /*v274*/, v205 :: v_dual_mov_b32 v19 /*v275*/, v204
	;; [unrolled: 2-line block ×4, first 2 shown]
	s_wait_loadcnt_dscnt 0x120d
	s_set_vgpr_msb 0                        ;  msbs: dst=0 src0=0 src1=0 src2=0
	v_dual_mul_f32 v7, v214, v127 :: v_dual_mul_f32 v9, v216, v129
	s_wait_loadcnt_dscnt 0x110c
	v_dual_mul_f32 v59, v215, v127 :: v_dual_mul_f32 v65, v221, v133
	v_dual_mul_f32 v11, v218, v131 :: v_dual_mul_f32 v13, v220, v133
	s_delay_alu instid0(VALU_DEP_3)
	v_dual_fmac_f32 v7, v215, v126 :: v_dual_fmac_f32 v9, v217, v128
	v_dual_mul_f32 v61, v217, v129 :: v_dual_mul_f32 v63, v219, v131
	s_wait_loadcnt_dscnt 0x803
	v_dual_mul_f32 v69, v225, v137 :: v_dual_mul_f32 v47, v254, v167
	s_wait_loadcnt_dscnt 0x601
	s_set_vgpr_msb 1                        ;  msbs: dst=0 src0=1 src1=0 src2=0
	v_dual_mul_f32 v57, v8 /*v264*/, v177 :: v_dual_add_f32 v7, 0, v7
	s_set_vgpr_msb 0                        ;  msbs: dst=0 src0=0 src1=0 src2=0
	v_dual_mul_f32 v67, v223, v135 :: v_dual_fma_f32 v59, v214, v126, -v59
	v_dual_mul_f32 v71, v227, v139 :: v_dual_fma_f32 v61, v216, v128, -v61
	v_dual_fmac_f32 v11, v219, v130 :: v_dual_fmac_f32 v13, v221, v132
	s_delay_alu instid0(VALU_DEP_3) | instskip(SKIP_2) | instid1(VALU_DEP_3)
	v_dual_add_f32 v59, 0, v59 :: v_dual_mul_f32 v73, v229, v141
	v_dual_fma_f32 v63, v218, v130, -v63 :: v_dual_add_f32 v7, v7, v9
	v_dual_mul_f32 v15, v222, v135 :: v_dual_mul_f32 v17, v224, v137
	v_dual_add_f32 v9, v59, v61 :: v_dual_fma_f32 v61, v220, v132, -v65
	s_delay_alu instid0(VALU_DEP_3) | instskip(NEXT) | instid1(VALU_DEP_3)
	v_add_f32_e32 v7, v7, v11
	v_dual_fmac_f32 v15, v223, v134 :: v_dual_mul_f32 v19, v226, v139
	s_delay_alu instid0(VALU_DEP_3) | instskip(NEXT) | instid1(VALU_DEP_3)
	v_dual_mul_f32 v21, v228, v141 :: v_dual_add_f32 v9, v9, v63
	v_dual_fma_f32 v63, v222, v134, -v67 :: v_dual_add_f32 v7, v7, v13
	v_dual_fmac_f32 v17, v225, v136 :: v_dual_mul_f32 v13, v235, v147
	s_delay_alu instid0(VALU_DEP_3) | instskip(NEXT) | instid1(VALU_DEP_3)
	v_dual_add_f32 v9, v9, v61 :: v_dual_fma_f32 v61, v224, v136, -v69
	v_add_f32_e32 v7, v7, v15
	v_dual_fmac_f32 v19, v227, v138 :: v_dual_mul_f32 v23, v230, v143
	s_delay_alu instid0(VALU_DEP_3) | instskip(NEXT) | instid1(VALU_DEP_3)
	v_dual_mul_f32 v25, v232, v145 :: v_dual_add_f32 v9, v9, v63
	v_dual_add_f32 v7, v7, v17 :: v_dual_fmac_f32 v21, v229, v140
	v_dual_mul_f32 v15, v237, v149 :: v_dual_fma_f32 v63, v226, v138, -v71
	s_delay_alu instid0(VALU_DEP_3) | instskip(NEXT) | instid1(VALU_DEP_3)
	v_dual_add_f32 v9, v9, v61 :: v_dual_mul_f32 v17, v239, v151
	v_dual_fma_f32 v61, v228, v140, -v73 :: v_dual_add_f32 v7, v7, v19
	v_dual_mul_f32 v59, v231, v143 :: v_dual_mul_f32 v11, v233, v145
	s_delay_alu instid0(VALU_DEP_3) | instskip(NEXT) | instid1(VALU_DEP_3)
	v_dual_add_f32 v9, v9, v63 :: v_dual_fmac_f32 v23, v231, v142
	v_dual_add_f32 v7, v7, v21 :: v_dual_fmac_f32 v25, v233, v144
	v_dual_mul_f32 v27, v234, v147 :: v_dual_mul_f32 v29, v236, v149
	s_delay_alu instid0(VALU_DEP_4) | instskip(NEXT) | instid1(VALU_DEP_4)
	v_dual_mul_f32 v19, v241, v153 :: v_dual_fma_f32 v59, v230, v142, -v59
	v_dual_add_f32 v9, v9, v61 :: v_dual_mul_f32 v21, v243, v155
	s_delay_alu instid0(VALU_DEP_4) | instskip(NEXT) | instid1(VALU_DEP_2)
	v_dual_fma_f32 v11, v232, v144, -v11 :: v_dual_add_f32 v7, v7, v23
	v_dual_fmac_f32 v27, v235, v146 :: v_dual_add_f32 v9, v9, v59
	v_dual_mul_f32 v31, v238, v151 :: v_dual_mul_f32 v33, v240, v153
	s_delay_alu instid0(VALU_DEP_3) | instskip(SKIP_1) | instid1(VALU_DEP_4)
	v_add_f32_e32 v7, v7, v25
	v_dual_mul_f32 v23, v245, v157 :: v_dual_fma_f32 v13, v234, v146, -v13
	v_add_f32_e32 v9, v9, v11
	v_dual_mul_f32 v11, v247, v159 :: v_dual_fmac_f32 v29, v237, v148
	s_delay_alu instid0(VALU_DEP_4) | instskip(NEXT) | instid1(VALU_DEP_3)
	v_dual_fma_f32 v15, v236, v148, -v15 :: v_dual_add_f32 v7, v7, v27
	v_dual_add_f32 v9, v9, v13 :: v_dual_fmac_f32 v31, v239, v150
	v_dual_mul_f32 v35, v242, v155 :: v_dual_mul_f32 v37, v244, v157
	s_delay_alu instid0(VALU_DEP_2) | instskip(SKIP_2) | instid1(VALU_DEP_3)
	v_dual_add_f32 v7, v7, v29 :: v_dual_add_f32 v9, v9, v15
	v_dual_mul_f32 v13, v249, v161 :: v_dual_fma_f32 v17, v238, v150, -v17
	v_dual_mul_f32 v15, v251, v163 :: v_dual_fmac_f32 v33, v241, v152
	v_dual_fma_f32 v19, v240, v152, -v19 :: v_dual_add_f32 v7, v7, v31
	s_delay_alu instid0(VALU_DEP_3) | instskip(SKIP_1) | instid1(VALU_DEP_2)
	v_dual_add_f32 v9, v9, v17 :: v_dual_fmac_f32 v35, v243, v154
	v_dual_mul_f32 v39, v246, v159 :: v_dual_mul_f32 v41, v248, v161
	v_dual_add_f32 v7, v7, v33 :: v_dual_add_f32 v9, v9, v19
	v_dual_mul_f32 v17, v253, v165 :: v_dual_fma_f32 v21, v242, v154, -v21
	v_dual_mul_f32 v19, v255, v167 :: v_dual_fmac_f32 v37, v245, v156
	s_delay_alu instid0(VALU_DEP_3) | instskip(NEXT) | instid1(VALU_DEP_3)
	v_dual_fma_f32 v23, v244, v156, -v23 :: v_dual_add_f32 v7, v7, v35
	v_dual_add_f32 v9, v9, v21 :: v_dual_fmac_f32 v39, v247, v158
	v_fma_f32 v11, v246, v158, -v11
	v_dual_mul_f32 v43, v250, v163 :: v_dual_mul_f32 v45, v252, v165
	s_delay_alu instid0(VALU_DEP_3) | instskip(SKIP_1) | instid1(VALU_DEP_3)
	v_dual_add_f32 v7, v7, v37 :: v_dual_add_f32 v9, v9, v23
	v_fma_f32 v13, v248, v160, -v13
	v_dual_fmac_f32 v41, v249, v160 :: v_dual_fmac_f32 v43, v251, v162
	s_delay_alu instid0(VALU_DEP_3) | instskip(NEXT) | instid1(VALU_DEP_4)
	v_add_f32_e32 v7, v7, v39
	v_dual_add_f32 v9, v9, v11 :: v_dual_fma_f32 v15, v250, v162, -v15
	s_set_vgpr_msb 1                        ;  msbs: dst=0 src0=1 src1=0 src2=0
	v_dual_mul_f32 v49, v0 /*v256*/, v169 :: v_dual_mul_f32 v51, v2 /*v258*/, v171
	s_set_vgpr_msb 0                        ;  msbs: dst=0 src0=0 src1=0 src2=0
	v_add_f32_e32 v7, v7, v41
	v_dual_add_f32 v9, v9, v13 :: v_dual_fma_f32 v17, v252, v164, -v17
	v_dual_fmac_f32 v45, v253, v164 :: v_dual_fmac_f32 v47, v255, v166
	s_delay_alu instid0(VALU_DEP_3) | instskip(NEXT) | instid1(VALU_DEP_3)
	v_add_f32_e32 v7, v7, v43
	v_dual_add_f32 v9, v9, v15 :: v_dual_fma_f32 v19, v254, v166, -v19
	s_set_vgpr_msb 1                        ;  msbs: dst=0 src0=1 src1=0 src2=0
	v_dual_mul_f32 v21, v1 /*v257*/, v169 :: v_dual_mul_f32 v23, v3 /*v259*/, v171
	s_set_vgpr_msb 0                        ;  msbs: dst=0 src0=0 src1=0 src2=0
	v_add_f32_e32 v7, v7, v45
	v_add_f32_e32 v9, v9, v17
	s_set_vgpr_msb 1                        ;  msbs: dst=0 src0=1 src1=0 src2=0
	v_dual_fmac_f32 v49, v1 /*v257*/, v168 :: v_dual_fmac_f32 v51, v3 /*v259*/, v170
	v_dual_mul_f32 v53, v4 /*v260*/, v173 :: v_dual_mul_f32 v55, v6 /*v262*/, v175
	s_set_vgpr_msb 0                        ;  msbs: dst=0 src0=0 src1=0 src2=0
	v_add_f32_e32 v7, v7, v47
	s_set_vgpr_msb 1                        ;  msbs: dst=0 src0=1 src1=0 src2=0
	v_fma_f32 v21, v0 /*v256*/, v168, -v21
	s_set_vgpr_msb 0                        ;  msbs: dst=0 src0=0 src1=0 src2=0
	v_add_f32_e32 v9, v9, v19
	s_set_vgpr_msb 1                        ;  msbs: dst=0 src0=1 src1=0 src2=0
	v_dual_mul_f32 v11, v5 /*v261*/, v173 :: v_dual_mul_f32 v13, v7 /*v263*/, v175
	s_set_vgpr_msb 0                        ;  msbs: dst=0 src0=0 src1=0 src2=0
	v_add_f32_e32 v7, v7, v49
	s_wait_loadcnt_dscnt 0x500
	s_set_vgpr_msb 1                        ;  msbs: dst=0 src0=1 src1=0 src2=0
	v_dual_mul_f32 v19, v13 /*v269*/, v181 :: v_dual_fma_f32 v23, v2 /*v258*/, v170, -v23
	v_fmac_f32_e32 v53, v5 /*v261*/, v172
	s_set_vgpr_msb 0                        ;  msbs: dst=0 src0=0 src1=0 src2=0
	v_dual_add_f32 v9, v9, v21 :: v_dual_add_f32 v7, v7, v51
	s_set_vgpr_msb 1                        ;  msbs: dst=0 src0=1 src1=0 src2=0
	v_dual_fma_f32 v11, v4 /*v260*/, v172, -v11 :: v_dual_fma_f32 v13, v6 /*v262*/, v174, -v13
	v_dual_fmac_f32 v55, v7 /*v263*/, v174 :: v_dual_fmac_f32 v57, v9 /*v265*/, v176
	s_set_vgpr_msb 0                        ;  msbs: dst=0 src0=0 src1=0 src2=0
	v_dual_add_f32 v9, v9, v23 :: v_dual_add_f32 v7, v7, v53
	s_set_vgpr_msb 1                        ;  msbs: dst=0 src0=1 src1=0 src2=0
	v_dual_mul_f32 v15, v9 /*v265*/, v177 :: v_dual_mul_f32 v17, v11 /*v267*/, v179
	s_wait_loadcnt 0x4
	s_set_vgpr_msb 0                        ;  msbs: dst=0 src0=0 src1=0 src2=0
	v_mov_b32_e32 v128, v185
	s_set_vgpr_msb 0x41                     ;  msbs: dst=1 src0=1 src1=0 src2=0
	v_dual_mul_f32 v25 /*v281*/, v10 /*v266*/, v179 :: v_dual_mul_f32 v27 /*v283*/, v12 /*v268*/, v181
	s_set_vgpr_msb 0                        ;  msbs: dst=0 src0=0 src1=0 src2=0
	v_add_f32_e32 v7, v7, v55
	v_add_f32_e32 v9, v9, v11
	s_set_vgpr_msb 1                        ;  msbs: dst=0 src0=1 src1=0 src2=0
	v_fma_f32 v11, v8 /*v264*/, v176, -v15
	s_set_vgpr_msb 0                        ;  msbs: dst=0 src0=0 src1=0 src2=0
	v_pk_mul_f32 v[126:127], v[198:199], v[182:183] op_sel:[1,1] op_sel_hi:[0,1]
	s_set_vgpr_msb 0x41                     ;  msbs: dst=1 src0=1 src1=0 src2=0
	v_dual_fmac_f32 v25 /*v281*/, v11 /*v267*/, v178 :: v_dual_fmac_f32 v27 /*v283*/, v13 /*v269*/, v180
	s_set_vgpr_msb 0                        ;  msbs: dst=0 src0=0 src1=0 src2=0
	v_add_f32_e32 v135, v7, v57
	v_add_f32_e32 v9, v9, v13
	s_set_vgpr_msb 0x41                     ;  msbs: dst=1 src0=1 src1=0 src2=0
	v_dual_fma_f32 v24 /*v280*/, v10 /*v266*/, v178, -v17 :: v_dual_fma_f32 v26 /*v282*/, v12 /*v268*/, v180, -v19
	s_set_vgpr_msb 0                        ;  msbs: dst=0 src0=0 src1=0 src2=0
	v_pk_fma_f32 v[136:137], v[198:199], v[182:183], v[126:127] op_sel_hi:[1,0,1]
	s_set_vgpr_msb 1                        ;  msbs: dst=0 src0=1 src1=0 src2=0
	v_pk_mul_f32 v[128:129], v[16:17] /*v[272:273]*/, v[128:129] op_sel_hi:[1,0]
	s_set_vgpr_msb 0                        ;  msbs: dst=0 src0=0 src1=0 src2=0
	v_add_f32_e32 v134, v9, v11
	v_pk_fma_f32 v[126:127], v[198:199], v[182:183], v[126:127] neg_lo:[0,0,1] neg_hi:[0,0,1]
	s_wait_loadcnt 0x3
	v_pk_mul_f32 v[130:131], v[202:203], v[186:187] op_sel:[1,1] op_sel_hi:[0,1]
	v_dual_mov_b32 v132, v189 :: v_dual_mov_b32 v127, v137
	s_set_vgpr_msb 4                        ;  msbs: dst=0 src0=0 src1=1 src2=0
	v_pk_add_f32 v[134:135], v[134:135], v[24:25] /*v[280:281]*/
	s_set_vgpr_msb 0                        ;  msbs: dst=0 src0=0 src1=0 src2=0
	v_pk_fma_f32 v[136:137], v[200:201], v[184:185], v[128:129] op_sel_hi:[1,0,1]
	v_pk_fma_f32 v[128:129], v[200:201], v[184:185], v[128:129] neg_lo:[0,0,1] neg_hi:[0,0,1]
	v_pk_fma_f32 v[140:141], v[202:203], v[186:187], v[130:131] op_sel_hi:[1,0,1]
	s_set_vgpr_msb 1                        ;  msbs: dst=0 src0=1 src1=0 src2=0
	v_pk_mul_f32 v[132:133], v[18:19] /*v[274:275]*/, v[132:133] op_sel_hi:[1,0]
	s_set_vgpr_msb 4                        ;  msbs: dst=0 src0=0 src1=1 src2=0
	v_pk_add_f32 v[134:135], v[134:135], v[26:27] /*v[282:283]*/
	v_mov_b32_e32 v129, v137
	s_wait_loadcnt 0x2
	s_set_vgpr_msb 0                        ;  msbs: dst=0 src0=0 src1=0 src2=0
	v_pk_mul_f32 v[138:139], v[206:207], v[190:191] op_sel:[1,1] op_sel_hi:[0,1]
	v_pk_fma_f32 v[130:131], v[202:203], v[186:187], v[130:131] neg_lo:[0,0,1] neg_hi:[0,0,1]
	v_pk_fma_f32 v[136:137], v[204:205], v[188:189], v[132:133] op_sel_hi:[1,0,1]
	v_pk_add_f32 v[126:127], v[134:135], v[126:127]
	v_dual_mov_b32 v134, v193 :: v_dual_mov_b32 v131, v141
	v_pk_fma_f32 v[132:133], v[204:205], v[188:189], v[132:133] neg_lo:[0,0,1] neg_hi:[0,0,1]
	s_delay_alu instid0(VALU_DEP_4) | instskip(NEXT) | instid1(VALU_DEP_4)
	v_mov_b32_e32 v133, v137
	v_pk_add_f32 v[126:127], v[126:127], v[128:129]
	v_pk_fma_f32 v[128:129], v[206:207], v[190:191], v[138:139] op_sel_hi:[1,0,1]
	s_set_vgpr_msb 1                        ;  msbs: dst=0 src0=1 src1=0 src2=0
	v_pk_mul_f32 v[134:135], v[20:21] /*v[276:277]*/, v[134:135] op_sel_hi:[1,0]
	s_set_vgpr_msb 0                        ;  msbs: dst=0 src0=0 src1=0 src2=0
	v_pk_fma_f32 v[136:137], v[206:207], v[190:191], v[138:139] neg_lo:[0,0,1] neg_hi:[0,0,1]
	v_pk_add_f32 v[126:127], v[126:127], v[130:131]
	v_mov_b32_e32 v137, v129
	v_pk_fma_f32 v[128:129], v[208:209], v[192:193], v[134:135] op_sel_hi:[1,0,1]
	s_wait_loadcnt 0x1
	v_pk_mul_f32 v[130:131], v[210:211], v[194:195] op_sel:[1,1] op_sel_hi:[0,1]
	v_mov_b32_e32 v128, v197
	v_pk_add_f32 v[126:127], v[126:127], v[132:133]
	v_pk_fma_f32 v[134:135], v[208:209], v[192:193], v[134:135] neg_lo:[0,0,1] neg_hi:[0,0,1]
	s_delay_alu instid0(VALU_DEP_4) | instskip(SKIP_1) | instid1(VALU_DEP_4)
	v_pk_fma_f32 v[132:133], v[210:211], v[194:195], v[130:131] op_sel_hi:[1,0,1]
	v_mov_b32_e32 v135, v129
	v_pk_add_f32 v[126:127], v[126:127], v[136:137]
	s_set_vgpr_msb 1                        ;  msbs: dst=0 src0=1 src1=0 src2=0
	v_pk_mul_f32 v[128:129], v[22:23] /*v[278:279]*/, v[128:129] op_sel_hi:[1,0]
	s_set_vgpr_msb 0                        ;  msbs: dst=0 src0=0 src1=0 src2=0
	v_pk_fma_f32 v[130:131], v[210:211], v[194:195], v[130:131] neg_lo:[0,0,1] neg_hi:[0,0,1]
	v_mov_b32_e32 v131, v133
	v_pk_add_f32 v[126:127], v[126:127], v[134:135]
	v_pk_fma_f32 v[132:133], v[212:213], v[196:197], v[128:129] op_sel_hi:[1,0,1]
	v_pk_fma_f32 v[128:129], v[212:213], v[196:197], v[128:129] neg_lo:[0,0,1] neg_hi:[0,0,1]
	s_delay_alu instid0(VALU_DEP_3) | instskip(NEXT) | instid1(VALU_DEP_3)
	v_pk_add_f32 v[126:127], v[126:127], v[130:131]
	v_mov_b32_e32 v129, v133
	s_delay_alu instid0(VALU_DEP_1) | instskip(SKIP_2) | instid1(VALU_DEP_1)
	v_pk_add_f32 v[126:127], v[126:127], v[128:129]
	s_wait_loadcnt 0x0
	s_set_vgpr_msb 1                        ;  msbs: dst=0 src0=1 src1=0 src2=0
	v_pk_add_f32 v[126:127], v[14:15] /*v[270:271]*/, v[126:127] neg_lo:[0,1] neg_hi:[0,1]
	scratch_store_b64 off, v[126:127], off offset:200
	s_wait_xcnt 0x0
	v_cmpx_lt_u32_e32 24, v0
	s_set_vgpr_msb 0                        ;  msbs: dst=0 src0=0 src1=0 src2=0
	s_cbranch_execz .LBB61_337
; %bb.336:
	scratch_load_b64 v[126:127], off, off offset:192
	v_mov_b64_e32 v[128:129], 0
	scratch_store_b64 off, v[128:129], off offset:192
	s_wait_loadcnt 0x0
	ds_store_b64 v1, v[126:127]
.LBB61_337:
	s_wait_xcnt 0x0
	s_or_b32 exec_lo, exec_lo, s0
	s_wait_storecnt_dscnt 0x0
	s_barrier_signal -1
	s_barrier_wait -1
	s_clause 0x14
	scratch_load_b128 v[126:129], off, off offset:200
	scratch_load_b128 v[130:133], off, off offset:216
	;; [unrolled: 1-line block ×18, first 2 shown]
	s_set_vgpr_msb 64                       ;  msbs: dst=1 src0=0 src1=0 src2=0
	scratch_load_b64 v[14:15] /*v[270:271]*/, off, off offset:488
	scratch_load_b64 v[16:17] /*v[272:273]*/, off, off offset:192
	s_set_vgpr_msb 0                        ;  msbs: dst=0 src0=0 src1=0 src2=0
	v_mov_b32_e32 v7, 0
	ds_load_2addr_b64 v[198:201], v7 offset0:115 offset1:116
	ds_load_2addr_b64 v[202:205], v7 offset0:117 offset1:118
	;; [unrolled: 1-line block ×15, first 2 shown]
	s_set_vgpr_msb 64                       ;  msbs: dst=1 src0=0 src1=0 src2=0
	ds_load_2addr_b64 v[2:5] /*v[258:261]*/, v7 offset0:109 offset1:110
	ds_load_2addr_b64 v[6:9] /*v[262:265]*/, v7 offset0:111 offset1:112
	;; [unrolled: 1-line block ×3, first 2 shown]
	ds_load_b64 v[18:19] /*v[274:275]*/, v7 offset:984
	s_mov_b32 s0, exec_lo
	s_wait_dscnt 0x12
	v_dual_mov_b32 v20 /*v276*/, v201 :: v_dual_mov_b32 v21 /*v277*/, v200
	s_wait_dscnt 0x11
	v_dual_mov_b32 v22 /*v278*/, v205 :: v_dual_mov_b32 v23 /*v279*/, v204
	;; [unrolled: 2-line block ×4, first 2 shown]
	s_wait_loadcnt 0x13
	s_set_vgpr_msb 0                        ;  msbs: dst=0 src0=0 src1=0 src2=0
	v_dual_mul_f32 v9, v210, v127 :: v_dual_mul_f32 v63, v211, v127
	v_dual_mul_f32 v65, v213, v129 :: v_dual_mul_f32 v11, v212, v129
	s_wait_loadcnt 0x12
	v_mul_f32_e32 v13, v214, v131
	s_wait_loadcnt_dscnt 0x100b
	v_dual_mul_f32 v75, v227, v139 :: v_dual_fma_f32 v63, v210, v126, -v63
	v_dual_fmac_f32 v9, v211, v126 :: v_dual_mul_f32 v77, v229, v141
	v_dual_mul_f32 v67, v215, v131 :: v_dual_mul_f32 v69, v217, v133
	v_dual_fmac_f32 v11, v213, v128 :: v_dual_fma_f32 v65, v212, v128, -v65
	s_delay_alu instid0(VALU_DEP_3) | instskip(SKIP_3) | instid1(VALU_DEP_3)
	v_dual_add_f32 v9, 0, v9 :: v_dual_add_f32 v63, 0, v63
	v_dual_mul_f32 v15, v216, v133 :: v_dual_mul_f32 v17, v222, v135
	s_wait_loadcnt_dscnt 0xf0a
	v_dual_mul_f32 v79, v231, v143 :: v_dual_fma_f32 v67, v214, v130, -v67
	v_dual_fmac_f32 v13, v215, v130 :: v_dual_add_f32 v9, v9, v11
	s_delay_alu instid0(VALU_DEP_3) | instskip(SKIP_2) | instid1(VALU_DEP_3)
	v_dual_add_f32 v11, v63, v65 :: v_dual_fmac_f32 v15, v217, v132
	v_dual_mul_f32 v71, v223, v135 :: v_dual_mul_f32 v73, v225, v137
	v_dual_mul_f32 v63, v233, v145 :: v_dual_fma_f32 v65, v216, v132, -v69
	v_dual_add_f32 v9, v9, v13 :: v_dual_add_f32 v11, v11, v67
	v_dual_mul_f32 v19, v224, v137 :: v_dual_mul_f32 v21, v226, v139
	s_wait_loadcnt_dscnt 0xe09
	v_dual_mul_f32 v13, v235, v147 :: v_dual_fma_f32 v67, v222, v134, -v71
	s_delay_alu instid0(VALU_DEP_3) | instskip(NEXT) | instid1(VALU_DEP_3)
	v_dual_fmac_f32 v17, v223, v134 :: v_dual_add_f32 v9, v9, v15
	v_dual_add_f32 v11, v11, v65 :: v_dual_fmac_f32 v19, v225, v136
	v_dual_mul_f32 v15, v237, v149 :: v_dual_fma_f32 v65, v224, v136, -v73
	s_delay_alu instid0(VALU_DEP_2) | instskip(SKIP_3) | instid1(VALU_DEP_3)
	v_dual_add_f32 v9, v9, v17 :: v_dual_add_f32 v11, v11, v67
	v_dual_mul_f32 v23, v228, v141 :: v_dual_mul_f32 v25, v230, v143
	s_wait_loadcnt_dscnt 0xd08
	v_dual_mul_f32 v17, v239, v151 :: v_dual_fma_f32 v67, v226, v138, -v75
	v_dual_fmac_f32 v21, v227, v138 :: v_dual_add_f32 v9, v9, v19
	s_delay_alu instid0(VALU_DEP_3) | instskip(SKIP_1) | instid1(VALU_DEP_2)
	v_dual_add_f32 v11, v11, v65 :: v_dual_fmac_f32 v23, v229, v140
	v_dual_mul_f32 v19, v241, v153 :: v_dual_fma_f32 v65, v228, v140, -v77
	v_dual_add_f32 v9, v9, v21 :: v_dual_add_f32 v11, v11, v67
	v_dual_mul_f32 v27, v232, v145 :: v_dual_mul_f32 v29, v234, v147
	s_wait_loadcnt_dscnt 0xc07
	v_dual_mul_f32 v21, v243, v155 :: v_dual_fma_f32 v67, v230, v142, -v79
	s_delay_alu instid0(VALU_DEP_3) | instskip(NEXT) | instid1(VALU_DEP_3)
	v_dual_fmac_f32 v25, v231, v142 :: v_dual_add_f32 v9, v9, v23
	v_dual_add_f32 v11, v11, v65 :: v_dual_fmac_f32 v27, v233, v144
	v_dual_mul_f32 v23, v245, v157 :: v_dual_fma_f32 v63, v232, v144, -v63
	s_delay_alu instid0(VALU_DEP_2) | instskip(SKIP_3) | instid1(VALU_DEP_3)
	v_dual_add_f32 v9, v9, v25 :: v_dual_add_f32 v11, v11, v67
	v_dual_mul_f32 v31, v236, v149 :: v_dual_mul_f32 v33, v238, v151
	s_wait_loadcnt_dscnt 0xb06
	v_dual_mul_f32 v25, v247, v159 :: v_dual_fma_f32 v13, v234, v146, -v13
	v_dual_fmac_f32 v29, v235, v146 :: v_dual_add_f32 v9, v9, v27
	v_dual_add_f32 v11, v11, v63 :: v_dual_mul_f32 v27, v249, v161
	v_fmac_f32_e32 v31, v237, v148
	s_delay_alu instid0(VALU_DEP_3) | instskip(NEXT) | instid1(VALU_DEP_3)
	v_dual_fma_f32 v15, v236, v148, -v15 :: v_dual_add_f32 v9, v9, v29
	v_add_f32_e32 v11, v11, v13
	v_dual_mul_f32 v35, v240, v153 :: v_dual_mul_f32 v37, v242, v155
	s_wait_loadcnt_dscnt 0xa05
	v_dual_mul_f32 v13, v251, v163 :: v_dual_fma_f32 v17, v238, v150, -v17
	v_dual_fmac_f32 v33, v239, v150 :: v_dual_add_f32 v9, v9, v31
	v_dual_add_f32 v11, v11, v15 :: v_dual_mul_f32 v15, v253, v165
	v_fmac_f32_e32 v35, v241, v152
	s_delay_alu instid0(VALU_DEP_3) | instskip(NEXT) | instid1(VALU_DEP_3)
	v_dual_fma_f32 v19, v240, v152, -v19 :: v_dual_add_f32 v9, v9, v33
	v_add_f32_e32 v11, v11, v17
	v_dual_mul_f32 v39, v244, v157 :: v_dual_mul_f32 v41, v246, v159
	s_wait_loadcnt_dscnt 0x904
	v_dual_mul_f32 v17, v255, v167 :: v_dual_fma_f32 v21, v242, v154, -v21
	v_dual_fmac_f32 v37, v243, v154 :: v_dual_add_f32 v9, v9, v35
	s_delay_alu instid0(VALU_DEP_3) | instskip(SKIP_2) | instid1(VALU_DEP_4)
	v_dual_add_f32 v11, v11, v19 :: v_dual_fmac_f32 v39, v245, v156
	v_fma_f32 v23, v244, v156, -v23
	v_dual_mul_f32 v43, v248, v161 :: v_dual_mul_f32 v45, v250, v163
	v_add_f32_e32 v9, v9, v37
	s_delay_alu instid0(VALU_DEP_4) | instskip(NEXT) | instid1(VALU_DEP_3)
	v_dual_add_f32 v11, v11, v21 :: v_dual_fma_f32 v25, v246, v158, -v25
	v_dual_fmac_f32 v41, v247, v158 :: v_dual_fmac_f32 v43, v249, v160
	s_delay_alu instid0(VALU_DEP_3) | instskip(NEXT) | instid1(VALU_DEP_3)
	v_add_f32_e32 v9, v9, v39
	v_dual_add_f32 v11, v11, v23 :: v_dual_fma_f32 v27, v248, v160, -v27
	v_dual_mul_f32 v47, v252, v165 :: v_dual_mul_f32 v49, v254, v167
	s_delay_alu instid0(VALU_DEP_3) | instskip(NEXT) | instid1(VALU_DEP_3)
	v_add_f32_e32 v9, v9, v41
	v_dual_add_f32 v11, v11, v25 :: v_dual_fma_f32 v13, v250, v162, -v13
	s_delay_alu instid0(VALU_DEP_3) | instskip(NEXT) | instid1(VALU_DEP_3)
	v_dual_fmac_f32 v45, v251, v162 :: v_dual_fmac_f32 v47, v253, v164
	v_add_f32_e32 v9, v9, v43
	s_delay_alu instid0(VALU_DEP_3)
	v_dual_add_f32 v11, v11, v27 :: v_dual_fma_f32 v15, v252, v164, -v15
	s_wait_loadcnt_dscnt 0x803
	s_set_vgpr_msb 1                        ;  msbs: dst=0 src0=1 src1=0 src2=0
	v_dual_mul_f32 v51, v0 /*v256*/, v169 :: v_dual_mul_f32 v53, v2 /*v258*/, v171
	s_set_vgpr_msb 0                        ;  msbs: dst=0 src0=0 src1=0 src2=0
	v_add_f32_e32 v9, v9, v45
	v_dual_add_f32 v11, v11, v13 :: v_dual_fma_f32 v17, v254, v166, -v17
	s_set_vgpr_msb 1                        ;  msbs: dst=0 src0=1 src1=0 src2=0
	v_dual_mul_f32 v19, v1 /*v257*/, v169 :: v_dual_mul_f32 v21, v3 /*v259*/, v171
	s_set_vgpr_msb 0                        ;  msbs: dst=0 src0=0 src1=0 src2=0
	v_dual_fmac_f32 v49, v255, v166 :: v_dual_add_f32 v9, v9, v47
	v_add_f32_e32 v11, v11, v15
	s_wait_loadcnt_dscnt 0x601
	s_set_vgpr_msb 1                        ;  msbs: dst=0 src0=1 src1=0 src2=0
	v_dual_mul_f32 v15, v13 /*v269*/, v181 :: v_dual_fma_f32 v19, v0 /*v256*/, v168, -v19
	v_dual_fmac_f32 v51, v1 /*v257*/, v168 :: v_dual_fmac_f32 v53, v3 /*v259*/, v170
	s_set_vgpr_msb 0                        ;  msbs: dst=0 src0=0 src1=0 src2=0
	v_add_f32_e32 v9, v9, v49
	v_add_f32_e32 v11, v11, v17
	s_set_vgpr_msb 1                        ;  msbs: dst=0 src0=1 src1=0 src2=0
	v_dual_mul_f32 v55, v4 /*v260*/, v173 :: v_dual_mul_f32 v57, v6 /*v262*/, v175
	v_dual_mul_f32 v23, v5 /*v261*/, v173 :: v_dual_mul_f32 v25, v7 /*v263*/, v175
	s_delay_alu instid0(VALU_DEP_2)
	v_dual_fma_f32 v21, v2 /*v258*/, v170, -v21 :: v_dual_fmac_f32 v55, v5 /*v261*/, v172
	s_set_vgpr_msb 0                        ;  msbs: dst=0 src0=0 src1=0 src2=0
	v_add_f32_e32 v9, v9, v51
	v_add_f32_e32 v11, v11, v19
	s_set_vgpr_msb 1                        ;  msbs: dst=0 src0=1 src1=0 src2=0
	v_dual_fma_f32 v19, v4 /*v260*/, v172, -v23 :: v_dual_fmac_f32 v57, v7 /*v263*/, v174
	v_dual_mul_f32 v59, v8 /*v264*/, v177 :: v_dual_mul_f32 v61, v10 /*v266*/, v179
	s_set_vgpr_msb 0                        ;  msbs: dst=0 src0=0 src1=0 src2=0
	v_add_f32_e32 v9, v9, v53
	v_add_f32_e32 v11, v11, v21
	s_set_vgpr_msb 1                        ;  msbs: dst=0 src0=1 src1=0 src2=0
	v_dual_mul_f32 v27, v9 /*v265*/, v177 :: v_dual_mul_f32 v13, v11 /*v267*/, v179
	v_dual_fma_f32 v21, v6 /*v262*/, v174, -v25 :: v_dual_fmac_f32 v59, v9 /*v265*/, v176
	s_set_vgpr_msb 0                        ;  msbs: dst=0 src0=0 src1=0 src2=0
	v_add_f32_e32 v9, v9, v55
	s_wait_loadcnt 0x4
	v_dual_add_f32 v11, v11, v19 :: v_dual_mov_b32 v130, v189
	v_dual_mul_f32 v17, v199, v183 :: v_dual_mov_b32 v126, v185
	s_set_vgpr_msb 1                        ;  msbs: dst=0 src0=1 src1=0 src2=0
	v_dual_fma_f32 v19, v8 /*v264*/, v176, -v27 :: v_dual_fmac_f32 v61, v11 /*v267*/, v178
	s_set_vgpr_msb 0                        ;  msbs: dst=0 src0=0 src1=0 src2=0
	v_add_f32_e32 v11, v11, v21
	v_add_f32_e32 v9, v9, v57
	s_set_vgpr_msb 0x41                     ;  msbs: dst=1 src0=1 src1=0 src2=0
	v_dual_mul_f32 v29 /*v285*/, v12 /*v268*/, v181 :: v_dual_fma_f32 v28 /*v284*/, v12 /*v268*/, v180, -v15
	s_set_vgpr_msb 1                        ;  msbs: dst=0 src0=1 src1=0 src2=0
	v_fma_f32 v13, v10 /*v266*/, v178, -v13
	s_set_vgpr_msb 0                        ;  msbs: dst=0 src0=0 src1=0 src2=0
	v_add_f32_e32 v11, v11, v19
	v_add_f32_e32 v9, v9, v59
	s_set_vgpr_msb 1                        ;  msbs: dst=0 src0=1 src1=0 src2=0
	v_pk_mul_f32 v[126:127], v[20:21] /*v[276:277]*/, v[126:127] op_sel_hi:[1,0]
	s_set_vgpr_msb 64                       ;  msbs: dst=1 src0=0 src1=0 src2=0
	v_dual_mul_f32 v31 /*v287*/, v198, v183 :: v_dual_fma_f32 v30 /*v286*/, v198, v182, -v17
	s_set_vgpr_msb 0x41                     ;  msbs: dst=1 src0=1 src1=0 src2=0
	v_fmac_f32_e32 v29 /*v285*/, v13 /*v269*/, v180
	s_wait_loadcnt 0x3
	s_set_vgpr_msb 0                        ;  msbs: dst=0 src0=0 src1=0 src2=0
	v_dual_add_f32 v134, v11, v13 :: v_dual_mov_b32 v136, v193
	v_pk_fma_f32 v[138:139], v[200:201], v[184:185], v[126:127] op_sel_hi:[1,0,1]
	v_add_f32_e32 v135, v9, v61
	v_pk_fma_f32 v[126:127], v[200:201], v[184:185], v[126:127] neg_lo:[0,0,1] neg_hi:[0,0,1]
	v_pk_mul_f32 v[128:129], v[202:203], v[186:187] op_sel:[1,1] op_sel_hi:[0,1]
	s_set_vgpr_msb 64                       ;  msbs: dst=1 src0=0 src1=0 src2=0
	v_fmac_f32_e32 v31 /*v287*/, v199, v182
	s_set_vgpr_msb 4                        ;  msbs: dst=0 src0=0 src1=1 src2=0
	v_mov_b32_e32 v127, v139
	v_pk_add_f32 v[134:135], v[134:135], v[28:29] /*v[284:285]*/
	s_set_vgpr_msb 1                        ;  msbs: dst=0 src0=1 src1=0 src2=0
	v_pk_mul_f32 v[130:131], v[22:23] /*v[278:279]*/, v[130:131] op_sel_hi:[1,0]
	s_set_vgpr_msb 0                        ;  msbs: dst=0 src0=0 src1=0 src2=0
	v_pk_fma_f32 v[140:141], v[202:203], v[186:187], v[128:129] op_sel_hi:[1,0,1]
	v_pk_fma_f32 v[128:129], v[202:203], v[186:187], v[128:129] neg_lo:[0,0,1] neg_hi:[0,0,1]
	v_pk_mul_f32 v[132:133], v[206:207], v[190:191] op_sel:[1,1] op_sel_hi:[0,1]
	s_set_vgpr_msb 4                        ;  msbs: dst=0 src0=0 src1=1 src2=0
	v_pk_add_f32 v[134:135], v[134:135], v[30:31] /*v[286:287]*/
	s_set_vgpr_msb 1                        ;  msbs: dst=0 src0=1 src1=0 src2=0
	v_pk_mul_f32 v[136:137], v[24:25] /*v[280:281]*/, v[136:137] op_sel_hi:[1,0]
	s_set_vgpr_msb 0                        ;  msbs: dst=0 src0=0 src1=0 src2=0
	v_mov_b32_e32 v129, v141
	v_pk_fma_f32 v[140:141], v[204:205], v[188:189], v[130:131] op_sel_hi:[1,0,1]
	v_pk_fma_f32 v[130:131], v[204:205], v[188:189], v[130:131] neg_lo:[0,0,1] neg_hi:[0,0,1]
	v_pk_add_f32 v[126:127], v[134:135], v[126:127]
	v_pk_fma_f32 v[134:135], v[206:207], v[190:191], v[132:133] op_sel_hi:[1,0,1]
	v_pk_fma_f32 v[132:133], v[206:207], v[190:191], v[132:133] neg_lo:[0,0,1] neg_hi:[0,0,1]
	v_mov_b32_e32 v131, v141
	s_wait_loadcnt 0x2
	v_pk_mul_f32 v[138:139], v[218:219], v[194:195] op_sel:[1,1] op_sel_hi:[0,1]
	v_pk_add_f32 v[126:127], v[126:127], v[128:129]
	v_dual_mov_b32 v128, v197 :: v_dual_mov_b32 v133, v135
	v_pk_fma_f32 v[134:135], v[208:209], v[192:193], v[136:137] op_sel_hi:[1,0,1]
	v_pk_fma_f32 v[136:137], v[208:209], v[192:193], v[136:137] neg_lo:[0,0,1] neg_hi:[0,0,1]
	s_delay_alu instid0(VALU_DEP_4)
	v_pk_add_f32 v[126:127], v[126:127], v[130:131]
	v_pk_fma_f32 v[130:131], v[218:219], v[194:195], v[138:139] op_sel_hi:[1,0,1]
	s_set_vgpr_msb 1                        ;  msbs: dst=0 src0=1 src1=0 src2=0
	v_pk_mul_f32 v[128:129], v[26:27] /*v[282:283]*/, v[128:129] op_sel_hi:[1,0]
	s_set_vgpr_msb 0                        ;  msbs: dst=0 src0=0 src1=0 src2=0
	v_mov_b32_e32 v137, v135
	s_wait_loadcnt_dscnt 0x100
	s_set_vgpr_msb 5                        ;  msbs: dst=0 src0=1 src1=1 src2=0
	v_pk_mul_f32 v[134:135], v[18:19] /*v[274:275]*/, v[14:15] /*v[270:271]*/ op_sel:[1,1] op_sel_hi:[0,1]
	s_set_vgpr_msb 0                        ;  msbs: dst=0 src0=0 src1=0 src2=0
	v_pk_add_f32 v[126:127], v[126:127], v[132:133]
	v_pk_fma_f32 v[132:133], v[218:219], v[194:195], v[138:139] neg_lo:[0,0,1] neg_hi:[0,0,1]
	v_mov_b32_e32 v133, v131
	v_pk_fma_f32 v[130:131], v[220:221], v[196:197], v[128:129] op_sel_hi:[1,0,1]
	v_pk_fma_f32 v[128:129], v[220:221], v[196:197], v[128:129] neg_lo:[0,0,1] neg_hi:[0,0,1]
	v_pk_add_f32 v[126:127], v[126:127], v[136:137]
	s_delay_alu instid0(VALU_DEP_3)
	v_mov_b32_e32 v129, v131
	s_set_vgpr_msb 5                        ;  msbs: dst=0 src0=1 src1=1 src2=0
	v_pk_fma_f32 v[130:131], v[18:19] /*v[274:275]*/, v[14:15] /*v[270:271]*/, v[134:135] op_sel_hi:[1,0,1]
	s_set_vgpr_msb 0                        ;  msbs: dst=0 src0=0 src1=0 src2=0
	v_pk_add_f32 v[126:127], v[126:127], v[132:133]
	s_set_vgpr_msb 5                        ;  msbs: dst=0 src0=1 src1=1 src2=0
	v_pk_fma_f32 v[132:133], v[18:19] /*v[274:275]*/, v[14:15] /*v[270:271]*/, v[134:135] neg_lo:[0,0,1] neg_hi:[0,0,1]
	s_set_vgpr_msb 0                        ;  msbs: dst=0 src0=0 src1=0 src2=0
	v_mov_b32_e32 v133, v131
	v_pk_add_f32 v[126:127], v[126:127], v[128:129]
	s_delay_alu instid0(VALU_DEP_1) | instskip(SKIP_2) | instid1(VALU_DEP_1)
	v_pk_add_f32 v[126:127], v[126:127], v[132:133]
	s_wait_loadcnt 0x0
	s_set_vgpr_msb 1                        ;  msbs: dst=0 src0=1 src1=0 src2=0
	v_pk_add_f32 v[126:127], v[16:17] /*v[272:273]*/, v[126:127] neg_lo:[0,1] neg_hi:[0,1]
	scratch_store_b64 off, v[126:127], off offset:192
	s_wait_xcnt 0x0
	v_cmpx_lt_u32_e32 23, v0
	s_set_vgpr_msb 0                        ;  msbs: dst=0 src0=0 src1=0 src2=0
	s_cbranch_execz .LBB61_339
; %bb.338:
	scratch_load_b64 v[126:127], off, off offset:184
	v_mov_b64_e32 v[128:129], 0
	scratch_store_b64 off, v[128:129], off offset:184
	s_wait_loadcnt 0x0
	ds_store_b64 v1, v[126:127]
.LBB61_339:
	s_wait_xcnt 0x0
	s_or_b32 exec_lo, exec_lo, s0
	s_wait_storecnt_dscnt 0x0
	s_barrier_signal -1
	s_barrier_wait -1
	ds_load_b128 v[126:129], v7 offset:688
	ds_load_b128 v[130:133], v7 offset:704
	ds_load_b128 v[134:137], v7 offset:720
	ds_load_b128 v[138:141], v7 offset:736
	s_clause 0xe
	scratch_load_b128 v[142:145], off, off offset:192
	scratch_load_b128 v[146:149], off, off offset:208
	;; [unrolled: 1-line block ×15, first 2 shown]
	ds_load_b128 v[158:161], v7 offset:752
	ds_load_b128 v[166:169], v7 offset:768
	;; [unrolled: 1-line block ×11, first 2 shown]
	s_clause 0x4
	scratch_load_b128 v[246:249], off, off offset:432
	scratch_load_b128 v[250:253], off, off offset:448
	;; [unrolled: 1-line block ×3, first 2 shown]
	s_set_vgpr_msb 64                       ;  msbs: dst=1 src0=0 src1=0 src2=0
	scratch_load_b128 v[2:5] /*v[258:261]*/, off, off offset:480
	s_mov_b32 s0, exec_lo
	s_wait_loadcnt_dscnt 0x120e
	s_set_vgpr_msb 0                        ;  msbs: dst=0 src0=0 src1=0 src2=0
	v_dual_mul_f32 v9, v126, v143 :: v_dual_mul_f32 v11, v128, v145
	s_delay_alu instid0(VALU_DEP_1) | instskip(NEXT) | instid1(VALU_DEP_1)
	v_dual_fmac_f32 v9, v127, v142 :: v_dual_fmac_f32 v11, v129, v144
	v_add_f32_e32 v9, 0, v9
	s_wait_loadcnt_dscnt 0x408
	s_set_vgpr_msb 64                       ;  msbs: dst=1 src0=0 src1=0 src2=0
	v_dual_mul_f32 v9 /*v265*/, v238, v243 :: v_dual_mul_f32 v11 /*v267*/, v240, v245
	s_set_vgpr_msb 0                        ;  msbs: dst=0 src0=0 src1=0 src2=0
	v_add_f32_e32 v9, v9, v11
	v_mul_f32_e32 v11, v130, v147
	s_set_vgpr_msb 64                       ;  msbs: dst=1 src0=0 src1=0 src2=0
	v_dual_fmac_f32 v9 /*v265*/, v239, v242 :: v_dual_fmac_f32 v11 /*v267*/, v241, v244
	s_set_vgpr_msb 0                        ;  msbs: dst=0 src0=0 src1=0 src2=0
	s_delay_alu instid0(VALU_DEP_2) | instskip(NEXT) | instid1(VALU_DEP_1)
	v_fmac_f32_e32 v11, v131, v146
	v_dual_add_f32 v9, v9, v11 :: v_dual_mul_f32 v11, v132, v149
	s_delay_alu instid0(VALU_DEP_1) | instskip(NEXT) | instid1(VALU_DEP_1)
	v_fmac_f32_e32 v11, v133, v148
	v_add_f32_e32 v9, v9, v11
	v_mul_f32_e32 v11, v134, v151
	s_delay_alu instid0(VALU_DEP_1) | instskip(NEXT) | instid1(VALU_DEP_1)
	v_fmac_f32_e32 v11, v135, v150
	v_dual_add_f32 v9, v9, v11 :: v_dual_mul_f32 v11, v136, v153
	s_delay_alu instid0(VALU_DEP_1) | instskip(NEXT) | instid1(VALU_DEP_1)
	v_fmac_f32_e32 v11, v137, v152
	v_add_f32_e32 v9, v9, v11
	v_mul_f32_e32 v11, v138, v155
	s_delay_alu instid0(VALU_DEP_1) | instskip(NEXT) | instid1(VALU_DEP_1)
	;; [unrolled: 7-line block ×4, first 2 shown]
	v_fmac_f32_e32 v11, v167, v170
	v_dual_add_f32 v9, v9, v11 :: v_dual_mul_f32 v11, v168, v173
	s_delay_alu instid0(VALU_DEP_1) | instskip(NEXT) | instid1(VALU_DEP_1)
	v_fmac_f32_e32 v11, v169, v172
	v_add_f32_e32 v9, v9, v11
	s_wait_dscnt 0x7
	v_mul_f32_e32 v11, v174, v179
	s_delay_alu instid0(VALU_DEP_1) | instskip(NEXT) | instid1(VALU_DEP_1)
	v_fmac_f32_e32 v11, v175, v178
	v_dual_add_f32 v9, v9, v11 :: v_dual_mul_f32 v11, v176, v181
	s_delay_alu instid0(VALU_DEP_1) | instskip(NEXT) | instid1(VALU_DEP_1)
	v_fmac_f32_e32 v11, v177, v180
	v_add_f32_e32 v9, v9, v11
	s_wait_dscnt 0x6
	v_mul_f32_e32 v11, v182, v187
	s_delay_alu instid0(VALU_DEP_1) | instskip(NEXT) | instid1(VALU_DEP_1)
	v_fmac_f32_e32 v11, v183, v186
	v_dual_add_f32 v9, v9, v11 :: v_dual_mul_f32 v11, v184, v189
	s_delay_alu instid0(VALU_DEP_1) | instskip(NEXT) | instid1(VALU_DEP_1)
	v_fmac_f32_e32 v11, v185, v188
	v_add_f32_e32 v9, v9, v11
	s_wait_dscnt 0x5
	v_mul_f32_e32 v11, v190, v195
	s_delay_alu instid0(VALU_DEP_1) | instskip(NEXT) | instid1(VALU_DEP_1)
	v_fmac_f32_e32 v11, v191, v194
	v_dual_add_f32 v9, v9, v11 :: v_dual_mul_f32 v11, v192, v197
	s_delay_alu instid0(VALU_DEP_1) | instskip(NEXT) | instid1(VALU_DEP_1)
	v_fmac_f32_e32 v11, v193, v196
	v_add_f32_e32 v9, v9, v11
	s_wait_dscnt 0x4
	v_mul_f32_e32 v11, v198, v203
	s_delay_alu instid0(VALU_DEP_1) | instskip(NEXT) | instid1(VALU_DEP_1)
	v_fmac_f32_e32 v11, v199, v202
	v_dual_add_f32 v9, v9, v11 :: v_dual_mul_f32 v11, v200, v205
	s_delay_alu instid0(VALU_DEP_1) | instskip(NEXT) | instid1(VALU_DEP_1)
	v_fmac_f32_e32 v11, v201, v204
	v_add_f32_e32 v9, v9, v11
	s_wait_dscnt 0x3
	v_mul_f32_e32 v11, v206, v211
	s_delay_alu instid0(VALU_DEP_1) | instskip(NEXT) | instid1(VALU_DEP_1)
	v_fmac_f32_e32 v11, v207, v210
	v_dual_add_f32 v9, v9, v11 :: v_dual_mul_f32 v11, v208, v213
	s_delay_alu instid0(VALU_DEP_1) | instskip(NEXT) | instid1(VALU_DEP_1)
	v_fmac_f32_e32 v11, v209, v212
	v_add_f32_e32 v9, v9, v11
	s_wait_dscnt 0x2
	v_mul_f32_e32 v11, v214, v219
	s_delay_alu instid0(VALU_DEP_1) | instskip(NEXT) | instid1(VALU_DEP_1)
	v_fmac_f32_e32 v11, v215, v218
	v_dual_add_f32 v9, v9, v11 :: v_dual_mul_f32 v11, v216, v221
	s_delay_alu instid0(VALU_DEP_1) | instskip(NEXT) | instid1(VALU_DEP_1)
	v_fmac_f32_e32 v11, v217, v220
	v_add_f32_e32 v9, v9, v11
	s_wait_dscnt 0x1
	v_mul_f32_e32 v11, v222, v227
	s_delay_alu instid0(VALU_DEP_1) | instskip(NEXT) | instid1(VALU_DEP_1)
	v_fmac_f32_e32 v11, v223, v226
	v_dual_add_f32 v9, v9, v11 :: v_dual_mul_f32 v11, v224, v229
	s_delay_alu instid0(VALU_DEP_1) | instskip(NEXT) | instid1(VALU_DEP_1)
	v_fmac_f32_e32 v11, v225, v228
	v_add_f32_e32 v9, v9, v11
	s_wait_dscnt 0x0
	v_mul_f32_e32 v11, v230, v235
	s_delay_alu instid0(VALU_DEP_1) | instskip(NEXT) | instid1(VALU_DEP_1)
	v_fmac_f32_e32 v11, v231, v234
	v_dual_add_f32 v9, v9, v11 :: v_dual_mul_f32 v11, v232, v237
	s_delay_alu instid0(VALU_DEP_1) | instskip(SKIP_1) | instid1(VALU_DEP_1)
	v_fmac_f32_e32 v11, v233, v236
	s_set_vgpr_msb 64                       ;  msbs: dst=1 src0=0 src1=0 src2=0
	v_add_f32_e32 v7 /*v263*/, v9, v11
	s_set_vgpr_msb 0                        ;  msbs: dst=0 src0=0 src1=0 src2=0
	v_dual_mul_f32 v9, v127, v143 :: v_dual_mul_f32 v11, v129, v145
	s_delay_alu instid0(VALU_DEP_1) | instskip(NEXT) | instid1(VALU_DEP_1)
	v_dual_fma_f32 v9, v126, v142, -v9 :: v_dual_fma_f32 v11, v128, v144, -v11
	v_add_f32_e32 v9, 0, v9
	s_delay_alu instid0(VALU_DEP_1) | instskip(SKIP_1) | instid1(VALU_DEP_1)
	v_add_f32_e32 v9, v9, v11
	v_mul_f32_e32 v11, v131, v147
	v_fma_f32 v11, v130, v146, -v11
	s_delay_alu instid0(VALU_DEP_1) | instskip(SKIP_1) | instid1(VALU_DEP_1)
	v_add_f32_e32 v9, v9, v11
	v_mul_f32_e32 v11, v133, v149
	v_fma_f32 v11, v132, v148, -v11
	;; [unrolled: 4-line block ×6, first 2 shown]
	ds_load_b128 v[126:129], v7 offset:928
	ds_load_b128 v[130:133], v7 offset:944
	;; [unrolled: 1-line block ×4, first 2 shown]
	v_add_f32_e32 v9, v9, v11
	v_mul_f32_e32 v11, v159, v163
	s_delay_alu instid0(VALU_DEP_1) | instskip(NEXT) | instid1(VALU_DEP_1)
	v_fma_f32 v11, v158, v162, -v11
	v_add_f32_e32 v9, v9, v11
	v_mul_f32_e32 v11, v161, v165
	s_wait_loadcnt_dscnt 0x303
	v_pk_mul_f32 v[144:145], v[126:127], v[246:247] op_sel:[1,1] op_sel_hi:[0,1]
	s_delay_alu instid0(VALU_DEP_2) | instskip(NEXT) | instid1(VALU_DEP_2)
	v_fma_f32 v11, v160, v164, -v11
	v_pk_fma_f32 v[146:147], v[126:127], v[246:247], v[144:145] neg_lo:[0,0,1] neg_hi:[0,0,1]
	v_pk_fma_f32 v[126:127], v[126:127], v[246:247], v[144:145] op_sel_hi:[1,0,1]
	v_mov_b32_e32 v144, v249
	s_delay_alu instid0(VALU_DEP_4) | instskip(SKIP_1) | instid1(VALU_DEP_1)
	v_add_f32_e32 v9, v9, v11
	v_mul_f32_e32 v11, v167, v171
	v_dual_mov_b32 v147, v127 :: v_dual_fma_f32 v11, v166, v170, -v11
	s_delay_alu instid0(VALU_DEP_1) | instskip(SKIP_1) | instid1(VALU_DEP_1)
	v_add_f32_e32 v9, v9, v11
	v_mul_f32_e32 v11, v169, v173
	v_fma_f32 v11, v168, v172, -v11
	s_delay_alu instid0(VALU_DEP_1) | instskip(SKIP_1) | instid1(VALU_DEP_1)
	v_add_f32_e32 v9, v9, v11
	v_mul_f32_e32 v11, v175, v179
	v_fma_f32 v11, v174, v178, -v11
	;; [unrolled: 4-line block ×17, first 2 shown]
	s_set_vgpr_msb 64                       ;  msbs: dst=1 src0=0 src1=0 src2=0
	s_delay_alu instid0(VALU_DEP_1) | instskip(SKIP_3) | instid1(VALU_DEP_1)
	v_add_f32_e32 v6 /*v262*/, v9, v11
	s_set_vgpr_msb 0                        ;  msbs: dst=0 src0=0 src1=0 src2=0
	v_mul_f32_e32 v9, v239, v243
	s_set_vgpr_msb 64                       ;  msbs: dst=1 src0=0 src1=0 src2=0
	v_fma_f32 v8 /*v264*/, v238, v242, -v9
	s_set_vgpr_msb 0                        ;  msbs: dst=0 src0=0 src1=0 src2=0
	v_mul_f32_e32 v9, v241, v245
	s_set_vgpr_msb 5                        ;  msbs: dst=0 src0=1 src1=1 src2=0
	s_delay_alu instid0(VALU_DEP_2) | instskip(SKIP_1) | instid1(VALU_DEP_2)
	v_pk_add_f32 v[142:143], v[6:7] /*v[262:263]*/, v[8:9] /*v[264:265]*/
	s_set_vgpr_msb 64                       ;  msbs: dst=1 src0=0 src1=0 src2=0
	v_fma_f32 v10 /*v266*/, v240, v244, -v9
	s_set_vgpr_msb 4                        ;  msbs: dst=0 src0=0 src1=1 src2=0
	s_delay_alu instid0(VALU_DEP_1) | instskip(SKIP_1) | instid1(VALU_DEP_1)
	v_pk_add_f32 v[142:143], v[142:143], v[10:11] /*v[266:267]*/
	s_set_vgpr_msb 0                        ;  msbs: dst=0 src0=0 src1=0 src2=0
	v_pk_add_f32 v[126:127], v[142:143], v[146:147]
	v_dual_mov_b32 v142, v129 :: v_dual_mov_b32 v143, v128
	s_delay_alu instid0(VALU_DEP_1) | instskip(NEXT) | instid1(VALU_DEP_1)
	v_pk_mul_f32 v[142:143], v[142:143], v[144:145] op_sel_hi:[1,0]
	v_pk_fma_f32 v[144:145], v[128:129], v[248:249], v[142:143] neg_lo:[0,0,1] neg_hi:[0,0,1]
	v_pk_fma_f32 v[128:129], v[128:129], v[248:249], v[142:143] op_sel_hi:[1,0,1]
	s_delay_alu instid0(VALU_DEP_1) | instskip(SKIP_2) | instid1(VALU_DEP_2)
	v_mov_b32_e32 v145, v129
	s_wait_loadcnt_dscnt 0x202
	v_pk_mul_f32 v[128:129], v[130:131], v[250:251] op_sel:[1,1] op_sel_hi:[0,1]
	v_pk_add_f32 v[126:127], v[126:127], v[144:145]
	s_delay_alu instid0(VALU_DEP_2) | instskip(SKIP_2) | instid1(VALU_DEP_2)
	v_pk_fma_f32 v[142:143], v[130:131], v[250:251], v[128:129] neg_lo:[0,0,1] neg_hi:[0,0,1]
	v_pk_fma_f32 v[128:129], v[130:131], v[250:251], v[128:129] op_sel_hi:[1,0,1]
	v_dual_mov_b32 v128, v133 :: v_dual_mov_b32 v130, v253
	v_dual_mov_b32 v143, v129 :: v_dual_mov_b32 v129, v132
	s_delay_alu instid0(VALU_DEP_1) | instskip(NEXT) | instid1(VALU_DEP_2)
	v_pk_add_f32 v[126:127], v[126:127], v[142:143]
	v_pk_mul_f32 v[128:129], v[128:129], v[130:131] op_sel_hi:[1,0]
	s_delay_alu instid0(VALU_DEP_1) | instskip(SKIP_1) | instid1(VALU_DEP_1)
	v_pk_fma_f32 v[130:131], v[132:133], v[252:253], v[128:129] neg_lo:[0,0,1] neg_hi:[0,0,1]
	v_pk_fma_f32 v[128:129], v[132:133], v[252:253], v[128:129] op_sel_hi:[1,0,1]
	v_mov_b32_e32 v131, v129
	s_wait_loadcnt_dscnt 0x101
	v_pk_mul_f32 v[128:129], v[134:135], v[254:255] op_sel:[1,1] op_sel_hi:[0,1]
	s_delay_alu instid0(VALU_DEP_2) | instskip(NEXT) | instid1(VALU_DEP_2)
	v_pk_add_f32 v[126:127], v[126:127], v[130:131]
	v_pk_fma_f32 v[130:131], v[134:135], v[254:255], v[128:129] neg_lo:[0,0,1] neg_hi:[0,0,1]
	v_pk_fma_f32 v[128:129], v[134:135], v[254:255], v[128:129] op_sel_hi:[1,0,1]
	s_delay_alu instid0(VALU_DEP_1) | instskip(SKIP_1) | instid1(VALU_DEP_2)
	v_dual_mov_b32 v128, v137 :: v_dual_mov_b32 v131, v129
	v_mov_b32_e32 v129, v136
	v_pk_add_f32 v[126:127], v[126:127], v[130:131]
	s_set_vgpr_msb 1                        ;  msbs: dst=0 src0=1 src1=0 src2=0
	v_mov_b32_e32 v130, v1 /*v257*/
	s_set_vgpr_msb 0                        ;  msbs: dst=0 src0=0 src1=0 src2=0
	s_delay_alu instid0(VALU_DEP_1) | instskip(SKIP_1) | instid1(VALU_DEP_1)
	v_pk_mul_f32 v[128:129], v[128:129], v[130:131] op_sel_hi:[1,0]
	s_set_vgpr_msb 4                        ;  msbs: dst=0 src0=0 src1=1 src2=0
	v_pk_fma_f32 v[130:131], v[136:137], v[0:1] /*v[256:257]*/, v[128:129] neg_lo:[0,0,1] neg_hi:[0,0,1]
	v_pk_fma_f32 v[128:129], v[136:137], v[0:1] /*v[256:257]*/, v[128:129] op_sel_hi:[1,0,1]
	s_delay_alu instid0(VALU_DEP_1) | instskip(SKIP_3) | instid1(VALU_DEP_2)
	v_mov_b32_e32 v131, v129
	s_wait_loadcnt_dscnt 0x0
	v_pk_mul_f32 v[128:129], v[138:139], v[2:3] /*v[258:259]*/ op_sel:[1,1] op_sel_hi:[0,1]
	s_set_vgpr_msb 0                        ;  msbs: dst=0 src0=0 src1=0 src2=0
	v_pk_add_f32 v[126:127], v[126:127], v[130:131]
	s_set_vgpr_msb 4                        ;  msbs: dst=0 src0=0 src1=1 src2=0
	s_delay_alu instid0(VALU_DEP_2) | instskip(SKIP_1) | instid1(VALU_DEP_1)
	v_pk_fma_f32 v[130:131], v[138:139], v[2:3] /*v[258:259]*/, v[128:129] neg_lo:[0,0,1] neg_hi:[0,0,1]
	v_pk_fma_f32 v[128:129], v[138:139], v[2:3] /*v[258:259]*/, v[128:129] op_sel_hi:[1,0,1]
	v_dual_mov_b32 v128, v141 :: v_dual_mov_b32 v131, v129
	v_mov_b32_e32 v129, v140
	s_set_vgpr_msb 0                        ;  msbs: dst=0 src0=0 src1=0 src2=0
	s_delay_alu instid0(VALU_DEP_2) | instskip(SKIP_3) | instid1(VALU_DEP_1)
	v_pk_add_f32 v[126:127], v[126:127], v[130:131]
	s_set_vgpr_msb 1                        ;  msbs: dst=0 src0=1 src1=0 src2=0
	v_mov_b32_e32 v130, v5 /*v261*/
	s_set_vgpr_msb 0                        ;  msbs: dst=0 src0=0 src1=0 src2=0
	v_pk_mul_f32 v[128:129], v[128:129], v[130:131] op_sel_hi:[1,0]
	s_set_vgpr_msb 4                        ;  msbs: dst=0 src0=0 src1=1 src2=0
	s_delay_alu instid0(VALU_DEP_1) | instskip(SKIP_1) | instid1(VALU_DEP_1)
	v_pk_fma_f32 v[130:131], v[140:141], v[4:5] /*v[260:261]*/, v[128:129] neg_lo:[0,0,1] neg_hi:[0,0,1]
	v_pk_fma_f32 v[128:129], v[140:141], v[4:5] /*v[260:261]*/, v[128:129] op_sel_hi:[1,0,1]
	v_mov_b32_e32 v131, v129
	scratch_load_b64 v[128:129], off, off offset:184
	s_set_vgpr_msb 0                        ;  msbs: dst=0 src0=0 src1=0 src2=0
	v_pk_add_f32 v[126:127], v[126:127], v[130:131]
	s_wait_loadcnt 0x0
	s_delay_alu instid0(VALU_DEP_1)
	v_pk_add_f32 v[126:127], v[128:129], v[126:127] neg_lo:[0,1] neg_hi:[0,1]
	scratch_store_b64 off, v[126:127], off offset:184
	s_wait_xcnt 0x0
	v_cmpx_lt_u32_e32 22, v0
	s_cbranch_execz .LBB61_341
; %bb.340:
	scratch_load_b64 v[126:127], off, off offset:176
	v_mov_b64_e32 v[128:129], 0
	scratch_store_b64 off, v[128:129], off offset:176
	s_wait_loadcnt 0x0
	ds_store_b64 v1, v[126:127]
.LBB61_341:
	s_wait_xcnt 0x0
	s_or_b32 exec_lo, exec_lo, s0
	s_wait_storecnt_dscnt 0x0
	s_barrier_signal -1
	s_barrier_wait -1
	s_clause 0xf
	scratch_load_b128 v[130:133], off, off offset:184
	scratch_load_b128 v[138:141], off, off offset:200
	;; [unrolled: 1-line block ×16, first 2 shown]
	v_mov_b32_e32 v7, 0
	s_mov_b32 s0, exec_lo
	ds_load_2addr_b64 v[126:129], v7 offset0:85 offset1:86
	ds_load_2addr_b64 v[134:137], v7 offset0:87 offset1:88
	s_wait_loadcnt_dscnt 0xf01
	v_dual_mul_f32 v9, v126, v131 :: v_dual_mul_f32 v11, v128, v133
	ds_load_2addr_b64 v[142:145], v7 offset0:89 offset1:90
	ds_load_2addr_b64 v[150:153], v7 offset0:91 offset1:92
	;; [unrolled: 1-line block ×4, first 2 shown]
	v_dual_fmac_f32 v9, v127, v130 :: v_dual_fmac_f32 v11, v129, v132
	ds_load_2addr_b64 v[158:161], v7 offset0:93 offset1:94
	ds_load_2addr_b64 v[166:169], v7 offset0:95 offset1:96
	ds_load_2addr_b64 v[174:177], v7 offset0:97 offset1:98
	ds_load_2addr_b64 v[182:185], v7 offset0:99 offset1:100
	v_add_f32_e32 v9, 0, v9
	ds_load_2addr_b64 v[190:193], v7 offset0:101 offset1:102
	ds_load_2addr_b64 v[198:201], v7 offset0:103 offset1:104
	ds_load_2addr_b64 v[206:209], v7 offset0:105 offset1:106
	ds_load_2addr_b64 v[214:217], v7 offset0:107 offset1:108
	v_add_f32_e32 v9, v9, v11
	s_wait_loadcnt_dscnt 0xe0c
	v_mul_f32_e32 v11, v134, v139
	ds_load_2addr_b64 v[222:225], v7 offset0:109 offset1:110
	ds_load_2addr_b64 v[230:233], v7 offset0:111 offset1:112
	s_clause 0x4
	scratch_load_b128 v[254:257], off, off offset:440
	s_set_vgpr_msb 64                       ;  msbs: dst=1 src0=0 src1=0 src2=0
	scratch_load_b128 v[2:5] /*v[258:261]*/, off, off offset:456
	scratch_load_b128 v[6:9] /*v[262:265]*/, off, off offset:472
	scratch_load_b64 v[16:17] /*v[272:273]*/, off, off offset:488
	s_set_vgpr_msb 0                        ;  msbs: dst=0 src0=0 src1=0 src2=0
	v_fmac_f32_e32 v11, v135, v138
	s_wait_loadcnt_dscnt 0x40a
	s_set_vgpr_msb 64                       ;  msbs: dst=1 src0=0 src1=0 src2=0
	v_dual_mul_f32 v13 /*v269*/, v240, v245 :: v_dual_mul_f32 v15 /*v271*/, v246, v251
	s_set_vgpr_msb 0                        ;  msbs: dst=0 src0=0 src1=0 src2=0
	v_dual_add_f32 v9, v9, v11 :: v_dual_mul_f32 v11, v136, v141
	s_set_vgpr_msb 64                       ;  msbs: dst=1 src0=0 src1=0 src2=0
	s_delay_alu instid0(VALU_DEP_2) | instskip(SKIP_1) | instid1(VALU_DEP_2)
	v_fmac_f32_e32 v13 /*v269*/, v241, v244
	s_set_vgpr_msb 0                        ;  msbs: dst=0 src0=0 src1=0 src2=0
	v_fmac_f32_e32 v11, v137, v140
	s_delay_alu instid0(VALU_DEP_1) | instskip(SKIP_1) | instid1(VALU_DEP_1)
	v_add_f32_e32 v9, v9, v11
	v_mul_f32_e32 v11, v142, v147
	v_fmac_f32_e32 v11, v143, v146
	s_delay_alu instid0(VALU_DEP_1) | instskip(NEXT) | instid1(VALU_DEP_1)
	v_dual_add_f32 v9, v9, v11 :: v_dual_mul_f32 v11, v144, v149
	v_fmac_f32_e32 v11, v145, v148
	s_delay_alu instid0(VALU_DEP_1) | instskip(SKIP_1) | instid1(VALU_DEP_1)
	v_add_f32_e32 v9, v9, v11
	v_mul_f32_e32 v11, v150, v155
	v_fmac_f32_e32 v11, v151, v154
	s_delay_alu instid0(VALU_DEP_1) | instskip(NEXT) | instid1(VALU_DEP_1)
	v_dual_add_f32 v9, v9, v11 :: v_dual_mul_f32 v11, v152, v157
	v_fmac_f32_e32 v11, v153, v156
	s_delay_alu instid0(VALU_DEP_1) | instskip(SKIP_2) | instid1(VALU_DEP_1)
	v_add_f32_e32 v9, v9, v11
	s_wait_dscnt 0x9
	v_mul_f32_e32 v11, v158, v163
	v_fmac_f32_e32 v11, v159, v162
	s_delay_alu instid0(VALU_DEP_1) | instskip(NEXT) | instid1(VALU_DEP_1)
	v_dual_add_f32 v9, v9, v11 :: v_dual_mul_f32 v11, v160, v165
	v_fmac_f32_e32 v11, v161, v164
	s_delay_alu instid0(VALU_DEP_1) | instskip(SKIP_2) | instid1(VALU_DEP_1)
	v_add_f32_e32 v9, v9, v11
	s_wait_dscnt 0x8
	;; [unrolled: 8-line block ×10, first 2 shown]
	v_mul_f32_e32 v11, v230, v235
	v_fmac_f32_e32 v11, v231, v234
	s_delay_alu instid0(VALU_DEP_1) | instskip(NEXT) | instid1(VALU_DEP_1)
	v_dual_add_f32 v9, v9, v11 :: v_dual_mul_f32 v11, v232, v237
	v_fmac_f32_e32 v11, v233, v236
	s_delay_alu instid0(VALU_DEP_1) | instskip(SKIP_1) | instid1(VALU_DEP_1)
	v_add_f32_e32 v9, v9, v11
	v_mul_f32_e32 v11, v238, v243
	v_fmac_f32_e32 v11, v239, v242
	s_set_vgpr_msb 64                       ;  msbs: dst=1 src0=0 src1=0 src2=0
	s_delay_alu instid0(VALU_DEP_1) | instskip(SKIP_2) | instid1(VALU_DEP_1)
	v_add_f32_e32 v11 /*v267*/, v9, v11
	s_set_vgpr_msb 0                        ;  msbs: dst=0 src0=0 src1=0 src2=0
	v_dual_mul_f32 v9, v127, v131 :: v_dual_mul_f32 v11, v129, v133
	v_dual_fma_f32 v9, v126, v130, -v9 :: v_dual_fma_f32 v11, v128, v132, -v11
	s_delay_alu instid0(VALU_DEP_1) | instskip(NEXT) | instid1(VALU_DEP_1)
	v_add_f32_e32 v9, 0, v9
	v_add_f32_e32 v9, v9, v11
	v_mul_f32_e32 v11, v135, v139
	s_delay_alu instid0(VALU_DEP_1) | instskip(NEXT) | instid1(VALU_DEP_1)
	v_fma_f32 v11, v134, v138, -v11
	v_add_f32_e32 v9, v9, v11
	v_mul_f32_e32 v11, v137, v141
	s_delay_alu instid0(VALU_DEP_1)
	v_fma_f32 v11, v136, v140, -v11
	ds_load_2addr_b64 v[126:129], v7 offset0:117 offset1:118
	ds_load_2addr_b64 v[130:133], v7 offset0:119 offset1:120
	;; [unrolled: 1-line block ×3, first 2 shown]
	ds_load_b64 v[138:139], v7 offset:984
	v_add_f32_e32 v9, v9, v11
	v_dual_mul_f32 v11, v143, v147 :: v_dual_mov_b32 v143, v248
	s_delay_alu instid0(VALU_DEP_1) | instskip(NEXT) | instid1(VALU_DEP_1)
	v_dual_fma_f32 v11, v142, v146, -v11 :: v_dual_mov_b32 v142, v249
	v_add_f32_e32 v9, v9, v11
	v_mul_f32_e32 v11, v145, v149
	s_delay_alu instid0(VALU_DEP_1) | instskip(NEXT) | instid1(VALU_DEP_1)
	v_dual_fma_f32 v11, v144, v148, -v11 :: v_dual_mov_b32 v144, v253
	v_add_f32_e32 v9, v9, v11
	v_mul_f32_e32 v11, v151, v155
	s_delay_alu instid0(VALU_DEP_3) | instskip(NEXT) | instid1(VALU_DEP_2)
	v_pk_mul_f32 v[142:143], v[142:143], v[144:145] op_sel_hi:[1,0]
	v_fma_f32 v11, v150, v154, -v11
	s_delay_alu instid0(VALU_DEP_2) | instskip(SKIP_1) | instid1(VALU_DEP_3)
	v_pk_fma_f32 v[144:145], v[248:249], v[252:253], v[142:143] neg_lo:[0,0,1] neg_hi:[0,0,1]
	v_pk_fma_f32 v[142:143], v[248:249], v[252:253], v[142:143] op_sel_hi:[1,0,1]
	v_add_f32_e32 v9, v9, v11
	s_delay_alu instid0(VALU_DEP_2) | instskip(SKIP_2) | instid1(VALU_DEP_2)
	v_dual_mul_f32 v11, v153, v157 :: v_dual_mov_b32 v145, v143
	s_wait_loadcnt_dscnt 0x303
	v_pk_mul_f32 v[142:143], v[126:127], v[254:255] op_sel:[1,1] op_sel_hi:[0,1]
	v_fma_f32 v11, v152, v156, -v11
	s_delay_alu instid0(VALU_DEP_1) | instskip(SKIP_1) | instid1(VALU_DEP_1)
	v_add_f32_e32 v9, v9, v11
	v_mul_f32_e32 v11, v159, v163
	v_fma_f32 v11, v158, v162, -v11
	s_delay_alu instid0(VALU_DEP_1) | instskip(SKIP_1) | instid1(VALU_DEP_1)
	v_add_f32_e32 v9, v9, v11
	v_mul_f32_e32 v11, v161, v165
	;; [unrolled: 4-line block ×21, first 2 shown]
	v_fma_f32 v11, v238, v242, -v11
	s_set_vgpr_msb 64                       ;  msbs: dst=1 src0=0 src1=0 src2=0
	s_delay_alu instid0(VALU_DEP_1) | instskip(SKIP_3) | instid1(VALU_DEP_1)
	v_dual_fmac_f32 v15 /*v271*/, v247, v250 :: v_dual_add_f32 v10 /*v266*/, v9, v11
	s_set_vgpr_msb 0                        ;  msbs: dst=0 src0=0 src1=0 src2=0
	v_mul_f32_e32 v9, v241, v245
	s_set_vgpr_msb 64                       ;  msbs: dst=1 src0=0 src1=0 src2=0
	v_fma_f32 v12 /*v268*/, v240, v244, -v9
	s_set_vgpr_msb 0                        ;  msbs: dst=0 src0=0 src1=0 src2=0
	v_mul_f32_e32 v9, v247, v251
	s_set_vgpr_msb 64                       ;  msbs: dst=1 src0=0 src1=0 src2=0
	s_delay_alu instid0(VALU_DEP_1) | instskip(SKIP_3) | instid1(VALU_DEP_1)
	v_fma_f32 v14 /*v270*/, v246, v250, -v9
	s_set_vgpr_msb 5                        ;  msbs: dst=0 src0=1 src1=1 src2=0
	v_pk_add_f32 v[140:141], v[10:11] /*v[266:267]*/, v[12:13] /*v[268:269]*/
	s_set_vgpr_msb 4                        ;  msbs: dst=0 src0=0 src1=1 src2=0
	v_pk_add_f32 v[140:141], v[140:141], v[14:15] /*v[270:271]*/
	s_set_vgpr_msb 0                        ;  msbs: dst=0 src0=0 src1=0 src2=0
	s_delay_alu instid0(VALU_DEP_1)
	v_pk_add_f32 v[140:141], v[140:141], v[144:145]
	v_pk_fma_f32 v[144:145], v[126:127], v[254:255], v[142:143] neg_lo:[0,0,1] neg_hi:[0,0,1]
	v_pk_fma_f32 v[126:127], v[126:127], v[254:255], v[142:143] op_sel_hi:[1,0,1]
	s_set_vgpr_msb 1                        ;  msbs: dst=0 src0=1 src1=0 src2=0
	v_mov_b32_e32 v142, v1 /*v257*/
	s_set_vgpr_msb 0                        ;  msbs: dst=0 src0=0 src1=0 src2=0
	s_delay_alu instid0(VALU_DEP_2) | instskip(NEXT) | instid1(VALU_DEP_1)
	v_mov_b32_e32 v145, v127
	v_pk_add_f32 v[126:127], v[140:141], v[144:145]
	v_dual_mov_b32 v140, v129 :: v_dual_mov_b32 v141, v128
	s_delay_alu instid0(VALU_DEP_1) | instskip(SKIP_1) | instid1(VALU_DEP_1)
	v_pk_mul_f32 v[140:141], v[140:141], v[142:143] op_sel_hi:[1,0]
	s_set_vgpr_msb 4                        ;  msbs: dst=0 src0=0 src1=1 src2=0
	v_pk_fma_f32 v[142:143], v[128:129], v[0:1] /*v[256:257]*/, v[140:141] neg_lo:[0,0,1] neg_hi:[0,0,1]
	v_pk_fma_f32 v[128:129], v[128:129], v[0:1] /*v[256:257]*/, v[140:141] op_sel_hi:[1,0,1]
	s_delay_alu instid0(VALU_DEP_1) | instskip(SKIP_3) | instid1(VALU_DEP_2)
	v_mov_b32_e32 v143, v129
	s_wait_loadcnt_dscnt 0x202
	v_pk_mul_f32 v[128:129], v[130:131], v[2:3] /*v[258:259]*/ op_sel:[1,1] op_sel_hi:[0,1]
	s_set_vgpr_msb 0                        ;  msbs: dst=0 src0=0 src1=0 src2=0
	v_pk_add_f32 v[126:127], v[126:127], v[142:143]
	s_set_vgpr_msb 4                        ;  msbs: dst=0 src0=0 src1=1 src2=0
	s_delay_alu instid0(VALU_DEP_2)
	v_pk_fma_f32 v[140:141], v[130:131], v[2:3] /*v[258:259]*/, v[128:129] neg_lo:[0,0,1] neg_hi:[0,0,1]
	v_pk_fma_f32 v[128:129], v[130:131], v[2:3] /*v[258:259]*/, v[128:129] op_sel_hi:[1,0,1]
	v_mov_b32_e32 v128, v133
	s_set_vgpr_msb 1                        ;  msbs: dst=0 src0=1 src1=0 src2=0
	v_mov_b32_e32 v130, v5 /*v261*/
	s_set_vgpr_msb 0                        ;  msbs: dst=0 src0=0 src1=0 src2=0
	v_dual_mov_b32 v141, v129 :: v_dual_mov_b32 v129, v132
	s_delay_alu instid0(VALU_DEP_1) | instskip(NEXT) | instid1(VALU_DEP_2)
	v_pk_add_f32 v[126:127], v[126:127], v[140:141]
	v_pk_mul_f32 v[128:129], v[128:129], v[130:131] op_sel_hi:[1,0]
	s_set_vgpr_msb 4                        ;  msbs: dst=0 src0=0 src1=1 src2=0
	s_delay_alu instid0(VALU_DEP_1) | instskip(SKIP_1) | instid1(VALU_DEP_1)
	v_pk_fma_f32 v[130:131], v[132:133], v[4:5] /*v[260:261]*/, v[128:129] neg_lo:[0,0,1] neg_hi:[0,0,1]
	v_pk_fma_f32 v[128:129], v[132:133], v[4:5] /*v[260:261]*/, v[128:129] op_sel_hi:[1,0,1]
	v_mov_b32_e32 v131, v129
	s_wait_loadcnt_dscnt 0x101
	v_pk_mul_f32 v[128:129], v[134:135], v[6:7] /*v[262:263]*/ op_sel:[1,1] op_sel_hi:[0,1]
	s_set_vgpr_msb 0                        ;  msbs: dst=0 src0=0 src1=0 src2=0
	s_delay_alu instid0(VALU_DEP_2) | instskip(SKIP_1) | instid1(VALU_DEP_2)
	v_pk_add_f32 v[126:127], v[126:127], v[130:131]
	s_set_vgpr_msb 4                        ;  msbs: dst=0 src0=0 src1=1 src2=0
	v_pk_fma_f32 v[130:131], v[134:135], v[6:7] /*v[262:263]*/, v[128:129] neg_lo:[0,0,1] neg_hi:[0,0,1]
	v_pk_fma_f32 v[128:129], v[134:135], v[6:7] /*v[262:263]*/, v[128:129] op_sel_hi:[1,0,1]
	s_delay_alu instid0(VALU_DEP_1) | instskip(SKIP_2) | instid1(VALU_DEP_2)
	v_dual_mov_b32 v128, v137 :: v_dual_mov_b32 v131, v129
	v_mov_b32_e32 v129, v136
	s_set_vgpr_msb 0                        ;  msbs: dst=0 src0=0 src1=0 src2=0
	v_pk_add_f32 v[126:127], v[126:127], v[130:131]
	s_set_vgpr_msb 1                        ;  msbs: dst=0 src0=1 src1=0 src2=0
	v_mov_b32_e32 v130, v9 /*v265*/
	s_set_vgpr_msb 0                        ;  msbs: dst=0 src0=0 src1=0 src2=0
	s_delay_alu instid0(VALU_DEP_1) | instskip(SKIP_1) | instid1(VALU_DEP_1)
	v_pk_mul_f32 v[128:129], v[128:129], v[130:131] op_sel_hi:[1,0]
	s_set_vgpr_msb 4                        ;  msbs: dst=0 src0=0 src1=1 src2=0
	v_pk_fma_f32 v[130:131], v[136:137], v[8:9] /*v[264:265]*/, v[128:129] neg_lo:[0,0,1] neg_hi:[0,0,1]
	v_pk_fma_f32 v[128:129], v[136:137], v[8:9] /*v[264:265]*/, v[128:129] op_sel_hi:[1,0,1]
	s_delay_alu instid0(VALU_DEP_1) | instskip(SKIP_3) | instid1(VALU_DEP_2)
	v_mov_b32_e32 v131, v129
	s_wait_loadcnt_dscnt 0x0
	v_pk_mul_f32 v[128:129], v[138:139], v[16:17] /*v[272:273]*/ op_sel:[1,1] op_sel_hi:[0,1]
	s_set_vgpr_msb 0                        ;  msbs: dst=0 src0=0 src1=0 src2=0
	v_pk_add_f32 v[126:127], v[126:127], v[130:131]
	s_set_vgpr_msb 4                        ;  msbs: dst=0 src0=0 src1=1 src2=0
	s_delay_alu instid0(VALU_DEP_2) | instskip(SKIP_1) | instid1(VALU_DEP_1)
	v_pk_fma_f32 v[130:131], v[138:139], v[16:17] /*v[272:273]*/, v[128:129] neg_lo:[0,0,1] neg_hi:[0,0,1]
	v_pk_fma_f32 v[128:129], v[138:139], v[16:17] /*v[272:273]*/, v[128:129] op_sel_hi:[1,0,1]
	v_mov_b32_e32 v131, v129
	scratch_load_b64 v[128:129], off, off offset:176
	s_set_vgpr_msb 0                        ;  msbs: dst=0 src0=0 src1=0 src2=0
	v_pk_add_f32 v[126:127], v[126:127], v[130:131]
	s_wait_loadcnt 0x0
	s_delay_alu instid0(VALU_DEP_1)
	v_pk_add_f32 v[126:127], v[128:129], v[126:127] neg_lo:[0,1] neg_hi:[0,1]
	scratch_store_b64 off, v[126:127], off offset:176
	s_wait_xcnt 0x0
	v_cmpx_lt_u32_e32 21, v0
	s_cbranch_execz .LBB61_343
; %bb.342:
	scratch_load_b64 v[126:127], off, off offset:168
	v_mov_b64_e32 v[128:129], 0
	scratch_store_b64 off, v[128:129], off offset:168
	s_wait_loadcnt 0x0
	ds_store_b64 v1, v[126:127]
.LBB61_343:
	s_wait_xcnt 0x0
	s_or_b32 exec_lo, exec_lo, s0
	s_wait_storecnt_dscnt 0x0
	s_barrier_signal -1
	s_barrier_wait -1
	ds_load_b128 v[126:129], v7 offset:672
	ds_load_b128 v[130:133], v7 offset:688
	;; [unrolled: 1-line block ×4, first 2 shown]
	s_clause 0xf
	scratch_load_b128 v[142:145], off, off offset:176
	scratch_load_b128 v[146:149], off, off offset:192
	;; [unrolled: 1-line block ×16, first 2 shown]
	ds_load_b128 v[158:161], v7 offset:736
	ds_load_b128 v[166:169], v7 offset:752
	;; [unrolled: 1-line block ×12, first 2 shown]
	s_clause 0x4
	scratch_load_b128 v[254:257], off, off offset:432
	s_set_vgpr_msb 64                       ;  msbs: dst=1 src0=0 src1=0 src2=0
	scratch_load_b128 v[2:5] /*v[258:261]*/, off, off offset:448
	scratch_load_b128 v[6:9] /*v[262:265]*/, off, off offset:464
	;; [unrolled: 1-line block ×3, first 2 shown]
	s_mov_b32 s0, exec_lo
	s_wait_loadcnt_dscnt 0x130f
	s_set_vgpr_msb 0                        ;  msbs: dst=0 src0=0 src1=0 src2=0
	v_dual_mul_f32 v9, v126, v143 :: v_dual_mul_f32 v11, v128, v145
	s_delay_alu instid0(VALU_DEP_1) | instskip(NEXT) | instid1(VALU_DEP_1)
	v_dual_fmac_f32 v9, v127, v142 :: v_dual_fmac_f32 v11, v129, v144
	v_add_f32_e32 v9, 0, v9
	s_delay_alu instid0(VALU_DEP_1)
	v_add_f32_e32 v9, v9, v11
	s_wait_loadcnt_dscnt 0x120e
	v_mul_f32_e32 v11, v130, v147
	s_wait_loadcnt_dscnt 0x408
	s_set_vgpr_msb 64                       ;  msbs: dst=1 src0=0 src1=0 src2=0
	v_dual_mul_f32 v17 /*v273*/, v246, v251 :: v_dual_mul_f32 v19 /*v275*/, v248, v253
	s_set_vgpr_msb 0                        ;  msbs: dst=0 src0=0 src1=0 src2=0
	v_fmac_f32_e32 v11, v131, v146
	s_set_vgpr_msb 64                       ;  msbs: dst=1 src0=0 src1=0 src2=0
	s_delay_alu instid0(VALU_DEP_2) | instskip(SKIP_1) | instid1(VALU_DEP_2)
	v_dual_fmac_f32 v17 /*v273*/, v247, v250 :: v_dual_fmac_f32 v19 /*v275*/, v249, v252
	s_set_vgpr_msb 0                        ;  msbs: dst=0 src0=0 src1=0 src2=0
	v_dual_add_f32 v9, v9, v11 :: v_dual_mul_f32 v11, v132, v149
	s_delay_alu instid0(VALU_DEP_1) | instskip(NEXT) | instid1(VALU_DEP_1)
	v_fmac_f32_e32 v11, v133, v148
	v_add_f32_e32 v9, v9, v11
	v_mul_f32_e32 v11, v134, v151
	s_delay_alu instid0(VALU_DEP_1) | instskip(NEXT) | instid1(VALU_DEP_1)
	v_fmac_f32_e32 v11, v135, v150
	v_dual_add_f32 v9, v9, v11 :: v_dual_mul_f32 v11, v136, v153
	s_delay_alu instid0(VALU_DEP_1) | instskip(NEXT) | instid1(VALU_DEP_1)
	v_fmac_f32_e32 v11, v137, v152
	v_add_f32_e32 v9, v9, v11
	v_mul_f32_e32 v11, v138, v155
	s_delay_alu instid0(VALU_DEP_1) | instskip(NEXT) | instid1(VALU_DEP_1)
	v_fmac_f32_e32 v11, v139, v154
	;; [unrolled: 7-line block ×4, first 2 shown]
	v_dual_add_f32 v9, v9, v11 :: v_dual_mul_f32 v11, v168, v173
	s_delay_alu instid0(VALU_DEP_1) | instskip(NEXT) | instid1(VALU_DEP_1)
	v_fmac_f32_e32 v11, v169, v172
	v_add_f32_e32 v9, v9, v11
	s_wait_dscnt 0x7
	v_mul_f32_e32 v11, v174, v179
	s_delay_alu instid0(VALU_DEP_1) | instskip(NEXT) | instid1(VALU_DEP_1)
	v_fmac_f32_e32 v11, v175, v178
	v_dual_add_f32 v9, v9, v11 :: v_dual_mul_f32 v11, v176, v181
	s_delay_alu instid0(VALU_DEP_1) | instskip(NEXT) | instid1(VALU_DEP_1)
	v_fmac_f32_e32 v11, v177, v180
	v_add_f32_e32 v9, v9, v11
	s_wait_dscnt 0x6
	v_mul_f32_e32 v11, v182, v187
	s_delay_alu instid0(VALU_DEP_1) | instskip(NEXT) | instid1(VALU_DEP_1)
	v_fmac_f32_e32 v11, v183, v186
	;; [unrolled: 8-line block ×8, first 2 shown]
	v_dual_add_f32 v9, v9, v11 :: v_dual_mul_f32 v11, v232, v237
	s_delay_alu instid0(VALU_DEP_1) | instskip(NEXT) | instid1(VALU_DEP_1)
	v_fmac_f32_e32 v11, v233, v236
	v_add_f32_e32 v9, v9, v11
	v_mul_f32_e32 v11, v238, v243
	s_delay_alu instid0(VALU_DEP_1) | instskip(NEXT) | instid1(VALU_DEP_1)
	v_fmac_f32_e32 v11, v239, v242
	v_dual_add_f32 v9, v9, v11 :: v_dual_mul_f32 v11, v240, v245
	s_delay_alu instid0(VALU_DEP_1) | instskip(SKIP_1) | instid1(VALU_DEP_1)
	v_fmac_f32_e32 v11, v241, v244
	s_set_vgpr_msb 64                       ;  msbs: dst=1 src0=0 src1=0 src2=0
	v_add_f32_e32 v15 /*v271*/, v9, v11
	s_set_vgpr_msb 0                        ;  msbs: dst=0 src0=0 src1=0 src2=0
	v_dual_mul_f32 v9, v127, v143 :: v_dual_mul_f32 v11, v129, v145
	s_delay_alu instid0(VALU_DEP_1) | instskip(NEXT) | instid1(VALU_DEP_1)
	v_dual_fma_f32 v9, v126, v142, -v9 :: v_dual_fma_f32 v11, v128, v144, -v11
	v_add_f32_e32 v9, 0, v9
	s_delay_alu instid0(VALU_DEP_1) | instskip(SKIP_1) | instid1(VALU_DEP_1)
	v_add_f32_e32 v9, v9, v11
	v_mul_f32_e32 v11, v131, v147
	v_fma_f32 v11, v130, v146, -v11
	s_delay_alu instid0(VALU_DEP_1) | instskip(SKIP_1) | instid1(VALU_DEP_1)
	v_add_f32_e32 v9, v9, v11
	v_mul_f32_e32 v11, v133, v149
	v_fma_f32 v11, v132, v148, -v11
	s_delay_alu instid0(VALU_DEP_1) | instskip(SKIP_1) | instid1(VALU_DEP_1)
	v_add_f32_e32 v9, v9, v11
	v_mul_f32_e32 v11, v135, v151
	v_fma_f32 v11, v134, v150, -v11
	s_delay_alu instid0(VALU_DEP_1) | instskip(SKIP_1) | instid1(VALU_DEP_1)
	v_add_f32_e32 v9, v9, v11
	v_mul_f32_e32 v11, v137, v153
	v_fma_f32 v11, v136, v152, -v11
	s_delay_alu instid0(VALU_DEP_1) | instskip(SKIP_1) | instid1(VALU_DEP_1)
	v_add_f32_e32 v9, v9, v11
	v_mul_f32_e32 v11, v139, v155
	v_fma_f32 v11, v138, v154, -v11
	s_delay_alu instid0(VALU_DEP_1) | instskip(SKIP_1) | instid1(VALU_DEP_1)
	v_add_f32_e32 v9, v9, v11
	v_mul_f32_e32 v11, v141, v157
	v_fma_f32 v11, v140, v156, -v11
	ds_load_b128 v[126:129], v7 offset:928
	ds_load_b128 v[130:133], v7 offset:944
	;; [unrolled: 1-line block ×4, first 2 shown]
	v_add_f32_e32 v9, v9, v11
	v_mul_f32_e32 v11, v159, v163
	s_delay_alu instid0(VALU_DEP_1) | instskip(NEXT) | instid1(VALU_DEP_1)
	v_fma_f32 v11, v158, v162, -v11
	v_add_f32_e32 v9, v9, v11
	v_mul_f32_e32 v11, v161, v165
	s_wait_loadcnt_dscnt 0x303
	v_pk_mul_f32 v[144:145], v[126:127], v[254:255] op_sel:[1,1] op_sel_hi:[0,1]
	s_delay_alu instid0(VALU_DEP_2) | instskip(NEXT) | instid1(VALU_DEP_2)
	v_fma_f32 v11, v160, v164, -v11
	v_pk_fma_f32 v[146:147], v[126:127], v[254:255], v[144:145] neg_lo:[0,0,1] neg_hi:[0,0,1]
	v_pk_fma_f32 v[126:127], v[126:127], v[254:255], v[144:145] op_sel_hi:[1,0,1]
	s_set_vgpr_msb 1                        ;  msbs: dst=0 src0=1 src1=0 src2=0
	v_mov_b32_e32 v144, v1 /*v257*/
	s_set_vgpr_msb 0                        ;  msbs: dst=0 src0=0 src1=0 src2=0
	v_add_f32_e32 v9, v9, v11
	v_mul_f32_e32 v11, v167, v171
	s_delay_alu instid0(VALU_DEP_1) | instskip(NEXT) | instid1(VALU_DEP_1)
	v_dual_mov_b32 v147, v127 :: v_dual_fma_f32 v11, v166, v170, -v11
	v_add_f32_e32 v9, v9, v11
	v_mul_f32_e32 v11, v169, v173
	s_delay_alu instid0(VALU_DEP_1) | instskip(NEXT) | instid1(VALU_DEP_1)
	v_fma_f32 v11, v168, v172, -v11
	v_add_f32_e32 v9, v9, v11
	v_mul_f32_e32 v11, v175, v179
	s_delay_alu instid0(VALU_DEP_1) | instskip(NEXT) | instid1(VALU_DEP_1)
	v_fma_f32 v11, v174, v178, -v11
	;; [unrolled: 4-line block ×18, first 2 shown]
	v_add_f32_e32 v9, v9, v11
	v_mul_f32_e32 v11, v241, v245
	s_delay_alu instid0(VALU_DEP_1) | instskip(SKIP_1) | instid1(VALU_DEP_1)
	v_fma_f32 v11, v240, v244, -v11
	s_set_vgpr_msb 64                       ;  msbs: dst=1 src0=0 src1=0 src2=0
	v_add_f32_e32 v14 /*v270*/, v9, v11
	s_set_vgpr_msb 0                        ;  msbs: dst=0 src0=0 src1=0 src2=0
	v_mul_f32_e32 v9, v247, v251
	s_set_vgpr_msb 64                       ;  msbs: dst=1 src0=0 src1=0 src2=0
	s_delay_alu instid0(VALU_DEP_1) | instskip(SKIP_3) | instid1(VALU_DEP_2)
	v_fma_f32 v16 /*v272*/, v246, v250, -v9
	s_set_vgpr_msb 0                        ;  msbs: dst=0 src0=0 src1=0 src2=0
	v_mul_f32_e32 v9, v249, v253
	s_set_vgpr_msb 5                        ;  msbs: dst=0 src0=1 src1=1 src2=0
	v_pk_add_f32 v[142:143], v[14:15] /*v[270:271]*/, v[16:17] /*v[272:273]*/
	s_set_vgpr_msb 64                       ;  msbs: dst=1 src0=0 src1=0 src2=0
	s_delay_alu instid0(VALU_DEP_2) | instskip(SKIP_1) | instid1(VALU_DEP_1)
	v_fma_f32 v18 /*v274*/, v248, v252, -v9
	s_set_vgpr_msb 4                        ;  msbs: dst=0 src0=0 src1=1 src2=0
	v_pk_add_f32 v[142:143], v[142:143], v[18:19] /*v[274:275]*/
	s_set_vgpr_msb 0                        ;  msbs: dst=0 src0=0 src1=0 src2=0
	s_delay_alu instid0(VALU_DEP_1) | instskip(SKIP_1) | instid1(VALU_DEP_1)
	v_pk_add_f32 v[126:127], v[142:143], v[146:147]
	v_dual_mov_b32 v142, v129 :: v_dual_mov_b32 v143, v128
	v_pk_mul_f32 v[142:143], v[142:143], v[144:145] op_sel_hi:[1,0]
	s_set_vgpr_msb 4                        ;  msbs: dst=0 src0=0 src1=1 src2=0
	s_delay_alu instid0(VALU_DEP_1) | instskip(SKIP_1) | instid1(VALU_DEP_1)
	v_pk_fma_f32 v[144:145], v[128:129], v[0:1] /*v[256:257]*/, v[142:143] neg_lo:[0,0,1] neg_hi:[0,0,1]
	v_pk_fma_f32 v[128:129], v[128:129], v[0:1] /*v[256:257]*/, v[142:143] op_sel_hi:[1,0,1]
	v_mov_b32_e32 v145, v129
	s_wait_loadcnt_dscnt 0x202
	v_pk_mul_f32 v[128:129], v[130:131], v[2:3] /*v[258:259]*/ op_sel:[1,1] op_sel_hi:[0,1]
	s_set_vgpr_msb 0                        ;  msbs: dst=0 src0=0 src1=0 src2=0
	s_delay_alu instid0(VALU_DEP_2) | instskip(SKIP_1) | instid1(VALU_DEP_2)
	v_pk_add_f32 v[126:127], v[126:127], v[144:145]
	s_set_vgpr_msb 4                        ;  msbs: dst=0 src0=0 src1=1 src2=0
	v_pk_fma_f32 v[142:143], v[130:131], v[2:3] /*v[258:259]*/, v[128:129] neg_lo:[0,0,1] neg_hi:[0,0,1]
	v_pk_fma_f32 v[128:129], v[130:131], v[2:3] /*v[258:259]*/, v[128:129] op_sel_hi:[1,0,1]
	v_mov_b32_e32 v128, v133
	s_set_vgpr_msb 1                        ;  msbs: dst=0 src0=1 src1=0 src2=0
	v_mov_b32_e32 v130, v5 /*v261*/
	s_set_vgpr_msb 0                        ;  msbs: dst=0 src0=0 src1=0 src2=0
	v_dual_mov_b32 v143, v129 :: v_dual_mov_b32 v129, v132
	s_delay_alu instid0(VALU_DEP_1) | instskip(NEXT) | instid1(VALU_DEP_2)
	v_pk_add_f32 v[126:127], v[126:127], v[142:143]
	v_pk_mul_f32 v[128:129], v[128:129], v[130:131] op_sel_hi:[1,0]
	s_set_vgpr_msb 4                        ;  msbs: dst=0 src0=0 src1=1 src2=0
	s_delay_alu instid0(VALU_DEP_1) | instskip(SKIP_1) | instid1(VALU_DEP_1)
	v_pk_fma_f32 v[130:131], v[132:133], v[4:5] /*v[260:261]*/, v[128:129] neg_lo:[0,0,1] neg_hi:[0,0,1]
	v_pk_fma_f32 v[128:129], v[132:133], v[4:5] /*v[260:261]*/, v[128:129] op_sel_hi:[1,0,1]
	v_mov_b32_e32 v131, v129
	s_wait_loadcnt_dscnt 0x101
	v_pk_mul_f32 v[128:129], v[134:135], v[6:7] /*v[262:263]*/ op_sel:[1,1] op_sel_hi:[0,1]
	s_set_vgpr_msb 0                        ;  msbs: dst=0 src0=0 src1=0 src2=0
	s_delay_alu instid0(VALU_DEP_2) | instskip(SKIP_1) | instid1(VALU_DEP_2)
	v_pk_add_f32 v[126:127], v[126:127], v[130:131]
	s_set_vgpr_msb 4                        ;  msbs: dst=0 src0=0 src1=1 src2=0
	v_pk_fma_f32 v[130:131], v[134:135], v[6:7] /*v[262:263]*/, v[128:129] neg_lo:[0,0,1] neg_hi:[0,0,1]
	v_pk_fma_f32 v[128:129], v[134:135], v[6:7] /*v[262:263]*/, v[128:129] op_sel_hi:[1,0,1]
	s_delay_alu instid0(VALU_DEP_1) | instskip(SKIP_2) | instid1(VALU_DEP_2)
	v_dual_mov_b32 v128, v137 :: v_dual_mov_b32 v131, v129
	v_mov_b32_e32 v129, v136
	s_set_vgpr_msb 0                        ;  msbs: dst=0 src0=0 src1=0 src2=0
	v_pk_add_f32 v[126:127], v[126:127], v[130:131]
	s_set_vgpr_msb 1                        ;  msbs: dst=0 src0=1 src1=0 src2=0
	v_mov_b32_e32 v130, v9 /*v265*/
	s_set_vgpr_msb 0                        ;  msbs: dst=0 src0=0 src1=0 src2=0
	s_delay_alu instid0(VALU_DEP_1) | instskip(SKIP_1) | instid1(VALU_DEP_1)
	v_pk_mul_f32 v[128:129], v[128:129], v[130:131] op_sel_hi:[1,0]
	s_set_vgpr_msb 4                        ;  msbs: dst=0 src0=0 src1=1 src2=0
	v_pk_fma_f32 v[130:131], v[136:137], v[8:9] /*v[264:265]*/, v[128:129] neg_lo:[0,0,1] neg_hi:[0,0,1]
	v_pk_fma_f32 v[128:129], v[136:137], v[8:9] /*v[264:265]*/, v[128:129] op_sel_hi:[1,0,1]
	s_delay_alu instid0(VALU_DEP_1) | instskip(SKIP_3) | instid1(VALU_DEP_2)
	v_mov_b32_e32 v131, v129
	s_wait_loadcnt_dscnt 0x0
	v_pk_mul_f32 v[128:129], v[138:139], v[10:11] /*v[266:267]*/ op_sel:[1,1] op_sel_hi:[0,1]
	s_set_vgpr_msb 0                        ;  msbs: dst=0 src0=0 src1=0 src2=0
	v_pk_add_f32 v[126:127], v[126:127], v[130:131]
	s_set_vgpr_msb 4                        ;  msbs: dst=0 src0=0 src1=1 src2=0
	s_delay_alu instid0(VALU_DEP_2) | instskip(SKIP_1) | instid1(VALU_DEP_1)
	v_pk_fma_f32 v[130:131], v[138:139], v[10:11] /*v[266:267]*/, v[128:129] neg_lo:[0,0,1] neg_hi:[0,0,1]
	v_pk_fma_f32 v[128:129], v[138:139], v[10:11] /*v[266:267]*/, v[128:129] op_sel_hi:[1,0,1]
	v_dual_mov_b32 v128, v141 :: v_dual_mov_b32 v131, v129
	v_mov_b32_e32 v129, v140
	s_set_vgpr_msb 0                        ;  msbs: dst=0 src0=0 src1=0 src2=0
	s_delay_alu instid0(VALU_DEP_2) | instskip(SKIP_3) | instid1(VALU_DEP_1)
	v_pk_add_f32 v[126:127], v[126:127], v[130:131]
	s_set_vgpr_msb 1                        ;  msbs: dst=0 src0=1 src1=0 src2=0
	v_mov_b32_e32 v130, v13 /*v269*/
	s_set_vgpr_msb 0                        ;  msbs: dst=0 src0=0 src1=0 src2=0
	v_pk_mul_f32 v[128:129], v[128:129], v[130:131] op_sel_hi:[1,0]
	s_set_vgpr_msb 4                        ;  msbs: dst=0 src0=0 src1=1 src2=0
	s_delay_alu instid0(VALU_DEP_1) | instskip(SKIP_1) | instid1(VALU_DEP_1)
	v_pk_fma_f32 v[130:131], v[140:141], v[12:13] /*v[268:269]*/, v[128:129] neg_lo:[0,0,1] neg_hi:[0,0,1]
	v_pk_fma_f32 v[128:129], v[140:141], v[12:13] /*v[268:269]*/, v[128:129] op_sel_hi:[1,0,1]
	v_mov_b32_e32 v131, v129
	scratch_load_b64 v[128:129], off, off offset:168
	s_set_vgpr_msb 0                        ;  msbs: dst=0 src0=0 src1=0 src2=0
	v_pk_add_f32 v[126:127], v[126:127], v[130:131]
	s_wait_loadcnt 0x0
	s_delay_alu instid0(VALU_DEP_1)
	v_pk_add_f32 v[126:127], v[128:129], v[126:127] neg_lo:[0,1] neg_hi:[0,1]
	scratch_store_b64 off, v[126:127], off offset:168
	s_wait_xcnt 0x0
	v_cmpx_lt_u32_e32 20, v0
	s_cbranch_execz .LBB61_345
; %bb.344:
	scratch_load_b64 v[126:127], off, off offset:160
	v_mov_b64_e32 v[128:129], 0
	scratch_store_b64 off, v[128:129], off offset:160
	s_wait_loadcnt 0x0
	ds_store_b64 v1, v[126:127]
.LBB61_345:
	s_wait_xcnt 0x0
	s_or_b32 exec_lo, exec_lo, s0
	s_wait_storecnt_dscnt 0x0
	s_barrier_signal -1
	s_barrier_wait -1
	s_clause 0xf
	scratch_load_b128 v[130:133], off, off offset:168
	scratch_load_b128 v[138:141], off, off offset:184
	;; [unrolled: 1-line block ×16, first 2 shown]
	v_mov_b32_e32 v7, 0
	s_set_vgpr_msb 64                       ;  msbs: dst=1 src0=0 src1=0 src2=0
	scratch_load_b128 v[2:5] /*v[258:261]*/, off, off offset:424
	s_mov_b32 s0, exec_lo
	s_set_vgpr_msb 0                        ;  msbs: dst=0 src0=0 src1=0 src2=0
	ds_load_2addr_b64 v[126:129], v7 offset0:83 offset1:84
	ds_load_2addr_b64 v[134:137], v7 offset0:85 offset1:86
	s_wait_loadcnt_dscnt 0x1001
	v_dual_mul_f32 v9, v126, v131 :: v_dual_mul_f32 v11, v128, v133
	ds_load_2addr_b64 v[142:145], v7 offset0:87 offset1:88
	ds_load_2addr_b64 v[150:153], v7 offset0:89 offset1:90
	;; [unrolled: 1-line block ×4, first 2 shown]
	v_dual_fmac_f32 v9, v127, v130 :: v_dual_fmac_f32 v11, v129, v132
	ds_load_2addr_b64 v[158:161], v7 offset0:91 offset1:92
	ds_load_2addr_b64 v[166:169], v7 offset0:93 offset1:94
	;; [unrolled: 1-line block ×4, first 2 shown]
	v_add_f32_e32 v9, 0, v9
	ds_load_2addr_b64 v[190:193], v7 offset0:99 offset1:100
	ds_load_2addr_b64 v[198:201], v7 offset0:101 offset1:102
	;; [unrolled: 1-line block ×4, first 2 shown]
	v_add_f32_e32 v9, v9, v11
	s_wait_loadcnt_dscnt 0xf0c
	v_mul_f32_e32 v11, v134, v139
	ds_load_2addr_b64 v[222:225], v7 offset0:107 offset1:108
	ds_load_2addr_b64 v[230:233], v7 offset0:109 offset1:110
	;; [unrolled: 1-line block ×3, first 2 shown]
	s_set_vgpr_msb 64                       ;  msbs: dst=1 src0=0 src1=0 src2=0
	s_clause 0x3
	scratch_load_b128 v[6:9] /*v[262:265]*/, off, off offset:440
	scratch_load_b128 v[10:13] /*v[266:269]*/, off, off offset:456
	;; [unrolled: 1-line block ×3, first 2 shown]
	scratch_load_b64 v[24:25] /*v[280:281]*/, off, off offset:488
	s_set_vgpr_msb 0                        ;  msbs: dst=0 src0=0 src1=0 src2=0
	v_fmac_f32_e32 v11, v135, v138
	s_wait_loadcnt_dscnt 0x50b
	s_set_vgpr_msb 64                       ;  msbs: dst=1 src0=0 src1=0 src2=0
	v_mul_f32_e32 v21 /*v277*/, v248, v253
	s_set_vgpr_msb 0                        ;  msbs: dst=0 src0=0 src1=0 src2=0
	v_dual_add_f32 v9, v9, v11 :: v_dual_mul_f32 v11, v136, v141
	s_set_vgpr_msb 64                       ;  msbs: dst=1 src0=0 src1=0 src2=0
	s_delay_alu instid0(VALU_DEP_2) | instskip(SKIP_1) | instid1(VALU_DEP_2)
	v_fmac_f32_e32 v21 /*v277*/, v249, v252
	s_set_vgpr_msb 0                        ;  msbs: dst=0 src0=0 src1=0 src2=0
	v_fmac_f32_e32 v11, v137, v140
	s_delay_alu instid0(VALU_DEP_1) | instskip(SKIP_1) | instid1(VALU_DEP_1)
	v_add_f32_e32 v9, v9, v11
	v_mul_f32_e32 v11, v142, v147
	v_fmac_f32_e32 v11, v143, v146
	s_delay_alu instid0(VALU_DEP_1) | instskip(NEXT) | instid1(VALU_DEP_1)
	v_dual_add_f32 v9, v9, v11 :: v_dual_mul_f32 v11, v144, v149
	v_fmac_f32_e32 v11, v145, v148
	s_delay_alu instid0(VALU_DEP_1) | instskip(SKIP_1) | instid1(VALU_DEP_1)
	v_add_f32_e32 v9, v9, v11
	v_mul_f32_e32 v11, v150, v155
	v_fmac_f32_e32 v11, v151, v154
	s_delay_alu instid0(VALU_DEP_1) | instskip(NEXT) | instid1(VALU_DEP_1)
	v_dual_add_f32 v9, v9, v11 :: v_dual_mul_f32 v11, v152, v157
	v_fmac_f32_e32 v11, v153, v156
	s_delay_alu instid0(VALU_DEP_1) | instskip(SKIP_2) | instid1(VALU_DEP_1)
	v_add_f32_e32 v9, v9, v11
	s_wait_dscnt 0xa
	v_mul_f32_e32 v11, v158, v163
	v_fmac_f32_e32 v11, v159, v162
	s_delay_alu instid0(VALU_DEP_1) | instskip(NEXT) | instid1(VALU_DEP_1)
	v_dual_add_f32 v9, v9, v11 :: v_dual_mul_f32 v11, v160, v165
	v_fmac_f32_e32 v11, v161, v164
	s_delay_alu instid0(VALU_DEP_1) | instskip(SKIP_2) | instid1(VALU_DEP_1)
	v_add_f32_e32 v9, v9, v11
	s_wait_dscnt 0x9
	;; [unrolled: 8-line block ×10, first 2 shown]
	v_mul_f32_e32 v11, v230, v235
	v_fmac_f32_e32 v11, v231, v234
	s_delay_alu instid0(VALU_DEP_1) | instskip(NEXT) | instid1(VALU_DEP_1)
	v_dual_add_f32 v9, v9, v11 :: v_dual_mul_f32 v11, v232, v237
	v_fmac_f32_e32 v11, v233, v236
	s_delay_alu instid0(VALU_DEP_1) | instskip(SKIP_1) | instid1(VALU_DEP_1)
	v_add_f32_e32 v9, v9, v11
	v_mul_f32_e32 v11, v238, v243
	v_fmac_f32_e32 v11, v239, v242
	s_delay_alu instid0(VALU_DEP_1) | instskip(NEXT) | instid1(VALU_DEP_1)
	v_dual_add_f32 v9, v9, v11 :: v_dual_mul_f32 v11, v240, v245
	v_fmac_f32_e32 v11, v241, v244
	s_delay_alu instid0(VALU_DEP_1) | instskip(SKIP_1) | instid1(VALU_DEP_1)
	v_add_f32_e32 v9, v9, v11
	v_mul_f32_e32 v11, v246, v251
	v_fmac_f32_e32 v11, v247, v250
	s_set_vgpr_msb 64                       ;  msbs: dst=1 src0=0 src1=0 src2=0
	s_delay_alu instid0(VALU_DEP_1) | instskip(SKIP_2) | instid1(VALU_DEP_1)
	v_add_f32_e32 v19 /*v275*/, v9, v11
	s_set_vgpr_msb 0                        ;  msbs: dst=0 src0=0 src1=0 src2=0
	v_dual_mul_f32 v9, v127, v131 :: v_dual_mul_f32 v11, v129, v133
	v_dual_fma_f32 v9, v126, v130, -v9 :: v_dual_fma_f32 v11, v128, v132, -v11
	s_delay_alu instid0(VALU_DEP_1) | instskip(NEXT) | instid1(VALU_DEP_1)
	v_add_f32_e32 v9, 0, v9
	v_add_f32_e32 v9, v9, v11
	v_mul_f32_e32 v11, v135, v139
	s_delay_alu instid0(VALU_DEP_1) | instskip(NEXT) | instid1(VALU_DEP_1)
	v_fma_f32 v11, v134, v138, -v11
	v_add_f32_e32 v9, v9, v11
	v_mul_f32_e32 v11, v137, v141
	s_delay_alu instid0(VALU_DEP_1)
	v_fma_f32 v11, v136, v140, -v11
	ds_load_2addr_b64 v[126:129], v7 offset0:117 offset1:118
	ds_load_2addr_b64 v[130:133], v7 offset0:119 offset1:120
	;; [unrolled: 1-line block ×3, first 2 shown]
	ds_load_b64 v[138:139], v7 offset:984
	v_add_f32_e32 v9, v9, v11
	v_mul_f32_e32 v11, v143, v147
	s_wait_dscnt 0x4
	s_set_vgpr_msb 1                        ;  msbs: dst=0 src0=1 src1=0 src2=0
	v_mov_b32_e32 v143, v0 /*v256*/
	s_set_vgpr_msb 0                        ;  msbs: dst=0 src0=0 src1=0 src2=0
	v_fma_f32 v11, v142, v146, -v11
	s_set_vgpr_msb 1                        ;  msbs: dst=0 src0=1 src1=0 src2=0
	v_mov_b32_e32 v142, v1 /*v257*/
	s_set_vgpr_msb 0                        ;  msbs: dst=0 src0=0 src1=0 src2=0
	s_delay_alu instid0(VALU_DEP_2) | instskip(SKIP_1) | instid1(VALU_DEP_1)
	v_add_f32_e32 v9, v9, v11
	v_mul_f32_e32 v11, v145, v149
	v_fma_f32 v11, v144, v148, -v11
	s_wait_loadcnt 0x4
	s_set_vgpr_msb 1                        ;  msbs: dst=0 src0=1 src1=0 src2=0
	v_mov_b32_e32 v144, v5 /*v261*/
	s_set_vgpr_msb 0                        ;  msbs: dst=0 src0=0 src1=0 src2=0
	v_add_f32_e32 v9, v9, v11
	v_mul_f32_e32 v11, v151, v155
	s_delay_alu instid0(VALU_DEP_3) | instskip(NEXT) | instid1(VALU_DEP_2)
	v_pk_mul_f32 v[142:143], v[142:143], v[144:145] op_sel_hi:[1,0]
	v_fma_f32 v11, v150, v154, -v11
	s_set_vgpr_msb 5                        ;  msbs: dst=0 src0=1 src1=1 src2=0
	s_delay_alu instid0(VALU_DEP_2) | instskip(SKIP_3) | instid1(VALU_DEP_2)
	v_pk_fma_f32 v[144:145], v[0:1] /*v[256:257]*/, v[4:5] /*v[260:261]*/, v[142:143] neg_lo:[0,0,1] neg_hi:[0,0,1]
	v_pk_fma_f32 v[142:143], v[0:1] /*v[256:257]*/, v[4:5] /*v[260:261]*/, v[142:143] op_sel_hi:[1,0,1]
	s_set_vgpr_msb 0                        ;  msbs: dst=0 src0=0 src1=0 src2=0
	v_add_f32_e32 v9, v9, v11
	v_dual_mul_f32 v11, v153, v157 :: v_dual_mov_b32 v145, v143
	s_wait_loadcnt_dscnt 0x303
	s_set_vgpr_msb 4                        ;  msbs: dst=0 src0=0 src1=1 src2=0
	v_pk_mul_f32 v[142:143], v[126:127], v[6:7] /*v[262:263]*/ op_sel:[1,1] op_sel_hi:[0,1]
	s_set_vgpr_msb 0                        ;  msbs: dst=0 src0=0 src1=0 src2=0
	v_fma_f32 v11, v152, v156, -v11
	s_delay_alu instid0(VALU_DEP_1) | instskip(SKIP_1) | instid1(VALU_DEP_1)
	v_add_f32_e32 v9, v9, v11
	v_mul_f32_e32 v11, v159, v163
	v_fma_f32 v11, v158, v162, -v11
	s_delay_alu instid0(VALU_DEP_1) | instskip(SKIP_1) | instid1(VALU_DEP_1)
	v_add_f32_e32 v9, v9, v11
	v_mul_f32_e32 v11, v161, v165
	;; [unrolled: 4-line block ×23, first 2 shown]
	v_fma_f32 v11, v246, v250, -v11
	s_set_vgpr_msb 64                       ;  msbs: dst=1 src0=0 src1=0 src2=0
	s_delay_alu instid0(VALU_DEP_1) | instskip(SKIP_3) | instid1(VALU_DEP_1)
	v_add_f32_e32 v18 /*v274*/, v9, v11
	s_set_vgpr_msb 0                        ;  msbs: dst=0 src0=0 src1=0 src2=0
	v_mul_f32_e32 v9, v249, v253
	s_set_vgpr_msb 64                       ;  msbs: dst=1 src0=0 src1=0 src2=0
	v_fma_f32 v20 /*v276*/, v248, v252, -v9
	s_set_vgpr_msb 4                        ;  msbs: dst=0 src0=0 src1=1 src2=0
	v_mul_f32_e32 v9, v255, v3 /*v259*/
	s_set_vgpr_msb 0x44                     ;  msbs: dst=1 src0=0 src1=1 src2=0
	v_mul_f32_e32 v23 /*v279*/, v254, v3 /*v259*/
	s_set_vgpr_msb 5                        ;  msbs: dst=0 src0=1 src1=1 src2=0
	v_pk_add_f32 v[140:141], v[18:19] /*v[274:275]*/, v[20:21] /*v[276:277]*/
	s_set_vgpr_msb 0x44                     ;  msbs: dst=1 src0=0 src1=1 src2=0
	v_fma_f32 v22 /*v278*/, v254, v2 /*v258*/, -v9
	v_fmac_f32_e32 v23 /*v279*/, v255, v2 /*v258*/
	s_set_vgpr_msb 4                        ;  msbs: dst=0 src0=0 src1=1 src2=0
	s_delay_alu instid0(VALU_DEP_1) | instskip(SKIP_1) | instid1(VALU_DEP_1)
	v_pk_add_f32 v[140:141], v[140:141], v[22:23] /*v[278:279]*/
	s_set_vgpr_msb 0                        ;  msbs: dst=0 src0=0 src1=0 src2=0
	v_pk_add_f32 v[140:141], v[140:141], v[144:145]
	s_set_vgpr_msb 4                        ;  msbs: dst=0 src0=0 src1=1 src2=0
	v_pk_fma_f32 v[144:145], v[126:127], v[6:7] /*v[262:263]*/, v[142:143] neg_lo:[0,0,1] neg_hi:[0,0,1]
	v_pk_fma_f32 v[126:127], v[126:127], v[6:7] /*v[262:263]*/, v[142:143] op_sel_hi:[1,0,1]
	s_set_vgpr_msb 1                        ;  msbs: dst=0 src0=1 src1=0 src2=0
	v_mov_b32_e32 v142, v9 /*v265*/
	s_set_vgpr_msb 0                        ;  msbs: dst=0 src0=0 src1=0 src2=0
	s_delay_alu instid0(VALU_DEP_2) | instskip(NEXT) | instid1(VALU_DEP_1)
	v_mov_b32_e32 v145, v127
	v_pk_add_f32 v[126:127], v[140:141], v[144:145]
	v_dual_mov_b32 v140, v129 :: v_dual_mov_b32 v141, v128
	s_delay_alu instid0(VALU_DEP_1) | instskip(SKIP_1) | instid1(VALU_DEP_1)
	v_pk_mul_f32 v[140:141], v[140:141], v[142:143] op_sel_hi:[1,0]
	s_set_vgpr_msb 4                        ;  msbs: dst=0 src0=0 src1=1 src2=0
	v_pk_fma_f32 v[142:143], v[128:129], v[8:9] /*v[264:265]*/, v[140:141] neg_lo:[0,0,1] neg_hi:[0,0,1]
	v_pk_fma_f32 v[128:129], v[128:129], v[8:9] /*v[264:265]*/, v[140:141] op_sel_hi:[1,0,1]
	s_delay_alu instid0(VALU_DEP_1) | instskip(SKIP_3) | instid1(VALU_DEP_2)
	v_mov_b32_e32 v143, v129
	s_wait_loadcnt_dscnt 0x202
	v_pk_mul_f32 v[128:129], v[130:131], v[10:11] /*v[266:267]*/ op_sel:[1,1] op_sel_hi:[0,1]
	s_set_vgpr_msb 0                        ;  msbs: dst=0 src0=0 src1=0 src2=0
	v_pk_add_f32 v[126:127], v[126:127], v[142:143]
	s_set_vgpr_msb 4                        ;  msbs: dst=0 src0=0 src1=1 src2=0
	s_delay_alu instid0(VALU_DEP_2)
	v_pk_fma_f32 v[140:141], v[130:131], v[10:11] /*v[266:267]*/, v[128:129] neg_lo:[0,0,1] neg_hi:[0,0,1]
	v_pk_fma_f32 v[128:129], v[130:131], v[10:11] /*v[266:267]*/, v[128:129] op_sel_hi:[1,0,1]
	v_mov_b32_e32 v128, v133
	s_set_vgpr_msb 1                        ;  msbs: dst=0 src0=1 src1=0 src2=0
	v_mov_b32_e32 v130, v13 /*v269*/
	s_set_vgpr_msb 0                        ;  msbs: dst=0 src0=0 src1=0 src2=0
	v_dual_mov_b32 v141, v129 :: v_dual_mov_b32 v129, v132
	s_delay_alu instid0(VALU_DEP_1) | instskip(NEXT) | instid1(VALU_DEP_2)
	v_pk_add_f32 v[126:127], v[126:127], v[140:141]
	v_pk_mul_f32 v[128:129], v[128:129], v[130:131] op_sel_hi:[1,0]
	s_set_vgpr_msb 4                        ;  msbs: dst=0 src0=0 src1=1 src2=0
	s_delay_alu instid0(VALU_DEP_1) | instskip(SKIP_1) | instid1(VALU_DEP_1)
	v_pk_fma_f32 v[130:131], v[132:133], v[12:13] /*v[268:269]*/, v[128:129] neg_lo:[0,0,1] neg_hi:[0,0,1]
	v_pk_fma_f32 v[128:129], v[132:133], v[12:13] /*v[268:269]*/, v[128:129] op_sel_hi:[1,0,1]
	v_mov_b32_e32 v131, v129
	s_wait_loadcnt_dscnt 0x101
	v_pk_mul_f32 v[128:129], v[134:135], v[14:15] /*v[270:271]*/ op_sel:[1,1] op_sel_hi:[0,1]
	s_set_vgpr_msb 0                        ;  msbs: dst=0 src0=0 src1=0 src2=0
	s_delay_alu instid0(VALU_DEP_2) | instskip(SKIP_1) | instid1(VALU_DEP_2)
	v_pk_add_f32 v[126:127], v[126:127], v[130:131]
	s_set_vgpr_msb 4                        ;  msbs: dst=0 src0=0 src1=1 src2=0
	v_pk_fma_f32 v[130:131], v[134:135], v[14:15] /*v[270:271]*/, v[128:129] neg_lo:[0,0,1] neg_hi:[0,0,1]
	v_pk_fma_f32 v[128:129], v[134:135], v[14:15] /*v[270:271]*/, v[128:129] op_sel_hi:[1,0,1]
	s_delay_alu instid0(VALU_DEP_1) | instskip(SKIP_2) | instid1(VALU_DEP_2)
	v_dual_mov_b32 v128, v137 :: v_dual_mov_b32 v131, v129
	v_mov_b32_e32 v129, v136
	s_set_vgpr_msb 0                        ;  msbs: dst=0 src0=0 src1=0 src2=0
	v_pk_add_f32 v[126:127], v[126:127], v[130:131]
	s_set_vgpr_msb 1                        ;  msbs: dst=0 src0=1 src1=0 src2=0
	v_mov_b32_e32 v130, v17 /*v273*/
	s_set_vgpr_msb 0                        ;  msbs: dst=0 src0=0 src1=0 src2=0
	s_delay_alu instid0(VALU_DEP_1) | instskip(SKIP_1) | instid1(VALU_DEP_1)
	v_pk_mul_f32 v[128:129], v[128:129], v[130:131] op_sel_hi:[1,0]
	s_set_vgpr_msb 4                        ;  msbs: dst=0 src0=0 src1=1 src2=0
	v_pk_fma_f32 v[130:131], v[136:137], v[16:17] /*v[272:273]*/, v[128:129] neg_lo:[0,0,1] neg_hi:[0,0,1]
	v_pk_fma_f32 v[128:129], v[136:137], v[16:17] /*v[272:273]*/, v[128:129] op_sel_hi:[1,0,1]
	s_delay_alu instid0(VALU_DEP_1) | instskip(SKIP_3) | instid1(VALU_DEP_2)
	v_mov_b32_e32 v131, v129
	s_wait_loadcnt_dscnt 0x0
	v_pk_mul_f32 v[128:129], v[138:139], v[24:25] /*v[280:281]*/ op_sel:[1,1] op_sel_hi:[0,1]
	s_set_vgpr_msb 0                        ;  msbs: dst=0 src0=0 src1=0 src2=0
	v_pk_add_f32 v[126:127], v[126:127], v[130:131]
	s_set_vgpr_msb 4                        ;  msbs: dst=0 src0=0 src1=1 src2=0
	s_delay_alu instid0(VALU_DEP_2) | instskip(SKIP_1) | instid1(VALU_DEP_1)
	v_pk_fma_f32 v[130:131], v[138:139], v[24:25] /*v[280:281]*/, v[128:129] neg_lo:[0,0,1] neg_hi:[0,0,1]
	v_pk_fma_f32 v[128:129], v[138:139], v[24:25] /*v[280:281]*/, v[128:129] op_sel_hi:[1,0,1]
	v_mov_b32_e32 v131, v129
	scratch_load_b64 v[128:129], off, off offset:160
	s_set_vgpr_msb 0                        ;  msbs: dst=0 src0=0 src1=0 src2=0
	v_pk_add_f32 v[126:127], v[126:127], v[130:131]
	s_wait_loadcnt 0x0
	s_delay_alu instid0(VALU_DEP_1)
	v_pk_add_f32 v[126:127], v[128:129], v[126:127] neg_lo:[0,1] neg_hi:[0,1]
	scratch_store_b64 off, v[126:127], off offset:160
	s_wait_xcnt 0x0
	v_cmpx_lt_u32_e32 19, v0
	s_cbranch_execz .LBB61_347
; %bb.346:
	scratch_load_b64 v[126:127], off, off offset:152
	v_mov_b64_e32 v[128:129], 0
	scratch_store_b64 off, v[128:129], off offset:152
	s_wait_loadcnt 0x0
	ds_store_b64 v1, v[126:127]
.LBB61_347:
	s_wait_xcnt 0x0
	s_or_b32 exec_lo, exec_lo, s0
	s_wait_storecnt_dscnt 0x0
	s_barrier_signal -1
	s_barrier_wait -1
	ds_load_b128 v[126:129], v7 offset:656
	ds_load_b128 v[130:133], v7 offset:672
	;; [unrolled: 1-line block ×4, first 2 shown]
	s_clause 0xf
	scratch_load_b128 v[142:145], off, off offset:160
	scratch_load_b128 v[146:149], off, off offset:176
	;; [unrolled: 1-line block ×16, first 2 shown]
	ds_load_b128 v[158:161], v7 offset:720
	ds_load_b128 v[166:169], v7 offset:736
	;; [unrolled: 1-line block ×12, first 2 shown]
	s_set_vgpr_msb 64                       ;  msbs: dst=1 src0=0 src1=0 src2=0
	scratch_load_b128 v[2:5] /*v[258:261]*/, off, off offset:416
	s_set_vgpr_msb 0                        ;  msbs: dst=0 src0=0 src1=0 src2=0
	ds_load_b128 v[254:257], v7 offset:912
	s_set_vgpr_msb 64                       ;  msbs: dst=1 src0=0 src1=0 src2=0
	s_clause 0x3
	scratch_load_b128 v[6:9] /*v[262:265]*/, off, off offset:432
	scratch_load_b128 v[10:13] /*v[266:269]*/, off, off offset:448
	;; [unrolled: 1-line block ×4, first 2 shown]
	s_mov_b32 s0, exec_lo
	s_wait_loadcnt_dscnt 0x1410
	s_set_vgpr_msb 0                        ;  msbs: dst=0 src0=0 src1=0 src2=0
	v_dual_mul_f32 v9, v126, v143 :: v_dual_mul_f32 v11, v128, v145
	s_delay_alu instid0(VALU_DEP_1) | instskip(NEXT) | instid1(VALU_DEP_1)
	v_dual_fmac_f32 v9, v127, v142 :: v_dual_fmac_f32 v11, v129, v144
	v_add_f32_e32 v9, 0, v9
	s_delay_alu instid0(VALU_DEP_1) | instskip(SKIP_2) | instid1(VALU_DEP_1)
	v_add_f32_e32 v9, v9, v11
	s_wait_loadcnt_dscnt 0x130f
	v_mul_f32_e32 v11, v130, v147
	v_fmac_f32_e32 v11, v131, v146
	s_delay_alu instid0(VALU_DEP_1) | instskip(NEXT) | instid1(VALU_DEP_1)
	v_dual_add_f32 v9, v9, v11 :: v_dual_mul_f32 v11, v132, v149
	v_fmac_f32_e32 v11, v133, v148
	s_delay_alu instid0(VALU_DEP_1) | instskip(SKIP_2) | instid1(VALU_DEP_1)
	v_add_f32_e32 v9, v9, v11
	s_wait_loadcnt_dscnt 0x120e
	v_mul_f32_e32 v11, v134, v151
	v_fmac_f32_e32 v11, v135, v150
	s_delay_alu instid0(VALU_DEP_1) | instskip(NEXT) | instid1(VALU_DEP_1)
	v_dual_add_f32 v9, v9, v11 :: v_dual_mul_f32 v11, v136, v153
	v_fmac_f32_e32 v11, v137, v152
	;; [unrolled: 8-line block ×15, first 2 shown]
	s_set_vgpr_msb 64                       ;  msbs: dst=1 src0=0 src1=0 src2=0
	s_delay_alu instid0(VALU_DEP_1) | instskip(SKIP_2) | instid1(VALU_DEP_1)
	v_add_f32_e32 v23 /*v279*/, v9, v11
	s_set_vgpr_msb 0                        ;  msbs: dst=0 src0=0 src1=0 src2=0
	v_dual_mul_f32 v9, v127, v143 :: v_dual_mul_f32 v11, v129, v145
	v_dual_fma_f32 v9, v126, v142, -v9 :: v_dual_fma_f32 v11, v128, v144, -v11
	s_delay_alu instid0(VALU_DEP_1) | instskip(NEXT) | instid1(VALU_DEP_1)
	v_add_f32_e32 v9, 0, v9
	v_add_f32_e32 v9, v9, v11
	v_mul_f32_e32 v11, v131, v147
	s_delay_alu instid0(VALU_DEP_1) | instskip(NEXT) | instid1(VALU_DEP_1)
	v_fma_f32 v11, v130, v146, -v11
	v_add_f32_e32 v9, v9, v11
	v_mul_f32_e32 v11, v133, v149
	s_delay_alu instid0(VALU_DEP_1) | instskip(NEXT) | instid1(VALU_DEP_1)
	v_fma_f32 v11, v132, v148, -v11
	;; [unrolled: 4-line block ×5, first 2 shown]
	v_add_f32_e32 v9, v9, v11
	v_mul_f32_e32 v11, v141, v157
	s_delay_alu instid0(VALU_DEP_1)
	v_fma_f32 v11, v140, v156, -v11
	ds_load_b128 v[126:129], v7 offset:928
	ds_load_b128 v[130:133], v7 offset:944
	;; [unrolled: 1-line block ×4, first 2 shown]
	v_add_f32_e32 v9, v9, v11
	v_mul_f32_e32 v11, v159, v163
	s_delay_alu instid0(VALU_DEP_1) | instskip(NEXT) | instid1(VALU_DEP_1)
	v_fma_f32 v11, v158, v162, -v11
	v_add_f32_e32 v9, v9, v11
	v_mul_f32_e32 v11, v161, v165
	s_wait_loadcnt_dscnt 0x303
	s_set_vgpr_msb 4                        ;  msbs: dst=0 src0=0 src1=1 src2=0
	v_pk_mul_f32 v[144:145], v[126:127], v[6:7] /*v[262:263]*/ op_sel:[1,1] op_sel_hi:[0,1]
	s_set_vgpr_msb 0                        ;  msbs: dst=0 src0=0 src1=0 src2=0
	v_fma_f32 v11, v160, v164, -v11
	s_set_vgpr_msb 4                        ;  msbs: dst=0 src0=0 src1=1 src2=0
	s_delay_alu instid0(VALU_DEP_2)
	v_pk_fma_f32 v[146:147], v[126:127], v[6:7] /*v[262:263]*/, v[144:145] neg_lo:[0,0,1] neg_hi:[0,0,1]
	v_pk_fma_f32 v[126:127], v[126:127], v[6:7] /*v[262:263]*/, v[144:145] op_sel_hi:[1,0,1]
	s_set_vgpr_msb 1                        ;  msbs: dst=0 src0=1 src1=0 src2=0
	v_mov_b32_e32 v144, v9 /*v265*/
	s_set_vgpr_msb 0                        ;  msbs: dst=0 src0=0 src1=0 src2=0
	v_add_f32_e32 v9, v9, v11
	v_mul_f32_e32 v11, v167, v171
	s_delay_alu instid0(VALU_DEP_1) | instskip(NEXT) | instid1(VALU_DEP_1)
	v_dual_mov_b32 v147, v127 :: v_dual_fma_f32 v11, v166, v170, -v11
	v_add_f32_e32 v9, v9, v11
	v_mul_f32_e32 v11, v169, v173
	s_delay_alu instid0(VALU_DEP_1) | instskip(NEXT) | instid1(VALU_DEP_1)
	v_fma_f32 v11, v168, v172, -v11
	v_add_f32_e32 v9, v9, v11
	v_mul_f32_e32 v11, v175, v179
	s_delay_alu instid0(VALU_DEP_1) | instskip(NEXT) | instid1(VALU_DEP_1)
	v_fma_f32 v11, v174, v178, -v11
	;; [unrolled: 4-line block ×20, first 2 shown]
	v_add_f32_e32 v9, v9, v11
	v_mul_f32_e32 v11, v249, v253
	s_delay_alu instid0(VALU_DEP_1) | instskip(SKIP_1) | instid1(VALU_DEP_1)
	v_fma_f32 v11, v248, v252, -v11
	s_set_vgpr_msb 64                       ;  msbs: dst=1 src0=0 src1=0 src2=0
	v_add_f32_e32 v22 /*v278*/, v9, v11
	s_set_vgpr_msb 4                        ;  msbs: dst=0 src0=0 src1=1 src2=0
	v_mul_f32_e32 v9, v255, v3 /*v259*/
	s_set_vgpr_msb 0x44                     ;  msbs: dst=1 src0=0 src1=1 src2=0
	s_delay_alu instid0(VALU_DEP_1) | instskip(NEXT) | instid1(VALU_DEP_1)
	v_dual_mul_f32 v25 /*v281*/, v254, v3 /*v259*/ :: v_dual_fma_f32 v24 /*v280*/, v254, v2 /*v258*/, -v9
	v_fmac_f32_e32 v25 /*v281*/, v255, v2 /*v258*/
	s_set_vgpr_msb 5                        ;  msbs: dst=0 src0=1 src1=1 src2=0
	v_mul_f32_e32 v9, v1 /*v257*/, v5 /*v261*/
	s_set_vgpr_msb 0x45                     ;  msbs: dst=1 src0=1 src1=1 src2=0
	v_mul_f32_e32 v27 /*v283*/, v0 /*v256*/, v5 /*v261*/
	s_set_vgpr_msb 5                        ;  msbs: dst=0 src0=1 src1=1 src2=0
	v_pk_add_f32 v[142:143], v[22:23] /*v[278:279]*/, v[24:25] /*v[280:281]*/
	s_set_vgpr_msb 0x45                     ;  msbs: dst=1 src0=1 src1=1 src2=0
	v_fma_f32 v26 /*v282*/, v0 /*v256*/, v4 /*v260*/, -v9
	v_fmac_f32_e32 v27 /*v283*/, v1 /*v257*/, v4 /*v260*/
	s_set_vgpr_msb 4                        ;  msbs: dst=0 src0=0 src1=1 src2=0
	s_delay_alu instid0(VALU_DEP_1) | instskip(SKIP_1) | instid1(VALU_DEP_1)
	v_pk_add_f32 v[142:143], v[142:143], v[26:27] /*v[282:283]*/
	s_set_vgpr_msb 0                        ;  msbs: dst=0 src0=0 src1=0 src2=0
	v_pk_add_f32 v[126:127], v[142:143], v[146:147]
	v_dual_mov_b32 v142, v129 :: v_dual_mov_b32 v143, v128
	s_delay_alu instid0(VALU_DEP_1) | instskip(SKIP_1) | instid1(VALU_DEP_1)
	v_pk_mul_f32 v[142:143], v[142:143], v[144:145] op_sel_hi:[1,0]
	s_set_vgpr_msb 4                        ;  msbs: dst=0 src0=0 src1=1 src2=0
	v_pk_fma_f32 v[144:145], v[128:129], v[8:9] /*v[264:265]*/, v[142:143] neg_lo:[0,0,1] neg_hi:[0,0,1]
	v_pk_fma_f32 v[128:129], v[128:129], v[8:9] /*v[264:265]*/, v[142:143] op_sel_hi:[1,0,1]
	s_delay_alu instid0(VALU_DEP_1) | instskip(SKIP_3) | instid1(VALU_DEP_2)
	v_mov_b32_e32 v145, v129
	s_wait_loadcnt_dscnt 0x202
	v_pk_mul_f32 v[128:129], v[130:131], v[10:11] /*v[266:267]*/ op_sel:[1,1] op_sel_hi:[0,1]
	s_set_vgpr_msb 0                        ;  msbs: dst=0 src0=0 src1=0 src2=0
	v_pk_add_f32 v[126:127], v[126:127], v[144:145]
	s_set_vgpr_msb 4                        ;  msbs: dst=0 src0=0 src1=1 src2=0
	s_delay_alu instid0(VALU_DEP_2)
	v_pk_fma_f32 v[142:143], v[130:131], v[10:11] /*v[266:267]*/, v[128:129] neg_lo:[0,0,1] neg_hi:[0,0,1]
	v_pk_fma_f32 v[128:129], v[130:131], v[10:11] /*v[266:267]*/, v[128:129] op_sel_hi:[1,0,1]
	v_mov_b32_e32 v128, v133
	s_set_vgpr_msb 1                        ;  msbs: dst=0 src0=1 src1=0 src2=0
	v_mov_b32_e32 v130, v13 /*v269*/
	s_set_vgpr_msb 0                        ;  msbs: dst=0 src0=0 src1=0 src2=0
	v_dual_mov_b32 v143, v129 :: v_dual_mov_b32 v129, v132
	s_delay_alu instid0(VALU_DEP_1) | instskip(NEXT) | instid1(VALU_DEP_2)
	v_pk_add_f32 v[126:127], v[126:127], v[142:143]
	v_pk_mul_f32 v[128:129], v[128:129], v[130:131] op_sel_hi:[1,0]
	s_set_vgpr_msb 4                        ;  msbs: dst=0 src0=0 src1=1 src2=0
	s_delay_alu instid0(VALU_DEP_1) | instskip(SKIP_1) | instid1(VALU_DEP_1)
	v_pk_fma_f32 v[130:131], v[132:133], v[12:13] /*v[268:269]*/, v[128:129] neg_lo:[0,0,1] neg_hi:[0,0,1]
	v_pk_fma_f32 v[128:129], v[132:133], v[12:13] /*v[268:269]*/, v[128:129] op_sel_hi:[1,0,1]
	v_mov_b32_e32 v131, v129
	s_wait_loadcnt_dscnt 0x101
	v_pk_mul_f32 v[128:129], v[134:135], v[14:15] /*v[270:271]*/ op_sel:[1,1] op_sel_hi:[0,1]
	s_set_vgpr_msb 0                        ;  msbs: dst=0 src0=0 src1=0 src2=0
	s_delay_alu instid0(VALU_DEP_2) | instskip(SKIP_1) | instid1(VALU_DEP_2)
	v_pk_add_f32 v[126:127], v[126:127], v[130:131]
	s_set_vgpr_msb 4                        ;  msbs: dst=0 src0=0 src1=1 src2=0
	v_pk_fma_f32 v[130:131], v[134:135], v[14:15] /*v[270:271]*/, v[128:129] neg_lo:[0,0,1] neg_hi:[0,0,1]
	v_pk_fma_f32 v[128:129], v[134:135], v[14:15] /*v[270:271]*/, v[128:129] op_sel_hi:[1,0,1]
	s_delay_alu instid0(VALU_DEP_1) | instskip(SKIP_2) | instid1(VALU_DEP_2)
	v_dual_mov_b32 v128, v137 :: v_dual_mov_b32 v131, v129
	v_mov_b32_e32 v129, v136
	s_set_vgpr_msb 0                        ;  msbs: dst=0 src0=0 src1=0 src2=0
	v_pk_add_f32 v[126:127], v[126:127], v[130:131]
	s_set_vgpr_msb 1                        ;  msbs: dst=0 src0=1 src1=0 src2=0
	v_mov_b32_e32 v130, v17 /*v273*/
	s_set_vgpr_msb 0                        ;  msbs: dst=0 src0=0 src1=0 src2=0
	s_delay_alu instid0(VALU_DEP_1) | instskip(SKIP_1) | instid1(VALU_DEP_1)
	v_pk_mul_f32 v[128:129], v[128:129], v[130:131] op_sel_hi:[1,0]
	s_set_vgpr_msb 4                        ;  msbs: dst=0 src0=0 src1=1 src2=0
	v_pk_fma_f32 v[130:131], v[136:137], v[16:17] /*v[272:273]*/, v[128:129] neg_lo:[0,0,1] neg_hi:[0,0,1]
	v_pk_fma_f32 v[128:129], v[136:137], v[16:17] /*v[272:273]*/, v[128:129] op_sel_hi:[1,0,1]
	s_delay_alu instid0(VALU_DEP_1) | instskip(SKIP_3) | instid1(VALU_DEP_2)
	v_mov_b32_e32 v131, v129
	s_wait_loadcnt_dscnt 0x0
	v_pk_mul_f32 v[128:129], v[138:139], v[18:19] /*v[274:275]*/ op_sel:[1,1] op_sel_hi:[0,1]
	s_set_vgpr_msb 0                        ;  msbs: dst=0 src0=0 src1=0 src2=0
	v_pk_add_f32 v[126:127], v[126:127], v[130:131]
	s_set_vgpr_msb 4                        ;  msbs: dst=0 src0=0 src1=1 src2=0
	s_delay_alu instid0(VALU_DEP_2) | instskip(SKIP_1) | instid1(VALU_DEP_1)
	v_pk_fma_f32 v[130:131], v[138:139], v[18:19] /*v[274:275]*/, v[128:129] neg_lo:[0,0,1] neg_hi:[0,0,1]
	v_pk_fma_f32 v[128:129], v[138:139], v[18:19] /*v[274:275]*/, v[128:129] op_sel_hi:[1,0,1]
	v_dual_mov_b32 v128, v141 :: v_dual_mov_b32 v131, v129
	v_mov_b32_e32 v129, v140
	s_set_vgpr_msb 0                        ;  msbs: dst=0 src0=0 src1=0 src2=0
	s_delay_alu instid0(VALU_DEP_2) | instskip(SKIP_3) | instid1(VALU_DEP_1)
	v_pk_add_f32 v[126:127], v[126:127], v[130:131]
	s_set_vgpr_msb 1                        ;  msbs: dst=0 src0=1 src1=0 src2=0
	v_mov_b32_e32 v130, v21 /*v277*/
	s_set_vgpr_msb 0                        ;  msbs: dst=0 src0=0 src1=0 src2=0
	v_pk_mul_f32 v[128:129], v[128:129], v[130:131] op_sel_hi:[1,0]
	s_set_vgpr_msb 4                        ;  msbs: dst=0 src0=0 src1=1 src2=0
	s_delay_alu instid0(VALU_DEP_1) | instskip(SKIP_1) | instid1(VALU_DEP_1)
	v_pk_fma_f32 v[130:131], v[140:141], v[20:21] /*v[276:277]*/, v[128:129] neg_lo:[0,0,1] neg_hi:[0,0,1]
	v_pk_fma_f32 v[128:129], v[140:141], v[20:21] /*v[276:277]*/, v[128:129] op_sel_hi:[1,0,1]
	v_mov_b32_e32 v131, v129
	scratch_load_b64 v[128:129], off, off offset:152
	s_set_vgpr_msb 0                        ;  msbs: dst=0 src0=0 src1=0 src2=0
	v_pk_add_f32 v[126:127], v[126:127], v[130:131]
	s_wait_loadcnt 0x0
	s_delay_alu instid0(VALU_DEP_1)
	v_pk_add_f32 v[126:127], v[128:129], v[126:127] neg_lo:[0,1] neg_hi:[0,1]
	scratch_store_b64 off, v[126:127], off offset:152
	s_wait_xcnt 0x0
	v_cmpx_lt_u32_e32 18, v0
	s_cbranch_execz .LBB61_349
; %bb.348:
	scratch_load_b64 v[126:127], off, off offset:144
	v_mov_b64_e32 v[128:129], 0
	scratch_store_b64 off, v[128:129], off offset:144
	s_wait_loadcnt 0x0
	ds_store_b64 v1, v[126:127]
.LBB61_349:
	s_wait_xcnt 0x0
	s_or_b32 exec_lo, exec_lo, s0
	s_wait_storecnt_dscnt 0x0
	s_barrier_signal -1
	s_barrier_wait -1
	s_clause 0xf
	scratch_load_b128 v[130:133], off, off offset:152
	scratch_load_b128 v[138:141], off, off offset:168
	;; [unrolled: 1-line block ×16, first 2 shown]
	v_mov_b32_e32 v7, 0
	s_set_vgpr_msb 64                       ;  msbs: dst=1 src0=0 src1=0 src2=0
	s_clause 0x1
	scratch_load_b128 v[2:5] /*v[258:261]*/, off, off offset:408
	scratch_load_b128 v[10:13] /*v[266:269]*/, off, off offset:424
	s_mov_b32 s0, exec_lo
	s_set_vgpr_msb 0                        ;  msbs: dst=0 src0=0 src1=0 src2=0
	ds_load_2addr_b64 v[126:129], v7 offset0:81 offset1:82
	ds_load_2addr_b64 v[134:137], v7 offset0:83 offset1:84
	s_wait_loadcnt_dscnt 0x1101
	v_dual_mul_f32 v9, v126, v131 :: v_dual_mul_f32 v11, v128, v133
	ds_load_2addr_b64 v[142:145], v7 offset0:85 offset1:86
	ds_load_2addr_b64 v[150:153], v7 offset0:87 offset1:88
	;; [unrolled: 1-line block ×4, first 2 shown]
	v_dual_fmac_f32 v9, v127, v130 :: v_dual_fmac_f32 v11, v129, v132
	ds_load_2addr_b64 v[174:177], v7 offset0:93 offset1:94
	ds_load_2addr_b64 v[182:185], v7 offset0:95 offset1:96
	;; [unrolled: 1-line block ×4, first 2 shown]
	v_add_f32_e32 v9, 0, v9
	ds_load_2addr_b64 v[206:209], v7 offset0:101 offset1:102
	ds_load_2addr_b64 v[214:217], v7 offset0:103 offset1:104
	;; [unrolled: 1-line block ×4, first 2 shown]
	v_add_f32_e32 v9, v9, v11
	s_wait_loadcnt_dscnt 0x100c
	v_mul_f32_e32 v11, v134, v139
	ds_load_2addr_b64 v[238:241], v7 offset0:109 offset1:110
	ds_load_2addr_b64 v[246:249], v7 offset0:111 offset1:112
	;; [unrolled: 1-line block ×3, first 2 shown]
	s_set_vgpr_msb 64                       ;  msbs: dst=1 src0=0 src1=0 src2=0
	ds_load_2addr_b64 v[6:9] /*v[262:265]*/, v7 offset0:115 offset1:116
	s_set_vgpr_msb 0                        ;  msbs: dst=0 src0=0 src1=0 src2=0
	v_fmac_f32_e32 v11, v135, v138
	s_set_vgpr_msb 64                       ;  msbs: dst=1 src0=0 src1=0 src2=0
	s_clause 0x3
	scratch_load_b128 v[14:17] /*v[270:273]*/, off, off offset:440
	scratch_load_b128 v[18:21] /*v[274:277]*/, off, off offset:456
	scratch_load_b128 v[22:25] /*v[278:281]*/, off, off offset:472
	scratch_load_b64 v[32:33] /*v[288:289]*/, off, off offset:488
	s_set_vgpr_msb 0                        ;  msbs: dst=0 src0=0 src1=0 src2=0
	v_dual_add_f32 v9, v9, v11 :: v_dual_mul_f32 v11, v136, v141
	s_delay_alu instid0(VALU_DEP_1) | instskip(NEXT) | instid1(VALU_DEP_1)
	v_fmac_f32_e32 v11, v137, v140
	v_add_f32_e32 v9, v9, v11
	s_wait_loadcnt_dscnt 0x130f
	v_mul_f32_e32 v11, v142, v147
	s_wait_loadcnt_dscnt 0x400
	s_set_vgpr_msb 0x45                     ;  msbs: dst=1 src0=1 src1=1 src2=0
	v_dual_mul_f32 v29 /*v285*/, v0 /*v256*/, v5 /*v261*/ :: v_dual_mul_f32 v31 /*v287*/, v6 /*v262*/, v11 /*v267*/
	s_set_vgpr_msb 0                        ;  msbs: dst=0 src0=0 src1=0 src2=0
	v_fmac_f32_e32 v11, v143, v146
	s_set_vgpr_msb 0x45                     ;  msbs: dst=1 src0=1 src1=1 src2=0
	s_delay_alu instid0(VALU_DEP_2) | instskip(SKIP_1) | instid1(VALU_DEP_2)
	v_dual_fmac_f32 v29 /*v285*/, v1 /*v257*/, v4 /*v260*/ :: v_dual_fmac_f32 v31 /*v287*/, v7 /*v263*/, v10 /*v266*/
	s_set_vgpr_msb 0                        ;  msbs: dst=0 src0=0 src1=0 src2=0
	v_dual_add_f32 v9, v9, v11 :: v_dual_mul_f32 v11, v144, v149
	s_delay_alu instid0(VALU_DEP_1) | instskip(NEXT) | instid1(VALU_DEP_1)
	v_fmac_f32_e32 v11, v145, v148
	v_add_f32_e32 v9, v9, v11
	v_mul_f32_e32 v11, v150, v155
	s_delay_alu instid0(VALU_DEP_1) | instskip(NEXT) | instid1(VALU_DEP_1)
	v_fmac_f32_e32 v11, v151, v154
	v_dual_add_f32 v9, v9, v11 :: v_dual_mul_f32 v11, v152, v157
	s_delay_alu instid0(VALU_DEP_1) | instskip(NEXT) | instid1(VALU_DEP_1)
	v_fmac_f32_e32 v11, v153, v156
	v_add_f32_e32 v9, v9, v11
	v_mul_f32_e32 v11, v158, v163
	s_delay_alu instid0(VALU_DEP_1) | instskip(NEXT) | instid1(VALU_DEP_1)
	v_fmac_f32_e32 v11, v159, v162
	;; [unrolled: 7-line block ×13, first 2 shown]
	v_dual_add_f32 v9, v9, v11 :: v_dual_mul_f32 v11, v248, v253
	s_delay_alu instid0(VALU_DEP_1) | instskip(NEXT) | instid1(VALU_DEP_1)
	v_fmac_f32_e32 v11, v249, v252
	v_add_f32_e32 v9, v9, v11
	s_set_vgpr_msb 4                        ;  msbs: dst=0 src0=0 src1=1 src2=0
	v_mul_f32_e32 v11, v254, v3 /*v259*/
	s_delay_alu instid0(VALU_DEP_1) | instskip(SKIP_1) | instid1(VALU_DEP_1)
	v_fmac_f32_e32 v11, v255, v2 /*v258*/
	s_set_vgpr_msb 64                       ;  msbs: dst=1 src0=0 src1=0 src2=0
	v_add_f32_e32 v27 /*v283*/, v9, v11
	s_set_vgpr_msb 0                        ;  msbs: dst=0 src0=0 src1=0 src2=0
	v_dual_mul_f32 v9, v127, v131 :: v_dual_mul_f32 v11, v129, v133
	s_delay_alu instid0(VALU_DEP_1) | instskip(NEXT) | instid1(VALU_DEP_1)
	v_dual_fma_f32 v9, v126, v130, -v9 :: v_dual_fma_f32 v11, v128, v132, -v11
	v_add_f32_e32 v9, 0, v9
	s_delay_alu instid0(VALU_DEP_1) | instskip(SKIP_1) | instid1(VALU_DEP_1)
	v_add_f32_e32 v9, v9, v11
	v_mul_f32_e32 v11, v135, v139
	v_fma_f32 v11, v134, v138, -v11
	s_delay_alu instid0(VALU_DEP_1) | instskip(SKIP_1) | instid1(VALU_DEP_1)
	v_add_f32_e32 v9, v9, v11
	v_mul_f32_e32 v11, v137, v141
	v_fma_f32 v11, v136, v140, -v11
	ds_load_2addr_b64 v[126:129], v7 offset0:117 offset1:118
	ds_load_2addr_b64 v[130:133], v7 offset0:119 offset1:120
	;; [unrolled: 1-line block ×3, first 2 shown]
	ds_load_b64 v[138:139], v7 offset:984
	v_add_f32_e32 v9, v9, v11
	v_mul_f32_e32 v11, v143, v147
	s_set_vgpr_msb 1                        ;  msbs: dst=0 src0=1 src1=0 src2=0
	v_mov_b32_e32 v143, v8 /*v264*/
	s_set_vgpr_msb 0                        ;  msbs: dst=0 src0=0 src1=0 src2=0
	s_delay_alu instid0(VALU_DEP_2) | instskip(SKIP_3) | instid1(VALU_DEP_2)
	v_fma_f32 v11, v142, v146, -v11
	s_set_vgpr_msb 1                        ;  msbs: dst=0 src0=1 src1=0 src2=0
	v_mov_b32_e32 v142, v9 /*v265*/
	s_set_vgpr_msb 0                        ;  msbs: dst=0 src0=0 src1=0 src2=0
	v_add_f32_e32 v9, v9, v11
	v_mul_f32_e32 v11, v145, v149
	s_delay_alu instid0(VALU_DEP_1) | instskip(SKIP_3) | instid1(VALU_DEP_2)
	v_fma_f32 v11, v144, v148, -v11
	s_set_vgpr_msb 1                        ;  msbs: dst=0 src0=1 src1=0 src2=0
	v_mov_b32_e32 v144, v13 /*v269*/
	s_set_vgpr_msb 0                        ;  msbs: dst=0 src0=0 src1=0 src2=0
	v_add_f32_e32 v9, v9, v11
	v_mul_f32_e32 v11, v151, v155
	s_delay_alu instid0(VALU_DEP_3) | instskip(NEXT) | instid1(VALU_DEP_2)
	v_pk_mul_f32 v[142:143], v[142:143], v[144:145] op_sel_hi:[1,0]
	v_fma_f32 v11, v150, v154, -v11
	s_set_vgpr_msb 5                        ;  msbs: dst=0 src0=1 src1=1 src2=0
	s_delay_alu instid0(VALU_DEP_2) | instskip(SKIP_3) | instid1(VALU_DEP_2)
	v_pk_fma_f32 v[144:145], v[8:9] /*v[264:265]*/, v[12:13] /*v[268:269]*/, v[142:143] neg_lo:[0,0,1] neg_hi:[0,0,1]
	v_pk_fma_f32 v[142:143], v[8:9] /*v[264:265]*/, v[12:13] /*v[268:269]*/, v[142:143] op_sel_hi:[1,0,1]
	s_set_vgpr_msb 0                        ;  msbs: dst=0 src0=0 src1=0 src2=0
	v_add_f32_e32 v9, v9, v11
	v_dual_mul_f32 v11, v153, v157 :: v_dual_mov_b32 v145, v143
	s_wait_loadcnt_dscnt 0x303
	s_set_vgpr_msb 4                        ;  msbs: dst=0 src0=0 src1=1 src2=0
	v_pk_mul_f32 v[142:143], v[126:127], v[14:15] /*v[270:271]*/ op_sel:[1,1] op_sel_hi:[0,1]
	s_set_vgpr_msb 0                        ;  msbs: dst=0 src0=0 src1=0 src2=0
	v_fma_f32 v11, v152, v156, -v11
	s_delay_alu instid0(VALU_DEP_1) | instskip(SKIP_1) | instid1(VALU_DEP_1)
	v_add_f32_e32 v9, v9, v11
	v_mul_f32_e32 v11, v159, v163
	v_fma_f32 v11, v158, v162, -v11
	s_delay_alu instid0(VALU_DEP_1) | instskip(SKIP_1) | instid1(VALU_DEP_1)
	v_add_f32_e32 v9, v9, v11
	v_mul_f32_e32 v11, v161, v165
	;; [unrolled: 4-line block ×24, first 2 shown]
	v_fma_f32 v11, v248, v252, -v11
	s_delay_alu instid0(VALU_DEP_1) | instskip(SKIP_2) | instid1(VALU_DEP_1)
	v_add_f32_e32 v9, v9, v11
	s_set_vgpr_msb 4                        ;  msbs: dst=0 src0=0 src1=1 src2=0
	v_mul_f32_e32 v11, v255, v3 /*v259*/
	v_fma_f32 v11, v254, v2 /*v258*/, -v11
	s_set_vgpr_msb 64                       ;  msbs: dst=1 src0=0 src1=0 src2=0
	s_delay_alu instid0(VALU_DEP_1) | instskip(SKIP_3) | instid1(VALU_DEP_1)
	v_add_f32_e32 v26 /*v282*/, v9, v11
	s_set_vgpr_msb 5                        ;  msbs: dst=0 src0=1 src1=1 src2=0
	v_mul_f32_e32 v9, v1 /*v257*/, v5 /*v261*/
	s_set_vgpr_msb 0x45                     ;  msbs: dst=1 src0=1 src1=1 src2=0
	v_fma_f32 v28 /*v284*/, v0 /*v256*/, v4 /*v260*/, -v9
	s_set_vgpr_msb 5                        ;  msbs: dst=0 src0=1 src1=1 src2=0
	v_mul_f32_e32 v9, v7 /*v263*/, v11 /*v267*/
	s_set_vgpr_msb 0x45                     ;  msbs: dst=1 src0=1 src1=1 src2=0
	s_delay_alu instid0(VALU_DEP_1) | instskip(SKIP_3) | instid1(VALU_DEP_1)
	v_fma_f32 v30 /*v286*/, v6 /*v262*/, v10 /*v266*/, -v9
	s_set_vgpr_msb 5                        ;  msbs: dst=0 src0=1 src1=1 src2=0
	v_pk_add_f32 v[140:141], v[26:27] /*v[282:283]*/, v[28:29] /*v[284:285]*/
	s_set_vgpr_msb 4                        ;  msbs: dst=0 src0=0 src1=1 src2=0
	v_pk_add_f32 v[140:141], v[140:141], v[30:31] /*v[286:287]*/
	s_set_vgpr_msb 0                        ;  msbs: dst=0 src0=0 src1=0 src2=0
	s_delay_alu instid0(VALU_DEP_1)
	v_pk_add_f32 v[140:141], v[140:141], v[144:145]
	s_set_vgpr_msb 4                        ;  msbs: dst=0 src0=0 src1=1 src2=0
	v_pk_fma_f32 v[144:145], v[126:127], v[14:15] /*v[270:271]*/, v[142:143] neg_lo:[0,0,1] neg_hi:[0,0,1]
	v_pk_fma_f32 v[126:127], v[126:127], v[14:15] /*v[270:271]*/, v[142:143] op_sel_hi:[1,0,1]
	s_set_vgpr_msb 1                        ;  msbs: dst=0 src0=1 src1=0 src2=0
	v_mov_b32_e32 v142, v17 /*v273*/
	s_set_vgpr_msb 0                        ;  msbs: dst=0 src0=0 src1=0 src2=0
	s_delay_alu instid0(VALU_DEP_2) | instskip(NEXT) | instid1(VALU_DEP_1)
	v_mov_b32_e32 v145, v127
	v_pk_add_f32 v[126:127], v[140:141], v[144:145]
	v_dual_mov_b32 v140, v129 :: v_dual_mov_b32 v141, v128
	s_delay_alu instid0(VALU_DEP_1) | instskip(SKIP_1) | instid1(VALU_DEP_1)
	v_pk_mul_f32 v[140:141], v[140:141], v[142:143] op_sel_hi:[1,0]
	s_set_vgpr_msb 4                        ;  msbs: dst=0 src0=0 src1=1 src2=0
	v_pk_fma_f32 v[142:143], v[128:129], v[16:17] /*v[272:273]*/, v[140:141] neg_lo:[0,0,1] neg_hi:[0,0,1]
	v_pk_fma_f32 v[128:129], v[128:129], v[16:17] /*v[272:273]*/, v[140:141] op_sel_hi:[1,0,1]
	s_delay_alu instid0(VALU_DEP_1) | instskip(SKIP_3) | instid1(VALU_DEP_2)
	v_mov_b32_e32 v143, v129
	s_wait_loadcnt_dscnt 0x202
	v_pk_mul_f32 v[128:129], v[130:131], v[18:19] /*v[274:275]*/ op_sel:[1,1] op_sel_hi:[0,1]
	s_set_vgpr_msb 0                        ;  msbs: dst=0 src0=0 src1=0 src2=0
	v_pk_add_f32 v[126:127], v[126:127], v[142:143]
	s_set_vgpr_msb 4                        ;  msbs: dst=0 src0=0 src1=1 src2=0
	s_delay_alu instid0(VALU_DEP_2)
	v_pk_fma_f32 v[140:141], v[130:131], v[18:19] /*v[274:275]*/, v[128:129] neg_lo:[0,0,1] neg_hi:[0,0,1]
	v_pk_fma_f32 v[128:129], v[130:131], v[18:19] /*v[274:275]*/, v[128:129] op_sel_hi:[1,0,1]
	v_mov_b32_e32 v128, v133
	s_set_vgpr_msb 1                        ;  msbs: dst=0 src0=1 src1=0 src2=0
	v_mov_b32_e32 v130, v21 /*v277*/
	s_set_vgpr_msb 0                        ;  msbs: dst=0 src0=0 src1=0 src2=0
	v_dual_mov_b32 v141, v129 :: v_dual_mov_b32 v129, v132
	s_delay_alu instid0(VALU_DEP_1) | instskip(NEXT) | instid1(VALU_DEP_2)
	v_pk_add_f32 v[126:127], v[126:127], v[140:141]
	v_pk_mul_f32 v[128:129], v[128:129], v[130:131] op_sel_hi:[1,0]
	s_set_vgpr_msb 4                        ;  msbs: dst=0 src0=0 src1=1 src2=0
	s_delay_alu instid0(VALU_DEP_1) | instskip(SKIP_1) | instid1(VALU_DEP_1)
	v_pk_fma_f32 v[130:131], v[132:133], v[20:21] /*v[276:277]*/, v[128:129] neg_lo:[0,0,1] neg_hi:[0,0,1]
	v_pk_fma_f32 v[128:129], v[132:133], v[20:21] /*v[276:277]*/, v[128:129] op_sel_hi:[1,0,1]
	v_mov_b32_e32 v131, v129
	s_wait_loadcnt_dscnt 0x101
	v_pk_mul_f32 v[128:129], v[134:135], v[22:23] /*v[278:279]*/ op_sel:[1,1] op_sel_hi:[0,1]
	s_set_vgpr_msb 0                        ;  msbs: dst=0 src0=0 src1=0 src2=0
	s_delay_alu instid0(VALU_DEP_2) | instskip(SKIP_1) | instid1(VALU_DEP_2)
	v_pk_add_f32 v[126:127], v[126:127], v[130:131]
	s_set_vgpr_msb 4                        ;  msbs: dst=0 src0=0 src1=1 src2=0
	v_pk_fma_f32 v[130:131], v[134:135], v[22:23] /*v[278:279]*/, v[128:129] neg_lo:[0,0,1] neg_hi:[0,0,1]
	v_pk_fma_f32 v[128:129], v[134:135], v[22:23] /*v[278:279]*/, v[128:129] op_sel_hi:[1,0,1]
	s_delay_alu instid0(VALU_DEP_1) | instskip(SKIP_2) | instid1(VALU_DEP_2)
	v_dual_mov_b32 v128, v137 :: v_dual_mov_b32 v131, v129
	v_mov_b32_e32 v129, v136
	s_set_vgpr_msb 0                        ;  msbs: dst=0 src0=0 src1=0 src2=0
	v_pk_add_f32 v[126:127], v[126:127], v[130:131]
	s_set_vgpr_msb 1                        ;  msbs: dst=0 src0=1 src1=0 src2=0
	v_mov_b32_e32 v130, v25 /*v281*/
	s_set_vgpr_msb 0                        ;  msbs: dst=0 src0=0 src1=0 src2=0
	s_delay_alu instid0(VALU_DEP_1) | instskip(SKIP_1) | instid1(VALU_DEP_1)
	v_pk_mul_f32 v[128:129], v[128:129], v[130:131] op_sel_hi:[1,0]
	s_set_vgpr_msb 4                        ;  msbs: dst=0 src0=0 src1=1 src2=0
	v_pk_fma_f32 v[130:131], v[136:137], v[24:25] /*v[280:281]*/, v[128:129] neg_lo:[0,0,1] neg_hi:[0,0,1]
	v_pk_fma_f32 v[128:129], v[136:137], v[24:25] /*v[280:281]*/, v[128:129] op_sel_hi:[1,0,1]
	s_delay_alu instid0(VALU_DEP_1) | instskip(SKIP_3) | instid1(VALU_DEP_2)
	v_mov_b32_e32 v131, v129
	s_wait_loadcnt_dscnt 0x0
	v_pk_mul_f32 v[128:129], v[138:139], v[32:33] /*v[288:289]*/ op_sel:[1,1] op_sel_hi:[0,1]
	s_set_vgpr_msb 0                        ;  msbs: dst=0 src0=0 src1=0 src2=0
	v_pk_add_f32 v[126:127], v[126:127], v[130:131]
	s_set_vgpr_msb 4                        ;  msbs: dst=0 src0=0 src1=1 src2=0
	s_delay_alu instid0(VALU_DEP_2) | instskip(SKIP_1) | instid1(VALU_DEP_1)
	v_pk_fma_f32 v[130:131], v[138:139], v[32:33] /*v[288:289]*/, v[128:129] neg_lo:[0,0,1] neg_hi:[0,0,1]
	v_pk_fma_f32 v[128:129], v[138:139], v[32:33] /*v[288:289]*/, v[128:129] op_sel_hi:[1,0,1]
	v_mov_b32_e32 v131, v129
	scratch_load_b64 v[128:129], off, off offset:144
	s_set_vgpr_msb 0                        ;  msbs: dst=0 src0=0 src1=0 src2=0
	v_pk_add_f32 v[126:127], v[126:127], v[130:131]
	s_wait_loadcnt 0x0
	s_delay_alu instid0(VALU_DEP_1)
	v_pk_add_f32 v[126:127], v[128:129], v[126:127] neg_lo:[0,1] neg_hi:[0,1]
	scratch_store_b64 off, v[126:127], off offset:144
	s_wait_xcnt 0x0
	v_cmpx_lt_u32_e32 17, v0
	s_cbranch_execz .LBB61_351
; %bb.350:
	scratch_load_b64 v[126:127], off, off offset:136
	v_mov_b64_e32 v[128:129], 0
	scratch_store_b64 off, v[128:129], off offset:136
	s_wait_loadcnt 0x0
	ds_store_b64 v1, v[126:127]
.LBB61_351:
	s_wait_xcnt 0x0
	s_or_b32 exec_lo, exec_lo, s0
	s_wait_storecnt_dscnt 0x0
	s_barrier_signal -1
	s_barrier_wait -1
	ds_load_b128 v[126:129], v7 offset:640
	ds_load_b128 v[130:133], v7 offset:656
	;; [unrolled: 1-line block ×4, first 2 shown]
	s_clause 0x12
	scratch_load_b128 v[142:145], off, off offset:144
	scratch_load_b128 v[146:149], off, off offset:160
	;; [unrolled: 1-line block ×16, first 2 shown]
	s_set_vgpr_msb 64                       ;  msbs: dst=1 src0=0 src1=0 src2=0
	scratch_load_b128 v[2:5] /*v[258:261]*/, off, off offset:400
	scratch_load_b128 v[10:13] /*v[266:269]*/, off, off offset:416
	s_set_vgpr_msb 0                        ;  msbs: dst=0 src0=0 src1=0 src2=0
	ds_load_b128 v[158:161], v7 offset:704
	ds_load_b128 v[166:169], v7 offset:720
	ds_load_b128 v[174:177], v7 offset:736
	ds_load_b128 v[182:185], v7 offset:752
	ds_load_b128 v[190:193], v7 offset:768
	ds_load_b128 v[198:201], v7 offset:784
	ds_load_b128 v[206:209], v7 offset:800
	ds_load_b128 v[214:217], v7 offset:816
	ds_load_b128 v[222:225], v7 offset:832
	ds_load_b128 v[230:233], v7 offset:848
	ds_load_b128 v[238:241], v7 offset:864
	ds_load_b128 v[246:249], v7 offset:880
	ds_load_b128 v[254:257], v7 offset:896
	s_set_vgpr_msb 64                       ;  msbs: dst=1 src0=0 src1=0 src2=0
	ds_load_b128 v[6:9] /*v[262:265]*/, v7 offset:912
	s_clause 0x3
	scratch_load_b128 v[14:17] /*v[270:273]*/, off, off offset:432
	scratch_load_b128 v[18:21] /*v[274:277]*/, off, off offset:448
	;; [unrolled: 1-line block ×4, first 2 shown]
	s_mov_b32 s0, exec_lo
	s_wait_loadcnt_dscnt 0x1511
	s_set_vgpr_msb 0                        ;  msbs: dst=0 src0=0 src1=0 src2=0
	v_dual_mul_f32 v9, v126, v143 :: v_dual_mul_f32 v11, v128, v145
	s_delay_alu instid0(VALU_DEP_1) | instskip(NEXT) | instid1(VALU_DEP_1)
	v_dual_fmac_f32 v9, v127, v142 :: v_dual_fmac_f32 v11, v129, v144
	v_add_f32_e32 v9, 0, v9
	s_delay_alu instid0(VALU_DEP_1)
	v_add_f32_e32 v9, v9, v11
	s_wait_loadcnt_dscnt 0x1410
	v_mul_f32_e32 v11, v130, v147
	s_wait_loadcnt_dscnt 0x400
	s_set_vgpr_msb 0x45                     ;  msbs: dst=1 src0=1 src1=1 src2=0
	v_dual_mul_f32 v33 /*v289*/, v6 /*v262*/, v11 /*v267*/ :: v_dual_mul_f32 v35 /*v291*/, v8 /*v264*/, v13 /*v269*/
	s_set_vgpr_msb 0                        ;  msbs: dst=0 src0=0 src1=0 src2=0
	v_fmac_f32_e32 v11, v131, v146
	s_set_vgpr_msb 0x45                     ;  msbs: dst=1 src0=1 src1=1 src2=0
	s_delay_alu instid0(VALU_DEP_2) | instskip(SKIP_1) | instid1(VALU_DEP_2)
	v_dual_fmac_f32 v33 /*v289*/, v7 /*v263*/, v10 /*v266*/ :: v_dual_fmac_f32 v35 /*v291*/, v9 /*v265*/, v12 /*v268*/
	s_set_vgpr_msb 0                        ;  msbs: dst=0 src0=0 src1=0 src2=0
	v_dual_add_f32 v9, v9, v11 :: v_dual_mul_f32 v11, v132, v149
	s_delay_alu instid0(VALU_DEP_1) | instskip(NEXT) | instid1(VALU_DEP_1)
	v_fmac_f32_e32 v11, v133, v148
	v_add_f32_e32 v9, v9, v11
	v_mul_f32_e32 v11, v134, v151
	s_delay_alu instid0(VALU_DEP_1) | instskip(NEXT) | instid1(VALU_DEP_1)
	v_fmac_f32_e32 v11, v135, v150
	v_dual_add_f32 v9, v9, v11 :: v_dual_mul_f32 v11, v136, v153
	s_delay_alu instid0(VALU_DEP_1) | instskip(NEXT) | instid1(VALU_DEP_1)
	v_fmac_f32_e32 v11, v137, v152
	v_add_f32_e32 v9, v9, v11
	v_mul_f32_e32 v11, v138, v155
	s_delay_alu instid0(VALU_DEP_1) | instskip(NEXT) | instid1(VALU_DEP_1)
	v_fmac_f32_e32 v11, v139, v154
	;; [unrolled: 7-line block ×14, first 2 shown]
	v_dual_add_f32 v9, v9, v11 :: v_dual_mul_f32 v11, v248, v253
	s_delay_alu instid0(VALU_DEP_1) | instskip(NEXT) | instid1(VALU_DEP_1)
	v_fmac_f32_e32 v11, v249, v252
	v_add_f32_e32 v9, v9, v11
	s_set_vgpr_msb 4                        ;  msbs: dst=0 src0=0 src1=1 src2=0
	v_mul_f32_e32 v11, v254, v3 /*v259*/
	s_delay_alu instid0(VALU_DEP_1) | instskip(SKIP_1) | instid1(VALU_DEP_1)
	v_fmac_f32_e32 v11, v255, v2 /*v258*/
	s_set_vgpr_msb 0                        ;  msbs: dst=0 src0=0 src1=0 src2=0
	v_add_f32_e32 v9, v9, v11
	s_set_vgpr_msb 5                        ;  msbs: dst=0 src0=1 src1=1 src2=0
	v_mul_f32_e32 v11, v0 /*v256*/, v5 /*v261*/
	s_delay_alu instid0(VALU_DEP_1) | instskip(SKIP_1) | instid1(VALU_DEP_1)
	v_fmac_f32_e32 v11, v1 /*v257*/, v4 /*v260*/
	s_set_vgpr_msb 64                       ;  msbs: dst=1 src0=0 src1=0 src2=0
	v_add_f32_e32 v31 /*v287*/, v9, v11
	s_set_vgpr_msb 0                        ;  msbs: dst=0 src0=0 src1=0 src2=0
	v_dual_mul_f32 v9, v127, v143 :: v_dual_mul_f32 v11, v129, v145
	s_delay_alu instid0(VALU_DEP_1) | instskip(NEXT) | instid1(VALU_DEP_1)
	v_dual_fma_f32 v9, v126, v142, -v9 :: v_dual_fma_f32 v11, v128, v144, -v11
	v_add_f32_e32 v9, 0, v9
	s_delay_alu instid0(VALU_DEP_1) | instskip(SKIP_1) | instid1(VALU_DEP_1)
	v_add_f32_e32 v9, v9, v11
	v_mul_f32_e32 v11, v131, v147
	v_fma_f32 v11, v130, v146, -v11
	s_delay_alu instid0(VALU_DEP_1) | instskip(SKIP_1) | instid1(VALU_DEP_1)
	v_add_f32_e32 v9, v9, v11
	v_mul_f32_e32 v11, v133, v149
	v_fma_f32 v11, v132, v148, -v11
	;; [unrolled: 4-line block ×6, first 2 shown]
	ds_load_b128 v[126:129], v7 offset:928
	ds_load_b128 v[130:133], v7 offset:944
	;; [unrolled: 1-line block ×4, first 2 shown]
	v_add_f32_e32 v9, v9, v11
	v_mul_f32_e32 v11, v159, v163
	s_delay_alu instid0(VALU_DEP_1) | instskip(NEXT) | instid1(VALU_DEP_1)
	v_fma_f32 v11, v158, v162, -v11
	v_add_f32_e32 v9, v9, v11
	v_mul_f32_e32 v11, v161, v165
	s_wait_loadcnt_dscnt 0x303
	s_set_vgpr_msb 4                        ;  msbs: dst=0 src0=0 src1=1 src2=0
	v_pk_mul_f32 v[144:145], v[126:127], v[14:15] /*v[270:271]*/ op_sel:[1,1] op_sel_hi:[0,1]
	s_set_vgpr_msb 0                        ;  msbs: dst=0 src0=0 src1=0 src2=0
	v_fma_f32 v11, v160, v164, -v11
	s_set_vgpr_msb 4                        ;  msbs: dst=0 src0=0 src1=1 src2=0
	s_delay_alu instid0(VALU_DEP_2)
	v_pk_fma_f32 v[146:147], v[126:127], v[14:15] /*v[270:271]*/, v[144:145] neg_lo:[0,0,1] neg_hi:[0,0,1]
	v_pk_fma_f32 v[126:127], v[126:127], v[14:15] /*v[270:271]*/, v[144:145] op_sel_hi:[1,0,1]
	s_set_vgpr_msb 1                        ;  msbs: dst=0 src0=1 src1=0 src2=0
	v_mov_b32_e32 v144, v17 /*v273*/
	s_set_vgpr_msb 0                        ;  msbs: dst=0 src0=0 src1=0 src2=0
	v_add_f32_e32 v9, v9, v11
	v_mul_f32_e32 v11, v167, v171
	s_delay_alu instid0(VALU_DEP_1) | instskip(NEXT) | instid1(VALU_DEP_1)
	v_dual_mov_b32 v147, v127 :: v_dual_fma_f32 v11, v166, v170, -v11
	v_add_f32_e32 v9, v9, v11
	v_mul_f32_e32 v11, v169, v173
	s_delay_alu instid0(VALU_DEP_1) | instskip(NEXT) | instid1(VALU_DEP_1)
	v_fma_f32 v11, v168, v172, -v11
	v_add_f32_e32 v9, v9, v11
	v_mul_f32_e32 v11, v175, v179
	s_delay_alu instid0(VALU_DEP_1) | instskip(NEXT) | instid1(VALU_DEP_1)
	v_fma_f32 v11, v174, v178, -v11
	;; [unrolled: 4-line block ×21, first 2 shown]
	v_add_f32_e32 v9, v9, v11
	s_set_vgpr_msb 4                        ;  msbs: dst=0 src0=0 src1=1 src2=0
	v_mul_f32_e32 v11, v255, v3 /*v259*/
	s_delay_alu instid0(VALU_DEP_1) | instskip(SKIP_1) | instid1(VALU_DEP_1)
	v_fma_f32 v11, v254, v2 /*v258*/, -v11
	s_set_vgpr_msb 0                        ;  msbs: dst=0 src0=0 src1=0 src2=0
	v_add_f32_e32 v9, v9, v11
	s_set_vgpr_msb 5                        ;  msbs: dst=0 src0=1 src1=1 src2=0
	v_mul_f32_e32 v11, v1 /*v257*/, v5 /*v261*/
	s_delay_alu instid0(VALU_DEP_1) | instskip(SKIP_1) | instid1(VALU_DEP_1)
	v_fma_f32 v11, v0 /*v256*/, v4 /*v260*/, -v11
	s_set_vgpr_msb 64                       ;  msbs: dst=1 src0=0 src1=0 src2=0
	v_add_f32_e32 v30 /*v286*/, v9, v11
	s_set_vgpr_msb 5                        ;  msbs: dst=0 src0=1 src1=1 src2=0
	v_mul_f32_e32 v9, v7 /*v263*/, v11 /*v267*/
	s_set_vgpr_msb 0x45                     ;  msbs: dst=1 src0=1 src1=1 src2=0
	s_delay_alu instid0(VALU_DEP_1) | instskip(SKIP_3) | instid1(VALU_DEP_1)
	v_fma_f32 v32 /*v288*/, v6 /*v262*/, v10 /*v266*/, -v9
	s_set_vgpr_msb 5                        ;  msbs: dst=0 src0=1 src1=1 src2=0
	v_mul_f32_e32 v9, v9 /*v265*/, v13 /*v269*/
	s_set_vgpr_msb 0x45                     ;  msbs: dst=1 src0=1 src1=1 src2=0
	v_fma_f32 v34 /*v290*/, v8 /*v264*/, v12 /*v268*/, -v9
	s_set_vgpr_msb 5                        ;  msbs: dst=0 src0=1 src1=1 src2=0
	v_pk_add_f32 v[142:143], v[30:31] /*v[286:287]*/, v[32:33] /*v[288:289]*/
	s_set_vgpr_msb 4                        ;  msbs: dst=0 src0=0 src1=1 src2=0
	s_delay_alu instid0(VALU_DEP_1) | instskip(SKIP_1) | instid1(VALU_DEP_1)
	v_pk_add_f32 v[142:143], v[142:143], v[34:35] /*v[290:291]*/
	s_set_vgpr_msb 0                        ;  msbs: dst=0 src0=0 src1=0 src2=0
	v_pk_add_f32 v[126:127], v[142:143], v[146:147]
	v_dual_mov_b32 v142, v129 :: v_dual_mov_b32 v143, v128
	s_delay_alu instid0(VALU_DEP_1) | instskip(SKIP_1) | instid1(VALU_DEP_1)
	v_pk_mul_f32 v[142:143], v[142:143], v[144:145] op_sel_hi:[1,0]
	s_set_vgpr_msb 4                        ;  msbs: dst=0 src0=0 src1=1 src2=0
	v_pk_fma_f32 v[144:145], v[128:129], v[16:17] /*v[272:273]*/, v[142:143] neg_lo:[0,0,1] neg_hi:[0,0,1]
	v_pk_fma_f32 v[128:129], v[128:129], v[16:17] /*v[272:273]*/, v[142:143] op_sel_hi:[1,0,1]
	s_delay_alu instid0(VALU_DEP_1) | instskip(SKIP_3) | instid1(VALU_DEP_2)
	v_mov_b32_e32 v145, v129
	s_wait_loadcnt_dscnt 0x202
	v_pk_mul_f32 v[128:129], v[130:131], v[18:19] /*v[274:275]*/ op_sel:[1,1] op_sel_hi:[0,1]
	s_set_vgpr_msb 0                        ;  msbs: dst=0 src0=0 src1=0 src2=0
	v_pk_add_f32 v[126:127], v[126:127], v[144:145]
	s_set_vgpr_msb 4                        ;  msbs: dst=0 src0=0 src1=1 src2=0
	s_delay_alu instid0(VALU_DEP_2)
	v_pk_fma_f32 v[142:143], v[130:131], v[18:19] /*v[274:275]*/, v[128:129] neg_lo:[0,0,1] neg_hi:[0,0,1]
	v_pk_fma_f32 v[128:129], v[130:131], v[18:19] /*v[274:275]*/, v[128:129] op_sel_hi:[1,0,1]
	v_mov_b32_e32 v128, v133
	s_set_vgpr_msb 1                        ;  msbs: dst=0 src0=1 src1=0 src2=0
	v_mov_b32_e32 v130, v21 /*v277*/
	s_set_vgpr_msb 0                        ;  msbs: dst=0 src0=0 src1=0 src2=0
	v_dual_mov_b32 v143, v129 :: v_dual_mov_b32 v129, v132
	s_delay_alu instid0(VALU_DEP_1) | instskip(NEXT) | instid1(VALU_DEP_2)
	v_pk_add_f32 v[126:127], v[126:127], v[142:143]
	v_pk_mul_f32 v[128:129], v[128:129], v[130:131] op_sel_hi:[1,0]
	s_set_vgpr_msb 4                        ;  msbs: dst=0 src0=0 src1=1 src2=0
	s_delay_alu instid0(VALU_DEP_1) | instskip(SKIP_1) | instid1(VALU_DEP_1)
	v_pk_fma_f32 v[130:131], v[132:133], v[20:21] /*v[276:277]*/, v[128:129] neg_lo:[0,0,1] neg_hi:[0,0,1]
	v_pk_fma_f32 v[128:129], v[132:133], v[20:21] /*v[276:277]*/, v[128:129] op_sel_hi:[1,0,1]
	v_mov_b32_e32 v131, v129
	s_wait_loadcnt_dscnt 0x101
	v_pk_mul_f32 v[128:129], v[134:135], v[22:23] /*v[278:279]*/ op_sel:[1,1] op_sel_hi:[0,1]
	s_set_vgpr_msb 0                        ;  msbs: dst=0 src0=0 src1=0 src2=0
	s_delay_alu instid0(VALU_DEP_2) | instskip(SKIP_1) | instid1(VALU_DEP_2)
	v_pk_add_f32 v[126:127], v[126:127], v[130:131]
	s_set_vgpr_msb 4                        ;  msbs: dst=0 src0=0 src1=1 src2=0
	v_pk_fma_f32 v[130:131], v[134:135], v[22:23] /*v[278:279]*/, v[128:129] neg_lo:[0,0,1] neg_hi:[0,0,1]
	v_pk_fma_f32 v[128:129], v[134:135], v[22:23] /*v[278:279]*/, v[128:129] op_sel_hi:[1,0,1]
	s_delay_alu instid0(VALU_DEP_1) | instskip(SKIP_2) | instid1(VALU_DEP_2)
	v_dual_mov_b32 v128, v137 :: v_dual_mov_b32 v131, v129
	v_mov_b32_e32 v129, v136
	s_set_vgpr_msb 0                        ;  msbs: dst=0 src0=0 src1=0 src2=0
	v_pk_add_f32 v[126:127], v[126:127], v[130:131]
	s_set_vgpr_msb 1                        ;  msbs: dst=0 src0=1 src1=0 src2=0
	v_mov_b32_e32 v130, v25 /*v281*/
	s_set_vgpr_msb 0                        ;  msbs: dst=0 src0=0 src1=0 src2=0
	s_delay_alu instid0(VALU_DEP_1) | instskip(SKIP_1) | instid1(VALU_DEP_1)
	v_pk_mul_f32 v[128:129], v[128:129], v[130:131] op_sel_hi:[1,0]
	s_set_vgpr_msb 4                        ;  msbs: dst=0 src0=0 src1=1 src2=0
	v_pk_fma_f32 v[130:131], v[136:137], v[24:25] /*v[280:281]*/, v[128:129] neg_lo:[0,0,1] neg_hi:[0,0,1]
	v_pk_fma_f32 v[128:129], v[136:137], v[24:25] /*v[280:281]*/, v[128:129] op_sel_hi:[1,0,1]
	s_delay_alu instid0(VALU_DEP_1) | instskip(SKIP_3) | instid1(VALU_DEP_2)
	v_mov_b32_e32 v131, v129
	s_wait_loadcnt_dscnt 0x0
	v_pk_mul_f32 v[128:129], v[138:139], v[26:27] /*v[282:283]*/ op_sel:[1,1] op_sel_hi:[0,1]
	s_set_vgpr_msb 0                        ;  msbs: dst=0 src0=0 src1=0 src2=0
	v_pk_add_f32 v[126:127], v[126:127], v[130:131]
	s_set_vgpr_msb 4                        ;  msbs: dst=0 src0=0 src1=1 src2=0
	s_delay_alu instid0(VALU_DEP_2) | instskip(SKIP_1) | instid1(VALU_DEP_1)
	v_pk_fma_f32 v[130:131], v[138:139], v[26:27] /*v[282:283]*/, v[128:129] neg_lo:[0,0,1] neg_hi:[0,0,1]
	v_pk_fma_f32 v[128:129], v[138:139], v[26:27] /*v[282:283]*/, v[128:129] op_sel_hi:[1,0,1]
	v_dual_mov_b32 v128, v141 :: v_dual_mov_b32 v131, v129
	v_mov_b32_e32 v129, v140
	s_set_vgpr_msb 0                        ;  msbs: dst=0 src0=0 src1=0 src2=0
	s_delay_alu instid0(VALU_DEP_2) | instskip(SKIP_3) | instid1(VALU_DEP_1)
	v_pk_add_f32 v[126:127], v[126:127], v[130:131]
	s_set_vgpr_msb 1                        ;  msbs: dst=0 src0=1 src1=0 src2=0
	v_mov_b32_e32 v130, v29 /*v285*/
	s_set_vgpr_msb 0                        ;  msbs: dst=0 src0=0 src1=0 src2=0
	v_pk_mul_f32 v[128:129], v[128:129], v[130:131] op_sel_hi:[1,0]
	s_set_vgpr_msb 4                        ;  msbs: dst=0 src0=0 src1=1 src2=0
	s_delay_alu instid0(VALU_DEP_1) | instskip(SKIP_1) | instid1(VALU_DEP_1)
	v_pk_fma_f32 v[130:131], v[140:141], v[28:29] /*v[284:285]*/, v[128:129] neg_lo:[0,0,1] neg_hi:[0,0,1]
	v_pk_fma_f32 v[128:129], v[140:141], v[28:29] /*v[284:285]*/, v[128:129] op_sel_hi:[1,0,1]
	v_mov_b32_e32 v131, v129
	scratch_load_b64 v[128:129], off, off offset:136
	s_set_vgpr_msb 0                        ;  msbs: dst=0 src0=0 src1=0 src2=0
	v_pk_add_f32 v[126:127], v[126:127], v[130:131]
	s_wait_loadcnt 0x0
	s_delay_alu instid0(VALU_DEP_1)
	v_pk_add_f32 v[126:127], v[128:129], v[126:127] neg_lo:[0,1] neg_hi:[0,1]
	scratch_store_b64 off, v[126:127], off offset:136
	s_wait_xcnt 0x0
	v_cmpx_lt_u32_e32 16, v0
	s_cbranch_execz .LBB61_353
; %bb.352:
	scratch_load_b64 v[126:127], off, off offset:128
	v_mov_b64_e32 v[128:129], 0
	scratch_store_b64 off, v[128:129], off offset:128
	s_wait_loadcnt 0x0
	ds_store_b64 v1, v[126:127]
.LBB61_353:
	s_wait_xcnt 0x0
	s_or_b32 exec_lo, exec_lo, s0
	s_wait_storecnt_dscnt 0x0
	s_barrier_signal -1
	s_barrier_wait -1
	s_clause 0xf
	scratch_load_b128 v[130:133], off, off offset:136
	scratch_load_b128 v[138:141], off, off offset:152
	;; [unrolled: 1-line block ×16, first 2 shown]
	v_mov_b32_e32 v7, 0
	s_set_vgpr_msb 64                       ;  msbs: dst=1 src0=0 src1=0 src2=0
	s_clause 0x2
	scratch_load_b128 v[2:5] /*v[258:261]*/, off, off offset:392
	scratch_load_b128 v[10:13] /*v[266:269]*/, off, off offset:408
	;; [unrolled: 1-line block ×3, first 2 shown]
	s_mov_b32 s0, exec_lo
	s_set_vgpr_msb 0                        ;  msbs: dst=0 src0=0 src1=0 src2=0
	ds_load_2addr_b64 v[126:129], v7 offset0:79 offset1:80
	ds_load_2addr_b64 v[134:137], v7 offset0:81 offset1:82
	s_wait_loadcnt_dscnt 0x1201
	v_dual_mul_f32 v9, v126, v131 :: v_dual_mul_f32 v11, v128, v133
	ds_load_2addr_b64 v[142:145], v7 offset0:83 offset1:84
	ds_load_2addr_b64 v[150:153], v7 offset0:85 offset1:86
	;; [unrolled: 1-line block ×4, first 2 shown]
	v_dual_fmac_f32 v9, v127, v130 :: v_dual_fmac_f32 v11, v129, v132
	ds_load_2addr_b64 v[174:177], v7 offset0:91 offset1:92
	ds_load_2addr_b64 v[182:185], v7 offset0:93 offset1:94
	;; [unrolled: 1-line block ×4, first 2 shown]
	v_add_f32_e32 v9, 0, v9
	ds_load_2addr_b64 v[206:209], v7 offset0:99 offset1:100
	ds_load_2addr_b64 v[214:217], v7 offset0:101 offset1:102
	;; [unrolled: 1-line block ×4, first 2 shown]
	v_add_f32_e32 v9, v9, v11
	s_wait_loadcnt_dscnt 0x110c
	v_mul_f32_e32 v11, v134, v139
	ds_load_2addr_b64 v[238:241], v7 offset0:107 offset1:108
	ds_load_2addr_b64 v[246:249], v7 offset0:109 offset1:110
	;; [unrolled: 1-line block ×3, first 2 shown]
	s_set_vgpr_msb 64                       ;  msbs: dst=1 src0=0 src1=0 src2=0
	ds_load_2addr_b64 v[6:9] /*v[262:265]*/, v7 offset0:113 offset1:114
	s_set_vgpr_msb 0                        ;  msbs: dst=0 src0=0 src1=0 src2=0
	v_fmac_f32_e32 v11, v135, v138
	s_set_vgpr_msb 64                       ;  msbs: dst=1 src0=0 src1=0 src2=0
	ds_load_2addr_b64 v[14:17] /*v[270:273]*/, v7 offset0:115 offset1:116
	s_clause 0x3
	scratch_load_b128 v[22:25] /*v[278:281]*/, off, off offset:440
	scratch_load_b128 v[26:29] /*v[282:285]*/, off, off offset:456
	;; [unrolled: 1-line block ×3, first 2 shown]
	scratch_load_b64 v[40:41] /*v[296:297]*/, off, off offset:488
	s_set_vgpr_msb 0                        ;  msbs: dst=0 src0=0 src1=0 src2=0
	v_dual_add_f32 v9, v9, v11 :: v_dual_mul_f32 v11, v136, v141
	s_delay_alu instid0(VALU_DEP_1) | instskip(NEXT) | instid1(VALU_DEP_1)
	v_fmac_f32_e32 v11, v137, v140
	v_add_f32_e32 v9, v9, v11
	s_wait_loadcnt_dscnt 0x1410
	v_mul_f32_e32 v11, v142, v147
	s_wait_loadcnt_dscnt 0x400
	s_set_vgpr_msb 0x45                     ;  msbs: dst=1 src0=1 src1=1 src2=0
	v_dual_mul_f32 v37 /*v293*/, v8 /*v264*/, v13 /*v269*/ :: v_dual_mul_f32 v39 /*v295*/, v14 /*v270*/, v19 /*v275*/
	s_set_vgpr_msb 0                        ;  msbs: dst=0 src0=0 src1=0 src2=0
	v_fmac_f32_e32 v11, v143, v146
	s_set_vgpr_msb 0x45                     ;  msbs: dst=1 src0=1 src1=1 src2=0
	s_delay_alu instid0(VALU_DEP_2) | instskip(SKIP_1) | instid1(VALU_DEP_2)
	v_dual_fmac_f32 v37 /*v293*/, v9 /*v265*/, v12 /*v268*/ :: v_dual_fmac_f32 v39 /*v295*/, v15 /*v271*/, v18 /*v274*/
	s_set_vgpr_msb 0                        ;  msbs: dst=0 src0=0 src1=0 src2=0
	v_dual_add_f32 v9, v9, v11 :: v_dual_mul_f32 v11, v144, v149
	s_delay_alu instid0(VALU_DEP_1) | instskip(NEXT) | instid1(VALU_DEP_1)
	v_fmac_f32_e32 v11, v145, v148
	v_add_f32_e32 v9, v9, v11
	v_mul_f32_e32 v11, v150, v155
	s_delay_alu instid0(VALU_DEP_1) | instskip(NEXT) | instid1(VALU_DEP_1)
	v_fmac_f32_e32 v11, v151, v154
	v_dual_add_f32 v9, v9, v11 :: v_dual_mul_f32 v11, v152, v157
	s_delay_alu instid0(VALU_DEP_1) | instskip(NEXT) | instid1(VALU_DEP_1)
	v_fmac_f32_e32 v11, v153, v156
	v_add_f32_e32 v9, v9, v11
	v_mul_f32_e32 v11, v158, v163
	s_delay_alu instid0(VALU_DEP_1) | instskip(NEXT) | instid1(VALU_DEP_1)
	v_fmac_f32_e32 v11, v159, v162
	;; [unrolled: 7-line block ×13, first 2 shown]
	v_dual_add_f32 v9, v9, v11 :: v_dual_mul_f32 v11, v248, v253
	s_delay_alu instid0(VALU_DEP_1) | instskip(NEXT) | instid1(VALU_DEP_1)
	v_fmac_f32_e32 v11, v249, v252
	v_add_f32_e32 v9, v9, v11
	s_set_vgpr_msb 4                        ;  msbs: dst=0 src0=0 src1=1 src2=0
	v_mul_f32_e32 v11, v254, v3 /*v259*/
	s_delay_alu instid0(VALU_DEP_1) | instskip(SKIP_1) | instid1(VALU_DEP_1)
	v_fmac_f32_e32 v11, v255, v2 /*v258*/
	s_set_vgpr_msb 0                        ;  msbs: dst=0 src0=0 src1=0 src2=0
	v_add_f32_e32 v9, v9, v11
	s_set_vgpr_msb 5                        ;  msbs: dst=0 src0=1 src1=1 src2=0
	v_mul_f32_e32 v11, v0 /*v256*/, v5 /*v261*/
	s_delay_alu instid0(VALU_DEP_1) | instskip(SKIP_1) | instid1(VALU_DEP_1)
	v_fmac_f32_e32 v11, v1 /*v257*/, v4 /*v260*/
	s_set_vgpr_msb 0                        ;  msbs: dst=0 src0=0 src1=0 src2=0
	v_add_f32_e32 v9, v9, v11
	s_set_vgpr_msb 5                        ;  msbs: dst=0 src0=1 src1=1 src2=0
	v_mul_f32_e32 v11, v6 /*v262*/, v11 /*v267*/
	s_delay_alu instid0(VALU_DEP_1) | instskip(SKIP_1) | instid1(VALU_DEP_1)
	v_fmac_f32_e32 v11, v7 /*v263*/, v10 /*v266*/
	s_set_vgpr_msb 64                       ;  msbs: dst=1 src0=0 src1=0 src2=0
	v_add_f32_e32 v35 /*v291*/, v9, v11
	s_set_vgpr_msb 0                        ;  msbs: dst=0 src0=0 src1=0 src2=0
	v_dual_mul_f32 v9, v127, v131 :: v_dual_mul_f32 v11, v129, v133
	s_delay_alu instid0(VALU_DEP_1) | instskip(NEXT) | instid1(VALU_DEP_1)
	v_dual_fma_f32 v9, v126, v130, -v9 :: v_dual_fma_f32 v11, v128, v132, -v11
	v_add_f32_e32 v9, 0, v9
	s_delay_alu instid0(VALU_DEP_1) | instskip(SKIP_1) | instid1(VALU_DEP_1)
	v_add_f32_e32 v9, v9, v11
	v_mul_f32_e32 v11, v135, v139
	v_fma_f32 v11, v134, v138, -v11
	s_delay_alu instid0(VALU_DEP_1) | instskip(SKIP_1) | instid1(VALU_DEP_1)
	v_add_f32_e32 v9, v9, v11
	v_mul_f32_e32 v11, v137, v141
	v_fma_f32 v11, v136, v140, -v11
	ds_load_2addr_b64 v[126:129], v7 offset0:117 offset1:118
	ds_load_2addr_b64 v[130:133], v7 offset0:119 offset1:120
	ds_load_2addr_b64 v[134:137], v7 offset0:121 offset1:122
	ds_load_b64 v[138:139], v7 offset:984
	v_add_f32_e32 v9, v9, v11
	v_mul_f32_e32 v11, v143, v147
	s_set_vgpr_msb 1                        ;  msbs: dst=0 src0=1 src1=0 src2=0
	v_mov_b32_e32 v143, v16 /*v272*/
	s_set_vgpr_msb 0                        ;  msbs: dst=0 src0=0 src1=0 src2=0
	s_delay_alu instid0(VALU_DEP_2) | instskip(SKIP_3) | instid1(VALU_DEP_2)
	v_fma_f32 v11, v142, v146, -v11
	s_set_vgpr_msb 1                        ;  msbs: dst=0 src0=1 src1=0 src2=0
	v_mov_b32_e32 v142, v17 /*v273*/
	s_set_vgpr_msb 0                        ;  msbs: dst=0 src0=0 src1=0 src2=0
	v_add_f32_e32 v9, v9, v11
	v_mul_f32_e32 v11, v145, v149
	s_delay_alu instid0(VALU_DEP_1) | instskip(SKIP_3) | instid1(VALU_DEP_2)
	v_fma_f32 v11, v144, v148, -v11
	s_set_vgpr_msb 1                        ;  msbs: dst=0 src0=1 src1=0 src2=0
	v_mov_b32_e32 v144, v21 /*v277*/
	s_set_vgpr_msb 0                        ;  msbs: dst=0 src0=0 src1=0 src2=0
	v_add_f32_e32 v9, v9, v11
	v_mul_f32_e32 v11, v151, v155
	s_delay_alu instid0(VALU_DEP_3) | instskip(NEXT) | instid1(VALU_DEP_2)
	v_pk_mul_f32 v[142:143], v[142:143], v[144:145] op_sel_hi:[1,0]
	v_fma_f32 v11, v150, v154, -v11
	s_set_vgpr_msb 5                        ;  msbs: dst=0 src0=1 src1=1 src2=0
	s_delay_alu instid0(VALU_DEP_2) | instskip(SKIP_3) | instid1(VALU_DEP_2)
	v_pk_fma_f32 v[144:145], v[16:17] /*v[272:273]*/, v[20:21] /*v[276:277]*/, v[142:143] neg_lo:[0,0,1] neg_hi:[0,0,1]
	v_pk_fma_f32 v[142:143], v[16:17] /*v[272:273]*/, v[20:21] /*v[276:277]*/, v[142:143] op_sel_hi:[1,0,1]
	s_set_vgpr_msb 0                        ;  msbs: dst=0 src0=0 src1=0 src2=0
	v_add_f32_e32 v9, v9, v11
	v_dual_mul_f32 v11, v153, v157 :: v_dual_mov_b32 v145, v143
	s_wait_loadcnt_dscnt 0x303
	s_set_vgpr_msb 4                        ;  msbs: dst=0 src0=0 src1=1 src2=0
	v_pk_mul_f32 v[142:143], v[126:127], v[22:23] /*v[278:279]*/ op_sel:[1,1] op_sel_hi:[0,1]
	s_set_vgpr_msb 0                        ;  msbs: dst=0 src0=0 src1=0 src2=0
	v_fma_f32 v11, v152, v156, -v11
	s_delay_alu instid0(VALU_DEP_1) | instskip(SKIP_1) | instid1(VALU_DEP_1)
	v_add_f32_e32 v9, v9, v11
	v_mul_f32_e32 v11, v159, v163
	v_fma_f32 v11, v158, v162, -v11
	s_delay_alu instid0(VALU_DEP_1) | instskip(SKIP_1) | instid1(VALU_DEP_1)
	v_add_f32_e32 v9, v9, v11
	v_mul_f32_e32 v11, v161, v165
	;; [unrolled: 4-line block ×24, first 2 shown]
	v_fma_f32 v11, v248, v252, -v11
	s_delay_alu instid0(VALU_DEP_1) | instskip(SKIP_2) | instid1(VALU_DEP_1)
	v_add_f32_e32 v9, v9, v11
	s_set_vgpr_msb 4                        ;  msbs: dst=0 src0=0 src1=1 src2=0
	v_mul_f32_e32 v11, v255, v3 /*v259*/
	v_fma_f32 v11, v254, v2 /*v258*/, -v11
	s_set_vgpr_msb 0                        ;  msbs: dst=0 src0=0 src1=0 src2=0
	s_delay_alu instid0(VALU_DEP_1) | instskip(SKIP_2) | instid1(VALU_DEP_1)
	v_add_f32_e32 v9, v9, v11
	s_set_vgpr_msb 5                        ;  msbs: dst=0 src0=1 src1=1 src2=0
	v_mul_f32_e32 v11, v1 /*v257*/, v5 /*v261*/
	v_fma_f32 v11, v0 /*v256*/, v4 /*v260*/, -v11
	s_set_vgpr_msb 0                        ;  msbs: dst=0 src0=0 src1=0 src2=0
	s_delay_alu instid0(VALU_DEP_1) | instskip(SKIP_2) | instid1(VALU_DEP_1)
	v_add_f32_e32 v9, v9, v11
	s_set_vgpr_msb 5                        ;  msbs: dst=0 src0=1 src1=1 src2=0
	v_mul_f32_e32 v11, v7 /*v263*/, v11 /*v267*/
	v_fma_f32 v11, v6 /*v262*/, v10 /*v266*/, -v11
	s_set_vgpr_msb 64                       ;  msbs: dst=1 src0=0 src1=0 src2=0
	s_delay_alu instid0(VALU_DEP_1) | instskip(SKIP_3) | instid1(VALU_DEP_1)
	v_add_f32_e32 v34 /*v290*/, v9, v11
	s_set_vgpr_msb 5                        ;  msbs: dst=0 src0=1 src1=1 src2=0
	v_mul_f32_e32 v9, v9 /*v265*/, v13 /*v269*/
	s_set_vgpr_msb 0x45                     ;  msbs: dst=1 src0=1 src1=1 src2=0
	v_fma_f32 v36 /*v292*/, v8 /*v264*/, v12 /*v268*/, -v9
	s_set_vgpr_msb 5                        ;  msbs: dst=0 src0=1 src1=1 src2=0
	v_mul_f32_e32 v9, v15 /*v271*/, v19 /*v275*/
	s_set_vgpr_msb 0x45                     ;  msbs: dst=1 src0=1 src1=1 src2=0
	s_delay_alu instid0(VALU_DEP_1) | instskip(SKIP_3) | instid1(VALU_DEP_1)
	v_fma_f32 v38 /*v294*/, v14 /*v270*/, v18 /*v274*/, -v9
	s_set_vgpr_msb 5                        ;  msbs: dst=0 src0=1 src1=1 src2=0
	v_pk_add_f32 v[140:141], v[34:35] /*v[290:291]*/, v[36:37] /*v[292:293]*/
	s_set_vgpr_msb 4                        ;  msbs: dst=0 src0=0 src1=1 src2=0
	v_pk_add_f32 v[140:141], v[140:141], v[38:39] /*v[294:295]*/
	s_set_vgpr_msb 0                        ;  msbs: dst=0 src0=0 src1=0 src2=0
	s_delay_alu instid0(VALU_DEP_1)
	v_pk_add_f32 v[140:141], v[140:141], v[144:145]
	s_set_vgpr_msb 4                        ;  msbs: dst=0 src0=0 src1=1 src2=0
	v_pk_fma_f32 v[144:145], v[126:127], v[22:23] /*v[278:279]*/, v[142:143] neg_lo:[0,0,1] neg_hi:[0,0,1]
	v_pk_fma_f32 v[126:127], v[126:127], v[22:23] /*v[278:279]*/, v[142:143] op_sel_hi:[1,0,1]
	s_set_vgpr_msb 1                        ;  msbs: dst=0 src0=1 src1=0 src2=0
	v_mov_b32_e32 v142, v25 /*v281*/
	s_set_vgpr_msb 0                        ;  msbs: dst=0 src0=0 src1=0 src2=0
	s_delay_alu instid0(VALU_DEP_2) | instskip(NEXT) | instid1(VALU_DEP_1)
	v_mov_b32_e32 v145, v127
	v_pk_add_f32 v[126:127], v[140:141], v[144:145]
	v_dual_mov_b32 v140, v129 :: v_dual_mov_b32 v141, v128
	s_delay_alu instid0(VALU_DEP_1) | instskip(SKIP_1) | instid1(VALU_DEP_1)
	v_pk_mul_f32 v[140:141], v[140:141], v[142:143] op_sel_hi:[1,0]
	s_set_vgpr_msb 4                        ;  msbs: dst=0 src0=0 src1=1 src2=0
	v_pk_fma_f32 v[142:143], v[128:129], v[24:25] /*v[280:281]*/, v[140:141] neg_lo:[0,0,1] neg_hi:[0,0,1]
	v_pk_fma_f32 v[128:129], v[128:129], v[24:25] /*v[280:281]*/, v[140:141] op_sel_hi:[1,0,1]
	s_delay_alu instid0(VALU_DEP_1) | instskip(SKIP_3) | instid1(VALU_DEP_2)
	v_mov_b32_e32 v143, v129
	s_wait_loadcnt_dscnt 0x202
	v_pk_mul_f32 v[128:129], v[130:131], v[26:27] /*v[282:283]*/ op_sel:[1,1] op_sel_hi:[0,1]
	s_set_vgpr_msb 0                        ;  msbs: dst=0 src0=0 src1=0 src2=0
	v_pk_add_f32 v[126:127], v[126:127], v[142:143]
	s_set_vgpr_msb 4                        ;  msbs: dst=0 src0=0 src1=1 src2=0
	s_delay_alu instid0(VALU_DEP_2)
	v_pk_fma_f32 v[140:141], v[130:131], v[26:27] /*v[282:283]*/, v[128:129] neg_lo:[0,0,1] neg_hi:[0,0,1]
	v_pk_fma_f32 v[128:129], v[130:131], v[26:27] /*v[282:283]*/, v[128:129] op_sel_hi:[1,0,1]
	v_mov_b32_e32 v128, v133
	s_set_vgpr_msb 1                        ;  msbs: dst=0 src0=1 src1=0 src2=0
	v_mov_b32_e32 v130, v29 /*v285*/
	s_set_vgpr_msb 0                        ;  msbs: dst=0 src0=0 src1=0 src2=0
	v_dual_mov_b32 v141, v129 :: v_dual_mov_b32 v129, v132
	s_delay_alu instid0(VALU_DEP_1) | instskip(NEXT) | instid1(VALU_DEP_2)
	v_pk_add_f32 v[126:127], v[126:127], v[140:141]
	v_pk_mul_f32 v[128:129], v[128:129], v[130:131] op_sel_hi:[1,0]
	s_set_vgpr_msb 4                        ;  msbs: dst=0 src0=0 src1=1 src2=0
	s_delay_alu instid0(VALU_DEP_1) | instskip(SKIP_1) | instid1(VALU_DEP_1)
	v_pk_fma_f32 v[130:131], v[132:133], v[28:29] /*v[284:285]*/, v[128:129] neg_lo:[0,0,1] neg_hi:[0,0,1]
	v_pk_fma_f32 v[128:129], v[132:133], v[28:29] /*v[284:285]*/, v[128:129] op_sel_hi:[1,0,1]
	v_mov_b32_e32 v131, v129
	s_wait_loadcnt_dscnt 0x101
	v_pk_mul_f32 v[128:129], v[134:135], v[30:31] /*v[286:287]*/ op_sel:[1,1] op_sel_hi:[0,1]
	s_set_vgpr_msb 0                        ;  msbs: dst=0 src0=0 src1=0 src2=0
	s_delay_alu instid0(VALU_DEP_2) | instskip(SKIP_1) | instid1(VALU_DEP_2)
	v_pk_add_f32 v[126:127], v[126:127], v[130:131]
	s_set_vgpr_msb 4                        ;  msbs: dst=0 src0=0 src1=1 src2=0
	v_pk_fma_f32 v[130:131], v[134:135], v[30:31] /*v[286:287]*/, v[128:129] neg_lo:[0,0,1] neg_hi:[0,0,1]
	v_pk_fma_f32 v[128:129], v[134:135], v[30:31] /*v[286:287]*/, v[128:129] op_sel_hi:[1,0,1]
	s_delay_alu instid0(VALU_DEP_1) | instskip(SKIP_2) | instid1(VALU_DEP_2)
	v_dual_mov_b32 v128, v137 :: v_dual_mov_b32 v131, v129
	v_mov_b32_e32 v129, v136
	s_set_vgpr_msb 0                        ;  msbs: dst=0 src0=0 src1=0 src2=0
	v_pk_add_f32 v[126:127], v[126:127], v[130:131]
	s_set_vgpr_msb 1                        ;  msbs: dst=0 src0=1 src1=0 src2=0
	v_mov_b32_e32 v130, v33 /*v289*/
	s_set_vgpr_msb 0                        ;  msbs: dst=0 src0=0 src1=0 src2=0
	s_delay_alu instid0(VALU_DEP_1) | instskip(SKIP_1) | instid1(VALU_DEP_1)
	v_pk_mul_f32 v[128:129], v[128:129], v[130:131] op_sel_hi:[1,0]
	s_set_vgpr_msb 4                        ;  msbs: dst=0 src0=0 src1=1 src2=0
	v_pk_fma_f32 v[130:131], v[136:137], v[32:33] /*v[288:289]*/, v[128:129] neg_lo:[0,0,1] neg_hi:[0,0,1]
	v_pk_fma_f32 v[128:129], v[136:137], v[32:33] /*v[288:289]*/, v[128:129] op_sel_hi:[1,0,1]
	s_delay_alu instid0(VALU_DEP_1) | instskip(SKIP_3) | instid1(VALU_DEP_2)
	v_mov_b32_e32 v131, v129
	s_wait_loadcnt_dscnt 0x0
	v_pk_mul_f32 v[128:129], v[138:139], v[40:41] /*v[296:297]*/ op_sel:[1,1] op_sel_hi:[0,1]
	s_set_vgpr_msb 0                        ;  msbs: dst=0 src0=0 src1=0 src2=0
	v_pk_add_f32 v[126:127], v[126:127], v[130:131]
	s_set_vgpr_msb 4                        ;  msbs: dst=0 src0=0 src1=1 src2=0
	s_delay_alu instid0(VALU_DEP_2) | instskip(SKIP_1) | instid1(VALU_DEP_1)
	v_pk_fma_f32 v[130:131], v[138:139], v[40:41] /*v[296:297]*/, v[128:129] neg_lo:[0,0,1] neg_hi:[0,0,1]
	v_pk_fma_f32 v[128:129], v[138:139], v[40:41] /*v[296:297]*/, v[128:129] op_sel_hi:[1,0,1]
	v_mov_b32_e32 v131, v129
	scratch_load_b64 v[128:129], off, off offset:128
	s_set_vgpr_msb 0                        ;  msbs: dst=0 src0=0 src1=0 src2=0
	v_pk_add_f32 v[126:127], v[126:127], v[130:131]
	s_wait_loadcnt 0x0
	s_delay_alu instid0(VALU_DEP_1)
	v_pk_add_f32 v[126:127], v[128:129], v[126:127] neg_lo:[0,1] neg_hi:[0,1]
	scratch_store_b64 off, v[126:127], off offset:128
	s_wait_xcnt 0x0
	v_cmpx_lt_u32_e32 15, v0
	s_cbranch_execz .LBB61_355
; %bb.354:
	scratch_load_b64 v[126:127], off, off offset:120
	v_mov_b64_e32 v[128:129], 0
	scratch_store_b64 off, v[128:129], off offset:120
	s_wait_loadcnt 0x0
	ds_store_b64 v1, v[126:127]
.LBB61_355:
	s_wait_xcnt 0x0
	s_or_b32 exec_lo, exec_lo, s0
	s_wait_storecnt_dscnt 0x0
	s_barrier_signal -1
	s_barrier_wait -1
	ds_load_b128 v[126:129], v7 offset:624
	ds_load_b128 v[130:133], v7 offset:640
	;; [unrolled: 1-line block ×4, first 2 shown]
	s_clause 0x12
	scratch_load_b128 v[142:145], off, off offset:128
	scratch_load_b128 v[146:149], off, off offset:144
	;; [unrolled: 1-line block ×16, first 2 shown]
	s_set_vgpr_msb 64                       ;  msbs: dst=1 src0=0 src1=0 src2=0
	scratch_load_b128 v[2:5] /*v[258:261]*/, off, off offset:384
	scratch_load_b128 v[10:13] /*v[266:269]*/, off, off offset:400
	s_set_vgpr_msb 0                        ;  msbs: dst=0 src0=0 src1=0 src2=0
	ds_load_b128 v[158:161], v7 offset:688
	ds_load_b128 v[166:169], v7 offset:704
	;; [unrolled: 1-line block ×13, first 2 shown]
	s_set_vgpr_msb 64                       ;  msbs: dst=1 src0=0 src1=0 src2=0
	ds_load_b128 v[6:9] /*v[262:265]*/, v7 offset:896
	ds_load_b128 v[14:17] /*v[270:273]*/, v7 offset:912
	s_clause 0x4
	scratch_load_b128 v[18:21] /*v[274:277]*/, off, off offset:416
	scratch_load_b128 v[22:25] /*v[278:281]*/, off, off offset:432
	;; [unrolled: 1-line block ×5, first 2 shown]
	s_mov_b32 s0, exec_lo
	s_wait_loadcnt_dscnt 0x1612
	s_set_vgpr_msb 0                        ;  msbs: dst=0 src0=0 src1=0 src2=0
	v_dual_mul_f32 v9, v126, v143 :: v_dual_mul_f32 v11, v128, v145
	s_delay_alu instid0(VALU_DEP_1) | instskip(NEXT) | instid1(VALU_DEP_1)
	v_dual_fmac_f32 v9, v127, v142 :: v_dual_fmac_f32 v11, v129, v144
	v_add_f32_e32 v9, 0, v9
	s_delay_alu instid0(VALU_DEP_1) | instskip(SKIP_2) | instid1(VALU_DEP_1)
	v_add_f32_e32 v9, v9, v11
	s_wait_loadcnt_dscnt 0x1511
	v_mul_f32_e32 v11, v130, v147
	v_fmac_f32_e32 v11, v131, v146
	s_delay_alu instid0(VALU_DEP_1) | instskip(NEXT) | instid1(VALU_DEP_1)
	v_dual_add_f32 v9, v9, v11 :: v_dual_mul_f32 v11, v132, v149
	v_fmac_f32_e32 v11, v133, v148
	s_wait_loadcnt_dscnt 0x400
	s_set_vgpr_msb 0x45                     ;  msbs: dst=1 src0=1 src1=1 src2=0
	v_dual_mul_f32 v41 /*v297*/, v14 /*v270*/, v19 /*v275*/ :: v_dual_mul_f32 v43 /*v299*/, v16 /*v272*/, v21 /*v277*/
	s_set_vgpr_msb 0                        ;  msbs: dst=0 src0=0 src1=0 src2=0
	v_add_f32_e32 v9, v9, v11
	v_mul_f32_e32 v11, v134, v151
	s_set_vgpr_msb 0x45                     ;  msbs: dst=1 src0=1 src1=1 src2=0
	v_dual_fmac_f32 v41 /*v297*/, v15 /*v271*/, v18 /*v274*/ :: v_dual_fmac_f32 v43 /*v299*/, v17 /*v273*/, v20 /*v276*/
	s_set_vgpr_msb 0                        ;  msbs: dst=0 src0=0 src1=0 src2=0
	s_delay_alu instid0(VALU_DEP_2) | instskip(NEXT) | instid1(VALU_DEP_1)
	v_fmac_f32_e32 v11, v135, v150
	v_dual_add_f32 v9, v9, v11 :: v_dual_mul_f32 v11, v136, v153
	s_delay_alu instid0(VALU_DEP_1) | instskip(NEXT) | instid1(VALU_DEP_1)
	v_fmac_f32_e32 v11, v137, v152
	v_add_f32_e32 v9, v9, v11
	v_mul_f32_e32 v11, v138, v155
	s_delay_alu instid0(VALU_DEP_1) | instskip(NEXT) | instid1(VALU_DEP_1)
	v_fmac_f32_e32 v11, v139, v154
	v_dual_add_f32 v9, v9, v11 :: v_dual_mul_f32 v11, v140, v157
	s_delay_alu instid0(VALU_DEP_1) | instskip(NEXT) | instid1(VALU_DEP_1)
	v_fmac_f32_e32 v11, v141, v156
	v_add_f32_e32 v9, v9, v11
	v_mul_f32_e32 v11, v158, v163
	s_delay_alu instid0(VALU_DEP_1) | instskip(NEXT) | instid1(VALU_DEP_1)
	;; [unrolled: 7-line block ×13, first 2 shown]
	v_fmac_f32_e32 v11, v247, v250
	v_dual_add_f32 v9, v9, v11 :: v_dual_mul_f32 v11, v248, v253
	s_delay_alu instid0(VALU_DEP_1) | instskip(NEXT) | instid1(VALU_DEP_1)
	v_fmac_f32_e32 v11, v249, v252
	v_add_f32_e32 v9, v9, v11
	s_set_vgpr_msb 4                        ;  msbs: dst=0 src0=0 src1=1 src2=0
	v_mul_f32_e32 v11, v254, v3 /*v259*/
	s_delay_alu instid0(VALU_DEP_1) | instskip(SKIP_1) | instid1(VALU_DEP_1)
	v_fmac_f32_e32 v11, v255, v2 /*v258*/
	s_set_vgpr_msb 0                        ;  msbs: dst=0 src0=0 src1=0 src2=0
	v_add_f32_e32 v9, v9, v11
	s_set_vgpr_msb 5                        ;  msbs: dst=0 src0=1 src1=1 src2=0
	v_mul_f32_e32 v11, v0 /*v256*/, v5 /*v261*/
	s_delay_alu instid0(VALU_DEP_1) | instskip(SKIP_1) | instid1(VALU_DEP_1)
	v_fmac_f32_e32 v11, v1 /*v257*/, v4 /*v260*/
	s_set_vgpr_msb 0                        ;  msbs: dst=0 src0=0 src1=0 src2=0
	v_add_f32_e32 v9, v9, v11
	s_set_vgpr_msb 5                        ;  msbs: dst=0 src0=1 src1=1 src2=0
	v_mul_f32_e32 v11, v6 /*v262*/, v11 /*v267*/
	s_delay_alu instid0(VALU_DEP_1) | instskip(SKIP_1) | instid1(VALU_DEP_1)
	v_fmac_f32_e32 v11, v7 /*v263*/, v10 /*v266*/
	;; [unrolled: 6-line block ×3, first 2 shown]
	s_set_vgpr_msb 64                       ;  msbs: dst=1 src0=0 src1=0 src2=0
	v_add_f32_e32 v39 /*v295*/, v9, v11
	s_set_vgpr_msb 0                        ;  msbs: dst=0 src0=0 src1=0 src2=0
	v_dual_mul_f32 v9, v127, v143 :: v_dual_mul_f32 v11, v129, v145
	s_delay_alu instid0(VALU_DEP_1) | instskip(NEXT) | instid1(VALU_DEP_1)
	v_dual_fma_f32 v9, v126, v142, -v9 :: v_dual_fma_f32 v11, v128, v144, -v11
	v_add_f32_e32 v9, 0, v9
	s_delay_alu instid0(VALU_DEP_1) | instskip(SKIP_1) | instid1(VALU_DEP_1)
	v_add_f32_e32 v9, v9, v11
	v_mul_f32_e32 v11, v131, v147
	v_fma_f32 v11, v130, v146, -v11
	s_delay_alu instid0(VALU_DEP_1) | instskip(SKIP_1) | instid1(VALU_DEP_1)
	v_add_f32_e32 v9, v9, v11
	v_mul_f32_e32 v11, v133, v149
	v_fma_f32 v11, v132, v148, -v11
	;; [unrolled: 4-line block ×6, first 2 shown]
	ds_load_b128 v[126:129], v7 offset:928
	ds_load_b128 v[130:133], v7 offset:944
	;; [unrolled: 1-line block ×4, first 2 shown]
	v_add_f32_e32 v9, v9, v11
	v_mul_f32_e32 v11, v159, v163
	s_delay_alu instid0(VALU_DEP_1) | instskip(NEXT) | instid1(VALU_DEP_1)
	v_fma_f32 v11, v158, v162, -v11
	v_add_f32_e32 v9, v9, v11
	v_mul_f32_e32 v11, v161, v165
	s_wait_loadcnt_dscnt 0x303
	s_set_vgpr_msb 4                        ;  msbs: dst=0 src0=0 src1=1 src2=0
	v_pk_mul_f32 v[144:145], v[126:127], v[22:23] /*v[278:279]*/ op_sel:[1,1] op_sel_hi:[0,1]
	s_set_vgpr_msb 0                        ;  msbs: dst=0 src0=0 src1=0 src2=0
	v_fma_f32 v11, v160, v164, -v11
	s_set_vgpr_msb 4                        ;  msbs: dst=0 src0=0 src1=1 src2=0
	s_delay_alu instid0(VALU_DEP_2)
	v_pk_fma_f32 v[146:147], v[126:127], v[22:23] /*v[278:279]*/, v[144:145] neg_lo:[0,0,1] neg_hi:[0,0,1]
	v_pk_fma_f32 v[126:127], v[126:127], v[22:23] /*v[278:279]*/, v[144:145] op_sel_hi:[1,0,1]
	s_set_vgpr_msb 1                        ;  msbs: dst=0 src0=1 src1=0 src2=0
	v_mov_b32_e32 v144, v25 /*v281*/
	s_set_vgpr_msb 0                        ;  msbs: dst=0 src0=0 src1=0 src2=0
	v_add_f32_e32 v9, v9, v11
	v_mul_f32_e32 v11, v167, v171
	s_delay_alu instid0(VALU_DEP_1) | instskip(NEXT) | instid1(VALU_DEP_1)
	v_dual_mov_b32 v147, v127 :: v_dual_fma_f32 v11, v166, v170, -v11
	v_add_f32_e32 v9, v9, v11
	v_mul_f32_e32 v11, v169, v173
	s_delay_alu instid0(VALU_DEP_1) | instskip(NEXT) | instid1(VALU_DEP_1)
	v_fma_f32 v11, v168, v172, -v11
	v_add_f32_e32 v9, v9, v11
	v_mul_f32_e32 v11, v175, v179
	s_delay_alu instid0(VALU_DEP_1) | instskip(NEXT) | instid1(VALU_DEP_1)
	v_fma_f32 v11, v174, v178, -v11
	;; [unrolled: 4-line block ×21, first 2 shown]
	v_add_f32_e32 v9, v9, v11
	s_set_vgpr_msb 4                        ;  msbs: dst=0 src0=0 src1=1 src2=0
	v_mul_f32_e32 v11, v255, v3 /*v259*/
	s_delay_alu instid0(VALU_DEP_1) | instskip(SKIP_1) | instid1(VALU_DEP_1)
	v_fma_f32 v11, v254, v2 /*v258*/, -v11
	s_set_vgpr_msb 0                        ;  msbs: dst=0 src0=0 src1=0 src2=0
	v_add_f32_e32 v9, v9, v11
	s_set_vgpr_msb 5                        ;  msbs: dst=0 src0=1 src1=1 src2=0
	v_mul_f32_e32 v11, v1 /*v257*/, v5 /*v261*/
	s_delay_alu instid0(VALU_DEP_1) | instskip(SKIP_1) | instid1(VALU_DEP_1)
	v_fma_f32 v11, v0 /*v256*/, v4 /*v260*/, -v11
	s_set_vgpr_msb 0                        ;  msbs: dst=0 src0=0 src1=0 src2=0
	v_add_f32_e32 v9, v9, v11
	s_set_vgpr_msb 5                        ;  msbs: dst=0 src0=1 src1=1 src2=0
	v_mul_f32_e32 v11, v7 /*v263*/, v11 /*v267*/
	s_delay_alu instid0(VALU_DEP_1) | instskip(SKIP_1) | instid1(VALU_DEP_1)
	v_fma_f32 v11, v6 /*v262*/, v10 /*v266*/, -v11
	;; [unrolled: 6-line block ×3, first 2 shown]
	s_set_vgpr_msb 64                       ;  msbs: dst=1 src0=0 src1=0 src2=0
	v_add_f32_e32 v38 /*v294*/, v9, v11
	s_set_vgpr_msb 5                        ;  msbs: dst=0 src0=1 src1=1 src2=0
	v_mul_f32_e32 v9, v15 /*v271*/, v19 /*v275*/
	s_set_vgpr_msb 0x45                     ;  msbs: dst=1 src0=1 src1=1 src2=0
	s_delay_alu instid0(VALU_DEP_1) | instskip(SKIP_3) | instid1(VALU_DEP_1)
	v_fma_f32 v40 /*v296*/, v14 /*v270*/, v18 /*v274*/, -v9
	s_set_vgpr_msb 5                        ;  msbs: dst=0 src0=1 src1=1 src2=0
	v_mul_f32_e32 v9, v17 /*v273*/, v21 /*v277*/
	s_set_vgpr_msb 0x45                     ;  msbs: dst=1 src0=1 src1=1 src2=0
	v_fma_f32 v42 /*v298*/, v16 /*v272*/, v20 /*v276*/, -v9
	s_set_vgpr_msb 5                        ;  msbs: dst=0 src0=1 src1=1 src2=0
	v_pk_add_f32 v[142:143], v[38:39] /*v[294:295]*/, v[40:41] /*v[296:297]*/
	s_set_vgpr_msb 4                        ;  msbs: dst=0 src0=0 src1=1 src2=0
	s_delay_alu instid0(VALU_DEP_1) | instskip(SKIP_1) | instid1(VALU_DEP_1)
	v_pk_add_f32 v[142:143], v[142:143], v[42:43] /*v[298:299]*/
	s_set_vgpr_msb 0                        ;  msbs: dst=0 src0=0 src1=0 src2=0
	v_pk_add_f32 v[126:127], v[142:143], v[146:147]
	v_dual_mov_b32 v142, v129 :: v_dual_mov_b32 v143, v128
	s_delay_alu instid0(VALU_DEP_1) | instskip(SKIP_1) | instid1(VALU_DEP_1)
	v_pk_mul_f32 v[142:143], v[142:143], v[144:145] op_sel_hi:[1,0]
	s_set_vgpr_msb 4                        ;  msbs: dst=0 src0=0 src1=1 src2=0
	v_pk_fma_f32 v[144:145], v[128:129], v[24:25] /*v[280:281]*/, v[142:143] neg_lo:[0,0,1] neg_hi:[0,0,1]
	v_pk_fma_f32 v[128:129], v[128:129], v[24:25] /*v[280:281]*/, v[142:143] op_sel_hi:[1,0,1]
	s_delay_alu instid0(VALU_DEP_1) | instskip(SKIP_3) | instid1(VALU_DEP_2)
	v_mov_b32_e32 v145, v129
	s_wait_loadcnt_dscnt 0x202
	v_pk_mul_f32 v[128:129], v[130:131], v[26:27] /*v[282:283]*/ op_sel:[1,1] op_sel_hi:[0,1]
	s_set_vgpr_msb 0                        ;  msbs: dst=0 src0=0 src1=0 src2=0
	v_pk_add_f32 v[126:127], v[126:127], v[144:145]
	s_set_vgpr_msb 4                        ;  msbs: dst=0 src0=0 src1=1 src2=0
	s_delay_alu instid0(VALU_DEP_2)
	v_pk_fma_f32 v[142:143], v[130:131], v[26:27] /*v[282:283]*/, v[128:129] neg_lo:[0,0,1] neg_hi:[0,0,1]
	v_pk_fma_f32 v[128:129], v[130:131], v[26:27] /*v[282:283]*/, v[128:129] op_sel_hi:[1,0,1]
	v_mov_b32_e32 v128, v133
	s_set_vgpr_msb 1                        ;  msbs: dst=0 src0=1 src1=0 src2=0
	v_mov_b32_e32 v130, v29 /*v285*/
	s_set_vgpr_msb 0                        ;  msbs: dst=0 src0=0 src1=0 src2=0
	v_dual_mov_b32 v143, v129 :: v_dual_mov_b32 v129, v132
	s_delay_alu instid0(VALU_DEP_1) | instskip(NEXT) | instid1(VALU_DEP_2)
	v_pk_add_f32 v[126:127], v[126:127], v[142:143]
	v_pk_mul_f32 v[128:129], v[128:129], v[130:131] op_sel_hi:[1,0]
	s_set_vgpr_msb 4                        ;  msbs: dst=0 src0=0 src1=1 src2=0
	s_delay_alu instid0(VALU_DEP_1) | instskip(SKIP_1) | instid1(VALU_DEP_1)
	v_pk_fma_f32 v[130:131], v[132:133], v[28:29] /*v[284:285]*/, v[128:129] neg_lo:[0,0,1] neg_hi:[0,0,1]
	v_pk_fma_f32 v[128:129], v[132:133], v[28:29] /*v[284:285]*/, v[128:129] op_sel_hi:[1,0,1]
	v_mov_b32_e32 v131, v129
	s_wait_loadcnt_dscnt 0x101
	v_pk_mul_f32 v[128:129], v[134:135], v[30:31] /*v[286:287]*/ op_sel:[1,1] op_sel_hi:[0,1]
	s_set_vgpr_msb 0                        ;  msbs: dst=0 src0=0 src1=0 src2=0
	s_delay_alu instid0(VALU_DEP_2) | instskip(SKIP_1) | instid1(VALU_DEP_2)
	v_pk_add_f32 v[126:127], v[126:127], v[130:131]
	s_set_vgpr_msb 4                        ;  msbs: dst=0 src0=0 src1=1 src2=0
	v_pk_fma_f32 v[130:131], v[134:135], v[30:31] /*v[286:287]*/, v[128:129] neg_lo:[0,0,1] neg_hi:[0,0,1]
	v_pk_fma_f32 v[128:129], v[134:135], v[30:31] /*v[286:287]*/, v[128:129] op_sel_hi:[1,0,1]
	s_delay_alu instid0(VALU_DEP_1) | instskip(SKIP_2) | instid1(VALU_DEP_2)
	v_dual_mov_b32 v128, v137 :: v_dual_mov_b32 v131, v129
	v_mov_b32_e32 v129, v136
	s_set_vgpr_msb 0                        ;  msbs: dst=0 src0=0 src1=0 src2=0
	v_pk_add_f32 v[126:127], v[126:127], v[130:131]
	s_set_vgpr_msb 1                        ;  msbs: dst=0 src0=1 src1=0 src2=0
	v_mov_b32_e32 v130, v33 /*v289*/
	s_set_vgpr_msb 0                        ;  msbs: dst=0 src0=0 src1=0 src2=0
	s_delay_alu instid0(VALU_DEP_1) | instskip(SKIP_1) | instid1(VALU_DEP_1)
	v_pk_mul_f32 v[128:129], v[128:129], v[130:131] op_sel_hi:[1,0]
	s_set_vgpr_msb 4                        ;  msbs: dst=0 src0=0 src1=1 src2=0
	v_pk_fma_f32 v[130:131], v[136:137], v[32:33] /*v[288:289]*/, v[128:129] neg_lo:[0,0,1] neg_hi:[0,0,1]
	v_pk_fma_f32 v[128:129], v[136:137], v[32:33] /*v[288:289]*/, v[128:129] op_sel_hi:[1,0,1]
	s_delay_alu instid0(VALU_DEP_1) | instskip(SKIP_3) | instid1(VALU_DEP_2)
	v_mov_b32_e32 v131, v129
	s_wait_loadcnt_dscnt 0x0
	v_pk_mul_f32 v[128:129], v[138:139], v[34:35] /*v[290:291]*/ op_sel:[1,1] op_sel_hi:[0,1]
	s_set_vgpr_msb 0                        ;  msbs: dst=0 src0=0 src1=0 src2=0
	v_pk_add_f32 v[126:127], v[126:127], v[130:131]
	s_set_vgpr_msb 4                        ;  msbs: dst=0 src0=0 src1=1 src2=0
	s_delay_alu instid0(VALU_DEP_2) | instskip(SKIP_1) | instid1(VALU_DEP_1)
	v_pk_fma_f32 v[130:131], v[138:139], v[34:35] /*v[290:291]*/, v[128:129] neg_lo:[0,0,1] neg_hi:[0,0,1]
	v_pk_fma_f32 v[128:129], v[138:139], v[34:35] /*v[290:291]*/, v[128:129] op_sel_hi:[1,0,1]
	v_dual_mov_b32 v128, v141 :: v_dual_mov_b32 v131, v129
	v_mov_b32_e32 v129, v140
	s_set_vgpr_msb 0                        ;  msbs: dst=0 src0=0 src1=0 src2=0
	s_delay_alu instid0(VALU_DEP_2) | instskip(SKIP_3) | instid1(VALU_DEP_1)
	v_pk_add_f32 v[126:127], v[126:127], v[130:131]
	s_set_vgpr_msb 1                        ;  msbs: dst=0 src0=1 src1=0 src2=0
	v_mov_b32_e32 v130, v37 /*v293*/
	s_set_vgpr_msb 0                        ;  msbs: dst=0 src0=0 src1=0 src2=0
	v_pk_mul_f32 v[128:129], v[128:129], v[130:131] op_sel_hi:[1,0]
	s_set_vgpr_msb 4                        ;  msbs: dst=0 src0=0 src1=1 src2=0
	s_delay_alu instid0(VALU_DEP_1) | instskip(SKIP_1) | instid1(VALU_DEP_1)
	v_pk_fma_f32 v[130:131], v[140:141], v[36:37] /*v[292:293]*/, v[128:129] neg_lo:[0,0,1] neg_hi:[0,0,1]
	v_pk_fma_f32 v[128:129], v[140:141], v[36:37] /*v[292:293]*/, v[128:129] op_sel_hi:[1,0,1]
	v_mov_b32_e32 v131, v129
	scratch_load_b64 v[128:129], off, off offset:120
	s_set_vgpr_msb 0                        ;  msbs: dst=0 src0=0 src1=0 src2=0
	v_pk_add_f32 v[126:127], v[126:127], v[130:131]
	s_wait_loadcnt 0x0
	s_delay_alu instid0(VALU_DEP_1)
	v_pk_add_f32 v[126:127], v[128:129], v[126:127] neg_lo:[0,1] neg_hi:[0,1]
	scratch_store_b64 off, v[126:127], off offset:120
	s_wait_xcnt 0x0
	v_cmpx_lt_u32_e32 14, v0
	s_cbranch_execz .LBB61_357
; %bb.356:
	scratch_load_b64 v[126:127], off, off offset:112
	v_mov_b64_e32 v[128:129], 0
	scratch_store_b64 off, v[128:129], off offset:112
	s_wait_loadcnt 0x0
	ds_store_b64 v1, v[126:127]
.LBB61_357:
	s_wait_xcnt 0x0
	s_or_b32 exec_lo, exec_lo, s0
	s_wait_storecnt_dscnt 0x0
	s_barrier_signal -1
	s_barrier_wait -1
	s_clause 0xf
	scratch_load_b128 v[130:133], off, off offset:120
	scratch_load_b128 v[138:141], off, off offset:136
	;; [unrolled: 1-line block ×16, first 2 shown]
	v_mov_b32_e32 v7, 0
	s_set_vgpr_msb 64                       ;  msbs: dst=1 src0=0 src1=0 src2=0
	s_clause 0x3
	scratch_load_b128 v[2:5] /*v[258:261]*/, off, off offset:376
	scratch_load_b128 v[10:13] /*v[266:269]*/, off, off offset:392
	;; [unrolled: 1-line block ×4, first 2 shown]
	s_set_vgpr_msb 0                        ;  msbs: dst=0 src0=0 src1=0 src2=0
	ds_load_2addr_b64 v[126:129], v7 offset0:77 offset1:78
	ds_load_2addr_b64 v[134:137], v7 offset0:79 offset1:80
	s_mov_b32 s0, exec_lo
	s_wait_loadcnt_dscnt 0x1301
	v_dual_mul_f32 v9, v126, v131 :: v_dual_mul_f32 v11, v128, v133
	ds_load_2addr_b64 v[142:145], v7 offset0:81 offset1:82
	ds_load_2addr_b64 v[150:153], v7 offset0:83 offset1:84
	;; [unrolled: 1-line block ×4, first 2 shown]
	v_dual_fmac_f32 v9, v127, v130 :: v_dual_fmac_f32 v11, v129, v132
	ds_load_2addr_b64 v[174:177], v7 offset0:89 offset1:90
	ds_load_2addr_b64 v[182:185], v7 offset0:91 offset1:92
	ds_load_2addr_b64 v[190:193], v7 offset0:93 offset1:94
	ds_load_2addr_b64 v[198:201], v7 offset0:95 offset1:96
	v_add_f32_e32 v9, 0, v9
	ds_load_2addr_b64 v[206:209], v7 offset0:97 offset1:98
	ds_load_2addr_b64 v[214:217], v7 offset0:99 offset1:100
	;; [unrolled: 1-line block ×4, first 2 shown]
	v_add_f32_e32 v9, v9, v11
	s_wait_loadcnt_dscnt 0x120c
	v_mul_f32_e32 v11, v134, v139
	ds_load_2addr_b64 v[238:241], v7 offset0:105 offset1:106
	ds_load_2addr_b64 v[246:249], v7 offset0:107 offset1:108
	;; [unrolled: 1-line block ×3, first 2 shown]
	s_set_vgpr_msb 64                       ;  msbs: dst=1 src0=0 src1=0 src2=0
	ds_load_2addr_b64 v[6:9] /*v[262:265]*/, v7 offset0:111 offset1:112
	s_set_vgpr_msb 0                        ;  msbs: dst=0 src0=0 src1=0 src2=0
	v_fmac_f32_e32 v11, v135, v138
	s_set_vgpr_msb 64                       ;  msbs: dst=1 src0=0 src1=0 src2=0
	ds_load_2addr_b64 v[14:17] /*v[270:273]*/, v7 offset0:113 offset1:114
	ds_load_2addr_b64 v[22:25] /*v[278:281]*/, v7 offset0:115 offset1:116
	s_clause 0x3
	scratch_load_b128 v[30:33] /*v[286:289]*/, off, off offset:440
	scratch_load_b128 v[34:37] /*v[290:293]*/, off, off offset:456
	;; [unrolled: 1-line block ×3, first 2 shown]
	scratch_load_b64 v[48:49] /*v[304:305]*/, off, off offset:488
	s_set_vgpr_msb 0                        ;  msbs: dst=0 src0=0 src1=0 src2=0
	v_dual_add_f32 v9, v9, v11 :: v_dual_mul_f32 v11, v136, v141
	s_delay_alu instid0(VALU_DEP_1) | instskip(NEXT) | instid1(VALU_DEP_1)
	v_fmac_f32_e32 v11, v137, v140
	v_add_f32_e32 v9, v9, v11
	s_wait_loadcnt_dscnt 0x1511
	v_mul_f32_e32 v11, v142, v147
	s_wait_loadcnt_dscnt 0x400
	s_set_vgpr_msb 0x45                     ;  msbs: dst=1 src0=1 src1=1 src2=0
	v_dual_mul_f32 v45 /*v301*/, v16 /*v272*/, v21 /*v277*/ :: v_dual_mul_f32 v47 /*v303*/, v22 /*v278*/, v27 /*v283*/
	s_set_vgpr_msb 0                        ;  msbs: dst=0 src0=0 src1=0 src2=0
	v_fmac_f32_e32 v11, v143, v146
	s_set_vgpr_msb 0x45                     ;  msbs: dst=1 src0=1 src1=1 src2=0
	s_delay_alu instid0(VALU_DEP_2) | instskip(SKIP_1) | instid1(VALU_DEP_2)
	v_dual_fmac_f32 v45 /*v301*/, v17 /*v273*/, v20 /*v276*/ :: v_dual_fmac_f32 v47 /*v303*/, v23 /*v279*/, v26 /*v282*/
	s_set_vgpr_msb 0                        ;  msbs: dst=0 src0=0 src1=0 src2=0
	v_dual_add_f32 v9, v9, v11 :: v_dual_mul_f32 v11, v144, v149
	s_delay_alu instid0(VALU_DEP_1) | instskip(NEXT) | instid1(VALU_DEP_1)
	v_fmac_f32_e32 v11, v145, v148
	v_add_f32_e32 v9, v9, v11
	v_mul_f32_e32 v11, v150, v155
	s_delay_alu instid0(VALU_DEP_1) | instskip(NEXT) | instid1(VALU_DEP_1)
	v_fmac_f32_e32 v11, v151, v154
	v_dual_add_f32 v9, v9, v11 :: v_dual_mul_f32 v11, v152, v157
	s_delay_alu instid0(VALU_DEP_1) | instskip(NEXT) | instid1(VALU_DEP_1)
	v_fmac_f32_e32 v11, v153, v156
	v_add_f32_e32 v9, v9, v11
	v_mul_f32_e32 v11, v158, v163
	s_delay_alu instid0(VALU_DEP_1) | instskip(NEXT) | instid1(VALU_DEP_1)
	v_fmac_f32_e32 v11, v159, v162
	;; [unrolled: 7-line block ×13, first 2 shown]
	v_dual_add_f32 v9, v9, v11 :: v_dual_mul_f32 v11, v248, v253
	s_delay_alu instid0(VALU_DEP_1) | instskip(NEXT) | instid1(VALU_DEP_1)
	v_fmac_f32_e32 v11, v249, v252
	v_add_f32_e32 v9, v9, v11
	s_set_vgpr_msb 4                        ;  msbs: dst=0 src0=0 src1=1 src2=0
	v_mul_f32_e32 v11, v254, v3 /*v259*/
	s_delay_alu instid0(VALU_DEP_1) | instskip(SKIP_1) | instid1(VALU_DEP_1)
	v_fmac_f32_e32 v11, v255, v2 /*v258*/
	s_set_vgpr_msb 0                        ;  msbs: dst=0 src0=0 src1=0 src2=0
	v_add_f32_e32 v9, v9, v11
	s_set_vgpr_msb 5                        ;  msbs: dst=0 src0=1 src1=1 src2=0
	v_mul_f32_e32 v11, v0 /*v256*/, v5 /*v261*/
	s_delay_alu instid0(VALU_DEP_1) | instskip(SKIP_1) | instid1(VALU_DEP_1)
	v_fmac_f32_e32 v11, v1 /*v257*/, v4 /*v260*/
	s_set_vgpr_msb 0                        ;  msbs: dst=0 src0=0 src1=0 src2=0
	v_add_f32_e32 v9, v9, v11
	s_set_vgpr_msb 5                        ;  msbs: dst=0 src0=1 src1=1 src2=0
	v_mul_f32_e32 v11, v6 /*v262*/, v11 /*v267*/
	s_delay_alu instid0(VALU_DEP_1) | instskip(SKIP_1) | instid1(VALU_DEP_1)
	v_fmac_f32_e32 v11, v7 /*v263*/, v10 /*v266*/
	s_set_vgpr_msb 0                        ;  msbs: dst=0 src0=0 src1=0 src2=0
	v_add_f32_e32 v9, v9, v11
	s_set_vgpr_msb 5                        ;  msbs: dst=0 src0=1 src1=1 src2=0
	v_mul_f32_e32 v11, v8 /*v264*/, v13 /*v269*/
	s_delay_alu instid0(VALU_DEP_1) | instskip(SKIP_1) | instid1(VALU_DEP_1)
	v_fmac_f32_e32 v11, v9 /*v265*/, v12 /*v268*/
	s_set_vgpr_msb 0                        ;  msbs: dst=0 src0=0 src1=0 src2=0
	v_add_f32_e32 v9, v9, v11
	s_set_vgpr_msb 5                        ;  msbs: dst=0 src0=1 src1=1 src2=0
	v_mul_f32_e32 v11, v14 /*v270*/, v19 /*v275*/
	s_delay_alu instid0(VALU_DEP_1) | instskip(SKIP_1) | instid1(VALU_DEP_1)
	v_fmac_f32_e32 v11, v15 /*v271*/, v18 /*v274*/
	s_set_vgpr_msb 64                       ;  msbs: dst=1 src0=0 src1=0 src2=0
	v_add_f32_e32 v43 /*v299*/, v9, v11
	s_set_vgpr_msb 0                        ;  msbs: dst=0 src0=0 src1=0 src2=0
	v_dual_mul_f32 v9, v127, v131 :: v_dual_mul_f32 v11, v129, v133
	s_delay_alu instid0(VALU_DEP_1) | instskip(NEXT) | instid1(VALU_DEP_1)
	v_dual_fma_f32 v9, v126, v130, -v9 :: v_dual_fma_f32 v11, v128, v132, -v11
	v_add_f32_e32 v9, 0, v9
	s_delay_alu instid0(VALU_DEP_1) | instskip(SKIP_1) | instid1(VALU_DEP_1)
	v_add_f32_e32 v9, v9, v11
	v_mul_f32_e32 v11, v135, v139
	v_fma_f32 v11, v134, v138, -v11
	s_delay_alu instid0(VALU_DEP_1) | instskip(SKIP_1) | instid1(VALU_DEP_1)
	v_add_f32_e32 v9, v9, v11
	v_mul_f32_e32 v11, v137, v141
	v_fma_f32 v11, v136, v140, -v11
	ds_load_2addr_b64 v[126:129], v7 offset0:117 offset1:118
	ds_load_2addr_b64 v[130:133], v7 offset0:119 offset1:120
	;; [unrolled: 1-line block ×3, first 2 shown]
	ds_load_b64 v[138:139], v7 offset:984
	v_add_f32_e32 v9, v9, v11
	v_mul_f32_e32 v11, v143, v147
	s_set_vgpr_msb 1                        ;  msbs: dst=0 src0=1 src1=0 src2=0
	v_mov_b32_e32 v143, v24 /*v280*/
	s_set_vgpr_msb 0                        ;  msbs: dst=0 src0=0 src1=0 src2=0
	s_delay_alu instid0(VALU_DEP_2) | instskip(SKIP_3) | instid1(VALU_DEP_2)
	v_fma_f32 v11, v142, v146, -v11
	s_set_vgpr_msb 1                        ;  msbs: dst=0 src0=1 src1=0 src2=0
	v_mov_b32_e32 v142, v25 /*v281*/
	s_set_vgpr_msb 0                        ;  msbs: dst=0 src0=0 src1=0 src2=0
	v_add_f32_e32 v9, v9, v11
	v_mul_f32_e32 v11, v145, v149
	s_delay_alu instid0(VALU_DEP_1) | instskip(SKIP_3) | instid1(VALU_DEP_2)
	v_fma_f32 v11, v144, v148, -v11
	s_set_vgpr_msb 1                        ;  msbs: dst=0 src0=1 src1=0 src2=0
	v_mov_b32_e32 v144, v29 /*v285*/
	s_set_vgpr_msb 0                        ;  msbs: dst=0 src0=0 src1=0 src2=0
	v_add_f32_e32 v9, v9, v11
	v_mul_f32_e32 v11, v151, v155
	s_delay_alu instid0(VALU_DEP_3) | instskip(NEXT) | instid1(VALU_DEP_2)
	v_pk_mul_f32 v[142:143], v[142:143], v[144:145] op_sel_hi:[1,0]
	v_fma_f32 v11, v150, v154, -v11
	s_set_vgpr_msb 5                        ;  msbs: dst=0 src0=1 src1=1 src2=0
	s_delay_alu instid0(VALU_DEP_2) | instskip(SKIP_3) | instid1(VALU_DEP_2)
	v_pk_fma_f32 v[144:145], v[24:25] /*v[280:281]*/, v[28:29] /*v[284:285]*/, v[142:143] neg_lo:[0,0,1] neg_hi:[0,0,1]
	v_pk_fma_f32 v[142:143], v[24:25] /*v[280:281]*/, v[28:29] /*v[284:285]*/, v[142:143] op_sel_hi:[1,0,1]
	s_set_vgpr_msb 0                        ;  msbs: dst=0 src0=0 src1=0 src2=0
	v_add_f32_e32 v9, v9, v11
	v_dual_mul_f32 v11, v153, v157 :: v_dual_mov_b32 v145, v143
	s_wait_loadcnt_dscnt 0x303
	s_set_vgpr_msb 4                        ;  msbs: dst=0 src0=0 src1=1 src2=0
	v_pk_mul_f32 v[142:143], v[126:127], v[30:31] /*v[286:287]*/ op_sel:[1,1] op_sel_hi:[0,1]
	s_set_vgpr_msb 0                        ;  msbs: dst=0 src0=0 src1=0 src2=0
	v_fma_f32 v11, v152, v156, -v11
	s_delay_alu instid0(VALU_DEP_1) | instskip(SKIP_1) | instid1(VALU_DEP_1)
	v_add_f32_e32 v9, v9, v11
	v_mul_f32_e32 v11, v159, v163
	v_fma_f32 v11, v158, v162, -v11
	s_delay_alu instid0(VALU_DEP_1) | instskip(SKIP_1) | instid1(VALU_DEP_1)
	v_add_f32_e32 v9, v9, v11
	v_mul_f32_e32 v11, v161, v165
	v_fma_f32 v11, v160, v164, -v11
	s_delay_alu instid0(VALU_DEP_1) | instskip(SKIP_1) | instid1(VALU_DEP_1)
	v_add_f32_e32 v9, v9, v11
	v_mul_f32_e32 v11, v167, v171
	v_fma_f32 v11, v166, v170, -v11
	s_delay_alu instid0(VALU_DEP_1) | instskip(SKIP_1) | instid1(VALU_DEP_1)
	v_add_f32_e32 v9, v9, v11
	v_mul_f32_e32 v11, v169, v173
	v_fma_f32 v11, v168, v172, -v11
	s_delay_alu instid0(VALU_DEP_1) | instskip(SKIP_1) | instid1(VALU_DEP_1)
	v_add_f32_e32 v9, v9, v11
	v_mul_f32_e32 v11, v175, v179
	v_fma_f32 v11, v174, v178, -v11
	s_delay_alu instid0(VALU_DEP_1) | instskip(SKIP_1) | instid1(VALU_DEP_1)
	v_add_f32_e32 v9, v9, v11
	v_mul_f32_e32 v11, v177, v181
	v_fma_f32 v11, v176, v180, -v11
	s_delay_alu instid0(VALU_DEP_1) | instskip(SKIP_1) | instid1(VALU_DEP_1)
	v_add_f32_e32 v9, v9, v11
	v_mul_f32_e32 v11, v183, v187
	v_fma_f32 v11, v182, v186, -v11
	s_delay_alu instid0(VALU_DEP_1) | instskip(SKIP_1) | instid1(VALU_DEP_1)
	v_add_f32_e32 v9, v9, v11
	v_mul_f32_e32 v11, v185, v189
	v_fma_f32 v11, v184, v188, -v11
	s_delay_alu instid0(VALU_DEP_1) | instskip(SKIP_1) | instid1(VALU_DEP_1)
	v_add_f32_e32 v9, v9, v11
	v_mul_f32_e32 v11, v191, v195
	v_fma_f32 v11, v190, v194, -v11
	s_delay_alu instid0(VALU_DEP_1) | instskip(SKIP_1) | instid1(VALU_DEP_1)
	v_add_f32_e32 v9, v9, v11
	v_mul_f32_e32 v11, v193, v197
	v_fma_f32 v11, v192, v196, -v11
	s_delay_alu instid0(VALU_DEP_1) | instskip(SKIP_1) | instid1(VALU_DEP_1)
	v_add_f32_e32 v9, v9, v11
	v_mul_f32_e32 v11, v199, v203
	v_fma_f32 v11, v198, v202, -v11
	s_delay_alu instid0(VALU_DEP_1) | instskip(SKIP_1) | instid1(VALU_DEP_1)
	v_add_f32_e32 v9, v9, v11
	v_mul_f32_e32 v11, v201, v205
	v_fma_f32 v11, v200, v204, -v11
	s_delay_alu instid0(VALU_DEP_1) | instskip(SKIP_1) | instid1(VALU_DEP_1)
	v_add_f32_e32 v9, v9, v11
	v_mul_f32_e32 v11, v207, v211
	v_fma_f32 v11, v206, v210, -v11
	s_delay_alu instid0(VALU_DEP_1) | instskip(SKIP_1) | instid1(VALU_DEP_1)
	v_add_f32_e32 v9, v9, v11
	v_mul_f32_e32 v11, v209, v213
	v_fma_f32 v11, v208, v212, -v11
	s_delay_alu instid0(VALU_DEP_1) | instskip(SKIP_1) | instid1(VALU_DEP_1)
	v_add_f32_e32 v9, v9, v11
	v_mul_f32_e32 v11, v215, v219
	v_fma_f32 v11, v214, v218, -v11
	s_delay_alu instid0(VALU_DEP_1) | instskip(SKIP_1) | instid1(VALU_DEP_1)
	v_add_f32_e32 v9, v9, v11
	v_mul_f32_e32 v11, v217, v221
	v_fma_f32 v11, v216, v220, -v11
	s_delay_alu instid0(VALU_DEP_1) | instskip(SKIP_1) | instid1(VALU_DEP_1)
	v_add_f32_e32 v9, v9, v11
	v_mul_f32_e32 v11, v223, v227
	v_fma_f32 v11, v222, v226, -v11
	s_delay_alu instid0(VALU_DEP_1) | instskip(SKIP_1) | instid1(VALU_DEP_1)
	v_add_f32_e32 v9, v9, v11
	v_mul_f32_e32 v11, v225, v229
	v_fma_f32 v11, v224, v228, -v11
	s_delay_alu instid0(VALU_DEP_1) | instskip(SKIP_1) | instid1(VALU_DEP_1)
	v_add_f32_e32 v9, v9, v11
	v_mul_f32_e32 v11, v231, v235
	v_fma_f32 v11, v230, v234, -v11
	s_delay_alu instid0(VALU_DEP_1) | instskip(SKIP_1) | instid1(VALU_DEP_1)
	v_add_f32_e32 v9, v9, v11
	v_mul_f32_e32 v11, v233, v237
	v_fma_f32 v11, v232, v236, -v11
	s_delay_alu instid0(VALU_DEP_1) | instskip(SKIP_1) | instid1(VALU_DEP_1)
	v_add_f32_e32 v9, v9, v11
	v_mul_f32_e32 v11, v239, v243
	v_fma_f32 v11, v238, v242, -v11
	s_delay_alu instid0(VALU_DEP_1) | instskip(SKIP_1) | instid1(VALU_DEP_1)
	v_add_f32_e32 v9, v9, v11
	v_mul_f32_e32 v11, v241, v245
	v_fma_f32 v11, v240, v244, -v11
	s_delay_alu instid0(VALU_DEP_1) | instskip(SKIP_1) | instid1(VALU_DEP_1)
	v_add_f32_e32 v9, v9, v11
	v_mul_f32_e32 v11, v247, v251
	v_fma_f32 v11, v246, v250, -v11
	s_delay_alu instid0(VALU_DEP_1) | instskip(SKIP_1) | instid1(VALU_DEP_1)
	v_add_f32_e32 v9, v9, v11
	v_mul_f32_e32 v11, v249, v253
	v_fma_f32 v11, v248, v252, -v11
	s_delay_alu instid0(VALU_DEP_1) | instskip(SKIP_2) | instid1(VALU_DEP_1)
	v_add_f32_e32 v9, v9, v11
	s_set_vgpr_msb 4                        ;  msbs: dst=0 src0=0 src1=1 src2=0
	v_mul_f32_e32 v11, v255, v3 /*v259*/
	v_fma_f32 v11, v254, v2 /*v258*/, -v11
	s_set_vgpr_msb 0                        ;  msbs: dst=0 src0=0 src1=0 src2=0
	s_delay_alu instid0(VALU_DEP_1) | instskip(SKIP_2) | instid1(VALU_DEP_1)
	v_add_f32_e32 v9, v9, v11
	s_set_vgpr_msb 5                        ;  msbs: dst=0 src0=1 src1=1 src2=0
	v_mul_f32_e32 v11, v1 /*v257*/, v5 /*v261*/
	v_fma_f32 v11, v0 /*v256*/, v4 /*v260*/, -v11
	s_set_vgpr_msb 0                        ;  msbs: dst=0 src0=0 src1=0 src2=0
	s_delay_alu instid0(VALU_DEP_1) | instskip(SKIP_2) | instid1(VALU_DEP_1)
	v_add_f32_e32 v9, v9, v11
	s_set_vgpr_msb 5                        ;  msbs: dst=0 src0=1 src1=1 src2=0
	v_mul_f32_e32 v11, v7 /*v263*/, v11 /*v267*/
	v_fma_f32 v11, v6 /*v262*/, v10 /*v266*/, -v11
	;; [unrolled: 6-line block ×4, first 2 shown]
	s_set_vgpr_msb 64                       ;  msbs: dst=1 src0=0 src1=0 src2=0
	s_delay_alu instid0(VALU_DEP_1) | instskip(SKIP_3) | instid1(VALU_DEP_1)
	v_add_f32_e32 v42 /*v298*/, v9, v11
	s_set_vgpr_msb 5                        ;  msbs: dst=0 src0=1 src1=1 src2=0
	v_mul_f32_e32 v9, v17 /*v273*/, v21 /*v277*/
	s_set_vgpr_msb 0x45                     ;  msbs: dst=1 src0=1 src1=1 src2=0
	v_fma_f32 v44 /*v300*/, v16 /*v272*/, v20 /*v276*/, -v9
	s_set_vgpr_msb 5                        ;  msbs: dst=0 src0=1 src1=1 src2=0
	v_mul_f32_e32 v9, v23 /*v279*/, v27 /*v283*/
	s_set_vgpr_msb 0x45                     ;  msbs: dst=1 src0=1 src1=1 src2=0
	s_delay_alu instid0(VALU_DEP_1) | instskip(SKIP_3) | instid1(VALU_DEP_1)
	v_fma_f32 v46 /*v302*/, v22 /*v278*/, v26 /*v282*/, -v9
	s_set_vgpr_msb 5                        ;  msbs: dst=0 src0=1 src1=1 src2=0
	v_pk_add_f32 v[140:141], v[42:43] /*v[298:299]*/, v[44:45] /*v[300:301]*/
	s_set_vgpr_msb 4                        ;  msbs: dst=0 src0=0 src1=1 src2=0
	v_pk_add_f32 v[140:141], v[140:141], v[46:47] /*v[302:303]*/
	s_set_vgpr_msb 0                        ;  msbs: dst=0 src0=0 src1=0 src2=0
	s_delay_alu instid0(VALU_DEP_1)
	v_pk_add_f32 v[140:141], v[140:141], v[144:145]
	s_set_vgpr_msb 4                        ;  msbs: dst=0 src0=0 src1=1 src2=0
	v_pk_fma_f32 v[144:145], v[126:127], v[30:31] /*v[286:287]*/, v[142:143] neg_lo:[0,0,1] neg_hi:[0,0,1]
	v_pk_fma_f32 v[126:127], v[126:127], v[30:31] /*v[286:287]*/, v[142:143] op_sel_hi:[1,0,1]
	s_set_vgpr_msb 1                        ;  msbs: dst=0 src0=1 src1=0 src2=0
	v_mov_b32_e32 v142, v33 /*v289*/
	s_set_vgpr_msb 0                        ;  msbs: dst=0 src0=0 src1=0 src2=0
	s_delay_alu instid0(VALU_DEP_2) | instskip(NEXT) | instid1(VALU_DEP_1)
	v_mov_b32_e32 v145, v127
	v_pk_add_f32 v[126:127], v[140:141], v[144:145]
	v_dual_mov_b32 v140, v129 :: v_dual_mov_b32 v141, v128
	s_delay_alu instid0(VALU_DEP_1) | instskip(SKIP_1) | instid1(VALU_DEP_1)
	v_pk_mul_f32 v[140:141], v[140:141], v[142:143] op_sel_hi:[1,0]
	s_set_vgpr_msb 4                        ;  msbs: dst=0 src0=0 src1=1 src2=0
	v_pk_fma_f32 v[142:143], v[128:129], v[32:33] /*v[288:289]*/, v[140:141] neg_lo:[0,0,1] neg_hi:[0,0,1]
	v_pk_fma_f32 v[128:129], v[128:129], v[32:33] /*v[288:289]*/, v[140:141] op_sel_hi:[1,0,1]
	s_delay_alu instid0(VALU_DEP_1) | instskip(SKIP_3) | instid1(VALU_DEP_2)
	v_mov_b32_e32 v143, v129
	s_wait_loadcnt_dscnt 0x202
	v_pk_mul_f32 v[128:129], v[130:131], v[34:35] /*v[290:291]*/ op_sel:[1,1] op_sel_hi:[0,1]
	s_set_vgpr_msb 0                        ;  msbs: dst=0 src0=0 src1=0 src2=0
	v_pk_add_f32 v[126:127], v[126:127], v[142:143]
	s_set_vgpr_msb 4                        ;  msbs: dst=0 src0=0 src1=1 src2=0
	s_delay_alu instid0(VALU_DEP_2)
	v_pk_fma_f32 v[140:141], v[130:131], v[34:35] /*v[290:291]*/, v[128:129] neg_lo:[0,0,1] neg_hi:[0,0,1]
	v_pk_fma_f32 v[128:129], v[130:131], v[34:35] /*v[290:291]*/, v[128:129] op_sel_hi:[1,0,1]
	v_mov_b32_e32 v128, v133
	s_set_vgpr_msb 1                        ;  msbs: dst=0 src0=1 src1=0 src2=0
	v_mov_b32_e32 v130, v37 /*v293*/
	s_set_vgpr_msb 0                        ;  msbs: dst=0 src0=0 src1=0 src2=0
	v_dual_mov_b32 v141, v129 :: v_dual_mov_b32 v129, v132
	s_delay_alu instid0(VALU_DEP_1) | instskip(NEXT) | instid1(VALU_DEP_2)
	v_pk_add_f32 v[126:127], v[126:127], v[140:141]
	v_pk_mul_f32 v[128:129], v[128:129], v[130:131] op_sel_hi:[1,0]
	s_set_vgpr_msb 4                        ;  msbs: dst=0 src0=0 src1=1 src2=0
	s_delay_alu instid0(VALU_DEP_1) | instskip(SKIP_1) | instid1(VALU_DEP_1)
	v_pk_fma_f32 v[130:131], v[132:133], v[36:37] /*v[292:293]*/, v[128:129] neg_lo:[0,0,1] neg_hi:[0,0,1]
	v_pk_fma_f32 v[128:129], v[132:133], v[36:37] /*v[292:293]*/, v[128:129] op_sel_hi:[1,0,1]
	v_mov_b32_e32 v131, v129
	s_wait_loadcnt_dscnt 0x101
	v_pk_mul_f32 v[128:129], v[134:135], v[38:39] /*v[294:295]*/ op_sel:[1,1] op_sel_hi:[0,1]
	s_set_vgpr_msb 0                        ;  msbs: dst=0 src0=0 src1=0 src2=0
	s_delay_alu instid0(VALU_DEP_2) | instskip(SKIP_1) | instid1(VALU_DEP_2)
	v_pk_add_f32 v[126:127], v[126:127], v[130:131]
	s_set_vgpr_msb 4                        ;  msbs: dst=0 src0=0 src1=1 src2=0
	v_pk_fma_f32 v[130:131], v[134:135], v[38:39] /*v[294:295]*/, v[128:129] neg_lo:[0,0,1] neg_hi:[0,0,1]
	v_pk_fma_f32 v[128:129], v[134:135], v[38:39] /*v[294:295]*/, v[128:129] op_sel_hi:[1,0,1]
	s_delay_alu instid0(VALU_DEP_1) | instskip(SKIP_2) | instid1(VALU_DEP_2)
	v_dual_mov_b32 v128, v137 :: v_dual_mov_b32 v131, v129
	v_mov_b32_e32 v129, v136
	s_set_vgpr_msb 0                        ;  msbs: dst=0 src0=0 src1=0 src2=0
	v_pk_add_f32 v[126:127], v[126:127], v[130:131]
	s_set_vgpr_msb 1                        ;  msbs: dst=0 src0=1 src1=0 src2=0
	v_mov_b32_e32 v130, v41 /*v297*/
	s_set_vgpr_msb 0                        ;  msbs: dst=0 src0=0 src1=0 src2=0
	s_delay_alu instid0(VALU_DEP_1) | instskip(SKIP_1) | instid1(VALU_DEP_1)
	v_pk_mul_f32 v[128:129], v[128:129], v[130:131] op_sel_hi:[1,0]
	s_set_vgpr_msb 4                        ;  msbs: dst=0 src0=0 src1=1 src2=0
	v_pk_fma_f32 v[130:131], v[136:137], v[40:41] /*v[296:297]*/, v[128:129] neg_lo:[0,0,1] neg_hi:[0,0,1]
	v_pk_fma_f32 v[128:129], v[136:137], v[40:41] /*v[296:297]*/, v[128:129] op_sel_hi:[1,0,1]
	s_delay_alu instid0(VALU_DEP_1) | instskip(SKIP_3) | instid1(VALU_DEP_2)
	v_mov_b32_e32 v131, v129
	s_wait_loadcnt_dscnt 0x0
	v_pk_mul_f32 v[128:129], v[138:139], v[48:49] /*v[304:305]*/ op_sel:[1,1] op_sel_hi:[0,1]
	s_set_vgpr_msb 0                        ;  msbs: dst=0 src0=0 src1=0 src2=0
	v_pk_add_f32 v[126:127], v[126:127], v[130:131]
	s_set_vgpr_msb 4                        ;  msbs: dst=0 src0=0 src1=1 src2=0
	s_delay_alu instid0(VALU_DEP_2) | instskip(SKIP_1) | instid1(VALU_DEP_1)
	v_pk_fma_f32 v[130:131], v[138:139], v[48:49] /*v[304:305]*/, v[128:129] neg_lo:[0,0,1] neg_hi:[0,0,1]
	v_pk_fma_f32 v[128:129], v[138:139], v[48:49] /*v[304:305]*/, v[128:129] op_sel_hi:[1,0,1]
	v_mov_b32_e32 v131, v129
	scratch_load_b64 v[128:129], off, off offset:112
	s_set_vgpr_msb 0                        ;  msbs: dst=0 src0=0 src1=0 src2=0
	v_pk_add_f32 v[126:127], v[126:127], v[130:131]
	s_wait_loadcnt 0x0
	s_delay_alu instid0(VALU_DEP_1)
	v_pk_add_f32 v[126:127], v[128:129], v[126:127] neg_lo:[0,1] neg_hi:[0,1]
	scratch_store_b64 off, v[126:127], off offset:112
	s_wait_xcnt 0x0
	v_cmpx_lt_u32_e32 13, v0
	s_cbranch_execz .LBB61_359
; %bb.358:
	scratch_load_b64 v[126:127], off, off offset:104
	v_mov_b64_e32 v[128:129], 0
	scratch_store_b64 off, v[128:129], off offset:104
	s_wait_loadcnt 0x0
	ds_store_b64 v1, v[126:127]
.LBB61_359:
	s_wait_xcnt 0x0
	s_or_b32 exec_lo, exec_lo, s0
	s_wait_storecnt_dscnt 0x0
	s_barrier_signal -1
	s_barrier_wait -1
	s_clause 0x17
	scratch_load_b128 v[126:129], off, off offset:112
	scratch_load_b128 v[130:133], off, off offset:128
	scratch_load_b128 v[134:137], off, off offset:144
	scratch_load_b128 v[138:141], off, off offset:160
	scratch_load_b128 v[142:145], off, off offset:176
	scratch_load_b128 v[146:149], off, off offset:192
	scratch_load_b128 v[150:153], off, off offset:208
	scratch_load_b128 v[154:157], off, off offset:224
	scratch_load_b128 v[158:161], off, off offset:240
	scratch_load_b128 v[162:165], off, off offset:256
	scratch_load_b128 v[166:169], off, off offset:272
	scratch_load_b128 v[170:173], off, off offset:288
	scratch_load_b128 v[174:177], off, off offset:304
	scratch_load_b128 v[178:181], off, off offset:320
	scratch_load_b128 v[182:185], off, off offset:336
	scratch_load_b128 v[186:189], off, off offset:352
	scratch_load_b128 v[190:193], off, off offset:368
	scratch_load_b128 v[194:197], off, off offset:384
	scratch_load_b128 v[198:201], off, off offset:400
	scratch_load_b128 v[202:205], off, off offset:416
	scratch_load_b128 v[206:209], off, off offset:432
	scratch_load_b128 v[210:213], off, off offset:448
	scratch_load_b128 v[214:217], off, off offset:464
	scratch_load_b128 v[218:221], off, off offset:480
	ds_load_b128 v[222:225], v7 offset:608
	ds_load_b128 v[226:229], v7 offset:624
	;; [unrolled: 1-line block ×6, first 2 shown]
	s_set_vgpr_msb 64                       ;  msbs: dst=1 src0=0 src1=0 src2=0
	scratch_load_b64 v[62:63] /*v[318:319]*/, off, off offset:104
	s_set_vgpr_msb 0                        ;  msbs: dst=0 src0=0 src1=0 src2=0
	ds_load_b128 v[246:249], v7 offset:672
	ds_load_b128 v[250:253], v7 offset:688
	;; [unrolled: 1-line block ×3, first 2 shown]
	s_set_vgpr_msb 64                       ;  msbs: dst=1 src0=0 src1=0 src2=0
	ds_load_b128 v[2:5] /*v[258:261]*/, v7 offset:976
	ds_load_b128 v[6:9] /*v[262:265]*/, v7 offset:704
	;; [unrolled: 1-line block ×15, first 2 shown]
	s_mov_b32 s0, exec_lo
	s_wait_dscnt 0xf
	s_set_vgpr_msb 0x41                     ;  msbs: dst=1 src0=1 src1=0 src2=0
	v_dual_mov_b32 v68 /*v324*/, v1 /*v257*/ :: v_dual_mov_b32 v69 /*v325*/, v0 /*v256*/
	s_wait_dscnt 0xe
	v_dual_mov_b32 v70 /*v326*/, v5 /*v261*/ :: v_dual_mov_b32 v71 /*v327*/, v4 /*v260*/
	s_set_vgpr_msb 64                       ;  msbs: dst=1 src0=0 src1=0 src2=0
	v_dual_mov_b32 v64 /*v320*/, v241 :: v_dual_mov_b32 v65 /*v321*/, v240
	v_dual_mov_b32 v66 /*v322*/, v245 :: v_dual_mov_b32 v67 /*v323*/, v244
	s_wait_loadcnt 0x18
	s_set_vgpr_msb 0                        ;  msbs: dst=0 src0=0 src1=0 src2=0
	v_dual_mul_f32 v7, v222, v127 :: v_dual_mul_f32 v9, v224, v129
	v_dual_mul_f32 v83, v223, v127 :: v_dual_mul_f32 v85, v225, v129
	s_wait_loadcnt 0x17
	v_dual_mul_f32 v11, v226, v131 :: v_dual_mul_f32 v13, v228, v133
	s_delay_alu instid0(VALU_DEP_3) | instskip(SKIP_3) | instid1(VALU_DEP_3)
	v_dual_fmac_f32 v7, v223, v126 :: v_dual_fmac_f32 v9, v225, v128
	s_wait_loadcnt 0x15
	v_dual_fma_f32 v83, v222, v126, -v83 :: v_dual_mul_f32 v95, v235, v139
	v_dual_mul_f32 v87, v227, v131 :: v_dual_mul_f32 v89, v229, v133
	v_dual_fma_f32 v85, v224, v128, -v85 :: v_dual_add_f32 v7, 0, v7
	s_delay_alu instid0(VALU_DEP_3) | instskip(SKIP_1) | instid1(VALU_DEP_3)
	v_dual_add_f32 v83, 0, v83 :: v_dual_mul_f32 v97, v237, v141
	v_dual_fmac_f32 v11, v227, v130 :: v_dual_fmac_f32 v13, v229, v132
	v_dual_fma_f32 v87, v226, v130, -v87 :: v_dual_add_f32 v7, v7, v9
	s_delay_alu instid0(VALU_DEP_3) | instskip(SKIP_2) | instid1(VALU_DEP_4)
	v_dual_add_f32 v9, v83, v85 :: v_dual_fma_f32 v85, v228, v132, -v89
	v_dual_mul_f32 v15, v230, v135 :: v_dual_mul_f32 v17, v232, v137
	v_dual_mul_f32 v91, v231, v135 :: v_dual_mul_f32 v93, v233, v137
	v_add_f32_e32 v7, v7, v11
	s_delay_alu instid0(VALU_DEP_3) | instskip(NEXT) | instid1(VALU_DEP_3)
	v_dual_add_f32 v9, v9, v87 :: v_dual_fmac_f32 v15, v231, v134
	v_fma_f32 v87, v230, v134, -v91
	v_dual_mul_f32 v19, v234, v139 :: v_dual_mul_f32 v21, v236, v141
	s_delay_alu instid0(VALU_DEP_4) | instskip(SKIP_2) | instid1(VALU_DEP_2)
	v_dual_add_f32 v7, v7, v13 :: v_dual_fmac_f32 v17, v233, v136
	s_wait_loadcnt 0x13
	v_dual_add_f32 v9, v9, v85 :: v_dual_mul_f32 v13, v251, v147
	v_dual_fma_f32 v85, v232, v136, -v93 :: v_dual_add_f32 v7, v7, v15
	v_mul_f32_e32 v15, v253, v149
	s_delay_alu instid0(VALU_DEP_3) | instskip(NEXT) | instid1(VALU_DEP_3)
	v_dual_add_f32 v9, v9, v87 :: v_dual_fmac_f32 v19, v235, v138
	v_dual_fma_f32 v87, v234, v138, -v95 :: v_dual_add_f32 v7, v7, v17
	v_fmac_f32_e32 v21, v237, v140
	s_delay_alu instid0(VALU_DEP_3) | instskip(SKIP_3) | instid1(VALU_DEP_3)
	v_dual_add_f32 v9, v9, v85 :: v_dual_fma_f32 v85, v236, v140, -v97
	v_dual_mul_f32 v23, v246, v143 :: v_dual_mul_f32 v25, v248, v145
	v_dual_mul_f32 v83, v247, v143 :: v_dual_mul_f32 v11, v249, v145
	v_add_f32_e32 v7, v7, v19
	v_dual_add_f32 v9, v9, v87 :: v_dual_fmac_f32 v23, v247, v142
	s_delay_alu instid0(VALU_DEP_3) | instskip(SKIP_1) | instid1(VALU_DEP_4)
	v_fma_f32 v83, v246, v142, -v83
	v_dual_mul_f32 v27, v250, v147 :: v_dual_mul_f32 v29, v252, v149
	v_dual_add_f32 v7, v7, v21 :: v_dual_fmac_f32 v25, v249, v144
	s_delay_alu instid0(VALU_DEP_4) | instskip(NEXT) | instid1(VALU_DEP_3)
	v_dual_add_f32 v9, v9, v85 :: v_dual_fma_f32 v11, v248, v144, -v11
	v_fmac_f32_e32 v27, v251, v146
	s_delay_alu instid0(VALU_DEP_3) | instskip(NEXT) | instid1(VALU_DEP_3)
	v_dual_add_f32 v7, v7, v23 :: v_dual_fma_f32 v13, v250, v146, -v13
	v_add_f32_e32 v9, v9, v83
	s_wait_loadcnt_dscnt 0x120d
	s_set_vgpr_msb 1                        ;  msbs: dst=0 src0=1 src1=0 src2=0
	v_dual_mul_f32 v31, v6 /*v262*/, v151 :: v_dual_mul_f32 v33, v8 /*v264*/, v153
	s_set_vgpr_msb 0                        ;  msbs: dst=0 src0=0 src1=0 src2=0
	v_add_f32_e32 v7, v7, v25
	s_set_vgpr_msb 1                        ;  msbs: dst=0 src0=1 src1=0 src2=0
	v_dual_mul_f32 v17, v7 /*v263*/, v151 :: v_dual_mul_f32 v19, v9 /*v265*/, v153
	s_set_vgpr_msb 0                        ;  msbs: dst=0 src0=0 src1=0 src2=0
	v_add_f32_e32 v9, v9, v11
	v_dual_fmac_f32 v29, v253, v148 :: v_dual_fma_f32 v15, v252, v148, -v15
	v_add_f32_e32 v7, v7, v27
	s_set_vgpr_msb 1                        ;  msbs: dst=0 src0=1 src1=0 src2=0
	v_dual_fmac_f32 v31, v7 /*v263*/, v150 :: v_dual_fma_f32 v17, v6 /*v262*/, v150, -v17
	s_set_vgpr_msb 0                        ;  msbs: dst=0 src0=0 src1=0 src2=0
	v_add_f32_e32 v9, v9, v13
	s_wait_loadcnt_dscnt 0x110c
	s_set_vgpr_msb 1                        ;  msbs: dst=0 src0=1 src1=0 src2=0
	v_dual_mul_f32 v35, v10 /*v266*/, v155 :: v_dual_mul_f32 v37, v12 /*v268*/, v157
	s_set_vgpr_msb 0                        ;  msbs: dst=0 src0=0 src1=0 src2=0
	v_add_f32_e32 v7, v7, v29
	s_set_vgpr_msb 1                        ;  msbs: dst=0 src0=1 src1=0 src2=0
	v_dual_mul_f32 v21, v11 /*v267*/, v155 :: v_dual_mul_f32 v23, v13 /*v269*/, v157
	s_set_vgpr_msb 0                        ;  msbs: dst=0 src0=0 src1=0 src2=0
	v_add_f32_e32 v9, v9, v15
	s_wait_loadcnt_dscnt 0xf0a
	s_set_vgpr_msb 1                        ;  msbs: dst=0 src0=1 src1=0 src2=0
	v_dual_mul_f32 v15, v19 /*v275*/, v163 :: v_dual_fmac_f32 v33, v9 /*v265*/, v152
	v_fma_f32 v19, v8 /*v264*/, v152, -v19
	s_set_vgpr_msb 0                        ;  msbs: dst=0 src0=0 src1=0 src2=0
	v_dual_add_f32 v7, v7, v31 :: v_dual_add_f32 v9, v9, v17
	s_set_vgpr_msb 1                        ;  msbs: dst=0 src0=1 src1=0 src2=0
	v_dual_mul_f32 v17, v21 /*v277*/, v165 :: v_dual_fmac_f32 v35, v11 /*v267*/, v154
	v_fma_f32 v21, v10 /*v266*/, v154, -v21
	s_set_vgpr_msb 0                        ;  msbs: dst=0 src0=0 src1=0 src2=0
	v_dual_add_f32 v7, v7, v33 :: v_dual_add_f32 v9, v9, v19
	s_set_vgpr_msb 1                        ;  msbs: dst=0 src0=1 src1=0 src2=0
	v_dual_mul_f32 v11, v15 /*v271*/, v159 :: v_dual_mul_f32 v13, v17 /*v273*/, v161
	s_wait_loadcnt_dscnt 0xe09
	v_dual_mul_f32 v19, v23 /*v279*/, v167 :: v_dual_fmac_f32 v37, v13 /*v269*/, v156
	v_fma_f32 v23, v12 /*v268*/, v156, -v23
	s_set_vgpr_msb 0                        ;  msbs: dst=0 src0=0 src1=0 src2=0
	v_dual_add_f32 v7, v7, v35 :: v_dual_add_f32 v9, v9, v21
	s_set_vgpr_msb 1                        ;  msbs: dst=0 src0=1 src1=0 src2=0
	v_dual_mul_f32 v39, v14 /*v270*/, v159 :: v_dual_mul_f32 v41, v16 /*v272*/, v161
	v_dual_mul_f32 v21, v25 /*v281*/, v169 :: v_dual_fma_f32 v11, v14 /*v270*/, v158, -v11
	s_set_vgpr_msb 0                        ;  msbs: dst=0 src0=0 src1=0 src2=0
	v_dual_add_f32 v7, v7, v37 :: v_dual_add_f32 v9, v9, v23
	s_set_vgpr_msb 1                        ;  msbs: dst=0 src0=1 src1=0 src2=0
	v_dual_fmac_f32 v39, v15 /*v271*/, v158 :: v_dual_fmac_f32 v41, v17 /*v273*/, v160
	s_wait_loadcnt_dscnt 0xd08
	v_dual_mul_f32 v23, v27 /*v283*/, v171 :: v_dual_fma_f32 v13, v16 /*v272*/, v160, -v13
	s_set_vgpr_msb 0                        ;  msbs: dst=0 src0=0 src1=0 src2=0
	v_add_f32_e32 v9, v9, v11
	s_set_vgpr_msb 1                        ;  msbs: dst=0 src0=1 src1=0 src2=0
	v_dual_mul_f32 v43, v18 /*v274*/, v163 :: v_dual_mul_f32 v45, v20 /*v276*/, v165
	v_mul_f32_e32 v11, v29 /*v285*/, v173
	s_set_vgpr_msb 0                        ;  msbs: dst=0 src0=0 src1=0 src2=0
	v_dual_add_f32 v7, v7, v39 :: v_dual_add_f32 v9, v9, v13
	s_wait_loadcnt_dscnt 0xc07
	s_set_vgpr_msb 1                        ;  msbs: dst=0 src0=1 src1=0 src2=0
	v_dual_fma_f32 v15, v18 /*v274*/, v162, -v15 :: v_dual_mul_f32 v13, v31 /*v287*/, v175
	v_dual_fmac_f32 v43, v19 /*v275*/, v162 :: v_dual_fmac_f32 v45, v21 /*v277*/, v164
	s_set_vgpr_msb 0                        ;  msbs: dst=0 src0=0 src1=0 src2=0
	v_add_f32_e32 v7, v7, v41
	s_set_vgpr_msb 1                        ;  msbs: dst=0 src0=1 src1=0 src2=0
	v_fma_f32 v17, v20 /*v276*/, v164, -v17
	s_set_vgpr_msb 0                        ;  msbs: dst=0 src0=0 src1=0 src2=0
	v_add_f32_e32 v9, v9, v15
	s_set_vgpr_msb 1                        ;  msbs: dst=0 src0=1 src1=0 src2=0
	v_dual_mul_f32 v47, v22 /*v278*/, v167 :: v_dual_mul_f32 v49, v24 /*v280*/, v169
	v_mul_f32_e32 v15, v33 /*v289*/, v177
	s_set_vgpr_msb 0                        ;  msbs: dst=0 src0=0 src1=0 src2=0
	v_dual_add_f32 v7, v7, v43 :: v_dual_add_f32 v9, v9, v17
	s_wait_loadcnt_dscnt 0xb06
	s_set_vgpr_msb 1                        ;  msbs: dst=0 src0=1 src1=0 src2=0
	v_dual_fma_f32 v19, v22 /*v278*/, v166, -v19 :: v_dual_mul_f32 v17, v35 /*v291*/, v179
	v_dual_fmac_f32 v47, v23 /*v279*/, v166 :: v_dual_fmac_f32 v49, v25 /*v281*/, v168
	s_set_vgpr_msb 0                        ;  msbs: dst=0 src0=0 src1=0 src2=0
	v_add_f32_e32 v7, v7, v45
	s_set_vgpr_msb 1                        ;  msbs: dst=0 src0=1 src1=0 src2=0
	v_fma_f32 v21, v24 /*v280*/, v168, -v21
	s_set_vgpr_msb 0                        ;  msbs: dst=0 src0=0 src1=0 src2=0
	v_add_f32_e32 v9, v9, v19
	s_set_vgpr_msb 1                        ;  msbs: dst=0 src0=1 src1=0 src2=0
	v_dual_mul_f32 v51, v26 /*v282*/, v171 :: v_dual_mul_f32 v53, v28 /*v284*/, v173
	v_mul_f32_e32 v19, v37 /*v293*/, v181
	s_set_vgpr_msb 0                        ;  msbs: dst=0 src0=0 src1=0 src2=0
	v_dual_add_f32 v7, v7, v47 :: v_dual_add_f32 v9, v9, v21
	s_wait_loadcnt_dscnt 0xa05
	s_set_vgpr_msb 1                        ;  msbs: dst=0 src0=1 src1=0 src2=0
	v_dual_fma_f32 v23, v26 /*v282*/, v170, -v23 :: v_dual_mul_f32 v21, v39 /*v295*/, v183
	v_dual_mul_f32 v55, v30 /*v286*/, v175 :: v_dual_mul_f32 v57, v32 /*v288*/, v177
	v_dual_mul_f32 v59, v34 /*v290*/, v179 :: v_dual_mul_f32 v61, v36 /*v292*/, v181
	v_dual_fmac_f32 v51, v27 /*v283*/, v170 :: v_dual_fmac_f32 v53, v29 /*v285*/, v172
	v_fma_f32 v11, v28 /*v284*/, v172, -v11
	s_set_vgpr_msb 0                        ;  msbs: dst=0 src0=0 src1=0 src2=0
	v_dual_add_f32 v9, v9, v23 :: v_dual_add_f32 v7, v7, v49
	s_set_vgpr_msb 1                        ;  msbs: dst=0 src0=1 src1=0 src2=0
	v_dual_mul_f32 v23, v41 /*v297*/, v185 :: v_dual_fmac_f32 v55, v31 /*v287*/, v174
	v_fma_f32 v13, v30 /*v286*/, v174, -v13
	v_dual_fmac_f32 v57, v33 /*v289*/, v176 :: v_dual_fmac_f32 v59, v35 /*v291*/, v178
	s_set_vgpr_msb 0                        ;  msbs: dst=0 src0=0 src1=0 src2=0
	v_add_f32_e32 v9, v9, v11
	s_set_vgpr_msb 1                        ;  msbs: dst=0 src0=1 src1=0 src2=0
	v_dual_mul_f32 v63, v38 /*v294*/, v183 :: v_dual_mul_f32 v65, v40 /*v296*/, v185
	s_set_vgpr_msb 0                        ;  msbs: dst=0 src0=0 src1=0 src2=0
	v_add_f32_e32 v7, v7, v51
	s_wait_loadcnt_dscnt 0x904
	s_set_vgpr_msb 1                        ;  msbs: dst=0 src0=1 src1=0 src2=0
	v_dual_mul_f32 v11, v43 /*v299*/, v187 :: v_dual_fma_f32 v15, v32 /*v288*/, v176, -v15
	s_set_vgpr_msb 0                        ;  msbs: dst=0 src0=0 src1=0 src2=0
	v_add_f32_e32 v9, v9, v13
	s_set_vgpr_msb 1                        ;  msbs: dst=0 src0=1 src1=0 src2=0
	v_dual_mul_f32 v13, v45 /*v301*/, v189 :: v_dual_fma_f32 v17, v34 /*v290*/, v178, -v17
	s_set_vgpr_msb 0                        ;  msbs: dst=0 src0=0 src1=0 src2=0
	v_add_f32_e32 v7, v7, v53
	s_set_vgpr_msb 1                        ;  msbs: dst=0 src0=1 src1=0 src2=0
	v_dual_fmac_f32 v61, v37 /*v293*/, v180 :: v_dual_fmac_f32 v63, v39 /*v295*/, v182
	s_set_vgpr_msb 0                        ;  msbs: dst=0 src0=0 src1=0 src2=0
	v_add_f32_e32 v9, v9, v15
	s_set_vgpr_msb 1                        ;  msbs: dst=0 src0=1 src1=0 src2=0
	v_dual_mul_f32 v67, v42 /*v298*/, v187 :: v_dual_mul_f32 v69, v44 /*v300*/, v189
	s_set_vgpr_msb 0                        ;  msbs: dst=0 src0=0 src1=0 src2=0
	v_add_f32_e32 v7, v7, v55
	s_wait_loadcnt_dscnt 0x803
	s_set_vgpr_msb 1                        ;  msbs: dst=0 src0=1 src1=0 src2=0
	v_dual_mul_f32 v15, v47 /*v303*/, v191 :: v_dual_fma_f32 v19, v36 /*v292*/, v180, -v19
	s_set_vgpr_msb 0                        ;  msbs: dst=0 src0=0 src1=0 src2=0
	v_add_f32_e32 v9, v9, v17
	s_set_vgpr_msb 1                        ;  msbs: dst=0 src0=1 src1=0 src2=0
	v_dual_mul_f32 v17, v49 /*v305*/, v193 :: v_dual_fma_f32 v21, v38 /*v294*/, v182, -v21
	s_set_vgpr_msb 0                        ;  msbs: dst=0 src0=0 src1=0 src2=0
	v_add_f32_e32 v7, v7, v57
	s_set_vgpr_msb 1                        ;  msbs: dst=0 src0=1 src1=0 src2=0
	v_dual_fmac_f32 v65, v41 /*v297*/, v184 :: v_dual_fmac_f32 v67, v43 /*v299*/, v186
	s_set_vgpr_msb 0                        ;  msbs: dst=0 src0=0 src1=0 src2=0
	v_add_f32_e32 v9, v9, v19
	s_set_vgpr_msb 1                        ;  msbs: dst=0 src0=1 src1=0 src2=0
	v_dual_mul_f32 v71, v46 /*v302*/, v191 :: v_dual_mul_f32 v73, v48 /*v304*/, v193
	s_set_vgpr_msb 0                        ;  msbs: dst=0 src0=0 src1=0 src2=0
	v_add_f32_e32 v7, v7, v59
	s_wait_loadcnt_dscnt 0x702
	s_set_vgpr_msb 1                        ;  msbs: dst=0 src0=1 src1=0 src2=0
	v_dual_mul_f32 v19, v51 /*v307*/, v195 :: v_dual_fma_f32 v23, v40 /*v296*/, v184, -v23
	s_set_vgpr_msb 0                        ;  msbs: dst=0 src0=0 src1=0 src2=0
	v_add_f32_e32 v9, v9, v21
	s_set_vgpr_msb 1                        ;  msbs: dst=0 src0=1 src1=0 src2=0
	v_dual_mul_f32 v75, v50 /*v306*/, v195 :: v_dual_mul_f32 v77, v52 /*v308*/, v197
	s_set_vgpr_msb 0                        ;  msbs: dst=0 src0=0 src1=0 src2=0
	v_add_f32_e32 v7, v7, v61
	s_set_vgpr_msb 1                        ;  msbs: dst=0 src0=1 src1=0 src2=0
	v_dual_mul_f32 v21, v53 /*v309*/, v197 :: v_dual_fma_f32 v11, v42 /*v298*/, v186, -v11
	v_dual_fmac_f32 v69, v45 /*v301*/, v188 :: v_dual_fmac_f32 v71, v47 /*v303*/, v190
	s_set_vgpr_msb 0                        ;  msbs: dst=0 src0=0 src1=0 src2=0
	v_add_f32_e32 v9, v9, v23
	s_wait_loadcnt_dscnt 0x601
	s_set_vgpr_msb 1                        ;  msbs: dst=0 src0=1 src1=0 src2=0
	v_dual_mul_f32 v23, v55 /*v311*/, v199 :: v_dual_fma_f32 v13, v44 /*v300*/, v188, -v13
	v_dual_fmac_f32 v73, v49 /*v305*/, v192 :: v_dual_fmac_f32 v75, v51 /*v307*/, v194
	s_set_vgpr_msb 0                        ;  msbs: dst=0 src0=0 src1=0 src2=0
	v_add_f32_e32 v9, v9, v11
	v_add_f32_e32 v7, v7, v63
	s_set_vgpr_msb 1                        ;  msbs: dst=0 src0=1 src1=0 src2=0
	v_dual_mul_f32 v79, v54 /*v310*/, v199 :: v_dual_mul_f32 v81, v56 /*v312*/, v201
	v_dual_mul_f32 v11, v57 /*v313*/, v201 :: v_dual_fma_f32 v15, v46 /*v302*/, v190, -v15
	s_set_vgpr_msb 0                        ;  msbs: dst=0 src0=0 src1=0 src2=0
	v_add_f32_e32 v9, v9, v13
	v_add_f32_e32 v7, v7, v65
	s_wait_loadcnt_dscnt 0x500
	s_set_vgpr_msb 1                        ;  msbs: dst=0 src0=1 src1=0 src2=0
	v_dual_mul_f32 v13, v59 /*v315*/, v203 :: v_dual_fma_f32 v17, v48 /*v304*/, v192, -v17
	v_dual_fmac_f32 v77, v53 /*v309*/, v196 :: v_dual_fmac_f32 v79, v55 /*v311*/, v198
	s_set_vgpr_msb 0                        ;  msbs: dst=0 src0=0 src1=0 src2=0
	v_add_f32_e32 v9, v9, v15
	v_add_f32_e32 v7, v7, v67
	s_set_vgpr_msb 1                        ;  msbs: dst=0 src0=1 src1=0 src2=0
	v_dual_mul_f32 v15, v61 /*v317*/, v205 :: v_dual_fma_f32 v19, v50 /*v306*/, v194, -v19
	s_wait_loadcnt 0x4
	s_set_vgpr_msb 0                        ;  msbs: dst=0 src0=0 src1=0 src2=0
	v_mov_b32_e32 v128, v209
	v_add_f32_e32 v9, v9, v17
	v_add_f32_e32 v7, v7, v69
	s_set_vgpr_msb 1                        ;  msbs: dst=0 src0=1 src1=0 src2=0
	v_fma_f32 v17, v52 /*v308*/, v196, -v21
	v_dual_fmac_f32 v81, v57 /*v313*/, v200 :: v_dual_fma_f32 v11, v56 /*v312*/, v200, -v11
	s_set_vgpr_msb 0                        ;  msbs: dst=0 src0=0 src1=0 src2=0
	v_add_f32_e32 v9, v9, v19
	v_add_f32_e32 v7, v7, v71
	s_set_vgpr_msb 1                        ;  msbs: dst=0 src0=1 src1=0 src2=0
	v_fma_f32 v19, v54 /*v310*/, v198, -v23
	s_set_vgpr_msb 0x41                     ;  msbs: dst=1 src0=1 src1=0 src2=0
	v_dual_mul_f32 v73 /*v329*/, v58 /*v314*/, v203 :: v_dual_mul_f32 v75 /*v331*/, v60 /*v316*/, v205
	s_set_vgpr_msb 0                        ;  msbs: dst=0 src0=0 src1=0 src2=0
	v_add_f32_e32 v9, v9, v17
	v_add_f32_e32 v7, v7, v73
	v_pk_mul_f32 v[126:127], v[238:239], v[206:207] op_sel:[1,1] op_sel_hi:[0,1]
	s_wait_loadcnt 0x3
	v_mov_b32_e32 v132, v213
	s_set_vgpr_msb 0x41                     ;  msbs: dst=1 src0=1 src1=0 src2=0
	v_dual_fmac_f32 v73 /*v329*/, v59 /*v315*/, v202 :: v_dual_fmac_f32 v75 /*v331*/, v61 /*v317*/, v204
	s_set_vgpr_msb 0                        ;  msbs: dst=0 src0=0 src1=0 src2=0
	v_add_f32_e32 v7, v7, v75
	v_add_f32_e32 v9, v9, v19
	s_set_vgpr_msb 0x41                     ;  msbs: dst=1 src0=1 src1=0 src2=0
	v_dual_fma_f32 v72 /*v328*/, v58 /*v314*/, v202, -v13 :: v_dual_fma_f32 v74 /*v330*/, v60 /*v316*/, v204, -v15
	s_set_vgpr_msb 0                        ;  msbs: dst=0 src0=0 src1=0 src2=0
	v_pk_fma_f32 v[136:137], v[238:239], v[206:207], v[126:127] op_sel_hi:[1,0,1]
	v_dual_add_f32 v7, v7, v77 :: v_dual_add_f32 v134, v9, v11
	s_set_vgpr_msb 1                        ;  msbs: dst=0 src0=1 src1=0 src2=0
	v_pk_mul_f32 v[128:129], v[64:65] /*v[320:321]*/, v[128:129] op_sel_hi:[1,0]
	s_set_vgpr_msb 0                        ;  msbs: dst=0 src0=0 src1=0 src2=0
	v_pk_fma_f32 v[126:127], v[238:239], v[206:207], v[126:127] neg_lo:[0,0,1] neg_hi:[0,0,1]
	v_pk_mul_f32 v[130:131], v[242:243], v[210:211] op_sel:[1,1] op_sel_hi:[0,1]
	v_dual_add_f32 v7, v7, v79 :: v_dual_mov_b32 v127, v137
	v_pk_fma_f32 v[136:137], v[240:241], v[208:209], v[128:129] op_sel_hi:[1,0,1]
	v_pk_fma_f32 v[128:129], v[240:241], v[208:209], v[128:129] neg_lo:[0,0,1] neg_hi:[0,0,1]
	s_delay_alu instid0(VALU_DEP_4) | instskip(NEXT) | instid1(VALU_DEP_4)
	v_pk_fma_f32 v[140:141], v[242:243], v[210:211], v[130:131] op_sel_hi:[1,0,1]
	v_add_f32_e32 v135, v7, v81
	s_set_vgpr_msb 1                        ;  msbs: dst=0 src0=1 src1=0 src2=0
	v_pk_mul_f32 v[132:133], v[66:67] /*v[322:323]*/, v[132:133] op_sel_hi:[1,0]
	s_set_vgpr_msb 0                        ;  msbs: dst=0 src0=0 src1=0 src2=0
	v_mov_b32_e32 v129, v137
	s_wait_loadcnt 0x2
	v_pk_mul_f32 v[138:139], v[254:255], v[214:215] op_sel:[1,1] op_sel_hi:[0,1]
	v_pk_fma_f32 v[130:131], v[242:243], v[210:211], v[130:131] neg_lo:[0,0,1] neg_hi:[0,0,1]
	s_set_vgpr_msb 4                        ;  msbs: dst=0 src0=0 src1=1 src2=0
	v_pk_add_f32 v[134:135], v[134:135], v[72:73] /*v[328:329]*/
	v_mov_b32_e32 v131, v141
	s_set_vgpr_msb 0                        ;  msbs: dst=0 src0=0 src1=0 src2=0
	v_pk_fma_f32 v[136:137], v[244:245], v[212:213], v[132:133] op_sel_hi:[1,0,1]
	v_pk_fma_f32 v[132:133], v[244:245], v[212:213], v[132:133] neg_lo:[0,0,1] neg_hi:[0,0,1]
	s_set_vgpr_msb 4                        ;  msbs: dst=0 src0=0 src1=1 src2=0
	v_pk_add_f32 v[134:135], v[134:135], v[74:75] /*v[330:331]*/
	s_set_vgpr_msb 0                        ;  msbs: dst=0 src0=0 src1=0 src2=0
	s_delay_alu instid0(VALU_DEP_1) | instskip(SKIP_1) | instid1(VALU_DEP_2)
	v_pk_add_f32 v[126:127], v[134:135], v[126:127]
	v_mov_b32_e32 v134, v217
	v_pk_add_f32 v[126:127], v[126:127], v[128:129]
	v_pk_fma_f32 v[128:129], v[254:255], v[214:215], v[138:139] op_sel_hi:[1,0,1]
	s_set_vgpr_msb 1                        ;  msbs: dst=0 src0=1 src1=0 src2=0
	s_delay_alu instid0(VALU_DEP_3)
	v_pk_mul_f32 v[134:135], v[68:69] /*v[324:325]*/, v[134:135] op_sel_hi:[1,0]
	s_set_vgpr_msb 0                        ;  msbs: dst=0 src0=0 src1=0 src2=0
	v_mov_b32_e32 v133, v137
	v_pk_fma_f32 v[136:137], v[254:255], v[214:215], v[138:139] neg_lo:[0,0,1] neg_hi:[0,0,1]
	v_pk_add_f32 v[126:127], v[126:127], v[130:131]
	v_mov_b32_e32 v137, v129
	s_set_vgpr_msb 1                        ;  msbs: dst=0 src0=1 src1=0 src2=0
	v_pk_fma_f32 v[128:129], v[0:1] /*v[256:257]*/, v[216:217], v[134:135] op_sel_hi:[1,0,1]
	s_wait_loadcnt 0x1
	v_pk_mul_f32 v[130:131], v[2:3] /*v[258:259]*/, v[218:219] op_sel:[1,1] op_sel_hi:[0,1]
	s_set_vgpr_msb 0                        ;  msbs: dst=0 src0=0 src1=0 src2=0
	v_mov_b32_e32 v128, v221
	v_pk_add_f32 v[126:127], v[126:127], v[132:133]
	s_set_vgpr_msb 1                        ;  msbs: dst=0 src0=1 src1=0 src2=0
	v_pk_fma_f32 v[134:135], v[0:1] /*v[256:257]*/, v[216:217], v[134:135] neg_lo:[0,0,1] neg_hi:[0,0,1]
	s_set_vgpr_msb 0                        ;  msbs: dst=0 src0=0 src1=0 src2=0
	v_mov_b32_e32 v135, v129
	s_set_vgpr_msb 1                        ;  msbs: dst=0 src0=1 src1=0 src2=0
	v_pk_fma_f32 v[132:133], v[2:3] /*v[258:259]*/, v[218:219], v[130:131] op_sel_hi:[1,0,1]
	v_pk_mul_f32 v[128:129], v[70:71] /*v[326:327]*/, v[128:129] op_sel_hi:[1,0]
	s_set_vgpr_msb 0                        ;  msbs: dst=0 src0=0 src1=0 src2=0
	v_pk_add_f32 v[126:127], v[126:127], v[136:137]
	s_set_vgpr_msb 1                        ;  msbs: dst=0 src0=1 src1=0 src2=0
	v_pk_fma_f32 v[130:131], v[2:3] /*v[258:259]*/, v[218:219], v[130:131] neg_lo:[0,0,1] neg_hi:[0,0,1]
	s_set_vgpr_msb 0                        ;  msbs: dst=0 src0=0 src1=0 src2=0
	v_mov_b32_e32 v131, v133
	s_set_vgpr_msb 1                        ;  msbs: dst=0 src0=1 src1=0 src2=0
	v_pk_fma_f32 v[132:133], v[4:5] /*v[260:261]*/, v[220:221], v[128:129] op_sel_hi:[1,0,1]
	s_set_vgpr_msb 0                        ;  msbs: dst=0 src0=0 src1=0 src2=0
	v_pk_add_f32 v[126:127], v[126:127], v[134:135]
	s_set_vgpr_msb 1                        ;  msbs: dst=0 src0=1 src1=0 src2=0
	v_pk_fma_f32 v[128:129], v[4:5] /*v[260:261]*/, v[220:221], v[128:129] neg_lo:[0,0,1] neg_hi:[0,0,1]
	s_set_vgpr_msb 0                        ;  msbs: dst=0 src0=0 src1=0 src2=0
	v_mov_b32_e32 v129, v133
	v_pk_add_f32 v[126:127], v[126:127], v[130:131]
	s_delay_alu instid0(VALU_DEP_1) | instskip(SKIP_2) | instid1(VALU_DEP_1)
	v_pk_add_f32 v[126:127], v[126:127], v[128:129]
	s_wait_loadcnt 0x0
	s_set_vgpr_msb 1                        ;  msbs: dst=0 src0=1 src1=0 src2=0
	v_pk_add_f32 v[126:127], v[62:63] /*v[318:319]*/, v[126:127] neg_lo:[0,1] neg_hi:[0,1]
	scratch_store_b64 off, v[126:127], off offset:104
	s_wait_xcnt 0x0
	v_cmpx_lt_u32_e32 12, v0
	s_set_vgpr_msb 0                        ;  msbs: dst=0 src0=0 src1=0 src2=0
	s_cbranch_execz .LBB61_361
; %bb.360:
	scratch_load_b64 v[126:127], off, off offset:96
	v_mov_b64_e32 v[128:129], 0
	scratch_store_b64 off, v[128:129], off offset:96
	s_wait_loadcnt 0x0
	ds_store_b64 v1, v[126:127]
.LBB61_361:
	s_wait_xcnt 0x0
	s_or_b32 exec_lo, exec_lo, s0
	s_wait_storecnt_dscnt 0x0
	s_barrier_signal -1
	s_barrier_wait -1
	s_clause 0x1a
	scratch_load_b128 v[126:129], off, off offset:104
	scratch_load_b128 v[130:133], off, off offset:120
	;; [unrolled: 1-line block ×24, first 2 shown]
	s_set_vgpr_msb 64                       ;  msbs: dst=1 src0=0 src1=0 src2=0
	scratch_load_b64 v[62:63] /*v[318:319]*/, off, off offset:488
	scratch_load_b64 v[64:65] /*v[320:321]*/, off, off offset:96
	s_set_vgpr_msb 0                        ;  msbs: dst=0 src0=0 src1=0 src2=0
	v_mov_b32_e32 v7, 0
	ds_load_2addr_b64 v[222:225], v7 offset0:75 offset1:76
	ds_load_2addr_b64 v[226:229], v7 offset0:77 offset1:78
	ds_load_2addr_b64 v[230:233], v7 offset0:79 offset1:80
	ds_load_2addr_b64 v[234:237], v7 offset0:81 offset1:82
	ds_load_2addr_b64 v[238:241], v7 offset0:115 offset1:116
	ds_load_2addr_b64 v[242:245], v7 offset0:83 offset1:84
	ds_load_2addr_b64 v[246:249], v7 offset0:85 offset1:86
	ds_load_2addr_b64 v[250:253], v7 offset0:117 offset1:118
	ds_load_2addr_b64 v[254:257], v7 offset0:119 offset1:120
	s_set_vgpr_msb 64                       ;  msbs: dst=1 src0=0 src1=0 src2=0
	ds_load_2addr_b64 v[2:5] /*v[258:261]*/, v7 offset0:87 offset1:88
	ds_load_2addr_b64 v[6:9] /*v[262:265]*/, v7 offset0:89 offset1:90
	;; [unrolled: 1-line block ×15, first 2 shown]
	ds_load_b64 v[66:67] /*v[322:323]*/, v7 offset:984
	s_wait_dscnt 0x14
	v_dual_mov_b32 v68 /*v324*/, v241 :: v_dual_mov_b32 v69 /*v325*/, v240
	s_wait_dscnt 0x11
	v_dual_mov_b32 v70 /*v326*/, v253 :: v_dual_mov_b32 v71 /*v327*/, v252
	s_wait_dscnt 0x10
	s_set_vgpr_msb 0x41                     ;  msbs: dst=1 src0=1 src1=0 src2=0
	v_dual_mov_b32 v72 /*v328*/, v1 /*v257*/ :: v_dual_mov_b32 v73 /*v329*/, v0 /*v256*/
	s_wait_dscnt 0xd
	v_dual_mov_b32 v74 /*v330*/, v13 /*v269*/ :: v_dual_mov_b32 v75 /*v331*/, v12 /*v268*/
	s_mov_b32 s0, exec_lo
	s_wait_loadcnt 0x19
	s_set_vgpr_msb 0                        ;  msbs: dst=0 src0=0 src1=0 src2=0
	v_dual_mul_f32 v9, v222, v127 :: v_dual_mul_f32 v87, v223, v127
	s_wait_loadcnt 0x18
	v_dual_mul_f32 v11, v224, v129 :: v_dual_mul_f32 v13, v226, v131
	v_dual_mul_f32 v89, v225, v129 :: v_dual_mul_f32 v91, v227, v131
	s_wait_loadcnt 0x14
	v_dual_mul_f32 v31, v248, v149 :: v_dual_fmac_f32 v9, v223, v126
	v_dual_fma_f32 v87, v222, v126, -v87 :: v_dual_mul_f32 v101, v237, v141
	s_delay_alu instid0(VALU_DEP_3) | instskip(SKIP_1) | instid1(VALU_DEP_3)
	v_dual_fma_f32 v89, v224, v128, -v89 :: v_dual_fmac_f32 v11, v225, v128
	v_dual_mul_f32 v15, v228, v133 :: v_dual_mul_f32 v17, v230, v135
	v_dual_add_f32 v87, 0, v87 :: v_dual_add_f32 v9, 0, v9
	v_dual_mul_f32 v93, v229, v133 :: v_dual_mul_f32 v95, v231, v135
	v_dual_mul_f32 v103, v243, v143 :: v_dual_fma_f32 v91, v226, v130, -v91
	s_wait_loadcnt_dscnt 0x601
	s_set_vgpr_msb 1                        ;  msbs: dst=0 src0=1 src1=0 src2=0
	v_mul_f32_e32 v85, v58 /*v314*/, v203
	s_set_vgpr_msb 0                        ;  msbs: dst=0 src0=0 src1=0 src2=0
	v_dual_fmac_f32 v13, v227, v130 :: v_dual_add_f32 v9, v9, v11
	v_dual_add_f32 v11, v87, v89 :: v_dual_fmac_f32 v15, v229, v132
	v_dual_mul_f32 v87, v245, v145 :: v_dual_fma_f32 v89, v228, v132, -v93
	s_delay_alu instid0(VALU_DEP_2) | instskip(SKIP_3) | instid1(VALU_DEP_4)
	v_dual_add_f32 v9, v9, v13 :: v_dual_add_f32 v11, v11, v91
	v_dual_mul_f32 v19, v232, v137 :: v_dual_mul_f32 v21, v234, v139
	v_dual_mul_f32 v97, v233, v137 :: v_dual_mul_f32 v99, v235, v139
	v_dual_mul_f32 v13, v247, v147 :: v_dual_fma_f32 v91, v230, v134, -v95
	v_dual_fmac_f32 v17, v231, v134 :: v_dual_add_f32 v9, v9, v15
	s_delay_alu instid0(VALU_DEP_4) | instskip(NEXT) | instid1(VALU_DEP_4)
	v_dual_add_f32 v11, v11, v89 :: v_dual_fmac_f32 v19, v233, v136
	v_dual_mul_f32 v15, v249, v149 :: v_dual_fma_f32 v89, v232, v136, -v97
	s_delay_alu instid0(VALU_DEP_2) | instskip(SKIP_2) | instid1(VALU_DEP_3)
	v_dual_add_f32 v9, v9, v17 :: v_dual_add_f32 v11, v11, v91
	v_dual_mul_f32 v23, v236, v141 :: v_dual_mul_f32 v25, v242, v143
	v_dual_fmac_f32 v21, v235, v138 :: v_dual_fma_f32 v91, v234, v138, -v99
	v_dual_add_f32 v9, v9, v19 :: v_dual_add_f32 v11, v11, v89
	s_delay_alu instid0(VALU_DEP_3) | instskip(SKIP_1) | instid1(VALU_DEP_3)
	v_dual_fmac_f32 v23, v237, v140 :: v_dual_fma_f32 v89, v236, v140, -v101
	v_dual_mul_f32 v27, v244, v145 :: v_dual_mul_f32 v29, v246, v147
	v_dual_add_f32 v9, v9, v21 :: v_dual_add_f32 v11, v11, v91
	v_dual_fmac_f32 v25, v243, v142 :: v_dual_fma_f32 v91, v242, v142, -v103
	s_set_vgpr_msb 1                        ;  msbs: dst=0 src0=1 src1=0 src2=0
	v_dual_mul_f32 v33, v2 /*v258*/, v151 :: v_dual_mul_f32 v35, v4 /*v260*/, v153
	s_set_vgpr_msb 0                        ;  msbs: dst=0 src0=0 src1=0 src2=0
	v_dual_add_f32 v9, v9, v23 :: v_dual_add_f32 v11, v11, v89
	v_fmac_f32_e32 v27, v245, v144
	v_fma_f32 v87, v244, v144, -v87
	s_set_vgpr_msb 1                        ;  msbs: dst=0 src0=1 src1=0 src2=0
	v_dual_mul_f32 v17, v3 /*v259*/, v151 :: v_dual_mul_f32 v19, v5 /*v261*/, v153
	s_set_vgpr_msb 0                        ;  msbs: dst=0 src0=0 src1=0 src2=0
	v_dual_add_f32 v9, v9, v25 :: v_dual_add_f32 v11, v11, v91
	v_fmac_f32_e32 v29, v247, v146
	v_fma_f32 v13, v246, v146, -v13
	s_set_vgpr_msb 1                        ;  msbs: dst=0 src0=1 src1=0 src2=0
	v_fmac_f32_e32 v33, v3 /*v259*/, v150
	s_set_vgpr_msb 0                        ;  msbs: dst=0 src0=0 src1=0 src2=0
	v_add_f32_e32 v9, v9, v27
	v_dual_add_f32 v11, v11, v87 :: v_dual_fmac_f32 v31, v249, v148
	v_fma_f32 v15, v248, v148, -v15
	s_set_vgpr_msb 1                        ;  msbs: dst=0 src0=1 src1=0 src2=0
	v_fma_f32 v17, v2 /*v258*/, v150, -v17
	s_set_vgpr_msb 0                        ;  msbs: dst=0 src0=0 src1=0 src2=0
	v_add_f32_e32 v9, v9, v29
	v_add_f32_e32 v11, v11, v13
	s_set_vgpr_msb 1                        ;  msbs: dst=0 src0=1 src1=0 src2=0
	v_mul_f32_e32 v13, v19 /*v275*/, v163
	v_dual_mul_f32 v37, v6 /*v262*/, v155 :: v_dual_mul_f32 v39, v8 /*v264*/, v157
	v_dual_mul_f32 v21, v7 /*v263*/, v155 :: v_dual_mul_f32 v23, v9 /*v265*/, v157
	s_set_vgpr_msb 0                        ;  msbs: dst=0 src0=0 src1=0 src2=0
	v_add_f32_e32 v11, v11, v15
	v_add_f32_e32 v9, v9, v31
	s_set_vgpr_msb 1                        ;  msbs: dst=0 src0=1 src1=0 src2=0
	v_mul_f32_e32 v15, v21 /*v277*/, v165
	v_fmac_f32_e32 v35, v5 /*v261*/, v152
	v_dual_fma_f32 v19, v4 /*v260*/, v152, -v19 :: v_dual_fmac_f32 v37, v7 /*v263*/, v154
	s_set_vgpr_msb 0                        ;  msbs: dst=0 src0=0 src1=0 src2=0
	v_add_f32_e32 v11, v11, v17
	v_add_f32_e32 v9, v9, v33
	s_set_vgpr_msb 1                        ;  msbs: dst=0 src0=1 src1=0 src2=0
	v_dual_mul_f32 v17, v23 /*v279*/, v167 :: v_dual_fma_f32 v21, v6 /*v262*/, v154, -v21
	v_dual_mul_f32 v41, v14 /*v270*/, v159 :: v_dual_mul_f32 v43, v16 /*v272*/, v161
	s_set_vgpr_msb 0                        ;  msbs: dst=0 src0=0 src1=0 src2=0
	v_add_f32_e32 v11, v11, v19
	s_set_vgpr_msb 1                        ;  msbs: dst=0 src0=1 src1=0 src2=0
	v_mul_f32_e32 v19, v25 /*v281*/, v169
	s_set_vgpr_msb 0                        ;  msbs: dst=0 src0=0 src1=0 src2=0
	v_add_f32_e32 v9, v9, v35
	s_set_vgpr_msb 1                        ;  msbs: dst=0 src0=1 src1=0 src2=0
	v_dual_mul_f32 v25, v15 /*v271*/, v159 :: v_dual_mul_f32 v27, v17 /*v273*/, v161
	v_fmac_f32_e32 v39, v9 /*v265*/, v156
	v_dual_fma_f32 v23, v8 /*v264*/, v156, -v23 :: v_dual_fmac_f32 v41, v15 /*v271*/, v158
	s_set_vgpr_msb 0                        ;  msbs: dst=0 src0=0 src1=0 src2=0
	v_add_f32_e32 v11, v11, v21
	v_add_f32_e32 v9, v9, v37
	s_set_vgpr_msb 1                        ;  msbs: dst=0 src0=1 src1=0 src2=0
	v_dual_mul_f32 v21, v27 /*v283*/, v171 :: v_dual_fma_f32 v25, v14 /*v270*/, v158, -v25
	v_dual_mul_f32 v45, v18 /*v274*/, v163 :: v_dual_mul_f32 v47, v20 /*v276*/, v165
	s_set_vgpr_msb 0                        ;  msbs: dst=0 src0=0 src1=0 src2=0
	v_add_f32_e32 v11, v11, v23
	s_set_vgpr_msb 1                        ;  msbs: dst=0 src0=1 src1=0 src2=0
	v_mul_f32_e32 v23, v29 /*v285*/, v173
	s_set_vgpr_msb 0                        ;  msbs: dst=0 src0=0 src1=0 src2=0
	v_add_f32_e32 v9, v9, v39
	s_set_vgpr_msb 1                        ;  msbs: dst=0 src0=1 src1=0 src2=0
	v_fmac_f32_e32 v43, v17 /*v273*/, v160
	v_dual_fma_f32 v27, v16 /*v272*/, v160, -v27 :: v_dual_fmac_f32 v45, v19 /*v275*/, v162
	s_set_vgpr_msb 0                        ;  msbs: dst=0 src0=0 src1=0 src2=0
	v_add_f32_e32 v11, v11, v25
	v_add_f32_e32 v9, v9, v41
	s_set_vgpr_msb 1                        ;  msbs: dst=0 src0=1 src1=0 src2=0
	v_dual_mul_f32 v25, v31 /*v287*/, v175 :: v_dual_fma_f32 v13, v18 /*v274*/, v162, -v13
	v_dual_mul_f32 v49, v22 /*v278*/, v167 :: v_dual_mul_f32 v51, v24 /*v280*/, v169
	s_set_vgpr_msb 0                        ;  msbs: dst=0 src0=0 src1=0 src2=0
	v_add_f32_e32 v11, v11, v27
	s_set_vgpr_msb 1                        ;  msbs: dst=0 src0=1 src1=0 src2=0
	v_mul_f32_e32 v27, v33 /*v289*/, v177
	s_set_vgpr_msb 0                        ;  msbs: dst=0 src0=0 src1=0 src2=0
	v_add_f32_e32 v9, v9, v43
	s_set_vgpr_msb 1                        ;  msbs: dst=0 src0=1 src1=0 src2=0
	;; [unrolled: 15-line block ×9, first 2 shown]
	v_dual_fmac_f32 v75, v49 /*v305*/, v192 :: v_dual_fmac_f32 v77, v51 /*v307*/, v194
	v_dual_fma_f32 v27, v48 /*v304*/, v192, -v27 :: v_dual_fma_f32 v13, v50 /*v306*/, v194, -v13
	s_set_vgpr_msb 0                        ;  msbs: dst=0 src0=0 src1=0 src2=0
	v_add_f32_e32 v11, v11, v25
	v_add_f32_e32 v9, v9, v73
	s_set_vgpr_msb 1                        ;  msbs: dst=0 src0=1 src1=0 src2=0
	v_dual_mul_f32 v81, v54 /*v310*/, v199 :: v_dual_mul_f32 v83, v56 /*v312*/, v201
	v_fmac_f32_e32 v79, v53 /*v309*/, v196
	s_set_vgpr_msb 0                        ;  msbs: dst=0 src0=0 src1=0 src2=0
	v_add_f32_e32 v11, v11, v27
	v_add_f32_e32 v9, v9, v75
	s_set_vgpr_msb 1                        ;  msbs: dst=0 src0=1 src1=0 src2=0
	v_dual_fma_f32 v15, v52 /*v308*/, v196, -v15 :: v_dual_fmac_f32 v81, v55 /*v311*/, v198
	s_wait_loadcnt 0x4
	s_set_vgpr_msb 0                        ;  msbs: dst=0 src0=0 src1=0 src2=0
	v_dual_mov_b32 v130, v213 :: v_dual_add_f32 v11, v11, v13
	v_add_f32_e32 v9, v9, v77
	s_set_vgpr_msb 1                        ;  msbs: dst=0 src0=1 src1=0 src2=0
	v_fma_f32 v13, v54 /*v310*/, v198, -v17
	s_set_vgpr_msb 0                        ;  msbs: dst=0 src0=0 src1=0 src2=0
	v_dual_mul_f32 v25, v239, v207 :: v_dual_mov_b32 v126, v209
	v_add_f32_e32 v11, v11, v15
	v_add_f32_e32 v9, v9, v79
	s_set_vgpr_msb 1                        ;  msbs: dst=0 src0=1 src1=0 src2=0
	v_dual_fmac_f32 v83, v57 /*v313*/, v200 :: v_dual_fmac_f32 v85, v59 /*v315*/, v202
	v_fma_f32 v15, v56 /*v312*/, v200, -v19
	s_set_vgpr_msb 0                        ;  msbs: dst=0 src0=0 src1=0 src2=0
	v_add_f32_e32 v11, v11, v13
	s_set_vgpr_msb 1                        ;  msbs: dst=0 src0=1 src1=0 src2=0
	v_fma_f32 v13, v58 /*v314*/, v202, -v21
	s_set_vgpr_msb 0                        ;  msbs: dst=0 src0=0 src1=0 src2=0
	v_add_f32_e32 v9, v9, v81
	s_set_vgpr_msb 0x41                     ;  msbs: dst=1 src0=1 src1=0 src2=0
	v_dual_mul_f32 v77 /*v333*/, v60 /*v316*/, v205 :: v_dual_fma_f32 v76 /*v332*/, v60 /*v316*/, v204, -v23
	s_set_vgpr_msb 0                        ;  msbs: dst=0 src0=0 src1=0 src2=0
	v_add_f32_e32 v11, v11, v15
	s_set_vgpr_msb 1                        ;  msbs: dst=0 src0=1 src1=0 src2=0
	v_pk_mul_f32 v[126:127], v[68:69] /*v[324:325]*/, v[126:127] op_sel_hi:[1,0]
	s_set_vgpr_msb 0                        ;  msbs: dst=0 src0=0 src1=0 src2=0
	v_add_f32_e32 v9, v9, v83
	s_set_vgpr_msb 64                       ;  msbs: dst=1 src0=0 src1=0 src2=0
	v_dual_mul_f32 v79 /*v335*/, v238, v207 :: v_dual_fma_f32 v78 /*v334*/, v238, v206, -v25
	s_set_vgpr_msb 0x41                     ;  msbs: dst=1 src0=1 src1=0 src2=0
	v_fmac_f32_e32 v77 /*v333*/, v61 /*v317*/, v204
	s_set_vgpr_msb 0                        ;  msbs: dst=0 src0=0 src1=0 src2=0
	v_add_f32_e32 v134, v11, v13
	v_pk_fma_f32 v[138:139], v[240:241], v[208:209], v[126:127] op_sel_hi:[1,0,1]
	v_add_f32_e32 v135, v9, v85
	v_pk_fma_f32 v[126:127], v[240:241], v[208:209], v[126:127] neg_lo:[0,0,1] neg_hi:[0,0,1]
	v_pk_mul_f32 v[128:129], v[250:251], v[210:211] op_sel:[1,1] op_sel_hi:[0,1]
	s_set_vgpr_msb 64                       ;  msbs: dst=1 src0=0 src1=0 src2=0
	v_fmac_f32_e32 v79 /*v335*/, v239, v206
	s_set_vgpr_msb 4                        ;  msbs: dst=0 src0=0 src1=1 src2=0
	v_mov_b32_e32 v127, v139
	v_pk_add_f32 v[134:135], v[134:135], v[76:77] /*v[332:333]*/
	s_set_vgpr_msb 1                        ;  msbs: dst=0 src0=1 src1=0 src2=0
	v_pk_mul_f32 v[130:131], v[70:71] /*v[326:327]*/, v[130:131] op_sel_hi:[1,0]
	s_set_vgpr_msb 0                        ;  msbs: dst=0 src0=0 src1=0 src2=0
	v_pk_fma_f32 v[140:141], v[250:251], v[210:211], v[128:129] op_sel_hi:[1,0,1]
	v_pk_fma_f32 v[128:129], v[250:251], v[210:211], v[128:129] neg_lo:[0,0,1] neg_hi:[0,0,1]
	s_wait_loadcnt 0x3
	v_pk_mul_f32 v[132:133], v[254:255], v[214:215] op_sel:[1,1] op_sel_hi:[0,1]
	s_set_vgpr_msb 4                        ;  msbs: dst=0 src0=0 src1=1 src2=0
	v_pk_add_f32 v[134:135], v[134:135], v[78:79] /*v[334:335]*/
	v_dual_mov_b32 v136, v217 :: v_dual_mov_b32 v129, v141
	s_set_vgpr_msb 0                        ;  msbs: dst=0 src0=0 src1=0 src2=0
	v_pk_fma_f32 v[140:141], v[252:253], v[212:213], v[130:131] op_sel_hi:[1,0,1]
	v_pk_fma_f32 v[130:131], v[252:253], v[212:213], v[130:131] neg_lo:[0,0,1] neg_hi:[0,0,1]
	v_pk_add_f32 v[126:127], v[134:135], v[126:127]
	v_pk_fma_f32 v[134:135], v[254:255], v[214:215], v[132:133] op_sel_hi:[1,0,1]
	s_set_vgpr_msb 1                        ;  msbs: dst=0 src0=1 src1=0 src2=0
	v_pk_mul_f32 v[136:137], v[72:73] /*v[328:329]*/, v[136:137] op_sel_hi:[1,0]
	s_set_vgpr_msb 0                        ;  msbs: dst=0 src0=0 src1=0 src2=0
	v_mov_b32_e32 v131, v141
	v_pk_fma_f32 v[132:133], v[254:255], v[214:215], v[132:133] neg_lo:[0,0,1] neg_hi:[0,0,1]
	v_pk_add_f32 v[126:127], v[126:127], v[128:129]
	s_wait_loadcnt 0x2
	s_set_vgpr_msb 1                        ;  msbs: dst=0 src0=1 src1=0 src2=0
	v_pk_mul_f32 v[138:139], v[10:11] /*v[266:267]*/, v[218:219] op_sel:[1,1] op_sel_hi:[0,1]
	s_set_vgpr_msb 0                        ;  msbs: dst=0 src0=0 src1=0 src2=0
	v_dual_mov_b32 v128, v221 :: v_dual_mov_b32 v133, v135
	s_set_vgpr_msb 1                        ;  msbs: dst=0 src0=1 src1=0 src2=0
	v_pk_fma_f32 v[134:135], v[0:1] /*v[256:257]*/, v[216:217], v[136:137] op_sel_hi:[1,0,1]
	s_set_vgpr_msb 0                        ;  msbs: dst=0 src0=0 src1=0 src2=0
	v_pk_add_f32 v[126:127], v[126:127], v[130:131]
	s_set_vgpr_msb 1                        ;  msbs: dst=0 src0=1 src1=0 src2=0
	v_pk_fma_f32 v[136:137], v[0:1] /*v[256:257]*/, v[216:217], v[136:137] neg_lo:[0,0,1] neg_hi:[0,0,1]
	v_pk_fma_f32 v[130:131], v[10:11] /*v[266:267]*/, v[218:219], v[138:139] op_sel_hi:[1,0,1]
	v_pk_mul_f32 v[128:129], v[74:75] /*v[330:331]*/, v[128:129] op_sel_hi:[1,0]
	s_set_vgpr_msb 0                        ;  msbs: dst=0 src0=0 src1=0 src2=0
	v_mov_b32_e32 v137, v135
	v_pk_add_f32 v[126:127], v[126:127], v[132:133]
	s_set_vgpr_msb 1                        ;  msbs: dst=0 src0=1 src1=0 src2=0
	v_pk_fma_f32 v[132:133], v[10:11] /*v[266:267]*/, v[218:219], v[138:139] neg_lo:[0,0,1] neg_hi:[0,0,1]
	s_set_vgpr_msb 0                        ;  msbs: dst=0 src0=0 src1=0 src2=0
	v_mov_b32_e32 v133, v131
	s_set_vgpr_msb 1                        ;  msbs: dst=0 src0=1 src1=0 src2=0
	v_pk_fma_f32 v[130:131], v[12:13] /*v[268:269]*/, v[220:221], v[128:129] op_sel_hi:[1,0,1]
	s_wait_loadcnt_dscnt 0x100
	s_set_vgpr_msb 5                        ;  msbs: dst=0 src0=1 src1=1 src2=0
	v_pk_mul_f32 v[134:135], v[66:67] /*v[322:323]*/, v[62:63] /*v[318:319]*/ op_sel:[1,1] op_sel_hi:[0,1]
	s_set_vgpr_msb 0                        ;  msbs: dst=0 src0=0 src1=0 src2=0
	v_pk_add_f32 v[126:127], v[126:127], v[136:137]
	s_set_vgpr_msb 1                        ;  msbs: dst=0 src0=1 src1=0 src2=0
	v_pk_fma_f32 v[128:129], v[12:13] /*v[268:269]*/, v[220:221], v[128:129] neg_lo:[0,0,1] neg_hi:[0,0,1]
	s_set_vgpr_msb 0                        ;  msbs: dst=0 src0=0 src1=0 src2=0
	v_mov_b32_e32 v129, v131
	s_set_vgpr_msb 5                        ;  msbs: dst=0 src0=1 src1=1 src2=0
	v_pk_fma_f32 v[130:131], v[66:67] /*v[322:323]*/, v[62:63] /*v[318:319]*/, v[134:135] op_sel_hi:[1,0,1]
	s_set_vgpr_msb 0                        ;  msbs: dst=0 src0=0 src1=0 src2=0
	v_pk_add_f32 v[126:127], v[126:127], v[132:133]
	s_set_vgpr_msb 5                        ;  msbs: dst=0 src0=1 src1=1 src2=0
	v_pk_fma_f32 v[132:133], v[66:67] /*v[322:323]*/, v[62:63] /*v[318:319]*/, v[134:135] neg_lo:[0,0,1] neg_hi:[0,0,1]
	s_set_vgpr_msb 0                        ;  msbs: dst=0 src0=0 src1=0 src2=0
	v_mov_b32_e32 v133, v131
	v_pk_add_f32 v[126:127], v[126:127], v[128:129]
	s_delay_alu instid0(VALU_DEP_1) | instskip(SKIP_2) | instid1(VALU_DEP_1)
	v_pk_add_f32 v[126:127], v[126:127], v[132:133]
	s_wait_loadcnt 0x0
	s_set_vgpr_msb 1                        ;  msbs: dst=0 src0=1 src1=0 src2=0
	v_pk_add_f32 v[126:127], v[64:65] /*v[320:321]*/, v[126:127] neg_lo:[0,1] neg_hi:[0,1]
	scratch_store_b64 off, v[126:127], off offset:96
	s_wait_xcnt 0x0
	v_cmpx_lt_u32_e32 11, v0
	s_set_vgpr_msb 0                        ;  msbs: dst=0 src0=0 src1=0 src2=0
	s_cbranch_execz .LBB61_363
; %bb.362:
	scratch_load_b64 v[126:127], off, off offset:88
	v_mov_b64_e32 v[128:129], 0
	scratch_store_b64 off, v[128:129], off offset:88
	s_wait_loadcnt 0x0
	ds_store_b64 v1, v[126:127]
.LBB61_363:
	s_wait_xcnt 0x0
	s_or_b32 exec_lo, exec_lo, s0
	s_wait_storecnt_dscnt 0x0
	s_barrier_signal -1
	s_barrier_wait -1
	s_clause 0x18
	scratch_load_b128 v[126:129], off, off offset:96
	scratch_load_b128 v[130:133], off, off offset:112
	;; [unrolled: 1-line block ×25, first 2 shown]
	ds_load_b128 v[226:229], v7 offset:592
	ds_load_b128 v[230:233], v7 offset:608
	;; [unrolled: 1-line block ×8, first 2 shown]
	s_set_vgpr_msb 64                       ;  msbs: dst=1 src0=0 src1=0 src2=0
	ds_load_b128 v[2:5] /*v[258:261]*/, v7 offset:944
	ds_load_b128 v[6:9] /*v[262:265]*/, v7 offset:960
	;; [unrolled: 1-line block ×11, first 2 shown]
	scratch_load_b64 v[70:71] /*v[326:327]*/, off, off offset:88
	ds_load_b128 v[46:49] /*v[302:305]*/, v7 offset:816
	ds_load_b128 v[50:53] /*v[306:309]*/, v7 offset:832
	;; [unrolled: 1-line block ×6, first 2 shown]
	s_mov_b32 s0, exec_lo
	s_wait_dscnt 0x13
	v_dual_mov_b32 v72 /*v328*/, v249 :: v_dual_mov_b32 v73 /*v329*/, v248
	s_wait_dscnt 0x10
	s_set_vgpr_msb 0x41                     ;  msbs: dst=1 src0=1 src1=0 src2=0
	v_dual_mov_b32 v74 /*v330*/, v5 /*v261*/ :: v_dual_mov_b32 v75 /*v331*/, v4 /*v260*/
	s_wait_dscnt 0xf
	v_dual_mov_b32 v76 /*v332*/, v9 /*v265*/ :: v_dual_mov_b32 v77 /*v333*/, v8 /*v264*/
	s_wait_dscnt 0xc
	v_dual_mov_b32 v78 /*v334*/, v21 /*v277*/ :: v_dual_mov_b32 v79 /*v335*/, v20 /*v276*/
	s_wait_loadcnt 0x19
	s_set_vgpr_msb 0                        ;  msbs: dst=0 src0=0 src1=0 src2=0
	v_dual_mul_f32 v7, v226, v127 :: v_dual_mul_f32 v9, v228, v129
	s_wait_loadcnt 0x18
	v_dual_mul_f32 v87, v227, v127 :: v_dual_mul_f32 v93, v233, v133
	v_dual_mul_f32 v11, v230, v131 :: v_dual_mul_f32 v13, v232, v133
	s_delay_alu instid0(VALU_DEP_3) | instskip(SKIP_4) | instid1(VALU_DEP_3)
	v_dual_fmac_f32 v7, v227, v126 :: v_dual_fmac_f32 v9, v229, v128
	s_wait_loadcnt 0x14
	v_dual_mul_f32 v27, v254, v147 :: v_dual_mul_f32 v89, v229, v129
	v_dual_mul_f32 v91, v231, v131 :: v_dual_mul_f32 v97, v237, v137
	v_dual_mul_f32 v95, v235, v135 :: v_dual_fma_f32 v87, v226, v126, -v87
	v_dual_mul_f32 v99, v239, v139 :: v_dual_fma_f32 v89, v228, v128, -v89
	v_dual_add_f32 v7, 0, v7 :: v_dual_fmac_f32 v11, v231, v130
	v_fmac_f32_e32 v13, v233, v132
	s_wait_loadcnt_dscnt 0x600
	s_set_vgpr_msb 1                        ;  msbs: dst=0 src0=1 src1=0 src2=0
	v_dual_mul_f32 v85, v68 /*v324*/, v205 :: v_dual_add_f32 v87, 0, v87
	s_set_vgpr_msb 0                        ;  msbs: dst=0 src0=0 src1=0 src2=0
	v_dual_mul_f32 v101, v241, v141 :: v_dual_fma_f32 v91, v230, v130, -v91
	v_dual_add_f32 v7, v7, v9 :: v_dual_mul_f32 v15, v234, v135
	v_mul_f32_e32 v17, v236, v137
	v_dual_add_f32 v9, v87, v89 :: v_dual_fma_f32 v89, v232, v132, -v93
	s_delay_alu instid0(VALU_DEP_3) | instskip(NEXT) | instid1(VALU_DEP_4)
	v_add_f32_e32 v7, v7, v11
	v_dual_fmac_f32 v15, v235, v134 :: v_dual_mul_f32 v19, v238, v139
	s_delay_alu instid0(VALU_DEP_3) | instskip(NEXT) | instid1(VALU_DEP_3)
	v_dual_mul_f32 v21, v240, v141 :: v_dual_add_f32 v9, v9, v91
	v_dual_fma_f32 v91, v234, v134, -v95 :: v_dual_add_f32 v7, v7, v13
	v_dual_fmac_f32 v17, v237, v136 :: v_dual_mul_f32 v13, v255, v147
	s_delay_alu instid0(VALU_DEP_3) | instskip(NEXT) | instid1(VALU_DEP_3)
	v_dual_add_f32 v9, v9, v89 :: v_dual_fma_f32 v89, v236, v136, -v97
	v_add_f32_e32 v7, v7, v15
	v_dual_fmac_f32 v19, v239, v138 :: v_dual_mul_f32 v23, v250, v143
	s_delay_alu instid0(VALU_DEP_3) | instskip(NEXT) | instid1(VALU_DEP_3)
	v_dual_mul_f32 v25, v252, v145 :: v_dual_add_f32 v9, v9, v91
	v_dual_fma_f32 v91, v238, v138, -v99 :: v_dual_add_f32 v7, v7, v17
	v_dual_mul_f32 v87, v251, v143 :: v_dual_mul_f32 v11, v253, v145
	s_delay_alu instid0(VALU_DEP_3) | instskip(NEXT) | instid1(VALU_DEP_3)
	v_dual_add_f32 v9, v9, v89 :: v_dual_fma_f32 v89, v240, v140, -v101
	v_dual_fmac_f32 v21, v241, v140 :: v_dual_add_f32 v7, v7, v19
	s_delay_alu instid0(VALU_DEP_2) | instskip(NEXT) | instid1(VALU_DEP_4)
	v_dual_fmac_f32 v23, v251, v142 :: v_dual_add_f32 v9, v9, v91
	v_fma_f32 v87, v250, v142, -v87
	s_set_vgpr_msb 1                        ;  msbs: dst=0 src0=1 src1=0 src2=0
	v_dual_mul_f32 v29, v0 /*v256*/, v149 :: v_dual_mul_f32 v31, v10 /*v266*/, v151
	s_set_vgpr_msb 0                        ;  msbs: dst=0 src0=0 src1=0 src2=0
	v_add_f32_e32 v7, v7, v21
	v_dual_add_f32 v9, v9, v89 :: v_dual_fma_f32 v11, v252, v144, -v11
	v_fmac_f32_e32 v25, v253, v144
	s_set_vgpr_msb 1                        ;  msbs: dst=0 src0=1 src1=0 src2=0
	v_dual_mul_f32 v15, v1 /*v257*/, v149 :: v_dual_mul_f32 v17, v11 /*v267*/, v151
	s_set_vgpr_msb 0                        ;  msbs: dst=0 src0=0 src1=0 src2=0
	v_add_f32_e32 v7, v7, v23
	v_dual_add_f32 v9, v9, v87 :: v_dual_fmac_f32 v27, v255, v146
	v_fma_f32 v13, v254, v146, -v13
	s_set_vgpr_msb 1                        ;  msbs: dst=0 src0=1 src1=0 src2=0
	v_dual_fmac_f32 v29, v1 /*v257*/, v148 :: v_dual_fma_f32 v15, v0 /*v256*/, v148, -v15
	s_set_vgpr_msb 0                        ;  msbs: dst=0 src0=0 src1=0 src2=0
	v_add_f32_e32 v7, v7, v25
	s_set_vgpr_msb 1                        ;  msbs: dst=0 src0=1 src1=0 src2=0
	v_dual_mul_f32 v33, v12 /*v268*/, v153 :: v_dual_mul_f32 v35, v14 /*v270*/, v155
	v_dual_mul_f32 v19, v13 /*v269*/, v153 :: v_dual_mul_f32 v21, v15 /*v271*/, v155
	s_set_vgpr_msb 0                        ;  msbs: dst=0 src0=0 src1=0 src2=0
	v_add_f32_e32 v7, v7, v27
	v_add_f32_e32 v9, v9, v11
	s_set_vgpr_msb 1                        ;  msbs: dst=0 src0=1 src1=0 src2=0
	v_dual_fmac_f32 v31, v11 /*v267*/, v150 :: v_dual_fma_f32 v17, v10 /*v266*/, v150, -v17
	v_dual_fmac_f32 v33, v13 /*v269*/, v152 :: v_dual_fma_f32 v19, v12 /*v268*/, v152, -v19
	s_set_vgpr_msb 0                        ;  msbs: dst=0 src0=0 src1=0 src2=0
	v_add_f32_e32 v7, v7, v29
	v_add_f32_e32 v9, v9, v13
	s_set_vgpr_msb 1                        ;  msbs: dst=0 src0=1 src1=0 src2=0
	v_mul_f32_e32 v13, v25 /*v281*/, v161
	v_dual_mul_f32 v37, v16 /*v272*/, v157 :: v_dual_mul_f32 v39, v22 /*v278*/, v159
	s_set_vgpr_msb 0                        ;  msbs: dst=0 src0=0 src1=0 src2=0
	v_add_f32_e32 v7, v7, v31
	v_add_f32_e32 v9, v9, v15
	s_set_vgpr_msb 1                        ;  msbs: dst=0 src0=1 src1=0 src2=0
	v_dual_mul_f32 v23, v17 /*v273*/, v157 :: v_dual_mul_f32 v11, v23 /*v279*/, v159
	v_mul_f32_e32 v15, v27 /*v283*/, v163
	v_fmac_f32_e32 v35, v15 /*v271*/, v154
	s_set_vgpr_msb 0                        ;  msbs: dst=0 src0=0 src1=0 src2=0
	v_add_f32_e32 v7, v7, v33
	v_add_f32_e32 v9, v9, v17
	s_set_vgpr_msb 1                        ;  msbs: dst=0 src0=1 src1=0 src2=0
	v_dual_mul_f32 v17, v29 /*v285*/, v165 :: v_dual_fma_f32 v21, v14 /*v270*/, v154, -v21
	v_dual_fmac_f32 v37, v17 /*v273*/, v156 :: v_dual_fma_f32 v23, v16 /*v272*/, v156, -v23
	s_set_vgpr_msb 0                        ;  msbs: dst=0 src0=0 src1=0 src2=0
	v_add_f32_e32 v7, v7, v35
	v_add_f32_e32 v9, v9, v19
	s_set_vgpr_msb 1                        ;  msbs: dst=0 src0=1 src1=0 src2=0
	v_dual_mul_f32 v41, v24 /*v280*/, v161 :: v_dual_mul_f32 v43, v26 /*v282*/, v163
	v_mul_f32_e32 v19, v31 /*v287*/, v167
	v_fmac_f32_e32 v39, v23 /*v279*/, v158
	s_set_vgpr_msb 0                        ;  msbs: dst=0 src0=0 src1=0 src2=0
	v_add_f32_e32 v7, v7, v37
	v_add_f32_e32 v9, v9, v21
	s_set_vgpr_msb 1                        ;  msbs: dst=0 src0=1 src1=0 src2=0
	v_mul_f32_e32 v21, v33 /*v289*/, v169
	v_dual_fmac_f32 v41, v25 /*v281*/, v160 :: v_dual_fmac_f32 v43, v27 /*v283*/, v162
	v_fma_f32 v13, v24 /*v280*/, v160, -v13
	s_set_vgpr_msb 0                        ;  msbs: dst=0 src0=0 src1=0 src2=0
	v_add_f32_e32 v7, v7, v39
	s_set_vgpr_msb 1                        ;  msbs: dst=0 src0=1 src1=0 src2=0
	v_dual_mul_f32 v45, v28 /*v284*/, v165 :: v_dual_mul_f32 v47, v30 /*v286*/, v167
	s_set_vgpr_msb 0                        ;  msbs: dst=0 src0=0 src1=0 src2=0
	v_add_f32_e32 v9, v9, v23
	s_set_vgpr_msb 1                        ;  msbs: dst=0 src0=1 src1=0 src2=0
	v_dual_fma_f32 v11, v22 /*v278*/, v158, -v11 :: v_dual_mul_f32 v23, v35 /*v291*/, v171
	s_set_vgpr_msb 0                        ;  msbs: dst=0 src0=0 src1=0 src2=0
	v_add_f32_e32 v7, v7, v41
	s_set_vgpr_msb 1                        ;  msbs: dst=0 src0=1 src1=0 src2=0
	v_dual_fmac_f32 v45, v29 /*v285*/, v164 :: v_dual_fmac_f32 v47, v31 /*v287*/, v166
	v_fma_f32 v17, v28 /*v284*/, v164, -v17
	v_dual_mul_f32 v49, v32 /*v288*/, v169 :: v_dual_mul_f32 v51, v34 /*v290*/, v171
	s_set_vgpr_msb 0                        ;  msbs: dst=0 src0=0 src1=0 src2=0
	v_add_f32_e32 v7, v7, v43
	v_add_f32_e32 v9, v9, v11
	s_set_vgpr_msb 1                        ;  msbs: dst=0 src0=1 src1=0 src2=0
	v_dual_mul_f32 v11, v37 /*v293*/, v173 :: v_dual_fma_f32 v15, v26 /*v282*/, v162, -v15
	v_dual_fmac_f32 v49, v33 /*v289*/, v168 :: v_dual_fmac_f32 v51, v35 /*v291*/, v170
	s_set_vgpr_msb 0                        ;  msbs: dst=0 src0=0 src1=0 src2=0
	v_add_f32_e32 v7, v7, v45
	v_add_f32_e32 v9, v9, v13
	s_set_vgpr_msb 1                        ;  msbs: dst=0 src0=1 src1=0 src2=0
	v_fma_f32 v21, v32 /*v288*/, v168, -v21
	v_dual_mul_f32 v53, v36 /*v292*/, v173 :: v_dual_mul_f32 v55, v38 /*v294*/, v175
	s_set_vgpr_msb 0                        ;  msbs: dst=0 src0=0 src1=0 src2=0
	v_add_f32_e32 v7, v7, v47
	s_set_vgpr_msb 1                        ;  msbs: dst=0 src0=1 src1=0 src2=0
	v_mul_f32_e32 v13, v39 /*v295*/, v175
	s_set_vgpr_msb 0                        ;  msbs: dst=0 src0=0 src1=0 src2=0
	v_add_f32_e32 v9, v9, v15
	s_set_vgpr_msb 1                        ;  msbs: dst=0 src0=1 src1=0 src2=0
	v_dual_mul_f32 v15, v41 /*v297*/, v177 :: v_dual_fma_f32 v19, v30 /*v286*/, v166, -v19
	s_set_vgpr_msb 0                        ;  msbs: dst=0 src0=0 src1=0 src2=0
	v_add_f32_e32 v7, v7, v49
	s_set_vgpr_msb 1                        ;  msbs: dst=0 src0=1 src1=0 src2=0
	v_dual_fmac_f32 v53, v37 /*v293*/, v172 :: v_dual_fma_f32 v11, v36 /*v292*/, v172, -v11
	s_set_vgpr_msb 0                        ;  msbs: dst=0 src0=0 src1=0 src2=0
	v_add_f32_e32 v9, v9, v17
	s_set_vgpr_msb 1                        ;  msbs: dst=0 src0=1 src1=0 src2=0
	v_dual_fmac_f32 v55, v39 /*v295*/, v174 :: v_dual_fma_f32 v13, v38 /*v294*/, v174, -v13
	s_set_vgpr_msb 0                        ;  msbs: dst=0 src0=0 src1=0 src2=0
	v_add_f32_e32 v7, v7, v51
	s_set_vgpr_msb 1                        ;  msbs: dst=0 src0=1 src1=0 src2=0
	v_dual_mul_f32 v57, v40 /*v296*/, v177 :: v_dual_mul_f32 v59, v42 /*v298*/, v179
	v_mul_f32_e32 v17, v43 /*v299*/, v179
	s_set_vgpr_msb 0                        ;  msbs: dst=0 src0=0 src1=0 src2=0
	v_dual_add_f32 v9, v9, v19 :: v_dual_add_f32 v7, v7, v53
	s_set_vgpr_msb 1                        ;  msbs: dst=0 src0=1 src1=0 src2=0
	v_dual_mul_f32 v19, v45 /*v301*/, v181 :: v_dual_fma_f32 v23, v34 /*v290*/, v170, -v23
	v_dual_fmac_f32 v57, v41 /*v297*/, v176 :: v_dual_fma_f32 v15, v40 /*v296*/, v176, -v15
	s_set_vgpr_msb 0                        ;  msbs: dst=0 src0=0 src1=0 src2=0
	v_add_f32_e32 v9, v9, v21
	s_set_vgpr_msb 1                        ;  msbs: dst=0 src0=1 src1=0 src2=0
	v_dual_fmac_f32 v59, v43 /*v299*/, v178 :: v_dual_fma_f32 v17, v42 /*v298*/, v178, -v17
	s_set_vgpr_msb 0                        ;  msbs: dst=0 src0=0 src1=0 src2=0
	v_add_f32_e32 v7, v7, v55
	s_set_vgpr_msb 1                        ;  msbs: dst=0 src0=1 src1=0 src2=0
	v_dual_mul_f32 v61, v44 /*v300*/, v181 :: v_dual_mul_f32 v63, v46 /*v302*/, v183
	v_mul_f32_e32 v21, v47 /*v303*/, v183
	s_set_vgpr_msb 0                        ;  msbs: dst=0 src0=0 src1=0 src2=0
	v_dual_add_f32 v9, v9, v23 :: v_dual_add_f32 v7, v7, v57
	s_set_vgpr_msb 1                        ;  msbs: dst=0 src0=1 src1=0 src2=0
	v_dual_fmac_f32 v61, v45 /*v301*/, v180 :: v_dual_fma_f32 v19, v44 /*v300*/, v180, -v19
	v_dual_fmac_f32 v63, v47 /*v303*/, v182 :: v_dual_fma_f32 v21, v46 /*v302*/, v182, -v21
	s_set_vgpr_msb 0                        ;  msbs: dst=0 src0=0 src1=0 src2=0
	v_add_f32_e32 v7, v7, v59
	s_set_vgpr_msb 1                        ;  msbs: dst=0 src0=1 src1=0 src2=0
	v_dual_mul_f32 v65, v48 /*v304*/, v185 :: v_dual_mul_f32 v67, v50 /*v306*/, v187
	s_set_vgpr_msb 0                        ;  msbs: dst=0 src0=0 src1=0 src2=0
	v_add_f32_e32 v9, v9, v11
	s_set_vgpr_msb 1                        ;  msbs: dst=0 src0=1 src1=0 src2=0
	v_dual_mul_f32 v23, v49 /*v305*/, v185 :: v_dual_mul_f32 v11, v51 /*v307*/, v187
	s_set_vgpr_msb 0                        ;  msbs: dst=0 src0=0 src1=0 src2=0
	v_add_f32_e32 v7, v7, v61
	s_set_vgpr_msb 1                        ;  msbs: dst=0 src0=1 src1=0 src2=0
	v_fmac_f32_e32 v65, v49 /*v305*/, v184
	s_set_vgpr_msb 0                        ;  msbs: dst=0 src0=0 src1=0 src2=0
	v_add_f32_e32 v9, v9, v13
	s_set_vgpr_msb 1                        ;  msbs: dst=0 src0=1 src1=0 src2=0
	v_dual_mul_f32 v69, v52 /*v308*/, v189 :: v_dual_mul_f32 v71, v54 /*v310*/, v191
	s_set_vgpr_msb 0                        ;  msbs: dst=0 src0=0 src1=0 src2=0
	v_add_f32_e32 v7, v7, v63
	s_set_vgpr_msb 1                        ;  msbs: dst=0 src0=1 src1=0 src2=0
	v_fma_f32 v23, v48 /*v304*/, v184, -v23
	s_set_vgpr_msb 0                        ;  msbs: dst=0 src0=0 src1=0 src2=0
	v_add_f32_e32 v9, v9, v15
	s_set_vgpr_msb 1                        ;  msbs: dst=0 src0=1 src1=0 src2=0
	v_dual_fmac_f32 v67, v51 /*v307*/, v186 :: v_dual_fmac_f32 v69, v53 /*v309*/, v188
	s_set_vgpr_msb 0                        ;  msbs: dst=0 src0=0 src1=0 src2=0
	v_add_f32_e32 v7, v7, v65
	s_set_vgpr_msb 1                        ;  msbs: dst=0 src0=1 src1=0 src2=0
	v_dual_mul_f32 v73, v56 /*v312*/, v193 :: v_dual_mul_f32 v75, v58 /*v314*/, v195
	s_set_vgpr_msb 0                        ;  msbs: dst=0 src0=0 src1=0 src2=0
	v_add_f32_e32 v9, v9, v17
	s_set_vgpr_msb 1                        ;  msbs: dst=0 src0=1 src1=0 src2=0
	v_fmac_f32_e32 v71, v55 /*v311*/, v190
	s_set_vgpr_msb 0                        ;  msbs: dst=0 src0=0 src1=0 src2=0
	v_add_f32_e32 v7, v7, v67
	s_set_vgpr_msb 1                        ;  msbs: dst=0 src0=1 src1=0 src2=0
	v_dual_fmac_f32 v73, v57 /*v313*/, v192 :: v_dual_mul_f32 v77, v60 /*v316*/, v197
	v_mul_f32_e32 v79, v62 /*v318*/, v199
	s_set_vgpr_msb 0                        ;  msbs: dst=0 src0=0 src1=0 src2=0
	v_dual_add_f32 v9, v9, v19 :: v_dual_add_f32 v7, v7, v69
	s_set_vgpr_msb 1                        ;  msbs: dst=0 src0=1 src1=0 src2=0
	v_dual_mul_f32 v13, v53 /*v309*/, v189 :: v_dual_mul_f32 v15, v55 /*v311*/, v191
	v_fma_f32 v11, v50 /*v306*/, v186, -v11
	s_set_vgpr_msb 0                        ;  msbs: dst=0 src0=0 src1=0 src2=0
	v_dual_add_f32 v9, v9, v21 :: v_dual_add_f32 v7, v7, v71
	s_set_vgpr_msb 1                        ;  msbs: dst=0 src0=1 src1=0 src2=0
	v_dual_mul_f32 v21, v61 /*v317*/, v197 :: v_dual_fmac_f32 v75, v59 /*v315*/, v194
	v_fmac_f32_e32 v77, v61 /*v317*/, v196
	s_set_vgpr_msb 0                        ;  msbs: dst=0 src0=0 src1=0 src2=0
	v_dual_add_f32 v9, v9, v23 :: v_dual_add_f32 v7, v7, v73
	s_set_vgpr_msb 1                        ;  msbs: dst=0 src0=1 src1=0 src2=0
	v_dual_mul_f32 v23, v63 /*v319*/, v199 :: v_dual_fma_f32 v13, v52 /*v308*/, v188, -v13
	s_wait_loadcnt 0x4
	s_set_vgpr_msb 0                        ;  msbs: dst=0 src0=0 src1=0 src2=0
	v_mov_b32_e32 v128, v213
	s_set_vgpr_msb 1                        ;  msbs: dst=0 src0=1 src1=0 src2=0
	v_dual_mul_f32 v81, v64 /*v320*/, v201 :: v_dual_mul_f32 v83, v66 /*v322*/, v203
	s_set_vgpr_msb 0                        ;  msbs: dst=0 src0=0 src1=0 src2=0
	v_add_f32_e32 v7, v7, v75
	v_add_f32_e32 v9, v9, v11
	s_set_vgpr_msb 1                        ;  msbs: dst=0 src0=1 src1=0 src2=0
	v_dual_mul_f32 v17, v57 /*v313*/, v193 :: v_dual_mul_f32 v19, v59 /*v315*/, v195
	v_dual_mul_f32 v11, v65 /*v321*/, v201 :: v_dual_fma_f32 v15, v54 /*v310*/, v190, -v15
	v_dual_fma_f32 v21, v60 /*v316*/, v196, -v21 :: v_dual_fmac_f32 v79, v63 /*v319*/, v198
	s_set_vgpr_msb 0                        ;  msbs: dst=0 src0=0 src1=0 src2=0
	v_add_f32_e32 v7, v7, v77
	v_add_f32_e32 v9, v9, v13
	s_set_vgpr_msb 1                        ;  msbs: dst=0 src0=1 src1=0 src2=0
	v_dual_mul_f32 v13, v67 /*v323*/, v203 :: v_dual_fma_f32 v17, v56 /*v312*/, v192, -v17
	v_dual_fma_f32 v23, v62 /*v318*/, v198, -v23 :: v_dual_fmac_f32 v81, v65 /*v321*/, v200
	s_delay_alu instid0(VALU_DEP_2)
	v_dual_fma_f32 v11, v64 /*v320*/, v200, -v11 :: v_dual_fma_f32 v13, v66 /*v322*/, v202, -v13
	s_set_vgpr_msb 0                        ;  msbs: dst=0 src0=0 src1=0 src2=0
	v_add_f32_e32 v7, v7, v79
	v_add_f32_e32 v9, v9, v15
	s_set_vgpr_msb 1                        ;  msbs: dst=0 src0=1 src1=0 src2=0
	v_dual_mul_f32 v15, v69 /*v325*/, v205 :: v_dual_fma_f32 v19, v58 /*v314*/, v194, -v19
	v_dual_fmac_f32 v83, v67 /*v323*/, v202 :: v_dual_fmac_f32 v85, v69 /*v325*/, v204
	s_set_vgpr_msb 0                        ;  msbs: dst=0 src0=0 src1=0 src2=0
	v_add_f32_e32 v7, v7, v81
	v_add_f32_e32 v9, v9, v17
	s_wait_loadcnt 0x3
	v_mov_b32_e32 v132, v217
	s_set_vgpr_msb 64                       ;  msbs: dst=1 src0=0 src1=0 src2=0
	v_dual_mul_f32 v81 /*v337*/, v242, v207 :: v_dual_mul_f32 v83 /*v339*/, v244, v209
	s_set_vgpr_msb 0                        ;  msbs: dst=0 src0=0 src1=0 src2=0
	v_add_f32_e32 v7, v7, v83
	v_add_f32_e32 v9, v9, v19
	v_mul_f32_e32 v19, v245, v209
	v_pk_mul_f32 v[126:127], v[246:247], v[210:211] op_sel:[1,1] op_sel_hi:[0,1]
	s_set_vgpr_msb 64                       ;  msbs: dst=1 src0=0 src1=0 src2=0
	v_dual_fmac_f32 v81 /*v337*/, v243, v206 :: v_dual_fmac_f32 v83 /*v339*/, v245, v208
	s_set_vgpr_msb 0                        ;  msbs: dst=0 src0=0 src1=0 src2=0
	v_add_f32_e32 v135, v7, v85
	v_dual_mul_f32 v17, v243, v207 :: v_dual_add_f32 v9, v9, v21
	s_set_vgpr_msb 64                       ;  msbs: dst=1 src0=0 src1=0 src2=0
	v_fma_f32 v82 /*v338*/, v244, v208, -v19
	s_set_vgpr_msb 0                        ;  msbs: dst=0 src0=0 src1=0 src2=0
	v_pk_fma_f32 v[136:137], v[246:247], v[210:211], v[126:127] op_sel_hi:[1,0,1]
	s_set_vgpr_msb 1                        ;  msbs: dst=0 src0=1 src1=0 src2=0
	v_pk_mul_f32 v[128:129], v[72:73] /*v[328:329]*/, v[128:129] op_sel_hi:[1,0]
	s_set_vgpr_msb 64                       ;  msbs: dst=1 src0=0 src1=0 src2=0
	v_fma_f32 v80 /*v336*/, v242, v206, -v17
	s_set_vgpr_msb 0                        ;  msbs: dst=0 src0=0 src1=0 src2=0
	v_add_f32_e32 v9, v9, v23
	v_pk_fma_f32 v[126:127], v[246:247], v[210:211], v[126:127] neg_lo:[0,0,1] neg_hi:[0,0,1]
	s_set_vgpr_msb 1                        ;  msbs: dst=0 src0=1 src1=0 src2=0
	v_pk_mul_f32 v[130:131], v[2:3] /*v[258:259]*/, v[214:215] op_sel:[1,1] op_sel_hi:[0,1]
	s_set_vgpr_msb 0                        ;  msbs: dst=0 src0=0 src1=0 src2=0
	v_mov_b32_e32 v127, v137
	v_pk_fma_f32 v[136:137], v[248:249], v[212:213], v[128:129] op_sel_hi:[1,0,1]
	v_add_f32_e32 v9, v9, v11
	s_set_vgpr_msb 1                        ;  msbs: dst=0 src0=1 src1=0 src2=0
	v_fma_f32 v11, v68 /*v324*/, v204, -v15
	s_set_vgpr_msb 0                        ;  msbs: dst=0 src0=0 src1=0 src2=0
	v_pk_fma_f32 v[128:129], v[248:249], v[212:213], v[128:129] neg_lo:[0,0,1] neg_hi:[0,0,1]
	s_set_vgpr_msb 1                        ;  msbs: dst=0 src0=1 src1=0 src2=0
	v_pk_fma_f32 v[140:141], v[2:3] /*v[258:259]*/, v[214:215], v[130:131] op_sel_hi:[1,0,1]
	v_pk_mul_f32 v[132:133], v[74:75] /*v[330:331]*/, v[132:133] op_sel_hi:[1,0]
	s_set_vgpr_msb 0                        ;  msbs: dst=0 src0=0 src1=0 src2=0
	v_add_f32_e32 v9, v9, v13
	v_mov_b32_e32 v129, v137
	s_wait_loadcnt 0x2
	s_set_vgpr_msb 1                        ;  msbs: dst=0 src0=1 src1=0 src2=0
	v_pk_mul_f32 v[138:139], v[6:7] /*v[262:263]*/, v[218:219] op_sel:[1,1] op_sel_hi:[0,1]
	v_pk_fma_f32 v[130:131], v[2:3] /*v[258:259]*/, v[214:215], v[130:131] neg_lo:[0,0,1] neg_hi:[0,0,1]
	s_set_vgpr_msb 0                        ;  msbs: dst=0 src0=0 src1=0 src2=0
	v_mov_b32_e32 v131, v141
	v_add_f32_e32 v134, v9, v11
	s_set_vgpr_msb 1                        ;  msbs: dst=0 src0=1 src1=0 src2=0
	v_pk_fma_f32 v[136:137], v[4:5] /*v[260:261]*/, v[216:217], v[132:133] op_sel_hi:[1,0,1]
	v_pk_fma_f32 v[132:133], v[4:5] /*v[260:261]*/, v[216:217], v[132:133] neg_lo:[0,0,1] neg_hi:[0,0,1]
	s_set_vgpr_msb 4                        ;  msbs: dst=0 src0=0 src1=1 src2=0
	v_pk_add_f32 v[134:135], v[134:135], v[80:81] /*v[336:337]*/
	s_delay_alu instid0(VALU_DEP_1) | instskip(SKIP_1) | instid1(VALU_DEP_1)
	v_pk_add_f32 v[134:135], v[134:135], v[82:83] /*v[338:339]*/
	s_set_vgpr_msb 0                        ;  msbs: dst=0 src0=0 src1=0 src2=0
	v_pk_add_f32 v[126:127], v[134:135], v[126:127]
	v_mov_b32_e32 v134, v221
	s_delay_alu instid0(VALU_DEP_2) | instskip(SKIP_2) | instid1(VALU_DEP_3)
	v_pk_add_f32 v[126:127], v[126:127], v[128:129]
	s_set_vgpr_msb 1                        ;  msbs: dst=0 src0=1 src1=0 src2=0
	v_pk_fma_f32 v[128:129], v[6:7] /*v[262:263]*/, v[218:219], v[138:139] op_sel_hi:[1,0,1]
	v_pk_mul_f32 v[134:135], v[76:77] /*v[332:333]*/, v[134:135] op_sel_hi:[1,0]
	s_set_vgpr_msb 0                        ;  msbs: dst=0 src0=0 src1=0 src2=0
	v_mov_b32_e32 v133, v137
	s_set_vgpr_msb 1                        ;  msbs: dst=0 src0=1 src1=0 src2=0
	v_pk_fma_f32 v[136:137], v[6:7] /*v[262:263]*/, v[218:219], v[138:139] neg_lo:[0,0,1] neg_hi:[0,0,1]
	s_set_vgpr_msb 0                        ;  msbs: dst=0 src0=0 src1=0 src2=0
	v_pk_add_f32 v[126:127], v[126:127], v[130:131]
	v_mov_b32_e32 v137, v129
	s_set_vgpr_msb 1                        ;  msbs: dst=0 src0=1 src1=0 src2=0
	v_pk_fma_f32 v[128:129], v[8:9] /*v[264:265]*/, v[220:221], v[134:135] op_sel_hi:[1,0,1]
	s_wait_loadcnt 0x1
	v_pk_mul_f32 v[130:131], v[18:19] /*v[274:275]*/, v[222:223] op_sel:[1,1] op_sel_hi:[0,1]
	s_set_vgpr_msb 0                        ;  msbs: dst=0 src0=0 src1=0 src2=0
	v_mov_b32_e32 v128, v225
	v_pk_add_f32 v[126:127], v[126:127], v[132:133]
	s_set_vgpr_msb 1                        ;  msbs: dst=0 src0=1 src1=0 src2=0
	v_pk_fma_f32 v[134:135], v[8:9] /*v[264:265]*/, v[220:221], v[134:135] neg_lo:[0,0,1] neg_hi:[0,0,1]
	s_set_vgpr_msb 0                        ;  msbs: dst=0 src0=0 src1=0 src2=0
	v_mov_b32_e32 v135, v129
	s_set_vgpr_msb 1                        ;  msbs: dst=0 src0=1 src1=0 src2=0
	v_pk_fma_f32 v[132:133], v[18:19] /*v[274:275]*/, v[222:223], v[130:131] op_sel_hi:[1,0,1]
	v_pk_mul_f32 v[128:129], v[78:79] /*v[334:335]*/, v[128:129] op_sel_hi:[1,0]
	s_set_vgpr_msb 0                        ;  msbs: dst=0 src0=0 src1=0 src2=0
	v_pk_add_f32 v[126:127], v[126:127], v[136:137]
	s_set_vgpr_msb 1                        ;  msbs: dst=0 src0=1 src1=0 src2=0
	v_pk_fma_f32 v[130:131], v[18:19] /*v[274:275]*/, v[222:223], v[130:131] neg_lo:[0,0,1] neg_hi:[0,0,1]
	s_set_vgpr_msb 0                        ;  msbs: dst=0 src0=0 src1=0 src2=0
	v_mov_b32_e32 v131, v133
	s_set_vgpr_msb 1                        ;  msbs: dst=0 src0=1 src1=0 src2=0
	v_pk_fma_f32 v[132:133], v[20:21] /*v[276:277]*/, v[224:225], v[128:129] op_sel_hi:[1,0,1]
	s_set_vgpr_msb 0                        ;  msbs: dst=0 src0=0 src1=0 src2=0
	v_pk_add_f32 v[126:127], v[126:127], v[134:135]
	s_set_vgpr_msb 1                        ;  msbs: dst=0 src0=1 src1=0 src2=0
	v_pk_fma_f32 v[128:129], v[20:21] /*v[276:277]*/, v[224:225], v[128:129] neg_lo:[0,0,1] neg_hi:[0,0,1]
	s_set_vgpr_msb 0                        ;  msbs: dst=0 src0=0 src1=0 src2=0
	v_mov_b32_e32 v129, v133
	v_pk_add_f32 v[126:127], v[126:127], v[130:131]
	s_delay_alu instid0(VALU_DEP_1) | instskip(SKIP_2) | instid1(VALU_DEP_1)
	v_pk_add_f32 v[126:127], v[126:127], v[128:129]
	s_wait_loadcnt 0x0
	s_set_vgpr_msb 1                        ;  msbs: dst=0 src0=1 src1=0 src2=0
	v_pk_add_f32 v[126:127], v[70:71] /*v[326:327]*/, v[126:127] neg_lo:[0,1] neg_hi:[0,1]
	scratch_store_b64 off, v[126:127], off offset:88
	s_wait_xcnt 0x0
	v_cmpx_lt_u32_e32 10, v0
	s_set_vgpr_msb 0                        ;  msbs: dst=0 src0=0 src1=0 src2=0
	s_cbranch_execz .LBB61_365
; %bb.364:
	scratch_load_b64 v[126:127], off, off offset:80
	v_mov_b64_e32 v[128:129], 0
	scratch_store_b64 off, v[128:129], off offset:80
	s_wait_loadcnt 0x0
	ds_store_b64 v1, v[126:127]
.LBB61_365:
	s_wait_xcnt 0x0
	s_or_b32 exec_lo, exec_lo, s0
	s_wait_storecnt_dscnt 0x0
	s_barrier_signal -1
	s_barrier_wait -1
	s_clause 0x1b
	scratch_load_b128 v[126:129], off, off offset:88
	scratch_load_b128 v[130:133], off, off offset:104
	;; [unrolled: 1-line block ×25, first 2 shown]
	s_set_vgpr_msb 64                       ;  msbs: dst=1 src0=0 src1=0 src2=0
	scratch_load_b64 v[70:71] /*v[326:327]*/, off, off offset:488
	scratch_load_b64 v[72:73] /*v[328:329]*/, off, off offset:80
	s_set_vgpr_msb 0                        ;  msbs: dst=0 src0=0 src1=0 src2=0
	v_mov_b32_e32 v7, 0
	ds_load_2addr_b64 v[226:229], v7 offset0:73 offset1:74
	ds_load_2addr_b64 v[230:233], v7 offset0:75 offset1:76
	;; [unrolled: 1-line block ×8, first 2 shown]
	s_set_vgpr_msb 64                       ;  msbs: dst=1 src0=0 src1=0 src2=0
	ds_load_2addr_b64 v[2:5] /*v[258:261]*/, v7 offset0:117 offset1:118
	ds_load_2addr_b64 v[6:9] /*v[262:265]*/, v7 offset0:119 offset1:120
	;; [unrolled: 1-line block ×17, first 2 shown]
	ds_load_b64 v[74:75] /*v[330:331]*/, v7 offset:984
	s_wait_dscnt 0x14
	v_dual_mov_b32 v76 /*v332*/, v249 :: v_dual_mov_b32 v77 /*v333*/, v248
	s_wait_dscnt 0x11
	s_set_vgpr_msb 0x41                     ;  msbs: dst=1 src0=1 src1=0 src2=0
	v_dual_mov_b32 v78 /*v334*/, v5 /*v261*/ :: v_dual_mov_b32 v79 /*v335*/, v4 /*v260*/
	s_wait_dscnt 0x10
	v_dual_mov_b32 v80 /*v336*/, v9 /*v265*/ :: v_dual_mov_b32 v81 /*v337*/, v8 /*v264*/
	s_wait_dscnt 0xd
	v_dual_mov_b32 v82 /*v338*/, v21 /*v277*/ :: v_dual_mov_b32 v83 /*v339*/, v20 /*v276*/
	s_mov_b32 s0, exec_lo
	s_wait_loadcnt 0x1a
	s_set_vgpr_msb 0                        ;  msbs: dst=0 src0=0 src1=0 src2=0
	v_dual_mul_f32 v9, v226, v127 :: v_dual_mul_f32 v75, v227, v127
	v_dual_mul_f32 v77, v229, v129 :: v_dual_mul_f32 v11, v228, v129
	s_wait_loadcnt 0x19
	v_mul_f32_e32 v13, v230, v131
	s_wait_loadcnt 0x18
	v_dual_mul_f32 v99, v235, v135 :: v_dual_fma_f32 v75, v226, v126, -v75
	v_dual_fmac_f32 v9, v227, v126 :: v_dual_fmac_f32 v11, v229, v128
	v_dual_mul_f32 v91, v231, v131 :: v_dual_mul_f32 v93, v233, v133
	s_delay_alu instid0(VALU_DEP_2)
	v_dual_fma_f32 v77, v228, v128, -v77 :: v_dual_add_f32 v9, 0, v9
	v_dual_mul_f32 v15, v232, v133 :: v_dual_mul_f32 v17, v234, v135
	v_add_f32_e32 v75, 0, v75
	s_wait_loadcnt 0x16
	v_dual_mul_f32 v107, v251, v143 :: v_dual_fma_f32 v91, v230, v130, -v91
	v_dual_fmac_f32 v13, v231, v130 :: v_dual_add_f32 v9, v9, v11
	s_wait_loadcnt_dscnt 0x701
	s_set_vgpr_msb 1                        ;  msbs: dst=0 src0=1 src1=0 src2=0
	v_mul_f32_e32 v95, v68 /*v324*/, v205
	s_set_vgpr_msb 0                        ;  msbs: dst=0 src0=0 src1=0 src2=0
	v_dual_add_f32 v11, v75, v77 :: v_dual_fmac_f32 v15, v233, v132
	v_dual_mul_f32 v75, v253, v145 :: v_dual_fma_f32 v77, v232, v132, -v93
	s_delay_alu instid0(VALU_DEP_2)
	v_dual_add_f32 v9, v9, v13 :: v_dual_add_f32 v11, v11, v91
	v_dual_mul_f32 v19, v236, v137 :: v_dual_mul_f32 v21, v238, v139
	s_wait_loadcnt 0x5
	v_dual_mul_f32 v129, v246, v211 :: v_dual_mul_f32 v101, v237, v137
	v_dual_mul_f32 v13, v255, v147 :: v_dual_fma_f32 v91, v234, v134, -v99
	v_dual_fmac_f32 v17, v235, v134 :: v_dual_add_f32 v9, v9, v15
	v_dual_add_f32 v11, v11, v77 :: v_dual_fmac_f32 v19, v237, v136
	v_dual_mul_f32 v103, v239, v139 :: v_dual_mul_f32 v105, v241, v141
	s_delay_alu instid0(VALU_DEP_3) | instskip(NEXT) | instid1(VALU_DEP_2)
	v_dual_fma_f32 v77, v236, v136, -v101 :: v_dual_add_f32 v9, v9, v17
	v_dual_add_f32 v11, v11, v91 :: v_dual_fma_f32 v91, v238, v138, -v103
	v_dual_mul_f32 v23, v240, v141 :: v_dual_mul_f32 v25, v250, v143
	s_delay_alu instid0(VALU_DEP_3) | instskip(NEXT) | instid1(VALU_DEP_2)
	v_dual_fmac_f32 v21, v239, v138 :: v_dual_add_f32 v9, v9, v19
	v_dual_add_f32 v11, v11, v77 :: v_dual_fmac_f32 v23, v241, v140
	v_fma_f32 v77, v240, v140, -v105
	v_dual_mul_f32 v27, v252, v145 :: v_dual_mul_f32 v29, v254, v147
	s_delay_alu instid0(VALU_DEP_3) | instskip(SKIP_1) | instid1(VALU_DEP_3)
	v_dual_add_f32 v9, v9, v21 :: v_dual_add_f32 v11, v11, v91
	v_dual_fma_f32 v91, v250, v142, -v107 :: v_dual_fmac_f32 v25, v251, v142
	v_fmac_f32_e32 v27, v253, v144
	s_delay_alu instid0(VALU_DEP_3)
	v_dual_add_f32 v9, v9, v23 :: v_dual_add_f32 v11, v11, v77
	v_fma_f32 v75, v252, v144, -v75
	s_set_vgpr_msb 1                        ;  msbs: dst=0 src0=1 src1=0 src2=0
	v_dual_mul_f32 v31, v0 /*v256*/, v149 :: v_dual_mul_f32 v33, v10 /*v266*/, v151
	s_set_vgpr_msb 0                        ;  msbs: dst=0 src0=0 src1=0 src2=0
	v_dual_add_f32 v9, v9, v25 :: v_dual_add_f32 v11, v11, v91
	v_fma_f32 v13, v254, v146, -v13
	s_set_vgpr_msb 1                        ;  msbs: dst=0 src0=1 src1=0 src2=0
	v_dual_mul_f32 v15, v1 /*v257*/, v149 :: v_dual_mul_f32 v17, v11 /*v267*/, v151
	s_set_vgpr_msb 0                        ;  msbs: dst=0 src0=0 src1=0 src2=0
	v_dual_fmac_f32 v29, v255, v146 :: v_dual_add_f32 v9, v9, v27
	v_add_f32_e32 v11, v11, v75
	s_set_vgpr_msb 1                        ;  msbs: dst=0 src0=1 src1=0 src2=0
	v_dual_mul_f32 v27, v25 /*v281*/, v161 :: v_dual_fma_f32 v15, v0 /*v256*/, v148, -v15
	v_fmac_f32_e32 v31, v1 /*v257*/, v148
	s_set_vgpr_msb 0                        ;  msbs: dst=0 src0=0 src1=0 src2=0
	v_add_f32_e32 v9, v9, v29
	v_add_f32_e32 v11, v11, v13
	s_set_vgpr_msb 1                        ;  msbs: dst=0 src0=1 src1=0 src2=0
	v_dual_mul_f32 v35, v12 /*v268*/, v153 :: v_dual_mul_f32 v37, v14 /*v270*/, v155
	v_dual_mul_f32 v19, v13 /*v269*/, v153 :: v_dual_mul_f32 v21, v15 /*v271*/, v155
	v_mul_f32_e32 v13, v27 /*v283*/, v163
	v_fmac_f32_e32 v33, v11 /*v267*/, v150
	s_delay_alu instid0(VALU_DEP_4)
	v_dual_fma_f32 v17, v10 /*v266*/, v150, -v17 :: v_dual_fmac_f32 v35, v13 /*v269*/, v152
	s_set_vgpr_msb 0                        ;  msbs: dst=0 src0=0 src1=0 src2=0
	v_add_f32_e32 v9, v9, v31
	v_add_f32_e32 v11, v11, v15
	s_set_vgpr_msb 1                        ;  msbs: dst=0 src0=1 src1=0 src2=0
	v_dual_mul_f32 v15, v29 /*v285*/, v165 :: v_dual_fma_f32 v19, v12 /*v268*/, v152, -v19
	v_dual_mul_f32 v39, v16 /*v272*/, v157 :: v_dual_mul_f32 v41, v22 /*v278*/, v159
	s_set_vgpr_msb 0                        ;  msbs: dst=0 src0=0 src1=0 src2=0
	v_add_f32_e32 v9, v9, v33
	v_add_f32_e32 v11, v11, v17
	s_set_vgpr_msb 1                        ;  msbs: dst=0 src0=1 src1=0 src2=0
	v_dual_mul_f32 v23, v17 /*v273*/, v157 :: v_dual_mul_f32 v25, v23 /*v279*/, v159
	v_mul_f32_e32 v17, v31 /*v287*/, v167
	v_fmac_f32_e32 v37, v15 /*v271*/, v154
	v_dual_fma_f32 v21, v14 /*v270*/, v154, -v21 :: v_dual_fmac_f32 v39, v17 /*v273*/, v156
	s_set_vgpr_msb 0                        ;  msbs: dst=0 src0=0 src1=0 src2=0
	v_add_f32_e32 v9, v9, v35
	v_add_f32_e32 v11, v11, v19
	s_set_vgpr_msb 1                        ;  msbs: dst=0 src0=1 src1=0 src2=0
	v_dual_mul_f32 v19, v33 /*v289*/, v169 :: v_dual_fma_f32 v23, v16 /*v272*/, v156, -v23
	v_dual_mul_f32 v43, v24 /*v280*/, v161 :: v_dual_mul_f32 v45, v26 /*v282*/, v163
	s_set_vgpr_msb 0                        ;  msbs: dst=0 src0=0 src1=0 src2=0
	v_add_f32_e32 v9, v9, v37
	v_add_f32_e32 v11, v11, v21
	s_set_vgpr_msb 1                        ;  msbs: dst=0 src0=1 src1=0 src2=0
	v_mul_f32_e32 v21, v35 /*v291*/, v171
	v_fmac_f32_e32 v41, v23 /*v279*/, v158
	v_dual_fma_f32 v25, v22 /*v278*/, v158, -v25 :: v_dual_fmac_f32 v43, v25 /*v281*/, v160
	s_set_vgpr_msb 0                        ;  msbs: dst=0 src0=0 src1=0 src2=0
	v_add_f32_e32 v9, v9, v39
	v_add_f32_e32 v11, v11, v23
	s_set_vgpr_msb 1                        ;  msbs: dst=0 src0=1 src1=0 src2=0
	v_dual_mul_f32 v23, v37 /*v293*/, v173 :: v_dual_fma_f32 v27, v24 /*v280*/, v160, -v27
	v_dual_mul_f32 v47, v28 /*v284*/, v165 :: v_dual_mul_f32 v49, v30 /*v286*/, v167
	s_set_vgpr_msb 0                        ;  msbs: dst=0 src0=0 src1=0 src2=0
	v_add_f32_e32 v9, v9, v41
	v_add_f32_e32 v11, v11, v25
	s_set_vgpr_msb 1                        ;  msbs: dst=0 src0=1 src1=0 src2=0
	;; [unrolled: 13-line block ×9, first 2 shown]
	v_mul_f32_e32 v21, v67 /*v323*/, v203
	v_fmac_f32_e32 v73, v55 /*v311*/, v190
	v_dual_fma_f32 v25, v54 /*v310*/, v190, -v25 :: v_dual_fmac_f32 v79, v57 /*v313*/, v192
	s_set_vgpr_msb 0                        ;  msbs: dst=0 src0=0 src1=0 src2=0
	v_add_f32_e32 v9, v9, v71
	v_add_f32_e32 v11, v11, v23
	s_set_vgpr_msb 1                        ;  msbs: dst=0 src0=1 src1=0 src2=0
	v_dual_mul_f32 v23, v69 /*v325*/, v205 :: v_dual_fma_f32 v27, v56 /*v312*/, v192, -v27
	v_fmac_f32_e32 v81, v59 /*v315*/, v194
	s_set_vgpr_msb 0                        ;  msbs: dst=0 src0=0 src1=0 src2=0
	v_add_f32_e32 v9, v9, v73
	v_add_f32_e32 v11, v11, v25
	s_set_vgpr_msb 1                        ;  msbs: dst=0 src0=1 src1=0 src2=0
	v_dual_mul_f32 v83, v60 /*v316*/, v197 :: v_dual_mul_f32 v85, v62 /*v318*/, v199
	v_fma_f32 v13, v58 /*v314*/, v194, -v13
	s_set_vgpr_msb 0                        ;  msbs: dst=0 src0=0 src1=0 src2=0
	v_add_f32_e32 v9, v9, v79
	v_add_f32_e32 v11, v11, v27
	s_set_vgpr_msb 1                        ;  msbs: dst=0 src0=1 src1=0 src2=0
	v_fmac_f32_e32 v83, v61 /*v317*/, v196
	v_dual_fma_f32 v15, v60 /*v316*/, v196, -v15 :: v_dual_fmac_f32 v85, v63 /*v319*/, v198
	s_set_vgpr_msb 0                        ;  msbs: dst=0 src0=0 src1=0 src2=0
	v_add_f32_e32 v9, v9, v81
	v_add_f32_e32 v11, v11, v13
	s_set_vgpr_msb 1                        ;  msbs: dst=0 src0=1 src1=0 src2=0
	v_dual_mul_f32 v87, v64 /*v320*/, v201 :: v_dual_mul_f32 v89, v66 /*v322*/, v203
	v_fma_f32 v17, v62 /*v318*/, v198, -v17
	s_set_vgpr_msb 0                        ;  msbs: dst=0 src0=0 src1=0 src2=0
	v_add_f32_e32 v9, v9, v83
	v_add_f32_e32 v11, v11, v15
	s_set_vgpr_msb 1                        ;  msbs: dst=0 src0=1 src1=0 src2=0
	v_fmac_f32_e32 v87, v65 /*v321*/, v200
	v_dual_fma_f32 v15, v64 /*v320*/, v200, -v19 :: v_dual_fmac_f32 v89, v67 /*v323*/, v202
	s_set_vgpr_msb 0                        ;  msbs: dst=0 src0=0 src1=0 src2=0
	v_add_f32_e32 v9, v9, v85
	v_add_f32_e32 v11, v11, v17
	s_set_vgpr_msb 1                        ;  msbs: dst=0 src0=1 src1=0 src2=0
	v_dual_fma_f32 v17, v66 /*v322*/, v202, -v21 :: v_dual_fmac_f32 v95, v69 /*v325*/, v204
	s_set_vgpr_msb 0                        ;  msbs: dst=0 src0=0 src1=0 src2=0
	v_dual_mul_f32 v97, v242, v207 :: v_dual_mul_f32 v127, v244, v209
	v_add_f32_e32 v9, v9, v87
	s_wait_loadcnt 0x4
	v_dual_add_f32 v11, v11, v15 :: v_dual_mov_b32 v132, v217
	v_dual_mul_f32 v25, v243, v207 :: v_dual_mul_f32 v27, v245, v209
	s_set_vgpr_msb 1                        ;  msbs: dst=0 src0=1 src1=0 src2=0
	v_fma_f32 v15, v68 /*v324*/, v204, -v23
	s_set_vgpr_msb 0                        ;  msbs: dst=0 src0=0 src1=0 src2=0
	v_dual_add_f32 v9, v9, v89 :: v_dual_fmac_f32 v97, v243, v206
	v_dual_add_f32 v11, v11, v17 :: v_dual_fma_f32 v17, v242, v206, -v25
	v_dual_mul_f32 v13, v247, v211 :: v_dual_mov_b32 v128, v213
	s_delay_alu instid0(VALU_DEP_3) | instskip(NEXT) | instid1(VALU_DEP_3)
	v_dual_add_f32 v9, v9, v95 :: v_dual_fma_f32 v126, v244, v208, -v27
	v_dual_add_f32 v11, v11, v15 :: v_dual_fmac_f32 v127, v245, v208
	s_set_vgpr_msb 1                        ;  msbs: dst=0 src0=1 src1=0 src2=0
	s_delay_alu instid0(VALU_DEP_3)
	v_pk_mul_f32 v[136:137], v[76:77] /*v[332:333]*/, v[128:129] op_sel_hi:[1,0]
	s_set_vgpr_msb 0                        ;  msbs: dst=0 src0=0 src1=0 src2=0
	v_dual_add_f32 v139, v9, v97 :: v_dual_fmac_f32 v129, v247, v210
	s_wait_loadcnt 0x3
	v_dual_add_f32 v138, v11, v17 :: v_dual_mov_b32 v140, v221
	s_set_vgpr_msb 1                        ;  msbs: dst=0 src0=1 src1=0 src2=0
	v_pk_mul_f32 v[130:131], v[2:3] /*v[258:259]*/, v[214:215] op_sel:[1,1] op_sel_hi:[0,1]
	s_set_vgpr_msb 0                        ;  msbs: dst=0 src0=0 src1=0 src2=0
	v_pk_fma_f32 v[142:143], v[248:249], v[212:213], v[136:137] op_sel_hi:[1,0,1]
	v_fma_f32 v128, v246, v210, -v13
	v_pk_add_f32 v[126:127], v[138:139], v[126:127]
	v_pk_fma_f32 v[136:137], v[248:249], v[212:213], v[136:137] neg_lo:[0,0,1] neg_hi:[0,0,1]
	s_set_vgpr_msb 1                        ;  msbs: dst=0 src0=1 src1=0 src2=0
	v_pk_fma_f32 v[138:139], v[2:3] /*v[258:259]*/, v[214:215], v[130:131] op_sel_hi:[1,0,1]
	v_pk_mul_f32 v[132:133], v[78:79] /*v[334:335]*/, v[132:133] op_sel_hi:[1,0]
	s_set_vgpr_msb 0                        ;  msbs: dst=0 src0=0 src1=0 src2=0
	v_mov_b32_e32 v137, v143
	v_pk_add_f32 v[126:127], v[126:127], v[128:129]
	s_set_vgpr_msb 1                        ;  msbs: dst=0 src0=1 src1=0 src2=0
	v_pk_fma_f32 v[130:131], v[2:3] /*v[258:259]*/, v[214:215], v[130:131] neg_lo:[0,0,1] neg_hi:[0,0,1]
	v_pk_mul_f32 v[134:135], v[6:7] /*v[262:263]*/, v[218:219] op_sel:[1,1] op_sel_hi:[0,1]
	s_set_vgpr_msb 0                        ;  msbs: dst=0 src0=0 src1=0 src2=0
	v_mov_b32_e32 v131, v139
	s_set_vgpr_msb 1                        ;  msbs: dst=0 src0=1 src1=0 src2=0
	v_pk_fma_f32 v[138:139], v[4:5] /*v[260:261]*/, v[216:217], v[132:133] op_sel_hi:[1,0,1]
	s_set_vgpr_msb 0                        ;  msbs: dst=0 src0=0 src1=0 src2=0
	v_pk_add_f32 v[126:127], v[126:127], v[136:137]
	s_set_vgpr_msb 1                        ;  msbs: dst=0 src0=1 src1=0 src2=0
	v_pk_fma_f32 v[132:133], v[4:5] /*v[260:261]*/, v[216:217], v[132:133] neg_lo:[0,0,1] neg_hi:[0,0,1]
	v_pk_fma_f32 v[136:137], v[6:7] /*v[262:263]*/, v[218:219], v[134:135] op_sel_hi:[1,0,1]
	v_pk_mul_f32 v[140:141], v[80:81] /*v[336:337]*/, v[140:141] op_sel_hi:[1,0]
	s_set_vgpr_msb 0                        ;  msbs: dst=0 src0=0 src1=0 src2=0
	v_mov_b32_e32 v133, v139
	v_pk_add_f32 v[126:127], v[126:127], v[130:131]
	s_set_vgpr_msb 1                        ;  msbs: dst=0 src0=1 src1=0 src2=0
	v_pk_fma_f32 v[134:135], v[6:7] /*v[262:263]*/, v[218:219], v[134:135] neg_lo:[0,0,1] neg_hi:[0,0,1]
	s_wait_loadcnt 0x2
	v_pk_mul_f32 v[128:129], v[18:19] /*v[274:275]*/, v[222:223] op_sel:[1,1] op_sel_hi:[0,1]
	s_set_vgpr_msb 0                        ;  msbs: dst=0 src0=0 src1=0 src2=0
	v_dual_mov_b32 v130, v225 :: v_dual_mov_b32 v135, v137
	s_set_vgpr_msb 1                        ;  msbs: dst=0 src0=1 src1=0 src2=0
	v_pk_fma_f32 v[136:137], v[8:9] /*v[264:265]*/, v[220:221], v[140:141] op_sel_hi:[1,0,1]
	s_set_vgpr_msb 0                        ;  msbs: dst=0 src0=0 src1=0 src2=0
	v_pk_add_f32 v[126:127], v[126:127], v[132:133]
	s_set_vgpr_msb 1                        ;  msbs: dst=0 src0=1 src1=0 src2=0
	v_pk_fma_f32 v[138:139], v[8:9] /*v[264:265]*/, v[220:221], v[140:141] neg_lo:[0,0,1] neg_hi:[0,0,1]
	v_pk_fma_f32 v[132:133], v[18:19] /*v[274:275]*/, v[222:223], v[128:129] op_sel_hi:[1,0,1]
	v_pk_mul_f32 v[130:131], v[82:83] /*v[338:339]*/, v[130:131] op_sel_hi:[1,0]
	s_set_vgpr_msb 0                        ;  msbs: dst=0 src0=0 src1=0 src2=0
	v_mov_b32_e32 v139, v137
	v_pk_add_f32 v[126:127], v[126:127], v[134:135]
	s_set_vgpr_msb 1                        ;  msbs: dst=0 src0=1 src1=0 src2=0
	v_pk_fma_f32 v[128:129], v[18:19] /*v[274:275]*/, v[222:223], v[128:129] neg_lo:[0,0,1] neg_hi:[0,0,1]
	s_set_vgpr_msb 0                        ;  msbs: dst=0 src0=0 src1=0 src2=0
	v_mov_b32_e32 v129, v133
	s_set_vgpr_msb 1                        ;  msbs: dst=0 src0=1 src1=0 src2=0
	v_pk_fma_f32 v[132:133], v[20:21] /*v[276:277]*/, v[224:225], v[130:131] op_sel_hi:[1,0,1]
	s_wait_loadcnt_dscnt 0x100
	s_set_vgpr_msb 5                        ;  msbs: dst=0 src0=1 src1=1 src2=0
	v_pk_mul_f32 v[134:135], v[74:75] /*v[330:331]*/, v[70:71] /*v[326:327]*/ op_sel:[1,1] op_sel_hi:[0,1]
	s_set_vgpr_msb 0                        ;  msbs: dst=0 src0=0 src1=0 src2=0
	v_pk_add_f32 v[126:127], v[126:127], v[138:139]
	s_set_vgpr_msb 1                        ;  msbs: dst=0 src0=1 src1=0 src2=0
	v_pk_fma_f32 v[130:131], v[20:21] /*v[276:277]*/, v[224:225], v[130:131] neg_lo:[0,0,1] neg_hi:[0,0,1]
	s_set_vgpr_msb 0                        ;  msbs: dst=0 src0=0 src1=0 src2=0
	s_delay_alu instid0(VALU_DEP_2)
	v_pk_add_f32 v[126:127], v[126:127], v[128:129]
	s_set_vgpr_msb 5                        ;  msbs: dst=0 src0=1 src1=1 src2=0
	v_pk_fma_f32 v[128:129], v[74:75] /*v[330:331]*/, v[70:71] /*v[326:327]*/, v[134:135] op_sel_hi:[1,0,1]
	s_set_vgpr_msb 0                        ;  msbs: dst=0 src0=0 src1=0 src2=0
	v_mov_b32_e32 v131, v133
	s_set_vgpr_msb 5                        ;  msbs: dst=0 src0=1 src1=1 src2=0
	v_pk_fma_f32 v[132:133], v[74:75] /*v[330:331]*/, v[70:71] /*v[326:327]*/, v[134:135] neg_lo:[0,0,1] neg_hi:[0,0,1]
	s_set_vgpr_msb 0                        ;  msbs: dst=0 src0=0 src1=0 src2=0
	v_mov_b32_e32 v133, v129
	v_pk_add_f32 v[126:127], v[126:127], v[130:131]
	s_delay_alu instid0(VALU_DEP_1) | instskip(SKIP_2) | instid1(VALU_DEP_1)
	v_pk_add_f32 v[126:127], v[126:127], v[132:133]
	s_wait_loadcnt 0x0
	s_set_vgpr_msb 1                        ;  msbs: dst=0 src0=1 src1=0 src2=0
	v_pk_add_f32 v[126:127], v[72:73] /*v[328:329]*/, v[126:127] neg_lo:[0,1] neg_hi:[0,1]
	scratch_store_b64 off, v[126:127], off offset:80
	s_wait_xcnt 0x0
	v_cmpx_lt_u32_e32 9, v0
	s_set_vgpr_msb 0                        ;  msbs: dst=0 src0=0 src1=0 src2=0
	s_cbranch_execz .LBB61_367
; %bb.366:
	scratch_load_b64 v[126:127], off, off offset:72
	v_mov_b64_e32 v[128:129], 0
	scratch_store_b64 off, v[128:129], off offset:72
	s_wait_loadcnt 0x0
	ds_store_b64 v1, v[126:127]
.LBB61_367:
	s_wait_xcnt 0x0
	s_or_b32 exec_lo, exec_lo, s0
	s_wait_storecnt_dscnt 0x0
	s_barrier_signal -1
	s_barrier_wait -1
	s_clause 0x18
	scratch_load_b128 v[126:129], off, off offset:80
	scratch_load_b128 v[130:133], off, off offset:96
	;; [unrolled: 1-line block ×25, first 2 shown]
	ds_load_b128 v[226:229], v7 offset:576
	ds_load_b128 v[230:233], v7 offset:592
	scratch_load_b128 v[234:237], off, off offset:480
	ds_load_b128 v[238:241], v7 offset:608
	ds_load_b128 v[242:245], v7 offset:624
	;; [unrolled: 1-line block ×5, first 2 shown]
	s_set_vgpr_msb 64                       ;  msbs: dst=1 src0=0 src1=0 src2=0
	ds_load_b128 v[2:5] /*v[258:261]*/, v7 offset:672
	ds_load_b128 v[6:9] /*v[262:265]*/, v7 offset:688
	;; [unrolled: 1-line block ×19, first 2 shown]
	scratch_load_b64 v[78:79] /*v[334:335]*/, off, off offset:72
	s_wait_dscnt 0x13
	s_set_vgpr_msb 0x41                     ;  msbs: dst=1 src0=1 src1=0 src2=0
	v_dual_mov_b32 v80 /*v336*/, v1 /*v257*/ :: v_dual_mov_b32 v81 /*v337*/, v0 /*v256*/
	s_wait_dscnt 0x10
	v_dual_mov_b32 v82 /*v338*/, v13 /*v269*/ :: v_dual_mov_b32 v83 /*v339*/, v12 /*v268*/
	s_wait_dscnt 0xf
	;; [unrolled: 2-line block ×3, first 2 shown]
	v_dual_mov_b32 v86 /*v342*/, v29 /*v285*/ :: v_dual_mov_b32 v87 /*v343*/, v28 /*v284*/
	s_mov_b32 s0, exec_lo
	s_wait_loadcnt 0x1a
	s_set_vgpr_msb 0                        ;  msbs: dst=0 src0=0 src1=0 src2=0
	v_dual_mul_f32 v7, v226, v127 :: v_dual_mul_f32 v9, v228, v129
	v_dual_mul_f32 v91, v227, v127 :: v_dual_mul_f32 v93, v229, v129
	s_wait_loadcnt 0x19
	v_dual_mul_f32 v11, v230, v131 :: v_dual_mul_f32 v13, v232, v133
	s_delay_alu instid0(VALU_DEP_3) | instskip(SKIP_3) | instid1(VALU_DEP_3)
	v_dual_fmac_f32 v7, v227, v126 :: v_dual_fmac_f32 v9, v229, v128
	s_wait_loadcnt 0x17
	v_dual_fma_f32 v91, v226, v126, -v91 :: v_dual_mul_f32 v103, v243, v139
	v_dual_mul_f32 v95, v231, v131 :: v_dual_mul_f32 v97, v233, v133
	v_dual_fma_f32 v93, v228, v128, -v93 :: v_dual_add_f32 v7, 0, v7
	s_delay_alu instid0(VALU_DEP_3) | instskip(SKIP_1) | instid1(VALU_DEP_3)
	v_dual_add_f32 v91, 0, v91 :: v_dual_mul_f32 v105, v245, v141
	v_dual_fmac_f32 v11, v231, v130 :: v_dual_fmac_f32 v13, v233, v132
	v_dual_fma_f32 v95, v230, v130, -v95 :: v_dual_add_f32 v7, v7, v9
	s_delay_alu instid0(VALU_DEP_3) | instskip(SKIP_2) | instid1(VALU_DEP_4)
	v_dual_add_f32 v9, v91, v93 :: v_dual_fma_f32 v93, v232, v132, -v97
	v_dual_mul_f32 v15, v238, v135 :: v_dual_mul_f32 v17, v240, v137
	v_dual_mul_f32 v99, v239, v135 :: v_dual_mul_f32 v101, v241, v137
	v_add_f32_e32 v7, v7, v11
	s_delay_alu instid0(VALU_DEP_3) | instskip(NEXT) | instid1(VALU_DEP_3)
	v_dual_add_f32 v9, v9, v95 :: v_dual_fmac_f32 v15, v239, v134
	v_fma_f32 v95, v238, v134, -v99
	v_dual_mul_f32 v19, v242, v139 :: v_dual_mul_f32 v21, v244, v141
	s_delay_alu instid0(VALU_DEP_4) | instskip(SKIP_2) | instid1(VALU_DEP_2)
	v_dual_add_f32 v7, v7, v13 :: v_dual_fmac_f32 v17, v241, v136
	s_wait_loadcnt 0x15
	v_dual_add_f32 v9, v9, v93 :: v_dual_mul_f32 v13, v251, v147
	v_dual_fma_f32 v93, v240, v136, -v101 :: v_dual_add_f32 v7, v7, v15
	v_mul_f32_e32 v15, v253, v149
	s_delay_alu instid0(VALU_DEP_3) | instskip(NEXT) | instid1(VALU_DEP_3)
	v_dual_add_f32 v9, v9, v95 :: v_dual_fmac_f32 v19, v243, v138
	v_dual_fma_f32 v95, v242, v138, -v103 :: v_dual_add_f32 v7, v7, v17
	v_fmac_f32_e32 v21, v245, v140
	s_delay_alu instid0(VALU_DEP_3) | instskip(SKIP_3) | instid1(VALU_DEP_3)
	v_dual_add_f32 v9, v9, v93 :: v_dual_fma_f32 v93, v244, v140, -v105
	v_dual_mul_f32 v23, v246, v143 :: v_dual_mul_f32 v25, v248, v145
	v_dual_mul_f32 v91, v247, v143 :: v_dual_mul_f32 v11, v249, v145
	v_add_f32_e32 v7, v7, v19
	v_dual_add_f32 v9, v9, v95 :: v_dual_fmac_f32 v23, v247, v142
	s_delay_alu instid0(VALU_DEP_3) | instskip(SKIP_1) | instid1(VALU_DEP_4)
	v_fma_f32 v91, v246, v142, -v91
	v_dual_mul_f32 v27, v250, v147 :: v_dual_mul_f32 v29, v252, v149
	v_dual_add_f32 v7, v7, v21 :: v_dual_fmac_f32 v25, v249, v144
	s_delay_alu instid0(VALU_DEP_4) | instskip(NEXT) | instid1(VALU_DEP_3)
	v_dual_add_f32 v9, v9, v93 :: v_dual_fma_f32 v11, v248, v144, -v11
	v_fmac_f32_e32 v27, v251, v146
	s_delay_alu instid0(VALU_DEP_3) | instskip(NEXT) | instid1(VALU_DEP_3)
	v_dual_add_f32 v7, v7, v23 :: v_dual_fma_f32 v13, v250, v146, -v13
	v_add_f32_e32 v9, v9, v91
	s_wait_loadcnt 0x14
	s_set_vgpr_msb 1                        ;  msbs: dst=0 src0=1 src1=0 src2=0
	v_dual_mul_f32 v31, v2 /*v258*/, v151 :: v_dual_mul_f32 v33, v4 /*v260*/, v153
	s_set_vgpr_msb 0                        ;  msbs: dst=0 src0=0 src1=0 src2=0
	v_add_f32_e32 v7, v7, v25
	s_set_vgpr_msb 1                        ;  msbs: dst=0 src0=1 src1=0 src2=0
	v_dual_mul_f32 v17, v3 /*v259*/, v151 :: v_dual_mul_f32 v19, v5 /*v261*/, v153
	s_set_vgpr_msb 0                        ;  msbs: dst=0 src0=0 src1=0 src2=0
	v_add_f32_e32 v9, v9, v11
	v_dual_fmac_f32 v29, v253, v148 :: v_dual_fma_f32 v15, v252, v148, -v15
	v_add_f32_e32 v7, v7, v27
	s_set_vgpr_msb 1                        ;  msbs: dst=0 src0=1 src1=0 src2=0
	v_dual_fmac_f32 v31, v3 /*v259*/, v150 :: v_dual_fma_f32 v17, v2 /*v258*/, v150, -v17
	s_set_vgpr_msb 0                        ;  msbs: dst=0 src0=0 src1=0 src2=0
	v_add_f32_e32 v9, v9, v13
	s_wait_loadcnt 0x13
	s_set_vgpr_msb 1                        ;  msbs: dst=0 src0=1 src1=0 src2=0
	v_dual_mul_f32 v35, v6 /*v262*/, v155 :: v_dual_mul_f32 v37, v8 /*v264*/, v157
	s_set_vgpr_msb 0                        ;  msbs: dst=0 src0=0 src1=0 src2=0
	v_add_f32_e32 v7, v7, v29
	s_set_vgpr_msb 1                        ;  msbs: dst=0 src0=1 src1=0 src2=0
	v_dual_mul_f32 v21, v7 /*v263*/, v155 :: v_dual_mul_f32 v23, v9 /*v265*/, v157
	s_set_vgpr_msb 0                        ;  msbs: dst=0 src0=0 src1=0 src2=0
	v_add_f32_e32 v9, v9, v15
	s_wait_loadcnt 0x11
	s_set_vgpr_msb 1                        ;  msbs: dst=0 src0=1 src1=0 src2=0
	v_dual_mul_f32 v15, v23 /*v279*/, v163 :: v_dual_fmac_f32 v33, v5 /*v261*/, v152
	v_fma_f32 v19, v4 /*v260*/, v152, -v19
	s_set_vgpr_msb 0                        ;  msbs: dst=0 src0=0 src1=0 src2=0
	v_dual_add_f32 v7, v7, v31 :: v_dual_add_f32 v9, v9, v17
	s_set_vgpr_msb 1                        ;  msbs: dst=0 src0=1 src1=0 src2=0
	v_dual_mul_f32 v17, v25 /*v281*/, v165 :: v_dual_fmac_f32 v35, v7 /*v263*/, v154
	v_fma_f32 v21, v6 /*v262*/, v154, -v21
	s_set_vgpr_msb 0                        ;  msbs: dst=0 src0=0 src1=0 src2=0
	v_dual_add_f32 v7, v7, v33 :: v_dual_add_f32 v9, v9, v19
	s_set_vgpr_msb 1                        ;  msbs: dst=0 src0=1 src1=0 src2=0
	v_dual_mul_f32 v11, v19 /*v275*/, v159 :: v_dual_mul_f32 v13, v21 /*v277*/, v161
	s_wait_loadcnt_dscnt 0x100b
	v_dual_mul_f32 v19, v31 /*v287*/, v167 :: v_dual_fmac_f32 v37, v9 /*v265*/, v156
	v_fma_f32 v23, v8 /*v264*/, v156, -v23
	s_set_vgpr_msb 0                        ;  msbs: dst=0 src0=0 src1=0 src2=0
	v_dual_add_f32 v7, v7, v35 :: v_dual_add_f32 v9, v9, v21
	s_set_vgpr_msb 1                        ;  msbs: dst=0 src0=1 src1=0 src2=0
	v_dual_mul_f32 v39, v18 /*v274*/, v159 :: v_dual_mul_f32 v41, v20 /*v276*/, v161
	v_dual_mul_f32 v21, v33 /*v289*/, v169 :: v_dual_fma_f32 v11, v18 /*v274*/, v158, -v11
	s_set_vgpr_msb 0                        ;  msbs: dst=0 src0=0 src1=0 src2=0
	v_dual_add_f32 v7, v7, v37 :: v_dual_add_f32 v9, v9, v23
	s_set_vgpr_msb 1                        ;  msbs: dst=0 src0=1 src1=0 src2=0
	v_dual_fmac_f32 v39, v19 /*v275*/, v158 :: v_dual_fmac_f32 v41, v21 /*v277*/, v160
	s_wait_loadcnt_dscnt 0xf0a
	v_dual_mul_f32 v23, v35 /*v291*/, v171 :: v_dual_fma_f32 v13, v20 /*v276*/, v160, -v13
	s_set_vgpr_msb 0                        ;  msbs: dst=0 src0=0 src1=0 src2=0
	v_add_f32_e32 v9, v9, v11
	s_set_vgpr_msb 1                        ;  msbs: dst=0 src0=1 src1=0 src2=0
	v_dual_mul_f32 v43, v22 /*v278*/, v163 :: v_dual_mul_f32 v45, v24 /*v280*/, v165
	v_mul_f32_e32 v11, v37 /*v293*/, v173
	s_set_vgpr_msb 0                        ;  msbs: dst=0 src0=0 src1=0 src2=0
	v_dual_add_f32 v7, v7, v39 :: v_dual_add_f32 v9, v9, v13
	s_wait_loadcnt_dscnt 0xe09
	s_set_vgpr_msb 1                        ;  msbs: dst=0 src0=1 src1=0 src2=0
	v_dual_fma_f32 v15, v22 /*v278*/, v162, -v15 :: v_dual_mul_f32 v13, v39 /*v295*/, v175
	v_dual_fmac_f32 v43, v23 /*v279*/, v162 :: v_dual_fmac_f32 v45, v25 /*v281*/, v164
	s_set_vgpr_msb 0                        ;  msbs: dst=0 src0=0 src1=0 src2=0
	v_add_f32_e32 v7, v7, v41
	s_set_vgpr_msb 1                        ;  msbs: dst=0 src0=1 src1=0 src2=0
	v_fma_f32 v17, v24 /*v280*/, v164, -v17
	s_set_vgpr_msb 0                        ;  msbs: dst=0 src0=0 src1=0 src2=0
	v_add_f32_e32 v9, v9, v15
	s_set_vgpr_msb 1                        ;  msbs: dst=0 src0=1 src1=0 src2=0
	v_dual_mul_f32 v47, v30 /*v286*/, v167 :: v_dual_mul_f32 v49, v32 /*v288*/, v169
	v_mul_f32_e32 v15, v41 /*v297*/, v177
	s_set_vgpr_msb 0                        ;  msbs: dst=0 src0=0 src1=0 src2=0
	v_dual_add_f32 v7, v7, v43 :: v_dual_add_f32 v9, v9, v17
	s_wait_loadcnt_dscnt 0xd08
	s_set_vgpr_msb 1                        ;  msbs: dst=0 src0=1 src1=0 src2=0
	v_dual_fma_f32 v19, v30 /*v286*/, v166, -v19 :: v_dual_mul_f32 v17, v43 /*v299*/, v179
	v_dual_fmac_f32 v47, v31 /*v287*/, v166 :: v_dual_fmac_f32 v49, v33 /*v289*/, v168
	s_set_vgpr_msb 0                        ;  msbs: dst=0 src0=0 src1=0 src2=0
	v_add_f32_e32 v7, v7, v45
	s_set_vgpr_msb 1                        ;  msbs: dst=0 src0=1 src1=0 src2=0
	v_fma_f32 v21, v32 /*v288*/, v168, -v21
	s_set_vgpr_msb 0                        ;  msbs: dst=0 src0=0 src1=0 src2=0
	v_add_f32_e32 v9, v9, v19
	s_set_vgpr_msb 1                        ;  msbs: dst=0 src0=1 src1=0 src2=0
	v_dual_mul_f32 v51, v34 /*v290*/, v171 :: v_dual_mul_f32 v53, v36 /*v292*/, v173
	v_mul_f32_e32 v19, v45 /*v301*/, v181
	s_set_vgpr_msb 0                        ;  msbs: dst=0 src0=0 src1=0 src2=0
	v_dual_add_f32 v7, v7, v47 :: v_dual_add_f32 v9, v9, v21
	s_wait_loadcnt_dscnt 0xc07
	s_set_vgpr_msb 1                        ;  msbs: dst=0 src0=1 src1=0 src2=0
	v_dual_fma_f32 v23, v34 /*v290*/, v170, -v23 :: v_dual_mul_f32 v21, v47 /*v303*/, v183
	v_dual_mul_f32 v55, v38 /*v294*/, v175 :: v_dual_mul_f32 v57, v40 /*v296*/, v177
	v_dual_mul_f32 v59, v42 /*v298*/, v179 :: v_dual_mul_f32 v61, v44 /*v300*/, v181
	v_dual_fmac_f32 v51, v35 /*v291*/, v170 :: v_dual_fmac_f32 v53, v37 /*v293*/, v172
	v_fma_f32 v11, v36 /*v292*/, v172, -v11
	s_set_vgpr_msb 0                        ;  msbs: dst=0 src0=0 src1=0 src2=0
	v_dual_add_f32 v9, v9, v23 :: v_dual_add_f32 v7, v7, v49
	s_set_vgpr_msb 1                        ;  msbs: dst=0 src0=1 src1=0 src2=0
	v_dual_mul_f32 v23, v49 /*v305*/, v185 :: v_dual_fmac_f32 v55, v39 /*v295*/, v174
	v_fma_f32 v13, v38 /*v294*/, v174, -v13
	v_dual_fmac_f32 v57, v41 /*v297*/, v176 :: v_dual_fmac_f32 v59, v43 /*v299*/, v178
	s_set_vgpr_msb 0                        ;  msbs: dst=0 src0=0 src1=0 src2=0
	v_add_f32_e32 v9, v9, v11
	s_set_vgpr_msb 1                        ;  msbs: dst=0 src0=1 src1=0 src2=0
	v_dual_mul_f32 v63, v46 /*v302*/, v183 :: v_dual_mul_f32 v65, v48 /*v304*/, v185
	s_set_vgpr_msb 0                        ;  msbs: dst=0 src0=0 src1=0 src2=0
	v_add_f32_e32 v7, v7, v51
	s_wait_loadcnt_dscnt 0xb06
	s_set_vgpr_msb 1                        ;  msbs: dst=0 src0=1 src1=0 src2=0
	v_dual_mul_f32 v11, v51 /*v307*/, v187 :: v_dual_fma_f32 v15, v40 /*v296*/, v176, -v15
	s_set_vgpr_msb 0                        ;  msbs: dst=0 src0=0 src1=0 src2=0
	v_add_f32_e32 v9, v9, v13
	s_set_vgpr_msb 1                        ;  msbs: dst=0 src0=1 src1=0 src2=0
	v_dual_mul_f32 v13, v53 /*v309*/, v189 :: v_dual_fma_f32 v17, v42 /*v298*/, v178, -v17
	s_set_vgpr_msb 0                        ;  msbs: dst=0 src0=0 src1=0 src2=0
	v_add_f32_e32 v7, v7, v53
	s_set_vgpr_msb 1                        ;  msbs: dst=0 src0=1 src1=0 src2=0
	v_dual_fmac_f32 v61, v45 /*v301*/, v180 :: v_dual_fmac_f32 v63, v47 /*v303*/, v182
	s_set_vgpr_msb 0                        ;  msbs: dst=0 src0=0 src1=0 src2=0
	v_add_f32_e32 v9, v9, v15
	s_set_vgpr_msb 1                        ;  msbs: dst=0 src0=1 src1=0 src2=0
	v_dual_mul_f32 v67, v50 /*v306*/, v187 :: v_dual_mul_f32 v69, v52 /*v308*/, v189
	s_set_vgpr_msb 0                        ;  msbs: dst=0 src0=0 src1=0 src2=0
	v_add_f32_e32 v7, v7, v55
	s_wait_loadcnt_dscnt 0xa05
	s_set_vgpr_msb 1                        ;  msbs: dst=0 src0=1 src1=0 src2=0
	v_dual_mul_f32 v15, v55 /*v311*/, v191 :: v_dual_fma_f32 v19, v44 /*v300*/, v180, -v19
	s_set_vgpr_msb 0                        ;  msbs: dst=0 src0=0 src1=0 src2=0
	v_add_f32_e32 v9, v9, v17
	s_set_vgpr_msb 1                        ;  msbs: dst=0 src0=1 src1=0 src2=0
	v_dual_mul_f32 v17, v57 /*v313*/, v193 :: v_dual_fma_f32 v21, v46 /*v302*/, v182, -v21
	s_set_vgpr_msb 0                        ;  msbs: dst=0 src0=0 src1=0 src2=0
	v_add_f32_e32 v7, v7, v57
	s_set_vgpr_msb 1                        ;  msbs: dst=0 src0=1 src1=0 src2=0
	v_dual_fmac_f32 v65, v49 /*v305*/, v184 :: v_dual_fmac_f32 v67, v51 /*v307*/, v186
	s_set_vgpr_msb 0                        ;  msbs: dst=0 src0=0 src1=0 src2=0
	v_add_f32_e32 v9, v9, v19
	s_set_vgpr_msb 1                        ;  msbs: dst=0 src0=1 src1=0 src2=0
	v_dual_mul_f32 v71, v54 /*v310*/, v191 :: v_dual_mul_f32 v73, v56 /*v312*/, v193
	s_set_vgpr_msb 0                        ;  msbs: dst=0 src0=0 src1=0 src2=0
	v_add_f32_e32 v7, v7, v59
	s_wait_loadcnt_dscnt 0x904
	s_set_vgpr_msb 1                        ;  msbs: dst=0 src0=1 src1=0 src2=0
	v_dual_mul_f32 v19, v59 /*v315*/, v195 :: v_dual_fma_f32 v23, v48 /*v304*/, v184, -v23
	s_set_vgpr_msb 0                        ;  msbs: dst=0 src0=0 src1=0 src2=0
	v_add_f32_e32 v9, v9, v21
	s_set_vgpr_msb 1                        ;  msbs: dst=0 src0=1 src1=0 src2=0
	v_dual_mul_f32 v75, v58 /*v314*/, v195 :: v_dual_mul_f32 v77, v60 /*v316*/, v197
	v_dual_mul_f32 v21, v61 /*v317*/, v197 :: v_dual_fma_f32 v11, v50 /*v306*/, v186, -v11
	v_dual_fmac_f32 v69, v53 /*v309*/, v188 :: v_dual_fmac_f32 v71, v55 /*v311*/, v190
	s_set_vgpr_msb 0                        ;  msbs: dst=0 src0=0 src1=0 src2=0
	v_dual_add_f32 v9, v9, v23 :: v_dual_add_f32 v7, v7, v61
	s_wait_loadcnt_dscnt 0x803
	s_set_vgpr_msb 1                        ;  msbs: dst=0 src0=1 src1=0 src2=0
	v_dual_mul_f32 v23, v63 /*v319*/, v199 :: v_dual_fma_f32 v13, v52 /*v308*/, v188, -v13
	v_dual_fmac_f32 v73, v57 /*v313*/, v192 :: v_dual_fmac_f32 v75, v59 /*v315*/, v194
	s_set_vgpr_msb 0                        ;  msbs: dst=0 src0=0 src1=0 src2=0
	v_add_f32_e32 v9, v9, v11
	s_set_vgpr_msb 1                        ;  msbs: dst=0 src0=1 src1=0 src2=0
	v_dual_mul_f32 v79, v62 /*v318*/, v199 :: v_dual_mul_f32 v81, v64 /*v320*/, v201
	s_set_vgpr_msb 0                        ;  msbs: dst=0 src0=0 src1=0 src2=0
	v_add_f32_e32 v7, v7, v63
	s_set_vgpr_msb 1                        ;  msbs: dst=0 src0=1 src1=0 src2=0
	v_dual_mul_f32 v11, v65 /*v321*/, v201 :: v_dual_fma_f32 v15, v54 /*v310*/, v190, -v15
	s_set_vgpr_msb 0                        ;  msbs: dst=0 src0=0 src1=0 src2=0
	v_add_f32_e32 v9, v9, v13
	s_wait_loadcnt_dscnt 0x702
	s_set_vgpr_msb 1                        ;  msbs: dst=0 src0=1 src1=0 src2=0
	v_dual_mul_f32 v13, v67 /*v323*/, v203 :: v_dual_fma_f32 v17, v56 /*v312*/, v192, -v17
	s_set_vgpr_msb 0                        ;  msbs: dst=0 src0=0 src1=0 src2=0
	v_add_f32_e32 v7, v7, v65
	s_set_vgpr_msb 1                        ;  msbs: dst=0 src0=1 src1=0 src2=0
	v_dual_fmac_f32 v77, v61 /*v317*/, v196 :: v_dual_fmac_f32 v79, v63 /*v319*/, v198
	s_set_vgpr_msb 0                        ;  msbs: dst=0 src0=0 src1=0 src2=0
	v_add_f32_e32 v9, v9, v15
	s_set_vgpr_msb 1                        ;  msbs: dst=0 src0=1 src1=0 src2=0
	v_dual_mul_f32 v83, v66 /*v322*/, v203 :: v_dual_mul_f32 v85, v68 /*v324*/, v205
	s_set_vgpr_msb 0                        ;  msbs: dst=0 src0=0 src1=0 src2=0
	v_add_f32_e32 v7, v7, v67
	s_set_vgpr_msb 1                        ;  msbs: dst=0 src0=1 src1=0 src2=0
	v_dual_mul_f32 v15, v69 /*v325*/, v205 :: v_dual_fma_f32 v19, v58 /*v314*/, v194, -v19
	s_set_vgpr_msb 0                        ;  msbs: dst=0 src0=0 src1=0 src2=0
	v_add_f32_e32 v9, v9, v17
	s_wait_loadcnt_dscnt 0x601
	s_set_vgpr_msb 1                        ;  msbs: dst=0 src0=1 src1=0 src2=0
	v_dual_mul_f32 v17, v71 /*v327*/, v207 :: v_dual_fma_f32 v21, v60 /*v316*/, v196, -v21
	s_set_vgpr_msb 0                        ;  msbs: dst=0 src0=0 src1=0 src2=0
	v_add_f32_e32 v7, v7, v69
	s_set_vgpr_msb 1                        ;  msbs: dst=0 src0=1 src1=0 src2=0
	v_dual_fmac_f32 v81, v65 /*v321*/, v200 :: v_dual_fmac_f32 v83, v67 /*v323*/, v202
	s_set_vgpr_msb 0                        ;  msbs: dst=0 src0=0 src1=0 src2=0
	v_add_f32_e32 v9, v9, v19
	s_set_vgpr_msb 1                        ;  msbs: dst=0 src0=1 src1=0 src2=0
	v_dual_mul_f32 v19, v73 /*v329*/, v209 :: v_dual_fma_f32 v23, v62 /*v318*/, v198, -v23
	s_set_vgpr_msb 0                        ;  msbs: dst=0 src0=0 src1=0 src2=0
	v_add_f32_e32 v7, v7, v71
	s_set_vgpr_msb 1                        ;  msbs: dst=0 src0=1 src1=0 src2=0
	v_dual_mul_f32 v87, v70 /*v326*/, v207 :: v_dual_mul_f32 v89, v72 /*v328*/, v209
	s_set_vgpr_msb 0                        ;  msbs: dst=0 src0=0 src1=0 src2=0
	v_add_f32_e32 v9, v9, v21
	s_wait_loadcnt_dscnt 0x500
	s_set_vgpr_msb 1                        ;  msbs: dst=0 src0=1 src1=0 src2=0
	v_dual_mul_f32 v21, v75 /*v331*/, v211 :: v_dual_fma_f32 v11, v64 /*v320*/, v200, -v11
	s_set_vgpr_msb 0                        ;  msbs: dst=0 src0=0 src1=0 src2=0
	v_add_f32_e32 v7, v7, v73
	s_set_vgpr_msb 1                        ;  msbs: dst=0 src0=1 src1=0 src2=0
	v_fmac_f32_e32 v85, v69 /*v325*/, v204
	s_set_vgpr_msb 0                        ;  msbs: dst=0 src0=0 src1=0 src2=0
	v_add_f32_e32 v9, v9, v23
	s_set_vgpr_msb 1                        ;  msbs: dst=0 src0=1 src1=0 src2=0
	v_dual_mul_f32 v23, v77 /*v333*/, v213 :: v_dual_fma_f32 v13, v66 /*v322*/, v202, -v13
	v_fmac_f32_e32 v89, v73 /*v329*/, v208
	s_wait_loadcnt 0x4
	s_set_vgpr_msb 0                        ;  msbs: dst=0 src0=0 src1=0 src2=0
	v_mov_b32_e32 v128, v217
	v_add_f32_e32 v9, v9, v11
	v_add_f32_e32 v7, v7, v75
	s_set_vgpr_msb 1                        ;  msbs: dst=0 src0=1 src1=0 src2=0
	v_fma_f32 v11, v68 /*v324*/, v204, -v15
	v_fmac_f32_e32 v87, v71 /*v327*/, v206
	s_set_vgpr_msb 0x41                     ;  msbs: dst=1 src0=1 src1=0 src2=0
	v_dual_mul_f32 v89 /*v345*/, v74 /*v330*/, v211 :: v_dual_mul_f32 v91 /*v347*/, v76 /*v332*/, v213
	s_set_vgpr_msb 0                        ;  msbs: dst=0 src0=0 src1=0 src2=0
	v_add_f32_e32 v9, v9, v13
	v_add_f32_e32 v7, v7, v77
	s_set_vgpr_msb 1                        ;  msbs: dst=0 src0=1 src1=0 src2=0
	v_fma_f32 v13, v70 /*v326*/, v206, -v17
	s_set_vgpr_msb 0                        ;  msbs: dst=0 src0=0 src1=0 src2=0
	v_pk_mul_f32 v[126:127], v[254:255], v[214:215] op_sel:[1,1] op_sel_hi:[0,1]
	s_wait_loadcnt 0x3
	v_mov_b32_e32 v132, v221
	v_add_f32_e32 v9, v9, v11
	v_add_f32_e32 v7, v7, v79
	s_set_vgpr_msb 1                        ;  msbs: dst=0 src0=1 src1=0 src2=0
	v_fma_f32 v11, v72 /*v328*/, v208, -v19
	s_set_vgpr_msb 0x41                     ;  msbs: dst=1 src0=1 src1=0 src2=0
	v_dual_fmac_f32 v89 /*v345*/, v75 /*v331*/, v210 :: v_dual_fmac_f32 v91 /*v347*/, v77 /*v333*/, v212
	s_set_vgpr_msb 0                        ;  msbs: dst=0 src0=0 src1=0 src2=0
	v_add_f32_e32 v9, v9, v13
	v_add_f32_e32 v7, v7, v81
	s_set_vgpr_msb 0x41                     ;  msbs: dst=1 src0=1 src1=0 src2=0
	v_dual_fma_f32 v88 /*v344*/, v74 /*v330*/, v210, -v21 :: v_dual_fma_f32 v90 /*v346*/, v76 /*v332*/, v212, -v23
	s_set_vgpr_msb 0                        ;  msbs: dst=0 src0=0 src1=0 src2=0
	v_pk_fma_f32 v[136:137], v[254:255], v[214:215], v[126:127] op_sel_hi:[1,0,1]
	v_add_f32_e32 v134, v9, v11
	v_add_f32_e32 v7, v7, v83
	s_set_vgpr_msb 1                        ;  msbs: dst=0 src0=1 src1=0 src2=0
	v_pk_mul_f32 v[128:129], v[80:81] /*v[336:337]*/, v[128:129] op_sel_hi:[1,0]
	s_set_vgpr_msb 0                        ;  msbs: dst=0 src0=0 src1=0 src2=0
	v_pk_fma_f32 v[126:127], v[254:255], v[214:215], v[126:127] neg_lo:[0,0,1] neg_hi:[0,0,1]
	s_set_vgpr_msb 1                        ;  msbs: dst=0 src0=1 src1=0 src2=0
	v_pk_mul_f32 v[130:131], v[10:11] /*v[266:267]*/, v[218:219] op_sel:[1,1] op_sel_hi:[0,1]
	s_set_vgpr_msb 0                        ;  msbs: dst=0 src0=0 src1=0 src2=0
	v_dual_mov_b32 v127, v137 :: v_dual_add_f32 v7, v7, v85
	s_set_vgpr_msb 1                        ;  msbs: dst=0 src0=1 src1=0 src2=0
	v_pk_fma_f32 v[136:137], v[0:1] /*v[256:257]*/, v[216:217], v[128:129] op_sel_hi:[1,0,1]
	v_pk_fma_f32 v[128:129], v[0:1] /*v[256:257]*/, v[216:217], v[128:129] neg_lo:[0,0,1] neg_hi:[0,0,1]
	v_pk_fma_f32 v[140:141], v[10:11] /*v[266:267]*/, v[218:219], v[130:131] op_sel_hi:[1,0,1]
	v_pk_mul_f32 v[132:133], v[82:83] /*v[338:339]*/, v[132:133] op_sel_hi:[1,0]
	s_set_vgpr_msb 0                        ;  msbs: dst=0 src0=0 src1=0 src2=0
	v_dual_add_f32 v7, v7, v87 :: v_dual_mov_b32 v129, v137
	s_wait_loadcnt 0x2
	s_set_vgpr_msb 1                        ;  msbs: dst=0 src0=1 src1=0 src2=0
	v_pk_mul_f32 v[138:139], v[14:15] /*v[270:271]*/, v[222:223] op_sel:[1,1] op_sel_hi:[0,1]
	v_pk_fma_f32 v[130:131], v[10:11] /*v[266:267]*/, v[218:219], v[130:131] neg_lo:[0,0,1] neg_hi:[0,0,1]
	s_set_vgpr_msb 0                        ;  msbs: dst=0 src0=0 src1=0 src2=0
	v_dual_mov_b32 v131, v141 :: v_dual_add_f32 v135, v7, v89
	s_set_vgpr_msb 1                        ;  msbs: dst=0 src0=1 src1=0 src2=0
	v_pk_fma_f32 v[136:137], v[12:13] /*v[268:269]*/, v[220:221], v[132:133] op_sel_hi:[1,0,1]
	v_pk_fma_f32 v[132:133], v[12:13] /*v[268:269]*/, v[220:221], v[132:133] neg_lo:[0,0,1] neg_hi:[0,0,1]
	s_set_vgpr_msb 4                        ;  msbs: dst=0 src0=0 src1=1 src2=0
	v_pk_add_f32 v[134:135], v[134:135], v[88:89] /*v[344:345]*/
	s_delay_alu instid0(VALU_DEP_1) | instskip(SKIP_1) | instid1(VALU_DEP_1)
	v_pk_add_f32 v[134:135], v[134:135], v[90:91] /*v[346:347]*/
	s_set_vgpr_msb 0                        ;  msbs: dst=0 src0=0 src1=0 src2=0
	v_pk_add_f32 v[126:127], v[134:135], v[126:127]
	v_mov_b32_e32 v134, v225
	s_delay_alu instid0(VALU_DEP_2) | instskip(SKIP_2) | instid1(VALU_DEP_3)
	v_pk_add_f32 v[126:127], v[126:127], v[128:129]
	s_set_vgpr_msb 1                        ;  msbs: dst=0 src0=1 src1=0 src2=0
	v_pk_fma_f32 v[128:129], v[14:15] /*v[270:271]*/, v[222:223], v[138:139] op_sel_hi:[1,0,1]
	v_pk_mul_f32 v[134:135], v[84:85] /*v[340:341]*/, v[134:135] op_sel_hi:[1,0]
	s_set_vgpr_msb 0                        ;  msbs: dst=0 src0=0 src1=0 src2=0
	v_mov_b32_e32 v133, v137
	s_set_vgpr_msb 1                        ;  msbs: dst=0 src0=1 src1=0 src2=0
	v_pk_fma_f32 v[136:137], v[14:15] /*v[270:271]*/, v[222:223], v[138:139] neg_lo:[0,0,1] neg_hi:[0,0,1]
	s_set_vgpr_msb 0                        ;  msbs: dst=0 src0=0 src1=0 src2=0
	v_pk_add_f32 v[126:127], v[126:127], v[130:131]
	v_mov_b32_e32 v137, v129
	s_set_vgpr_msb 1                        ;  msbs: dst=0 src0=1 src1=0 src2=0
	v_pk_fma_f32 v[128:129], v[16:17] /*v[272:273]*/, v[224:225], v[134:135] op_sel_hi:[1,0,1]
	s_wait_loadcnt 0x1
	v_pk_mul_f32 v[130:131], v[26:27] /*v[282:283]*/, v[234:235] op_sel:[1,1] op_sel_hi:[0,1]
	s_set_vgpr_msb 0                        ;  msbs: dst=0 src0=0 src1=0 src2=0
	v_mov_b32_e32 v128, v237
	v_pk_add_f32 v[126:127], v[126:127], v[132:133]
	s_set_vgpr_msb 1                        ;  msbs: dst=0 src0=1 src1=0 src2=0
	v_pk_fma_f32 v[134:135], v[16:17] /*v[272:273]*/, v[224:225], v[134:135] neg_lo:[0,0,1] neg_hi:[0,0,1]
	s_set_vgpr_msb 0                        ;  msbs: dst=0 src0=0 src1=0 src2=0
	v_mov_b32_e32 v135, v129
	s_set_vgpr_msb 1                        ;  msbs: dst=0 src0=1 src1=0 src2=0
	v_pk_fma_f32 v[132:133], v[26:27] /*v[282:283]*/, v[234:235], v[130:131] op_sel_hi:[1,0,1]
	v_pk_mul_f32 v[128:129], v[86:87] /*v[342:343]*/, v[128:129] op_sel_hi:[1,0]
	s_set_vgpr_msb 0                        ;  msbs: dst=0 src0=0 src1=0 src2=0
	v_pk_add_f32 v[126:127], v[126:127], v[136:137]
	s_set_vgpr_msb 1                        ;  msbs: dst=0 src0=1 src1=0 src2=0
	v_pk_fma_f32 v[130:131], v[26:27] /*v[282:283]*/, v[234:235], v[130:131] neg_lo:[0,0,1] neg_hi:[0,0,1]
	s_set_vgpr_msb 0                        ;  msbs: dst=0 src0=0 src1=0 src2=0
	v_mov_b32_e32 v131, v133
	s_set_vgpr_msb 1                        ;  msbs: dst=0 src0=1 src1=0 src2=0
	v_pk_fma_f32 v[132:133], v[28:29] /*v[284:285]*/, v[236:237], v[128:129] op_sel_hi:[1,0,1]
	s_set_vgpr_msb 0                        ;  msbs: dst=0 src0=0 src1=0 src2=0
	v_pk_add_f32 v[126:127], v[126:127], v[134:135]
	s_set_vgpr_msb 1                        ;  msbs: dst=0 src0=1 src1=0 src2=0
	v_pk_fma_f32 v[128:129], v[28:29] /*v[284:285]*/, v[236:237], v[128:129] neg_lo:[0,0,1] neg_hi:[0,0,1]
	s_set_vgpr_msb 0                        ;  msbs: dst=0 src0=0 src1=0 src2=0
	v_mov_b32_e32 v129, v133
	v_pk_add_f32 v[126:127], v[126:127], v[130:131]
	s_delay_alu instid0(VALU_DEP_1) | instskip(SKIP_2) | instid1(VALU_DEP_1)
	v_pk_add_f32 v[126:127], v[126:127], v[128:129]
	s_wait_loadcnt 0x0
	s_set_vgpr_msb 1                        ;  msbs: dst=0 src0=1 src1=0 src2=0
	v_pk_add_f32 v[126:127], v[78:79] /*v[334:335]*/, v[126:127] neg_lo:[0,1] neg_hi:[0,1]
	scratch_store_b64 off, v[126:127], off offset:72
	s_wait_xcnt 0x0
	v_cmpx_lt_u32_e32 8, v0
	s_set_vgpr_msb 0                        ;  msbs: dst=0 src0=0 src1=0 src2=0
	s_cbranch_execz .LBB61_369
; %bb.368:
	scratch_load_b64 v[126:127], off, off offset:64
	v_mov_b64_e32 v[128:129], 0
	scratch_store_b64 off, v[128:129], off offset:64
	s_wait_loadcnt 0x0
	ds_store_b64 v1, v[126:127]
.LBB61_369:
	s_wait_xcnt 0x0
	s_or_b32 exec_lo, exec_lo, s0
	s_wait_storecnt_dscnt 0x0
	s_barrier_signal -1
	s_barrier_wait -1
	s_clause 0x1c
	scratch_load_b128 v[126:129], off, off offset:72
	scratch_load_b128 v[130:133], off, off offset:88
	;; [unrolled: 1-line block ×26, first 2 shown]
	s_set_vgpr_msb 64                       ;  msbs: dst=1 src0=0 src1=0 src2=0
	scratch_load_b64 v[78:79] /*v[334:335]*/, off, off offset:488
	scratch_load_b64 v[80:81] /*v[336:337]*/, off, off offset:64
	s_set_vgpr_msb 0                        ;  msbs: dst=0 src0=0 src1=0 src2=0
	v_mov_b32_e32 v7, 0
	ds_load_2addr_b64 v[230:233], v7 offset0:71 offset1:72
	ds_load_2addr_b64 v[234:237], v7 offset0:73 offset1:74
	;; [unrolled: 1-line block ×7, first 2 shown]
	s_set_vgpr_msb 64                       ;  msbs: dst=1 src0=0 src1=0 src2=0
	ds_load_2addr_b64 v[2:5] /*v[258:261]*/, v7 offset0:83 offset1:84
	ds_load_2addr_b64 v[6:9] /*v[262:265]*/, v7 offset0:85 offset1:86
	;; [unrolled: 1-line block ×19, first 2 shown]
	ds_load_b64 v[82:83] /*v[338:339]*/, v7 offset:984
	s_wait_dscnt 0x14
	s_set_vgpr_msb 0x41                     ;  msbs: dst=1 src0=1 src1=0 src2=0
	v_dual_mov_b32 v84 /*v340*/, v1 /*v257*/ :: v_dual_mov_b32 v85 /*v341*/, v0 /*v256*/
	s_wait_dscnt 0x11
	v_dual_mov_b32 v86 /*v342*/, v13 /*v269*/ :: v_dual_mov_b32 v87 /*v343*/, v12 /*v268*/
	s_wait_dscnt 0x10
	;; [unrolled: 2-line block ×3, first 2 shown]
	v_dual_mov_b32 v90 /*v346*/, v29 /*v285*/ :: v_dual_mov_b32 v91 /*v347*/, v28 /*v284*/
	s_mov_b32 s0, exec_lo
	s_wait_loadcnt 0x1b
	s_set_vgpr_msb 0                        ;  msbs: dst=0 src0=0 src1=0 src2=0
	v_dual_mul_f32 v9, v230, v127 :: v_dual_mul_f32 v95, v231, v127
	s_wait_loadcnt 0x1a
	v_dual_mul_f32 v11, v232, v129 :: v_dual_mul_f32 v13, v234, v131
	v_dual_mul_f32 v97, v233, v129 :: v_dual_mul_f32 v99, v235, v131
	s_wait_loadcnt 0x16
	v_dual_mul_f32 v31, v252, v149 :: v_dual_fmac_f32 v9, v231, v126
	v_dual_fma_f32 v95, v230, v126, -v95 :: v_dual_mul_f32 v109, v245, v141
	s_delay_alu instid0(VALU_DEP_3) | instskip(SKIP_1) | instid1(VALU_DEP_3)
	v_dual_fma_f32 v97, v232, v128, -v97 :: v_dual_fmac_f32 v11, v233, v128
	v_dual_mul_f32 v15, v236, v133 :: v_dual_mul_f32 v17, v238, v135
	v_dual_add_f32 v95, 0, v95 :: v_dual_mul_f32 v101, v237, v133
	v_dual_mul_f32 v103, v239, v135 :: v_dual_add_f32 v9, 0, v9
	v_dual_mul_f32 v111, v247, v143 :: v_dual_fma_f32 v99, v234, v130, -v99
	v_fmac_f32_e32 v13, v235, v130
	s_wait_loadcnt_dscnt 0x601
	s_set_vgpr_msb 1                        ;  msbs: dst=0 src0=1 src1=0 src2=0
	v_mul_f32_e32 v93, v74 /*v330*/, v211
	s_set_vgpr_msb 0                        ;  msbs: dst=0 src0=0 src1=0 src2=0
	v_dual_add_f32 v9, v9, v11 :: v_dual_add_f32 v11, v95, v97
	v_fmac_f32_e32 v15, v237, v132
	v_dual_mul_f32 v95, v249, v145 :: v_dual_fma_f32 v97, v236, v132, -v101
	s_delay_alu instid0(VALU_DEP_3) | instskip(SKIP_3) | instid1(VALU_DEP_4)
	v_dual_add_f32 v9, v9, v13 :: v_dual_add_f32 v11, v11, v99
	v_dual_mul_f32 v19, v240, v137 :: v_dual_mul_f32 v21, v242, v139
	v_dual_mul_f32 v105, v241, v137 :: v_dual_mul_f32 v107, v243, v139
	v_dual_mul_f32 v13, v251, v147 :: v_dual_fma_f32 v99, v238, v134, -v103
	v_dual_fmac_f32 v17, v239, v134 :: v_dual_add_f32 v9, v9, v15
	s_delay_alu instid0(VALU_DEP_4) | instskip(NEXT) | instid1(VALU_DEP_4)
	v_dual_add_f32 v11, v11, v97 :: v_dual_fmac_f32 v19, v241, v136
	v_dual_mul_f32 v15, v253, v149 :: v_dual_fma_f32 v97, v240, v136, -v105
	s_delay_alu instid0(VALU_DEP_2) | instskip(SKIP_2) | instid1(VALU_DEP_3)
	v_dual_add_f32 v9, v9, v17 :: v_dual_add_f32 v11, v11, v99
	v_dual_mul_f32 v23, v244, v141 :: v_dual_mul_f32 v25, v246, v143
	v_dual_fmac_f32 v21, v243, v138 :: v_dual_fma_f32 v99, v242, v138, -v107
	v_dual_add_f32 v9, v9, v19 :: v_dual_add_f32 v11, v11, v97
	s_delay_alu instid0(VALU_DEP_3) | instskip(SKIP_1) | instid1(VALU_DEP_3)
	v_dual_fmac_f32 v23, v245, v140 :: v_dual_fma_f32 v97, v244, v140, -v109
	v_dual_mul_f32 v27, v248, v145 :: v_dual_mul_f32 v29, v250, v147
	v_dual_add_f32 v9, v9, v21 :: v_dual_add_f32 v11, v11, v99
	v_dual_fmac_f32 v25, v247, v142 :: v_dual_fma_f32 v99, v246, v142, -v111
	s_set_vgpr_msb 1                        ;  msbs: dst=0 src0=1 src1=0 src2=0
	v_dual_mul_f32 v33, v2 /*v258*/, v151 :: v_dual_mul_f32 v35, v4 /*v260*/, v153
	s_set_vgpr_msb 0                        ;  msbs: dst=0 src0=0 src1=0 src2=0
	v_dual_add_f32 v9, v9, v23 :: v_dual_add_f32 v11, v11, v97
	v_fmac_f32_e32 v27, v249, v144
	v_fma_f32 v95, v248, v144, -v95
	s_set_vgpr_msb 1                        ;  msbs: dst=0 src0=1 src1=0 src2=0
	v_dual_mul_f32 v17, v3 /*v259*/, v151 :: v_dual_mul_f32 v19, v5 /*v261*/, v153
	s_set_vgpr_msb 0                        ;  msbs: dst=0 src0=0 src1=0 src2=0
	v_dual_add_f32 v9, v9, v25 :: v_dual_add_f32 v11, v11, v99
	v_fmac_f32_e32 v29, v251, v146
	v_fma_f32 v13, v250, v146, -v13
	s_set_vgpr_msb 1                        ;  msbs: dst=0 src0=1 src1=0 src2=0
	v_fmac_f32_e32 v33, v3 /*v259*/, v150
	s_set_vgpr_msb 0                        ;  msbs: dst=0 src0=0 src1=0 src2=0
	v_add_f32_e32 v9, v9, v27
	v_dual_add_f32 v11, v11, v95 :: v_dual_fmac_f32 v31, v253, v148
	v_fma_f32 v15, v252, v148, -v15
	s_set_vgpr_msb 1                        ;  msbs: dst=0 src0=1 src1=0 src2=0
	v_fma_f32 v17, v2 /*v258*/, v150, -v17
	s_set_vgpr_msb 0                        ;  msbs: dst=0 src0=0 src1=0 src2=0
	v_add_f32_e32 v9, v9, v29
	v_add_f32_e32 v11, v11, v13
	s_set_vgpr_msb 1                        ;  msbs: dst=0 src0=1 src1=0 src2=0
	v_mul_f32_e32 v13, v23 /*v279*/, v163
	v_dual_mul_f32 v37, v6 /*v262*/, v155 :: v_dual_mul_f32 v39, v8 /*v264*/, v157
	v_dual_mul_f32 v21, v7 /*v263*/, v155 :: v_dual_mul_f32 v23, v9 /*v265*/, v157
	s_set_vgpr_msb 0                        ;  msbs: dst=0 src0=0 src1=0 src2=0
	v_add_f32_e32 v11, v11, v15
	v_add_f32_e32 v9, v9, v31
	s_set_vgpr_msb 1                        ;  msbs: dst=0 src0=1 src1=0 src2=0
	v_mul_f32_e32 v15, v25 /*v281*/, v165
	v_fmac_f32_e32 v35, v5 /*v261*/, v152
	v_dual_fma_f32 v19, v4 /*v260*/, v152, -v19 :: v_dual_fmac_f32 v37, v7 /*v263*/, v154
	s_set_vgpr_msb 0                        ;  msbs: dst=0 src0=0 src1=0 src2=0
	v_add_f32_e32 v11, v11, v17
	v_add_f32_e32 v9, v9, v33
	s_set_vgpr_msb 1                        ;  msbs: dst=0 src0=1 src1=0 src2=0
	v_dual_mul_f32 v17, v31 /*v287*/, v167 :: v_dual_fma_f32 v21, v6 /*v262*/, v154, -v21
	v_dual_mul_f32 v41, v18 /*v274*/, v159 :: v_dual_mul_f32 v43, v20 /*v276*/, v161
	s_set_vgpr_msb 0                        ;  msbs: dst=0 src0=0 src1=0 src2=0
	v_add_f32_e32 v11, v11, v19
	s_set_vgpr_msb 1                        ;  msbs: dst=0 src0=1 src1=0 src2=0
	v_mul_f32_e32 v19, v33 /*v289*/, v169
	s_set_vgpr_msb 0                        ;  msbs: dst=0 src0=0 src1=0 src2=0
	v_add_f32_e32 v9, v9, v35
	s_set_vgpr_msb 1                        ;  msbs: dst=0 src0=1 src1=0 src2=0
	v_dual_mul_f32 v25, v19 /*v275*/, v159 :: v_dual_mul_f32 v27, v21 /*v277*/, v161
	v_fmac_f32_e32 v39, v9 /*v265*/, v156
	v_dual_fma_f32 v23, v8 /*v264*/, v156, -v23 :: v_dual_fmac_f32 v41, v19 /*v275*/, v158
	s_set_vgpr_msb 0                        ;  msbs: dst=0 src0=0 src1=0 src2=0
	v_add_f32_e32 v11, v11, v21
	v_add_f32_e32 v9, v9, v37
	s_set_vgpr_msb 1                        ;  msbs: dst=0 src0=1 src1=0 src2=0
	v_dual_mul_f32 v21, v35 /*v291*/, v171 :: v_dual_fma_f32 v25, v18 /*v274*/, v158, -v25
	v_dual_mul_f32 v45, v22 /*v278*/, v163 :: v_dual_mul_f32 v47, v24 /*v280*/, v165
	s_set_vgpr_msb 0                        ;  msbs: dst=0 src0=0 src1=0 src2=0
	v_add_f32_e32 v11, v11, v23
	s_set_vgpr_msb 1                        ;  msbs: dst=0 src0=1 src1=0 src2=0
	v_mul_f32_e32 v23, v37 /*v293*/, v173
	s_set_vgpr_msb 0                        ;  msbs: dst=0 src0=0 src1=0 src2=0
	v_add_f32_e32 v9, v9, v39
	s_set_vgpr_msb 1                        ;  msbs: dst=0 src0=1 src1=0 src2=0
	v_fmac_f32_e32 v43, v21 /*v277*/, v160
	v_dual_fma_f32 v27, v20 /*v276*/, v160, -v27 :: v_dual_fmac_f32 v45, v23 /*v279*/, v162
	s_set_vgpr_msb 0                        ;  msbs: dst=0 src0=0 src1=0 src2=0
	v_add_f32_e32 v11, v11, v25
	v_add_f32_e32 v9, v9, v41
	s_set_vgpr_msb 1                        ;  msbs: dst=0 src0=1 src1=0 src2=0
	v_dual_mul_f32 v25, v39 /*v295*/, v175 :: v_dual_fma_f32 v13, v22 /*v278*/, v162, -v13
	v_dual_mul_f32 v49, v30 /*v286*/, v167 :: v_dual_mul_f32 v51, v32 /*v288*/, v169
	s_set_vgpr_msb 0                        ;  msbs: dst=0 src0=0 src1=0 src2=0
	v_add_f32_e32 v11, v11, v27
	s_set_vgpr_msb 1                        ;  msbs: dst=0 src0=1 src1=0 src2=0
	v_mul_f32_e32 v27, v41 /*v297*/, v177
	s_set_vgpr_msb 0                        ;  msbs: dst=0 src0=0 src1=0 src2=0
	v_add_f32_e32 v9, v9, v43
	s_set_vgpr_msb 1                        ;  msbs: dst=0 src0=1 src1=0 src2=0
	;; [unrolled: 15-line block ×11, first 2 shown]
	v_dual_fmac_f32 v83, v65 /*v321*/, v200 :: v_dual_fmac_f32 v85, v67 /*v323*/, v202
	v_dual_fma_f32 v19, v64 /*v320*/, v200, -v19 :: v_dual_fma_f32 v21, v66 /*v322*/, v202, -v21
	s_set_vgpr_msb 0                        ;  msbs: dst=0 src0=0 src1=0 src2=0
	v_add_f32_e32 v11, v11, v17
	v_add_f32_e32 v9, v9, v81
	s_set_vgpr_msb 1                        ;  msbs: dst=0 src0=1 src1=0 src2=0
	v_dual_mul_f32 v89, v70 /*v326*/, v207 :: v_dual_mul_f32 v91, v72 /*v328*/, v209
	v_fmac_f32_e32 v87, v69 /*v325*/, v204
	s_set_vgpr_msb 0                        ;  msbs: dst=0 src0=0 src1=0 src2=0
	v_add_f32_e32 v11, v11, v19
	v_add_f32_e32 v9, v9, v83
	s_set_vgpr_msb 1                        ;  msbs: dst=0 src0=1 src1=0 src2=0
	v_dual_fma_f32 v19, v68 /*v324*/, v204, -v23 :: v_dual_fmac_f32 v89, v71 /*v327*/, v206
	s_wait_loadcnt 0x4
	s_set_vgpr_msb 0                        ;  msbs: dst=0 src0=0 src1=0 src2=0
	v_dual_mov_b32 v130, v221 :: v_dual_add_f32 v11, v11, v21
	v_add_f32_e32 v9, v9, v85
	s_set_vgpr_msb 1                        ;  msbs: dst=0 src0=1 src1=0 src2=0
	v_fma_f32 v21, v70 /*v326*/, v206, -v25
	s_set_vgpr_msb 0                        ;  msbs: dst=0 src0=0 src1=0 src2=0
	v_dual_mul_f32 v17, v255, v215 :: v_dual_mov_b32 v126, v217
	v_add_f32_e32 v11, v11, v19
	v_add_f32_e32 v9, v9, v87
	s_set_vgpr_msb 1                        ;  msbs: dst=0 src0=1 src1=0 src2=0
	v_dual_fmac_f32 v91, v73 /*v329*/, v208 :: v_dual_fmac_f32 v93, v75 /*v331*/, v210
	v_dual_fma_f32 v19, v72 /*v328*/, v208, -v27 :: v_dual_fma_f32 v13, v74 /*v330*/, v210, -v13
	s_set_vgpr_msb 0                        ;  msbs: dst=0 src0=0 src1=0 src2=0
	v_add_f32_e32 v11, v11, v21
	v_add_f32_e32 v9, v9, v89
	s_set_vgpr_msb 0x41                     ;  msbs: dst=1 src0=1 src1=0 src2=0
	v_dual_mul_f32 v93 /*v349*/, v76 /*v332*/, v213 :: v_dual_fma_f32 v92 /*v348*/, v76 /*v332*/, v212, -v15
	s_set_vgpr_msb 1                        ;  msbs: dst=0 src0=1 src1=0 src2=0
	v_pk_mul_f32 v[126:127], v[84:85] /*v[340:341]*/, v[126:127] op_sel_hi:[1,0]
	s_set_vgpr_msb 0                        ;  msbs: dst=0 src0=0 src1=0 src2=0
	v_add_f32_e32 v11, v11, v19
	v_add_f32_e32 v9, v9, v91
	s_set_vgpr_msb 64                       ;  msbs: dst=1 src0=0 src1=0 src2=0
	v_dual_mul_f32 v95 /*v351*/, v254, v215 :: v_dual_fma_f32 v94 /*v350*/, v254, v214, -v17
	s_set_vgpr_msb 0x41                     ;  msbs: dst=1 src0=1 src1=0 src2=0
	v_fmac_f32_e32 v93 /*v349*/, v77 /*v333*/, v212
	s_set_vgpr_msb 0                        ;  msbs: dst=0 src0=0 src1=0 src2=0
	v_add_f32_e32 v134, v11, v13
	s_set_vgpr_msb 1                        ;  msbs: dst=0 src0=1 src1=0 src2=0
	v_pk_fma_f32 v[138:139], v[0:1] /*v[256:257]*/, v[216:217], v[126:127] op_sel_hi:[1,0,1]
	s_set_vgpr_msb 0                        ;  msbs: dst=0 src0=0 src1=0 src2=0
	v_add_f32_e32 v135, v9, v93
	s_set_vgpr_msb 1                        ;  msbs: dst=0 src0=1 src1=0 src2=0
	v_pk_fma_f32 v[126:127], v[0:1] /*v[256:257]*/, v[216:217], v[126:127] neg_lo:[0,0,1] neg_hi:[0,0,1]
	v_pk_mul_f32 v[128:129], v[10:11] /*v[266:267]*/, v[218:219] op_sel:[1,1] op_sel_hi:[0,1]
	s_set_vgpr_msb 64                       ;  msbs: dst=1 src0=0 src1=0 src2=0
	v_fmac_f32_e32 v95 /*v351*/, v255, v214
	s_set_vgpr_msb 4                        ;  msbs: dst=0 src0=0 src1=1 src2=0
	v_mov_b32_e32 v127, v139
	v_pk_add_f32 v[134:135], v[134:135], v[92:93] /*v[348:349]*/
	s_set_vgpr_msb 1                        ;  msbs: dst=0 src0=1 src1=0 src2=0
	v_pk_mul_f32 v[130:131], v[86:87] /*v[342:343]*/, v[130:131] op_sel_hi:[1,0]
	v_pk_fma_f32 v[140:141], v[10:11] /*v[266:267]*/, v[218:219], v[128:129] op_sel_hi:[1,0,1]
	v_pk_fma_f32 v[128:129], v[10:11] /*v[266:267]*/, v[218:219], v[128:129] neg_lo:[0,0,1] neg_hi:[0,0,1]
	s_wait_loadcnt 0x3
	v_pk_mul_f32 v[132:133], v[14:15] /*v[270:271]*/, v[222:223] op_sel:[1,1] op_sel_hi:[0,1]
	s_set_vgpr_msb 4                        ;  msbs: dst=0 src0=0 src1=1 src2=0
	v_pk_add_f32 v[134:135], v[134:135], v[94:95] /*v[350:351]*/
	v_dual_mov_b32 v136, v225 :: v_dual_mov_b32 v129, v141
	s_set_vgpr_msb 1                        ;  msbs: dst=0 src0=1 src1=0 src2=0
	v_pk_fma_f32 v[140:141], v[12:13] /*v[268:269]*/, v[220:221], v[130:131] op_sel_hi:[1,0,1]
	v_pk_fma_f32 v[130:131], v[12:13] /*v[268:269]*/, v[220:221], v[130:131] neg_lo:[0,0,1] neg_hi:[0,0,1]
	s_set_vgpr_msb 0                        ;  msbs: dst=0 src0=0 src1=0 src2=0
	v_pk_add_f32 v[126:127], v[134:135], v[126:127]
	s_set_vgpr_msb 1                        ;  msbs: dst=0 src0=1 src1=0 src2=0
	v_pk_fma_f32 v[134:135], v[14:15] /*v[270:271]*/, v[222:223], v[132:133] op_sel_hi:[1,0,1]
	v_pk_mul_f32 v[136:137], v[88:89] /*v[344:345]*/, v[136:137] op_sel_hi:[1,0]
	s_set_vgpr_msb 0                        ;  msbs: dst=0 src0=0 src1=0 src2=0
	v_mov_b32_e32 v131, v141
	s_set_vgpr_msb 1                        ;  msbs: dst=0 src0=1 src1=0 src2=0
	v_pk_fma_f32 v[132:133], v[14:15] /*v[270:271]*/, v[222:223], v[132:133] neg_lo:[0,0,1] neg_hi:[0,0,1]
	s_set_vgpr_msb 0                        ;  msbs: dst=0 src0=0 src1=0 src2=0
	v_pk_add_f32 v[126:127], v[126:127], v[128:129]
	s_wait_loadcnt 0x2
	s_set_vgpr_msb 1                        ;  msbs: dst=0 src0=1 src1=0 src2=0
	v_pk_mul_f32 v[138:139], v[26:27] /*v[282:283]*/, v[226:227] op_sel:[1,1] op_sel_hi:[0,1]
	s_set_vgpr_msb 0                        ;  msbs: dst=0 src0=0 src1=0 src2=0
	v_dual_mov_b32 v128, v229 :: v_dual_mov_b32 v133, v135
	s_set_vgpr_msb 1                        ;  msbs: dst=0 src0=1 src1=0 src2=0
	v_pk_fma_f32 v[134:135], v[16:17] /*v[272:273]*/, v[224:225], v[136:137] op_sel_hi:[1,0,1]
	s_set_vgpr_msb 0                        ;  msbs: dst=0 src0=0 src1=0 src2=0
	v_pk_add_f32 v[126:127], v[126:127], v[130:131]
	s_set_vgpr_msb 1                        ;  msbs: dst=0 src0=1 src1=0 src2=0
	v_pk_fma_f32 v[136:137], v[16:17] /*v[272:273]*/, v[224:225], v[136:137] neg_lo:[0,0,1] neg_hi:[0,0,1]
	v_pk_fma_f32 v[130:131], v[26:27] /*v[282:283]*/, v[226:227], v[138:139] op_sel_hi:[1,0,1]
	v_pk_mul_f32 v[128:129], v[90:91] /*v[346:347]*/, v[128:129] op_sel_hi:[1,0]
	s_set_vgpr_msb 0                        ;  msbs: dst=0 src0=0 src1=0 src2=0
	v_mov_b32_e32 v137, v135
	v_pk_add_f32 v[126:127], v[126:127], v[132:133]
	s_set_vgpr_msb 1                        ;  msbs: dst=0 src0=1 src1=0 src2=0
	v_pk_fma_f32 v[132:133], v[26:27] /*v[282:283]*/, v[226:227], v[138:139] neg_lo:[0,0,1] neg_hi:[0,0,1]
	s_set_vgpr_msb 0                        ;  msbs: dst=0 src0=0 src1=0 src2=0
	v_mov_b32_e32 v133, v131
	s_set_vgpr_msb 1                        ;  msbs: dst=0 src0=1 src1=0 src2=0
	v_pk_fma_f32 v[130:131], v[28:29] /*v[284:285]*/, v[228:229], v[128:129] op_sel_hi:[1,0,1]
	s_wait_loadcnt_dscnt 0x100
	s_set_vgpr_msb 5                        ;  msbs: dst=0 src0=1 src1=1 src2=0
	v_pk_mul_f32 v[134:135], v[82:83] /*v[338:339]*/, v[78:79] /*v[334:335]*/ op_sel:[1,1] op_sel_hi:[0,1]
	s_set_vgpr_msb 0                        ;  msbs: dst=0 src0=0 src1=0 src2=0
	v_pk_add_f32 v[126:127], v[126:127], v[136:137]
	s_set_vgpr_msb 1                        ;  msbs: dst=0 src0=1 src1=0 src2=0
	v_pk_fma_f32 v[128:129], v[28:29] /*v[284:285]*/, v[228:229], v[128:129] neg_lo:[0,0,1] neg_hi:[0,0,1]
	s_set_vgpr_msb 0                        ;  msbs: dst=0 src0=0 src1=0 src2=0
	v_mov_b32_e32 v129, v131
	s_set_vgpr_msb 5                        ;  msbs: dst=0 src0=1 src1=1 src2=0
	v_pk_fma_f32 v[130:131], v[82:83] /*v[338:339]*/, v[78:79] /*v[334:335]*/, v[134:135] op_sel_hi:[1,0,1]
	s_set_vgpr_msb 0                        ;  msbs: dst=0 src0=0 src1=0 src2=0
	v_pk_add_f32 v[126:127], v[126:127], v[132:133]
	s_set_vgpr_msb 5                        ;  msbs: dst=0 src0=1 src1=1 src2=0
	v_pk_fma_f32 v[132:133], v[82:83] /*v[338:339]*/, v[78:79] /*v[334:335]*/, v[134:135] neg_lo:[0,0,1] neg_hi:[0,0,1]
	s_set_vgpr_msb 0                        ;  msbs: dst=0 src0=0 src1=0 src2=0
	v_mov_b32_e32 v133, v131
	v_pk_add_f32 v[126:127], v[126:127], v[128:129]
	s_delay_alu instid0(VALU_DEP_1) | instskip(SKIP_2) | instid1(VALU_DEP_1)
	v_pk_add_f32 v[126:127], v[126:127], v[132:133]
	s_wait_loadcnt 0x0
	s_set_vgpr_msb 1                        ;  msbs: dst=0 src0=1 src1=0 src2=0
	v_pk_add_f32 v[126:127], v[80:81] /*v[336:337]*/, v[126:127] neg_lo:[0,1] neg_hi:[0,1]
	scratch_store_b64 off, v[126:127], off offset:64
	s_wait_xcnt 0x0
	v_cmpx_lt_u32_e32 7, v0
	s_set_vgpr_msb 0                        ;  msbs: dst=0 src0=0 src1=0 src2=0
	s_cbranch_execz .LBB61_371
; %bb.370:
	scratch_load_b64 v[126:127], off, off offset:56
	v_mov_b64_e32 v[128:129], 0
	scratch_store_b64 off, v[128:129], off offset:56
	s_wait_loadcnt 0x0
	ds_store_b64 v1, v[126:127]
.LBB61_371:
	s_wait_xcnt 0x0
	s_or_b32 exec_lo, exec_lo, s0
	s_wait_storecnt_dscnt 0x0
	s_barrier_signal -1
	s_barrier_wait -1
	ds_load_b128 v[126:129], v7 offset:560
	ds_load_b128 v[130:133], v7 offset:576
	ds_load_b128 v[134:137], v7 offset:592
	ds_load_b128 v[138:141], v7 offset:608
	s_clause 0x14
	scratch_load_b128 v[142:145], off, off offset:64
	scratch_load_b128 v[146:149], off, off offset:80
	;; [unrolled: 1-line block ×16, first 2 shown]
	s_set_vgpr_msb 64                       ;  msbs: dst=1 src0=0 src1=0 src2=0
	scratch_load_b128 v[2:5] /*v[258:261]*/, off, off offset:320
	scratch_load_b128 v[10:13] /*v[266:269]*/, off, off offset:336
	;; [unrolled: 1-line block ×4, first 2 shown]
	s_set_vgpr_msb 0                        ;  msbs: dst=0 src0=0 src1=0 src2=0
	ds_load_b128 v[158:161], v7 offset:624
	ds_load_b128 v[166:169], v7 offset:640
	s_set_vgpr_msb 64                       ;  msbs: dst=1 src0=0 src1=0 src2=0
	s_clause 0x1
	scratch_load_b128 v[34:37] /*v[290:293]*/, off, off offset:384
	scratch_load_b128 v[42:45] /*v[298:301]*/, off, off offset:400
	s_set_vgpr_msb 0                        ;  msbs: dst=0 src0=0 src1=0 src2=0
	ds_load_b128 v[174:177], v7 offset:656
	ds_load_b128 v[182:185], v7 offset:672
	;; [unrolled: 1-line block ×11, first 2 shown]
	s_set_vgpr_msb 64                       ;  msbs: dst=1 src0=0 src1=0 src2=0
	ds_load_b128 v[6:9] /*v[262:265]*/, v7 offset:832
	ds_load_b128 v[46:49] /*v[302:305]*/, v7 offset:912
	scratch_load_b128 v[50:53] /*v[306:309]*/, off, off offset:416
	ds_load_b128 v[14:17] /*v[270:273]*/, v7 offset:848
	ds_load_b128 v[22:25] /*v[278:281]*/, v7 offset:864
	;; [unrolled: 1-line block ×4, first 2 shown]
	s_clause 0x3
	scratch_load_b128 v[54:57] /*v[310:313]*/, off, off offset:432
	scratch_load_b128 v[58:61] /*v[314:317]*/, off, off offset:448
	scratch_load_b128 v[62:65] /*v[318:321]*/, off, off offset:464
	scratch_load_b128 v[66:69] /*v[322:325]*/, off, off offset:480
	s_mov_b32 s0, exec_lo
	s_wait_loadcnt_dscnt 0x1a16
	s_set_vgpr_msb 0                        ;  msbs: dst=0 src0=0 src1=0 src2=0
	v_dual_mul_f32 v9, v126, v143 :: v_dual_mul_f32 v11, v128, v145
	s_delay_alu instid0(VALU_DEP_1) | instskip(NEXT) | instid1(VALU_DEP_1)
	v_dual_fmac_f32 v9, v127, v142 :: v_dual_fmac_f32 v11, v129, v144
	v_add_f32_e32 v9, 0, v9
	s_delay_alu instid0(VALU_DEP_1) | instskip(SKIP_2) | instid1(VALU_DEP_1)
	v_add_f32_e32 v9, v9, v11
	s_wait_loadcnt_dscnt 0x1915
	v_mul_f32_e32 v11, v130, v147
	v_fmac_f32_e32 v11, v131, v146
	s_delay_alu instid0(VALU_DEP_1) | instskip(NEXT) | instid1(VALU_DEP_1)
	v_dual_add_f32 v9, v9, v11 :: v_dual_mul_f32 v11, v132, v149
	v_fmac_f32_e32 v11, v133, v148
	s_delay_alu instid0(VALU_DEP_1)
	v_add_f32_e32 v9, v9, v11
	s_wait_loadcnt_dscnt 0x1814
	v_mul_f32_e32 v11, v134, v151
	s_wait_loadcnt_dscnt 0x404
	s_set_vgpr_msb 0x45                     ;  msbs: dst=1 src0=1 src1=1 src2=0
	v_dual_mul_f32 v73 /*v329*/, v46 /*v302*/, v51 /*v307*/ :: v_dual_mul_f32 v75 /*v331*/, v48 /*v304*/, v53 /*v309*/
	s_set_vgpr_msb 0                        ;  msbs: dst=0 src0=0 src1=0 src2=0
	v_fmac_f32_e32 v11, v135, v150
	s_set_vgpr_msb 0x45                     ;  msbs: dst=1 src0=1 src1=1 src2=0
	s_delay_alu instid0(VALU_DEP_2) | instskip(SKIP_1) | instid1(VALU_DEP_2)
	v_dual_fmac_f32 v73 /*v329*/, v47 /*v303*/, v50 /*v306*/ :: v_dual_fmac_f32 v75 /*v331*/, v49 /*v305*/, v52 /*v308*/
	s_set_vgpr_msb 0                        ;  msbs: dst=0 src0=0 src1=0 src2=0
	v_dual_add_f32 v9, v9, v11 :: v_dual_mul_f32 v11, v136, v153
	s_delay_alu instid0(VALU_DEP_1) | instskip(NEXT) | instid1(VALU_DEP_1)
	v_fmac_f32_e32 v11, v137, v152
	v_add_f32_e32 v9, v9, v11
	v_mul_f32_e32 v11, v138, v155
	s_delay_alu instid0(VALU_DEP_1) | instskip(NEXT) | instid1(VALU_DEP_1)
	v_fmac_f32_e32 v11, v139, v154
	v_dual_add_f32 v9, v9, v11 :: v_dual_mul_f32 v11, v140, v157
	s_delay_alu instid0(VALU_DEP_1) | instskip(NEXT) | instid1(VALU_DEP_1)
	v_fmac_f32_e32 v11, v141, v156
	v_add_f32_e32 v9, v9, v11
	v_mul_f32_e32 v11, v158, v163
	s_delay_alu instid0(VALU_DEP_1) | instskip(NEXT) | instid1(VALU_DEP_1)
	v_fmac_f32_e32 v11, v159, v162
	v_dual_add_f32 v9, v9, v11 :: v_dual_mul_f32 v11, v160, v165
	s_delay_alu instid0(VALU_DEP_1) | instskip(NEXT) | instid1(VALU_DEP_1)
	v_fmac_f32_e32 v11, v161, v164
	v_add_f32_e32 v9, v9, v11
	v_mul_f32_e32 v11, v166, v171
	s_delay_alu instid0(VALU_DEP_1) | instskip(NEXT) | instid1(VALU_DEP_1)
	v_fmac_f32_e32 v11, v167, v170
	v_dual_add_f32 v9, v9, v11 :: v_dual_mul_f32 v11, v168, v173
	s_delay_alu instid0(VALU_DEP_1) | instskip(NEXT) | instid1(VALU_DEP_1)
	v_fmac_f32_e32 v11, v169, v172
	v_add_f32_e32 v9, v9, v11
	v_mul_f32_e32 v11, v174, v179
	s_delay_alu instid0(VALU_DEP_1) | instskip(NEXT) | instid1(VALU_DEP_1)
	v_fmac_f32_e32 v11, v175, v178
	v_dual_add_f32 v9, v9, v11 :: v_dual_mul_f32 v11, v176, v181
	s_delay_alu instid0(VALU_DEP_1) | instskip(NEXT) | instid1(VALU_DEP_1)
	v_fmac_f32_e32 v11, v177, v180
	v_add_f32_e32 v9, v9, v11
	v_mul_f32_e32 v11, v182, v187
	s_delay_alu instid0(VALU_DEP_1) | instskip(NEXT) | instid1(VALU_DEP_1)
	v_fmac_f32_e32 v11, v183, v186
	v_dual_add_f32 v9, v9, v11 :: v_dual_mul_f32 v11, v184, v189
	s_delay_alu instid0(VALU_DEP_1) | instskip(NEXT) | instid1(VALU_DEP_1)
	v_fmac_f32_e32 v11, v185, v188
	v_add_f32_e32 v9, v9, v11
	v_mul_f32_e32 v11, v190, v195
	s_delay_alu instid0(VALU_DEP_1) | instskip(NEXT) | instid1(VALU_DEP_1)
	v_fmac_f32_e32 v11, v191, v194
	v_dual_add_f32 v9, v9, v11 :: v_dual_mul_f32 v11, v192, v197
	s_delay_alu instid0(VALU_DEP_1) | instskip(NEXT) | instid1(VALU_DEP_1)
	v_fmac_f32_e32 v11, v193, v196
	v_add_f32_e32 v9, v9, v11
	v_mul_f32_e32 v11, v198, v203
	s_delay_alu instid0(VALU_DEP_1) | instskip(NEXT) | instid1(VALU_DEP_1)
	v_fmac_f32_e32 v11, v199, v202
	v_dual_add_f32 v9, v9, v11 :: v_dual_mul_f32 v11, v200, v205
	s_delay_alu instid0(VALU_DEP_1) | instskip(NEXT) | instid1(VALU_DEP_1)
	v_fmac_f32_e32 v11, v201, v204
	v_add_f32_e32 v9, v9, v11
	v_mul_f32_e32 v11, v206, v211
	s_delay_alu instid0(VALU_DEP_1) | instskip(NEXT) | instid1(VALU_DEP_1)
	v_fmac_f32_e32 v11, v207, v210
	v_dual_add_f32 v9, v9, v11 :: v_dual_mul_f32 v11, v208, v213
	s_delay_alu instid0(VALU_DEP_1) | instskip(NEXT) | instid1(VALU_DEP_1)
	v_fmac_f32_e32 v11, v209, v212
	v_add_f32_e32 v9, v9, v11
	v_mul_f32_e32 v11, v214, v219
	s_delay_alu instid0(VALU_DEP_1) | instskip(NEXT) | instid1(VALU_DEP_1)
	v_fmac_f32_e32 v11, v215, v218
	v_dual_add_f32 v9, v9, v11 :: v_dual_mul_f32 v11, v216, v221
	s_delay_alu instid0(VALU_DEP_1) | instskip(NEXT) | instid1(VALU_DEP_1)
	v_fmac_f32_e32 v11, v217, v220
	v_add_f32_e32 v9, v9, v11
	v_mul_f32_e32 v11, v222, v227
	s_delay_alu instid0(VALU_DEP_1) | instskip(NEXT) | instid1(VALU_DEP_1)
	v_fmac_f32_e32 v11, v223, v226
	v_dual_add_f32 v9, v9, v11 :: v_dual_mul_f32 v11, v224, v229
	s_delay_alu instid0(VALU_DEP_1) | instskip(NEXT) | instid1(VALU_DEP_1)
	v_fmac_f32_e32 v11, v225, v228
	v_add_f32_e32 v9, v9, v11
	v_mul_f32_e32 v11, v230, v235
	s_delay_alu instid0(VALU_DEP_1) | instskip(NEXT) | instid1(VALU_DEP_1)
	v_fmac_f32_e32 v11, v231, v234
	v_dual_add_f32 v9, v9, v11 :: v_dual_mul_f32 v11, v232, v237
	s_delay_alu instid0(VALU_DEP_1) | instskip(NEXT) | instid1(VALU_DEP_1)
	v_fmac_f32_e32 v11, v233, v236
	v_add_f32_e32 v9, v9, v11
	v_mul_f32_e32 v11, v238, v243
	s_delay_alu instid0(VALU_DEP_1) | instskip(NEXT) | instid1(VALU_DEP_1)
	v_fmac_f32_e32 v11, v239, v242
	v_dual_add_f32 v9, v9, v11 :: v_dual_mul_f32 v11, v240, v245
	s_delay_alu instid0(VALU_DEP_1) | instskip(NEXT) | instid1(VALU_DEP_1)
	v_fmac_f32_e32 v11, v241, v244
	v_add_f32_e32 v9, v9, v11
	v_mul_f32_e32 v11, v246, v251
	s_delay_alu instid0(VALU_DEP_1) | instskip(NEXT) | instid1(VALU_DEP_1)
	v_fmac_f32_e32 v11, v247, v250
	v_dual_add_f32 v9, v9, v11 :: v_dual_mul_f32 v11, v248, v253
	s_delay_alu instid0(VALU_DEP_1) | instskip(NEXT) | instid1(VALU_DEP_1)
	v_fmac_f32_e32 v11, v249, v252
	v_add_f32_e32 v9, v9, v11
	s_set_vgpr_msb 4                        ;  msbs: dst=0 src0=0 src1=1 src2=0
	v_mul_f32_e32 v11, v254, v3 /*v259*/
	s_delay_alu instid0(VALU_DEP_1) | instskip(SKIP_1) | instid1(VALU_DEP_1)
	v_fmac_f32_e32 v11, v255, v2 /*v258*/
	s_set_vgpr_msb 0                        ;  msbs: dst=0 src0=0 src1=0 src2=0
	v_add_f32_e32 v9, v9, v11
	s_set_vgpr_msb 5                        ;  msbs: dst=0 src0=1 src1=1 src2=0
	v_mul_f32_e32 v11, v0 /*v256*/, v5 /*v261*/
	s_delay_alu instid0(VALU_DEP_1) | instskip(SKIP_1) | instid1(VALU_DEP_1)
	v_fmac_f32_e32 v11, v1 /*v257*/, v4 /*v260*/
	s_set_vgpr_msb 0                        ;  msbs: dst=0 src0=0 src1=0 src2=0
	v_add_f32_e32 v9, v9, v11
	s_set_vgpr_msb 5                        ;  msbs: dst=0 src0=1 src1=1 src2=0
	v_mul_f32_e32 v11, v6 /*v262*/, v11 /*v267*/
	s_delay_alu instid0(VALU_DEP_1) | instskip(SKIP_1) | instid1(VALU_DEP_1)
	v_fmac_f32_e32 v11, v7 /*v263*/, v10 /*v266*/
	;; [unrolled: 6-line block ×3, first 2 shown]
	s_set_vgpr_msb 0                        ;  msbs: dst=0 src0=0 src1=0 src2=0
	v_add_f32_e32 v9, v9, v11
	s_wait_dscnt 0x3
	s_set_vgpr_msb 5                        ;  msbs: dst=0 src0=1 src1=1 src2=0
	v_mul_f32_e32 v11, v14 /*v270*/, v19 /*v275*/
	s_delay_alu instid0(VALU_DEP_1) | instskip(SKIP_1) | instid1(VALU_DEP_1)
	v_fmac_f32_e32 v11, v15 /*v271*/, v18 /*v274*/
	s_set_vgpr_msb 0                        ;  msbs: dst=0 src0=0 src1=0 src2=0
	v_add_f32_e32 v9, v9, v11
	s_set_vgpr_msb 5                        ;  msbs: dst=0 src0=1 src1=1 src2=0
	v_mul_f32_e32 v11, v16 /*v272*/, v21 /*v277*/
	s_delay_alu instid0(VALU_DEP_1) | instskip(SKIP_1) | instid1(VALU_DEP_1)
	v_fmac_f32_e32 v11, v17 /*v273*/, v20 /*v276*/
	s_set_vgpr_msb 0                        ;  msbs: dst=0 src0=0 src1=0 src2=0
	v_add_f32_e32 v9, v9, v11
	s_wait_dscnt 0x2
	s_set_vgpr_msb 5                        ;  msbs: dst=0 src0=1 src1=1 src2=0
	v_mul_f32_e32 v11, v22 /*v278*/, v27 /*v283*/
	s_delay_alu instid0(VALU_DEP_1) | instskip(SKIP_1) | instid1(VALU_DEP_1)
	v_fmac_f32_e32 v11, v23 /*v279*/, v26 /*v282*/
	s_set_vgpr_msb 0                        ;  msbs: dst=0 src0=0 src1=0 src2=0
	v_add_f32_e32 v9, v9, v11
	s_set_vgpr_msb 5                        ;  msbs: dst=0 src0=1 src1=1 src2=0
	v_mul_f32_e32 v11, v24 /*v280*/, v29 /*v285*/
	s_delay_alu instid0(VALU_DEP_1) | instskip(SKIP_1) | instid1(VALU_DEP_1)
	v_fmac_f32_e32 v11, v25 /*v281*/, v28 /*v284*/
	;; [unrolled: 13-line block ×4, first 2 shown]
	s_set_vgpr_msb 64                       ;  msbs: dst=1 src0=0 src1=0 src2=0
	v_add_f32_e32 v71 /*v327*/, v9, v11
	s_set_vgpr_msb 0                        ;  msbs: dst=0 src0=0 src1=0 src2=0
	v_dual_mul_f32 v9, v127, v143 :: v_dual_mul_f32 v11, v129, v145
	s_delay_alu instid0(VALU_DEP_1) | instskip(NEXT) | instid1(VALU_DEP_1)
	v_dual_fma_f32 v9, v126, v142, -v9 :: v_dual_fma_f32 v11, v128, v144, -v11
	v_add_f32_e32 v9, 0, v9
	s_delay_alu instid0(VALU_DEP_1) | instskip(SKIP_1) | instid1(VALU_DEP_1)
	v_add_f32_e32 v9, v9, v11
	v_mul_f32_e32 v11, v131, v147
	v_fma_f32 v11, v130, v146, -v11
	s_delay_alu instid0(VALU_DEP_1) | instskip(SKIP_1) | instid1(VALU_DEP_1)
	v_add_f32_e32 v9, v9, v11
	v_mul_f32_e32 v11, v133, v149
	v_fma_f32 v11, v132, v148, -v11
	;; [unrolled: 4-line block ×6, first 2 shown]
	ds_load_b128 v[126:129], v7 offset:928
	ds_load_b128 v[130:133], v7 offset:944
	;; [unrolled: 1-line block ×4, first 2 shown]
	v_add_f32_e32 v9, v9, v11
	v_mul_f32_e32 v11, v159, v163
	s_delay_alu instid0(VALU_DEP_1) | instskip(NEXT) | instid1(VALU_DEP_1)
	v_fma_f32 v11, v158, v162, -v11
	v_add_f32_e32 v9, v9, v11
	v_mul_f32_e32 v11, v161, v165
	s_wait_loadcnt_dscnt 0x303
	s_set_vgpr_msb 4                        ;  msbs: dst=0 src0=0 src1=1 src2=0
	v_pk_mul_f32 v[144:145], v[126:127], v[54:55] /*v[310:311]*/ op_sel:[1,1] op_sel_hi:[0,1]
	s_set_vgpr_msb 0                        ;  msbs: dst=0 src0=0 src1=0 src2=0
	v_fma_f32 v11, v160, v164, -v11
	s_set_vgpr_msb 4                        ;  msbs: dst=0 src0=0 src1=1 src2=0
	s_delay_alu instid0(VALU_DEP_2)
	v_pk_fma_f32 v[146:147], v[126:127], v[54:55] /*v[310:311]*/, v[144:145] neg_lo:[0,0,1] neg_hi:[0,0,1]
	v_pk_fma_f32 v[126:127], v[126:127], v[54:55] /*v[310:311]*/, v[144:145] op_sel_hi:[1,0,1]
	s_set_vgpr_msb 1                        ;  msbs: dst=0 src0=1 src1=0 src2=0
	v_mov_b32_e32 v144, v57 /*v313*/
	s_set_vgpr_msb 0                        ;  msbs: dst=0 src0=0 src1=0 src2=0
	v_add_f32_e32 v9, v9, v11
	v_mul_f32_e32 v11, v167, v171
	s_delay_alu instid0(VALU_DEP_1) | instskip(NEXT) | instid1(VALU_DEP_1)
	v_dual_mov_b32 v147, v127 :: v_dual_fma_f32 v11, v166, v170, -v11
	v_add_f32_e32 v9, v9, v11
	v_mul_f32_e32 v11, v169, v173
	s_delay_alu instid0(VALU_DEP_1) | instskip(NEXT) | instid1(VALU_DEP_1)
	v_fma_f32 v11, v168, v172, -v11
	v_add_f32_e32 v9, v9, v11
	v_mul_f32_e32 v11, v175, v179
	s_delay_alu instid0(VALU_DEP_1) | instskip(NEXT) | instid1(VALU_DEP_1)
	v_fma_f32 v11, v174, v178, -v11
	;; [unrolled: 4-line block ×21, first 2 shown]
	v_add_f32_e32 v9, v9, v11
	s_set_vgpr_msb 4                        ;  msbs: dst=0 src0=0 src1=1 src2=0
	v_mul_f32_e32 v11, v255, v3 /*v259*/
	s_delay_alu instid0(VALU_DEP_1) | instskip(SKIP_1) | instid1(VALU_DEP_1)
	v_fma_f32 v11, v254, v2 /*v258*/, -v11
	s_set_vgpr_msb 0                        ;  msbs: dst=0 src0=0 src1=0 src2=0
	v_add_f32_e32 v9, v9, v11
	s_set_vgpr_msb 5                        ;  msbs: dst=0 src0=1 src1=1 src2=0
	v_mul_f32_e32 v11, v1 /*v257*/, v5 /*v261*/
	s_delay_alu instid0(VALU_DEP_1) | instskip(SKIP_1) | instid1(VALU_DEP_1)
	v_fma_f32 v11, v0 /*v256*/, v4 /*v260*/, -v11
	s_set_vgpr_msb 0                        ;  msbs: dst=0 src0=0 src1=0 src2=0
	v_add_f32_e32 v9, v9, v11
	s_set_vgpr_msb 5                        ;  msbs: dst=0 src0=1 src1=1 src2=0
	v_mul_f32_e32 v11, v7 /*v263*/, v11 /*v267*/
	s_delay_alu instid0(VALU_DEP_1) | instskip(SKIP_1) | instid1(VALU_DEP_1)
	v_fma_f32 v11, v6 /*v262*/, v10 /*v266*/, -v11
	;; [unrolled: 6-line block ×11, first 2 shown]
	s_set_vgpr_msb 64                       ;  msbs: dst=1 src0=0 src1=0 src2=0
	v_add_f32_e32 v70 /*v326*/, v9, v11
	s_set_vgpr_msb 5                        ;  msbs: dst=0 src0=1 src1=1 src2=0
	v_mul_f32_e32 v9, v47 /*v303*/, v51 /*v307*/
	s_set_vgpr_msb 0x45                     ;  msbs: dst=1 src0=1 src1=1 src2=0
	s_delay_alu instid0(VALU_DEP_1) | instskip(SKIP_3) | instid1(VALU_DEP_1)
	v_fma_f32 v72 /*v328*/, v46 /*v302*/, v50 /*v306*/, -v9
	s_set_vgpr_msb 5                        ;  msbs: dst=0 src0=1 src1=1 src2=0
	v_mul_f32_e32 v9, v49 /*v305*/, v53 /*v309*/
	s_set_vgpr_msb 0x45                     ;  msbs: dst=1 src0=1 src1=1 src2=0
	v_fma_f32 v74 /*v330*/, v48 /*v304*/, v52 /*v308*/, -v9
	s_set_vgpr_msb 5                        ;  msbs: dst=0 src0=1 src1=1 src2=0
	v_pk_add_f32 v[142:143], v[70:71] /*v[326:327]*/, v[72:73] /*v[328:329]*/
	s_set_vgpr_msb 4                        ;  msbs: dst=0 src0=0 src1=1 src2=0
	s_delay_alu instid0(VALU_DEP_1) | instskip(SKIP_1) | instid1(VALU_DEP_1)
	v_pk_add_f32 v[142:143], v[142:143], v[74:75] /*v[330:331]*/
	s_set_vgpr_msb 0                        ;  msbs: dst=0 src0=0 src1=0 src2=0
	v_pk_add_f32 v[126:127], v[142:143], v[146:147]
	v_dual_mov_b32 v142, v129 :: v_dual_mov_b32 v143, v128
	s_delay_alu instid0(VALU_DEP_1) | instskip(SKIP_1) | instid1(VALU_DEP_1)
	v_pk_mul_f32 v[142:143], v[142:143], v[144:145] op_sel_hi:[1,0]
	s_set_vgpr_msb 4                        ;  msbs: dst=0 src0=0 src1=1 src2=0
	v_pk_fma_f32 v[144:145], v[128:129], v[56:57] /*v[312:313]*/, v[142:143] neg_lo:[0,0,1] neg_hi:[0,0,1]
	v_pk_fma_f32 v[128:129], v[128:129], v[56:57] /*v[312:313]*/, v[142:143] op_sel_hi:[1,0,1]
	s_delay_alu instid0(VALU_DEP_1) | instskip(SKIP_3) | instid1(VALU_DEP_2)
	v_mov_b32_e32 v145, v129
	s_wait_loadcnt_dscnt 0x202
	v_pk_mul_f32 v[128:129], v[130:131], v[58:59] /*v[314:315]*/ op_sel:[1,1] op_sel_hi:[0,1]
	s_set_vgpr_msb 0                        ;  msbs: dst=0 src0=0 src1=0 src2=0
	v_pk_add_f32 v[126:127], v[126:127], v[144:145]
	s_set_vgpr_msb 4                        ;  msbs: dst=0 src0=0 src1=1 src2=0
	s_delay_alu instid0(VALU_DEP_2)
	v_pk_fma_f32 v[142:143], v[130:131], v[58:59] /*v[314:315]*/, v[128:129] neg_lo:[0,0,1] neg_hi:[0,0,1]
	v_pk_fma_f32 v[128:129], v[130:131], v[58:59] /*v[314:315]*/, v[128:129] op_sel_hi:[1,0,1]
	v_mov_b32_e32 v128, v133
	s_set_vgpr_msb 1                        ;  msbs: dst=0 src0=1 src1=0 src2=0
	v_mov_b32_e32 v130, v61 /*v317*/
	s_set_vgpr_msb 0                        ;  msbs: dst=0 src0=0 src1=0 src2=0
	v_dual_mov_b32 v143, v129 :: v_dual_mov_b32 v129, v132
	s_delay_alu instid0(VALU_DEP_1) | instskip(NEXT) | instid1(VALU_DEP_2)
	v_pk_add_f32 v[126:127], v[126:127], v[142:143]
	v_pk_mul_f32 v[128:129], v[128:129], v[130:131] op_sel_hi:[1,0]
	s_set_vgpr_msb 4                        ;  msbs: dst=0 src0=0 src1=1 src2=0
	s_delay_alu instid0(VALU_DEP_1) | instskip(SKIP_1) | instid1(VALU_DEP_1)
	v_pk_fma_f32 v[130:131], v[132:133], v[60:61] /*v[316:317]*/, v[128:129] neg_lo:[0,0,1] neg_hi:[0,0,1]
	v_pk_fma_f32 v[128:129], v[132:133], v[60:61] /*v[316:317]*/, v[128:129] op_sel_hi:[1,0,1]
	v_mov_b32_e32 v131, v129
	s_wait_loadcnt_dscnt 0x101
	v_pk_mul_f32 v[128:129], v[134:135], v[62:63] /*v[318:319]*/ op_sel:[1,1] op_sel_hi:[0,1]
	s_set_vgpr_msb 0                        ;  msbs: dst=0 src0=0 src1=0 src2=0
	s_delay_alu instid0(VALU_DEP_2) | instskip(SKIP_1) | instid1(VALU_DEP_2)
	v_pk_add_f32 v[126:127], v[126:127], v[130:131]
	s_set_vgpr_msb 4                        ;  msbs: dst=0 src0=0 src1=1 src2=0
	v_pk_fma_f32 v[130:131], v[134:135], v[62:63] /*v[318:319]*/, v[128:129] neg_lo:[0,0,1] neg_hi:[0,0,1]
	v_pk_fma_f32 v[128:129], v[134:135], v[62:63] /*v[318:319]*/, v[128:129] op_sel_hi:[1,0,1]
	s_delay_alu instid0(VALU_DEP_1) | instskip(SKIP_2) | instid1(VALU_DEP_2)
	v_dual_mov_b32 v128, v137 :: v_dual_mov_b32 v131, v129
	v_mov_b32_e32 v129, v136
	s_set_vgpr_msb 0                        ;  msbs: dst=0 src0=0 src1=0 src2=0
	v_pk_add_f32 v[126:127], v[126:127], v[130:131]
	s_set_vgpr_msb 1                        ;  msbs: dst=0 src0=1 src1=0 src2=0
	v_mov_b32_e32 v130, v65 /*v321*/
	s_set_vgpr_msb 0                        ;  msbs: dst=0 src0=0 src1=0 src2=0
	s_delay_alu instid0(VALU_DEP_1) | instskip(SKIP_1) | instid1(VALU_DEP_1)
	v_pk_mul_f32 v[128:129], v[128:129], v[130:131] op_sel_hi:[1,0]
	s_set_vgpr_msb 4                        ;  msbs: dst=0 src0=0 src1=1 src2=0
	v_pk_fma_f32 v[130:131], v[136:137], v[64:65] /*v[320:321]*/, v[128:129] neg_lo:[0,0,1] neg_hi:[0,0,1]
	v_pk_fma_f32 v[128:129], v[136:137], v[64:65] /*v[320:321]*/, v[128:129] op_sel_hi:[1,0,1]
	s_delay_alu instid0(VALU_DEP_1) | instskip(SKIP_3) | instid1(VALU_DEP_2)
	v_mov_b32_e32 v131, v129
	s_wait_loadcnt_dscnt 0x0
	v_pk_mul_f32 v[128:129], v[138:139], v[66:67] /*v[322:323]*/ op_sel:[1,1] op_sel_hi:[0,1]
	s_set_vgpr_msb 0                        ;  msbs: dst=0 src0=0 src1=0 src2=0
	v_pk_add_f32 v[126:127], v[126:127], v[130:131]
	s_set_vgpr_msb 4                        ;  msbs: dst=0 src0=0 src1=1 src2=0
	s_delay_alu instid0(VALU_DEP_2) | instskip(SKIP_1) | instid1(VALU_DEP_1)
	v_pk_fma_f32 v[130:131], v[138:139], v[66:67] /*v[322:323]*/, v[128:129] neg_lo:[0,0,1] neg_hi:[0,0,1]
	v_pk_fma_f32 v[128:129], v[138:139], v[66:67] /*v[322:323]*/, v[128:129] op_sel_hi:[1,0,1]
	v_dual_mov_b32 v128, v141 :: v_dual_mov_b32 v131, v129
	v_mov_b32_e32 v129, v140
	s_set_vgpr_msb 0                        ;  msbs: dst=0 src0=0 src1=0 src2=0
	s_delay_alu instid0(VALU_DEP_2) | instskip(SKIP_3) | instid1(VALU_DEP_1)
	v_pk_add_f32 v[126:127], v[126:127], v[130:131]
	s_set_vgpr_msb 1                        ;  msbs: dst=0 src0=1 src1=0 src2=0
	v_mov_b32_e32 v130, v69 /*v325*/
	s_set_vgpr_msb 0                        ;  msbs: dst=0 src0=0 src1=0 src2=0
	v_pk_mul_f32 v[128:129], v[128:129], v[130:131] op_sel_hi:[1,0]
	s_set_vgpr_msb 4                        ;  msbs: dst=0 src0=0 src1=1 src2=0
	s_delay_alu instid0(VALU_DEP_1) | instskip(SKIP_1) | instid1(VALU_DEP_1)
	v_pk_fma_f32 v[130:131], v[140:141], v[68:69] /*v[324:325]*/, v[128:129] neg_lo:[0,0,1] neg_hi:[0,0,1]
	v_pk_fma_f32 v[128:129], v[140:141], v[68:69] /*v[324:325]*/, v[128:129] op_sel_hi:[1,0,1]
	v_mov_b32_e32 v131, v129
	scratch_load_b64 v[128:129], off, off offset:56
	s_set_vgpr_msb 0                        ;  msbs: dst=0 src0=0 src1=0 src2=0
	v_pk_add_f32 v[126:127], v[126:127], v[130:131]
	s_wait_loadcnt 0x0
	s_delay_alu instid0(VALU_DEP_1)
	v_pk_add_f32 v[126:127], v[128:129], v[126:127] neg_lo:[0,1] neg_hi:[0,1]
	scratch_store_b64 off, v[126:127], off offset:56
	s_wait_xcnt 0x0
	v_cmpx_lt_u32_e32 6, v0
	s_cbranch_execz .LBB61_373
; %bb.372:
	scratch_load_b64 v[126:127], off, off offset:48
	v_mov_b64_e32 v[128:129], 0
	scratch_store_b64 off, v[128:129], off offset:48
	s_wait_loadcnt 0x0
	ds_store_b64 v1, v[126:127]
.LBB61_373:
	s_wait_xcnt 0x0
	s_or_b32 exec_lo, exec_lo, s0
	s_wait_storecnt_dscnt 0x0
	s_barrier_signal -1
	s_barrier_wait -1
	s_clause 0xf
	scratch_load_b128 v[130:133], off, off offset:56
	scratch_load_b128 v[138:141], off, off offset:72
	;; [unrolled: 1-line block ×16, first 2 shown]
	v_mov_b32_e32 v7, 0
	s_set_vgpr_msb 64                       ;  msbs: dst=1 src0=0 src1=0 src2=0
	s_clause 0x3
	scratch_load_b128 v[2:5] /*v[258:261]*/, off, off offset:312
	scratch_load_b128 v[10:13] /*v[266:269]*/, off, off offset:328
	scratch_load_b128 v[18:21] /*v[274:277]*/, off, off offset:344
	scratch_load_b128 v[26:29] /*v[282:285]*/, off, off offset:360
	s_set_vgpr_msb 0                        ;  msbs: dst=0 src0=0 src1=0 src2=0
	ds_load_2addr_b64 v[126:129], v7 offset0:69 offset1:70
	ds_load_2addr_b64 v[134:137], v7 offset0:71 offset1:72
	s_set_vgpr_msb 64                       ;  msbs: dst=1 src0=0 src1=0 src2=0
	s_clause 0x3
	scratch_load_b128 v[34:37] /*v[290:293]*/, off, off offset:376
	scratch_load_b128 v[42:45] /*v[298:301]*/, off, off offset:392
	scratch_load_b128 v[50:53] /*v[306:309]*/, off, off offset:408
	scratch_load_b128 v[58:61] /*v[314:317]*/, off, off offset:424
	s_mov_b32 s0, exec_lo
	s_wait_loadcnt_dscnt 0x1701
	s_set_vgpr_msb 0                        ;  msbs: dst=0 src0=0 src1=0 src2=0
	v_dual_mul_f32 v9, v126, v131 :: v_dual_mul_f32 v11, v128, v133
	ds_load_2addr_b64 v[142:145], v7 offset0:73 offset1:74
	ds_load_2addr_b64 v[150:153], v7 offset0:75 offset1:76
	;; [unrolled: 1-line block ×4, first 2 shown]
	v_dual_fmac_f32 v9, v127, v130 :: v_dual_fmac_f32 v11, v129, v132
	ds_load_2addr_b64 v[174:177], v7 offset0:81 offset1:82
	ds_load_2addr_b64 v[182:185], v7 offset0:83 offset1:84
	;; [unrolled: 1-line block ×4, first 2 shown]
	v_add_f32_e32 v9, 0, v9
	ds_load_2addr_b64 v[206:209], v7 offset0:89 offset1:90
	ds_load_2addr_b64 v[214:217], v7 offset0:91 offset1:92
	;; [unrolled: 1-line block ×4, first 2 shown]
	v_add_f32_e32 v9, v9, v11
	s_wait_loadcnt_dscnt 0x160c
	v_mul_f32_e32 v11, v134, v139
	ds_load_2addr_b64 v[238:241], v7 offset0:97 offset1:98
	ds_load_2addr_b64 v[246:249], v7 offset0:99 offset1:100
	;; [unrolled: 1-line block ×3, first 2 shown]
	s_set_vgpr_msb 64                       ;  msbs: dst=1 src0=0 src1=0 src2=0
	ds_load_2addr_b64 v[6:9] /*v[262:265]*/, v7 offset0:103 offset1:104
	s_set_vgpr_msb 0                        ;  msbs: dst=0 src0=0 src1=0 src2=0
	v_fmac_f32_e32 v11, v135, v138
	s_set_vgpr_msb 64                       ;  msbs: dst=1 src0=0 src1=0 src2=0
	ds_load_2addr_b64 v[46:49] /*v[302:305]*/, v7 offset0:113 offset1:114
	ds_load_2addr_b64 v[54:57] /*v[310:313]*/, v7 offset0:115 offset1:116
	;; [unrolled: 1-line block ×4, first 2 shown]
	s_set_vgpr_msb 0                        ;  msbs: dst=0 src0=0 src1=0 src2=0
	v_dual_add_f32 v9, v9, v11 :: v_dual_mul_f32 v11, v136, v141
	s_set_vgpr_msb 64                       ;  msbs: dst=1 src0=0 src1=0 src2=0
	ds_load_2addr_b64 v[30:33] /*v[286:289]*/, v7 offset0:109 offset1:110
	ds_load_2addr_b64 v[38:41] /*v[294:297]*/, v7 offset0:111 offset1:112
	s_clause 0x3
	scratch_load_b128 v[62:65] /*v[318:321]*/, off, off offset:440
	scratch_load_b128 v[66:69] /*v[322:325]*/, off, off offset:456
	;; [unrolled: 1-line block ×3, first 2 shown]
	scratch_load_b64 v[80:81] /*v[336:337]*/, off, off offset:488
	s_set_vgpr_msb 0                        ;  msbs: dst=0 src0=0 src1=0 src2=0
	v_fmac_f32_e32 v11, v137, v140
	s_delay_alu instid0(VALU_DEP_1)
	v_add_f32_e32 v9, v9, v11
	s_wait_loadcnt_dscnt 0x1915
	v_mul_f32_e32 v11, v142, v147
	s_wait_loadcnt_dscnt 0x404
	s_set_vgpr_msb 0x45                     ;  msbs: dst=1 src0=1 src1=1 src2=0
	v_dual_mul_f32 v77 /*v333*/, v48 /*v304*/, v53 /*v309*/ :: v_dual_mul_f32 v79 /*v335*/, v54 /*v310*/, v59 /*v315*/
	s_set_vgpr_msb 0                        ;  msbs: dst=0 src0=0 src1=0 src2=0
	v_fmac_f32_e32 v11, v143, v146
	s_set_vgpr_msb 0x45                     ;  msbs: dst=1 src0=1 src1=1 src2=0
	s_delay_alu instid0(VALU_DEP_2) | instskip(SKIP_1) | instid1(VALU_DEP_2)
	v_dual_fmac_f32 v77 /*v333*/, v49 /*v305*/, v52 /*v308*/ :: v_dual_fmac_f32 v79 /*v335*/, v55 /*v311*/, v58 /*v314*/
	s_set_vgpr_msb 0                        ;  msbs: dst=0 src0=0 src1=0 src2=0
	v_dual_add_f32 v9, v9, v11 :: v_dual_mul_f32 v11, v144, v149
	s_delay_alu instid0(VALU_DEP_1) | instskip(NEXT) | instid1(VALU_DEP_1)
	v_fmac_f32_e32 v11, v145, v148
	v_add_f32_e32 v9, v9, v11
	v_mul_f32_e32 v11, v150, v155
	s_delay_alu instid0(VALU_DEP_1) | instskip(NEXT) | instid1(VALU_DEP_1)
	v_fmac_f32_e32 v11, v151, v154
	v_dual_add_f32 v9, v9, v11 :: v_dual_mul_f32 v11, v152, v157
	s_delay_alu instid0(VALU_DEP_1) | instskip(NEXT) | instid1(VALU_DEP_1)
	v_fmac_f32_e32 v11, v153, v156
	v_add_f32_e32 v9, v9, v11
	v_mul_f32_e32 v11, v158, v163
	s_delay_alu instid0(VALU_DEP_1) | instskip(NEXT) | instid1(VALU_DEP_1)
	v_fmac_f32_e32 v11, v159, v162
	;; [unrolled: 7-line block ×13, first 2 shown]
	v_dual_add_f32 v9, v9, v11 :: v_dual_mul_f32 v11, v248, v253
	s_delay_alu instid0(VALU_DEP_1) | instskip(NEXT) | instid1(VALU_DEP_1)
	v_fmac_f32_e32 v11, v249, v252
	v_add_f32_e32 v9, v9, v11
	s_set_vgpr_msb 4                        ;  msbs: dst=0 src0=0 src1=1 src2=0
	v_mul_f32_e32 v11, v254, v3 /*v259*/
	s_delay_alu instid0(VALU_DEP_1) | instskip(SKIP_1) | instid1(VALU_DEP_1)
	v_fmac_f32_e32 v11, v255, v2 /*v258*/
	s_set_vgpr_msb 0                        ;  msbs: dst=0 src0=0 src1=0 src2=0
	v_add_f32_e32 v9, v9, v11
	s_set_vgpr_msb 5                        ;  msbs: dst=0 src0=1 src1=1 src2=0
	v_mul_f32_e32 v11, v0 /*v256*/, v5 /*v261*/
	s_delay_alu instid0(VALU_DEP_1) | instskip(SKIP_1) | instid1(VALU_DEP_1)
	v_fmac_f32_e32 v11, v1 /*v257*/, v4 /*v260*/
	s_set_vgpr_msb 0                        ;  msbs: dst=0 src0=0 src1=0 src2=0
	v_add_f32_e32 v9, v9, v11
	s_set_vgpr_msb 5                        ;  msbs: dst=0 src0=1 src1=1 src2=0
	v_mul_f32_e32 v11, v6 /*v262*/, v11 /*v267*/
	s_delay_alu instid0(VALU_DEP_1) | instskip(SKIP_1) | instid1(VALU_DEP_1)
	v_fmac_f32_e32 v11, v7 /*v263*/, v10 /*v266*/
	;; [unrolled: 6-line block ×3, first 2 shown]
	s_set_vgpr_msb 0                        ;  msbs: dst=0 src0=0 src1=0 src2=0
	v_add_f32_e32 v9, v9, v11
	s_wait_dscnt 0x3
	s_set_vgpr_msb 5                        ;  msbs: dst=0 src0=1 src1=1 src2=0
	v_mul_f32_e32 v11, v14 /*v270*/, v19 /*v275*/
	s_delay_alu instid0(VALU_DEP_1) | instskip(SKIP_1) | instid1(VALU_DEP_1)
	v_fmac_f32_e32 v11, v15 /*v271*/, v18 /*v274*/
	s_set_vgpr_msb 0                        ;  msbs: dst=0 src0=0 src1=0 src2=0
	v_add_f32_e32 v9, v9, v11
	s_set_vgpr_msb 5                        ;  msbs: dst=0 src0=1 src1=1 src2=0
	v_mul_f32_e32 v11, v16 /*v272*/, v21 /*v277*/
	s_delay_alu instid0(VALU_DEP_1) | instskip(SKIP_1) | instid1(VALU_DEP_1)
	v_fmac_f32_e32 v11, v17 /*v273*/, v20 /*v276*/
	s_set_vgpr_msb 0                        ;  msbs: dst=0 src0=0 src1=0 src2=0
	v_add_f32_e32 v9, v9, v11
	s_wait_dscnt 0x2
	s_set_vgpr_msb 5                        ;  msbs: dst=0 src0=1 src1=1 src2=0
	v_mul_f32_e32 v11, v22 /*v278*/, v27 /*v283*/
	s_delay_alu instid0(VALU_DEP_1) | instskip(SKIP_1) | instid1(VALU_DEP_1)
	v_fmac_f32_e32 v11, v23 /*v279*/, v26 /*v282*/
	s_set_vgpr_msb 0                        ;  msbs: dst=0 src0=0 src1=0 src2=0
	v_add_f32_e32 v9, v9, v11
	s_set_vgpr_msb 5                        ;  msbs: dst=0 src0=1 src1=1 src2=0
	v_mul_f32_e32 v11, v24 /*v280*/, v29 /*v285*/
	s_delay_alu instid0(VALU_DEP_1) | instskip(SKIP_1) | instid1(VALU_DEP_1)
	v_fmac_f32_e32 v11, v25 /*v281*/, v28 /*v284*/
	;; [unrolled: 13-line block ×4, first 2 shown]
	s_set_vgpr_msb 0                        ;  msbs: dst=0 src0=0 src1=0 src2=0
	v_add_f32_e32 v9, v9, v11
	s_set_vgpr_msb 5                        ;  msbs: dst=0 src0=1 src1=1 src2=0
	v_mul_f32_e32 v11, v46 /*v302*/, v51 /*v307*/
	s_delay_alu instid0(VALU_DEP_1) | instskip(SKIP_1) | instid1(VALU_DEP_1)
	v_fmac_f32_e32 v11, v47 /*v303*/, v50 /*v306*/
	s_set_vgpr_msb 64                       ;  msbs: dst=1 src0=0 src1=0 src2=0
	v_add_f32_e32 v75 /*v331*/, v9, v11
	s_set_vgpr_msb 0                        ;  msbs: dst=0 src0=0 src1=0 src2=0
	v_dual_mul_f32 v9, v127, v131 :: v_dual_mul_f32 v11, v129, v133
	s_delay_alu instid0(VALU_DEP_1) | instskip(NEXT) | instid1(VALU_DEP_1)
	v_dual_fma_f32 v9, v126, v130, -v9 :: v_dual_fma_f32 v11, v128, v132, -v11
	v_add_f32_e32 v9, 0, v9
	s_delay_alu instid0(VALU_DEP_1) | instskip(SKIP_1) | instid1(VALU_DEP_1)
	v_add_f32_e32 v9, v9, v11
	v_mul_f32_e32 v11, v135, v139
	v_fma_f32 v11, v134, v138, -v11
	s_delay_alu instid0(VALU_DEP_1) | instskip(SKIP_1) | instid1(VALU_DEP_1)
	v_add_f32_e32 v9, v9, v11
	v_mul_f32_e32 v11, v137, v141
	v_fma_f32 v11, v136, v140, -v11
	ds_load_2addr_b64 v[126:129], v7 offset0:117 offset1:118
	ds_load_2addr_b64 v[130:133], v7 offset0:119 offset1:120
	;; [unrolled: 1-line block ×3, first 2 shown]
	ds_load_b64 v[138:139], v7 offset:984
	v_add_f32_e32 v9, v9, v11
	v_mul_f32_e32 v11, v143, v147
	s_set_vgpr_msb 1                        ;  msbs: dst=0 src0=1 src1=0 src2=0
	v_mov_b32_e32 v143, v56 /*v312*/
	s_set_vgpr_msb 0                        ;  msbs: dst=0 src0=0 src1=0 src2=0
	s_delay_alu instid0(VALU_DEP_2) | instskip(SKIP_3) | instid1(VALU_DEP_2)
	v_fma_f32 v11, v142, v146, -v11
	s_set_vgpr_msb 1                        ;  msbs: dst=0 src0=1 src1=0 src2=0
	v_mov_b32_e32 v142, v57 /*v313*/
	s_set_vgpr_msb 0                        ;  msbs: dst=0 src0=0 src1=0 src2=0
	v_add_f32_e32 v9, v9, v11
	v_mul_f32_e32 v11, v145, v149
	s_delay_alu instid0(VALU_DEP_1) | instskip(SKIP_3) | instid1(VALU_DEP_2)
	v_fma_f32 v11, v144, v148, -v11
	s_set_vgpr_msb 1                        ;  msbs: dst=0 src0=1 src1=0 src2=0
	v_mov_b32_e32 v144, v61 /*v317*/
	s_set_vgpr_msb 0                        ;  msbs: dst=0 src0=0 src1=0 src2=0
	v_add_f32_e32 v9, v9, v11
	v_mul_f32_e32 v11, v151, v155
	s_delay_alu instid0(VALU_DEP_3) | instskip(NEXT) | instid1(VALU_DEP_2)
	v_pk_mul_f32 v[142:143], v[142:143], v[144:145] op_sel_hi:[1,0]
	v_fma_f32 v11, v150, v154, -v11
	s_set_vgpr_msb 5                        ;  msbs: dst=0 src0=1 src1=1 src2=0
	s_delay_alu instid0(VALU_DEP_2) | instskip(SKIP_3) | instid1(VALU_DEP_2)
	v_pk_fma_f32 v[144:145], v[56:57] /*v[312:313]*/, v[60:61] /*v[316:317]*/, v[142:143] neg_lo:[0,0,1] neg_hi:[0,0,1]
	v_pk_fma_f32 v[142:143], v[56:57] /*v[312:313]*/, v[60:61] /*v[316:317]*/, v[142:143] op_sel_hi:[1,0,1]
	s_set_vgpr_msb 0                        ;  msbs: dst=0 src0=0 src1=0 src2=0
	v_add_f32_e32 v9, v9, v11
	v_dual_mul_f32 v11, v153, v157 :: v_dual_mov_b32 v145, v143
	s_wait_loadcnt_dscnt 0x303
	s_set_vgpr_msb 4                        ;  msbs: dst=0 src0=0 src1=1 src2=0
	v_pk_mul_f32 v[142:143], v[126:127], v[62:63] /*v[318:319]*/ op_sel:[1,1] op_sel_hi:[0,1]
	s_set_vgpr_msb 0                        ;  msbs: dst=0 src0=0 src1=0 src2=0
	v_fma_f32 v11, v152, v156, -v11
	s_delay_alu instid0(VALU_DEP_1) | instskip(SKIP_1) | instid1(VALU_DEP_1)
	v_add_f32_e32 v9, v9, v11
	v_mul_f32_e32 v11, v159, v163
	v_fma_f32 v11, v158, v162, -v11
	s_delay_alu instid0(VALU_DEP_1) | instskip(SKIP_1) | instid1(VALU_DEP_1)
	v_add_f32_e32 v9, v9, v11
	v_mul_f32_e32 v11, v161, v165
	;; [unrolled: 4-line block ×24, first 2 shown]
	v_fma_f32 v11, v248, v252, -v11
	s_delay_alu instid0(VALU_DEP_1) | instskip(SKIP_2) | instid1(VALU_DEP_1)
	v_add_f32_e32 v9, v9, v11
	s_set_vgpr_msb 4                        ;  msbs: dst=0 src0=0 src1=1 src2=0
	v_mul_f32_e32 v11, v255, v3 /*v259*/
	v_fma_f32 v11, v254, v2 /*v258*/, -v11
	s_set_vgpr_msb 0                        ;  msbs: dst=0 src0=0 src1=0 src2=0
	s_delay_alu instid0(VALU_DEP_1) | instskip(SKIP_2) | instid1(VALU_DEP_1)
	v_add_f32_e32 v9, v9, v11
	s_set_vgpr_msb 5                        ;  msbs: dst=0 src0=1 src1=1 src2=0
	v_mul_f32_e32 v11, v1 /*v257*/, v5 /*v261*/
	v_fma_f32 v11, v0 /*v256*/, v4 /*v260*/, -v11
	s_set_vgpr_msb 0                        ;  msbs: dst=0 src0=0 src1=0 src2=0
	s_delay_alu instid0(VALU_DEP_1) | instskip(SKIP_2) | instid1(VALU_DEP_1)
	v_add_f32_e32 v9, v9, v11
	s_set_vgpr_msb 5                        ;  msbs: dst=0 src0=1 src1=1 src2=0
	v_mul_f32_e32 v11, v7 /*v263*/, v11 /*v267*/
	v_fma_f32 v11, v6 /*v262*/, v10 /*v266*/, -v11
	;; [unrolled: 6-line block ×12, first 2 shown]
	s_set_vgpr_msb 64                       ;  msbs: dst=1 src0=0 src1=0 src2=0
	s_delay_alu instid0(VALU_DEP_1) | instskip(SKIP_3) | instid1(VALU_DEP_1)
	v_add_f32_e32 v74 /*v330*/, v9, v11
	s_set_vgpr_msb 5                        ;  msbs: dst=0 src0=1 src1=1 src2=0
	v_mul_f32_e32 v9, v49 /*v305*/, v53 /*v309*/
	s_set_vgpr_msb 0x45                     ;  msbs: dst=1 src0=1 src1=1 src2=0
	v_fma_f32 v76 /*v332*/, v48 /*v304*/, v52 /*v308*/, -v9
	s_set_vgpr_msb 5                        ;  msbs: dst=0 src0=1 src1=1 src2=0
	v_mul_f32_e32 v9, v55 /*v311*/, v59 /*v315*/
	s_set_vgpr_msb 0x45                     ;  msbs: dst=1 src0=1 src1=1 src2=0
	s_delay_alu instid0(VALU_DEP_1) | instskip(SKIP_3) | instid1(VALU_DEP_1)
	v_fma_f32 v78 /*v334*/, v54 /*v310*/, v58 /*v314*/, -v9
	s_set_vgpr_msb 5                        ;  msbs: dst=0 src0=1 src1=1 src2=0
	v_pk_add_f32 v[140:141], v[74:75] /*v[330:331]*/, v[76:77] /*v[332:333]*/
	s_set_vgpr_msb 4                        ;  msbs: dst=0 src0=0 src1=1 src2=0
	v_pk_add_f32 v[140:141], v[140:141], v[78:79] /*v[334:335]*/
	s_set_vgpr_msb 0                        ;  msbs: dst=0 src0=0 src1=0 src2=0
	s_delay_alu instid0(VALU_DEP_1)
	v_pk_add_f32 v[140:141], v[140:141], v[144:145]
	s_set_vgpr_msb 4                        ;  msbs: dst=0 src0=0 src1=1 src2=0
	v_pk_fma_f32 v[144:145], v[126:127], v[62:63] /*v[318:319]*/, v[142:143] neg_lo:[0,0,1] neg_hi:[0,0,1]
	v_pk_fma_f32 v[126:127], v[126:127], v[62:63] /*v[318:319]*/, v[142:143] op_sel_hi:[1,0,1]
	s_set_vgpr_msb 1                        ;  msbs: dst=0 src0=1 src1=0 src2=0
	v_mov_b32_e32 v142, v65 /*v321*/
	s_set_vgpr_msb 0                        ;  msbs: dst=0 src0=0 src1=0 src2=0
	s_delay_alu instid0(VALU_DEP_2) | instskip(NEXT) | instid1(VALU_DEP_1)
	v_mov_b32_e32 v145, v127
	v_pk_add_f32 v[126:127], v[140:141], v[144:145]
	v_dual_mov_b32 v140, v129 :: v_dual_mov_b32 v141, v128
	s_delay_alu instid0(VALU_DEP_1) | instskip(SKIP_1) | instid1(VALU_DEP_1)
	v_pk_mul_f32 v[140:141], v[140:141], v[142:143] op_sel_hi:[1,0]
	s_set_vgpr_msb 4                        ;  msbs: dst=0 src0=0 src1=1 src2=0
	v_pk_fma_f32 v[142:143], v[128:129], v[64:65] /*v[320:321]*/, v[140:141] neg_lo:[0,0,1] neg_hi:[0,0,1]
	v_pk_fma_f32 v[128:129], v[128:129], v[64:65] /*v[320:321]*/, v[140:141] op_sel_hi:[1,0,1]
	s_delay_alu instid0(VALU_DEP_1) | instskip(SKIP_3) | instid1(VALU_DEP_2)
	v_mov_b32_e32 v143, v129
	s_wait_loadcnt_dscnt 0x202
	v_pk_mul_f32 v[128:129], v[130:131], v[66:67] /*v[322:323]*/ op_sel:[1,1] op_sel_hi:[0,1]
	s_set_vgpr_msb 0                        ;  msbs: dst=0 src0=0 src1=0 src2=0
	v_pk_add_f32 v[126:127], v[126:127], v[142:143]
	s_set_vgpr_msb 4                        ;  msbs: dst=0 src0=0 src1=1 src2=0
	s_delay_alu instid0(VALU_DEP_2)
	v_pk_fma_f32 v[140:141], v[130:131], v[66:67] /*v[322:323]*/, v[128:129] neg_lo:[0,0,1] neg_hi:[0,0,1]
	v_pk_fma_f32 v[128:129], v[130:131], v[66:67] /*v[322:323]*/, v[128:129] op_sel_hi:[1,0,1]
	v_mov_b32_e32 v128, v133
	s_set_vgpr_msb 1                        ;  msbs: dst=0 src0=1 src1=0 src2=0
	v_mov_b32_e32 v130, v69 /*v325*/
	s_set_vgpr_msb 0                        ;  msbs: dst=0 src0=0 src1=0 src2=0
	v_dual_mov_b32 v141, v129 :: v_dual_mov_b32 v129, v132
	s_delay_alu instid0(VALU_DEP_1) | instskip(NEXT) | instid1(VALU_DEP_2)
	v_pk_add_f32 v[126:127], v[126:127], v[140:141]
	v_pk_mul_f32 v[128:129], v[128:129], v[130:131] op_sel_hi:[1,0]
	s_set_vgpr_msb 4                        ;  msbs: dst=0 src0=0 src1=1 src2=0
	s_delay_alu instid0(VALU_DEP_1) | instskip(SKIP_1) | instid1(VALU_DEP_1)
	v_pk_fma_f32 v[130:131], v[132:133], v[68:69] /*v[324:325]*/, v[128:129] neg_lo:[0,0,1] neg_hi:[0,0,1]
	v_pk_fma_f32 v[128:129], v[132:133], v[68:69] /*v[324:325]*/, v[128:129] op_sel_hi:[1,0,1]
	v_mov_b32_e32 v131, v129
	s_wait_loadcnt_dscnt 0x101
	v_pk_mul_f32 v[128:129], v[134:135], v[70:71] /*v[326:327]*/ op_sel:[1,1] op_sel_hi:[0,1]
	s_set_vgpr_msb 0                        ;  msbs: dst=0 src0=0 src1=0 src2=0
	s_delay_alu instid0(VALU_DEP_2) | instskip(SKIP_1) | instid1(VALU_DEP_2)
	v_pk_add_f32 v[126:127], v[126:127], v[130:131]
	s_set_vgpr_msb 4                        ;  msbs: dst=0 src0=0 src1=1 src2=0
	v_pk_fma_f32 v[130:131], v[134:135], v[70:71] /*v[326:327]*/, v[128:129] neg_lo:[0,0,1] neg_hi:[0,0,1]
	v_pk_fma_f32 v[128:129], v[134:135], v[70:71] /*v[326:327]*/, v[128:129] op_sel_hi:[1,0,1]
	s_delay_alu instid0(VALU_DEP_1) | instskip(SKIP_2) | instid1(VALU_DEP_2)
	v_dual_mov_b32 v128, v137 :: v_dual_mov_b32 v131, v129
	v_mov_b32_e32 v129, v136
	s_set_vgpr_msb 0                        ;  msbs: dst=0 src0=0 src1=0 src2=0
	v_pk_add_f32 v[126:127], v[126:127], v[130:131]
	s_set_vgpr_msb 1                        ;  msbs: dst=0 src0=1 src1=0 src2=0
	v_mov_b32_e32 v130, v73 /*v329*/
	s_set_vgpr_msb 0                        ;  msbs: dst=0 src0=0 src1=0 src2=0
	s_delay_alu instid0(VALU_DEP_1) | instskip(SKIP_1) | instid1(VALU_DEP_1)
	v_pk_mul_f32 v[128:129], v[128:129], v[130:131] op_sel_hi:[1,0]
	s_set_vgpr_msb 4                        ;  msbs: dst=0 src0=0 src1=1 src2=0
	v_pk_fma_f32 v[130:131], v[136:137], v[72:73] /*v[328:329]*/, v[128:129] neg_lo:[0,0,1] neg_hi:[0,0,1]
	v_pk_fma_f32 v[128:129], v[136:137], v[72:73] /*v[328:329]*/, v[128:129] op_sel_hi:[1,0,1]
	s_delay_alu instid0(VALU_DEP_1) | instskip(SKIP_3) | instid1(VALU_DEP_2)
	v_mov_b32_e32 v131, v129
	s_wait_loadcnt_dscnt 0x0
	v_pk_mul_f32 v[128:129], v[138:139], v[80:81] /*v[336:337]*/ op_sel:[1,1] op_sel_hi:[0,1]
	s_set_vgpr_msb 0                        ;  msbs: dst=0 src0=0 src1=0 src2=0
	v_pk_add_f32 v[126:127], v[126:127], v[130:131]
	s_set_vgpr_msb 4                        ;  msbs: dst=0 src0=0 src1=1 src2=0
	s_delay_alu instid0(VALU_DEP_2) | instskip(SKIP_1) | instid1(VALU_DEP_1)
	v_pk_fma_f32 v[130:131], v[138:139], v[80:81] /*v[336:337]*/, v[128:129] neg_lo:[0,0,1] neg_hi:[0,0,1]
	v_pk_fma_f32 v[128:129], v[138:139], v[80:81] /*v[336:337]*/, v[128:129] op_sel_hi:[1,0,1]
	v_mov_b32_e32 v131, v129
	scratch_load_b64 v[128:129], off, off offset:48
	s_set_vgpr_msb 0                        ;  msbs: dst=0 src0=0 src1=0 src2=0
	v_pk_add_f32 v[126:127], v[126:127], v[130:131]
	s_wait_loadcnt 0x0
	s_delay_alu instid0(VALU_DEP_1)
	v_pk_add_f32 v[126:127], v[128:129], v[126:127] neg_lo:[0,1] neg_hi:[0,1]
	scratch_store_b64 off, v[126:127], off offset:48
	s_wait_xcnt 0x0
	v_cmpx_lt_u32_e32 5, v0
	s_cbranch_execz .LBB61_375
; %bb.374:
	scratch_load_b64 v[126:127], off, off offset:40
	v_mov_b64_e32 v[128:129], 0
	scratch_store_b64 off, v[128:129], off offset:40
	s_wait_loadcnt 0x0
	ds_store_b64 v1, v[126:127]
.LBB61_375:
	s_wait_xcnt 0x0
	s_or_b32 exec_lo, exec_lo, s0
	s_wait_storecnt_dscnt 0x0
	s_barrier_signal -1
	s_barrier_wait -1
	ds_load_b128 v[126:129], v7 offset:544
	ds_load_b128 v[130:133], v7 offset:560
	;; [unrolled: 1-line block ×4, first 2 shown]
	s_clause 0x14
	scratch_load_b128 v[142:145], off, off offset:48
	scratch_load_b128 v[146:149], off, off offset:64
	;; [unrolled: 1-line block ×16, first 2 shown]
	s_set_vgpr_msb 64                       ;  msbs: dst=1 src0=0 src1=0 src2=0
	scratch_load_b128 v[2:5] /*v[258:261]*/, off, off offset:304
	scratch_load_b128 v[10:13] /*v[266:269]*/, off, off offset:320
	;; [unrolled: 1-line block ×4, first 2 shown]
	s_set_vgpr_msb 0                        ;  msbs: dst=0 src0=0 src1=0 src2=0
	ds_load_b128 v[158:161], v7 offset:608
	ds_load_b128 v[166:169], v7 offset:624
	s_set_vgpr_msb 64                       ;  msbs: dst=1 src0=0 src1=0 src2=0
	s_clause 0x1
	scratch_load_b128 v[34:37] /*v[290:293]*/, off, off offset:368
	scratch_load_b128 v[42:45] /*v[298:301]*/, off, off offset:384
	s_set_vgpr_msb 0                        ;  msbs: dst=0 src0=0 src1=0 src2=0
	ds_load_b128 v[174:177], v7 offset:640
	ds_load_b128 v[182:185], v7 offset:656
	s_set_vgpr_msb 64                       ;  msbs: dst=1 src0=0 src1=0 src2=0
	s_clause 0x1
	scratch_load_b128 v[50:53] /*v[306:309]*/, off, off offset:400
	scratch_load_b128 v[58:61] /*v[314:317]*/, off, off offset:416
	s_set_vgpr_msb 0                        ;  msbs: dst=0 src0=0 src1=0 src2=0
	ds_load_b128 v[190:193], v7 offset:672
	ds_load_b128 v[198:201], v7 offset:688
	;; [unrolled: 1-line block ×9, first 2 shown]
	s_set_vgpr_msb 64                       ;  msbs: dst=1 src0=0 src1=0 src2=0
	ds_load_b128 v[6:9] /*v[262:265]*/, v7 offset:816
	ds_load_b128 v[46:49] /*v[302:305]*/, v7 offset:896
	;; [unrolled: 1-line block ×7, first 2 shown]
	s_clause 0x3
	scratch_load_b128 v[62:65] /*v[318:321]*/, off, off offset:432
	scratch_load_b128 v[66:69] /*v[322:325]*/, off, off offset:448
	;; [unrolled: 1-line block ×4, first 2 shown]
	s_mov_b32 s0, exec_lo
	s_wait_loadcnt_dscnt 0x1b17
	s_set_vgpr_msb 0                        ;  msbs: dst=0 src0=0 src1=0 src2=0
	v_dual_mul_f32 v9, v126, v143 :: v_dual_mul_f32 v11, v128, v145
	s_delay_alu instid0(VALU_DEP_1) | instskip(NEXT) | instid1(VALU_DEP_1)
	v_dual_fmac_f32 v9, v127, v142 :: v_dual_fmac_f32 v11, v129, v144
	v_add_f32_e32 v9, 0, v9
	s_delay_alu instid0(VALU_DEP_1) | instskip(SKIP_2) | instid1(VALU_DEP_1)
	v_add_f32_e32 v9, v9, v11
	s_wait_loadcnt_dscnt 0x1a16
	v_mul_f32_e32 v11, v130, v147
	v_fmac_f32_e32 v11, v131, v146
	s_delay_alu instid0(VALU_DEP_1)
	v_dual_add_f32 v9, v9, v11 :: v_dual_mul_f32 v11, v132, v149
	s_wait_loadcnt_dscnt 0x404
	s_set_vgpr_msb 0x45                     ;  msbs: dst=1 src0=1 src1=1 src2=0
	v_dual_mul_f32 v81 /*v337*/, v54 /*v310*/, v59 /*v315*/ :: v_dual_mul_f32 v83 /*v339*/, v56 /*v312*/, v61 /*v317*/
	s_set_vgpr_msb 0                        ;  msbs: dst=0 src0=0 src1=0 src2=0
	v_fmac_f32_e32 v11, v133, v148
	s_set_vgpr_msb 0x45                     ;  msbs: dst=1 src0=1 src1=1 src2=0
	s_delay_alu instid0(VALU_DEP_2) | instskip(SKIP_1) | instid1(VALU_DEP_2)
	v_dual_fmac_f32 v81 /*v337*/, v55 /*v311*/, v58 /*v314*/ :: v_dual_fmac_f32 v83 /*v339*/, v57 /*v313*/, v60 /*v316*/
	s_set_vgpr_msb 0                        ;  msbs: dst=0 src0=0 src1=0 src2=0
	v_add_f32_e32 v9, v9, v11
	v_mul_f32_e32 v11, v134, v151
	s_delay_alu instid0(VALU_DEP_1) | instskip(NEXT) | instid1(VALU_DEP_1)
	v_fmac_f32_e32 v11, v135, v150
	v_dual_add_f32 v9, v9, v11 :: v_dual_mul_f32 v11, v136, v153
	s_delay_alu instid0(VALU_DEP_1) | instskip(NEXT) | instid1(VALU_DEP_1)
	v_fmac_f32_e32 v11, v137, v152
	v_add_f32_e32 v9, v9, v11
	v_mul_f32_e32 v11, v138, v155
	s_delay_alu instid0(VALU_DEP_1) | instskip(NEXT) | instid1(VALU_DEP_1)
	v_fmac_f32_e32 v11, v139, v154
	v_dual_add_f32 v9, v9, v11 :: v_dual_mul_f32 v11, v140, v157
	s_delay_alu instid0(VALU_DEP_1) | instskip(NEXT) | instid1(VALU_DEP_1)
	v_fmac_f32_e32 v11, v141, v156
	;; [unrolled: 7-line block ×14, first 2 shown]
	v_add_f32_e32 v9, v9, v11
	s_set_vgpr_msb 4                        ;  msbs: dst=0 src0=0 src1=1 src2=0
	v_mul_f32_e32 v11, v254, v3 /*v259*/
	s_delay_alu instid0(VALU_DEP_1) | instskip(SKIP_1) | instid1(VALU_DEP_1)
	v_fmac_f32_e32 v11, v255, v2 /*v258*/
	s_set_vgpr_msb 0                        ;  msbs: dst=0 src0=0 src1=0 src2=0
	v_add_f32_e32 v9, v9, v11
	s_set_vgpr_msb 5                        ;  msbs: dst=0 src0=1 src1=1 src2=0
	v_mul_f32_e32 v11, v0 /*v256*/, v5 /*v261*/
	s_delay_alu instid0(VALU_DEP_1) | instskip(SKIP_1) | instid1(VALU_DEP_1)
	v_fmac_f32_e32 v11, v1 /*v257*/, v4 /*v260*/
	s_set_vgpr_msb 0                        ;  msbs: dst=0 src0=0 src1=0 src2=0
	v_add_f32_e32 v9, v9, v11
	s_set_vgpr_msb 5                        ;  msbs: dst=0 src0=1 src1=1 src2=0
	v_mul_f32_e32 v11, v6 /*v262*/, v11 /*v267*/
	s_delay_alu instid0(VALU_DEP_1) | instskip(SKIP_1) | instid1(VALU_DEP_1)
	v_fmac_f32_e32 v11, v7 /*v263*/, v10 /*v266*/
	;; [unrolled: 6-line block ×3, first 2 shown]
	s_set_vgpr_msb 0                        ;  msbs: dst=0 src0=0 src1=0 src2=0
	v_add_f32_e32 v9, v9, v11
	s_wait_dscnt 0x3
	s_set_vgpr_msb 5                        ;  msbs: dst=0 src0=1 src1=1 src2=0
	v_mul_f32_e32 v11, v14 /*v270*/, v19 /*v275*/
	s_delay_alu instid0(VALU_DEP_1) | instskip(SKIP_1) | instid1(VALU_DEP_1)
	v_fmac_f32_e32 v11, v15 /*v271*/, v18 /*v274*/
	s_set_vgpr_msb 0                        ;  msbs: dst=0 src0=0 src1=0 src2=0
	v_add_f32_e32 v9, v9, v11
	s_set_vgpr_msb 5                        ;  msbs: dst=0 src0=1 src1=1 src2=0
	v_mul_f32_e32 v11, v16 /*v272*/, v21 /*v277*/
	s_delay_alu instid0(VALU_DEP_1) | instskip(SKIP_1) | instid1(VALU_DEP_1)
	v_fmac_f32_e32 v11, v17 /*v273*/, v20 /*v276*/
	s_set_vgpr_msb 0                        ;  msbs: dst=0 src0=0 src1=0 src2=0
	v_add_f32_e32 v9, v9, v11
	s_wait_dscnt 0x2
	s_set_vgpr_msb 5                        ;  msbs: dst=0 src0=1 src1=1 src2=0
	v_mul_f32_e32 v11, v22 /*v278*/, v27 /*v283*/
	s_delay_alu instid0(VALU_DEP_1) | instskip(SKIP_1) | instid1(VALU_DEP_1)
	v_fmac_f32_e32 v11, v23 /*v279*/, v26 /*v282*/
	s_set_vgpr_msb 0                        ;  msbs: dst=0 src0=0 src1=0 src2=0
	v_add_f32_e32 v9, v9, v11
	s_set_vgpr_msb 5                        ;  msbs: dst=0 src0=1 src1=1 src2=0
	v_mul_f32_e32 v11, v24 /*v280*/, v29 /*v285*/
	s_delay_alu instid0(VALU_DEP_1) | instskip(SKIP_1) | instid1(VALU_DEP_1)
	v_fmac_f32_e32 v11, v25 /*v281*/, v28 /*v284*/
	s_set_vgpr_msb 0                        ;  msbs: dst=0 src0=0 src1=0 src2=0
	v_add_f32_e32 v9, v9, v11
	s_wait_dscnt 0x1
	s_set_vgpr_msb 5                        ;  msbs: dst=0 src0=1 src1=1 src2=0
	v_mul_f32_e32 v11, v30 /*v286*/, v35 /*v291*/
	s_delay_alu instid0(VALU_DEP_1) | instskip(SKIP_1) | instid1(VALU_DEP_1)
	v_fmac_f32_e32 v11, v31 /*v287*/, v34 /*v290*/
	s_set_vgpr_msb 0                        ;  msbs: dst=0 src0=0 src1=0 src2=0
	v_add_f32_e32 v9, v9, v11
	s_set_vgpr_msb 5                        ;  msbs: dst=0 src0=1 src1=1 src2=0
	v_mul_f32_e32 v11, v32 /*v288*/, v37 /*v293*/
	s_delay_alu instid0(VALU_DEP_1) | instskip(SKIP_1) | instid1(VALU_DEP_1)
	v_fmac_f32_e32 v11, v33 /*v289*/, v36 /*v292*/
	s_set_vgpr_msb 0                        ;  msbs: dst=0 src0=0 src1=0 src2=0
	v_add_f32_e32 v9, v9, v11
	s_wait_dscnt 0x0
	s_set_vgpr_msb 5                        ;  msbs: dst=0 src0=1 src1=1 src2=0
	v_mul_f32_e32 v11, v38 /*v294*/, v43 /*v299*/
	s_delay_alu instid0(VALU_DEP_1) | instskip(SKIP_1) | instid1(VALU_DEP_1)
	v_fmac_f32_e32 v11, v39 /*v295*/, v42 /*v298*/
	s_set_vgpr_msb 0                        ;  msbs: dst=0 src0=0 src1=0 src2=0
	v_add_f32_e32 v9, v9, v11
	s_set_vgpr_msb 5                        ;  msbs: dst=0 src0=1 src1=1 src2=0
	v_mul_f32_e32 v11, v40 /*v296*/, v45 /*v301*/
	s_delay_alu instid0(VALU_DEP_1) | instskip(SKIP_1) | instid1(VALU_DEP_1)
	v_fmac_f32_e32 v11, v41 /*v297*/, v44 /*v300*/
	s_set_vgpr_msb 0                        ;  msbs: dst=0 src0=0 src1=0 src2=0
	v_add_f32_e32 v9, v9, v11
	s_set_vgpr_msb 5                        ;  msbs: dst=0 src0=1 src1=1 src2=0
	v_mul_f32_e32 v11, v46 /*v302*/, v51 /*v307*/
	s_delay_alu instid0(VALU_DEP_1) | instskip(SKIP_1) | instid1(VALU_DEP_1)
	v_fmac_f32_e32 v11, v47 /*v303*/, v50 /*v306*/
	s_set_vgpr_msb 0                        ;  msbs: dst=0 src0=0 src1=0 src2=0
	v_add_f32_e32 v9, v9, v11
	s_set_vgpr_msb 5                        ;  msbs: dst=0 src0=1 src1=1 src2=0
	v_mul_f32_e32 v11, v48 /*v304*/, v53 /*v309*/
	s_delay_alu instid0(VALU_DEP_1) | instskip(SKIP_1) | instid1(VALU_DEP_1)
	v_fmac_f32_e32 v11, v49 /*v305*/, v52 /*v308*/
	s_set_vgpr_msb 64                       ;  msbs: dst=1 src0=0 src1=0 src2=0
	v_add_f32_e32 v79 /*v335*/, v9, v11
	s_set_vgpr_msb 0                        ;  msbs: dst=0 src0=0 src1=0 src2=0
	v_dual_mul_f32 v9, v127, v143 :: v_dual_mul_f32 v11, v129, v145
	s_delay_alu instid0(VALU_DEP_1) | instskip(NEXT) | instid1(VALU_DEP_1)
	v_dual_fma_f32 v9, v126, v142, -v9 :: v_dual_fma_f32 v11, v128, v144, -v11
	v_add_f32_e32 v9, 0, v9
	s_delay_alu instid0(VALU_DEP_1) | instskip(SKIP_1) | instid1(VALU_DEP_1)
	v_add_f32_e32 v9, v9, v11
	v_mul_f32_e32 v11, v131, v147
	v_fma_f32 v11, v130, v146, -v11
	s_delay_alu instid0(VALU_DEP_1) | instskip(SKIP_1) | instid1(VALU_DEP_1)
	v_add_f32_e32 v9, v9, v11
	v_mul_f32_e32 v11, v133, v149
	v_fma_f32 v11, v132, v148, -v11
	;; [unrolled: 4-line block ×6, first 2 shown]
	ds_load_b128 v[126:129], v7 offset:928
	ds_load_b128 v[130:133], v7 offset:944
	;; [unrolled: 1-line block ×4, first 2 shown]
	v_add_f32_e32 v9, v9, v11
	v_mul_f32_e32 v11, v159, v163
	s_delay_alu instid0(VALU_DEP_1) | instskip(NEXT) | instid1(VALU_DEP_1)
	v_fma_f32 v11, v158, v162, -v11
	v_add_f32_e32 v9, v9, v11
	v_mul_f32_e32 v11, v161, v165
	s_wait_loadcnt_dscnt 0x303
	s_set_vgpr_msb 4                        ;  msbs: dst=0 src0=0 src1=1 src2=0
	v_pk_mul_f32 v[144:145], v[126:127], v[62:63] /*v[318:319]*/ op_sel:[1,1] op_sel_hi:[0,1]
	s_set_vgpr_msb 0                        ;  msbs: dst=0 src0=0 src1=0 src2=0
	v_fma_f32 v11, v160, v164, -v11
	s_set_vgpr_msb 4                        ;  msbs: dst=0 src0=0 src1=1 src2=0
	s_delay_alu instid0(VALU_DEP_2)
	v_pk_fma_f32 v[146:147], v[126:127], v[62:63] /*v[318:319]*/, v[144:145] neg_lo:[0,0,1] neg_hi:[0,0,1]
	v_pk_fma_f32 v[126:127], v[126:127], v[62:63] /*v[318:319]*/, v[144:145] op_sel_hi:[1,0,1]
	s_set_vgpr_msb 1                        ;  msbs: dst=0 src0=1 src1=0 src2=0
	v_mov_b32_e32 v144, v65 /*v321*/
	s_set_vgpr_msb 0                        ;  msbs: dst=0 src0=0 src1=0 src2=0
	v_add_f32_e32 v9, v9, v11
	v_mul_f32_e32 v11, v167, v171
	s_delay_alu instid0(VALU_DEP_1) | instskip(NEXT) | instid1(VALU_DEP_1)
	v_dual_mov_b32 v147, v127 :: v_dual_fma_f32 v11, v166, v170, -v11
	v_add_f32_e32 v9, v9, v11
	v_mul_f32_e32 v11, v169, v173
	s_delay_alu instid0(VALU_DEP_1) | instskip(NEXT) | instid1(VALU_DEP_1)
	v_fma_f32 v11, v168, v172, -v11
	v_add_f32_e32 v9, v9, v11
	v_mul_f32_e32 v11, v175, v179
	s_delay_alu instid0(VALU_DEP_1) | instskip(NEXT) | instid1(VALU_DEP_1)
	v_fma_f32 v11, v174, v178, -v11
	;; [unrolled: 4-line block ×21, first 2 shown]
	v_add_f32_e32 v9, v9, v11
	s_set_vgpr_msb 4                        ;  msbs: dst=0 src0=0 src1=1 src2=0
	v_mul_f32_e32 v11, v255, v3 /*v259*/
	s_delay_alu instid0(VALU_DEP_1) | instskip(SKIP_1) | instid1(VALU_DEP_1)
	v_fma_f32 v11, v254, v2 /*v258*/, -v11
	s_set_vgpr_msb 0                        ;  msbs: dst=0 src0=0 src1=0 src2=0
	v_add_f32_e32 v9, v9, v11
	s_set_vgpr_msb 5                        ;  msbs: dst=0 src0=1 src1=1 src2=0
	v_mul_f32_e32 v11, v1 /*v257*/, v5 /*v261*/
	s_delay_alu instid0(VALU_DEP_1) | instskip(SKIP_1) | instid1(VALU_DEP_1)
	v_fma_f32 v11, v0 /*v256*/, v4 /*v260*/, -v11
	s_set_vgpr_msb 0                        ;  msbs: dst=0 src0=0 src1=0 src2=0
	v_add_f32_e32 v9, v9, v11
	s_set_vgpr_msb 5                        ;  msbs: dst=0 src0=1 src1=1 src2=0
	v_mul_f32_e32 v11, v7 /*v263*/, v11 /*v267*/
	s_delay_alu instid0(VALU_DEP_1) | instskip(SKIP_1) | instid1(VALU_DEP_1)
	v_fma_f32 v11, v6 /*v262*/, v10 /*v266*/, -v11
	;; [unrolled: 6-line block ×13, first 2 shown]
	s_set_vgpr_msb 64                       ;  msbs: dst=1 src0=0 src1=0 src2=0
	v_add_f32_e32 v78 /*v334*/, v9, v11
	s_set_vgpr_msb 5                        ;  msbs: dst=0 src0=1 src1=1 src2=0
	v_mul_f32_e32 v9, v55 /*v311*/, v59 /*v315*/
	s_set_vgpr_msb 0x45                     ;  msbs: dst=1 src0=1 src1=1 src2=0
	s_delay_alu instid0(VALU_DEP_1) | instskip(SKIP_3) | instid1(VALU_DEP_1)
	v_fma_f32 v80 /*v336*/, v54 /*v310*/, v58 /*v314*/, -v9
	s_set_vgpr_msb 5                        ;  msbs: dst=0 src0=1 src1=1 src2=0
	v_mul_f32_e32 v9, v57 /*v313*/, v61 /*v317*/
	s_set_vgpr_msb 0x45                     ;  msbs: dst=1 src0=1 src1=1 src2=0
	v_fma_f32 v82 /*v338*/, v56 /*v312*/, v60 /*v316*/, -v9
	s_set_vgpr_msb 5                        ;  msbs: dst=0 src0=1 src1=1 src2=0
	v_pk_add_f32 v[142:143], v[78:79] /*v[334:335]*/, v[80:81] /*v[336:337]*/
	s_set_vgpr_msb 4                        ;  msbs: dst=0 src0=0 src1=1 src2=0
	s_delay_alu instid0(VALU_DEP_1) | instskip(SKIP_1) | instid1(VALU_DEP_1)
	v_pk_add_f32 v[142:143], v[142:143], v[82:83] /*v[338:339]*/
	s_set_vgpr_msb 0                        ;  msbs: dst=0 src0=0 src1=0 src2=0
	v_pk_add_f32 v[126:127], v[142:143], v[146:147]
	v_dual_mov_b32 v142, v129 :: v_dual_mov_b32 v143, v128
	s_delay_alu instid0(VALU_DEP_1) | instskip(SKIP_1) | instid1(VALU_DEP_1)
	v_pk_mul_f32 v[142:143], v[142:143], v[144:145] op_sel_hi:[1,0]
	s_set_vgpr_msb 4                        ;  msbs: dst=0 src0=0 src1=1 src2=0
	v_pk_fma_f32 v[144:145], v[128:129], v[64:65] /*v[320:321]*/, v[142:143] neg_lo:[0,0,1] neg_hi:[0,0,1]
	v_pk_fma_f32 v[128:129], v[128:129], v[64:65] /*v[320:321]*/, v[142:143] op_sel_hi:[1,0,1]
	s_delay_alu instid0(VALU_DEP_1) | instskip(SKIP_3) | instid1(VALU_DEP_2)
	v_mov_b32_e32 v145, v129
	s_wait_loadcnt_dscnt 0x202
	v_pk_mul_f32 v[128:129], v[130:131], v[66:67] /*v[322:323]*/ op_sel:[1,1] op_sel_hi:[0,1]
	s_set_vgpr_msb 0                        ;  msbs: dst=0 src0=0 src1=0 src2=0
	v_pk_add_f32 v[126:127], v[126:127], v[144:145]
	s_set_vgpr_msb 4                        ;  msbs: dst=0 src0=0 src1=1 src2=0
	s_delay_alu instid0(VALU_DEP_2)
	v_pk_fma_f32 v[142:143], v[130:131], v[66:67] /*v[322:323]*/, v[128:129] neg_lo:[0,0,1] neg_hi:[0,0,1]
	v_pk_fma_f32 v[128:129], v[130:131], v[66:67] /*v[322:323]*/, v[128:129] op_sel_hi:[1,0,1]
	v_mov_b32_e32 v128, v133
	s_set_vgpr_msb 1                        ;  msbs: dst=0 src0=1 src1=0 src2=0
	v_mov_b32_e32 v130, v69 /*v325*/
	s_set_vgpr_msb 0                        ;  msbs: dst=0 src0=0 src1=0 src2=0
	v_dual_mov_b32 v143, v129 :: v_dual_mov_b32 v129, v132
	s_delay_alu instid0(VALU_DEP_1) | instskip(NEXT) | instid1(VALU_DEP_2)
	v_pk_add_f32 v[126:127], v[126:127], v[142:143]
	v_pk_mul_f32 v[128:129], v[128:129], v[130:131] op_sel_hi:[1,0]
	s_set_vgpr_msb 4                        ;  msbs: dst=0 src0=0 src1=1 src2=0
	s_delay_alu instid0(VALU_DEP_1) | instskip(SKIP_1) | instid1(VALU_DEP_1)
	v_pk_fma_f32 v[130:131], v[132:133], v[68:69] /*v[324:325]*/, v[128:129] neg_lo:[0,0,1] neg_hi:[0,0,1]
	v_pk_fma_f32 v[128:129], v[132:133], v[68:69] /*v[324:325]*/, v[128:129] op_sel_hi:[1,0,1]
	v_mov_b32_e32 v131, v129
	s_wait_loadcnt_dscnt 0x101
	v_pk_mul_f32 v[128:129], v[134:135], v[70:71] /*v[326:327]*/ op_sel:[1,1] op_sel_hi:[0,1]
	s_set_vgpr_msb 0                        ;  msbs: dst=0 src0=0 src1=0 src2=0
	s_delay_alu instid0(VALU_DEP_2) | instskip(SKIP_1) | instid1(VALU_DEP_2)
	v_pk_add_f32 v[126:127], v[126:127], v[130:131]
	s_set_vgpr_msb 4                        ;  msbs: dst=0 src0=0 src1=1 src2=0
	v_pk_fma_f32 v[130:131], v[134:135], v[70:71] /*v[326:327]*/, v[128:129] neg_lo:[0,0,1] neg_hi:[0,0,1]
	v_pk_fma_f32 v[128:129], v[134:135], v[70:71] /*v[326:327]*/, v[128:129] op_sel_hi:[1,0,1]
	s_delay_alu instid0(VALU_DEP_1) | instskip(SKIP_2) | instid1(VALU_DEP_2)
	v_dual_mov_b32 v128, v137 :: v_dual_mov_b32 v131, v129
	v_mov_b32_e32 v129, v136
	s_set_vgpr_msb 0                        ;  msbs: dst=0 src0=0 src1=0 src2=0
	v_pk_add_f32 v[126:127], v[126:127], v[130:131]
	s_set_vgpr_msb 1                        ;  msbs: dst=0 src0=1 src1=0 src2=0
	v_mov_b32_e32 v130, v73 /*v329*/
	s_set_vgpr_msb 0                        ;  msbs: dst=0 src0=0 src1=0 src2=0
	s_delay_alu instid0(VALU_DEP_1) | instskip(SKIP_1) | instid1(VALU_DEP_1)
	v_pk_mul_f32 v[128:129], v[128:129], v[130:131] op_sel_hi:[1,0]
	s_set_vgpr_msb 4                        ;  msbs: dst=0 src0=0 src1=1 src2=0
	v_pk_fma_f32 v[130:131], v[136:137], v[72:73] /*v[328:329]*/, v[128:129] neg_lo:[0,0,1] neg_hi:[0,0,1]
	v_pk_fma_f32 v[128:129], v[136:137], v[72:73] /*v[328:329]*/, v[128:129] op_sel_hi:[1,0,1]
	s_delay_alu instid0(VALU_DEP_1) | instskip(SKIP_3) | instid1(VALU_DEP_2)
	v_mov_b32_e32 v131, v129
	s_wait_loadcnt_dscnt 0x0
	v_pk_mul_f32 v[128:129], v[138:139], v[74:75] /*v[330:331]*/ op_sel:[1,1] op_sel_hi:[0,1]
	s_set_vgpr_msb 0                        ;  msbs: dst=0 src0=0 src1=0 src2=0
	v_pk_add_f32 v[126:127], v[126:127], v[130:131]
	s_set_vgpr_msb 4                        ;  msbs: dst=0 src0=0 src1=1 src2=0
	s_delay_alu instid0(VALU_DEP_2) | instskip(SKIP_1) | instid1(VALU_DEP_1)
	v_pk_fma_f32 v[130:131], v[138:139], v[74:75] /*v[330:331]*/, v[128:129] neg_lo:[0,0,1] neg_hi:[0,0,1]
	v_pk_fma_f32 v[128:129], v[138:139], v[74:75] /*v[330:331]*/, v[128:129] op_sel_hi:[1,0,1]
	v_dual_mov_b32 v128, v141 :: v_dual_mov_b32 v131, v129
	v_mov_b32_e32 v129, v140
	s_set_vgpr_msb 0                        ;  msbs: dst=0 src0=0 src1=0 src2=0
	s_delay_alu instid0(VALU_DEP_2) | instskip(SKIP_3) | instid1(VALU_DEP_1)
	v_pk_add_f32 v[126:127], v[126:127], v[130:131]
	s_set_vgpr_msb 1                        ;  msbs: dst=0 src0=1 src1=0 src2=0
	v_mov_b32_e32 v130, v77 /*v333*/
	s_set_vgpr_msb 0                        ;  msbs: dst=0 src0=0 src1=0 src2=0
	v_pk_mul_f32 v[128:129], v[128:129], v[130:131] op_sel_hi:[1,0]
	s_set_vgpr_msb 4                        ;  msbs: dst=0 src0=0 src1=1 src2=0
	s_delay_alu instid0(VALU_DEP_1) | instskip(SKIP_1) | instid1(VALU_DEP_1)
	v_pk_fma_f32 v[130:131], v[140:141], v[76:77] /*v[332:333]*/, v[128:129] neg_lo:[0,0,1] neg_hi:[0,0,1]
	v_pk_fma_f32 v[128:129], v[140:141], v[76:77] /*v[332:333]*/, v[128:129] op_sel_hi:[1,0,1]
	v_mov_b32_e32 v131, v129
	scratch_load_b64 v[128:129], off, off offset:40
	s_set_vgpr_msb 0                        ;  msbs: dst=0 src0=0 src1=0 src2=0
	v_pk_add_f32 v[126:127], v[126:127], v[130:131]
	s_wait_loadcnt 0x0
	s_delay_alu instid0(VALU_DEP_1)
	v_pk_add_f32 v[126:127], v[128:129], v[126:127] neg_lo:[0,1] neg_hi:[0,1]
	scratch_store_b64 off, v[126:127], off offset:40
	s_wait_xcnt 0x0
	v_cmpx_lt_u32_e32 4, v0
	s_cbranch_execz .LBB61_377
; %bb.376:
	scratch_load_b64 v[126:127], off, off offset:32
	v_mov_b64_e32 v[128:129], 0
	scratch_store_b64 off, v[128:129], off offset:32
	s_wait_loadcnt 0x0
	ds_store_b64 v1, v[126:127]
.LBB61_377:
	s_wait_xcnt 0x0
	s_or_b32 exec_lo, exec_lo, s0
	s_wait_storecnt_dscnt 0x0
	s_barrier_signal -1
	s_barrier_wait -1
	s_clause 0xf
	scratch_load_b128 v[130:133], off, off offset:40
	scratch_load_b128 v[138:141], off, off offset:56
	scratch_load_b128 v[146:149], off, off offset:72
	scratch_load_b128 v[154:157], off, off offset:88
	scratch_load_b128 v[162:165], off, off offset:104
	scratch_load_b128 v[170:173], off, off offset:120
	scratch_load_b128 v[178:181], off, off offset:136
	scratch_load_b128 v[186:189], off, off offset:152
	scratch_load_b128 v[194:197], off, off offset:168
	scratch_load_b128 v[202:205], off, off offset:184
	scratch_load_b128 v[210:213], off, off offset:200
	scratch_load_b128 v[218:221], off, off offset:216
	scratch_load_b128 v[226:229], off, off offset:232
	scratch_load_b128 v[234:237], off, off offset:248
	scratch_load_b128 v[242:245], off, off offset:264
	scratch_load_b128 v[250:253], off, off offset:280
	v_mov_b32_e32 v7, 0
	s_set_vgpr_msb 64                       ;  msbs: dst=1 src0=0 src1=0 src2=0
	s_clause 0x3
	scratch_load_b128 v[2:5] /*v[258:261]*/, off, off offset:296
	scratch_load_b128 v[10:13] /*v[266:269]*/, off, off offset:312
	;; [unrolled: 1-line block ×4, first 2 shown]
	s_set_vgpr_msb 0                        ;  msbs: dst=0 src0=0 src1=0 src2=0
	ds_load_2addr_b64 v[126:129], v7 offset0:67 offset1:68
	ds_load_2addr_b64 v[134:137], v7 offset0:69 offset1:70
	s_set_vgpr_msb 64                       ;  msbs: dst=1 src0=0 src1=0 src2=0
	s_clause 0x4
	scratch_load_b128 v[34:37] /*v[290:293]*/, off, off offset:360
	scratch_load_b128 v[42:45] /*v[298:301]*/, off, off offset:376
	;; [unrolled: 1-line block ×5, first 2 shown]
	s_mov_b32 s0, exec_lo
	s_wait_loadcnt_dscnt 0x1801
	s_set_vgpr_msb 0                        ;  msbs: dst=0 src0=0 src1=0 src2=0
	v_dual_mul_f32 v9, v126, v131 :: v_dual_mul_f32 v11, v128, v133
	ds_load_2addr_b64 v[142:145], v7 offset0:71 offset1:72
	ds_load_2addr_b64 v[150:153], v7 offset0:73 offset1:74
	;; [unrolled: 1-line block ×4, first 2 shown]
	v_dual_fmac_f32 v9, v127, v130 :: v_dual_fmac_f32 v11, v129, v132
	ds_load_2addr_b64 v[174:177], v7 offset0:79 offset1:80
	ds_load_2addr_b64 v[182:185], v7 offset0:81 offset1:82
	;; [unrolled: 1-line block ×4, first 2 shown]
	v_add_f32_e32 v9, 0, v9
	ds_load_2addr_b64 v[206:209], v7 offset0:87 offset1:88
	ds_load_2addr_b64 v[214:217], v7 offset0:89 offset1:90
	;; [unrolled: 1-line block ×4, first 2 shown]
	v_add_f32_e32 v9, v9, v11
	s_wait_loadcnt_dscnt 0x170c
	v_mul_f32_e32 v11, v134, v139
	ds_load_2addr_b64 v[238:241], v7 offset0:95 offset1:96
	ds_load_2addr_b64 v[246:249], v7 offset0:97 offset1:98
	ds_load_2addr_b64 v[254:257], v7 offset0:99 offset1:100
	s_set_vgpr_msb 64                       ;  msbs: dst=1 src0=0 src1=0 src2=0
	ds_load_2addr_b64 v[6:9] /*v[262:265]*/, v7 offset0:101 offset1:102
	s_set_vgpr_msb 0                        ;  msbs: dst=0 src0=0 src1=0 src2=0
	v_fmac_f32_e32 v11, v135, v138
	s_set_vgpr_msb 64                       ;  msbs: dst=1 src0=0 src1=0 src2=0
	ds_load_2addr_b64 v[62:65] /*v[318:321]*/, v7 offset0:115 offset1:116
	ds_load_2addr_b64 v[14:17] /*v[270:273]*/, v7 offset0:103 offset1:104
	;; [unrolled: 1-line block ×5, first 2 shown]
	s_set_vgpr_msb 0                        ;  msbs: dst=0 src0=0 src1=0 src2=0
	v_dual_add_f32 v9, v9, v11 :: v_dual_mul_f32 v11, v136, v141
	s_set_vgpr_msb 64                       ;  msbs: dst=1 src0=0 src1=0 src2=0
	ds_load_2addr_b64 v[30:33] /*v[286:289]*/, v7 offset0:107 offset1:108
	ds_load_2addr_b64 v[38:41] /*v[294:297]*/, v7 offset0:109 offset1:110
	s_clause 0x3
	scratch_load_b128 v[70:73] /*v[326:329]*/, off, off offset:440
	scratch_load_b128 v[74:77] /*v[330:333]*/, off, off offset:456
	;; [unrolled: 1-line block ×3, first 2 shown]
	scratch_load_b64 v[88:89] /*v[344:345]*/, off, off offset:488
	s_set_vgpr_msb 0                        ;  msbs: dst=0 src0=0 src1=0 src2=0
	v_fmac_f32_e32 v11, v137, v140
	s_delay_alu instid0(VALU_DEP_1)
	v_add_f32_e32 v9, v9, v11
	s_wait_loadcnt_dscnt 0x1a16
	v_mul_f32_e32 v11, v142, v147
	s_wait_loadcnt_dscnt 0x406
	s_set_vgpr_msb 0x45                     ;  msbs: dst=1 src0=1 src1=1 src2=0
	v_mul_f32_e32 v87 /*v343*/, v62 /*v318*/, v67 /*v323*/
	s_set_vgpr_msb 0                        ;  msbs: dst=0 src0=0 src1=0 src2=0
	v_fmac_f32_e32 v11, v143, v146
	s_wait_dscnt 0x2
	s_set_vgpr_msb 0x45                     ;  msbs: dst=1 src0=1 src1=1 src2=0
	v_dual_mul_f32 v85 /*v341*/, v56 /*v312*/, v61 /*v317*/ :: v_dual_fmac_f32 v87 /*v343*/, v63 /*v319*/, v66 /*v322*/
	s_set_vgpr_msb 0                        ;  msbs: dst=0 src0=0 src1=0 src2=0
	v_dual_add_f32 v9, v9, v11 :: v_dual_mul_f32 v11, v144, v149
	s_set_vgpr_msb 0x45                     ;  msbs: dst=1 src0=1 src1=1 src2=0
	s_delay_alu instid0(VALU_DEP_2) | instskip(SKIP_1) | instid1(VALU_DEP_2)
	v_fmac_f32_e32 v85 /*v341*/, v57 /*v313*/, v60 /*v316*/
	s_set_vgpr_msb 0                        ;  msbs: dst=0 src0=0 src1=0 src2=0
	v_fmac_f32_e32 v11, v145, v148
	s_delay_alu instid0(VALU_DEP_1) | instskip(SKIP_1) | instid1(VALU_DEP_1)
	v_add_f32_e32 v9, v9, v11
	v_mul_f32_e32 v11, v150, v155
	v_fmac_f32_e32 v11, v151, v154
	s_delay_alu instid0(VALU_DEP_1) | instskip(NEXT) | instid1(VALU_DEP_1)
	v_dual_add_f32 v9, v9, v11 :: v_dual_mul_f32 v11, v152, v157
	v_fmac_f32_e32 v11, v153, v156
	s_delay_alu instid0(VALU_DEP_1) | instskip(SKIP_1) | instid1(VALU_DEP_1)
	v_add_f32_e32 v9, v9, v11
	v_mul_f32_e32 v11, v158, v163
	v_fmac_f32_e32 v11, v159, v162
	s_delay_alu instid0(VALU_DEP_1) | instskip(NEXT) | instid1(VALU_DEP_1)
	v_dual_add_f32 v9, v9, v11 :: v_dual_mul_f32 v11, v160, v165
	;; [unrolled: 7-line block ×13, first 2 shown]
	v_fmac_f32_e32 v11, v249, v252
	s_delay_alu instid0(VALU_DEP_1) | instskip(SKIP_2) | instid1(VALU_DEP_1)
	v_add_f32_e32 v9, v9, v11
	s_set_vgpr_msb 4                        ;  msbs: dst=0 src0=0 src1=1 src2=0
	v_mul_f32_e32 v11, v254, v3 /*v259*/
	v_fmac_f32_e32 v11, v255, v2 /*v258*/
	s_set_vgpr_msb 0                        ;  msbs: dst=0 src0=0 src1=0 src2=0
	s_delay_alu instid0(VALU_DEP_1) | instskip(SKIP_2) | instid1(VALU_DEP_1)
	v_add_f32_e32 v9, v9, v11
	s_set_vgpr_msb 5                        ;  msbs: dst=0 src0=1 src1=1 src2=0
	v_mul_f32_e32 v11, v0 /*v256*/, v5 /*v261*/
	v_fmac_f32_e32 v11, v1 /*v257*/, v4 /*v260*/
	s_set_vgpr_msb 0                        ;  msbs: dst=0 src0=0 src1=0 src2=0
	s_delay_alu instid0(VALU_DEP_1) | instskip(SKIP_2) | instid1(VALU_DEP_1)
	v_add_f32_e32 v9, v9, v11
	s_set_vgpr_msb 5                        ;  msbs: dst=0 src0=1 src1=1 src2=0
	v_mul_f32_e32 v11, v6 /*v262*/, v11 /*v267*/
	v_fmac_f32_e32 v11, v7 /*v263*/, v10 /*v266*/
	;; [unrolled: 6-line block ×7, first 2 shown]
	s_set_vgpr_msb 0                        ;  msbs: dst=0 src0=0 src1=0 src2=0
	s_delay_alu instid0(VALU_DEP_1) | instskip(SKIP_3) | instid1(VALU_DEP_1)
	v_add_f32_e32 v9, v9, v11
	s_wait_dscnt 0x1
	s_set_vgpr_msb 5                        ;  msbs: dst=0 src0=1 src1=1 src2=0
	v_mul_f32_e32 v11, v30 /*v286*/, v35 /*v291*/
	v_fmac_f32_e32 v11, v31 /*v287*/, v34 /*v290*/
	s_set_vgpr_msb 0                        ;  msbs: dst=0 src0=0 src1=0 src2=0
	s_delay_alu instid0(VALU_DEP_1) | instskip(SKIP_2) | instid1(VALU_DEP_1)
	v_add_f32_e32 v9, v9, v11
	s_set_vgpr_msb 5                        ;  msbs: dst=0 src0=1 src1=1 src2=0
	v_mul_f32_e32 v11, v32 /*v288*/, v37 /*v293*/
	v_fmac_f32_e32 v11, v33 /*v289*/, v36 /*v292*/
	s_set_vgpr_msb 0                        ;  msbs: dst=0 src0=0 src1=0 src2=0
	s_delay_alu instid0(VALU_DEP_1) | instskip(SKIP_3) | instid1(VALU_DEP_1)
	v_add_f32_e32 v9, v9, v11
	s_wait_dscnt 0x0
	s_set_vgpr_msb 5                        ;  msbs: dst=0 src0=1 src1=1 src2=0
	v_mul_f32_e32 v11, v38 /*v294*/, v43 /*v299*/
	v_fmac_f32_e32 v11, v39 /*v295*/, v42 /*v298*/
	s_set_vgpr_msb 0                        ;  msbs: dst=0 src0=0 src1=0 src2=0
	s_delay_alu instid0(VALU_DEP_1) | instskip(SKIP_2) | instid1(VALU_DEP_1)
	v_add_f32_e32 v9, v9, v11
	s_set_vgpr_msb 5                        ;  msbs: dst=0 src0=1 src1=1 src2=0
	v_mul_f32_e32 v11, v40 /*v296*/, v45 /*v301*/
	v_fmac_f32_e32 v11, v41 /*v297*/, v44 /*v300*/
	s_set_vgpr_msb 0                        ;  msbs: dst=0 src0=0 src1=0 src2=0
	s_delay_alu instid0(VALU_DEP_1) | instskip(SKIP_2) | instid1(VALU_DEP_1)
	v_add_f32_e32 v9, v9, v11
	;; [unrolled: 6-line block ×4, first 2 shown]
	s_set_vgpr_msb 5                        ;  msbs: dst=0 src0=1 src1=1 src2=0
	v_mul_f32_e32 v11, v54 /*v310*/, v59 /*v315*/
	v_fmac_f32_e32 v11, v55 /*v311*/, v58 /*v314*/
	s_set_vgpr_msb 64                       ;  msbs: dst=1 src0=0 src1=0 src2=0
	s_delay_alu instid0(VALU_DEP_1) | instskip(SKIP_2) | instid1(VALU_DEP_1)
	v_add_f32_e32 v83 /*v339*/, v9, v11
	s_set_vgpr_msb 0                        ;  msbs: dst=0 src0=0 src1=0 src2=0
	v_dual_mul_f32 v9, v127, v131 :: v_dual_mul_f32 v11, v129, v133
	v_dual_fma_f32 v9, v126, v130, -v9 :: v_dual_fma_f32 v11, v128, v132, -v11
	s_delay_alu instid0(VALU_DEP_1) | instskip(NEXT) | instid1(VALU_DEP_1)
	v_add_f32_e32 v9, 0, v9
	v_add_f32_e32 v9, v9, v11
	v_mul_f32_e32 v11, v135, v139
	s_delay_alu instid0(VALU_DEP_1) | instskip(NEXT) | instid1(VALU_DEP_1)
	v_fma_f32 v11, v134, v138, -v11
	v_add_f32_e32 v9, v9, v11
	v_mul_f32_e32 v11, v137, v141
	s_delay_alu instid0(VALU_DEP_1)
	v_fma_f32 v11, v136, v140, -v11
	ds_load_2addr_b64 v[126:129], v7 offset0:117 offset1:118
	ds_load_2addr_b64 v[130:133], v7 offset0:119 offset1:120
	;; [unrolled: 1-line block ×3, first 2 shown]
	ds_load_b64 v[138:139], v7 offset:984
	v_add_f32_e32 v9, v9, v11
	v_mul_f32_e32 v11, v143, v147
	s_set_vgpr_msb 1                        ;  msbs: dst=0 src0=1 src1=0 src2=0
	v_mov_b32_e32 v143, v64 /*v320*/
	s_set_vgpr_msb 0                        ;  msbs: dst=0 src0=0 src1=0 src2=0
	s_delay_alu instid0(VALU_DEP_2) | instskip(SKIP_3) | instid1(VALU_DEP_2)
	v_fma_f32 v11, v142, v146, -v11
	s_set_vgpr_msb 1                        ;  msbs: dst=0 src0=1 src1=0 src2=0
	v_mov_b32_e32 v142, v65 /*v321*/
	s_set_vgpr_msb 0                        ;  msbs: dst=0 src0=0 src1=0 src2=0
	v_add_f32_e32 v9, v9, v11
	v_mul_f32_e32 v11, v145, v149
	s_delay_alu instid0(VALU_DEP_1) | instskip(SKIP_3) | instid1(VALU_DEP_2)
	v_fma_f32 v11, v144, v148, -v11
	s_set_vgpr_msb 1                        ;  msbs: dst=0 src0=1 src1=0 src2=0
	v_mov_b32_e32 v144, v69 /*v325*/
	s_set_vgpr_msb 0                        ;  msbs: dst=0 src0=0 src1=0 src2=0
	v_add_f32_e32 v9, v9, v11
	v_mul_f32_e32 v11, v151, v155
	s_delay_alu instid0(VALU_DEP_3) | instskip(NEXT) | instid1(VALU_DEP_2)
	v_pk_mul_f32 v[142:143], v[142:143], v[144:145] op_sel_hi:[1,0]
	v_fma_f32 v11, v150, v154, -v11
	s_set_vgpr_msb 5                        ;  msbs: dst=0 src0=1 src1=1 src2=0
	s_delay_alu instid0(VALU_DEP_2) | instskip(SKIP_3) | instid1(VALU_DEP_2)
	v_pk_fma_f32 v[144:145], v[64:65] /*v[320:321]*/, v[68:69] /*v[324:325]*/, v[142:143] neg_lo:[0,0,1] neg_hi:[0,0,1]
	v_pk_fma_f32 v[142:143], v[64:65] /*v[320:321]*/, v[68:69] /*v[324:325]*/, v[142:143] op_sel_hi:[1,0,1]
	s_set_vgpr_msb 0                        ;  msbs: dst=0 src0=0 src1=0 src2=0
	v_add_f32_e32 v9, v9, v11
	v_dual_mul_f32 v11, v153, v157 :: v_dual_mov_b32 v145, v143
	s_wait_loadcnt_dscnt 0x303
	s_set_vgpr_msb 4                        ;  msbs: dst=0 src0=0 src1=1 src2=0
	v_pk_mul_f32 v[142:143], v[126:127], v[70:71] /*v[326:327]*/ op_sel:[1,1] op_sel_hi:[0,1]
	s_set_vgpr_msb 0                        ;  msbs: dst=0 src0=0 src1=0 src2=0
	v_fma_f32 v11, v152, v156, -v11
	s_delay_alu instid0(VALU_DEP_1) | instskip(SKIP_1) | instid1(VALU_DEP_1)
	v_add_f32_e32 v9, v9, v11
	v_mul_f32_e32 v11, v159, v163
	v_fma_f32 v11, v158, v162, -v11
	s_delay_alu instid0(VALU_DEP_1) | instskip(SKIP_1) | instid1(VALU_DEP_1)
	v_add_f32_e32 v9, v9, v11
	v_mul_f32_e32 v11, v161, v165
	;; [unrolled: 4-line block ×24, first 2 shown]
	v_fma_f32 v11, v248, v252, -v11
	s_delay_alu instid0(VALU_DEP_1) | instskip(SKIP_2) | instid1(VALU_DEP_1)
	v_add_f32_e32 v9, v9, v11
	s_set_vgpr_msb 4                        ;  msbs: dst=0 src0=0 src1=1 src2=0
	v_mul_f32_e32 v11, v255, v3 /*v259*/
	v_fma_f32 v11, v254, v2 /*v258*/, -v11
	s_set_vgpr_msb 0                        ;  msbs: dst=0 src0=0 src1=0 src2=0
	s_delay_alu instid0(VALU_DEP_1) | instskip(SKIP_2) | instid1(VALU_DEP_1)
	v_add_f32_e32 v9, v9, v11
	s_set_vgpr_msb 5                        ;  msbs: dst=0 src0=1 src1=1 src2=0
	v_mul_f32_e32 v11, v1 /*v257*/, v5 /*v261*/
	v_fma_f32 v11, v0 /*v256*/, v4 /*v260*/, -v11
	s_set_vgpr_msb 0                        ;  msbs: dst=0 src0=0 src1=0 src2=0
	s_delay_alu instid0(VALU_DEP_1) | instskip(SKIP_2) | instid1(VALU_DEP_1)
	v_add_f32_e32 v9, v9, v11
	s_set_vgpr_msb 5                        ;  msbs: dst=0 src0=1 src1=1 src2=0
	v_mul_f32_e32 v11, v7 /*v263*/, v11 /*v267*/
	v_fma_f32 v11, v6 /*v262*/, v10 /*v266*/, -v11
	;; [unrolled: 6-line block ×14, first 2 shown]
	s_set_vgpr_msb 64                       ;  msbs: dst=1 src0=0 src1=0 src2=0
	s_delay_alu instid0(VALU_DEP_1) | instskip(SKIP_3) | instid1(VALU_DEP_1)
	v_add_f32_e32 v82 /*v338*/, v9, v11
	s_set_vgpr_msb 5                        ;  msbs: dst=0 src0=1 src1=1 src2=0
	v_mul_f32_e32 v9, v57 /*v313*/, v61 /*v317*/
	s_set_vgpr_msb 0x45                     ;  msbs: dst=1 src0=1 src1=1 src2=0
	v_fma_f32 v84 /*v340*/, v56 /*v312*/, v60 /*v316*/, -v9
	s_set_vgpr_msb 5                        ;  msbs: dst=0 src0=1 src1=1 src2=0
	v_mul_f32_e32 v9, v63 /*v319*/, v67 /*v323*/
	s_set_vgpr_msb 0x45                     ;  msbs: dst=1 src0=1 src1=1 src2=0
	s_delay_alu instid0(VALU_DEP_1) | instskip(SKIP_3) | instid1(VALU_DEP_1)
	v_fma_f32 v86 /*v342*/, v62 /*v318*/, v66 /*v322*/, -v9
	s_set_vgpr_msb 5                        ;  msbs: dst=0 src0=1 src1=1 src2=0
	v_pk_add_f32 v[140:141], v[82:83] /*v[338:339]*/, v[84:85] /*v[340:341]*/
	s_set_vgpr_msb 4                        ;  msbs: dst=0 src0=0 src1=1 src2=0
	v_pk_add_f32 v[140:141], v[140:141], v[86:87] /*v[342:343]*/
	s_set_vgpr_msb 0                        ;  msbs: dst=0 src0=0 src1=0 src2=0
	s_delay_alu instid0(VALU_DEP_1)
	v_pk_add_f32 v[140:141], v[140:141], v[144:145]
	s_set_vgpr_msb 4                        ;  msbs: dst=0 src0=0 src1=1 src2=0
	v_pk_fma_f32 v[144:145], v[126:127], v[70:71] /*v[326:327]*/, v[142:143] neg_lo:[0,0,1] neg_hi:[0,0,1]
	v_pk_fma_f32 v[126:127], v[126:127], v[70:71] /*v[326:327]*/, v[142:143] op_sel_hi:[1,0,1]
	s_set_vgpr_msb 1                        ;  msbs: dst=0 src0=1 src1=0 src2=0
	v_mov_b32_e32 v142, v73 /*v329*/
	s_set_vgpr_msb 0                        ;  msbs: dst=0 src0=0 src1=0 src2=0
	s_delay_alu instid0(VALU_DEP_2) | instskip(NEXT) | instid1(VALU_DEP_1)
	v_mov_b32_e32 v145, v127
	v_pk_add_f32 v[126:127], v[140:141], v[144:145]
	v_dual_mov_b32 v140, v129 :: v_dual_mov_b32 v141, v128
	s_delay_alu instid0(VALU_DEP_1) | instskip(SKIP_1) | instid1(VALU_DEP_1)
	v_pk_mul_f32 v[140:141], v[140:141], v[142:143] op_sel_hi:[1,0]
	s_set_vgpr_msb 4                        ;  msbs: dst=0 src0=0 src1=1 src2=0
	v_pk_fma_f32 v[142:143], v[128:129], v[72:73] /*v[328:329]*/, v[140:141] neg_lo:[0,0,1] neg_hi:[0,0,1]
	v_pk_fma_f32 v[128:129], v[128:129], v[72:73] /*v[328:329]*/, v[140:141] op_sel_hi:[1,0,1]
	s_delay_alu instid0(VALU_DEP_1) | instskip(SKIP_3) | instid1(VALU_DEP_2)
	v_mov_b32_e32 v143, v129
	s_wait_loadcnt_dscnt 0x202
	v_pk_mul_f32 v[128:129], v[130:131], v[74:75] /*v[330:331]*/ op_sel:[1,1] op_sel_hi:[0,1]
	s_set_vgpr_msb 0                        ;  msbs: dst=0 src0=0 src1=0 src2=0
	v_pk_add_f32 v[126:127], v[126:127], v[142:143]
	s_set_vgpr_msb 4                        ;  msbs: dst=0 src0=0 src1=1 src2=0
	s_delay_alu instid0(VALU_DEP_2)
	v_pk_fma_f32 v[140:141], v[130:131], v[74:75] /*v[330:331]*/, v[128:129] neg_lo:[0,0,1] neg_hi:[0,0,1]
	v_pk_fma_f32 v[128:129], v[130:131], v[74:75] /*v[330:331]*/, v[128:129] op_sel_hi:[1,0,1]
	v_mov_b32_e32 v128, v133
	s_set_vgpr_msb 1                        ;  msbs: dst=0 src0=1 src1=0 src2=0
	v_mov_b32_e32 v130, v77 /*v333*/
	s_set_vgpr_msb 0                        ;  msbs: dst=0 src0=0 src1=0 src2=0
	v_dual_mov_b32 v141, v129 :: v_dual_mov_b32 v129, v132
	s_delay_alu instid0(VALU_DEP_1) | instskip(NEXT) | instid1(VALU_DEP_2)
	v_pk_add_f32 v[126:127], v[126:127], v[140:141]
	v_pk_mul_f32 v[128:129], v[128:129], v[130:131] op_sel_hi:[1,0]
	s_set_vgpr_msb 4                        ;  msbs: dst=0 src0=0 src1=1 src2=0
	s_delay_alu instid0(VALU_DEP_1) | instskip(SKIP_1) | instid1(VALU_DEP_1)
	v_pk_fma_f32 v[130:131], v[132:133], v[76:77] /*v[332:333]*/, v[128:129] neg_lo:[0,0,1] neg_hi:[0,0,1]
	v_pk_fma_f32 v[128:129], v[132:133], v[76:77] /*v[332:333]*/, v[128:129] op_sel_hi:[1,0,1]
	v_mov_b32_e32 v131, v129
	s_wait_loadcnt_dscnt 0x101
	v_pk_mul_f32 v[128:129], v[134:135], v[78:79] /*v[334:335]*/ op_sel:[1,1] op_sel_hi:[0,1]
	s_set_vgpr_msb 0                        ;  msbs: dst=0 src0=0 src1=0 src2=0
	s_delay_alu instid0(VALU_DEP_2) | instskip(SKIP_1) | instid1(VALU_DEP_2)
	v_pk_add_f32 v[126:127], v[126:127], v[130:131]
	s_set_vgpr_msb 4                        ;  msbs: dst=0 src0=0 src1=1 src2=0
	v_pk_fma_f32 v[130:131], v[134:135], v[78:79] /*v[334:335]*/, v[128:129] neg_lo:[0,0,1] neg_hi:[0,0,1]
	v_pk_fma_f32 v[128:129], v[134:135], v[78:79] /*v[334:335]*/, v[128:129] op_sel_hi:[1,0,1]
	s_delay_alu instid0(VALU_DEP_1) | instskip(SKIP_2) | instid1(VALU_DEP_2)
	v_dual_mov_b32 v128, v137 :: v_dual_mov_b32 v131, v129
	v_mov_b32_e32 v129, v136
	s_set_vgpr_msb 0                        ;  msbs: dst=0 src0=0 src1=0 src2=0
	v_pk_add_f32 v[126:127], v[126:127], v[130:131]
	s_set_vgpr_msb 1                        ;  msbs: dst=0 src0=1 src1=0 src2=0
	v_mov_b32_e32 v130, v81 /*v337*/
	s_set_vgpr_msb 0                        ;  msbs: dst=0 src0=0 src1=0 src2=0
	s_delay_alu instid0(VALU_DEP_1) | instskip(SKIP_1) | instid1(VALU_DEP_1)
	v_pk_mul_f32 v[128:129], v[128:129], v[130:131] op_sel_hi:[1,0]
	s_set_vgpr_msb 4                        ;  msbs: dst=0 src0=0 src1=1 src2=0
	v_pk_fma_f32 v[130:131], v[136:137], v[80:81] /*v[336:337]*/, v[128:129] neg_lo:[0,0,1] neg_hi:[0,0,1]
	v_pk_fma_f32 v[128:129], v[136:137], v[80:81] /*v[336:337]*/, v[128:129] op_sel_hi:[1,0,1]
	s_delay_alu instid0(VALU_DEP_1) | instskip(SKIP_3) | instid1(VALU_DEP_2)
	v_mov_b32_e32 v131, v129
	s_wait_loadcnt_dscnt 0x0
	v_pk_mul_f32 v[128:129], v[138:139], v[88:89] /*v[344:345]*/ op_sel:[1,1] op_sel_hi:[0,1]
	s_set_vgpr_msb 0                        ;  msbs: dst=0 src0=0 src1=0 src2=0
	v_pk_add_f32 v[126:127], v[126:127], v[130:131]
	s_set_vgpr_msb 4                        ;  msbs: dst=0 src0=0 src1=1 src2=0
	s_delay_alu instid0(VALU_DEP_2) | instskip(SKIP_1) | instid1(VALU_DEP_1)
	v_pk_fma_f32 v[130:131], v[138:139], v[88:89] /*v[344:345]*/, v[128:129] neg_lo:[0,0,1] neg_hi:[0,0,1]
	v_pk_fma_f32 v[128:129], v[138:139], v[88:89] /*v[344:345]*/, v[128:129] op_sel_hi:[1,0,1]
	v_mov_b32_e32 v131, v129
	scratch_load_b64 v[128:129], off, off offset:32
	s_set_vgpr_msb 0                        ;  msbs: dst=0 src0=0 src1=0 src2=0
	v_pk_add_f32 v[126:127], v[126:127], v[130:131]
	s_wait_loadcnt 0x0
	s_delay_alu instid0(VALU_DEP_1)
	v_pk_add_f32 v[126:127], v[128:129], v[126:127] neg_lo:[0,1] neg_hi:[0,1]
	scratch_store_b64 off, v[126:127], off offset:32
	s_wait_xcnt 0x0
	v_cmpx_lt_u32_e32 3, v0
	s_cbranch_execz .LBB61_379
; %bb.378:
	scratch_load_b64 v[126:127], off, off offset:24
	v_mov_b64_e32 v[128:129], 0
	scratch_store_b64 off, v[128:129], off offset:24
	s_wait_loadcnt 0x0
	ds_store_b64 v1, v[126:127]
.LBB61_379:
	s_wait_xcnt 0x0
	s_or_b32 exec_lo, exec_lo, s0
	s_wait_storecnt_dscnt 0x0
	s_barrier_signal -1
	s_barrier_wait -1
	ds_load_b128 v[126:129], v7 offset:528
	ds_load_b128 v[130:133], v7 offset:544
	;; [unrolled: 1-line block ×4, first 2 shown]
	s_clause 0x14
	scratch_load_b128 v[142:145], off, off offset:32
	scratch_load_b128 v[146:149], off, off offset:48
	;; [unrolled: 1-line block ×16, first 2 shown]
	s_set_vgpr_msb 64                       ;  msbs: dst=1 src0=0 src1=0 src2=0
	scratch_load_b128 v[2:5] /*v[258:261]*/, off, off offset:288
	scratch_load_b128 v[10:13] /*v[266:269]*/, off, off offset:304
	;; [unrolled: 1-line block ×4, first 2 shown]
	s_set_vgpr_msb 0                        ;  msbs: dst=0 src0=0 src1=0 src2=0
	ds_load_b128 v[158:161], v7 offset:592
	ds_load_b128 v[166:169], v7 offset:608
	s_set_vgpr_msb 64                       ;  msbs: dst=1 src0=0 src1=0 src2=0
	s_clause 0x1
	scratch_load_b128 v[34:37] /*v[290:293]*/, off, off offset:352
	scratch_load_b128 v[42:45] /*v[298:301]*/, off, off offset:368
	s_set_vgpr_msb 0                        ;  msbs: dst=0 src0=0 src1=0 src2=0
	ds_load_b128 v[174:177], v7 offset:624
	ds_load_b128 v[182:185], v7 offset:640
	s_set_vgpr_msb 64                       ;  msbs: dst=1 src0=0 src1=0 src2=0
	s_clause 0x1
	scratch_load_b128 v[50:53] /*v[306:309]*/, off, off offset:384
	scratch_load_b128 v[58:61] /*v[314:317]*/, off, off offset:400
	s_set_vgpr_msb 0                        ;  msbs: dst=0 src0=0 src1=0 src2=0
	ds_load_b128 v[190:193], v7 offset:656
	ds_load_b128 v[198:201], v7 offset:672
	;; [unrolled: 1-line block ×9, first 2 shown]
	s_set_vgpr_msb 64                       ;  msbs: dst=1 src0=0 src1=0 src2=0
	ds_load_b128 v[6:9] /*v[262:265]*/, v7 offset:800
	ds_load_b128 v[62:65] /*v[318:321]*/, v7 offset:912
	scratch_load_b128 v[66:69] /*v[322:325]*/, off, off offset:416
	ds_load_b128 v[14:17] /*v[270:273]*/, v7 offset:816
	ds_load_b128 v[22:25] /*v[278:281]*/, v7 offset:832
	;; [unrolled: 1-line block ×6, first 2 shown]
	s_clause 0x3
	scratch_load_b128 v[70:73] /*v[326:329]*/, off, off offset:432
	scratch_load_b128 v[74:77] /*v[330:333]*/, off, off offset:448
	;; [unrolled: 1-line block ×4, first 2 shown]
	s_mov_b32 s0, exec_lo
	s_wait_loadcnt_dscnt 0x1c18
	s_set_vgpr_msb 0                        ;  msbs: dst=0 src0=0 src1=0 src2=0
	v_dual_mul_f32 v9, v126, v143 :: v_dual_mul_f32 v11, v128, v145
	s_delay_alu instid0(VALU_DEP_1) | instskip(NEXT) | instid1(VALU_DEP_1)
	v_dual_fmac_f32 v9, v127, v142 :: v_dual_fmac_f32 v11, v129, v144
	v_add_f32_e32 v9, 0, v9
	s_delay_alu instid0(VALU_DEP_1) | instskip(SKIP_2) | instid1(VALU_DEP_1)
	v_add_f32_e32 v9, v9, v11
	s_wait_loadcnt_dscnt 0x1b17
	v_mul_f32_e32 v11, v130, v147
	v_fmac_f32_e32 v11, v131, v146
	s_delay_alu instid0(VALU_DEP_1) | instskip(NEXT) | instid1(VALU_DEP_1)
	v_dual_add_f32 v9, v9, v11 :: v_dual_mul_f32 v11, v132, v149
	v_fmac_f32_e32 v11, v133, v148
	s_delay_alu instid0(VALU_DEP_1)
	v_add_f32_e32 v9, v9, v11
	s_wait_loadcnt_dscnt 0x1a16
	v_mul_f32_e32 v11, v134, v151
	s_wait_loadcnt_dscnt 0x406
	s_set_vgpr_msb 0x45                     ;  msbs: dst=1 src0=1 src1=1 src2=0
	v_dual_mul_f32 v89 /*v345*/, v62 /*v318*/, v67 /*v323*/ :: v_dual_mul_f32 v91 /*v347*/, v64 /*v320*/, v69 /*v325*/
	s_set_vgpr_msb 0                        ;  msbs: dst=0 src0=0 src1=0 src2=0
	v_fmac_f32_e32 v11, v135, v150
	s_set_vgpr_msb 0x45                     ;  msbs: dst=1 src0=1 src1=1 src2=0
	s_delay_alu instid0(VALU_DEP_2) | instskip(SKIP_1) | instid1(VALU_DEP_2)
	v_dual_fmac_f32 v89 /*v345*/, v63 /*v319*/, v66 /*v322*/ :: v_dual_fmac_f32 v91 /*v347*/, v65 /*v321*/, v68 /*v324*/
	s_set_vgpr_msb 0                        ;  msbs: dst=0 src0=0 src1=0 src2=0
	v_dual_add_f32 v9, v9, v11 :: v_dual_mul_f32 v11, v136, v153
	s_delay_alu instid0(VALU_DEP_1) | instskip(NEXT) | instid1(VALU_DEP_1)
	v_fmac_f32_e32 v11, v137, v152
	v_add_f32_e32 v9, v9, v11
	v_mul_f32_e32 v11, v138, v155
	s_delay_alu instid0(VALU_DEP_1) | instskip(NEXT) | instid1(VALU_DEP_1)
	v_fmac_f32_e32 v11, v139, v154
	v_dual_add_f32 v9, v9, v11 :: v_dual_mul_f32 v11, v140, v157
	s_delay_alu instid0(VALU_DEP_1) | instskip(NEXT) | instid1(VALU_DEP_1)
	v_fmac_f32_e32 v11, v141, v156
	v_add_f32_e32 v9, v9, v11
	v_mul_f32_e32 v11, v158, v163
	s_delay_alu instid0(VALU_DEP_1) | instskip(NEXT) | instid1(VALU_DEP_1)
	v_fmac_f32_e32 v11, v159, v162
	;; [unrolled: 7-line block ×13, first 2 shown]
	v_dual_add_f32 v9, v9, v11 :: v_dual_mul_f32 v11, v248, v253
	s_delay_alu instid0(VALU_DEP_1) | instskip(NEXT) | instid1(VALU_DEP_1)
	v_fmac_f32_e32 v11, v249, v252
	v_add_f32_e32 v9, v9, v11
	s_set_vgpr_msb 4                        ;  msbs: dst=0 src0=0 src1=1 src2=0
	v_mul_f32_e32 v11, v254, v3 /*v259*/
	s_delay_alu instid0(VALU_DEP_1) | instskip(SKIP_1) | instid1(VALU_DEP_1)
	v_fmac_f32_e32 v11, v255, v2 /*v258*/
	s_set_vgpr_msb 0                        ;  msbs: dst=0 src0=0 src1=0 src2=0
	v_add_f32_e32 v9, v9, v11
	s_set_vgpr_msb 5                        ;  msbs: dst=0 src0=1 src1=1 src2=0
	v_mul_f32_e32 v11, v0 /*v256*/, v5 /*v261*/
	s_delay_alu instid0(VALU_DEP_1) | instskip(SKIP_1) | instid1(VALU_DEP_1)
	v_fmac_f32_e32 v11, v1 /*v257*/, v4 /*v260*/
	s_set_vgpr_msb 0                        ;  msbs: dst=0 src0=0 src1=0 src2=0
	v_add_f32_e32 v9, v9, v11
	s_set_vgpr_msb 5                        ;  msbs: dst=0 src0=1 src1=1 src2=0
	v_mul_f32_e32 v11, v6 /*v262*/, v11 /*v267*/
	s_delay_alu instid0(VALU_DEP_1) | instskip(SKIP_1) | instid1(VALU_DEP_1)
	v_fmac_f32_e32 v11, v7 /*v263*/, v10 /*v266*/
	;; [unrolled: 6-line block ×3, first 2 shown]
	s_set_vgpr_msb 0                        ;  msbs: dst=0 src0=0 src1=0 src2=0
	v_add_f32_e32 v9, v9, v11
	s_wait_dscnt 0x5
	s_set_vgpr_msb 5                        ;  msbs: dst=0 src0=1 src1=1 src2=0
	v_mul_f32_e32 v11, v14 /*v270*/, v19 /*v275*/
	s_delay_alu instid0(VALU_DEP_1) | instskip(SKIP_1) | instid1(VALU_DEP_1)
	v_fmac_f32_e32 v11, v15 /*v271*/, v18 /*v274*/
	s_set_vgpr_msb 0                        ;  msbs: dst=0 src0=0 src1=0 src2=0
	v_add_f32_e32 v9, v9, v11
	s_set_vgpr_msb 5                        ;  msbs: dst=0 src0=1 src1=1 src2=0
	v_mul_f32_e32 v11, v16 /*v272*/, v21 /*v277*/
	s_delay_alu instid0(VALU_DEP_1) | instskip(SKIP_1) | instid1(VALU_DEP_1)
	v_fmac_f32_e32 v11, v17 /*v273*/, v20 /*v276*/
	s_set_vgpr_msb 0                        ;  msbs: dst=0 src0=0 src1=0 src2=0
	v_add_f32_e32 v9, v9, v11
	s_wait_dscnt 0x4
	s_set_vgpr_msb 5                        ;  msbs: dst=0 src0=1 src1=1 src2=0
	v_mul_f32_e32 v11, v22 /*v278*/, v27 /*v283*/
	s_delay_alu instid0(VALU_DEP_1) | instskip(SKIP_1) | instid1(VALU_DEP_1)
	v_fmac_f32_e32 v11, v23 /*v279*/, v26 /*v282*/
	s_set_vgpr_msb 0                        ;  msbs: dst=0 src0=0 src1=0 src2=0
	v_add_f32_e32 v9, v9, v11
	s_set_vgpr_msb 5                        ;  msbs: dst=0 src0=1 src1=1 src2=0
	v_mul_f32_e32 v11, v24 /*v280*/, v29 /*v285*/
	s_delay_alu instid0(VALU_DEP_1) | instskip(SKIP_1) | instid1(VALU_DEP_1)
	v_fmac_f32_e32 v11, v25 /*v281*/, v28 /*v284*/
	;; [unrolled: 13-line block ×6, first 2 shown]
	s_set_vgpr_msb 64                       ;  msbs: dst=1 src0=0 src1=0 src2=0
	v_add_f32_e32 v87 /*v343*/, v9, v11
	s_set_vgpr_msb 0                        ;  msbs: dst=0 src0=0 src1=0 src2=0
	v_dual_mul_f32 v9, v127, v143 :: v_dual_mul_f32 v11, v129, v145
	s_delay_alu instid0(VALU_DEP_1) | instskip(NEXT) | instid1(VALU_DEP_1)
	v_dual_fma_f32 v9, v126, v142, -v9 :: v_dual_fma_f32 v11, v128, v144, -v11
	v_add_f32_e32 v9, 0, v9
	s_delay_alu instid0(VALU_DEP_1) | instskip(SKIP_1) | instid1(VALU_DEP_1)
	v_add_f32_e32 v9, v9, v11
	v_mul_f32_e32 v11, v131, v147
	v_fma_f32 v11, v130, v146, -v11
	s_delay_alu instid0(VALU_DEP_1) | instskip(SKIP_1) | instid1(VALU_DEP_1)
	v_add_f32_e32 v9, v9, v11
	v_mul_f32_e32 v11, v133, v149
	v_fma_f32 v11, v132, v148, -v11
	;; [unrolled: 4-line block ×6, first 2 shown]
	ds_load_b128 v[126:129], v7 offset:928
	ds_load_b128 v[130:133], v7 offset:944
	;; [unrolled: 1-line block ×4, first 2 shown]
	v_add_f32_e32 v9, v9, v11
	v_mul_f32_e32 v11, v159, v163
	s_delay_alu instid0(VALU_DEP_1) | instskip(NEXT) | instid1(VALU_DEP_1)
	v_fma_f32 v11, v158, v162, -v11
	v_add_f32_e32 v9, v9, v11
	v_mul_f32_e32 v11, v161, v165
	s_wait_loadcnt_dscnt 0x303
	s_set_vgpr_msb 4                        ;  msbs: dst=0 src0=0 src1=1 src2=0
	v_pk_mul_f32 v[144:145], v[126:127], v[70:71] /*v[326:327]*/ op_sel:[1,1] op_sel_hi:[0,1]
	s_set_vgpr_msb 0                        ;  msbs: dst=0 src0=0 src1=0 src2=0
	v_fma_f32 v11, v160, v164, -v11
	s_set_vgpr_msb 4                        ;  msbs: dst=0 src0=0 src1=1 src2=0
	s_delay_alu instid0(VALU_DEP_2)
	v_pk_fma_f32 v[146:147], v[126:127], v[70:71] /*v[326:327]*/, v[144:145] neg_lo:[0,0,1] neg_hi:[0,0,1]
	v_pk_fma_f32 v[126:127], v[126:127], v[70:71] /*v[326:327]*/, v[144:145] op_sel_hi:[1,0,1]
	s_set_vgpr_msb 1                        ;  msbs: dst=0 src0=1 src1=0 src2=0
	v_mov_b32_e32 v144, v73 /*v329*/
	s_set_vgpr_msb 0                        ;  msbs: dst=0 src0=0 src1=0 src2=0
	v_add_f32_e32 v9, v9, v11
	v_mul_f32_e32 v11, v167, v171
	s_delay_alu instid0(VALU_DEP_1) | instskip(NEXT) | instid1(VALU_DEP_1)
	v_dual_mov_b32 v147, v127 :: v_dual_fma_f32 v11, v166, v170, -v11
	v_add_f32_e32 v9, v9, v11
	v_mul_f32_e32 v11, v169, v173
	s_delay_alu instid0(VALU_DEP_1) | instskip(NEXT) | instid1(VALU_DEP_1)
	v_fma_f32 v11, v168, v172, -v11
	v_add_f32_e32 v9, v9, v11
	v_mul_f32_e32 v11, v175, v179
	s_delay_alu instid0(VALU_DEP_1) | instskip(NEXT) | instid1(VALU_DEP_1)
	v_fma_f32 v11, v174, v178, -v11
	;; [unrolled: 4-line block ×21, first 2 shown]
	v_add_f32_e32 v9, v9, v11
	s_set_vgpr_msb 4                        ;  msbs: dst=0 src0=0 src1=1 src2=0
	v_mul_f32_e32 v11, v255, v3 /*v259*/
	s_delay_alu instid0(VALU_DEP_1) | instskip(SKIP_1) | instid1(VALU_DEP_1)
	v_fma_f32 v11, v254, v2 /*v258*/, -v11
	s_set_vgpr_msb 0                        ;  msbs: dst=0 src0=0 src1=0 src2=0
	v_add_f32_e32 v9, v9, v11
	s_set_vgpr_msb 5                        ;  msbs: dst=0 src0=1 src1=1 src2=0
	v_mul_f32_e32 v11, v1 /*v257*/, v5 /*v261*/
	s_delay_alu instid0(VALU_DEP_1) | instskip(SKIP_1) | instid1(VALU_DEP_1)
	v_fma_f32 v11, v0 /*v256*/, v4 /*v260*/, -v11
	s_set_vgpr_msb 0                        ;  msbs: dst=0 src0=0 src1=0 src2=0
	v_add_f32_e32 v9, v9, v11
	s_set_vgpr_msb 5                        ;  msbs: dst=0 src0=1 src1=1 src2=0
	v_mul_f32_e32 v11, v7 /*v263*/, v11 /*v267*/
	s_delay_alu instid0(VALU_DEP_1) | instskip(SKIP_1) | instid1(VALU_DEP_1)
	v_fma_f32 v11, v6 /*v262*/, v10 /*v266*/, -v11
	;; [unrolled: 6-line block ×15, first 2 shown]
	s_set_vgpr_msb 64                       ;  msbs: dst=1 src0=0 src1=0 src2=0
	v_add_f32_e32 v86 /*v342*/, v9, v11
	s_set_vgpr_msb 5                        ;  msbs: dst=0 src0=1 src1=1 src2=0
	v_mul_f32_e32 v9, v63 /*v319*/, v67 /*v323*/
	s_set_vgpr_msb 0x45                     ;  msbs: dst=1 src0=1 src1=1 src2=0
	s_delay_alu instid0(VALU_DEP_1) | instskip(SKIP_3) | instid1(VALU_DEP_1)
	v_fma_f32 v88 /*v344*/, v62 /*v318*/, v66 /*v322*/, -v9
	s_set_vgpr_msb 5                        ;  msbs: dst=0 src0=1 src1=1 src2=0
	v_mul_f32_e32 v9, v65 /*v321*/, v69 /*v325*/
	s_set_vgpr_msb 0x45                     ;  msbs: dst=1 src0=1 src1=1 src2=0
	v_fma_f32 v90 /*v346*/, v64 /*v320*/, v68 /*v324*/, -v9
	s_set_vgpr_msb 5                        ;  msbs: dst=0 src0=1 src1=1 src2=0
	v_pk_add_f32 v[142:143], v[86:87] /*v[342:343]*/, v[88:89] /*v[344:345]*/
	s_set_vgpr_msb 4                        ;  msbs: dst=0 src0=0 src1=1 src2=0
	s_delay_alu instid0(VALU_DEP_1) | instskip(SKIP_1) | instid1(VALU_DEP_1)
	v_pk_add_f32 v[142:143], v[142:143], v[90:91] /*v[346:347]*/
	s_set_vgpr_msb 0                        ;  msbs: dst=0 src0=0 src1=0 src2=0
	v_pk_add_f32 v[126:127], v[142:143], v[146:147]
	v_dual_mov_b32 v142, v129 :: v_dual_mov_b32 v143, v128
	s_delay_alu instid0(VALU_DEP_1) | instskip(SKIP_1) | instid1(VALU_DEP_1)
	v_pk_mul_f32 v[142:143], v[142:143], v[144:145] op_sel_hi:[1,0]
	s_set_vgpr_msb 4                        ;  msbs: dst=0 src0=0 src1=1 src2=0
	v_pk_fma_f32 v[144:145], v[128:129], v[72:73] /*v[328:329]*/, v[142:143] neg_lo:[0,0,1] neg_hi:[0,0,1]
	v_pk_fma_f32 v[128:129], v[128:129], v[72:73] /*v[328:329]*/, v[142:143] op_sel_hi:[1,0,1]
	s_delay_alu instid0(VALU_DEP_1) | instskip(SKIP_3) | instid1(VALU_DEP_2)
	v_mov_b32_e32 v145, v129
	s_wait_loadcnt_dscnt 0x202
	v_pk_mul_f32 v[128:129], v[130:131], v[74:75] /*v[330:331]*/ op_sel:[1,1] op_sel_hi:[0,1]
	s_set_vgpr_msb 0                        ;  msbs: dst=0 src0=0 src1=0 src2=0
	v_pk_add_f32 v[126:127], v[126:127], v[144:145]
	s_set_vgpr_msb 4                        ;  msbs: dst=0 src0=0 src1=1 src2=0
	s_delay_alu instid0(VALU_DEP_2)
	v_pk_fma_f32 v[142:143], v[130:131], v[74:75] /*v[330:331]*/, v[128:129] neg_lo:[0,0,1] neg_hi:[0,0,1]
	v_pk_fma_f32 v[128:129], v[130:131], v[74:75] /*v[330:331]*/, v[128:129] op_sel_hi:[1,0,1]
	v_mov_b32_e32 v128, v133
	s_set_vgpr_msb 1                        ;  msbs: dst=0 src0=1 src1=0 src2=0
	v_mov_b32_e32 v130, v77 /*v333*/
	s_set_vgpr_msb 0                        ;  msbs: dst=0 src0=0 src1=0 src2=0
	v_dual_mov_b32 v143, v129 :: v_dual_mov_b32 v129, v132
	s_delay_alu instid0(VALU_DEP_1) | instskip(NEXT) | instid1(VALU_DEP_2)
	v_pk_add_f32 v[126:127], v[126:127], v[142:143]
	v_pk_mul_f32 v[128:129], v[128:129], v[130:131] op_sel_hi:[1,0]
	s_set_vgpr_msb 4                        ;  msbs: dst=0 src0=0 src1=1 src2=0
	s_delay_alu instid0(VALU_DEP_1) | instskip(SKIP_1) | instid1(VALU_DEP_1)
	v_pk_fma_f32 v[130:131], v[132:133], v[76:77] /*v[332:333]*/, v[128:129] neg_lo:[0,0,1] neg_hi:[0,0,1]
	v_pk_fma_f32 v[128:129], v[132:133], v[76:77] /*v[332:333]*/, v[128:129] op_sel_hi:[1,0,1]
	v_mov_b32_e32 v131, v129
	s_wait_loadcnt_dscnt 0x101
	v_pk_mul_f32 v[128:129], v[134:135], v[78:79] /*v[334:335]*/ op_sel:[1,1] op_sel_hi:[0,1]
	s_set_vgpr_msb 0                        ;  msbs: dst=0 src0=0 src1=0 src2=0
	s_delay_alu instid0(VALU_DEP_2) | instskip(SKIP_1) | instid1(VALU_DEP_2)
	v_pk_add_f32 v[126:127], v[126:127], v[130:131]
	s_set_vgpr_msb 4                        ;  msbs: dst=0 src0=0 src1=1 src2=0
	v_pk_fma_f32 v[130:131], v[134:135], v[78:79] /*v[334:335]*/, v[128:129] neg_lo:[0,0,1] neg_hi:[0,0,1]
	v_pk_fma_f32 v[128:129], v[134:135], v[78:79] /*v[334:335]*/, v[128:129] op_sel_hi:[1,0,1]
	s_delay_alu instid0(VALU_DEP_1) | instskip(SKIP_2) | instid1(VALU_DEP_2)
	v_dual_mov_b32 v128, v137 :: v_dual_mov_b32 v131, v129
	v_mov_b32_e32 v129, v136
	s_set_vgpr_msb 0                        ;  msbs: dst=0 src0=0 src1=0 src2=0
	v_pk_add_f32 v[126:127], v[126:127], v[130:131]
	s_set_vgpr_msb 1                        ;  msbs: dst=0 src0=1 src1=0 src2=0
	v_mov_b32_e32 v130, v81 /*v337*/
	s_set_vgpr_msb 0                        ;  msbs: dst=0 src0=0 src1=0 src2=0
	s_delay_alu instid0(VALU_DEP_1) | instskip(SKIP_1) | instid1(VALU_DEP_1)
	v_pk_mul_f32 v[128:129], v[128:129], v[130:131] op_sel_hi:[1,0]
	s_set_vgpr_msb 4                        ;  msbs: dst=0 src0=0 src1=1 src2=0
	v_pk_fma_f32 v[130:131], v[136:137], v[80:81] /*v[336:337]*/, v[128:129] neg_lo:[0,0,1] neg_hi:[0,0,1]
	v_pk_fma_f32 v[128:129], v[136:137], v[80:81] /*v[336:337]*/, v[128:129] op_sel_hi:[1,0,1]
	s_delay_alu instid0(VALU_DEP_1) | instskip(SKIP_3) | instid1(VALU_DEP_2)
	v_mov_b32_e32 v131, v129
	s_wait_loadcnt_dscnt 0x0
	v_pk_mul_f32 v[128:129], v[138:139], v[82:83] /*v[338:339]*/ op_sel:[1,1] op_sel_hi:[0,1]
	s_set_vgpr_msb 0                        ;  msbs: dst=0 src0=0 src1=0 src2=0
	v_pk_add_f32 v[126:127], v[126:127], v[130:131]
	s_set_vgpr_msb 4                        ;  msbs: dst=0 src0=0 src1=1 src2=0
	s_delay_alu instid0(VALU_DEP_2) | instskip(SKIP_1) | instid1(VALU_DEP_1)
	v_pk_fma_f32 v[130:131], v[138:139], v[82:83] /*v[338:339]*/, v[128:129] neg_lo:[0,0,1] neg_hi:[0,0,1]
	v_pk_fma_f32 v[128:129], v[138:139], v[82:83] /*v[338:339]*/, v[128:129] op_sel_hi:[1,0,1]
	v_dual_mov_b32 v128, v141 :: v_dual_mov_b32 v131, v129
	v_mov_b32_e32 v129, v140
	s_set_vgpr_msb 0                        ;  msbs: dst=0 src0=0 src1=0 src2=0
	s_delay_alu instid0(VALU_DEP_2) | instskip(SKIP_3) | instid1(VALU_DEP_1)
	v_pk_add_f32 v[126:127], v[126:127], v[130:131]
	s_set_vgpr_msb 1                        ;  msbs: dst=0 src0=1 src1=0 src2=0
	v_mov_b32_e32 v130, v85 /*v341*/
	s_set_vgpr_msb 0                        ;  msbs: dst=0 src0=0 src1=0 src2=0
	v_pk_mul_f32 v[128:129], v[128:129], v[130:131] op_sel_hi:[1,0]
	s_set_vgpr_msb 4                        ;  msbs: dst=0 src0=0 src1=1 src2=0
	s_delay_alu instid0(VALU_DEP_1) | instskip(SKIP_1) | instid1(VALU_DEP_1)
	v_pk_fma_f32 v[130:131], v[140:141], v[84:85] /*v[340:341]*/, v[128:129] neg_lo:[0,0,1] neg_hi:[0,0,1]
	v_pk_fma_f32 v[128:129], v[140:141], v[84:85] /*v[340:341]*/, v[128:129] op_sel_hi:[1,0,1]
	v_mov_b32_e32 v131, v129
	scratch_load_b64 v[128:129], off, off offset:24
	s_set_vgpr_msb 0                        ;  msbs: dst=0 src0=0 src1=0 src2=0
	v_pk_add_f32 v[126:127], v[126:127], v[130:131]
	s_wait_loadcnt 0x0
	s_delay_alu instid0(VALU_DEP_1)
	v_pk_add_f32 v[126:127], v[128:129], v[126:127] neg_lo:[0,1] neg_hi:[0,1]
	scratch_store_b64 off, v[126:127], off offset:24
	s_wait_xcnt 0x0
	v_cmpx_lt_u32_e32 2, v0
	s_cbranch_execz .LBB61_381
; %bb.380:
	scratch_load_b64 v[126:127], off, off offset:16
	v_mov_b64_e32 v[128:129], 0
	scratch_store_b64 off, v[128:129], off offset:16
	s_wait_loadcnt 0x0
	ds_store_b64 v1, v[126:127]
.LBB61_381:
	s_wait_xcnt 0x0
	s_or_b32 exec_lo, exec_lo, s0
	s_wait_storecnt_dscnt 0x0
	s_barrier_signal -1
	s_barrier_wait -1
	s_clause 0xf
	scratch_load_b128 v[130:133], off, off offset:24
	scratch_load_b128 v[138:141], off, off offset:40
	;; [unrolled: 1-line block ×16, first 2 shown]
	v_mov_b32_e32 v105, 0
	s_set_vgpr_msb 64                       ;  msbs: dst=1 src0=0 src1=0 src2=0
	s_clause 0x3
	scratch_load_b128 v[2:5] /*v[258:261]*/, off, off offset:280
	scratch_load_b128 v[10:13] /*v[266:269]*/, off, off offset:296
	;; [unrolled: 1-line block ×4, first 2 shown]
	s_set_vgpr_msb 0                        ;  msbs: dst=0 src0=0 src1=0 src2=0
	ds_load_2addr_b64 v[126:129], v105 offset0:65 offset1:66
	ds_load_2addr_b64 v[134:137], v105 offset0:67 offset1:68
	s_set_vgpr_msb 64                       ;  msbs: dst=1 src0=0 src1=0 src2=0
	s_clause 0x5
	scratch_load_b128 v[34:37] /*v[290:293]*/, off, off offset:344
	scratch_load_b128 v[42:45] /*v[298:301]*/, off, off offset:360
	;; [unrolled: 1-line block ×6, first 2 shown]
	s_mov_b32 s0, exec_lo
	s_wait_loadcnt_dscnt 0x1901
	s_set_vgpr_msb 0                        ;  msbs: dst=0 src0=0 src1=0 src2=0
	v_dual_mul_f32 v7, v126, v131 :: v_dual_mul_f32 v9, v128, v133
	ds_load_2addr_b64 v[142:145], v105 offset0:69 offset1:70
	ds_load_2addr_b64 v[150:153], v105 offset0:71 offset1:72
	;; [unrolled: 1-line block ×4, first 2 shown]
	v_dual_fmac_f32 v7, v127, v130 :: v_dual_fmac_f32 v9, v129, v132
	ds_load_2addr_b64 v[174:177], v105 offset0:77 offset1:78
	ds_load_2addr_b64 v[182:185], v105 offset0:79 offset1:80
	;; [unrolled: 1-line block ×4, first 2 shown]
	v_add_f32_e32 v7, 0, v7
	ds_load_2addr_b64 v[206:209], v105 offset0:85 offset1:86
	ds_load_2addr_b64 v[214:217], v105 offset0:87 offset1:88
	ds_load_2addr_b64 v[222:225], v105 offset0:89 offset1:90
	ds_load_2addr_b64 v[230:233], v105 offset0:91 offset1:92
	s_wait_loadcnt_dscnt 0x180c
	v_dual_add_f32 v7, v7, v9 :: v_dual_mul_f32 v9, v134, v139
	ds_load_2addr_b64 v[238:241], v105 offset0:93 offset1:94
	ds_load_2addr_b64 v[246:249], v105 offset0:95 offset1:96
	;; [unrolled: 1-line block ×3, first 2 shown]
	s_set_vgpr_msb 64                       ;  msbs: dst=1 src0=0 src1=0 src2=0
	ds_load_2addr_b64 v[6:9] /*v[262:265]*/, v105 offset0:99 offset1:100
	s_set_vgpr_msb 0                        ;  msbs: dst=0 src0=0 src1=0 src2=0
	v_fmac_f32_e32 v9, v135, v138
	s_set_vgpr_msb 64                       ;  msbs: dst=1 src0=0 src1=0 src2=0
	ds_load_2addr_b64 v[62:65] /*v[318:321]*/, v105 offset0:113 offset1:114
	ds_load_2addr_b64 v[70:73] /*v[326:329]*/, v105 offset0:115 offset1:116
	;; [unrolled: 1-line block ×4, first 2 shown]
	s_set_vgpr_msb 0                        ;  msbs: dst=0 src0=0 src1=0 src2=0
	v_add_f32_e32 v7, v7, v9
	v_mul_f32_e32 v9, v136, v141
	s_set_vgpr_msb 64                       ;  msbs: dst=1 src0=0 src1=0 src2=0
	ds_load_2addr_b64 v[30:33] /*v[286:289]*/, v105 offset0:105 offset1:106
	ds_load_2addr_b64 v[38:41] /*v[294:297]*/, v105 offset0:107 offset1:108
	;; [unrolled: 1-line block ×4, first 2 shown]
	s_set_vgpr_msb 0                        ;  msbs: dst=0 src0=0 src1=0 src2=0
	v_fmac_f32_e32 v9, v137, v140
	s_set_vgpr_msb 64                       ;  msbs: dst=1 src0=0 src1=0 src2=0
	s_clause 0x3
	scratch_load_b128 v[78:81] /*v[334:337]*/, off, off offset:440
	scratch_load_b128 v[82:85] /*v[338:341]*/, off, off offset:456
	;; [unrolled: 1-line block ×3, first 2 shown]
	scratch_load_b64 v[96:97] /*v[352:353]*/, off, off offset:488
	s_wait_loadcnt_dscnt 0x1b17
	s_set_vgpr_msb 0                        ;  msbs: dst=0 src0=0 src1=0 src2=0
	v_dual_add_f32 v7, v7, v9 :: v_dual_mul_f32 v9, v142, v147
	s_wait_loadcnt_dscnt 0x406
	s_set_vgpr_msb 0x45                     ;  msbs: dst=1 src0=1 src1=1 src2=0
	v_dual_mul_f32 v93 /*v349*/, v64 /*v320*/, v69 /*v325*/ :: v_dual_mul_f32 v95 /*v351*/, v70 /*v326*/, v75 /*v331*/
	s_set_vgpr_msb 0                        ;  msbs: dst=0 src0=0 src1=0 src2=0
	v_fmac_f32_e32 v9, v143, v146
	s_set_vgpr_msb 0x45                     ;  msbs: dst=1 src0=1 src1=1 src2=0
	s_delay_alu instid0(VALU_DEP_2) | instskip(SKIP_1) | instid1(VALU_DEP_2)
	v_dual_fmac_f32 v93 /*v349*/, v65 /*v321*/, v68 /*v324*/ :: v_dual_fmac_f32 v95 /*v351*/, v71 /*v327*/, v74 /*v330*/
	s_set_vgpr_msb 0                        ;  msbs: dst=0 src0=0 src1=0 src2=0
	v_add_f32_e32 v7, v7, v9
	v_mul_f32_e32 v9, v144, v149
	s_delay_alu instid0(VALU_DEP_1) | instskip(NEXT) | instid1(VALU_DEP_1)
	v_fmac_f32_e32 v9, v145, v148
	v_dual_add_f32 v7, v7, v9 :: v_dual_mul_f32 v9, v150, v155
	s_delay_alu instid0(VALU_DEP_1) | instskip(NEXT) | instid1(VALU_DEP_1)
	v_fmac_f32_e32 v9, v151, v154
	v_add_f32_e32 v7, v7, v9
	v_mul_f32_e32 v9, v152, v157
	s_delay_alu instid0(VALU_DEP_1) | instskip(NEXT) | instid1(VALU_DEP_1)
	v_fmac_f32_e32 v9, v153, v156
	v_dual_add_f32 v7, v7, v9 :: v_dual_mul_f32 v9, v158, v163
	s_delay_alu instid0(VALU_DEP_1) | instskip(NEXT) | instid1(VALU_DEP_1)
	v_fmac_f32_e32 v9, v159, v162
	;; [unrolled: 7-line block ×13, first 2 shown]
	v_add_f32_e32 v7, v7, v9
	v_mul_f32_e32 v9, v248, v253
	s_delay_alu instid0(VALU_DEP_1) | instskip(NEXT) | instid1(VALU_DEP_1)
	v_fmac_f32_e32 v9, v249, v252
	v_add_f32_e32 v7, v7, v9
	s_set_vgpr_msb 4                        ;  msbs: dst=0 src0=0 src1=1 src2=0
	v_mul_f32_e32 v9, v254, v3 /*v259*/
	s_delay_alu instid0(VALU_DEP_1) | instskip(SKIP_1) | instid1(VALU_DEP_1)
	v_fmac_f32_e32 v9, v255, v2 /*v258*/
	s_set_vgpr_msb 0                        ;  msbs: dst=0 src0=0 src1=0 src2=0
	v_add_f32_e32 v7, v7, v9
	s_set_vgpr_msb 5                        ;  msbs: dst=0 src0=1 src1=1 src2=0
	v_mul_f32_e32 v9, v0 /*v256*/, v5 /*v261*/
	s_delay_alu instid0(VALU_DEP_1) | instskip(SKIP_1) | instid1(VALU_DEP_1)
	v_fmac_f32_e32 v9, v1 /*v257*/, v4 /*v260*/
	s_set_vgpr_msb 0                        ;  msbs: dst=0 src0=0 src1=0 src2=0
	v_add_f32_e32 v7, v7, v9
	s_set_vgpr_msb 5                        ;  msbs: dst=0 src0=1 src1=1 src2=0
	v_mul_f32_e32 v9, v6 /*v262*/, v11 /*v267*/
	s_delay_alu instid0(VALU_DEP_1) | instskip(SKIP_1) | instid1(VALU_DEP_1)
	v_fmac_f32_e32 v9, v7 /*v263*/, v10 /*v266*/
	;; [unrolled: 6-line block ×3, first 2 shown]
	s_set_vgpr_msb 0                        ;  msbs: dst=0 src0=0 src1=0 src2=0
	v_add_f32_e32 v7, v7, v9
	s_wait_dscnt 0x5
	s_set_vgpr_msb 5                        ;  msbs: dst=0 src0=1 src1=1 src2=0
	v_mul_f32_e32 v9, v14 /*v270*/, v19 /*v275*/
	s_delay_alu instid0(VALU_DEP_1) | instskip(SKIP_1) | instid1(VALU_DEP_1)
	v_fmac_f32_e32 v9, v15 /*v271*/, v18 /*v274*/
	s_set_vgpr_msb 0                        ;  msbs: dst=0 src0=0 src1=0 src2=0
	v_add_f32_e32 v7, v7, v9
	s_set_vgpr_msb 5                        ;  msbs: dst=0 src0=1 src1=1 src2=0
	v_mul_f32_e32 v9, v16 /*v272*/, v21 /*v277*/
	s_delay_alu instid0(VALU_DEP_1) | instskip(SKIP_1) | instid1(VALU_DEP_1)
	v_fmac_f32_e32 v9, v17 /*v273*/, v20 /*v276*/
	s_set_vgpr_msb 0                        ;  msbs: dst=0 src0=0 src1=0 src2=0
	v_add_f32_e32 v7, v7, v9
	s_wait_dscnt 0x4
	s_set_vgpr_msb 5                        ;  msbs: dst=0 src0=1 src1=1 src2=0
	v_mul_f32_e32 v9, v22 /*v278*/, v27 /*v283*/
	s_delay_alu instid0(VALU_DEP_1) | instskip(SKIP_1) | instid1(VALU_DEP_1)
	v_fmac_f32_e32 v9, v23 /*v279*/, v26 /*v282*/
	s_set_vgpr_msb 0                        ;  msbs: dst=0 src0=0 src1=0 src2=0
	v_add_f32_e32 v7, v7, v9
	s_set_vgpr_msb 5                        ;  msbs: dst=0 src0=1 src1=1 src2=0
	v_mul_f32_e32 v9, v24 /*v280*/, v29 /*v285*/
	s_delay_alu instid0(VALU_DEP_1) | instskip(SKIP_1) | instid1(VALU_DEP_1)
	v_fmac_f32_e32 v9, v25 /*v281*/, v28 /*v284*/
	;; [unrolled: 13-line block ×6, first 2 shown]
	s_set_vgpr_msb 0                        ;  msbs: dst=0 src0=0 src1=0 src2=0
	v_add_f32_e32 v7, v7, v9
	s_set_vgpr_msb 5                        ;  msbs: dst=0 src0=1 src1=1 src2=0
	v_mul_f32_e32 v9, v62 /*v318*/, v67 /*v323*/
	s_delay_alu instid0(VALU_DEP_1) | instskip(SKIP_1) | instid1(VALU_DEP_1)
	v_fmac_f32_e32 v9, v63 /*v319*/, v66 /*v322*/
	s_set_vgpr_msb 64                       ;  msbs: dst=1 src0=0 src1=0 src2=0
	v_add_f32_e32 v91 /*v347*/, v7, v9
	s_set_vgpr_msb 0                        ;  msbs: dst=0 src0=0 src1=0 src2=0
	v_dual_mul_f32 v7, v127, v131 :: v_dual_mul_f32 v9, v129, v133
	s_delay_alu instid0(VALU_DEP_1) | instskip(NEXT) | instid1(VALU_DEP_1)
	v_dual_fma_f32 v7, v126, v130, -v7 :: v_dual_fma_f32 v9, v128, v132, -v9
	v_add_f32_e32 v7, 0, v7
	s_delay_alu instid0(VALU_DEP_1) | instskip(SKIP_1) | instid1(VALU_DEP_1)
	v_add_f32_e32 v7, v7, v9
	v_mul_f32_e32 v9, v135, v139
	v_fma_f32 v9, v134, v138, -v9
	s_delay_alu instid0(VALU_DEP_1) | instskip(SKIP_1) | instid1(VALU_DEP_1)
	v_add_f32_e32 v7, v7, v9
	v_mul_f32_e32 v9, v137, v141
	v_fma_f32 v9, v136, v140, -v9
	ds_load_2addr_b64 v[126:129], v105 offset0:117 offset1:118
	ds_load_2addr_b64 v[130:133], v105 offset0:119 offset1:120
	;; [unrolled: 1-line block ×3, first 2 shown]
	ds_load_b64 v[138:139], v105 offset:984
	v_add_f32_e32 v7, v7, v9
	v_mul_f32_e32 v9, v143, v147
	s_set_vgpr_msb 1                        ;  msbs: dst=0 src0=1 src1=0 src2=0
	v_mov_b32_e32 v143, v72 /*v328*/
	s_set_vgpr_msb 0                        ;  msbs: dst=0 src0=0 src1=0 src2=0
	s_delay_alu instid0(VALU_DEP_2) | instskip(SKIP_3) | instid1(VALU_DEP_2)
	v_fma_f32 v9, v142, v146, -v9
	s_set_vgpr_msb 1                        ;  msbs: dst=0 src0=1 src1=0 src2=0
	v_mov_b32_e32 v142, v73 /*v329*/
	s_set_vgpr_msb 0                        ;  msbs: dst=0 src0=0 src1=0 src2=0
	v_add_f32_e32 v7, v7, v9
	v_mul_f32_e32 v9, v145, v149
	s_delay_alu instid0(VALU_DEP_1) | instskip(SKIP_3) | instid1(VALU_DEP_2)
	v_fma_f32 v9, v144, v148, -v9
	s_set_vgpr_msb 1                        ;  msbs: dst=0 src0=1 src1=0 src2=0
	v_mov_b32_e32 v144, v77 /*v333*/
	s_set_vgpr_msb 0                        ;  msbs: dst=0 src0=0 src1=0 src2=0
	v_add_f32_e32 v7, v7, v9
	v_mul_f32_e32 v9, v151, v155
	s_delay_alu instid0(VALU_DEP_3) | instskip(NEXT) | instid1(VALU_DEP_2)
	v_pk_mul_f32 v[142:143], v[142:143], v[144:145] op_sel_hi:[1,0]
	v_fma_f32 v9, v150, v154, -v9
	s_set_vgpr_msb 5                        ;  msbs: dst=0 src0=1 src1=1 src2=0
	s_delay_alu instid0(VALU_DEP_2) | instskip(SKIP_3) | instid1(VALU_DEP_2)
	v_pk_fma_f32 v[144:145], v[72:73] /*v[328:329]*/, v[76:77] /*v[332:333]*/, v[142:143] neg_lo:[0,0,1] neg_hi:[0,0,1]
	v_pk_fma_f32 v[142:143], v[72:73] /*v[328:329]*/, v[76:77] /*v[332:333]*/, v[142:143] op_sel_hi:[1,0,1]
	s_set_vgpr_msb 0                        ;  msbs: dst=0 src0=0 src1=0 src2=0
	v_add_f32_e32 v7, v7, v9
	v_dual_mul_f32 v9, v153, v157 :: v_dual_mov_b32 v145, v143
	s_wait_loadcnt_dscnt 0x303
	s_set_vgpr_msb 4                        ;  msbs: dst=0 src0=0 src1=1 src2=0
	v_pk_mul_f32 v[142:143], v[126:127], v[78:79] /*v[334:335]*/ op_sel:[1,1] op_sel_hi:[0,1]
	s_set_vgpr_msb 0                        ;  msbs: dst=0 src0=0 src1=0 src2=0
	v_fma_f32 v9, v152, v156, -v9
	s_delay_alu instid0(VALU_DEP_1) | instskip(SKIP_1) | instid1(VALU_DEP_1)
	v_add_f32_e32 v7, v7, v9
	v_mul_f32_e32 v9, v159, v163
	v_fma_f32 v9, v158, v162, -v9
	s_delay_alu instid0(VALU_DEP_1) | instskip(SKIP_1) | instid1(VALU_DEP_1)
	v_add_f32_e32 v7, v7, v9
	v_mul_f32_e32 v9, v161, v165
	;; [unrolled: 4-line block ×24, first 2 shown]
	v_fma_f32 v9, v248, v252, -v9
	s_delay_alu instid0(VALU_DEP_1) | instskip(SKIP_2) | instid1(VALU_DEP_1)
	v_add_f32_e32 v7, v7, v9
	s_set_vgpr_msb 4                        ;  msbs: dst=0 src0=0 src1=1 src2=0
	v_mul_f32_e32 v9, v255, v3 /*v259*/
	v_fma_f32 v9, v254, v2 /*v258*/, -v9
	s_set_vgpr_msb 0                        ;  msbs: dst=0 src0=0 src1=0 src2=0
	s_delay_alu instid0(VALU_DEP_1) | instskip(SKIP_2) | instid1(VALU_DEP_1)
	v_add_f32_e32 v7, v7, v9
	s_set_vgpr_msb 5                        ;  msbs: dst=0 src0=1 src1=1 src2=0
	v_mul_f32_e32 v9, v1 /*v257*/, v5 /*v261*/
	v_fma_f32 v9, v0 /*v256*/, v4 /*v260*/, -v9
	s_set_vgpr_msb 0                        ;  msbs: dst=0 src0=0 src1=0 src2=0
	s_delay_alu instid0(VALU_DEP_1) | instskip(SKIP_2) | instid1(VALU_DEP_1)
	v_add_f32_e32 v7, v7, v9
	s_set_vgpr_msb 5                        ;  msbs: dst=0 src0=1 src1=1 src2=0
	v_mul_f32_e32 v9, v7 /*v263*/, v11 /*v267*/
	v_fma_f32 v9, v6 /*v262*/, v10 /*v266*/, -v9
	;; [unrolled: 6-line block ×16, first 2 shown]
	s_set_vgpr_msb 64                       ;  msbs: dst=1 src0=0 src1=0 src2=0
	s_delay_alu instid0(VALU_DEP_1) | instskip(SKIP_3) | instid1(VALU_DEP_1)
	v_add_f32_e32 v90 /*v346*/, v7, v9
	s_set_vgpr_msb 5                        ;  msbs: dst=0 src0=1 src1=1 src2=0
	v_mul_f32_e32 v7, v65 /*v321*/, v69 /*v325*/
	s_set_vgpr_msb 0x45                     ;  msbs: dst=1 src0=1 src1=1 src2=0
	v_fma_f32 v92 /*v348*/, v64 /*v320*/, v68 /*v324*/, -v7
	s_set_vgpr_msb 5                        ;  msbs: dst=0 src0=1 src1=1 src2=0
	v_mul_f32_e32 v7, v71 /*v327*/, v75 /*v331*/
	s_set_vgpr_msb 0x45                     ;  msbs: dst=1 src0=1 src1=1 src2=0
	s_delay_alu instid0(VALU_DEP_1) | instskip(SKIP_3) | instid1(VALU_DEP_1)
	v_fma_f32 v94 /*v350*/, v70 /*v326*/, v74 /*v330*/, -v7
	s_set_vgpr_msb 5                        ;  msbs: dst=0 src0=1 src1=1 src2=0
	v_pk_add_f32 v[140:141], v[90:91] /*v[346:347]*/, v[92:93] /*v[348:349]*/
	s_set_vgpr_msb 4                        ;  msbs: dst=0 src0=0 src1=1 src2=0
	v_pk_add_f32 v[140:141], v[140:141], v[94:95] /*v[350:351]*/
	s_set_vgpr_msb 0                        ;  msbs: dst=0 src0=0 src1=0 src2=0
	s_delay_alu instid0(VALU_DEP_1)
	v_pk_add_f32 v[140:141], v[140:141], v[144:145]
	s_set_vgpr_msb 4                        ;  msbs: dst=0 src0=0 src1=1 src2=0
	v_pk_fma_f32 v[144:145], v[126:127], v[78:79] /*v[334:335]*/, v[142:143] neg_lo:[0,0,1] neg_hi:[0,0,1]
	v_pk_fma_f32 v[126:127], v[126:127], v[78:79] /*v[334:335]*/, v[142:143] op_sel_hi:[1,0,1]
	s_set_vgpr_msb 1                        ;  msbs: dst=0 src0=1 src1=0 src2=0
	v_mov_b32_e32 v142, v81 /*v337*/
	s_set_vgpr_msb 0                        ;  msbs: dst=0 src0=0 src1=0 src2=0
	s_delay_alu instid0(VALU_DEP_2) | instskip(NEXT) | instid1(VALU_DEP_1)
	v_mov_b32_e32 v145, v127
	v_pk_add_f32 v[126:127], v[140:141], v[144:145]
	v_dual_mov_b32 v140, v129 :: v_dual_mov_b32 v141, v128
	s_delay_alu instid0(VALU_DEP_1) | instskip(SKIP_1) | instid1(VALU_DEP_1)
	v_pk_mul_f32 v[140:141], v[140:141], v[142:143] op_sel_hi:[1,0]
	s_set_vgpr_msb 4                        ;  msbs: dst=0 src0=0 src1=1 src2=0
	v_pk_fma_f32 v[142:143], v[128:129], v[80:81] /*v[336:337]*/, v[140:141] neg_lo:[0,0,1] neg_hi:[0,0,1]
	v_pk_fma_f32 v[128:129], v[128:129], v[80:81] /*v[336:337]*/, v[140:141] op_sel_hi:[1,0,1]
	s_delay_alu instid0(VALU_DEP_1) | instskip(SKIP_3) | instid1(VALU_DEP_2)
	v_mov_b32_e32 v143, v129
	s_wait_loadcnt_dscnt 0x202
	v_pk_mul_f32 v[128:129], v[130:131], v[82:83] /*v[338:339]*/ op_sel:[1,1] op_sel_hi:[0,1]
	s_set_vgpr_msb 0                        ;  msbs: dst=0 src0=0 src1=0 src2=0
	v_pk_add_f32 v[126:127], v[126:127], v[142:143]
	s_set_vgpr_msb 4                        ;  msbs: dst=0 src0=0 src1=1 src2=0
	s_delay_alu instid0(VALU_DEP_2)
	v_pk_fma_f32 v[140:141], v[130:131], v[82:83] /*v[338:339]*/, v[128:129] neg_lo:[0,0,1] neg_hi:[0,0,1]
	v_pk_fma_f32 v[128:129], v[130:131], v[82:83] /*v[338:339]*/, v[128:129] op_sel_hi:[1,0,1]
	v_mov_b32_e32 v128, v133
	s_set_vgpr_msb 1                        ;  msbs: dst=0 src0=1 src1=0 src2=0
	v_mov_b32_e32 v130, v85 /*v341*/
	s_set_vgpr_msb 0                        ;  msbs: dst=0 src0=0 src1=0 src2=0
	v_dual_mov_b32 v141, v129 :: v_dual_mov_b32 v129, v132
	s_delay_alu instid0(VALU_DEP_1) | instskip(NEXT) | instid1(VALU_DEP_2)
	v_pk_add_f32 v[126:127], v[126:127], v[140:141]
	v_pk_mul_f32 v[128:129], v[128:129], v[130:131] op_sel_hi:[1,0]
	s_set_vgpr_msb 4                        ;  msbs: dst=0 src0=0 src1=1 src2=0
	s_delay_alu instid0(VALU_DEP_1) | instskip(SKIP_1) | instid1(VALU_DEP_1)
	v_pk_fma_f32 v[130:131], v[132:133], v[84:85] /*v[340:341]*/, v[128:129] neg_lo:[0,0,1] neg_hi:[0,0,1]
	v_pk_fma_f32 v[128:129], v[132:133], v[84:85] /*v[340:341]*/, v[128:129] op_sel_hi:[1,0,1]
	v_mov_b32_e32 v131, v129
	s_wait_loadcnt_dscnt 0x101
	v_pk_mul_f32 v[128:129], v[134:135], v[86:87] /*v[342:343]*/ op_sel:[1,1] op_sel_hi:[0,1]
	s_set_vgpr_msb 0                        ;  msbs: dst=0 src0=0 src1=0 src2=0
	s_delay_alu instid0(VALU_DEP_2) | instskip(SKIP_1) | instid1(VALU_DEP_2)
	v_pk_add_f32 v[126:127], v[126:127], v[130:131]
	s_set_vgpr_msb 4                        ;  msbs: dst=0 src0=0 src1=1 src2=0
	v_pk_fma_f32 v[130:131], v[134:135], v[86:87] /*v[342:343]*/, v[128:129] neg_lo:[0,0,1] neg_hi:[0,0,1]
	v_pk_fma_f32 v[128:129], v[134:135], v[86:87] /*v[342:343]*/, v[128:129] op_sel_hi:[1,0,1]
	s_delay_alu instid0(VALU_DEP_1) | instskip(SKIP_2) | instid1(VALU_DEP_2)
	v_dual_mov_b32 v128, v137 :: v_dual_mov_b32 v131, v129
	v_mov_b32_e32 v129, v136
	s_set_vgpr_msb 0                        ;  msbs: dst=0 src0=0 src1=0 src2=0
	v_pk_add_f32 v[126:127], v[126:127], v[130:131]
	s_set_vgpr_msb 1                        ;  msbs: dst=0 src0=1 src1=0 src2=0
	v_mov_b32_e32 v130, v89 /*v345*/
	s_set_vgpr_msb 0                        ;  msbs: dst=0 src0=0 src1=0 src2=0
	s_delay_alu instid0(VALU_DEP_1) | instskip(SKIP_1) | instid1(VALU_DEP_1)
	v_pk_mul_f32 v[128:129], v[128:129], v[130:131] op_sel_hi:[1,0]
	s_set_vgpr_msb 4                        ;  msbs: dst=0 src0=0 src1=1 src2=0
	v_pk_fma_f32 v[130:131], v[136:137], v[88:89] /*v[344:345]*/, v[128:129] neg_lo:[0,0,1] neg_hi:[0,0,1]
	v_pk_fma_f32 v[128:129], v[136:137], v[88:89] /*v[344:345]*/, v[128:129] op_sel_hi:[1,0,1]
	s_delay_alu instid0(VALU_DEP_1) | instskip(SKIP_3) | instid1(VALU_DEP_2)
	v_mov_b32_e32 v131, v129
	s_wait_loadcnt_dscnt 0x0
	v_pk_mul_f32 v[128:129], v[138:139], v[96:97] /*v[352:353]*/ op_sel:[1,1] op_sel_hi:[0,1]
	s_set_vgpr_msb 0                        ;  msbs: dst=0 src0=0 src1=0 src2=0
	v_pk_add_f32 v[126:127], v[126:127], v[130:131]
	s_set_vgpr_msb 4                        ;  msbs: dst=0 src0=0 src1=1 src2=0
	s_delay_alu instid0(VALU_DEP_2) | instskip(SKIP_1) | instid1(VALU_DEP_1)
	v_pk_fma_f32 v[130:131], v[138:139], v[96:97] /*v[352:353]*/, v[128:129] neg_lo:[0,0,1] neg_hi:[0,0,1]
	v_pk_fma_f32 v[128:129], v[138:139], v[96:97] /*v[352:353]*/, v[128:129] op_sel_hi:[1,0,1]
	v_mov_b32_e32 v131, v129
	scratch_load_b64 v[128:129], off, off offset:16
	s_set_vgpr_msb 0                        ;  msbs: dst=0 src0=0 src1=0 src2=0
	v_pk_add_f32 v[126:127], v[126:127], v[130:131]
	s_wait_loadcnt 0x0
	s_delay_alu instid0(VALU_DEP_1)
	v_pk_add_f32 v[126:127], v[128:129], v[126:127] neg_lo:[0,1] neg_hi:[0,1]
	scratch_store_b64 off, v[126:127], off offset:16
	s_wait_xcnt 0x0
	v_cmpx_lt_u32_e32 1, v0
	s_cbranch_execz .LBB61_383
; %bb.382:
	scratch_load_b64 v[126:127], off, off offset:8
	v_mov_b64_e32 v[128:129], 0
	scratch_store_b64 off, v[128:129], off offset:8
	s_wait_loadcnt 0x0
	ds_store_b64 v1, v[126:127]
.LBB61_383:
	s_wait_xcnt 0x0
	s_or_b32 exec_lo, exec_lo, s0
	s_wait_storecnt_dscnt 0x0
	s_barrier_signal -1
	s_barrier_wait -1
	s_clause 0x19
	scratch_load_b128 v[126:129], off, off offset:16
	scratch_load_b128 v[130:133], off, off offset:32
	;; [unrolled: 1-line block ×26, first 2 shown]
	ds_load_b128 v[230:233], v105 offset:512
	ds_load_b128 v[234:237], v105 offset:528
	;; [unrolled: 1-line block ×7, first 2 shown]
	s_set_vgpr_msb 64                       ;  msbs: dst=1 src0=0 src1=0 src2=0
	ds_load_b128 v[2:5] /*v[258:261]*/, v105 offset:624
	ds_load_b128 v[6:9] /*v[262:265]*/, v105 offset:640
	;; [unrolled: 1-line block ×5, first 2 shown]
	s_set_vgpr_msb 0                        ;  msbs: dst=0 src0=0 src1=0 src2=0
	v_ashrrev_i32_e32 v103, 31, v102
	s_set_vgpr_msb 64                       ;  msbs: dst=1 src0=0 src1=0 src2=0
	scratch_load_b128 v[22:25] /*v[278:281]*/, off, off offset:432
	ds_load_b128 v[26:29] /*v[282:285]*/, v105 offset:704
	ds_load_b128 v[30:33] /*v[286:289]*/, v105 offset:720
	;; [unrolled: 1-line block ×10, first 2 shown]
	scratch_load_b128 v[66:69] /*v[322:325]*/, off, off offset:448
	ds_load_b128 v[70:73] /*v[326:329]*/, v105 offset:800
	ds_load_b128 v[74:77] /*v[330:333]*/, v105 offset:816
	;; [unrolled: 1-line block ×4, first 2 shown]
	s_clause 0x1
	scratch_load_b64 v[110:111] /*v[366:367]*/, off, off offset:8
	scratch_load_b128 v[86:89] /*v[342:345]*/, off, off offset:464
	ds_load_b128 v[90:93] /*v[346:349]*/, v105 offset:864
	ds_load_b128 v[94:97] /*v[350:353]*/, v105 offset:880
	scratch_load_b128 v[98:101] /*v[354:357]*/, off, off offset:480
	ds_load_b128 v[102:105] /*v[358:361]*/, v105 offset:896
	ds_load_b128 v[106:109] /*v[362:365]*/, v105 offset:912
	s_set_vgpr_msb 0                        ;  msbs: dst=0 src0=0 src1=0 src2=0
	v_dual_ashrrev_i32 v7, 31, v6 :: v_dual_ashrrev_i32 v9, 31, v8
	v_dual_ashrrev_i32 v11, 31, v10 :: v_dual_ashrrev_i32 v13, 31, v12
	;; [unrolled: 1-line block ×3, first 2 shown]
	s_wait_dscnt 0xf
	s_set_vgpr_msb 0x41                     ;  msbs: dst=1 src0=1 src1=0 src2=0
	v_dual_mov_b32 v112 /*v368*/, v37 /*v293*/ :: v_dual_mov_b32 v113 /*v369*/, v36 /*v292*/
	s_wait_dscnt 0xe
	v_dual_mov_b32 v114 /*v370*/, v41 /*v297*/ :: v_dual_mov_b32 v115 /*v371*/, v40 /*v296*/
	s_wait_dscnt 0xb
	;; [unrolled: 2-line block ×3, first 2 shown]
	v_dual_mov_b32 v118 /*v374*/, v57 /*v313*/ :: v_dual_mov_b32 v119 /*v375*/, v56 /*v312*/
	s_set_vgpr_msb 0                        ;  msbs: dst=0 src0=0 src1=0 src2=0
	v_dual_ashrrev_i32 v19, 31, v18 :: v_dual_ashrrev_i32 v21, 31, v20
	v_dual_ashrrev_i32 v23, 31, v22 :: v_dual_ashrrev_i32 v25, 31, v24
	;; [unrolled: 1-line block ×21, first 2 shown]
	s_mov_b32 s0, exec_lo
	s_wait_loadcnt 0x1e
	v_dual_mul_f32 v105, v230, v127 :: v_dual_mul_f32 v107, v232, v129
	v_dual_mul_f32 v109, v231, v127 :: v_dual_mul_f32 v111, v233, v129
	s_wait_loadcnt 0x1d
	s_delay_alu instid0(VALU_DEP_2)
	v_dual_mul_f32 v113, v234, v131 :: v_dual_fmac_f32 v105, v231, v126
	s_wait_loadcnt 0x1c
	v_dual_fmac_f32 v107, v233, v128 :: v_dual_mul_f32 v119, v240, v137
	v_mul_f32_e32 v121, v235, v131
	s_wait_loadcnt 0x18
	s_set_vgpr_msb 64                       ;  msbs: dst=1 src0=0 src1=0 src2=0
	v_dual_mul_f32 v120 /*v376*/, v252, v149 :: v_dual_mul_f32 v121 /*v377*/, v254, v151
	s_set_vgpr_msb 0                        ;  msbs: dst=0 src0=0 src1=0 src2=0
	v_dual_mul_f32 v151, v255, v151 :: v_dual_fma_f32 v109, v230, v126, -v109
	v_dual_fma_f32 v111, v232, v128, -v111 :: v_dual_add_f32 v105, 0, v105
	v_dual_mul_f32 v115, v236, v133 :: v_dual_mul_f32 v117, v238, v135
	v_dual_mul_f32 v123, v237, v133 :: v_dual_mul_f32 v125, v239, v135
	s_delay_alu instid0(VALU_DEP_4) | instskip(NEXT) | instid1(VALU_DEP_4)
	v_dual_add_f32 v109, 0, v109 :: v_dual_fmac_f32 v113, v235, v130
	v_dual_fma_f32 v121, v234, v130, -v121 :: v_dual_add_f32 v105, v105, v107
	v_dual_mul_f32 v127, v241, v137 :: v_dual_mul_f32 v129, v242, v139
	s_delay_alu instid0(VALU_DEP_3) | instskip(SKIP_1) | instid1(VALU_DEP_4)
	v_dual_add_f32 v107, v109, v111 :: v_dual_fma_f32 v111, v236, v132, -v123
	v_fmac_f32_e32 v115, v237, v132
	v_dual_add_f32 v105, v105, v113 :: v_dual_fmac_f32 v117, v239, v134
	s_delay_alu instid0(VALU_DEP_3) | instskip(SKIP_1) | instid1(VALU_DEP_3)
	v_dual_add_f32 v107, v107, v121 :: v_dual_fma_f32 v121, v238, v134, -v125
	v_fmac_f32_e32 v119, v241, v136
	v_dual_add_f32 v105, v105, v115 :: v_dual_fma_f32 v115, v240, v136, -v127
	s_delay_alu instid0(VALU_DEP_3) | instskip(NEXT) | instid1(VALU_DEP_2)
	v_dual_add_f32 v107, v107, v111 :: v_dual_mul_f32 v131, v244, v141
	v_dual_mul_f32 v133, v243, v139 :: v_dual_add_f32 v105, v105, v117
	v_dual_mul_f32 v135, v245, v141 :: v_dual_mul_f32 v137, v246, v143
	s_delay_alu instid0(VALU_DEP_2) | instskip(NEXT) | instid1(VALU_DEP_3)
	v_dual_add_f32 v107, v107, v121 :: v_dual_fma_f32 v121, v242, v138, -v133
	v_dual_fmac_f32 v129, v243, v138 :: v_dual_add_f32 v105, v105, v119
	s_delay_alu instid0(VALU_DEP_2) | instskip(NEXT) | instid1(VALU_DEP_4)
	v_dual_fmac_f32 v131, v245, v140 :: v_dual_add_f32 v107, v107, v115
	v_fma_f32 v119, v244, v140, -v135
	v_dual_mul_f32 v139, v248, v145 :: v_dual_mul_f32 v141, v250, v147
	s_delay_alu instid0(VALU_DEP_4) | instskip(SKIP_2) | instid1(VALU_DEP_3)
	v_dual_add_f32 v105, v105, v129 :: v_dual_mul_f32 v143, v247, v143
	v_mul_f32_e32 v145, v249, v145
	v_add_f32_e32 v107, v107, v121
	v_dual_fmac_f32 v137, v247, v142 :: v_dual_add_f32 v105, v105, v131
	s_delay_alu instid0(VALU_DEP_4) | instskip(NEXT) | instid1(VALU_DEP_3)
	v_fma_f32 v123, v246, v142, -v143
	v_dual_fmac_f32 v139, v249, v144 :: v_dual_add_f32 v107, v107, v119
	s_delay_alu instid0(VALU_DEP_3) | instskip(SKIP_1) | instid1(VALU_DEP_3)
	v_dual_fma_f32 v125, v248, v144, -v145 :: v_dual_add_f32 v105, v105, v137
	v_dual_mul_f32 v147, v251, v147 :: v_dual_mul_f32 v149, v253, v149
	v_add_f32_e32 v107, v107, v123
	s_delay_alu instid0(VALU_DEP_3) | instskip(NEXT) | instid1(VALU_DEP_3)
	v_dual_fmac_f32 v141, v251, v146 :: v_dual_add_f32 v105, v105, v139
	v_fma_f32 v127, v250, v146, -v147
	s_set_vgpr_msb 64                       ;  msbs: dst=1 src0=0 src1=0 src2=0
	v_dual_fmac_f32 v120 /*v376*/, v253, v148 :: v_dual_fmac_f32 v121 /*v377*/, v255, v150
	s_set_vgpr_msb 0                        ;  msbs: dst=0 src0=0 src1=0 src2=0
	v_dual_add_f32 v107, v107, v125 :: v_dual_fma_f32 v129, v252, v148, -v149
	v_add_f32_e32 v105, v105, v141
	s_wait_loadcnt 0x17
	s_set_vgpr_msb 0x41                     ;  msbs: dst=1 src0=1 src1=0 src2=0
	v_dual_mul_f32 v122 /*v378*/, v0 /*v256*/, v153 :: v_dual_mul_f32 v123 /*v379*/, v2 /*v258*/, v155
	s_set_vgpr_msb 0                        ;  msbs: dst=0 src0=0 src1=0 src2=0
	v_add_f32_e32 v107, v107, v127
	s_wait_loadcnt_dscnt 0xc07
	s_set_vgpr_msb 0x41                     ;  msbs: dst=1 src0=1 src1=0 src2=0
	v_mul_f32_e32 v146 /*v402*/, v72 /*v328*/, v201
	s_set_vgpr_msb 4                        ;  msbs: dst=0 src0=0 src1=1 src2=0
	v_add_f32_e32 v105, v105, v120 /*v376*/
	s_set_vgpr_msb 0x41                     ;  msbs: dst=1 src0=1 src1=0 src2=0
	v_dual_fmac_f32 v122 /*v378*/, v1 /*v257*/, v152 :: v_dual_mul_f32 v124 /*v380*/, v4 /*v260*/, v157
	v_dual_mul_f32 v125 /*v381*/, v6 /*v262*/, v159 :: v_dual_fmac_f32 v123 /*v379*/, v3 /*v259*/, v154
	s_set_vgpr_msb 4                        ;  msbs: dst=0 src0=0 src1=1 src2=0
	v_add_f32_e32 v105, v105, v121 /*v377*/
	s_set_vgpr_msb 0x41                     ;  msbs: dst=1 src0=1 src1=0 src2=0
	v_dual_mul_f32 v126 /*v382*/, v8 /*v264*/, v161 :: v_dual_mul_f32 v127 /*v383*/, v10 /*v266*/, v163
	v_dual_fmac_f32 v124 /*v380*/, v5 /*v261*/, v156 :: v_dual_fmac_f32 v125 /*v381*/, v7 /*v263*/, v158
	s_set_vgpr_msb 4                        ;  msbs: dst=0 src0=0 src1=1 src2=0
	v_add_f32_e32 v105, v105, v122 /*v378*/
	s_set_vgpr_msb 0x41                     ;  msbs: dst=1 src0=1 src1=0 src2=0
	v_dual_fmac_f32 v126 /*v382*/, v9 /*v265*/, v160 :: v_dual_mul_f32 v128 /*v384*/, v12 /*v268*/, v165
	v_dual_mul_f32 v129 /*v385*/, v14 /*v270*/, v167 :: v_dual_fmac_f32 v127 /*v383*/, v11 /*v267*/, v162
	s_set_vgpr_msb 4                        ;  msbs: dst=0 src0=0 src1=1 src2=0
	v_add_f32_e32 v105, v105, v123 /*v379*/
	s_set_vgpr_msb 0x41                     ;  msbs: dst=1 src0=1 src1=0 src2=0
	v_dual_mul_f32 v130 /*v386*/, v16 /*v272*/, v169 :: v_dual_mul_f32 v131 /*v387*/, v18 /*v274*/, v171
	v_dual_fmac_f32 v128 /*v384*/, v13 /*v269*/, v164 :: v_dual_fmac_f32 v129 /*v385*/, v15 /*v271*/, v166
	s_set_vgpr_msb 4                        ;  msbs: dst=0 src0=0 src1=1 src2=0
	v_add_f32_e32 v105, v105, v124 /*v380*/
	s_set_vgpr_msb 0x41                     ;  msbs: dst=1 src0=1 src1=0 src2=0
	v_dual_fmac_f32 v130 /*v386*/, v17 /*v273*/, v168 :: v_dual_mul_f32 v132 /*v388*/, v20 /*v276*/, v173
	v_dual_mul_f32 v133 /*v389*/, v26 /*v282*/, v175 :: v_dual_fmac_f32 v131 /*v387*/, v19 /*v275*/, v170
	s_set_vgpr_msb 4                        ;  msbs: dst=0 src0=0 src1=1 src2=0
	v_add_f32_e32 v105, v105, v125 /*v381*/
	s_set_vgpr_msb 0x41                     ;  msbs: dst=1 src0=1 src1=0 src2=0
	v_dual_mul_f32 v134 /*v390*/, v28 /*v284*/, v177 :: v_dual_mul_f32 v135 /*v391*/, v30 /*v286*/, v179
	v_dual_fmac_f32 v132 /*v388*/, v21 /*v277*/, v172 :: v_dual_fmac_f32 v133 /*v389*/, v27 /*v283*/, v174
	s_set_vgpr_msb 4                        ;  msbs: dst=0 src0=0 src1=1 src2=0
	v_add_f32_e32 v105, v105, v126 /*v382*/
	s_set_vgpr_msb 0x41                     ;  msbs: dst=1 src0=1 src1=0 src2=0
	v_dual_fmac_f32 v134 /*v390*/, v29 /*v285*/, v176 :: v_dual_mul_f32 v136 /*v392*/, v32 /*v288*/, v181
	v_dual_mul_f32 v137 /*v393*/, v42 /*v298*/, v183 :: v_dual_fmac_f32 v135 /*v391*/, v31 /*v287*/, v178
	s_set_vgpr_msb 4                        ;  msbs: dst=0 src0=0 src1=1 src2=0
	v_add_f32_e32 v105, v105, v127 /*v383*/
	s_set_vgpr_msb 0x41                     ;  msbs: dst=1 src0=1 src1=0 src2=0
	v_dual_mul_f32 v138 /*v394*/, v44 /*v300*/, v185 :: v_dual_mul_f32 v139 /*v395*/, v46 /*v302*/, v187
	v_dual_fmac_f32 v136 /*v392*/, v33 /*v289*/, v180 :: v_dual_fmac_f32 v137 /*v393*/, v43 /*v299*/, v182
	s_set_vgpr_msb 4                        ;  msbs: dst=0 src0=0 src1=1 src2=0
	v_add_f32_e32 v105, v105, v128 /*v384*/
	s_set_vgpr_msb 0x41                     ;  msbs: dst=1 src0=1 src1=0 src2=0
	v_dual_fmac_f32 v138 /*v394*/, v45 /*v301*/, v184 :: v_dual_mul_f32 v140 /*v396*/, v48 /*v304*/, v189
	v_dual_mul_f32 v141 /*v397*/, v58 /*v314*/, v191 :: v_dual_fmac_f32 v139 /*v395*/, v47 /*v303*/, v186
	s_set_vgpr_msb 4                        ;  msbs: dst=0 src0=0 src1=1 src2=0
	v_add_f32_e32 v105, v105, v129 /*v385*/
	s_set_vgpr_msb 0x41                     ;  msbs: dst=1 src0=1 src1=0 src2=0
	v_dual_mul_f32 v142 /*v398*/, v60 /*v316*/, v193 :: v_dual_mul_f32 v143 /*v399*/, v62 /*v318*/, v195
	v_dual_fmac_f32 v140 /*v396*/, v49 /*v305*/, v188 :: v_dual_fmac_f32 v141 /*v397*/, v59 /*v315*/, v190
	s_set_vgpr_msb 4                        ;  msbs: dst=0 src0=0 src1=1 src2=0
	v_add_f32_e32 v105, v105, v130 /*v386*/
	s_set_vgpr_msb 0x41                     ;  msbs: dst=1 src0=1 src1=0 src2=0
	v_dual_fmac_f32 v142 /*v398*/, v61 /*v317*/, v192 :: v_dual_mul_f32 v144 /*v400*/, v64 /*v320*/, v197
	v_dual_mul_f32 v145 /*v401*/, v70 /*v326*/, v199 :: v_dual_fmac_f32 v143 /*v399*/, v63 /*v319*/, v194
	s_set_vgpr_msb 4                        ;  msbs: dst=0 src0=0 src1=1 src2=0
	v_add_f32_e32 v105, v105, v131 /*v387*/
	s_wait_loadcnt_dscnt 0xb06
	s_set_vgpr_msb 1                        ;  msbs: dst=0 src0=1 src1=0 src2=0
	v_dual_mul_f32 v165, v13 /*v269*/, v165 :: v_dual_mul_f32 v126, v74 /*v330*/, v203
	s_set_vgpr_msb 0x41                     ;  msbs: dst=1 src0=1 src1=0 src2=0
	v_dual_fmac_f32 v144 /*v400*/, v65 /*v321*/, v196 :: v_dual_fmac_f32 v145 /*v401*/, v71 /*v327*/, v198
	v_fmac_f32_e32 v146 /*v402*/, v73 /*v329*/, v200
	s_set_vgpr_msb 4                        ;  msbs: dst=0 src0=0 src1=1 src2=0
	v_add_f32_e32 v105, v105, v132 /*v388*/
	s_wait_loadcnt_dscnt 0xa05
	s_set_vgpr_msb 1                        ;  msbs: dst=0 src0=1 src1=0 src2=0
	v_dual_mul_f32 v128, v76 /*v332*/, v205 :: v_dual_mul_f32 v109, v78 /*v334*/, v207
	v_dual_fmac_f32 v126, v75 /*v331*/, v202 :: v_dual_mul_f32 v153, v1 /*v257*/, v153
	v_mul_f32_e32 v155, v3 /*v259*/, v155
	s_set_vgpr_msb 4                        ;  msbs: dst=0 src0=0 src1=1 src2=0
	v_add_f32_e32 v105, v105, v133 /*v389*/
	s_set_vgpr_msb 0                        ;  msbs: dst=0 src0=0 src1=0 src2=0
	v_dual_fma_f32 v130, v254, v150, -v151 :: v_dual_add_f32 v107, v107, v129
	s_set_vgpr_msb 1                        ;  msbs: dst=0 src0=1 src1=0 src2=0
	v_dual_fmac_f32 v128, v77 /*v333*/, v204 :: v_dual_fmac_f32 v109, v79 /*v335*/, v206
	s_set_vgpr_msb 4                        ;  msbs: dst=0 src0=0 src1=1 src2=0
	v_add_f32_e32 v105, v105, v134 /*v390*/
	s_wait_loadcnt_dscnt 0x904
	s_set_vgpr_msb 1                        ;  msbs: dst=0 src0=1 src1=0 src2=0
	v_dual_mul_f32 v113, v80 /*v336*/, v209 :: v_dual_mul_f32 v111, v82 /*v338*/, v211
	v_dual_fma_f32 v131, v0 /*v256*/, v152, -v153 :: v_dual_mul_f32 v157, v5 /*v261*/, v157
	v_mul_f32_e32 v159, v7 /*v263*/, v159
	s_set_vgpr_msb 4                        ;  msbs: dst=0 src0=0 src1=1 src2=0
	v_add_f32_e32 v105, v105, v135 /*v391*/
	s_wait_loadcnt_dscnt 0x803
	s_set_vgpr_msb 1                        ;  msbs: dst=0 src0=1 src1=0 src2=0
	v_dual_mul_f32 v117, v84 /*v340*/, v213 :: v_dual_mul_f32 v115, v90 /*v346*/, v215
	v_dual_fma_f32 v132, v4 /*v260*/, v156, -v157 :: v_dual_fmac_f32 v111, v83 /*v339*/, v210
	s_set_vgpr_msb 4                        ;  msbs: dst=0 src0=0 src1=1 src2=0
	v_add_f32_e32 v105, v105, v136 /*v392*/
	s_set_vgpr_msb 1                        ;  msbs: dst=0 src0=1 src1=0 src2=0
	v_dual_mul_f32 v161, v9 /*v265*/, v161 :: v_dual_mul_f32 v163, v11 /*v267*/, v163
	v_dual_fma_f32 v134, v6 /*v262*/, v158, -v159 :: v_dual_mul_f32 v121, v92 /*v348*/, v217
	s_wait_loadcnt_dscnt 0x702
	v_mul_f32_e32 v119, v94 /*v350*/, v219
	s_set_vgpr_msb 4                        ;  msbs: dst=0 src0=0 src1=1 src2=0
	v_add_f32_e32 v105, v105, v137 /*v393*/
	s_set_vgpr_msb 1                        ;  msbs: dst=0 src0=1 src1=0 src2=0
	v_dual_fma_f32 v135, v8 /*v264*/, v160, -v161 :: v_dual_fmac_f32 v115, v91 /*v347*/, v214
	v_dual_fma_f32 v136, v10 /*v266*/, v162, -v163 :: v_dual_mul_f32 v123, v96 /*v352*/, v221
	s_wait_loadcnt_dscnt 0x601
	v_mul_f32_e32 v125, v102 /*v358*/, v223
	s_set_vgpr_msb 4                        ;  msbs: dst=0 src0=0 src1=1 src2=0
	v_add_f32_e32 v105, v105, v138 /*v394*/
	s_wait_loadcnt_dscnt 0x500
	s_set_vgpr_msb 1                        ;  msbs: dst=0 src0=1 src1=0 src2=0
	v_mul_f32_e32 v129, v108 /*v364*/, v229
	v_fma_f32 v137, v12 /*v268*/, v164, -v165
	v_dual_fmac_f32 v123, v97 /*v353*/, v220 :: v_dual_mul_f32 v133, v104 /*v360*/, v225
	v_mul_f32_e32 v127, v106 /*v362*/, v227
	s_set_vgpr_msb 4                        ;  msbs: dst=0 src0=0 src1=1 src2=0
	v_add_f32_e32 v105, v105, v139 /*v395*/
	s_set_vgpr_msb 1                        ;  msbs: dst=0 src0=1 src1=0 src2=0
	v_fmac_f32_e32 v125, v103 /*v359*/, v222
	v_fmac_f32_e32 v113, v81 /*v337*/, v208
	v_dual_fmac_f32 v133, v105 /*v361*/, v224 :: v_dual_fmac_f32 v127, v107 /*v363*/, v226
	s_set_vgpr_msb 4                        ;  msbs: dst=0 src0=0 src1=1 src2=0
	v_add_f32_e32 v105, v105, v140 /*v396*/
	s_set_vgpr_msb 1                        ;  msbs: dst=0 src0=1 src1=0 src2=0
	v_fmac_f32_e32 v117, v85 /*v341*/, v212
	v_fmac_f32_e32 v121, v93 /*v349*/, v216
	s_set_vgpr_msb 4                        ;  msbs: dst=0 src0=0 src1=1 src2=0
	v_add_f32_e32 v105, v105, v141 /*v397*/
	s_delay_alu instid0(VALU_DEP_1) | instskip(NEXT) | instid1(VALU_DEP_1)
	v_add_f32_e32 v105, v105, v142 /*v398*/
	v_add_f32_e32 v105, v105, v143 /*v399*/
	s_delay_alu instid0(VALU_DEP_1) | instskip(NEXT) | instid1(VALU_DEP_1)
	v_add_f32_e32 v105, v105, v144 /*v400*/
	v_add_f32_e32 v105, v105, v145 /*v401*/
	s_delay_alu instid0(VALU_DEP_1) | instskip(SKIP_1) | instid1(VALU_DEP_1)
	v_add_f32_e32 v105, v105, v146 /*v402*/
	s_set_vgpr_msb 0                        ;  msbs: dst=0 src0=0 src1=0 src2=0
	v_add_f32_e32 v105, v105, v126
	v_add_f32_e32 v107, v107, v130
	s_set_vgpr_msb 1                        ;  msbs: dst=0 src0=1 src1=0 src2=0
	v_fma_f32 v130, v2 /*v258*/, v154, -v155
	s_set_vgpr_msb 0                        ;  msbs: dst=0 src0=0 src1=0 src2=0
	s_delay_alu instid0(VALU_DEP_2)
	v_dual_add_f32 v105, v105, v128 :: v_dual_add_f32 v107, v107, v131
	s_set_vgpr_msb 1                        ;  msbs: dst=0 src0=1 src1=0 src2=0
	v_mul_f32_e32 v128, v95 /*v351*/, v219
	v_mul_f32_e32 v131, v15 /*v271*/, v167
	v_fmac_f32_e32 v119, v95 /*v351*/, v218
	s_set_vgpr_msb 0                        ;  msbs: dst=0 src0=0 src1=0 src2=0
	v_dual_add_f32 v105, v105, v109 :: v_dual_add_f32 v107, v107, v130
	s_set_vgpr_msb 1                        ;  msbs: dst=0 src0=1 src1=0 src2=0
	v_dual_mul_f32 v130, v17 /*v273*/, v169 :: v_dual_fma_f32 v128, v94 /*v350*/, v218, -v128
	v_fma_f32 v131, v14 /*v270*/, v166, -v131
	s_set_vgpr_msb 0                        ;  msbs: dst=0 src0=0 src1=0 src2=0
	v_dual_add_f32 v105, v105, v113 :: v_dual_add_f32 v107, v107, v132
	s_set_vgpr_msb 1                        ;  msbs: dst=0 src0=1 src1=0 src2=0
	v_mul_f32_e32 v113, v103 /*v359*/, v223
	v_dual_mul_f32 v132, v19 /*v275*/, v171 :: v_dual_fma_f32 v130, v16 /*v272*/, v168, -v130
	s_set_vgpr_msb 0                        ;  msbs: dst=0 src0=0 src1=0 src2=0
	v_dual_add_f32 v105, v105, v111 :: v_dual_add_f32 v107, v107, v134
	s_set_vgpr_msb 1                        ;  msbs: dst=0 src0=1 src1=0 src2=0
	s_delay_alu instid0(VALU_DEP_2)
	v_dual_mul_f32 v134, v21 /*v277*/, v173 :: v_dual_fma_f32 v132, v18 /*v274*/, v170, -v132
	v_mul_f32_e32 v109, v97 /*v353*/, v221
	s_set_vgpr_msb 0                        ;  msbs: dst=0 src0=0 src1=0 src2=0
	v_add_f32_e32 v105, v105, v117
	s_set_vgpr_msb 1                        ;  msbs: dst=0 src0=1 src1=0 src2=0
	v_dual_mul_f32 v117, v107 /*v363*/, v227 :: v_dual_fma_f32 v134, v20 /*v276*/, v172, -v134
	v_dual_mul_f32 v111, v105 /*v361*/, v225 :: v_dual_fma_f32 v109, v96 /*v352*/, v220, -v109
	s_set_vgpr_msb 0                        ;  msbs: dst=0 src0=0 src1=0 src2=0
	v_add_f32_e32 v105, v105, v115
	v_add_f32_e32 v107, v107, v135
	s_set_vgpr_msb 1                        ;  msbs: dst=0 src0=1 src1=0 src2=0
	v_dual_mul_f32 v135, v27 /*v283*/, v175 :: v_dual_mul_f32 v115, v109 /*v365*/, v229
	v_fma_f32 v113, v102 /*v358*/, v222, -v113
	s_set_vgpr_msb 0                        ;  msbs: dst=0 src0=0 src1=0 src2=0
	v_dual_add_f32 v105, v105, v121 :: v_dual_add_f32 v107, v107, v136
	s_set_vgpr_msb 1                        ;  msbs: dst=0 src0=1 src1=0 src2=0
	v_dual_mul_f32 v136, v29 /*v285*/, v177 :: v_dual_fma_f32 v135, v26 /*v282*/, v174, -v135
	s_set_vgpr_msb 0                        ;  msbs: dst=0 src0=0 src1=0 src2=0
	s_delay_alu instid0(VALU_DEP_2)
	v_dual_ashrrev_i32 v121, 31, v120 :: v_dual_add_f32 v105, v105, v119
	v_add_f32_e32 v107, v107, v137
	s_set_vgpr_msb 1                        ;  msbs: dst=0 src0=1 src1=0 src2=0
	v_dual_mul_f32 v137, v31 /*v287*/, v179 :: v_dual_fma_f32 v136, v28 /*v284*/, v176, -v136
	s_set_vgpr_msb 0                        ;  msbs: dst=0 src0=0 src1=0 src2=0
	v_dual_ashrrev_i32 v119, 31, v118 :: v_dual_add_f32 v105, v105, v123
	v_add_f32_e32 v107, v107, v131
	s_set_vgpr_msb 1                        ;  msbs: dst=0 src0=1 src1=0 src2=0
	v_dual_mul_f32 v131, v33 /*v289*/, v181 :: v_dual_fma_f32 v137, v30 /*v286*/, v178, -v137
	s_set_vgpr_msb 0                        ;  msbs: dst=0 src0=0 src1=0 src2=0
	;; [unrolled: 5-line block ×3, first 2 shown]
	v_dual_ashrrev_i32 v125, 31, v124 :: v_dual_add_f32 v139, v105, v133
	v_add_f32_e32 v107, v107, v132
	s_set_vgpr_msb 1                        ;  msbs: dst=0 src0=1 src1=0 src2=0
	v_dual_mul_f32 v132, v45 /*v301*/, v185 :: v_dual_fma_f32 v130, v42 /*v298*/, v182, -v130
	v_ashrrev_i32_e32 v105, 31, v104
	v_fmac_f32_e32 v129, v109 /*v365*/, v228
	s_set_vgpr_msb 0                        ;  msbs: dst=0 src0=0 src1=0 src2=0
	v_add_f32_e32 v107, v107, v134
	s_set_vgpr_msb 1                        ;  msbs: dst=0 src0=1 src1=0 src2=0
	v_dual_mul_f32 v134, v47 /*v303*/, v187 :: v_dual_fma_f32 v132, v44 /*v300*/, v184, -v132
	s_set_vgpr_msb 0                        ;  msbs: dst=0 src0=0 src1=0 src2=0
	s_delay_alu instid0(VALU_DEP_2) | instskip(SKIP_1) | instid1(VALU_DEP_2)
	v_add_f32_e32 v107, v107, v135
	s_set_vgpr_msb 1                        ;  msbs: dst=0 src0=1 src1=0 src2=0
	v_dual_mul_f32 v135, v49 /*v305*/, v189 :: v_dual_fma_f32 v134, v46 /*v302*/, v186, -v134
	s_set_vgpr_msb 0                        ;  msbs: dst=0 src0=0 src1=0 src2=0
	s_delay_alu instid0(VALU_DEP_2) | instskip(SKIP_1) | instid1(VALU_DEP_2)
	;; [unrolled: 5-line block ×10, first 2 shown]
	v_add_f32_e32 v107, v107, v137
	s_set_vgpr_msb 1                        ;  msbs: dst=0 src0=1 src1=0 src2=0
	v_dual_mul_f32 v137, v79 /*v335*/, v207 :: v_dual_fma_f32 v136, v76 /*v332*/, v204, -v136
	v_mul_f32_e32 v126, v93 /*v349*/, v217
	s_set_vgpr_msb 0                        ;  msbs: dst=0 src0=0 src1=0 src2=0
	v_add_f32_e32 v107, v107, v131
	s_set_vgpr_msb 1                        ;  msbs: dst=0 src0=1 src1=0 src2=0
	v_mul_f32_e32 v131, v81 /*v337*/, v209
	s_set_vgpr_msb 0                        ;  msbs: dst=0 src0=0 src1=0 src2=0
	s_delay_alu instid0(VALU_DEP_2) | instskip(SKIP_1) | instid1(VALU_DEP_2)
	v_add_f32_e32 v107, v107, v130
	s_set_vgpr_msb 1                        ;  msbs: dst=0 src0=1 src1=0 src2=0
	v_dual_mul_f32 v130, v83 /*v339*/, v211 :: v_dual_fma_f32 v131, v80 /*v336*/, v208, -v131
	s_set_vgpr_msb 0                        ;  msbs: dst=0 src0=0 src1=0 src2=0
	s_delay_alu instid0(VALU_DEP_2) | instskip(SKIP_1) | instid1(VALU_DEP_2)
	v_add_f32_e32 v107, v107, v132
	s_set_vgpr_msb 1                        ;  msbs: dst=0 src0=1 src1=0 src2=0
	v_dual_mul_f32 v132, v85 /*v341*/, v213 :: v_dual_fma_f32 v130, v82 /*v338*/, v210, -v130
	s_set_vgpr_msb 0                        ;  msbs: dst=0 src0=0 src1=0 src2=0
	s_delay_alu instid0(VALU_DEP_2) | instskip(SKIP_3) | instid1(VALU_DEP_2)
	v_add_f32_e32 v107, v107, v134
	s_set_vgpr_msb 1                        ;  msbs: dst=0 src0=1 src1=0 src2=0
	v_mul_f32_e32 v134, v91 /*v347*/, v215
	s_set_vgpr_msb 0                        ;  msbs: dst=0 src0=0 src1=0 src2=0
	v_add_f32_e32 v107, v107, v135
	s_set_vgpr_msb 1                        ;  msbs: dst=0 src0=1 src1=0 src2=0
	v_dual_fma_f32 v135, v78 /*v334*/, v206, -v137 :: v_dual_fma_f32 v126, v92 /*v348*/, v216, -v126
	s_set_vgpr_msb 0                        ;  msbs: dst=0 src0=0 src1=0 src2=0
	s_delay_alu instid0(VALU_DEP_2)
	v_add_f32_e32 v107, v107, v136
	s_wait_loadcnt 0x3
	s_set_vgpr_msb 1                        ;  msbs: dst=0 src0=1 src1=0 src2=0
	v_mov_b32_e32 v136, v69 /*v325*/
	s_set_vgpr_msb 0                        ;  msbs: dst=0 src0=0 src1=0 src2=0
	v_add_f32_e32 v107, v107, v135
	s_delay_alu instid0(VALU_DEP_1) | instskip(SKIP_3) | instid1(VALU_DEP_2)
	v_add_f32_e32 v107, v107, v131
	s_set_vgpr_msb 1                        ;  msbs: dst=0 src0=1 src1=0 src2=0
	v_dual_fma_f32 v131, v84 /*v340*/, v212, -v132 :: v_dual_mov_b32 v132, v25 /*v281*/
	s_set_vgpr_msb 0                        ;  msbs: dst=0 src0=0 src1=0 src2=0
	v_add_f32_e32 v107, v107, v130
	s_set_vgpr_msb 1                        ;  msbs: dst=0 src0=1 src1=0 src2=0
	v_fma_f32 v130, v90 /*v346*/, v214, -v134
	v_pk_mul_f32 v[132:133], v[112:113] /*v[368:369]*/, v[132:133] op_sel_hi:[1,0]
	s_set_vgpr_msb 5                        ;  msbs: dst=0 src0=1 src1=1 src2=0
	v_pk_mul_f32 v[134:135], v[38:39] /*v[294:295]*/, v[66:67] /*v[322:323]*/ op_sel:[1,1] op_sel_hi:[0,1]
	s_set_vgpr_msb 0                        ;  msbs: dst=0 src0=0 src1=0 src2=0
	v_add_f32_e32 v107, v107, v131
	s_delay_alu instid0(VALU_DEP_1) | instskip(SKIP_3) | instid1(VALU_DEP_2)
	v_add_f32_e32 v107, v107, v130
	s_set_vgpr_msb 5                        ;  msbs: dst=0 src0=1 src1=1 src2=0
	v_pk_mul_f32 v[130:131], v[34:35] /*v[290:291]*/, v[22:23] /*v[278:279]*/ op_sel:[1,1] op_sel_hi:[0,1]
	s_set_vgpr_msb 0                        ;  msbs: dst=0 src0=0 src1=0 src2=0
	v_add_f32_e32 v107, v107, v126
	s_set_vgpr_msb 1                        ;  msbs: dst=0 src0=1 src1=0 src2=0
	v_fma_f32 v126, v106 /*v362*/, v226, -v117
	s_set_vgpr_msb 5                        ;  msbs: dst=0 src0=1 src1=1 src2=0
	v_pk_fma_f32 v[140:141], v[34:35] /*v[290:291]*/, v[22:23] /*v[278:279]*/, v[130:131] op_sel_hi:[1,0,1]
	v_pk_fma_f32 v[130:131], v[34:35] /*v[290:291]*/, v[22:23] /*v[278:279]*/, v[130:131] neg_lo:[0,0,1] neg_hi:[0,0,1]
	s_set_vgpr_msb 1                        ;  msbs: dst=0 src0=1 src1=0 src2=0
	v_pk_mul_f32 v[136:137], v[114:115] /*v[370:371]*/, v[136:137] op_sel_hi:[1,0]
	s_set_vgpr_msb 0                        ;  msbs: dst=0 src0=0 src1=0 src2=0
	v_add_f32_e32 v107, v107, v128
	s_set_vgpr_msb 1                        ;  msbs: dst=0 src0=1 src1=0 src2=0
	v_fma_f32 v128, v108 /*v364*/, v228, -v115
	s_set_vgpr_msb 0                        ;  msbs: dst=0 src0=0 src1=0 src2=0
	v_mov_b32_e32 v131, v141
	s_set_vgpr_msb 5                        ;  msbs: dst=0 src0=1 src1=1 src2=0
	v_pk_fma_f32 v[140:141], v[36:37] /*v[292:293]*/, v[24:25] /*v[280:281]*/, v[132:133] op_sel_hi:[1,0,1]
	v_pk_fma_f32 v[132:133], v[36:37] /*v[292:293]*/, v[24:25] /*v[280:281]*/, v[132:133] neg_lo:[0,0,1] neg_hi:[0,0,1]
	s_set_vgpr_msb 0                        ;  msbs: dst=0 src0=0 src1=0 src2=0
	v_add_f32_e32 v107, v107, v109
	s_set_vgpr_msb 1                        ;  msbs: dst=0 src0=1 src1=0 src2=0
	v_dual_fma_f32 v109, v104 /*v360*/, v224, -v111 :: v_dual_ashrrev_i32 v111, 31, v110
	s_set_vgpr_msb 0                        ;  msbs: dst=0 src0=0 src1=0 src2=0
	v_dual_mov_b32 v133, v141 :: v_dual_ashrrev_i32 v115, 31, v114
	v_dual_add_f32 v107, v107, v113 :: v_dual_ashrrev_i32 v113, 31, v112
	s_delay_alu instid0(VALU_DEP_1) | instskip(SKIP_1) | instid1(VALU_DEP_2)
	v_dual_add_f32 v138, v107, v109 :: v_dual_ashrrev_i32 v117, 31, v116
	v_dual_ashrrev_i32 v107, 31, v106 :: v_dual_ashrrev_i32 v109, 31, v108
	v_pk_add_f32 v[126:127], v[138:139], v[126:127]
	s_wait_loadcnt 0x1
	s_set_vgpr_msb 5                        ;  msbs: dst=0 src0=1 src1=1 src2=0
	v_pk_mul_f32 v[138:139], v[50:51] /*v[306:307]*/, v[86:87] /*v[342:343]*/ op_sel:[1,1] op_sel_hi:[0,1]
	s_set_vgpr_msb 0                        ;  msbs: dst=0 src0=0 src1=0 src2=0
	v_pk_add_f32 v[126:127], v[126:127], v[128:129]
	s_set_vgpr_msb 5                        ;  msbs: dst=0 src0=1 src1=1 src2=0
	v_pk_fma_f32 v[128:129], v[38:39] /*v[294:295]*/, v[66:67] /*v[322:323]*/, v[134:135] op_sel_hi:[1,0,1]
	v_mov_b32_e32 v128, v89 /*v345*/
	s_set_vgpr_msb 0                        ;  msbs: dst=0 src0=0 src1=0 src2=0
	v_pk_add_f32 v[126:127], v[126:127], v[130:131]
	s_set_vgpr_msb 5                        ;  msbs: dst=0 src0=1 src1=1 src2=0
	v_pk_fma_f32 v[130:131], v[38:39] /*v[294:295]*/, v[66:67] /*v[322:323]*/, v[134:135] neg_lo:[0,0,1] neg_hi:[0,0,1]
	s_set_vgpr_msb 0                        ;  msbs: dst=0 src0=0 src1=0 src2=0
	v_mov_b32_e32 v131, v129
	s_set_vgpr_msb 5                        ;  msbs: dst=0 src0=1 src1=1 src2=0
	v_pk_fma_f32 v[134:135], v[40:41] /*v[296:297]*/, v[68:69] /*v[324:325]*/, v[136:137] op_sel_hi:[1,0,1]
	s_set_vgpr_msb 1                        ;  msbs: dst=0 src0=1 src1=0 src2=0
	v_pk_mul_f32 v[128:129], v[116:117] /*v[372:373]*/, v[128:129] op_sel_hi:[1,0]
	s_set_vgpr_msb 0                        ;  msbs: dst=0 src0=0 src1=0 src2=0
	v_pk_add_f32 v[126:127], v[126:127], v[132:133]
	s_set_vgpr_msb 5                        ;  msbs: dst=0 src0=1 src1=1 src2=0
	v_pk_fma_f32 v[132:133], v[50:51] /*v[306:307]*/, v[86:87] /*v[342:343]*/, v[138:139] op_sel_hi:[1,0,1]
	v_pk_fma_f32 v[136:137], v[40:41] /*v[296:297]*/, v[68:69] /*v[324:325]*/, v[136:137] neg_lo:[0,0,1] neg_hi:[0,0,1]
	s_set_vgpr_msb 0                        ;  msbs: dst=0 src0=0 src1=0 src2=0
	v_mov_b32_e32 v137, v135
	s_set_vgpr_msb 5                        ;  msbs: dst=0 src0=1 src1=1 src2=0
	v_pk_fma_f32 v[134:135], v[50:51] /*v[306:307]*/, v[86:87] /*v[342:343]*/, v[138:139] neg_lo:[0,0,1] neg_hi:[0,0,1]
	s_set_vgpr_msb 0                        ;  msbs: dst=0 src0=0 src1=0 src2=0
	v_pk_add_f32 v[126:127], v[126:127], v[130:131]
	v_mov_b32_e32 v135, v133
	s_set_vgpr_msb 5                        ;  msbs: dst=0 src0=1 src1=1 src2=0
	v_pk_fma_f32 v[132:133], v[52:53] /*v[308:309]*/, v[88:89] /*v[344:345]*/, v[128:129] op_sel_hi:[1,0,1]
	s_wait_loadcnt 0x0
	v_pk_mul_f32 v[130:131], v[54:55] /*v[310:311]*/, v[98:99] /*v[354:355]*/ op_sel:[1,1] op_sel_hi:[0,1]
	v_mov_b32_e32 v132, v101 /*v357*/
	s_set_vgpr_msb 0                        ;  msbs: dst=0 src0=0 src1=0 src2=0
	v_pk_add_f32 v[126:127], v[126:127], v[136:137]
	s_set_vgpr_msb 5                        ;  msbs: dst=0 src0=1 src1=1 src2=0
	v_pk_fma_f32 v[128:129], v[52:53] /*v[308:309]*/, v[88:89] /*v[344:345]*/, v[128:129] neg_lo:[0,0,1] neg_hi:[0,0,1]
	s_set_vgpr_msb 0                        ;  msbs: dst=0 src0=0 src1=0 src2=0
	v_mov_b32_e32 v129, v133
	s_set_vgpr_msb 5                        ;  msbs: dst=0 src0=1 src1=1 src2=0
	v_pk_fma_f32 v[136:137], v[54:55] /*v[310:311]*/, v[98:99] /*v[354:355]*/, v[130:131] op_sel_hi:[1,0,1]
	s_set_vgpr_msb 1                        ;  msbs: dst=0 src0=1 src1=0 src2=0
	v_pk_mul_f32 v[132:133], v[118:119] /*v[374:375]*/, v[132:133] op_sel_hi:[1,0]
	s_set_vgpr_msb 0                        ;  msbs: dst=0 src0=0 src1=0 src2=0
	v_pk_add_f32 v[126:127], v[126:127], v[134:135]
	s_set_vgpr_msb 5                        ;  msbs: dst=0 src0=1 src1=1 src2=0
	v_pk_fma_f32 v[130:131], v[54:55] /*v[310:311]*/, v[98:99] /*v[354:355]*/, v[130:131] neg_lo:[0,0,1] neg_hi:[0,0,1]
	s_set_vgpr_msb 0                        ;  msbs: dst=0 src0=0 src1=0 src2=0
	v_mov_b32_e32 v131, v137
	v_pk_add_f32 v[126:127], v[126:127], v[128:129]
	s_set_vgpr_msb 5                        ;  msbs: dst=0 src0=1 src1=1 src2=0
	v_pk_fma_f32 v[128:129], v[56:57] /*v[312:313]*/, v[100:101] /*v[356:357]*/, v[132:133] op_sel_hi:[1,0,1]
	v_pk_fma_f32 v[132:133], v[56:57] /*v[312:313]*/, v[100:101] /*v[356:357]*/, v[132:133] neg_lo:[0,0,1] neg_hi:[0,0,1]
	s_set_vgpr_msb 0                        ;  msbs: dst=0 src0=0 src1=0 src2=0
	v_pk_add_f32 v[126:127], v[126:127], v[130:131]
	s_delay_alu instid0(VALU_DEP_3) | instskip(NEXT) | instid1(VALU_DEP_1)
	v_mov_b32_e32 v133, v129
	v_pk_add_f32 v[126:127], v[126:127], v[132:133]
	s_set_vgpr_msb 1                        ;  msbs: dst=0 src0=1 src1=0 src2=0
	s_delay_alu instid0(VALU_DEP_1)
	v_pk_add_f32 v[126:127], v[110:111] /*v[366:367]*/, v[126:127] neg_lo:[0,1] neg_hi:[0,1]
	scratch_store_b64 off, v[126:127], off offset:8
	s_wait_xcnt 0x0
	v_cmpx_ne_u32_e32 0, v0
	s_set_vgpr_msb 0                        ;  msbs: dst=0 src0=0 src1=0 src2=0
	s_cbranch_execz .LBB61_385
; %bb.384:
	scratch_load_b64 v[126:127], off, off
	v_mov_b64_e32 v[128:129], 0
	scratch_store_b64 off, v[128:129], off
	s_wait_loadcnt 0x0
	ds_store_b64 v1, v[126:127]
.LBB61_385:
	s_wait_xcnt 0x0
	s_or_b32 exec_lo, exec_lo, s0
	s_wait_storecnt_dscnt 0x0
	s_barrier_signal -1
	s_barrier_wait -1
	s_clause 0x20
	scratch_load_b128 v[128:131], off, off offset:8
	scratch_load_b128 v[132:135], off, off offset:24
	;; [unrolled: 1-line block ×30, first 2 shown]
	scratch_load_b64 v[0:1], off, off offset:488
	s_set_vgpr_msb 64                       ;  msbs: dst=1 src0=0 src1=0 src2=0
	scratch_load_b64 v[112:113] /*v[368:369]*/, off, off
	s_set_vgpr_msb 0                        ;  msbs: dst=0 src0=0 src1=0 src2=0
	v_mov_b32_e32 v126, 0
	ds_load_2addr_b64 v[248:251], v126 offset0:63 offset1:64
	ds_load_2addr_b64 v[252:255], v126 offset0:65 offset1:66
	s_set_vgpr_msb 64                       ;  msbs: dst=1 src0=0 src1=0 src2=0
	ds_load_2addr_b64 v[0:3] /*v[256:259]*/, v126 offset0:67 offset1:68
	ds_load_2addr_b64 v[4:7] /*v[260:263]*/, v126 offset0:69 offset1:70
	;; [unrolled: 1-line block ×28, first 2 shown]
	ds_load_b64 v[114:115] /*v[370:371]*/, v126 offset:984
	s_wait_dscnt 0x14
	s_set_vgpr_msb 0x41                     ;  msbs: dst=1 src0=1 src1=0 src2=0
	v_dual_mov_b32 v116 /*v372*/, v35 /*v291*/ :: v_dual_mov_b32 v117 /*v373*/, v34 /*v290*/
	s_wait_dscnt 0x11
	v_dual_mov_b32 v118 /*v374*/, v47 /*v303*/ :: v_dual_mov_b32 v119 /*v375*/, v46 /*v302*/
	s_wait_dscnt 0x10
	;; [unrolled: 2-line block ×3, first 2 shown]
	v_dual_mov_b32 v122 /*v378*/, v63 /*v319*/ :: v_dual_mov_b32 v123 /*v379*/, v62 /*v318*/
	s_and_b32 vcc_lo, exec_lo, s18
	s_wait_loadcnt 0x1f
	s_set_vgpr_msb 0                        ;  msbs: dst=0 src0=0 src1=0 src2=0
	v_dual_mul_f32 v127, v248, v129 :: v_dual_mul_f32 v129, v249, v129
	s_wait_loadcnt 0x1e
	s_set_vgpr_msb 64                       ;  msbs: dst=1 src0=0 src1=0 src2=0
	v_dual_mul_f32 v124 /*v380*/, v250, v131 :: v_dual_mul_f32 v126 /*v382*/, v252, v133
	s_set_vgpr_msb 0                        ;  msbs: dst=0 src0=0 src1=0 src2=0
	v_dual_mul_f32 v131, v251, v131 :: v_dual_fmac_f32 v127, v249, v128
	v_fma_f32 v128, v248, v128, -v129
	s_set_vgpr_msb 64                       ;  msbs: dst=1 src0=0 src1=0 src2=0
	v_dual_mul_f32 v128 /*v384*/, v254, v135 :: v_dual_fmac_f32 v124 /*v380*/, v251, v130
	s_set_vgpr_msb 0                        ;  msbs: dst=0 src0=0 src1=0 src2=0
	v_dual_mul_f32 v133, v253, v133 :: v_dual_mul_f32 v135, v255, v135
	v_dual_fma_f32 v130, v250, v130, -v131 :: v_dual_add_f32 v127, 0, v127
	s_wait_loadcnt 0x1b
	s_set_vgpr_msb 1                        ;  msbs: dst=0 src0=1 src1=0 src2=0
	v_dual_add_f32 v128, 0, v128 :: v_dual_mul_f32 v131, v9 /*v265*/, v145
	s_set_vgpr_msb 64                       ;  msbs: dst=1 src0=0 src1=0 src2=0
	v_dual_fmac_f32 v126 /*v382*/, v253, v132 :: v_dual_fmac_f32 v128 /*v384*/, v255, v134
	s_set_vgpr_msb 0                        ;  msbs: dst=0 src0=0 src1=0 src2=0
	v_dual_fma_f32 v132, v252, v132, -v133 :: v_dual_fma_f32 v133, v254, v134, -v135
	s_set_vgpr_msb 4                        ;  msbs: dst=0 src0=0 src1=1 src2=0
	v_add_f32_e32 v127, v127, v124 /*v380*/
	s_set_vgpr_msb 0                        ;  msbs: dst=0 src0=0 src1=0 src2=0
	v_add_f32_e32 v128, v128, v130
	s_set_vgpr_msb 0x41                     ;  msbs: dst=1 src0=1 src1=0 src2=0
	v_dual_mul_f32 v129 /*v385*/, v0 /*v256*/, v137 :: v_dual_mul_f32 v130 /*v386*/, v2 /*v258*/, v139
	s_set_vgpr_msb 1                        ;  msbs: dst=0 src0=1 src1=0 src2=0
	v_dual_mul_f32 v137, v1 /*v257*/, v137 :: v_dual_mul_f32 v139, v3 /*v259*/, v139
	s_set_vgpr_msb 4                        ;  msbs: dst=0 src0=0 src1=1 src2=0
	v_add_f32_e32 v127, v127, v126 /*v382*/
	s_set_vgpr_msb 0                        ;  msbs: dst=0 src0=0 src1=0 src2=0
	v_add_f32_e32 v128, v128, v132
	s_wait_loadcnt 0x5
	s_set_vgpr_msb 0x41                     ;  msbs: dst=1 src0=1 src1=0 src2=0
	v_dual_mul_f32 v127 /*v383*/, v32 /*v288*/, v233 :: v_dual_fmac_f32 v129 /*v385*/, v1 /*v257*/, v136
	s_set_vgpr_msb 1                        ;  msbs: dst=0 src0=1 src1=0 src2=0
	v_fma_f32 v134, v0 /*v256*/, v136, -v137
	s_set_vgpr_msb 4                        ;  msbs: dst=0 src0=0 src1=1 src2=0
	v_add_f32_e32 v127, v127, v128 /*v384*/
	s_set_vgpr_msb 0                        ;  msbs: dst=0 src0=0 src1=0 src2=0
	v_add_f32_e32 v128, v128, v133
	s_set_vgpr_msb 0x41                     ;  msbs: dst=1 src0=1 src1=0 src2=0
	v_dual_mul_f32 v131 /*v387*/, v4 /*v260*/, v141 :: v_dual_mul_f32 v132 /*v388*/, v6 /*v262*/, v143
	s_set_vgpr_msb 1                        ;  msbs: dst=0 src0=1 src1=0 src2=0
	v_dual_mul_f32 v141, v5 /*v261*/, v141 :: v_dual_mul_f32 v129, v7 /*v263*/, v143
	v_mul_f32_e32 v133, v15 /*v271*/, v151
	s_set_vgpr_msb 0x41                     ;  msbs: dst=1 src0=1 src1=0 src2=0
	v_dual_fmac_f32 v130 /*v386*/, v3 /*v259*/, v138 :: v_dual_fmac_f32 v131 /*v387*/, v5 /*v261*/, v140
	s_set_vgpr_msb 1                        ;  msbs: dst=0 src0=1 src1=0 src2=0
	v_fma_f32 v135, v2 /*v258*/, v138, -v139
	s_set_vgpr_msb 4                        ;  msbs: dst=0 src0=0 src1=1 src2=0
	v_add_f32_e32 v127, v127, v129 /*v385*/
	s_set_vgpr_msb 0                        ;  msbs: dst=0 src0=0 src1=0 src2=0
	v_add_f32_e32 v128, v128, v134
	s_set_vgpr_msb 1                        ;  msbs: dst=0 src0=1 src1=0 src2=0
	v_dual_mul_f32 v134, v17 /*v273*/, v153 :: v_dual_fma_f32 v136, v4 /*v260*/, v140, -v141
	s_set_vgpr_msb 0x41                     ;  msbs: dst=1 src0=1 src1=0 src2=0
	v_dual_mul_f32 v133 /*v389*/, v8 /*v264*/, v145 :: v_dual_mul_f32 v134 /*v390*/, v10 /*v266*/, v147
	s_set_vgpr_msb 4                        ;  msbs: dst=0 src0=0 src1=1 src2=0
	v_add_f32_e32 v127, v127, v130 /*v386*/
	s_set_vgpr_msb 0                        ;  msbs: dst=0 src0=0 src1=0 src2=0
	v_add_f32_e32 v128, v128, v135
	s_set_vgpr_msb 1                        ;  msbs: dst=0 src0=1 src1=0 src2=0
	v_mul_f32_e32 v135, v19 /*v275*/, v155
	s_set_vgpr_msb 0x41                     ;  msbs: dst=1 src0=1 src1=0 src2=0
	v_dual_fmac_f32 v132 /*v388*/, v7 /*v263*/, v142 :: v_dual_fmac_f32 v133 /*v389*/, v9 /*v265*/, v144
	s_set_vgpr_msb 1                        ;  msbs: dst=0 src0=1 src1=0 src2=0
	v_fma_f32 v129, v6 /*v262*/, v142, -v129
	s_set_vgpr_msb 4                        ;  msbs: dst=0 src0=0 src1=1 src2=0
	v_add_f32_e32 v127, v127, v131 /*v387*/
	s_set_vgpr_msb 0                        ;  msbs: dst=0 src0=0 src1=0 src2=0
	v_add_f32_e32 v128, v128, v136
	s_set_vgpr_msb 1                        ;  msbs: dst=0 src0=1 src1=0 src2=0
	v_dual_mul_f32 v130, v11 /*v267*/, v147 :: v_dual_mul_f32 v132, v13 /*v269*/, v149
	v_dual_mul_f32 v136, v21 /*v277*/, v157 :: v_dual_fma_f32 v131, v8 /*v264*/, v144, -v131
	s_set_vgpr_msb 4                        ;  msbs: dst=0 src0=0 src1=1 src2=0
	v_add_f32_e32 v127, v127, v132 /*v388*/
	s_set_vgpr_msb 0                        ;  msbs: dst=0 src0=0 src1=0 src2=0
	v_add_f32_e32 v128, v128, v129
	s_set_vgpr_msb 0x41                     ;  msbs: dst=1 src0=1 src1=0 src2=0
	v_dual_mul_f32 v135 /*v391*/, v12 /*v268*/, v149 :: v_dual_mul_f32 v136 /*v392*/, v14 /*v270*/, v151
	s_set_vgpr_msb 1                        ;  msbs: dst=0 src0=1 src1=0 src2=0
	v_mul_f32_e32 v129, v23 /*v279*/, v159
	s_set_vgpr_msb 0x41                     ;  msbs: dst=1 src0=1 src1=0 src2=0
	v_fmac_f32_e32 v134 /*v390*/, v11 /*v267*/, v146
	s_set_vgpr_msb 1                        ;  msbs: dst=0 src0=1 src1=0 src2=0
	v_fma_f32 v130, v10 /*v266*/, v146, -v130
	s_set_vgpr_msb 4                        ;  msbs: dst=0 src0=0 src1=1 src2=0
	v_add_f32_e32 v127, v127, v133 /*v389*/
	s_set_vgpr_msb 0                        ;  msbs: dst=0 src0=0 src1=0 src2=0
	v_add_f32_e32 v128, v128, v131
	s_set_vgpr_msb 1                        ;  msbs: dst=0 src0=1 src1=0 src2=0
	v_mul_f32_e32 v131, v25 /*v281*/, v161
	s_set_vgpr_msb 0x41                     ;  msbs: dst=1 src0=1 src1=0 src2=0
	v_fmac_f32_e32 v135 /*v391*/, v13 /*v269*/, v148
	s_set_vgpr_msb 1                        ;  msbs: dst=0 src0=1 src1=0 src2=0
	v_fma_f32 v132, v12 /*v268*/, v148, -v132
	s_set_vgpr_msb 4                        ;  msbs: dst=0 src0=0 src1=1 src2=0
	v_add_f32_e32 v127, v127, v134 /*v390*/
	s_set_vgpr_msb 0                        ;  msbs: dst=0 src0=0 src1=0 src2=0
	v_add_f32_e32 v128, v128, v130
	s_set_vgpr_msb 0x41                     ;  msbs: dst=1 src0=1 src1=0 src2=0
	v_dual_mul_f32 v137 /*v393*/, v16 /*v272*/, v153 :: v_dual_mul_f32 v138 /*v394*/, v18 /*v274*/, v155
	s_set_vgpr_msb 1                        ;  msbs: dst=0 src0=1 src1=0 src2=0
	v_mul_f32_e32 v130, v27 /*v283*/, v163
	s_set_vgpr_msb 0x41                     ;  msbs: dst=1 src0=1 src1=0 src2=0
	v_fmac_f32_e32 v136 /*v392*/, v15 /*v271*/, v150
	s_set_vgpr_msb 1                        ;  msbs: dst=0 src0=1 src1=0 src2=0
	v_fma_f32 v133, v14 /*v270*/, v150, -v133
	s_set_vgpr_msb 4                        ;  msbs: dst=0 src0=0 src1=1 src2=0
	v_add_f32_e32 v127, v127, v135 /*v391*/
	s_set_vgpr_msb 0                        ;  msbs: dst=0 src0=0 src1=0 src2=0
	v_add_f32_e32 v128, v128, v132
	s_set_vgpr_msb 1                        ;  msbs: dst=0 src0=1 src1=0 src2=0
	v_mul_f32_e32 v132, v29 /*v285*/, v165
	s_set_vgpr_msb 0x41                     ;  msbs: dst=1 src0=1 src1=0 src2=0
	v_fmac_f32_e32 v137 /*v393*/, v17 /*v273*/, v152
	s_set_vgpr_msb 1                        ;  msbs: dst=0 src0=1 src1=0 src2=0
	v_fma_f32 v134, v16 /*v272*/, v152, -v134
	;; [unrolled: 22-line block ×6, first 2 shown]
	s_set_vgpr_msb 4                        ;  msbs: dst=0 src0=0 src1=1 src2=0
	v_add_f32_e32 v127, v127, v144 /*v400*/
	s_set_vgpr_msb 0                        ;  msbs: dst=0 src0=0 src1=0 src2=0
	v_add_f32_e32 v128, v128, v133
	s_set_vgpr_msb 0x41                     ;  msbs: dst=1 src0=1 src1=0 src2=0
	v_dual_mul_f32 v147 /*v403*/, v40 /*v296*/, v173 :: v_dual_mul_f32 v148 /*v404*/, v42 /*v298*/, v175
	s_set_vgpr_msb 1                        ;  msbs: dst=0 src0=1 src1=0 src2=0
	v_mul_f32_e32 v133, v59 /*v315*/, v183
	s_set_vgpr_msb 0x41                     ;  msbs: dst=1 src0=1 src1=0 src2=0
	v_fmac_f32_e32 v146 /*v402*/, v39 /*v295*/, v170
	s_set_vgpr_msb 1                        ;  msbs: dst=0 src0=1 src1=0 src2=0
	v_fma_f32 v135, v38 /*v294*/, v170, -v135
	s_set_vgpr_msb 4                        ;  msbs: dst=0 src0=0 src1=1 src2=0
	v_add_f32_e32 v127, v127, v145 /*v401*/
	s_set_vgpr_msb 0                        ;  msbs: dst=0 src0=0 src1=0 src2=0
	v_add_f32_e32 v128, v128, v134
	s_wait_dscnt 0xc
	s_set_vgpr_msb 1                        ;  msbs: dst=0 src0=1 src1=0 src2=0
	v_mul_f32_e32 v134, v65 /*v321*/, v185
	s_set_vgpr_msb 0x41                     ;  msbs: dst=1 src0=1 src1=0 src2=0
	v_fmac_f32_e32 v147 /*v403*/, v41 /*v297*/, v172
	s_set_vgpr_msb 1                        ;  msbs: dst=0 src0=1 src1=0 src2=0
	v_fma_f32 v136, v40 /*v296*/, v172, -v136
	s_set_vgpr_msb 4                        ;  msbs: dst=0 src0=0 src1=1 src2=0
	v_add_f32_e32 v127, v127, v146 /*v402*/
	s_set_vgpr_msb 0                        ;  msbs: dst=0 src0=0 src1=0 src2=0
	v_add_f32_e32 v128, v128, v135
	s_set_vgpr_msb 0x41                     ;  msbs: dst=1 src0=1 src1=0 src2=0
	v_dual_mul_f32 v149 /*v405*/, v52 /*v308*/, v177 :: v_dual_mul_f32 v150 /*v406*/, v54 /*v310*/, v179
	s_set_vgpr_msb 1                        ;  msbs: dst=0 src0=1 src1=0 src2=0
	v_mul_f32_e32 v135, v67 /*v323*/, v187
	s_set_vgpr_msb 0x41                     ;  msbs: dst=1 src0=1 src1=0 src2=0
	v_fmac_f32_e32 v148 /*v404*/, v43 /*v299*/, v174
	s_set_vgpr_msb 1                        ;  msbs: dst=0 src0=1 src1=0 src2=0
	v_fma_f32 v129, v42 /*v298*/, v174, -v129
	s_set_vgpr_msb 4                        ;  msbs: dst=0 src0=0 src1=1 src2=0
	v_add_f32_e32 v127, v127, v147 /*v403*/
	s_set_vgpr_msb 0                        ;  msbs: dst=0 src0=0 src1=0 src2=0
	v_add_f32_e32 v128, v128, v136
	s_wait_dscnt 0xb
	s_set_vgpr_msb 1                        ;  msbs: dst=0 src0=1 src1=0 src2=0
	v_mul_f32_e32 v136, v69 /*v325*/, v189
	s_set_vgpr_msb 0x41                     ;  msbs: dst=1 src0=1 src1=0 src2=0
	v_fmac_f32_e32 v149 /*v405*/, v53 /*v309*/, v176
	s_set_vgpr_msb 1                        ;  msbs: dst=0 src0=1 src1=0 src2=0
	v_fma_f32 v131, v52 /*v308*/, v176, -v131
	;; [unrolled: 23-line block ×10, first 2 shown]
	s_set_vgpr_msb 4                        ;  msbs: dst=0 src0=0 src1=1 src2=0
	v_add_f32_e32 v127, v127, v164 /*v420*/
	s_set_vgpr_msb 0                        ;  msbs: dst=0 src0=0 src1=0 src2=0
	v_add_f32_e32 v128, v128, v129
	s_set_vgpr_msb 0x41                     ;  msbs: dst=1 src0=1 src1=0 src2=0
	v_dual_mul_f32 v167 /*v423*/, v92 /*v348*/, v213 :: v_dual_mul_f32 v168 /*v424*/, v94 /*v350*/, v215
	s_set_vgpr_msb 1                        ;  msbs: dst=0 src0=1 src1=0 src2=0
	v_mul_f32_e32 v129, v103 /*v359*/, v223
	s_set_vgpr_msb 0x41                     ;  msbs: dst=1 src0=1 src1=0 src2=0
	v_fmac_f32_e32 v166 /*v422*/, v91 /*v347*/, v210
	s_wait_dscnt 0x2
	s_set_vgpr_msb 1                        ;  msbs: dst=0 src0=1 src1=0 src2=0
	v_dual_fma_f32 v130, v90 /*v346*/, v210, -v130 :: v_dual_mul_f32 v137, v105 /*v361*/, v225
	s_set_vgpr_msb 4                        ;  msbs: dst=0 src0=0 src1=1 src2=0
	v_add_f32_e32 v127, v127, v165 /*v421*/
	s_set_vgpr_msb 0                        ;  msbs: dst=0 src0=0 src1=0 src2=0
	v_add_f32_e32 v128, v128, v131
	s_set_vgpr_msb 0x41                     ;  msbs: dst=1 src0=1 src1=0 src2=0
	v_fmac_f32_e32 v167 /*v423*/, v93 /*v349*/, v212
	s_set_vgpr_msb 1                        ;  msbs: dst=0 src0=1 src1=0 src2=0
	v_dual_fma_f32 v131, v92 /*v348*/, v212, -v132 :: v_dual_mul_f32 v138, v107 /*v363*/, v227
	s_set_vgpr_msb 4                        ;  msbs: dst=0 src0=0 src1=1 src2=0
	v_add_f32_e32 v127, v127, v166 /*v422*/
	s_set_vgpr_msb 0                        ;  msbs: dst=0 src0=0 src1=0 src2=0
	v_add_f32_e32 v128, v128, v130
	s_set_vgpr_msb 0x41                     ;  msbs: dst=1 src0=1 src1=0 src2=0
	v_dual_mul_f32 v169 /*v425*/, v96 /*v352*/, v217 :: v_dual_mul_f32 v170 /*v426*/, v98 /*v354*/, v219
	v_fmac_f32_e32 v168 /*v424*/, v95 /*v351*/, v214
	s_wait_dscnt 0x1
	s_set_vgpr_msb 1                        ;  msbs: dst=0 src0=1 src1=0 src2=0
	v_dual_fma_f32 v130, v94 /*v350*/, v214, -v133 :: v_dual_mul_f32 v133, v109 /*v365*/, v229
	s_set_vgpr_msb 4                        ;  msbs: dst=0 src0=0 src1=1 src2=0
	v_add_f32_e32 v127, v127, v167 /*v423*/
	s_set_vgpr_msb 0                        ;  msbs: dst=0 src0=0 src1=0 src2=0
	v_add_f32_e32 v128, v128, v131
	s_set_vgpr_msb 0x41                     ;  msbs: dst=1 src0=1 src1=0 src2=0
	v_fmac_f32_e32 v169 /*v425*/, v97 /*v353*/, v216
	s_set_vgpr_msb 1                        ;  msbs: dst=0 src0=1 src1=0 src2=0
	v_dual_fma_f32 v131, v96 /*v352*/, v216, -v134 :: v_dual_mul_f32 v139, v111 /*v367*/, v231
	s_set_vgpr_msb 4                        ;  msbs: dst=0 src0=0 src1=1 src2=0
	v_add_f32_e32 v127, v127, v168 /*v424*/
	s_set_vgpr_msb 0                        ;  msbs: dst=0 src0=0 src1=0 src2=0
	v_add_f32_e32 v128, v128, v130
	s_set_vgpr_msb 0x41                     ;  msbs: dst=1 src0=1 src1=0 src2=0
	v_dual_mul_f32 v171 /*v427*/, v100 /*v356*/, v221 :: v_dual_mul_f32 v172 /*v428*/, v102 /*v358*/, v223
	v_fmac_f32_e32 v170 /*v426*/, v99 /*v355*/, v218
	s_set_vgpr_msb 1                        ;  msbs: dst=0 src0=1 src1=0 src2=0
	v_dual_fma_f32 v130, v98 /*v354*/, v218, -v135 :: v_dual_mul_f32 v140, v33 /*v289*/, v233
	s_set_vgpr_msb 4                        ;  msbs: dst=0 src0=0 src1=1 src2=0
	v_add_f32_e32 v127, v127, v169 /*v425*/
	s_set_vgpr_msb 0                        ;  msbs: dst=0 src0=0 src1=0 src2=0
	v_add_f32_e32 v128, v128, v131
	s_set_vgpr_msb 0x41                     ;  msbs: dst=1 src0=1 src1=0 src2=0
	v_fmac_f32_e32 v171 /*v427*/, v101 /*v357*/, v220
	s_set_vgpr_msb 1                        ;  msbs: dst=0 src0=1 src1=0 src2=0
	v_dual_fma_f32 v131, v100 /*v356*/, v220, -v136 :: v_dual_fma_f32 v129, v102 /*v358*/, v222, -v129
	s_set_vgpr_msb 4                        ;  msbs: dst=0 src0=0 src1=1 src2=0
	v_add_f32_e32 v127, v127, v170 /*v426*/
	s_set_vgpr_msb 0                        ;  msbs: dst=0 src0=0 src1=0 src2=0
	v_dual_add_f32 v130, v128, v130 :: v_dual_mov_b32 v128, v235
	s_set_vgpr_msb 0x41                     ;  msbs: dst=1 src0=1 src1=0 src2=0
	v_dual_mul_f32 v173 /*v429*/, v104 /*v360*/, v225 :: v_dual_mul_f32 v174 /*v430*/, v106 /*v362*/, v227
	v_fmac_f32_e32 v172 /*v428*/, v103 /*v359*/, v222
	s_set_vgpr_msb 4                        ;  msbs: dst=0 src0=0 src1=1 src2=0
	v_add_f32_e32 v127, v127, v171 /*v427*/
	s_set_vgpr_msb 0                        ;  msbs: dst=0 src0=0 src1=0 src2=0
	v_add_f32_e32 v132, v130, v131
	s_set_vgpr_msb 0x41                     ;  msbs: dst=1 src0=1 src1=0 src2=0
	v_fmac_f32_e32 v173 /*v429*/, v105 /*v361*/, v224
	s_set_vgpr_msb 1                        ;  msbs: dst=0 src0=1 src1=0 src2=0
	v_dual_fma_f32 v134, v104 /*v360*/, v224, -v137 :: v_dual_fma_f32 v136, v106 /*v362*/, v226, -v138
	s_set_vgpr_msb 4                        ;  msbs: dst=0 src0=0 src1=1 src2=0
	v_add_f32_e32 v127, v127, v172 /*v428*/
	s_set_vgpr_msb 0                        ;  msbs: dst=0 src0=0 src1=0 src2=0
	v_add_f32_e32 v129, v132, v129
	s_set_vgpr_msb 0x41                     ;  msbs: dst=1 src0=1 src1=0 src2=0
	v_dual_mul_f32 v175 /*v431*/, v108 /*v364*/, v229 :: v_dual_mul_f32 v125 /*v381*/, v110 /*v366*/, v231
	v_fmac_f32_e32 v174 /*v430*/, v107 /*v363*/, v226
	s_set_vgpr_msb 4                        ;  msbs: dst=0 src0=0 src1=1 src2=0
	v_add_f32_e32 v127, v127, v173 /*v429*/
	s_set_vgpr_msb 0                        ;  msbs: dst=0 src0=0 src1=0 src2=0
	v_add_f32_e32 v129, v129, v134
	s_set_vgpr_msb 0x41                     ;  msbs: dst=1 src0=1 src1=0 src2=0
	v_fmac_f32_e32 v175 /*v431*/, v109 /*v365*/, v228
	s_set_vgpr_msb 1                        ;  msbs: dst=0 src0=1 src1=0 src2=0
	v_fma_f32 v133, v108 /*v364*/, v228, -v133
	s_set_vgpr_msb 0x41                     ;  msbs: dst=1 src0=1 src1=0 src2=0
	v_dual_fmac_f32 v125 /*v381*/, v111 /*v367*/, v230 :: v_dual_fmac_f32 v127 /*v383*/, v33 /*v289*/, v232
	s_set_vgpr_msb 4                        ;  msbs: dst=0 src0=0 src1=1 src2=0
	v_add_f32_e32 v127, v127, v174 /*v430*/
	s_set_vgpr_msb 0                        ;  msbs: dst=0 src0=0 src1=0 src2=0
	v_add_f32_e32 v136, v129, v136
	s_set_vgpr_msb 0x41                     ;  msbs: dst=1 src0=1 src1=0 src2=0
	v_dual_fma_f32 v124 /*v380*/, v110 /*v366*/, v230, -v139 :: v_dual_fma_f32 v126 /*v382*/, v32 /*v288*/, v232, -v140
	s_set_vgpr_msb 1                        ;  msbs: dst=0 src0=1 src1=0 src2=0
	v_pk_mul_f32 v[128:129], v[116:117] /*v[372:373]*/, v[128:129] op_sel_hi:[1,0]
	s_set_vgpr_msb 4                        ;  msbs: dst=0 src0=0 src1=1 src2=0
	v_add_f32_e32 v137, v127, v175 /*v431*/
	s_set_vgpr_msb 0                        ;  msbs: dst=0 src0=0 src1=0 src2=0
	v_add_f32_e32 v136, v136, v133
	s_wait_loadcnt 0x4
	s_set_vgpr_msb 1                        ;  msbs: dst=0 src0=1 src1=0 src2=0
	v_pk_mul_f32 v[130:131], v[44:45] /*v[300:301]*/, v[236:237] op_sel:[1,1] op_sel_hi:[0,1]
	s_set_vgpr_msb 0                        ;  msbs: dst=0 src0=0 src1=0 src2=0
	v_mov_b32_e32 v132, v239
	s_set_vgpr_msb 1                        ;  msbs: dst=0 src0=1 src1=0 src2=0
	v_pk_fma_f32 v[140:141], v[34:35] /*v[290:291]*/, v[234:235], v[128:129] op_sel_hi:[1,0,1]
	v_pk_fma_f32 v[128:129], v[34:35] /*v[290:291]*/, v[234:235], v[128:129] neg_lo:[0,0,1] neg_hi:[0,0,1]
	s_set_vgpr_msb 4                        ;  msbs: dst=0 src0=0 src1=1 src2=0
	v_pk_add_f32 v[136:137], v[136:137], v[124:125] /*v[380:381]*/
	s_set_vgpr_msb 1                        ;  msbs: dst=0 src0=1 src1=0 src2=0
	v_pk_fma_f32 v[142:143], v[44:45] /*v[300:301]*/, v[236:237], v[130:131] op_sel_hi:[1,0,1]
	v_pk_mul_f32 v[132:133], v[118:119] /*v[374:375]*/, v[132:133] op_sel_hi:[1,0]
	s_set_vgpr_msb 0                        ;  msbs: dst=0 src0=0 src1=0 src2=0
	v_mov_b32_e32 v129, v141
	s_set_vgpr_msb 1                        ;  msbs: dst=0 src0=1 src1=0 src2=0
	v_pk_fma_f32 v[130:131], v[44:45] /*v[300:301]*/, v[236:237], v[130:131] neg_lo:[0,0,1] neg_hi:[0,0,1]
	s_set_vgpr_msb 4                        ;  msbs: dst=0 src0=0 src1=1 src2=0
	v_pk_add_f32 v[136:137], v[136:137], v[126:127] /*v[382:383]*/
	s_wait_loadcnt 0x3
	s_set_vgpr_msb 1                        ;  msbs: dst=0 src0=1 src1=0 src2=0
	v_pk_mul_f32 v[134:135], v[48:49] /*v[304:305]*/, v[240:241] op_sel:[1,1] op_sel_hi:[0,1]
	s_set_vgpr_msb 0                        ;  msbs: dst=0 src0=0 src1=0 src2=0
	v_dual_mov_b32 v138, v243 :: v_dual_mov_b32 v131, v143
	s_set_vgpr_msb 1                        ;  msbs: dst=0 src0=1 src1=0 src2=0
	v_pk_fma_f32 v[142:143], v[46:47] /*v[302:303]*/, v[238:239], v[132:133] op_sel_hi:[1,0,1]
	s_set_vgpr_msb 0                        ;  msbs: dst=0 src0=0 src1=0 src2=0
	v_pk_add_f32 v[128:129], v[136:137], v[128:129]
	s_set_vgpr_msb 1                        ;  msbs: dst=0 src0=1 src1=0 src2=0
	v_pk_fma_f32 v[132:133], v[46:47] /*v[302:303]*/, v[238:239], v[132:133] neg_lo:[0,0,1] neg_hi:[0,0,1]
	v_pk_fma_f32 v[136:137], v[48:49] /*v[304:305]*/, v[240:241], v[134:135] op_sel_hi:[1,0,1]
	v_pk_mul_f32 v[138:139], v[120:121] /*v[376:377]*/, v[138:139] op_sel_hi:[1,0]
	s_set_vgpr_msb 0                        ;  msbs: dst=0 src0=0 src1=0 src2=0
	v_mov_b32_e32 v133, v143
	v_pk_add_f32 v[128:129], v[128:129], v[130:131]
	s_set_vgpr_msb 1                        ;  msbs: dst=0 src0=1 src1=0 src2=0
	v_pk_fma_f32 v[134:135], v[48:49] /*v[304:305]*/, v[240:241], v[134:135] neg_lo:[0,0,1] neg_hi:[0,0,1]
	s_wait_loadcnt 0x2
	v_pk_mul_f32 v[140:141], v[60:61] /*v[316:317]*/, v[244:245] op_sel:[1,1] op_sel_hi:[0,1]
	s_set_vgpr_msb 0                        ;  msbs: dst=0 src0=0 src1=0 src2=0
	v_dual_mov_b32 v130, v247 :: v_dual_mov_b32 v135, v137
	s_set_vgpr_msb 1                        ;  msbs: dst=0 src0=1 src1=0 src2=0
	v_pk_fma_f32 v[136:137], v[50:51] /*v[306:307]*/, v[242:243], v[138:139] op_sel_hi:[1,0,1]
	s_set_vgpr_msb 0                        ;  msbs: dst=0 src0=0 src1=0 src2=0
	v_pk_add_f32 v[128:129], v[128:129], v[132:133]
	s_set_vgpr_msb 1                        ;  msbs: dst=0 src0=1 src1=0 src2=0
	v_pk_fma_f32 v[138:139], v[50:51] /*v[306:307]*/, v[242:243], v[138:139] neg_lo:[0,0,1] neg_hi:[0,0,1]
	v_pk_fma_f32 v[132:133], v[60:61] /*v[316:317]*/, v[244:245], v[140:141] op_sel_hi:[1,0,1]
	v_pk_mul_f32 v[130:131], v[122:123] /*v[378:379]*/, v[130:131] op_sel_hi:[1,0]
	s_set_vgpr_msb 0                        ;  msbs: dst=0 src0=0 src1=0 src2=0
	v_mov_b32_e32 v139, v137
	v_pk_add_f32 v[128:129], v[128:129], v[134:135]
	s_set_vgpr_msb 1                        ;  msbs: dst=0 src0=1 src1=0 src2=0
	v_pk_fma_f32 v[136:137], v[60:61] /*v[316:317]*/, v[244:245], v[140:141] neg_lo:[0,0,1] neg_hi:[0,0,1]
	s_wait_loadcnt_dscnt 0x100
	v_pk_mul_f32 v[134:135], v[114:115] /*v[370:371]*/, v[0:1] op_sel:[1,1] op_sel_hi:[0,1]
	s_set_vgpr_msb 0                        ;  msbs: dst=0 src0=0 src1=0 src2=0
	v_mov_b32_e32 v137, v133
	s_set_vgpr_msb 1                        ;  msbs: dst=0 src0=1 src1=0 src2=0
	v_pk_fma_f32 v[132:133], v[62:63] /*v[318:319]*/, v[246:247], v[130:131] op_sel_hi:[1,0,1]
	s_set_vgpr_msb 0                        ;  msbs: dst=0 src0=0 src1=0 src2=0
	v_pk_add_f32 v[128:129], v[128:129], v[138:139]
	s_set_vgpr_msb 1                        ;  msbs: dst=0 src0=1 src1=0 src2=0
	v_pk_fma_f32 v[130:131], v[62:63] /*v[318:319]*/, v[246:247], v[130:131] neg_lo:[0,0,1] neg_hi:[0,0,1]
	v_pk_fma_f32 v[138:139], v[114:115] /*v[370:371]*/, v[0:1], v[134:135] op_sel_hi:[1,0,1]
	v_pk_fma_f32 v[0:1], v[114:115] /*v[370:371]*/, v[0:1], v[134:135] neg_lo:[0,0,1] neg_hi:[0,0,1]
	s_set_vgpr_msb 0                        ;  msbs: dst=0 src0=0 src1=0 src2=0
	v_mov_b32_e32 v131, v133
	v_pk_add_f32 v[128:129], v[128:129], v[136:137]
	v_mov_b32_e32 v1, v139
	s_delay_alu instid0(VALU_DEP_2) | instskip(NEXT) | instid1(VALU_DEP_1)
	v_pk_add_f32 v[128:129], v[128:129], v[130:131]
	v_pk_add_f32 v[0:1], v[128:129], v[0:1]
	s_wait_loadcnt 0x0
	s_set_vgpr_msb 1                        ;  msbs: dst=0 src0=1 src1=0 src2=0
	s_delay_alu instid0(VALU_DEP_1)
	v_pk_add_f32 v[0:1], v[112:113] /*v[368:369]*/, v[0:1] neg_lo:[0,1] neg_hi:[0,1]
	scratch_store_b64 off, v[0:1], off
	s_set_vgpr_msb 0                        ;  msbs: dst=0 src0=0 src1=0 src2=0
	s_cbranch_vccz .LBB61_508
; %bb.386:
	global_load_b32 v0, v126, s[2:3] offset:240
	s_wait_loadcnt 0x0
	v_cmp_ne_u32_e32 vcc_lo, 61, v0
	s_cbranch_vccz .LBB61_388
; %bb.387:
	v_lshlrev_b32_e32 v0, 3, v0
	s_delay_alu instid0(VALU_DEP_1)
	v_mov_b32_e32 v128, v0
	scratch_load_b64 v[0:1], v128, off offset:-8
	scratch_load_b64 v[126:127], off, off offset:480
	s_wait_loadcnt 0x1
	scratch_store_b64 off, v[0:1], off offset:480
	s_wait_loadcnt 0x0
	scratch_store_b64 v128, v[126:127], off offset:-8
.LBB61_388:
	s_wait_xcnt 0x1
	v_mov_b32_e32 v0, 0
	global_load_b32 v1, v0, s[2:3] offset:236
	s_wait_loadcnt 0x0
	v_cmp_eq_u32_e32 vcc_lo, 60, v1
	s_cbranch_vccnz .LBB61_390
; %bb.389:
	v_lshlrev_b32_e32 v1, 3, v1
	scratch_load_b64 v[126:127], v1, off offset:-8
	scratch_load_b64 v[128:129], off, off offset:472
	s_wait_loadcnt 0x1
	scratch_store_b64 off, v[126:127], off offset:472
	s_wait_loadcnt 0x0
	scratch_store_b64 v1, v[128:129], off offset:-8
.LBB61_390:
	global_load_b32 v0, v0, s[2:3] offset:232
	s_wait_loadcnt 0x0
	v_cmp_eq_u32_e32 vcc_lo, 59, v0
	s_cbranch_vccnz .LBB61_392
; %bb.391:
	s_wait_xcnt 0x0
	v_lshlrev_b32_e32 v0, 3, v0
	s_delay_alu instid0(VALU_DEP_1)
	v_mov_b32_e32 v128, v0
	scratch_load_b64 v[0:1], v128, off offset:-8
	scratch_load_b64 v[126:127], off, off offset:464
	s_wait_loadcnt 0x1
	scratch_store_b64 off, v[0:1], off offset:464
	s_wait_loadcnt 0x0
	scratch_store_b64 v128, v[126:127], off offset:-8
.LBB61_392:
	s_wait_xcnt 0x0
	v_mov_b32_e32 v0, 0
	global_load_b32 v1, v0, s[2:3] offset:228
	s_wait_loadcnt 0x0
	v_cmp_eq_u32_e32 vcc_lo, 58, v1
	s_cbranch_vccnz .LBB61_394
; %bb.393:
	v_lshlrev_b32_e32 v1, 3, v1
	scratch_load_b64 v[126:127], v1, off offset:-8
	scratch_load_b64 v[128:129], off, off offset:456
	s_wait_loadcnt 0x1
	scratch_store_b64 off, v[126:127], off offset:456
	s_wait_loadcnt 0x0
	scratch_store_b64 v1, v[128:129], off offset:-8
.LBB61_394:
	global_load_b32 v0, v0, s[2:3] offset:224
	s_wait_loadcnt 0x0
	v_cmp_eq_u32_e32 vcc_lo, 57, v0
	s_cbranch_vccnz .LBB61_396
; %bb.395:
	s_wait_xcnt 0x0
	v_lshlrev_b32_e32 v0, 3, v0
	s_delay_alu instid0(VALU_DEP_1)
	v_mov_b32_e32 v128, v0
	scratch_load_b64 v[0:1], v128, off offset:-8
	scratch_load_b64 v[126:127], off, off offset:448
	s_wait_loadcnt 0x1
	scratch_store_b64 off, v[0:1], off offset:448
	s_wait_loadcnt 0x0
	scratch_store_b64 v128, v[126:127], off offset:-8
.LBB61_396:
	;; [unrolled: 31-line block ×29, first 2 shown]
	s_wait_xcnt 0x0
	v_mov_b32_e32 v0, 0
	global_load_b32 v1, v0, s[2:3] offset:4
	s_wait_loadcnt 0x0
	v_cmp_eq_u32_e32 vcc_lo, 2, v1
	s_cbranch_vccnz .LBB61_506
; %bb.505:
	v_lshlrev_b32_e32 v1, 3, v1
	scratch_load_b64 v[126:127], v1, off offset:-8
	scratch_load_b64 v[128:129], off, off offset:8
	s_wait_loadcnt 0x1
	scratch_store_b64 off, v[126:127], off offset:8
	s_wait_loadcnt 0x0
	scratch_store_b64 v1, v[128:129], off offset:-8
.LBB61_506:
	global_load_b32 v126, v0, s[2:3]
	scratch_load_b64 v[0:1], off, off
	s_wait_loadcnt 0x1
	v_cmp_eq_u32_e32 vcc_lo, 1, v126
	s_cbranch_vccnz .LBB61_508
; %bb.507:
	v_lshlrev_b32_e32 v126, 3, v126
	s_delay_alu instid0(VALU_DEP_1)
	v_mov_b32_e32 v128, v126
	scratch_load_b64 v[126:127], v128, off offset:-8
	s_wait_loadcnt 0x0
	scratch_store_b64 off, v[126:127], off
	scratch_store_b64 v128, v[0:1], off offset:-8
	scratch_load_b64 v[0:1], off, off
.LBB61_508:
	s_clause 0x1e
	scratch_load_b128 v[126:129], off, off offset:8
	scratch_load_b128 v[130:133], off, off offset:24
	;; [unrolled: 1-line block ×30, first 2 shown]
	scratch_load_b64 v[246:247], off, off offset:488
	v_lshl_add_u64 v[6:7], v[6:7], 3, s[4:5]
	v_lshl_add_u64 v[8:9], v[8:9], 3, s[4:5]
	;; [unrolled: 1-line block ×60, first 2 shown]
	s_wait_loadcnt 0x1f
	global_store_b64 v[2:3], v[0:1], off
	s_wait_loadcnt 0x1e
	s_clause 0x1
	global_store_b64 v[4:5], v[126:127], off
	global_store_b64 v[6:7], v[128:129], off
	s_wait_loadcnt 0x1d
	s_clause 0x1
	global_store_b64 v[8:9], v[130:131], off
	;; [unrolled: 4-line block ×30, first 2 shown]
	global_store_b64 v[122:123], v[244:245], off
	s_wait_loadcnt 0x0
	global_store_b64 v[124:125], v[246:247], off
	s_sendmsg sendmsg(MSG_DEALLOC_VGPRS)
	s_endpgm
	.section	.rodata,"a",@progbits
	.p2align	6, 0x0
	.amdhsa_kernel _ZN9rocsolver6v33100L18getri_kernel_smallILi62E19rocblas_complex_numIfEPS3_EEvT1_iilPiilS6_bb
		.amdhsa_group_segment_fixed_size 996
		.amdhsa_private_segment_fixed_size 512
		.amdhsa_kernarg_size 60
		.amdhsa_user_sgpr_count 2
		.amdhsa_user_sgpr_dispatch_ptr 0
		.amdhsa_user_sgpr_queue_ptr 0
		.amdhsa_user_sgpr_kernarg_segment_ptr 1
		.amdhsa_user_sgpr_dispatch_id 0
		.amdhsa_user_sgpr_kernarg_preload_length 0
		.amdhsa_user_sgpr_kernarg_preload_offset 0
		.amdhsa_user_sgpr_private_segment_size 0
		.amdhsa_wavefront_size32 1
		.amdhsa_uses_dynamic_stack 0
		.amdhsa_enable_private_segment 1
		.amdhsa_system_sgpr_workgroup_id_x 1
		.amdhsa_system_sgpr_workgroup_id_y 0
		.amdhsa_system_sgpr_workgroup_id_z 0
		.amdhsa_system_sgpr_workgroup_info 0
		.amdhsa_system_vgpr_workitem_id 0
		.amdhsa_next_free_vgpr 432
		.amdhsa_next_free_sgpr 19
		.amdhsa_named_barrier_count 0
		.amdhsa_reserve_vcc 1
		.amdhsa_float_round_mode_32 0
		.amdhsa_float_round_mode_16_64 0
		.amdhsa_float_denorm_mode_32 3
		.amdhsa_float_denorm_mode_16_64 3
		.amdhsa_fp16_overflow 0
		.amdhsa_memory_ordered 1
		.amdhsa_forward_progress 1
		.amdhsa_inst_pref_size 255
		.amdhsa_round_robin_scheduling 0
		.amdhsa_exception_fp_ieee_invalid_op 0
		.amdhsa_exception_fp_denorm_src 0
		.amdhsa_exception_fp_ieee_div_zero 0
		.amdhsa_exception_fp_ieee_overflow 0
		.amdhsa_exception_fp_ieee_underflow 0
		.amdhsa_exception_fp_ieee_inexact 0
		.amdhsa_exception_int_div_zero 0
	.end_amdhsa_kernel
	.section	.text._ZN9rocsolver6v33100L18getri_kernel_smallILi62E19rocblas_complex_numIfEPS3_EEvT1_iilPiilS6_bb,"axG",@progbits,_ZN9rocsolver6v33100L18getri_kernel_smallILi62E19rocblas_complex_numIfEPS3_EEvT1_iilPiilS6_bb,comdat
.Lfunc_end61:
	.size	_ZN9rocsolver6v33100L18getri_kernel_smallILi62E19rocblas_complex_numIfEPS3_EEvT1_iilPiilS6_bb, .Lfunc_end61-_ZN9rocsolver6v33100L18getri_kernel_smallILi62E19rocblas_complex_numIfEPS3_EEvT1_iilPiilS6_bb
                                        ; -- End function
	.set _ZN9rocsolver6v33100L18getri_kernel_smallILi62E19rocblas_complex_numIfEPS3_EEvT1_iilPiilS6_bb.num_vgpr, 432
	.set _ZN9rocsolver6v33100L18getri_kernel_smallILi62E19rocblas_complex_numIfEPS3_EEvT1_iilPiilS6_bb.num_agpr, 0
	.set _ZN9rocsolver6v33100L18getri_kernel_smallILi62E19rocblas_complex_numIfEPS3_EEvT1_iilPiilS6_bb.numbered_sgpr, 19
	.set _ZN9rocsolver6v33100L18getri_kernel_smallILi62E19rocblas_complex_numIfEPS3_EEvT1_iilPiilS6_bb.num_named_barrier, 0
	.set _ZN9rocsolver6v33100L18getri_kernel_smallILi62E19rocblas_complex_numIfEPS3_EEvT1_iilPiilS6_bb.private_seg_size, 512
	.set _ZN9rocsolver6v33100L18getri_kernel_smallILi62E19rocblas_complex_numIfEPS3_EEvT1_iilPiilS6_bb.uses_vcc, 1
	.set _ZN9rocsolver6v33100L18getri_kernel_smallILi62E19rocblas_complex_numIfEPS3_EEvT1_iilPiilS6_bb.uses_flat_scratch, 1
	.set _ZN9rocsolver6v33100L18getri_kernel_smallILi62E19rocblas_complex_numIfEPS3_EEvT1_iilPiilS6_bb.has_dyn_sized_stack, 0
	.set _ZN9rocsolver6v33100L18getri_kernel_smallILi62E19rocblas_complex_numIfEPS3_EEvT1_iilPiilS6_bb.has_recursion, 0
	.set _ZN9rocsolver6v33100L18getri_kernel_smallILi62E19rocblas_complex_numIfEPS3_EEvT1_iilPiilS6_bb.has_indirect_call, 0
	.section	.AMDGPU.csdata,"",@progbits
; Kernel info:
; codeLenInByte = 139556
; TotalNumSgprs: 21
; NumVgprs: 432
; ScratchSize: 512
; MemoryBound: 0
; FloatMode: 240
; IeeeMode: 1
; LDSByteSize: 996 bytes/workgroup (compile time only)
; SGPRBlocks: 0
; VGPRBlocks: 26
; NumSGPRsForWavesPerEU: 21
; NumVGPRsForWavesPerEU: 432
; NamedBarCnt: 0
; Occupancy: 2
; WaveLimiterHint : 1
; COMPUTE_PGM_RSRC2:SCRATCH_EN: 1
; COMPUTE_PGM_RSRC2:USER_SGPR: 2
; COMPUTE_PGM_RSRC2:TRAP_HANDLER: 0
; COMPUTE_PGM_RSRC2:TGID_X_EN: 1
; COMPUTE_PGM_RSRC2:TGID_Y_EN: 0
; COMPUTE_PGM_RSRC2:TGID_Z_EN: 0
; COMPUTE_PGM_RSRC2:TIDIG_COMP_CNT: 0
	.section	.text._ZN9rocsolver6v33100L18getri_kernel_smallILi63E19rocblas_complex_numIfEPS3_EEvT1_iilPiilS6_bb,"axG",@progbits,_ZN9rocsolver6v33100L18getri_kernel_smallILi63E19rocblas_complex_numIfEPS3_EEvT1_iilPiilS6_bb,comdat
	.globl	_ZN9rocsolver6v33100L18getri_kernel_smallILi63E19rocblas_complex_numIfEPS3_EEvT1_iilPiilS6_bb ; -- Begin function _ZN9rocsolver6v33100L18getri_kernel_smallILi63E19rocblas_complex_numIfEPS3_EEvT1_iilPiilS6_bb
	.p2align	8
	.type	_ZN9rocsolver6v33100L18getri_kernel_smallILi63E19rocblas_complex_numIfEPS3_EEvT1_iilPiilS6_bb,@function
_ZN9rocsolver6v33100L18getri_kernel_smallILi63E19rocblas_complex_numIfEPS3_EEvT1_iilPiilS6_bb: ; @_ZN9rocsolver6v33100L18getri_kernel_smallILi63E19rocblas_complex_numIfEPS3_EEvT1_iilPiilS6_bb
; %bb.0:
	s_mov_b32 s2, exec_lo
	v_cmpx_gt_u32_e32 63, v0
	s_cbranch_execz .LBB62_266
; %bb.1:
	s_clause 0x2
	s_load_b32 s2, s[0:1], 0x38
	s_load_b128 s[12:15], s[0:1], 0x10
	s_load_b128 s[4:7], s[0:1], 0x28
	s_getreg_b32 s9, hwreg(HW_REG_IB_STS2, 6, 4)
	s_wait_kmcnt 0x0
	s_bitcmp1_b32 s2, 8
	s_cselect_b32 s18, -1, 0
	s_bfe_u32 s3, ttmp6, 0x4000c
	s_and_b32 s8, ttmp6, 15
	s_add_co_i32 s3, s3, 1
	s_delay_alu instid0(SALU_CYCLE_1) | instskip(NEXT) | instid1(SALU_CYCLE_1)
	s_mul_i32 s3, ttmp9, s3
	s_add_co_i32 s8, s8, s3
	s_cmp_eq_u32 s9, 0
	s_cselect_b32 s16, ttmp9, s8
	s_bfe_u32 s2, s2, 0x10008
	s_ashr_i32 s17, s16, 31
	s_cmp_eq_u32 s2, 0
                                        ; implicit-def: $sgpr2_sgpr3
	s_cbranch_scc1 .LBB62_3
; %bb.2:
	s_load_b32 s2, s[0:1], 0x20
	s_mul_u64 s[4:5], s[4:5], s[16:17]
	s_delay_alu instid0(SALU_CYCLE_1) | instskip(NEXT) | instid1(SALU_CYCLE_1)
	s_lshl_b64 s[4:5], s[4:5], 2
	s_add_nc_u64 s[4:5], s[14:15], s[4:5]
	s_wait_kmcnt 0x0
	s_ashr_i32 s3, s2, 31
	s_delay_alu instid0(SALU_CYCLE_1) | instskip(NEXT) | instid1(SALU_CYCLE_1)
	s_lshl_b64 s[2:3], s[2:3], 2
	s_add_nc_u64 s[2:3], s[4:5], s[2:3]
.LBB62_3:
	s_clause 0x1
	s_load_b128 s[8:11], s[0:1], 0x0
	s_load_b32 s14, s[0:1], 0x38
	s_wait_xcnt 0x0
	s_mul_u64 s[0:1], s[12:13], s[16:17]
	v_mov_b32_e32 v129, 0
	s_lshl_b64 s[0:1], s[0:1], 3
	s_wait_kmcnt 0x0
	v_add3_u32 v4, s11, s11, v0
	s_ashr_i32 s5, s10, 31
	s_mov_b32 s4, s10
	s_add_nc_u64 s[0:1], s[8:9], s[0:1]
	s_lshl_b64 s[4:5], s[4:5], 3
	v_add_nc_u32_e32 v8, s11, v4
	s_add_nc_u64 s[4:5], s[0:1], s[4:5]
	s_ashr_i32 s1, s11, 31
	s_mov_b32 s0, s11
	s_bitcmp0_b32 s14, 0
	v_add_nc_u32_e32 v10, s11, v8
	s_delay_alu instid0(VALU_DEP_1) | instskip(NEXT) | instid1(VALU_DEP_1)
	v_add_nc_u32_e32 v12, s11, v10
	v_add_nc_u32_e32 v14, s11, v12
	s_delay_alu instid0(VALU_DEP_1) | instskip(NEXT) | instid1(VALU_DEP_1)
	v_add_nc_u32_e32 v16, s11, v14
	;; [unrolled: 3-line block ×20, first 2 shown]
	v_add_nc_u32_e32 v90, s11, v88
	s_delay_alu instid0(VALU_DEP_1) | instskip(NEXT) | instid1(VALU_DEP_1)
	v_dual_lshlrev_b32 v128, 3, v0 :: v_dual_add_nc_u32 v92, s11, v90
	v_add_nc_u64_e32 v[2:3], s[4:5], v[128:129]
	s_delay_alu instid0(VALU_DEP_2) | instskip(NEXT) | instid1(VALU_DEP_2)
	v_add_nc_u32_e32 v94, s11, v92
	v_lshl_add_u64 v[6:7], s[0:1], 3, v[2:3]
	s_mov_b32 s1, -1
	s_delay_alu instid0(VALU_DEP_2)
	v_add_nc_u32_e32 v96, s11, v94
	s_clause 0x9
	global_load_b64 v[130:131], v0, s[4:5] scale_offset
	global_load_b64 v[132:133], v[6:7], off
	global_load_b64 v[134:135], v4, s[4:5] scale_offset
	global_load_b64 v[136:137], v8, s[4:5] scale_offset
	;; [unrolled: 1-line block ×8, first 2 shown]
	v_add_nc_u32_e32 v98, s11, v96
	s_clause 0xf
	global_load_b64 v[150:151], v22, s[4:5] scale_offset
	global_load_b64 v[152:153], v24, s[4:5] scale_offset
	;; [unrolled: 1-line block ×16, first 2 shown]
	v_add_nc_u32_e32 v100, s11, v98
	s_clause 0xf
	global_load_b64 v[182:183], v54, s[4:5] scale_offset
	global_load_b64 v[184:185], v56, s[4:5] scale_offset
	;; [unrolled: 1-line block ×16, first 2 shown]
	v_add_nc_u32_e32 v102, s11, v100
	s_clause 0x3
	global_load_b64 v[214:215], v86, s[4:5] scale_offset
	global_load_b64 v[216:217], v88, s[4:5] scale_offset
	;; [unrolled: 1-line block ×4, first 2 shown]
	v_add_nc_u32_e32 v104, s11, v102
	s_clause 0x3
	global_load_b64 v[222:223], v94, s[4:5] scale_offset
	global_load_b64 v[224:225], v96, s[4:5] scale_offset
	global_load_b64 v[226:227], v98, s[4:5] scale_offset
	global_load_b64 v[228:229], v100, s[4:5] scale_offset
	v_add_nc_u32_e32 v106, s11, v104
	s_delay_alu instid0(VALU_DEP_1) | instskip(NEXT) | instid1(VALU_DEP_1)
	v_add_nc_u32_e32 v108, s11, v106
	v_add_nc_u32_e32 v110, s11, v108
	s_delay_alu instid0(VALU_DEP_1)
	v_add_nc_u32_e32 v112, s11, v110
	s_clause 0x3
	global_load_b64 v[230:231], v102, s[4:5] scale_offset
	global_load_b64 v[232:233], v104, s[4:5] scale_offset
	;; [unrolled: 1-line block ×4, first 2 shown]
	v_add_nc_u32_e32 v114, s11, v112
	s_delay_alu instid0(VALU_DEP_1) | instskip(NEXT) | instid1(VALU_DEP_1)
	v_add_nc_u32_e32 v116, s11, v114
	v_add_nc_u32_e32 v118, s11, v116
	s_delay_alu instid0(VALU_DEP_1)
	v_add_nc_u32_e32 v120, s11, v118
	s_clause 0x3
	global_load_b64 v[238:239], v110, s[4:5] scale_offset
	global_load_b64 v[240:241], v112, s[4:5] scale_offset
	;; [unrolled: 1-line block ×4, first 2 shown]
	v_add_nc_u32_e32 v122, s11, v120
	s_delay_alu instid0(VALU_DEP_1) | instskip(NEXT) | instid1(VALU_DEP_1)
	v_add_nc_u32_e32 v124, s11, v122
	v_add_nc_u32_e32 v126, s11, v124
	s_clause 0x4
	global_load_b64 v[246:247], v118, s[4:5] scale_offset
	global_load_b64 v[248:249], v120, s[4:5] scale_offset
	;; [unrolled: 1-line block ×5, first 2 shown]
	s_wait_loadcnt 0x3d
	scratch_store_b128 off, v[130:133], off
	s_wait_loadcnt 0x3b
	scratch_store_b128 off, v[134:137], off offset:16
	s_wait_loadcnt 0x39
	scratch_store_b128 off, v[138:141], off offset:32
	;; [unrolled: 2-line block ×30, first 2 shown]
	s_wait_loadcnt 0x0
	scratch_store_b64 off, v[254:255], off offset:496
	s_cbranch_scc1 .LBB62_264
; %bb.4:
	v_cmp_eq_u32_e64 s0, 0, v0
	s_wait_xcnt 0x0
	s_and_saveexec_b32 s1, s0
; %bb.5:
	v_mov_b32_e32 v1, 0
	ds_store_b32 v1, v1 offset:504
; %bb.6:
	s_or_b32 exec_lo, exec_lo, s1
	s_wait_storecnt_dscnt 0x0
	s_barrier_signal -1
	s_barrier_wait -1
	scratch_load_b64 v[130:131], v0, off scale_offset
	s_wait_loadcnt 0x0
	v_cmp_eq_f32_e32 vcc_lo, 0, v130
	v_cmp_eq_f32_e64 s1, 0, v131
	s_and_b32 s1, vcc_lo, s1
	s_delay_alu instid0(SALU_CYCLE_1)
	s_and_saveexec_b32 s8, s1
	s_cbranch_execz .LBB62_10
; %bb.7:
	v_mov_b32_e32 v1, 0
	s_mov_b32 s9, 0
	ds_load_b32 v5, v1 offset:504
	s_wait_dscnt 0x0
	v_readfirstlane_b32 s1, v5
	v_add_nc_u32_e32 v5, 1, v0
	s_cmp_eq_u32 s1, 0
	s_delay_alu instid0(VALU_DEP_1) | instskip(SKIP_1) | instid1(SALU_CYCLE_1)
	v_cmp_gt_i32_e32 vcc_lo, s1, v5
	s_cselect_b32 s10, -1, 0
	s_or_b32 s10, s10, vcc_lo
	s_delay_alu instid0(SALU_CYCLE_1)
	s_and_b32 exec_lo, exec_lo, s10
	s_cbranch_execz .LBB62_10
; %bb.8:
	v_mov_b32_e32 v9, s1
.LBB62_9:                               ; =>This Inner Loop Header: Depth=1
	ds_cmpstore_rtn_b32 v9, v1, v5, v9 offset:504
	s_wait_dscnt 0x0
	v_cmp_ne_u32_e32 vcc_lo, 0, v9
	v_cmp_le_i32_e64 s1, v9, v5
	s_and_b32 s1, vcc_lo, s1
	s_delay_alu instid0(SALU_CYCLE_1) | instskip(NEXT) | instid1(SALU_CYCLE_1)
	s_and_b32 s1, exec_lo, s1
	s_or_b32 s9, s1, s9
	s_delay_alu instid0(SALU_CYCLE_1)
	s_and_not1_b32 exec_lo, exec_lo, s9
	s_cbranch_execnz .LBB62_9
.LBB62_10:
	s_or_b32 exec_lo, exec_lo, s8
	v_mov_b32_e32 v1, 0
	s_barrier_signal -1
	s_barrier_wait -1
	ds_load_b32 v5, v1 offset:504
	s_and_saveexec_b32 s1, s0
	s_cbranch_execz .LBB62_12
; %bb.11:
	s_lshl_b64 s[8:9], s[16:17], 2
	s_delay_alu instid0(SALU_CYCLE_1)
	s_add_nc_u64 s[8:9], s[6:7], s[8:9]
	s_wait_dscnt 0x0
	global_store_b32 v1, v5, s[8:9]
.LBB62_12:
	s_wait_xcnt 0x0
	s_or_b32 exec_lo, exec_lo, s1
	s_wait_dscnt 0x0
	v_cmp_ne_u32_e32 vcc_lo, 0, v5
	s_mov_b32 s1, 0
	s_cbranch_vccnz .LBB62_264
; %bb.13:
	v_lshl_add_u32 v5, v0, 3, 0
                                        ; implicit-def: $vgpr133
                                        ; implicit-def: $vgpr134
	scratch_load_b64 v[130:131], v5, off
	s_wait_loadcnt 0x0
	v_cmp_ngt_f32_e64 s1, |v130|, |v131|
	s_wait_xcnt 0x0
	s_and_saveexec_b32 s8, s1
	s_delay_alu instid0(SALU_CYCLE_1)
	s_xor_b32 s1, exec_lo, s8
	s_cbranch_execz .LBB62_15
; %bb.14:
	v_div_scale_f32 v1, null, v131, v131, v130
	v_div_scale_f32 v13, vcc_lo, v130, v131, v130
	s_delay_alu instid0(VALU_DEP_2) | instskip(SKIP_1) | instid1(TRANS32_DEP_1)
	v_rcp_f32_e32 v9, v1
	v_nop
	v_fma_f32 v11, -v1, v9, 1.0
	s_delay_alu instid0(VALU_DEP_1) | instskip(NEXT) | instid1(VALU_DEP_1)
	v_fmac_f32_e32 v9, v11, v9
	v_mul_f32_e32 v11, v13, v9
	s_delay_alu instid0(VALU_DEP_1) | instskip(NEXT) | instid1(VALU_DEP_1)
	v_fma_f32 v15, -v1, v11, v13
	v_fmac_f32_e32 v11, v15, v9
	s_delay_alu instid0(VALU_DEP_1) | instskip(NEXT) | instid1(VALU_DEP_1)
	v_fma_f32 v1, -v1, v11, v13
	v_div_fmas_f32 v1, v1, v9, v11
	s_delay_alu instid0(VALU_DEP_1) | instskip(NEXT) | instid1(VALU_DEP_1)
	v_div_fixup_f32 v1, v1, v131, v130
	v_fmac_f32_e32 v131, v130, v1
	s_delay_alu instid0(VALU_DEP_1) | instskip(NEXT) | instid1(VALU_DEP_1)
	v_div_scale_f32 v9, null, v131, v131, -1.0
	v_rcp_f32_e32 v11, v9
	v_nop
	s_delay_alu instid0(TRANS32_DEP_1) | instskip(NEXT) | instid1(VALU_DEP_1)
	v_fma_f32 v13, -v9, v11, 1.0
	v_fmac_f32_e32 v11, v13, v11
	v_div_scale_f32 v13, vcc_lo, -1.0, v131, -1.0
	s_delay_alu instid0(VALU_DEP_1) | instskip(NEXT) | instid1(VALU_DEP_1)
	v_mul_f32_e32 v15, v13, v11
	v_fma_f32 v17, -v9, v15, v13
	s_delay_alu instid0(VALU_DEP_1) | instskip(NEXT) | instid1(VALU_DEP_1)
	v_fmac_f32_e32 v15, v17, v11
	v_fma_f32 v9, -v9, v15, v13
	s_delay_alu instid0(VALU_DEP_1) | instskip(NEXT) | instid1(VALU_DEP_1)
	v_div_fmas_f32 v9, v9, v11, v15
	v_div_fixup_f32 v133, v9, v131, -1.0
                                        ; implicit-def: $vgpr130_vgpr131
	s_delay_alu instid0(VALU_DEP_1) | instskip(NEXT) | instid1(VALU_DEP_1)
	v_mul_f32_e32 v134, v1, v133
	v_xor_b32_e32 v132, 0x80000000, v134
.LBB62_15:
	s_and_not1_saveexec_b32 s1, s1
	s_cbranch_execz .LBB62_17
; %bb.16:
	v_div_scale_f32 v1, null, v130, v130, v131
	v_div_scale_f32 v13, vcc_lo, v131, v130, v131
	s_delay_alu instid0(VALU_DEP_2) | instskip(SKIP_1) | instid1(TRANS32_DEP_1)
	v_rcp_f32_e32 v9, v1
	v_nop
	v_fma_f32 v11, -v1, v9, 1.0
	s_delay_alu instid0(VALU_DEP_1) | instskip(NEXT) | instid1(VALU_DEP_1)
	v_fmac_f32_e32 v9, v11, v9
	v_mul_f32_e32 v11, v13, v9
	s_delay_alu instid0(VALU_DEP_1) | instskip(NEXT) | instid1(VALU_DEP_1)
	v_fma_f32 v15, -v1, v11, v13
	v_fmac_f32_e32 v11, v15, v9
	s_delay_alu instid0(VALU_DEP_1) | instskip(NEXT) | instid1(VALU_DEP_1)
	v_fma_f32 v1, -v1, v11, v13
	v_div_fmas_f32 v1, v1, v9, v11
	s_delay_alu instid0(VALU_DEP_1) | instskip(NEXT) | instid1(VALU_DEP_1)
	v_div_fixup_f32 v1, v1, v130, v131
	v_fmac_f32_e32 v130, v131, v1
	s_delay_alu instid0(VALU_DEP_1) | instskip(SKIP_1) | instid1(VALU_DEP_2)
	v_div_scale_f32 v9, null, v130, v130, 1.0
	v_div_scale_f32 v15, vcc_lo, 1.0, v130, 1.0
	v_rcp_f32_e32 v11, v9
	v_nop
	s_delay_alu instid0(TRANS32_DEP_1) | instskip(NEXT) | instid1(VALU_DEP_1)
	v_fma_f32 v13, -v9, v11, 1.0
	v_fmac_f32_e32 v11, v13, v11
	s_delay_alu instid0(VALU_DEP_1) | instskip(NEXT) | instid1(VALU_DEP_1)
	v_mul_f32_e32 v13, v15, v11
	v_fma_f32 v17, -v9, v13, v15
	s_delay_alu instid0(VALU_DEP_1) | instskip(NEXT) | instid1(VALU_DEP_1)
	v_fmac_f32_e32 v13, v17, v11
	v_fma_f32 v9, -v9, v13, v15
	s_delay_alu instid0(VALU_DEP_1) | instskip(NEXT) | instid1(VALU_DEP_1)
	v_div_fmas_f32 v9, v9, v11, v13
	v_div_fixup_f32 v132, v9, v130, 1.0
	s_delay_alu instid0(VALU_DEP_1)
	v_xor_b32_e32 v134, 0x80000000, v132
	v_mul_f32_e64 v133, v1, -v132
.LBB62_17:
	s_or_b32 exec_lo, exec_lo, s1
	scratch_store_b64 v5, v[132:133], off
	scratch_load_b64 v[130:131], off, off offset:8
	v_xor_b32_e32 v135, 0x80000000, v133
	v_or_b32_e32 v1, 0x200, v128
	s_wait_loadcnt 0x0
	ds_store_2addr_stride64_b64 v128, v[134:135], v[130:131] offset1:1
	s_wait_storecnt_dscnt 0x0
	s_barrier_signal -1
	s_barrier_wait -1
	s_wait_xcnt 0x0
	s_and_saveexec_b32 s1, s0
	s_cbranch_execz .LBB62_19
; %bb.18:
	scratch_load_b64 v[130:131], v5, off
	ds_load_b64 v[132:133], v1
	s_wait_loadcnt_dscnt 0x0
	v_pk_mul_f32 v[136:137], v[132:133], v[130:131] op_sel:[1,1] op_sel_hi:[0,1]
	s_delay_alu instid0(VALU_DEP_1) | instskip(SKIP_2) | instid1(VALU_DEP_3)
	v_pk_fma_f32 v[138:139], v[132:133], v[130:131], v[136:137] op_sel_hi:[1,0,1]
	v_mov_b32_e32 v9, 0
	v_pk_fma_f32 v[130:131], v[132:133], v[130:131], v[136:137] neg_lo:[0,0,1] neg_hi:[0,0,1]
	v_mov_b32_e32 v131, v139
	ds_load_b64 v[134:135], v9 offset:8
	v_pk_add_f32 v[130:131], v[130:131], 0 op_sel_hi:[1,0]
	s_wait_dscnt 0x0
	s_delay_alu instid0(VALU_DEP_1) | instskip(NEXT) | instid1(VALU_DEP_1)
	v_pk_mul_f32 v[132:133], v[130:131], v[134:135] op_sel:[1,1] op_sel_hi:[0,1]
	v_pk_fma_f32 v[136:137], v[130:131], v[134:135], v[132:133] op_sel_hi:[1,0,1]
	v_pk_fma_f32 v[130:131], v[130:131], v[134:135], v[132:133] neg_lo:[0,0,1] neg_hi:[0,0,1]
	s_delay_alu instid0(VALU_DEP_2)
	v_mov_b32_e32 v131, v137
	scratch_store_b64 off, v[130:131], off offset:8
.LBB62_19:
	s_wait_xcnt 0x0
	s_or_b32 exec_lo, exec_lo, s1
	s_wait_storecnt 0x0
	s_barrier_signal -1
	s_barrier_wait -1
	scratch_load_b64 v[130:131], off, off offset:16
	s_mov_b32 s1, exec_lo
	s_wait_loadcnt 0x0
	ds_store_b64 v1, v[130:131]
	s_wait_dscnt 0x0
	s_barrier_signal -1
	s_barrier_wait -1
	v_cmpx_gt_u32_e32 2, v0
	s_cbranch_execz .LBB62_23
; %bb.20:
	scratch_load_b64 v[130:131], v5, off
	ds_load_b64 v[132:133], v1
	s_wait_loadcnt_dscnt 0x0
	v_pk_mul_f32 v[134:135], v[132:133], v[130:131] op_sel:[1,1] op_sel_hi:[0,1]
	s_delay_alu instid0(VALU_DEP_1) | instskip(SKIP_1) | instid1(VALU_DEP_2)
	v_pk_fma_f32 v[136:137], v[132:133], v[130:131], v[134:135] op_sel_hi:[1,0,1]
	v_pk_fma_f32 v[130:131], v[132:133], v[130:131], v[134:135] neg_lo:[0,0,1] neg_hi:[0,0,1]
	v_mov_b32_e32 v131, v137
	s_delay_alu instid0(VALU_DEP_1)
	v_pk_add_f32 v[130:131], v[130:131], 0 op_sel_hi:[1,0]
	s_and_saveexec_b32 s8, s0
	s_cbranch_execz .LBB62_22
; %bb.21:
	scratch_load_b64 v[132:133], off, off offset:8
	v_mov_b32_e32 v5, 0
	ds_load_b64 v[134:135], v5 offset:520
	s_wait_loadcnt_dscnt 0x0
	v_pk_mul_f32 v[136:137], v[134:135], v[132:133] op_sel:[1,1] op_sel_hi:[0,1]
	s_delay_alu instid0(VALU_DEP_1) | instskip(SKIP_1) | instid1(VALU_DEP_2)
	v_pk_fma_f32 v[138:139], v[134:135], v[132:133], v[136:137] op_sel_hi:[1,0,1]
	v_pk_fma_f32 v[132:133], v[134:135], v[132:133], v[136:137] neg_lo:[0,0,1] neg_hi:[0,0,1]
	v_mov_b32_e32 v133, v139
	s_delay_alu instid0(VALU_DEP_1)
	v_pk_add_f32 v[130:131], v[130:131], v[132:133]
.LBB62_22:
	s_or_b32 exec_lo, exec_lo, s8
	v_mov_b32_e32 v5, 0
	ds_load_b64 v[132:133], v5 offset:16
	s_wait_dscnt 0x0
	v_pk_mul_f32 v[134:135], v[130:131], v[132:133] op_sel:[1,1] op_sel_hi:[0,1]
	s_delay_alu instid0(VALU_DEP_1) | instskip(SKIP_1) | instid1(VALU_DEP_2)
	v_pk_fma_f32 v[136:137], v[130:131], v[132:133], v[134:135] op_sel_hi:[1,0,1]
	v_pk_fma_f32 v[130:131], v[130:131], v[132:133], v[134:135] neg_lo:[0,0,1] neg_hi:[0,0,1]
	v_mov_b32_e32 v131, v137
	scratch_store_b64 off, v[130:131], off offset:16
.LBB62_23:
	s_wait_xcnt 0x0
	s_or_b32 exec_lo, exec_lo, s1
	s_wait_storecnt 0x0
	s_barrier_signal -1
	s_barrier_wait -1
	scratch_load_b64 v[130:131], off, off offset:24
	v_add_nc_u32_e32 v5, -1, v0
	s_mov_b32 s0, exec_lo
	s_wait_loadcnt 0x0
	ds_store_b64 v1, v[130:131]
	s_wait_dscnt 0x0
	s_barrier_signal -1
	s_barrier_wait -1
	v_cmpx_gt_u32_e32 3, v0
	s_cbranch_execz .LBB62_27
; %bb.24:
	v_dual_mov_b32 v130, 0 :: v_dual_add_nc_u32 v9, -1, v0
	v_or_b32_e32 v11, 0x200, v128
	v_mov_b32_e32 v13, v128
	s_mov_b32 s1, 0
	s_delay_alu instid0(VALU_DEP_3)
	v_mov_b32_e32 v131, v130
.LBB62_25:                              ; =>This Inner Loop Header: Depth=1
	scratch_load_b64 v[132:133], v13, off
	ds_load_b64 v[134:135], v11
	s_wait_xcnt 0x0
	v_dual_add_nc_u32 v11, 8, v11 :: v_dual_add_nc_u32 v13, 8, v13
	s_wait_loadcnt_dscnt 0x0
	v_pk_mul_f32 v[136:137], v[134:135], v[132:133] op_sel:[1,1] op_sel_hi:[0,1]
	s_delay_alu instid0(VALU_DEP_1) | instskip(SKIP_2) | instid1(VALU_DEP_3)
	v_pk_fma_f32 v[138:139], v[134:135], v[132:133], v[136:137] op_sel_hi:[1,0,1]
	v_add_nc_u32_e32 v9, 1, v9
	v_pk_fma_f32 v[132:133], v[134:135], v[132:133], v[136:137] neg_lo:[0,0,1] neg_hi:[0,0,1]
	v_mov_b32_e32 v133, v139
	s_delay_alu instid0(VALU_DEP_3) | instskip(NEXT) | instid1(VALU_DEP_2)
	v_cmp_lt_u32_e32 vcc_lo, 1, v9
	v_pk_add_f32 v[130:131], v[130:131], v[132:133]
	s_or_b32 s1, vcc_lo, s1
	s_delay_alu instid0(SALU_CYCLE_1)
	s_and_not1_b32 exec_lo, exec_lo, s1
	s_cbranch_execnz .LBB62_25
; %bb.26:
	s_or_b32 exec_lo, exec_lo, s1
	v_mov_b32_e32 v9, 0
	ds_load_b64 v[132:133], v9 offset:24
	s_wait_dscnt 0x0
	v_pk_mul_f32 v[134:135], v[130:131], v[132:133] op_sel:[1,1] op_sel_hi:[0,1]
	s_delay_alu instid0(VALU_DEP_1) | instskip(SKIP_1) | instid1(VALU_DEP_2)
	v_pk_fma_f32 v[136:137], v[130:131], v[132:133], v[134:135] op_sel_hi:[1,0,1]
	v_pk_fma_f32 v[130:131], v[130:131], v[132:133], v[134:135] neg_lo:[0,0,1] neg_hi:[0,0,1]
	v_mov_b32_e32 v131, v137
	scratch_store_b64 off, v[130:131], off offset:24
.LBB62_27:
	s_wait_xcnt 0x0
	s_or_b32 exec_lo, exec_lo, s0
	s_wait_storecnt 0x0
	s_barrier_signal -1
	s_barrier_wait -1
	scratch_load_b64 v[130:131], off, off offset:32
	s_mov_b32 s0, exec_lo
	s_wait_loadcnt 0x0
	ds_store_b64 v1, v[130:131]
	s_wait_dscnt 0x0
	s_barrier_signal -1
	s_barrier_wait -1
	v_cmpx_gt_u32_e32 4, v0
	s_cbranch_execz .LBB62_31
; %bb.28:
	v_dual_mov_b32 v130, 0 :: v_dual_add_nc_u32 v9, -1, v0
	v_or_b32_e32 v11, 0x200, v128
	v_mov_b32_e32 v13, v128
	s_mov_b32 s1, 0
	s_delay_alu instid0(VALU_DEP_3)
	v_mov_b32_e32 v131, v130
.LBB62_29:                              ; =>This Inner Loop Header: Depth=1
	scratch_load_b64 v[132:133], v13, off
	ds_load_b64 v[134:135], v11
	s_wait_xcnt 0x0
	v_dual_add_nc_u32 v11, 8, v11 :: v_dual_add_nc_u32 v13, 8, v13
	s_wait_loadcnt_dscnt 0x0
	v_pk_mul_f32 v[136:137], v[134:135], v[132:133] op_sel:[1,1] op_sel_hi:[0,1]
	s_delay_alu instid0(VALU_DEP_1) | instskip(SKIP_2) | instid1(VALU_DEP_3)
	v_pk_fma_f32 v[138:139], v[134:135], v[132:133], v[136:137] op_sel_hi:[1,0,1]
	v_add_nc_u32_e32 v9, 1, v9
	v_pk_fma_f32 v[132:133], v[134:135], v[132:133], v[136:137] neg_lo:[0,0,1] neg_hi:[0,0,1]
	v_mov_b32_e32 v133, v139
	s_delay_alu instid0(VALU_DEP_3) | instskip(NEXT) | instid1(VALU_DEP_2)
	v_cmp_lt_u32_e32 vcc_lo, 2, v9
	v_pk_add_f32 v[130:131], v[130:131], v[132:133]
	s_or_b32 s1, vcc_lo, s1
	s_delay_alu instid0(SALU_CYCLE_1)
	s_and_not1_b32 exec_lo, exec_lo, s1
	s_cbranch_execnz .LBB62_29
; %bb.30:
	s_or_b32 exec_lo, exec_lo, s1
	v_mov_b32_e32 v9, 0
	ds_load_b64 v[132:133], v9 offset:32
	s_wait_dscnt 0x0
	v_pk_mul_f32 v[134:135], v[130:131], v[132:133] op_sel:[1,1] op_sel_hi:[0,1]
	s_delay_alu instid0(VALU_DEP_1) | instskip(SKIP_1) | instid1(VALU_DEP_2)
	v_pk_fma_f32 v[136:137], v[130:131], v[132:133], v[134:135] op_sel_hi:[1,0,1]
	v_pk_fma_f32 v[130:131], v[130:131], v[132:133], v[134:135] neg_lo:[0,0,1] neg_hi:[0,0,1]
	v_mov_b32_e32 v131, v137
	scratch_store_b64 off, v[130:131], off offset:32
.LBB62_31:
	s_wait_xcnt 0x0
	s_or_b32 exec_lo, exec_lo, s0
	s_wait_storecnt 0x0
	s_barrier_signal -1
	s_barrier_wait -1
	scratch_load_b64 v[130:131], off, off offset:40
	;; [unrolled: 52-line block ×19, first 2 shown]
	s_mov_b32 s0, exec_lo
	s_wait_loadcnt 0x0
	ds_store_b64 v1, v[130:131]
	s_wait_dscnt 0x0
	s_barrier_signal -1
	s_barrier_wait -1
	v_cmpx_gt_u32_e32 22, v0
	s_cbranch_execz .LBB62_103
; %bb.100:
	v_dual_mov_b32 v130, 0 :: v_dual_add_nc_u32 v9, -1, v0
	v_or_b32_e32 v11, 0x200, v128
	v_mov_b32_e32 v13, v128
	s_mov_b32 s1, 0
	s_delay_alu instid0(VALU_DEP_3)
	v_mov_b32_e32 v131, v130
.LBB62_101:                             ; =>This Inner Loop Header: Depth=1
	scratch_load_b64 v[132:133], v13, off
	ds_load_b64 v[134:135], v11
	s_wait_xcnt 0x0
	v_dual_add_nc_u32 v11, 8, v11 :: v_dual_add_nc_u32 v13, 8, v13
	s_wait_loadcnt_dscnt 0x0
	v_pk_mul_f32 v[136:137], v[134:135], v[132:133] op_sel:[1,1] op_sel_hi:[0,1]
	s_delay_alu instid0(VALU_DEP_1) | instskip(SKIP_2) | instid1(VALU_DEP_3)
	v_pk_fma_f32 v[138:139], v[134:135], v[132:133], v[136:137] op_sel_hi:[1,0,1]
	v_add_nc_u32_e32 v9, 1, v9
	v_pk_fma_f32 v[132:133], v[134:135], v[132:133], v[136:137] neg_lo:[0,0,1] neg_hi:[0,0,1]
	v_mov_b32_e32 v133, v139
	s_delay_alu instid0(VALU_DEP_3) | instskip(NEXT) | instid1(VALU_DEP_2)
	v_cmp_lt_u32_e32 vcc_lo, 20, v9
	v_pk_add_f32 v[130:131], v[130:131], v[132:133]
	s_or_b32 s1, vcc_lo, s1
	s_delay_alu instid0(SALU_CYCLE_1)
	s_and_not1_b32 exec_lo, exec_lo, s1
	s_cbranch_execnz .LBB62_101
; %bb.102:
	s_or_b32 exec_lo, exec_lo, s1
	v_mov_b32_e32 v9, 0
	ds_load_b64 v[132:133], v9 offset:176
	s_wait_dscnt 0x0
	v_pk_mul_f32 v[134:135], v[130:131], v[132:133] op_sel:[1,1] op_sel_hi:[0,1]
	s_delay_alu instid0(VALU_DEP_1) | instskip(SKIP_1) | instid1(VALU_DEP_2)
	v_pk_fma_f32 v[136:137], v[130:131], v[132:133], v[134:135] op_sel_hi:[1,0,1]
	v_pk_fma_f32 v[130:131], v[130:131], v[132:133], v[134:135] neg_lo:[0,0,1] neg_hi:[0,0,1]
	v_mov_b32_e32 v131, v137
	scratch_store_b64 off, v[130:131], off offset:176
.LBB62_103:
	s_wait_xcnt 0x0
	s_or_b32 exec_lo, exec_lo, s0
	s_wait_storecnt 0x0
	s_barrier_signal -1
	s_barrier_wait -1
	scratch_load_b64 v[130:131], off, off offset:184
	s_mov_b32 s0, exec_lo
	s_wait_loadcnt 0x0
	ds_store_b64 v1, v[130:131]
	s_wait_dscnt 0x0
	s_barrier_signal -1
	s_barrier_wait -1
	v_cmpx_gt_u32_e32 23, v0
	s_cbranch_execz .LBB62_107
; %bb.104:
	v_dual_mov_b32 v130, 0 :: v_dual_add_nc_u32 v9, -1, v0
	v_or_b32_e32 v11, 0x200, v128
	v_mov_b32_e32 v13, v128
	s_mov_b32 s1, 0
	s_delay_alu instid0(VALU_DEP_3)
	v_mov_b32_e32 v131, v130
.LBB62_105:                             ; =>This Inner Loop Header: Depth=1
	scratch_load_b64 v[132:133], v13, off
	ds_load_b64 v[134:135], v11
	s_wait_xcnt 0x0
	v_dual_add_nc_u32 v11, 8, v11 :: v_dual_add_nc_u32 v13, 8, v13
	s_wait_loadcnt_dscnt 0x0
	v_pk_mul_f32 v[136:137], v[134:135], v[132:133] op_sel:[1,1] op_sel_hi:[0,1]
	s_delay_alu instid0(VALU_DEP_1) | instskip(SKIP_2) | instid1(VALU_DEP_3)
	v_pk_fma_f32 v[138:139], v[134:135], v[132:133], v[136:137] op_sel_hi:[1,0,1]
	v_add_nc_u32_e32 v9, 1, v9
	v_pk_fma_f32 v[132:133], v[134:135], v[132:133], v[136:137] neg_lo:[0,0,1] neg_hi:[0,0,1]
	v_mov_b32_e32 v133, v139
	s_delay_alu instid0(VALU_DEP_3) | instskip(NEXT) | instid1(VALU_DEP_2)
	v_cmp_lt_u32_e32 vcc_lo, 21, v9
	v_pk_add_f32 v[130:131], v[130:131], v[132:133]
	s_or_b32 s1, vcc_lo, s1
	s_delay_alu instid0(SALU_CYCLE_1)
	s_and_not1_b32 exec_lo, exec_lo, s1
	s_cbranch_execnz .LBB62_105
; %bb.106:
	s_or_b32 exec_lo, exec_lo, s1
	v_mov_b32_e32 v9, 0
	ds_load_b64 v[132:133], v9 offset:184
	s_wait_dscnt 0x0
	v_pk_mul_f32 v[134:135], v[130:131], v[132:133] op_sel:[1,1] op_sel_hi:[0,1]
	s_delay_alu instid0(VALU_DEP_1) | instskip(SKIP_1) | instid1(VALU_DEP_2)
	v_pk_fma_f32 v[136:137], v[130:131], v[132:133], v[134:135] op_sel_hi:[1,0,1]
	v_pk_fma_f32 v[130:131], v[130:131], v[132:133], v[134:135] neg_lo:[0,0,1] neg_hi:[0,0,1]
	v_mov_b32_e32 v131, v137
	scratch_store_b64 off, v[130:131], off offset:184
.LBB62_107:
	s_wait_xcnt 0x0
	s_or_b32 exec_lo, exec_lo, s0
	s_wait_storecnt 0x0
	s_barrier_signal -1
	s_barrier_wait -1
	scratch_load_b64 v[130:131], off, off offset:192
	;; [unrolled: 52-line block ×40, first 2 shown]
	s_mov_b32 s0, exec_lo
	s_wait_loadcnt 0x0
	ds_store_b64 v1, v[130:131]
	s_wait_dscnt 0x0
	s_barrier_signal -1
	s_barrier_wait -1
	v_cmpx_ne_u32_e32 62, v0
	s_cbranch_execz .LBB62_263
; %bb.260:
	v_dual_mov_b32 v130, 0 :: v_dual_mov_b32 v9, v128
	s_mov_b32 s1, 0
	s_delay_alu instid0(VALU_DEP_1)
	v_mov_b32_e32 v131, v130
.LBB62_261:                             ; =>This Inner Loop Header: Depth=1
	scratch_load_b64 v[128:129], v9, off
	ds_load_b64 v[132:133], v1
	v_add_nc_u32_e32 v1, 8, v1
	s_wait_xcnt 0x0
	v_add_nc_u32_e32 v9, 8, v9
	s_wait_loadcnt_dscnt 0x0
	v_pk_mul_f32 v[134:135], v[132:133], v[128:129] op_sel:[1,1] op_sel_hi:[0,1]
	s_delay_alu instid0(VALU_DEP_1) | instskip(SKIP_2) | instid1(VALU_DEP_3)
	v_pk_fma_f32 v[136:137], v[132:133], v[128:129], v[134:135] op_sel_hi:[1,0,1]
	v_add_nc_u32_e32 v5, 1, v5
	v_pk_fma_f32 v[128:129], v[132:133], v[128:129], v[134:135] neg_lo:[0,0,1] neg_hi:[0,0,1]
	v_mov_b32_e32 v129, v137
	s_delay_alu instid0(VALU_DEP_3) | instskip(NEXT) | instid1(VALU_DEP_2)
	v_cmp_lt_u32_e32 vcc_lo, 60, v5
	v_pk_add_f32 v[130:131], v[130:131], v[128:129]
	s_or_b32 s1, vcc_lo, s1
	s_delay_alu instid0(SALU_CYCLE_1)
	s_and_not1_b32 exec_lo, exec_lo, s1
	s_cbranch_execnz .LBB62_261
; %bb.262:
	s_or_b32 exec_lo, exec_lo, s1
	v_mov_b32_e32 v1, 0
	ds_load_b64 v[128:129], v1 offset:496
	s_wait_dscnt 0x0
	v_pk_mul_f32 v[132:133], v[130:131], v[128:129] op_sel:[1,1] op_sel_hi:[0,1]
	s_delay_alu instid0(VALU_DEP_1) | instskip(SKIP_1) | instid1(VALU_DEP_2)
	v_pk_fma_f32 v[134:135], v[130:131], v[128:129], v[132:133] op_sel_hi:[1,0,1]
	v_pk_fma_f32 v[128:129], v[130:131], v[128:129], v[132:133] neg_lo:[0,0,1] neg_hi:[0,0,1]
	v_mov_b32_e32 v129, v135
	scratch_store_b64 off, v[128:129], off offset:496
.LBB62_263:
	s_wait_xcnt 0x0
	s_or_b32 exec_lo, exec_lo, s0
	s_mov_b32 s1, -1
	s_wait_storecnt 0x0
	s_barrier_signal -1
	s_barrier_wait -1
.LBB62_264:
	s_and_b32 vcc_lo, exec_lo, s1
	s_cbranch_vccz .LBB62_266
; %bb.265:
	v_mov_b32_e32 v1, 0
	s_lshl_b64 s[0:1], s[16:17], 2
	s_delay_alu instid0(SALU_CYCLE_1)
	s_add_nc_u64 s[0:1], s[6:7], s[0:1]
	global_load_b32 v1, v1, s[0:1]
	s_wait_loadcnt 0x0
	v_cmp_ne_u32_e32 vcc_lo, 0, v1
	s_cbranch_vccz .LBB62_267
.LBB62_266:
	s_sendmsg sendmsg(MSG_DEALLOC_VGPRS)
	s_endpgm
.LBB62_267:
	s_wait_xcnt 0x0
	v_lshl_or_b32 v1, v0, 3, 0x200
	s_mov_b32 s0, exec_lo
	v_cmpx_eq_u32_e32 62, v0
	s_cbranch_execz .LBB62_269
; %bb.268:
	scratch_load_b64 v[128:129], off, off offset:488
	v_mov_b64_e32 v[130:131], 0
	scratch_store_b64 off, v[130:131], off offset:488
	s_wait_loadcnt 0x0
	ds_store_b64 v1, v[128:129]
.LBB62_269:
	s_wait_xcnt 0x0
	s_or_b32 exec_lo, exec_lo, s0
	s_wait_storecnt_dscnt 0x0
	s_barrier_signal -1
	s_barrier_wait -1
	s_clause 0x1
	scratch_load_b64 v[128:129], off, off offset:496
	scratch_load_b64 v[130:131], off, off offset:488
	v_mov_b32_e32 v5, 0
	s_mov_b32 s0, exec_lo
	ds_load_b64 v[132:133], v5 offset:1008
	s_wait_loadcnt_dscnt 0x100
	v_pk_mul_f32 v[134:135], v[132:133], v[128:129] op_sel:[1,1] op_sel_hi:[0,1]
	s_delay_alu instid0(VALU_DEP_1) | instskip(SKIP_1) | instid1(VALU_DEP_2)
	v_pk_fma_f32 v[136:137], v[132:133], v[128:129], v[134:135] op_sel_hi:[1,0,1]
	v_pk_fma_f32 v[128:129], v[132:133], v[128:129], v[134:135] neg_lo:[0,0,1] neg_hi:[0,0,1]
	v_mov_b32_e32 v129, v137
	s_delay_alu instid0(VALU_DEP_1) | instskip(SKIP_1) | instid1(VALU_DEP_1)
	v_pk_add_f32 v[128:129], v[128:129], 0 op_sel_hi:[1,0]
	s_wait_loadcnt 0x0
	v_pk_add_f32 v[128:129], v[130:131], v[128:129] neg_lo:[0,1] neg_hi:[0,1]
	scratch_store_b64 off, v[128:129], off offset:488
	s_wait_xcnt 0x0
	v_cmpx_lt_u32_e32 60, v0
	s_cbranch_execz .LBB62_271
; %bb.270:
	scratch_load_b64 v[128:129], off, off offset:480
	v_mov_b64_e32 v[130:131], 0
	scratch_store_b64 off, v[130:131], off offset:480
	s_wait_loadcnt 0x0
	ds_store_b64 v1, v[128:129]
.LBB62_271:
	s_wait_xcnt 0x0
	s_or_b32 exec_lo, exec_lo, s0
	s_wait_storecnt_dscnt 0x0
	s_barrier_signal -1
	s_barrier_wait -1
	s_clause 0x1
	scratch_load_b128 v[128:131], off, off offset:488
	scratch_load_b64 v[136:137], off, off offset:480
	ds_load_2addr_b64 v[132:135], v5 offset0:125 offset1:126
	s_mov_b32 s0, exec_lo
	s_wait_dscnt 0x0
	v_dual_mov_b32 v138, v135 :: v_dual_mov_b32 v139, v134
	s_wait_loadcnt 0x1
	v_pk_mul_f32 v[140:141], v[132:133], v[128:129] op_sel:[1,1] op_sel_hi:[0,1]
	s_delay_alu instid0(VALU_DEP_1) | instskip(SKIP_2) | instid1(VALU_DEP_3)
	v_pk_fma_f32 v[144:145], v[132:133], v[128:129], v[140:141] op_sel_hi:[1,0,1]
	v_mov_b32_e32 v142, v131
	v_pk_fma_f32 v[128:129], v[132:133], v[128:129], v[140:141] neg_lo:[0,0,1] neg_hi:[0,0,1]
	v_mov_b32_e32 v129, v145
	s_delay_alu instid0(VALU_DEP_3) | instskip(NEXT) | instid1(VALU_DEP_2)
	v_pk_mul_f32 v[138:139], v[138:139], v[142:143] op_sel_hi:[1,0]
	v_pk_add_f32 v[128:129], v[128:129], 0 op_sel_hi:[1,0]
	s_delay_alu instid0(VALU_DEP_2) | instskip(SKIP_1) | instid1(VALU_DEP_2)
	v_pk_fma_f32 v[132:133], v[134:135], v[130:131], v[138:139] op_sel_hi:[1,0,1]
	v_pk_fma_f32 v[130:131], v[134:135], v[130:131], v[138:139] neg_lo:[0,0,1] neg_hi:[0,0,1]
	v_mov_b32_e32 v131, v133
	s_delay_alu instid0(VALU_DEP_1) | instskip(SKIP_1) | instid1(VALU_DEP_1)
	v_pk_add_f32 v[128:129], v[128:129], v[130:131]
	s_wait_loadcnt 0x0
	v_pk_add_f32 v[128:129], v[136:137], v[128:129] neg_lo:[0,1] neg_hi:[0,1]
	scratch_store_b64 off, v[128:129], off offset:480
	s_wait_xcnt 0x0
	v_cmpx_lt_u32_e32 59, v0
	s_cbranch_execz .LBB62_273
; %bb.272:
	scratch_load_b64 v[128:129], off, off offset:472
	v_mov_b64_e32 v[130:131], 0
	scratch_store_b64 off, v[130:131], off offset:472
	s_wait_loadcnt 0x0
	ds_store_b64 v1, v[128:129]
.LBB62_273:
	s_wait_xcnt 0x0
	s_or_b32 exec_lo, exec_lo, s0
	s_wait_storecnt_dscnt 0x0
	s_barrier_signal -1
	s_barrier_wait -1
	s_clause 0x2
	scratch_load_b128 v[128:131], off, off offset:480
	scratch_load_b64 v[136:137], off, off offset:496
	scratch_load_b64 v[138:139], off, off offset:472
	v_mov_b32_e32 v5, 0
	ds_load_b128 v[132:135], v5 offset:992
	ds_load_b64 v[140:141], v5 offset:1008
	s_mov_b32 s0, exec_lo
	s_wait_dscnt 0x1
	v_dual_mov_b32 v142, v135 :: v_dual_mov_b32 v143, v134
	s_wait_loadcnt 0x2
	v_mov_b32_e32 v146, v131
	v_pk_mul_f32 v[144:145], v[132:133], v[128:129] op_sel:[1,1] op_sel_hi:[0,1]
	s_delay_alu instid0(VALU_DEP_2) | instskip(NEXT) | instid1(VALU_DEP_2)
	v_pk_mul_f32 v[142:143], v[142:143], v[146:147] op_sel_hi:[1,0]
	v_pk_fma_f32 v[148:149], v[132:133], v[128:129], v[144:145] op_sel_hi:[1,0,1]
	v_pk_fma_f32 v[128:129], v[132:133], v[128:129], v[144:145] neg_lo:[0,0,1] neg_hi:[0,0,1]
	s_wait_loadcnt_dscnt 0x100
	v_pk_mul_f32 v[144:145], v[140:141], v[136:137] op_sel:[1,1] op_sel_hi:[0,1]
	v_pk_fma_f32 v[132:133], v[134:135], v[130:131], v[142:143] op_sel_hi:[1,0,1]
	v_mov_b32_e32 v129, v149
	v_pk_fma_f32 v[130:131], v[134:135], v[130:131], v[142:143] neg_lo:[0,0,1] neg_hi:[0,0,1]
	s_delay_alu instid0(VALU_DEP_4) | instskip(NEXT) | instid1(VALU_DEP_4)
	v_pk_fma_f32 v[134:135], v[140:141], v[136:137], v[144:145] neg_lo:[0,0,1] neg_hi:[0,0,1]
	v_mov_b32_e32 v131, v133
	s_delay_alu instid0(VALU_DEP_4) | instskip(SKIP_1) | instid1(VALU_DEP_2)
	v_pk_add_f32 v[128:129], v[128:129], 0 op_sel_hi:[1,0]
	v_pk_fma_f32 v[132:133], v[140:141], v[136:137], v[144:145] op_sel_hi:[1,0,1]
	v_pk_add_f32 v[128:129], v[128:129], v[130:131]
	s_delay_alu instid0(VALU_DEP_2) | instskip(NEXT) | instid1(VALU_DEP_1)
	v_mov_b32_e32 v135, v133
	v_pk_add_f32 v[128:129], v[128:129], v[134:135]
	s_wait_loadcnt 0x0
	s_delay_alu instid0(VALU_DEP_1)
	v_pk_add_f32 v[128:129], v[138:139], v[128:129] neg_lo:[0,1] neg_hi:[0,1]
	scratch_store_b64 off, v[128:129], off offset:472
	s_wait_xcnt 0x0
	v_cmpx_lt_u32_e32 58, v0
	s_cbranch_execz .LBB62_275
; %bb.274:
	scratch_load_b64 v[128:129], off, off offset:464
	v_mov_b64_e32 v[130:131], 0
	scratch_store_b64 off, v[130:131], off offset:464
	s_wait_loadcnt 0x0
	ds_store_b64 v1, v[128:129]
.LBB62_275:
	s_wait_xcnt 0x0
	s_or_b32 exec_lo, exec_lo, s0
	s_wait_storecnt_dscnt 0x0
	s_barrier_signal -1
	s_barrier_wait -1
	s_clause 0x2
	scratch_load_b128 v[128:131], off, off offset:472
	scratch_load_b128 v[132:135], off, off offset:488
	scratch_load_b64 v[144:145], off, off offset:464
	ds_load_2addr_b64 v[136:139], v5 offset0:123 offset1:124
	ds_load_2addr_b64 v[140:143], v5 offset0:125 offset1:126
	s_mov_b32 s0, exec_lo
	s_wait_dscnt 0x1
	v_dual_mov_b32 v146, v139 :: v_dual_mov_b32 v147, v138
	s_wait_loadcnt_dscnt 0x200
	v_dual_mov_b32 v152, v143 :: v_dual_mov_b32 v150, v131
	v_pk_mul_f32 v[148:149], v[136:137], v[128:129] op_sel:[1,1] op_sel_hi:[0,1]
	s_delay_alu instid0(VALU_DEP_2) | instskip(NEXT) | instid1(VALU_DEP_2)
	v_pk_mul_f32 v[146:147], v[146:147], v[150:151] op_sel_hi:[1,0]
	v_pk_fma_f32 v[154:155], v[136:137], v[128:129], v[148:149] op_sel_hi:[1,0,1]
	v_pk_fma_f32 v[128:129], v[136:137], v[128:129], v[148:149] neg_lo:[0,0,1] neg_hi:[0,0,1]
	v_mov_b32_e32 v153, v142
	s_wait_loadcnt 0x1
	v_pk_mul_f32 v[150:151], v[140:141], v[132:133] op_sel:[1,1] op_sel_hi:[0,1]
	v_pk_fma_f32 v[136:137], v[138:139], v[130:131], v[146:147] op_sel_hi:[1,0,1]
	v_dual_mov_b32 v129, v155 :: v_dual_mov_b32 v136, v135
	v_pk_fma_f32 v[130:131], v[138:139], v[130:131], v[146:147] neg_lo:[0,0,1] neg_hi:[0,0,1]
	s_delay_alu instid0(VALU_DEP_4) | instskip(NEXT) | instid1(VALU_DEP_4)
	v_pk_fma_f32 v[148:149], v[140:141], v[132:133], v[150:151] op_sel_hi:[1,0,1]
	v_mov_b32_e32 v131, v137
	s_delay_alu instid0(VALU_DEP_4) | instskip(SKIP_2) | instid1(VALU_DEP_3)
	v_pk_add_f32 v[128:129], v[128:129], 0 op_sel_hi:[1,0]
	v_pk_mul_f32 v[136:137], v[152:153], v[136:137] op_sel_hi:[1,0]
	v_pk_fma_f32 v[132:133], v[140:141], v[132:133], v[150:151] neg_lo:[0,0,1] neg_hi:[0,0,1]
	v_pk_add_f32 v[128:129], v[128:129], v[130:131]
	s_delay_alu instid0(VALU_DEP_3) | instskip(SKIP_2) | instid1(VALU_DEP_3)
	v_pk_fma_f32 v[130:131], v[142:143], v[134:135], v[136:137] op_sel_hi:[1,0,1]
	v_mov_b32_e32 v133, v149
	v_pk_fma_f32 v[134:135], v[142:143], v[134:135], v[136:137] neg_lo:[0,0,1] neg_hi:[0,0,1]
	v_mov_b32_e32 v135, v131
	s_delay_alu instid0(VALU_DEP_3) | instskip(NEXT) | instid1(VALU_DEP_1)
	v_pk_add_f32 v[128:129], v[128:129], v[132:133]
	v_pk_add_f32 v[128:129], v[128:129], v[134:135]
	s_wait_loadcnt 0x0
	s_delay_alu instid0(VALU_DEP_1)
	v_pk_add_f32 v[128:129], v[144:145], v[128:129] neg_lo:[0,1] neg_hi:[0,1]
	scratch_store_b64 off, v[128:129], off offset:464
	s_wait_xcnt 0x0
	v_cmpx_lt_u32_e32 57, v0
	s_cbranch_execz .LBB62_277
; %bb.276:
	scratch_load_b64 v[128:129], off, off offset:456
	v_mov_b64_e32 v[130:131], 0
	scratch_store_b64 off, v[130:131], off offset:456
	s_wait_loadcnt 0x0
	ds_store_b64 v1, v[128:129]
.LBB62_277:
	s_wait_xcnt 0x0
	s_or_b32 exec_lo, exec_lo, s0
	s_wait_storecnt_dscnt 0x0
	s_barrier_signal -1
	s_barrier_wait -1
	s_clause 0x3
	scratch_load_b128 v[128:131], off, off offset:464
	scratch_load_b128 v[132:135], off, off offset:480
	scratch_load_b64 v[144:145], off, off offset:496
	scratch_load_b64 v[146:147], off, off offset:456
	v_mov_b32_e32 v5, 0
	ds_load_b128 v[136:139], v5 offset:976
	ds_load_b128 v[140:143], v5 offset:992
	s_mov_b32 s0, exec_lo
	s_wait_dscnt 0x1
	v_dual_mov_b32 v148, v139 :: v_dual_mov_b32 v149, v138
	ds_load_b64 v[154:155], v5 offset:1008
	s_wait_dscnt 0x1
	v_dual_mov_b32 v156, v143 :: v_dual_mov_b32 v157, v142
	s_wait_loadcnt 0x3
	v_pk_mul_f32 v[150:151], v[136:137], v[128:129] op_sel:[1,1] op_sel_hi:[0,1]
	v_mov_b32_e32 v152, v131
	s_delay_alu instid0(VALU_DEP_2) | instskip(NEXT) | instid1(VALU_DEP_2)
	v_pk_fma_f32 v[158:159], v[136:137], v[128:129], v[150:151] op_sel_hi:[1,0,1]
	v_pk_mul_f32 v[148:149], v[148:149], v[152:153] op_sel_hi:[1,0]
	v_pk_fma_f32 v[128:129], v[136:137], v[128:129], v[150:151] neg_lo:[0,0,1] neg_hi:[0,0,1]
	s_wait_loadcnt 0x2
	v_pk_mul_f32 v[152:153], v[140:141], v[132:133] op_sel:[1,1] op_sel_hi:[0,1]
	v_dual_mov_b32 v158, v135 :: v_dual_mov_b32 v129, v159
	v_pk_fma_f32 v[136:137], v[138:139], v[130:131], v[148:149] op_sel_hi:[1,0,1]
	v_pk_fma_f32 v[130:131], v[138:139], v[130:131], v[148:149] neg_lo:[0,0,1] neg_hi:[0,0,1]
	s_delay_alu instid0(VALU_DEP_4) | instskip(NEXT) | instid1(VALU_DEP_4)
	v_pk_fma_f32 v[150:151], v[140:141], v[132:133], v[152:153] op_sel_hi:[1,0,1]
	v_pk_mul_f32 v[156:157], v[156:157], v[158:159] op_sel_hi:[1,0]
	v_pk_add_f32 v[128:129], v[128:129], 0 op_sel_hi:[1,0]
	v_mov_b32_e32 v131, v137
	v_pk_fma_f32 v[132:133], v[140:141], v[132:133], v[152:153] neg_lo:[0,0,1] neg_hi:[0,0,1]
	v_mov_b32_e32 v133, v151
	v_pk_fma_f32 v[136:137], v[142:143], v[134:135], v[156:157] op_sel_hi:[1,0,1]
	v_pk_fma_f32 v[134:135], v[142:143], v[134:135], v[156:157] neg_lo:[0,0,1] neg_hi:[0,0,1]
	v_pk_add_f32 v[128:129], v[128:129], v[130:131]
	s_wait_loadcnt_dscnt 0x100
	v_pk_mul_f32 v[130:131], v[154:155], v[144:145] op_sel:[1,1] op_sel_hi:[0,1]
	s_delay_alu instid0(VALU_DEP_2) | instskip(NEXT) | instid1(VALU_DEP_2)
	v_pk_add_f32 v[128:129], v[128:129], v[132:133]
	v_pk_fma_f32 v[132:133], v[154:155], v[144:145], v[130:131] op_sel_hi:[1,0,1]
	v_mov_b32_e32 v135, v137
	v_pk_fma_f32 v[130:131], v[154:155], v[144:145], v[130:131] neg_lo:[0,0,1] neg_hi:[0,0,1]
	s_delay_alu instid0(VALU_DEP_3) | instskip(NEXT) | instid1(VALU_DEP_3)
	v_mov_b32_e32 v131, v133
	v_pk_add_f32 v[128:129], v[128:129], v[134:135]
	s_delay_alu instid0(VALU_DEP_1) | instskip(SKIP_1) | instid1(VALU_DEP_1)
	v_pk_add_f32 v[128:129], v[128:129], v[130:131]
	s_wait_loadcnt 0x0
	v_pk_add_f32 v[128:129], v[146:147], v[128:129] neg_lo:[0,1] neg_hi:[0,1]
	scratch_store_b64 off, v[128:129], off offset:456
	s_wait_xcnt 0x0
	v_cmpx_lt_u32_e32 56, v0
	s_cbranch_execz .LBB62_279
; %bb.278:
	scratch_load_b64 v[128:129], off, off offset:448
	v_mov_b64_e32 v[130:131], 0
	scratch_store_b64 off, v[130:131], off offset:448
	s_wait_loadcnt 0x0
	ds_store_b64 v1, v[128:129]
.LBB62_279:
	s_wait_xcnt 0x0
	s_or_b32 exec_lo, exec_lo, s0
	s_wait_storecnt_dscnt 0x0
	s_barrier_signal -1
	s_barrier_wait -1
	s_clause 0x3
	scratch_load_b128 v[128:131], off, off offset:456
	scratch_load_b128 v[132:135], off, off offset:472
	scratch_load_b128 v[136:139], off, off offset:488
	scratch_load_b64 v[152:153], off, off offset:448
	ds_load_2addr_b64 v[140:143], v5 offset0:121 offset1:122
	ds_load_2addr_b64 v[144:147], v5 offset0:123 offset1:124
	;; [unrolled: 1-line block ×3, first 2 shown]
	s_mov_b32 s0, exec_lo
	s_wait_dscnt 0x2
	v_dual_mov_b32 v154, v143 :: v_dual_mov_b32 v155, v142
	s_wait_dscnt 0x1
	v_dual_mov_b32 v156, v147 :: v_dual_mov_b32 v157, v146
	;; [unrolled: 2-line block ×3, first 2 shown]
	s_wait_loadcnt 0x3
	v_pk_mul_f32 v[158:159], v[140:141], v[128:129] op_sel:[1,1] op_sel_hi:[0,1]
	v_mov_b32_e32 v160, v131
	s_delay_alu instid0(VALU_DEP_2) | instskip(NEXT) | instid1(VALU_DEP_2)
	v_pk_fma_f32 v[164:165], v[140:141], v[128:129], v[158:159] op_sel_hi:[1,0,1]
	v_pk_mul_f32 v[154:155], v[154:155], v[160:161] op_sel_hi:[1,0]
	v_pk_fma_f32 v[128:129], v[140:141], v[128:129], v[158:159] neg_lo:[0,0,1] neg_hi:[0,0,1]
	s_wait_loadcnt 0x2
	v_pk_mul_f32 v[160:161], v[144:145], v[132:133] op_sel:[1,1] op_sel_hi:[0,1]
	v_mov_b32_e32 v164, v135
	v_pk_fma_f32 v[140:141], v[142:143], v[130:131], v[154:155] op_sel_hi:[1,0,1]
	v_mov_b32_e32 v129, v165
	v_pk_fma_f32 v[130:131], v[142:143], v[130:131], v[154:155] neg_lo:[0,0,1] neg_hi:[0,0,1]
	v_pk_fma_f32 v[158:159], v[144:145], v[132:133], v[160:161] op_sel_hi:[1,0,1]
	v_pk_mul_f32 v[156:157], v[156:157], v[164:165] op_sel_hi:[1,0]
	v_mov_b32_e32 v131, v141
	v_pk_add_f32 v[128:129], v[128:129], 0 op_sel_hi:[1,0]
	v_pk_fma_f32 v[132:133], v[144:145], v[132:133], v[160:161] neg_lo:[0,0,1] neg_hi:[0,0,1]
	s_wait_loadcnt 0x1
	v_pk_mul_f32 v[140:141], v[148:149], v[136:137] op_sel:[1,1] op_sel_hi:[0,1]
	v_mov_b32_e32 v133, v159
	v_pk_fma_f32 v[142:143], v[146:147], v[134:135], v[156:157] op_sel_hi:[1,0,1]
	v_pk_add_f32 v[128:129], v[128:129], v[130:131]
	v_mov_b32_e32 v130, v139
	v_pk_fma_f32 v[134:135], v[146:147], v[134:135], v[156:157] neg_lo:[0,0,1] neg_hi:[0,0,1]
	v_pk_fma_f32 v[144:145], v[148:149], v[136:137], v[140:141] op_sel_hi:[1,0,1]
	v_mov_b32_e32 v135, v143
	v_pk_add_f32 v[128:129], v[128:129], v[132:133]
	v_pk_mul_f32 v[130:131], v[162:163], v[130:131] op_sel_hi:[1,0]
	v_pk_fma_f32 v[132:133], v[148:149], v[136:137], v[140:141] neg_lo:[0,0,1] neg_hi:[0,0,1]
	v_mov_b32_e32 v133, v145
	s_delay_alu instid0(VALU_DEP_4) | instskip(NEXT) | instid1(VALU_DEP_4)
	v_pk_add_f32 v[128:129], v[128:129], v[134:135]
	v_pk_fma_f32 v[134:135], v[150:151], v[138:139], v[130:131] op_sel_hi:[1,0,1]
	v_pk_fma_f32 v[130:131], v[150:151], v[138:139], v[130:131] neg_lo:[0,0,1] neg_hi:[0,0,1]
	s_delay_alu instid0(VALU_DEP_3) | instskip(NEXT) | instid1(VALU_DEP_3)
	v_pk_add_f32 v[128:129], v[128:129], v[132:133]
	v_mov_b32_e32 v131, v135
	s_delay_alu instid0(VALU_DEP_1) | instskip(SKIP_1) | instid1(VALU_DEP_1)
	v_pk_add_f32 v[128:129], v[128:129], v[130:131]
	s_wait_loadcnt 0x0
	v_pk_add_f32 v[128:129], v[152:153], v[128:129] neg_lo:[0,1] neg_hi:[0,1]
	scratch_store_b64 off, v[128:129], off offset:448
	s_wait_xcnt 0x0
	v_cmpx_lt_u32_e32 55, v0
	s_cbranch_execz .LBB62_281
; %bb.280:
	scratch_load_b64 v[128:129], off, off offset:440
	v_mov_b64_e32 v[130:131], 0
	scratch_store_b64 off, v[130:131], off offset:440
	s_wait_loadcnt 0x0
	ds_store_b64 v1, v[128:129]
.LBB62_281:
	s_wait_xcnt 0x0
	s_or_b32 exec_lo, exec_lo, s0
	s_wait_storecnt_dscnt 0x0
	s_barrier_signal -1
	s_barrier_wait -1
	s_clause 0x4
	scratch_load_b128 v[128:131], off, off offset:448
	scratch_load_b128 v[132:135], off, off offset:464
	scratch_load_b128 v[136:139], off, off offset:480
	scratch_load_b64 v[152:153], off, off offset:496
	scratch_load_b64 v[154:155], off, off offset:440
	v_mov_b32_e32 v5, 0
	ds_load_b128 v[140:143], v5 offset:960
	ds_load_b128 v[144:147], v5 offset:976
	;; [unrolled: 1-line block ×3, first 2 shown]
	ds_load_b64 v[156:157], v5 offset:1008
	s_mov_b32 s0, exec_lo
	s_wait_dscnt 0x3
	v_dual_mov_b32 v158, v143 :: v_dual_mov_b32 v159, v142
	s_wait_dscnt 0x2
	v_dual_mov_b32 v160, v147 :: v_dual_mov_b32 v161, v146
	;; [unrolled: 2-line block ×3, first 2 shown]
	s_wait_loadcnt 0x4
	v_pk_mul_f32 v[162:163], v[140:141], v[128:129] op_sel:[1,1] op_sel_hi:[0,1]
	v_mov_b32_e32 v164, v131
	s_wait_loadcnt 0x3
	v_pk_mul_f32 v[168:169], v[144:145], v[132:133] op_sel:[1,1] op_sel_hi:[0,1]
	s_wait_loadcnt 0x2
	v_pk_mul_f32 v[172:173], v[148:149], v[136:137] op_sel:[1,1] op_sel_hi:[0,1]
	v_pk_fma_f32 v[170:171], v[140:141], v[128:129], v[162:163] op_sel_hi:[1,0,1]
	v_pk_mul_f32 v[158:159], v[158:159], v[164:165] op_sel_hi:[1,0]
	v_pk_fma_f32 v[128:129], v[140:141], v[128:129], v[162:163] neg_lo:[0,0,1] neg_hi:[0,0,1]
	v_mov_b32_e32 v164, v135
	v_pk_fma_f32 v[162:163], v[144:145], v[132:133], v[168:169] op_sel_hi:[1,0,1]
	v_mov_b32_e32 v129, v171
	v_pk_fma_f32 v[140:141], v[142:143], v[130:131], v[158:159] op_sel_hi:[1,0,1]
	v_pk_fma_f32 v[130:131], v[142:143], v[130:131], v[158:159] neg_lo:[0,0,1] neg_hi:[0,0,1]
	v_pk_mul_f32 v[160:161], v[160:161], v[164:165] op_sel_hi:[1,0]
	v_pk_fma_f32 v[132:133], v[144:145], v[132:133], v[168:169] neg_lo:[0,0,1] neg_hi:[0,0,1]
	v_pk_add_f32 v[128:129], v[128:129], 0 op_sel_hi:[1,0]
	v_dual_mov_b32 v131, v141 :: v_dual_mov_b32 v140, v139
	s_delay_alu instid0(VALU_DEP_4) | instskip(SKIP_2) | instid1(VALU_DEP_4)
	v_pk_fma_f32 v[142:143], v[146:147], v[134:135], v[160:161] op_sel_hi:[1,0,1]
	v_mov_b32_e32 v133, v163
	v_pk_fma_f32 v[134:135], v[146:147], v[134:135], v[160:161] neg_lo:[0,0,1] neg_hi:[0,0,1]
	v_pk_add_f32 v[128:129], v[128:129], v[130:131]
	v_pk_fma_f32 v[130:131], v[148:149], v[136:137], v[172:173] op_sel_hi:[1,0,1]
	v_pk_mul_f32 v[140:141], v[166:167], v[140:141] op_sel_hi:[1,0]
	v_mov_b32_e32 v135, v143
	s_delay_alu instid0(VALU_DEP_4)
	v_pk_add_f32 v[128:129], v[128:129], v[132:133]
	v_pk_fma_f32 v[132:133], v[148:149], v[136:137], v[172:173] neg_lo:[0,0,1] neg_hi:[0,0,1]
	v_mov_b32_e32 v133, v131
	v_pk_fma_f32 v[130:131], v[150:151], v[138:139], v[140:141] op_sel_hi:[1,0,1]
	v_pk_fma_f32 v[136:137], v[150:151], v[138:139], v[140:141] neg_lo:[0,0,1] neg_hi:[0,0,1]
	v_pk_add_f32 v[128:129], v[128:129], v[134:135]
	s_wait_loadcnt_dscnt 0x100
	v_pk_mul_f32 v[134:135], v[156:157], v[152:153] op_sel:[1,1] op_sel_hi:[0,1]
	v_mov_b32_e32 v137, v131
	s_delay_alu instid0(VALU_DEP_3) | instskip(NEXT) | instid1(VALU_DEP_3)
	v_pk_add_f32 v[128:129], v[128:129], v[132:133]
	v_pk_fma_f32 v[130:131], v[156:157], v[152:153], v[134:135] op_sel_hi:[1,0,1]
	v_pk_fma_f32 v[132:133], v[156:157], v[152:153], v[134:135] neg_lo:[0,0,1] neg_hi:[0,0,1]
	s_delay_alu instid0(VALU_DEP_3) | instskip(NEXT) | instid1(VALU_DEP_3)
	v_pk_add_f32 v[128:129], v[128:129], v[136:137]
	v_mov_b32_e32 v133, v131
	s_delay_alu instid0(VALU_DEP_1) | instskip(SKIP_1) | instid1(VALU_DEP_1)
	v_pk_add_f32 v[128:129], v[128:129], v[132:133]
	s_wait_loadcnt 0x0
	v_pk_add_f32 v[128:129], v[154:155], v[128:129] neg_lo:[0,1] neg_hi:[0,1]
	scratch_store_b64 off, v[128:129], off offset:440
	s_wait_xcnt 0x0
	v_cmpx_lt_u32_e32 54, v0
	s_cbranch_execz .LBB62_283
; %bb.282:
	scratch_load_b64 v[128:129], off, off offset:432
	v_mov_b64_e32 v[130:131], 0
	scratch_store_b64 off, v[130:131], off offset:432
	s_wait_loadcnt 0x0
	ds_store_b64 v1, v[128:129]
.LBB62_283:
	s_wait_xcnt 0x0
	s_or_b32 exec_lo, exec_lo, s0
	s_wait_storecnt_dscnt 0x0
	s_barrier_signal -1
	s_barrier_wait -1
	s_clause 0x4
	scratch_load_b128 v[128:131], off, off offset:440
	scratch_load_b128 v[132:135], off, off offset:456
	;; [unrolled: 1-line block ×4, first 2 shown]
	scratch_load_b64 v[160:161], off, off offset:432
	ds_load_2addr_b64 v[144:147], v5 offset0:119 offset1:120
	ds_load_2addr_b64 v[148:151], v5 offset0:121 offset1:122
	;; [unrolled: 1-line block ×4, first 2 shown]
	s_mov_b32 s0, exec_lo
	s_wait_dscnt 0x3
	v_dual_mov_b32 v162, v147 :: v_dual_mov_b32 v163, v146
	s_wait_dscnt 0x2
	v_dual_mov_b32 v164, v151 :: v_dual_mov_b32 v165, v150
	;; [unrolled: 2-line block ×3, first 2 shown]
	v_dual_mov_b32 v167, v154 :: v_dual_mov_b32 v172, v159
	s_wait_loadcnt 0x4
	v_mov_b32_e32 v170, v131
	v_pk_mul_f32 v[168:169], v[144:145], v[128:129] op_sel:[1,1] op_sel_hi:[0,1]
	s_wait_loadcnt 0x3
	v_pk_mul_f32 v[174:175], v[148:149], v[132:133] op_sel:[1,1] op_sel_hi:[0,1]
	s_wait_loadcnt 0x2
	v_pk_mul_f32 v[178:179], v[152:153], v[136:137] op_sel:[1,1] op_sel_hi:[0,1]
	v_pk_mul_f32 v[162:163], v[162:163], v[170:171] op_sel_hi:[1,0]
	v_pk_fma_f32 v[176:177], v[144:145], v[128:129], v[168:169] op_sel_hi:[1,0,1]
	v_pk_fma_f32 v[128:129], v[144:145], v[128:129], v[168:169] neg_lo:[0,0,1] neg_hi:[0,0,1]
	v_mov_b32_e32 v170, v135
	v_pk_fma_f32 v[168:169], v[148:149], v[132:133], v[174:175] op_sel_hi:[1,0,1]
	v_pk_fma_f32 v[144:145], v[146:147], v[130:131], v[162:163] op_sel_hi:[1,0,1]
	v_mov_b32_e32 v129, v177
	v_pk_fma_f32 v[130:131], v[146:147], v[130:131], v[162:163] neg_lo:[0,0,1] neg_hi:[0,0,1]
	v_pk_mul_f32 v[164:165], v[164:165], v[170:171] op_sel_hi:[1,0]
	s_delay_alu instid0(VALU_DEP_4) | instskip(NEXT) | instid1(VALU_DEP_4)
	v_dual_mov_b32 v144, v139 :: v_dual_mov_b32 v131, v145
	v_pk_add_f32 v[128:129], v[128:129], 0 op_sel_hi:[1,0]
	v_pk_fma_f32 v[132:133], v[148:149], v[132:133], v[174:175] neg_lo:[0,0,1] neg_hi:[0,0,1]
	v_mov_b32_e32 v133, v169
	v_pk_fma_f32 v[146:147], v[150:151], v[134:135], v[164:165] op_sel_hi:[1,0,1]
	v_pk_mul_f32 v[144:145], v[166:167], v[144:145] op_sel_hi:[1,0]
	v_pk_add_f32 v[128:129], v[128:129], v[130:131]
	v_pk_fma_f32 v[130:131], v[152:153], v[136:137], v[178:179] op_sel_hi:[1,0,1]
	v_pk_fma_f32 v[134:135], v[150:151], v[134:135], v[164:165] neg_lo:[0,0,1] neg_hi:[0,0,1]
	v_mov_b32_e32 v135, v147
	v_pk_fma_f32 v[136:137], v[152:153], v[136:137], v[178:179] neg_lo:[0,0,1] neg_hi:[0,0,1]
	v_pk_add_f32 v[128:129], v[128:129], v[132:133]
	v_mov_b32_e32 v137, v131
	v_pk_fma_f32 v[130:131], v[154:155], v[138:139], v[144:145] op_sel_hi:[1,0,1]
	s_wait_loadcnt 0x1
	v_pk_mul_f32 v[132:133], v[156:157], v[140:141] op_sel:[1,1] op_sel_hi:[0,1]
	v_mov_b32_e32 v130, v143
	v_pk_add_f32 v[128:129], v[128:129], v[134:135]
	v_pk_fma_f32 v[138:139], v[154:155], v[138:139], v[144:145] neg_lo:[0,0,1] neg_hi:[0,0,1]
	v_mov_b32_e32 v139, v131
	v_pk_fma_f32 v[134:135], v[156:157], v[140:141], v[132:133] op_sel_hi:[1,0,1]
	v_pk_mul_f32 v[130:131], v[172:173], v[130:131] op_sel_hi:[1,0]
	v_pk_add_f32 v[128:129], v[128:129], v[136:137]
	v_pk_fma_f32 v[132:133], v[156:157], v[140:141], v[132:133] neg_lo:[0,0,1] neg_hi:[0,0,1]
	s_delay_alu instid0(VALU_DEP_4) | instskip(NEXT) | instid1(VALU_DEP_4)
	v_mov_b32_e32 v133, v135
	v_pk_fma_f32 v[134:135], v[158:159], v[142:143], v[130:131] op_sel_hi:[1,0,1]
	s_delay_alu instid0(VALU_DEP_4) | instskip(SKIP_1) | instid1(VALU_DEP_3)
	v_pk_add_f32 v[128:129], v[128:129], v[138:139]
	v_pk_fma_f32 v[130:131], v[158:159], v[142:143], v[130:131] neg_lo:[0,0,1] neg_hi:[0,0,1]
	v_mov_b32_e32 v131, v135
	s_delay_alu instid0(VALU_DEP_3) | instskip(NEXT) | instid1(VALU_DEP_1)
	v_pk_add_f32 v[128:129], v[128:129], v[132:133]
	v_pk_add_f32 v[128:129], v[128:129], v[130:131]
	s_wait_loadcnt 0x0
	s_delay_alu instid0(VALU_DEP_1)
	v_pk_add_f32 v[128:129], v[160:161], v[128:129] neg_lo:[0,1] neg_hi:[0,1]
	scratch_store_b64 off, v[128:129], off offset:432
	s_wait_xcnt 0x0
	v_cmpx_lt_u32_e32 53, v0
	s_cbranch_execz .LBB62_285
; %bb.284:
	scratch_load_b64 v[128:129], off, off offset:424
	v_mov_b64_e32 v[130:131], 0
	scratch_store_b64 off, v[130:131], off offset:424
	s_wait_loadcnt 0x0
	ds_store_b64 v1, v[128:129]
.LBB62_285:
	s_wait_xcnt 0x0
	s_or_b32 exec_lo, exec_lo, s0
	s_wait_storecnt_dscnt 0x0
	s_barrier_signal -1
	s_barrier_wait -1
	s_clause 0x5
	scratch_load_b128 v[128:131], off, off offset:432
	scratch_load_b128 v[132:135], off, off offset:448
	;; [unrolled: 1-line block ×4, first 2 shown]
	scratch_load_b64 v[160:161], off, off offset:496
	scratch_load_b64 v[162:163], off, off offset:424
	v_mov_b32_e32 v5, 0
	ds_load_b128 v[144:147], v5 offset:944
	ds_load_b128 v[148:151], v5 offset:960
	;; [unrolled: 1-line block ×4, first 2 shown]
	ds_load_b64 v[164:165], v5 offset:1008
	s_mov_b32 s0, exec_lo
	s_wait_dscnt 0x4
	v_dual_mov_b32 v166, v147 :: v_dual_mov_b32 v167, v146
	s_wait_dscnt 0x1
	v_dual_mov_b32 v168, v151 :: v_dual_mov_b32 v173, v158
	v_dual_mov_b32 v169, v150 :: v_dual_mov_b32 v170, v155
	;; [unrolled: 1-line block ×3, first 2 shown]
	s_wait_loadcnt 0x5
	v_dual_mov_b32 v174, v131 :: v_dual_mul_f32 v175, v144, v129
	v_mul_f32_e32 v9, v145, v129
	s_wait_loadcnt 0x4
	v_pk_mul_f32 v[176:177], v[148:149], v[132:133] op_sel:[1,1] op_sel_hi:[0,1]
	v_mov_b32_e32 v178, v135
	s_wait_loadcnt 0x3
	v_pk_mul_f32 v[180:181], v[152:153], v[136:137] op_sel:[1,1] op_sel_hi:[0,1]
	v_pk_mul_f32 v[166:167], v[166:167], v[174:175] op_sel_hi:[1,0]
	v_dual_fmac_f32 v175, v145, v128 :: v_dual_fma_f32 v174, v144, v128, -v9
	v_mov_b32_e32 v128, v139
	v_pk_fma_f32 v[182:183], v[148:149], v[132:133], v[176:177] op_sel_hi:[1,0,1]
	s_delay_alu instid0(VALU_DEP_4)
	v_pk_fma_f32 v[144:145], v[146:147], v[130:131], v[166:167] op_sel_hi:[1,0,1]
	v_pk_fma_f32 v[130:131], v[146:147], v[130:131], v[166:167] neg_lo:[0,0,1] neg_hi:[0,0,1]
	v_pk_mul_f32 v[168:169], v[168:169], v[178:179] op_sel_hi:[1,0]
	v_pk_add_f32 v[174:175], v[174:175], 0 op_sel_hi:[1,0]
	v_pk_fma_f32 v[132:133], v[148:149], v[132:133], v[176:177] neg_lo:[0,0,1] neg_hi:[0,0,1]
	v_dual_mov_b32 v131, v145 :: v_dual_mov_b32 v133, v183
	s_delay_alu instid0(VALU_DEP_4) | instskip(SKIP_2) | instid1(VALU_DEP_4)
	v_pk_fma_f32 v[146:147], v[150:151], v[134:135], v[168:169] op_sel_hi:[1,0,1]
	v_pk_fma_f32 v[134:135], v[150:151], v[134:135], v[168:169] neg_lo:[0,0,1] neg_hi:[0,0,1]
	v_pk_fma_f32 v[148:149], v[152:153], v[136:137], v[180:181] op_sel_hi:[1,0,1]
	v_pk_add_f32 v[130:131], v[174:175], v[130:131]
	v_pk_mul_f32 v[128:129], v[170:171], v[128:129] op_sel_hi:[1,0]
	v_mov_b32_e32 v135, v147
	v_pk_fma_f32 v[136:137], v[152:153], v[136:137], v[180:181] neg_lo:[0,0,1] neg_hi:[0,0,1]
	s_wait_loadcnt 0x2
	v_pk_mul_f32 v[144:145], v[156:157], v[140:141] op_sel:[1,1] op_sel_hi:[0,1]
	v_pk_add_f32 v[130:131], v[130:131], v[132:133]
	v_mov_b32_e32 v132, v143
	v_pk_fma_f32 v[146:147], v[154:155], v[138:139], v[128:129] op_sel_hi:[1,0,1]
	v_mov_b32_e32 v137, v149
	v_pk_fma_f32 v[128:129], v[154:155], v[138:139], v[128:129] neg_lo:[0,0,1] neg_hi:[0,0,1]
	v_pk_add_f32 v[130:131], v[130:131], v[134:135]
	v_pk_fma_f32 v[134:135], v[156:157], v[140:141], v[144:145] op_sel_hi:[1,0,1]
	v_pk_mul_f32 v[132:133], v[172:173], v[132:133] op_sel_hi:[1,0]
	v_mov_b32_e32 v129, v147
	s_delay_alu instid0(VALU_DEP_4)
	v_pk_add_f32 v[130:131], v[130:131], v[136:137]
	v_pk_fma_f32 v[136:137], v[156:157], v[140:141], v[144:145] neg_lo:[0,0,1] neg_hi:[0,0,1]
	v_mov_b32_e32 v137, v135
	v_pk_fma_f32 v[134:135], v[158:159], v[142:143], v[132:133] op_sel_hi:[1,0,1]
	v_pk_fma_f32 v[132:133], v[158:159], v[142:143], v[132:133] neg_lo:[0,0,1] neg_hi:[0,0,1]
	v_pk_add_f32 v[128:129], v[130:131], v[128:129]
	s_wait_loadcnt_dscnt 0x100
	v_pk_mul_f32 v[130:131], v[164:165], v[160:161] op_sel:[1,1] op_sel_hi:[0,1]
	v_mov_b32_e32 v133, v135
	s_delay_alu instid0(VALU_DEP_3) | instskip(NEXT) | instid1(VALU_DEP_3)
	v_pk_add_f32 v[128:129], v[128:129], v[136:137]
	v_pk_fma_f32 v[134:135], v[164:165], v[160:161], v[130:131] op_sel_hi:[1,0,1]
	v_pk_fma_f32 v[130:131], v[164:165], v[160:161], v[130:131] neg_lo:[0,0,1] neg_hi:[0,0,1]
	s_delay_alu instid0(VALU_DEP_3) | instskip(NEXT) | instid1(VALU_DEP_3)
	v_pk_add_f32 v[128:129], v[128:129], v[132:133]
	v_mov_b32_e32 v131, v135
	s_delay_alu instid0(VALU_DEP_1) | instskip(SKIP_1) | instid1(VALU_DEP_1)
	v_pk_add_f32 v[128:129], v[128:129], v[130:131]
	s_wait_loadcnt 0x0
	v_pk_add_f32 v[128:129], v[162:163], v[128:129] neg_lo:[0,1] neg_hi:[0,1]
	scratch_store_b64 off, v[128:129], off offset:424
	s_wait_xcnt 0x0
	v_cmpx_lt_u32_e32 52, v0
	s_cbranch_execz .LBB62_287
; %bb.286:
	scratch_load_b64 v[128:129], off, off offset:416
	v_mov_b64_e32 v[130:131], 0
	scratch_store_b64 off, v[130:131], off offset:416
	s_wait_loadcnt 0x0
	ds_store_b64 v1, v[128:129]
.LBB62_287:
	s_wait_xcnt 0x0
	s_or_b32 exec_lo, exec_lo, s0
	s_wait_storecnt_dscnt 0x0
	s_barrier_signal -1
	s_barrier_wait -1
	s_clause 0x5
	scratch_load_b128 v[128:131], off, off offset:424
	scratch_load_b128 v[132:135], off, off offset:440
	;; [unrolled: 1-line block ×5, first 2 shown]
	scratch_load_b64 v[168:169], off, off offset:416
	ds_load_2addr_b64 v[148:151], v5 offset0:119 offset1:120
	ds_load_2addr_b64 v[152:155], v5 offset0:121 offset1:122
	;; [unrolled: 1-line block ×5, first 2 shown]
	s_mov_b32 s0, exec_lo
	s_wait_dscnt 0x4
	v_dual_mov_b32 v170, v151 :: v_dual_mov_b32 v171, v150
	s_wait_dscnt 0x3
	v_dual_mov_b32 v172, v155 :: v_dual_mov_b32 v173, v154
	;; [unrolled: 2-line block ×4, first 2 shown]
	s_wait_loadcnt_dscnt 0x500
	v_dual_mul_f32 v179, v164, v129 :: v_dual_mul_f32 v181, v166, v131
	v_dual_mul_f32 v5, v165, v129 :: v_dual_mul_f32 v9, v167, v131
	s_wait_loadcnt 0x4
	v_pk_mul_f32 v[182:183], v[148:149], v[132:133] op_sel:[1,1] op_sel_hi:[0,1]
	s_wait_loadcnt 0x3
	v_dual_mov_b32 v184, v135 :: v_dual_mov_b32 v188, v139
	v_dual_fmac_f32 v179, v165, v128 :: v_dual_fma_f32 v178, v164, v128, -v5
	v_fma_f32 v180, v166, v130, -v9
	v_pk_fma_f32 v[128:129], v[148:149], v[132:133], v[182:183] op_sel_hi:[1,0,1]
	v_fmac_f32_e32 v181, v167, v130
	v_pk_mul_f32 v[130:131], v[170:171], v[184:185] op_sel_hi:[1,0]
	v_pk_fma_f32 v[132:133], v[148:149], v[132:133], v[182:183] neg_lo:[0,0,1] neg_hi:[0,0,1]
	v_pk_add_f32 v[164:165], v[178:179], 0 op_sel_hi:[1,0]
	v_mov_b32_e32 v133, v129
	v_pk_mul_f32 v[186:187], v[152:153], v[136:137] op_sel:[1,1] op_sel_hi:[0,1]
	v_pk_fma_f32 v[128:129], v[150:151], v[134:135], v[130:131] op_sel_hi:[1,0,1]
	v_pk_fma_f32 v[130:131], v[150:151], v[134:135], v[130:131] neg_lo:[0,0,1] neg_hi:[0,0,1]
	v_pk_mul_f32 v[170:171], v[172:173], v[188:189] op_sel_hi:[1,0]
	s_wait_loadcnt 0x2
	v_pk_mul_f32 v[166:167], v[156:157], v[140:141] op_sel:[1,1] op_sel_hi:[0,1]
	v_pk_fma_f32 v[134:135], v[152:153], v[136:137], v[186:187] neg_lo:[0,0,1] neg_hi:[0,0,1]
	v_mov_b32_e32 v131, v129
	v_pk_add_f32 v[148:149], v[164:165], v[180:181]
	v_pk_fma_f32 v[164:165], v[152:153], v[136:137], v[186:187] op_sel_hi:[1,0,1]
	v_pk_fma_f32 v[136:137], v[154:155], v[138:139], v[170:171] op_sel_hi:[1,0,1]
	v_pk_fma_f32 v[138:139], v[154:155], v[138:139], v[170:171] neg_lo:[0,0,1] neg_hi:[0,0,1]
	s_delay_alu instid0(VALU_DEP_4) | instskip(NEXT) | instid1(VALU_DEP_4)
	v_pk_add_f32 v[128:129], v[148:149], v[132:133]
	v_dual_mov_b32 v132, v143 :: v_dual_mov_b32 v135, v165
	s_delay_alu instid0(VALU_DEP_2) | instskip(SKIP_1) | instid1(VALU_DEP_3)
	v_pk_add_f32 v[128:129], v[128:129], v[130:131]
	v_pk_fma_f32 v[130:131], v[156:157], v[140:141], v[166:167] op_sel_hi:[1,0,1]
	v_pk_mul_f32 v[132:133], v[174:175], v[132:133] op_sel_hi:[1,0]
	v_mov_b32_e32 v139, v137
	v_pk_fma_f32 v[136:137], v[156:157], v[140:141], v[166:167] neg_lo:[0,0,1] neg_hi:[0,0,1]
	v_pk_add_f32 v[128:129], v[128:129], v[134:135]
	v_mov_b32_e32 v137, v131
	v_pk_fma_f32 v[130:131], v[158:159], v[142:143], v[132:133] op_sel_hi:[1,0,1]
	s_wait_loadcnt 0x1
	v_pk_mul_f32 v[134:135], v[160:161], v[144:145] op_sel:[1,1] op_sel_hi:[0,1]
	v_mov_b32_e32 v130, v147
	v_pk_add_f32 v[128:129], v[128:129], v[138:139]
	v_pk_fma_f32 v[132:133], v[158:159], v[142:143], v[132:133] neg_lo:[0,0,1] neg_hi:[0,0,1]
	v_mov_b32_e32 v133, v131
	v_pk_fma_f32 v[138:139], v[160:161], v[144:145], v[134:135] op_sel_hi:[1,0,1]
	v_pk_mul_f32 v[130:131], v[176:177], v[130:131] op_sel_hi:[1,0]
	v_pk_add_f32 v[128:129], v[128:129], v[136:137]
	v_pk_fma_f32 v[134:135], v[160:161], v[144:145], v[134:135] neg_lo:[0,0,1] neg_hi:[0,0,1]
	s_delay_alu instid0(VALU_DEP_2) | instskip(NEXT) | instid1(VALU_DEP_4)
	v_pk_add_f32 v[128:129], v[128:129], v[132:133]
	v_pk_fma_f32 v[132:133], v[162:163], v[146:147], v[130:131] op_sel_hi:[1,0,1]
	v_mov_b32_e32 v135, v139
	v_pk_fma_f32 v[130:131], v[162:163], v[146:147], v[130:131] neg_lo:[0,0,1] neg_hi:[0,0,1]
	s_delay_alu instid0(VALU_DEP_3) | instskip(NEXT) | instid1(VALU_DEP_3)
	v_mov_b32_e32 v131, v133
	v_pk_add_f32 v[128:129], v[128:129], v[134:135]
	s_delay_alu instid0(VALU_DEP_1) | instskip(SKIP_1) | instid1(VALU_DEP_1)
	v_pk_add_f32 v[128:129], v[128:129], v[130:131]
	s_wait_loadcnt 0x0
	v_pk_add_f32 v[128:129], v[168:169], v[128:129] neg_lo:[0,1] neg_hi:[0,1]
	scratch_store_b64 off, v[128:129], off offset:416
	s_wait_xcnt 0x0
	v_cmpx_lt_u32_e32 51, v0
	s_cbranch_execz .LBB62_289
; %bb.288:
	scratch_load_b64 v[128:129], off, off offset:408
	v_mov_b64_e32 v[130:131], 0
	scratch_store_b64 off, v[130:131], off offset:408
	s_wait_loadcnt 0x0
	ds_store_b64 v1, v[128:129]
.LBB62_289:
	s_wait_xcnt 0x0
	s_or_b32 exec_lo, exec_lo, s0
	s_wait_storecnt_dscnt 0x0
	s_barrier_signal -1
	s_barrier_wait -1
	s_clause 0x6
	scratch_load_b128 v[128:131], off, off offset:416
	scratch_load_b128 v[132:135], off, off offset:432
	scratch_load_b128 v[136:139], off, off offset:448
	scratch_load_b128 v[140:143], off, off offset:464
	scratch_load_b128 v[144:147], off, off offset:480
	scratch_load_b64 v[168:169], off, off offset:496
	scratch_load_b64 v[170:171], off, off offset:408
	v_mov_b32_e32 v5, 0
	ds_load_b128 v[148:151], v5 offset:944
	ds_load_b128 v[152:155], v5 offset:960
	;; [unrolled: 1-line block ×5, first 2 shown]
	ds_load_b64 v[172:173], v5 offset:1008
	s_mov_b32 s0, exec_lo
	s_wait_dscnt 0x5
	v_dual_mov_b32 v174, v151 :: v_dual_mov_b32 v175, v150
	s_wait_dscnt 0x2
	v_dual_mov_b32 v176, v155 :: v_dual_mov_b32 v181, v162
	v_dual_mov_b32 v177, v154 :: v_dual_mov_b32 v178, v159
	;; [unrolled: 1-line block ×3, first 2 shown]
	s_wait_loadcnt_dscnt 0x601
	v_dual_mul_f32 v9, v164, v129 :: v_dual_mul_f32 v11, v165, v129
	v_dual_mul_f32 v13, v167, v131 :: v_dual_mul_f32 v183, v166, v131
	s_wait_loadcnt 0x5
	v_dual_mul_f32 v185, v148, v133 :: v_dual_mul_f32 v15, v149, v133
	s_wait_loadcnt 0x4
	v_dual_mov_b32 v184, v135 :: v_dual_mov_b32 v188, v139
	v_dual_fmac_f32 v9, v165, v128 :: v_dual_fma_f32 v11, v164, v128, -v11
	v_dual_fma_f32 v182, v166, v130, -v13 :: v_dual_fmac_f32 v183, v167, v130
	s_delay_alu instid0(VALU_DEP_3) | instskip(NEXT) | instid1(VALU_DEP_3)
	v_pk_mul_f32 v[128:129], v[174:175], v[184:185] op_sel_hi:[1,0]
	v_dual_add_f32 v131, 0, v9 :: v_dual_add_f32 v130, 0, v11
	s_wait_loadcnt 0x3
	v_mov_b32_e32 v164, v143
	v_pk_mul_f32 v[186:187], v[152:153], v[136:137] op_sel:[1,1] op_sel_hi:[0,1]
	v_dual_fmac_f32 v185, v149, v132 :: v_dual_fma_f32 v184, v148, v132, -v15
	v_pk_fma_f32 v[132:133], v[150:151], v[134:135], v[128:129] op_sel_hi:[1,0,1]
	v_pk_add_f32 v[130:131], v[130:131], v[182:183]
	v_pk_fma_f32 v[128:129], v[150:151], v[134:135], v[128:129] neg_lo:[0,0,1] neg_hi:[0,0,1]
	v_pk_fma_f32 v[148:149], v[152:153], v[136:137], v[186:187] op_sel_hi:[1,0,1]
	v_pk_mul_f32 v[166:167], v[176:177], v[188:189] op_sel_hi:[1,0]
	v_mov_b32_e32 v129, v133
	v_pk_add_f32 v[130:131], v[130:131], v[184:185]
	v_pk_fma_f32 v[134:135], v[152:153], v[136:137], v[186:187] neg_lo:[0,0,1] neg_hi:[0,0,1]
	v_pk_mul_f32 v[190:191], v[156:157], v[140:141] op_sel:[1,1] op_sel_hi:[0,1]
	v_mov_b32_e32 v135, v149
	v_pk_fma_f32 v[136:137], v[154:155], v[138:139], v[166:167] op_sel_hi:[1,0,1]
	v_pk_add_f32 v[128:129], v[130:131], v[128:129]
	v_pk_fma_f32 v[138:139], v[154:155], v[138:139], v[166:167] neg_lo:[0,0,1] neg_hi:[0,0,1]
	v_pk_fma_f32 v[130:131], v[156:157], v[140:141], v[190:191] op_sel_hi:[1,0,1]
	v_pk_mul_f32 v[148:149], v[178:179], v[164:165] op_sel_hi:[1,0]
	s_wait_loadcnt 0x2
	v_dual_mov_b32 v139, v137 :: v_dual_mov_b32 v130, v147
	v_pk_add_f32 v[128:129], v[128:129], v[134:135]
	v_pk_fma_f32 v[134:135], v[156:157], v[140:141], v[190:191] neg_lo:[0,0,1] neg_hi:[0,0,1]
	v_pk_mul_f32 v[132:133], v[160:161], v[144:145] op_sel:[1,1] op_sel_hi:[0,1]
	v_pk_fma_f32 v[136:137], v[158:159], v[142:143], v[148:149] op_sel_hi:[1,0,1]
	v_mov_b32_e32 v135, v131
	v_pk_add_f32 v[128:129], v[128:129], v[138:139]
	v_pk_fma_f32 v[140:141], v[158:159], v[142:143], v[148:149] neg_lo:[0,0,1] neg_hi:[0,0,1]
	v_pk_fma_f32 v[138:139], v[160:161], v[144:145], v[132:133] op_sel_hi:[1,0,1]
	v_pk_mul_f32 v[130:131], v[180:181], v[130:131] op_sel_hi:[1,0]
	v_mov_b32_e32 v141, v137
	v_pk_add_f32 v[128:129], v[128:129], v[134:135]
	v_pk_fma_f32 v[132:133], v[160:161], v[144:145], v[132:133] neg_lo:[0,0,1] neg_hi:[0,0,1]
	s_wait_loadcnt_dscnt 0x100
	v_pk_mul_f32 v[136:137], v[172:173], v[168:169] op_sel:[1,1] op_sel_hi:[0,1]
	v_pk_fma_f32 v[134:135], v[162:163], v[146:147], v[130:131] op_sel_hi:[1,0,1]
	v_mov_b32_e32 v133, v139
	v_pk_add_f32 v[128:129], v[128:129], v[140:141]
	v_pk_fma_f32 v[130:131], v[162:163], v[146:147], v[130:131] neg_lo:[0,0,1] neg_hi:[0,0,1]
	s_delay_alu instid0(VALU_DEP_4) | instskip(SKIP_1) | instid1(VALU_DEP_4)
	v_mov_b32_e32 v131, v135
	v_pk_fma_f32 v[134:135], v[172:173], v[168:169], v[136:137] neg_lo:[0,0,1] neg_hi:[0,0,1]
	v_pk_add_f32 v[128:129], v[128:129], v[132:133]
	v_pk_fma_f32 v[132:133], v[172:173], v[168:169], v[136:137] op_sel_hi:[1,0,1]
	s_delay_alu instid0(VALU_DEP_2) | instskip(NEXT) | instid1(VALU_DEP_2)
	v_pk_add_f32 v[128:129], v[128:129], v[130:131]
	v_mov_b32_e32 v135, v133
	s_delay_alu instid0(VALU_DEP_1) | instskip(SKIP_1) | instid1(VALU_DEP_1)
	v_pk_add_f32 v[128:129], v[128:129], v[134:135]
	s_wait_loadcnt 0x0
	v_pk_add_f32 v[128:129], v[170:171], v[128:129] neg_lo:[0,1] neg_hi:[0,1]
	scratch_store_b64 off, v[128:129], off offset:408
	s_wait_xcnt 0x0
	v_cmpx_lt_u32_e32 50, v0
	s_cbranch_execz .LBB62_291
; %bb.290:
	scratch_load_b64 v[128:129], off, off offset:400
	v_mov_b64_e32 v[130:131], 0
	scratch_store_b64 off, v[130:131], off offset:400
	s_wait_loadcnt 0x0
	ds_store_b64 v1, v[128:129]
.LBB62_291:
	s_wait_xcnt 0x0
	s_or_b32 exec_lo, exec_lo, s0
	s_wait_storecnt_dscnt 0x0
	s_barrier_signal -1
	s_barrier_wait -1
	s_clause 0x6
	scratch_load_b128 v[128:131], off, off offset:408
	scratch_load_b128 v[132:135], off, off offset:424
	;; [unrolled: 1-line block ×6, first 2 shown]
	scratch_load_b64 v[176:177], off, off offset:400
	ds_load_2addr_b64 v[152:155], v5 offset0:119 offset1:120
	ds_load_2addr_b64 v[156:159], v5 offset0:121 offset1:122
	;; [unrolled: 1-line block ×6, first 2 shown]
	s_mov_b32 s0, exec_lo
	s_wait_dscnt 0x5
	v_dual_mov_b32 v178, v155 :: v_dual_mov_b32 v179, v154
	s_wait_dscnt 0x4
	v_dual_mov_b32 v180, v159 :: v_dual_mov_b32 v181, v158
	;; [unrolled: 2-line block ×4, first 2 shown]
	s_wait_loadcnt_dscnt 0x601
	v_dual_mul_f32 v5, v168, v129 :: v_dual_mul_f32 v9, v170, v131
	v_dual_mul_f32 v11, v169, v129 :: v_dual_mul_f32 v13, v171, v131
	s_wait_loadcnt 0x4
	s_delay_alu instid0(VALU_DEP_2)
	v_dual_mov_b32 v192, v139 :: v_dual_fmac_f32 v5, v169, v128
	s_wait_dscnt 0x0
	v_dual_mul_f32 v187, v172, v133 :: v_dual_mul_f32 v189, v174, v135
	v_dual_fma_f32 v11, v168, v128, -v11 :: v_dual_fmac_f32 v9, v171, v130
	v_dual_mul_f32 v15, v173, v133 :: v_dual_mul_f32 v17, v175, v135
	v_dual_fma_f32 v13, v170, v130, -v13 :: v_dual_add_f32 v5, 0, v5
	s_wait_loadcnt 0x3
	s_delay_alu instid0(VALU_DEP_3)
	v_dual_add_f32 v11, 0, v11 :: v_dual_mov_b32 v130, v143
	v_pk_mul_f32 v[190:191], v[152:153], v[136:137] op_sel:[1,1] op_sel_hi:[0,1]
	v_pk_mul_f32 v[128:129], v[156:157], v[140:141] op_sel:[1,1] op_sel_hi:[0,1]
	v_fmac_f32_e32 v187, v173, v132
	v_dual_fma_f32 v186, v172, v132, -v15 :: v_dual_add_f32 v133, v5, v9
	v_add_f32_e32 v132, v11, v13
	v_fmac_f32_e32 v189, v175, v134
	v_fma_f32 v188, v174, v134, -v17
	v_pk_fma_f32 v[134:135], v[152:153], v[136:137], v[190:191] op_sel_hi:[1,0,1]
	v_pk_mul_f32 v[168:169], v[178:179], v[192:193] op_sel_hi:[1,0]
	v_pk_add_f32 v[132:133], v[132:133], v[186:187]
	v_pk_fma_f32 v[136:137], v[152:153], v[136:137], v[190:191] neg_lo:[0,0,1] neg_hi:[0,0,1]
	v_pk_fma_f32 v[152:153], v[156:157], v[140:141], v[128:129] op_sel_hi:[1,0,1]
	v_pk_fma_f32 v[128:129], v[156:157], v[140:141], v[128:129] neg_lo:[0,0,1] neg_hi:[0,0,1]
	v_mov_b32_e32 v137, v135
	v_pk_fma_f32 v[134:135], v[154:155], v[138:139], v[168:169] op_sel_hi:[1,0,1]
	v_pk_fma_f32 v[138:139], v[154:155], v[138:139], v[168:169] neg_lo:[0,0,1] neg_hi:[0,0,1]
	v_mov_b32_e32 v129, v153
	v_pk_add_f32 v[132:133], v[132:133], v[188:189]
	v_pk_mul_f32 v[130:131], v[180:181], v[130:131] op_sel_hi:[1,0]
	s_wait_loadcnt 0x2
	v_dual_mov_b32 v139, v135 :: v_dual_mov_b32 v134, v147
	v_pk_mul_f32 v[170:171], v[160:161], v[144:145] op_sel:[1,1] op_sel_hi:[0,1]
	v_pk_add_f32 v[132:133], v[132:133], v[136:137]
	v_pk_fma_f32 v[136:137], v[158:159], v[142:143], v[130:131] op_sel_hi:[1,0,1]
	v_pk_fma_f32 v[130:131], v[158:159], v[142:143], v[130:131] neg_lo:[0,0,1] neg_hi:[0,0,1]
	v_pk_mul_f32 v[134:135], v[182:183], v[134:135] op_sel_hi:[1,0]
	s_delay_alu instid0(VALU_DEP_4) | instskip(SKIP_3) | instid1(VALU_DEP_4)
	v_pk_add_f32 v[132:133], v[132:133], v[138:139]
	v_pk_fma_f32 v[138:139], v[160:161], v[144:145], v[170:171] op_sel_hi:[1,0,1]
	v_mov_b32_e32 v131, v137
	v_pk_fma_f32 v[136:137], v[160:161], v[144:145], v[170:171] neg_lo:[0,0,1] neg_hi:[0,0,1]
	v_pk_add_f32 v[128:129], v[132:133], v[128:129]
	s_wait_loadcnt 0x1
	v_pk_mul_f32 v[132:133], v[164:165], v[148:149] op_sel:[1,1] op_sel_hi:[0,1]
	v_mov_b32_e32 v137, v139
	v_pk_fma_f32 v[138:139], v[162:163], v[146:147], v[134:135] op_sel_hi:[1,0,1]
	v_pk_fma_f32 v[134:135], v[162:163], v[146:147], v[134:135] neg_lo:[0,0,1] neg_hi:[0,0,1]
	v_pk_add_f32 v[128:129], v[128:129], v[130:131]
	v_mov_b32_e32 v130, v151
	v_pk_fma_f32 v[140:141], v[164:165], v[148:149], v[132:133] op_sel_hi:[1,0,1]
	v_mov_b32_e32 v135, v139
	v_pk_fma_f32 v[132:133], v[164:165], v[148:149], v[132:133] neg_lo:[0,0,1] neg_hi:[0,0,1]
	v_pk_add_f32 v[128:129], v[128:129], v[136:137]
	v_pk_mul_f32 v[130:131], v[184:185], v[130:131] op_sel_hi:[1,0]
	s_delay_alu instid0(VALU_DEP_2) | instskip(NEXT) | instid1(VALU_DEP_2)
	v_pk_add_f32 v[128:129], v[128:129], v[134:135]
	v_pk_fma_f32 v[134:135], v[166:167], v[150:151], v[130:131] op_sel_hi:[1,0,1]
	v_mov_b32_e32 v133, v141
	v_pk_fma_f32 v[130:131], v[166:167], v[150:151], v[130:131] neg_lo:[0,0,1] neg_hi:[0,0,1]
	s_delay_alu instid0(VALU_DEP_3) | instskip(NEXT) | instid1(VALU_DEP_3)
	v_mov_b32_e32 v131, v135
	v_pk_add_f32 v[128:129], v[128:129], v[132:133]
	s_delay_alu instid0(VALU_DEP_1) | instskip(SKIP_1) | instid1(VALU_DEP_1)
	v_pk_add_f32 v[128:129], v[128:129], v[130:131]
	s_wait_loadcnt 0x0
	v_pk_add_f32 v[128:129], v[176:177], v[128:129] neg_lo:[0,1] neg_hi:[0,1]
	scratch_store_b64 off, v[128:129], off offset:400
	s_wait_xcnt 0x0
	v_cmpx_lt_u32_e32 49, v0
	s_cbranch_execz .LBB62_293
; %bb.292:
	scratch_load_b64 v[128:129], off, off offset:392
	v_mov_b64_e32 v[130:131], 0
	scratch_store_b64 off, v[130:131], off offset:392
	s_wait_loadcnt 0x0
	ds_store_b64 v1, v[128:129]
.LBB62_293:
	s_wait_xcnt 0x0
	s_or_b32 exec_lo, exec_lo, s0
	s_wait_storecnt_dscnt 0x0
	s_barrier_signal -1
	s_barrier_wait -1
	s_clause 0x7
	scratch_load_b128 v[128:131], off, off offset:400
	scratch_load_b128 v[132:135], off, off offset:416
	;; [unrolled: 1-line block ×6, first 2 shown]
	scratch_load_b64 v[176:177], off, off offset:496
	scratch_load_b64 v[178:179], off, off offset:392
	v_mov_b32_e32 v5, 0
	ds_load_b128 v[152:155], v5 offset:944
	ds_load_b128 v[156:159], v5 offset:960
	;; [unrolled: 1-line block ×6, first 2 shown]
	ds_load_b64 v[180:181], v5 offset:1008
	s_mov_b32 s0, exec_lo
	s_wait_dscnt 0x6
	v_dual_mov_b32 v182, v155 :: v_dual_mov_b32 v183, v154
	s_wait_dscnt 0x3
	v_dual_mov_b32 v184, v159 :: v_dual_mov_b32 v189, v166
	v_dual_mov_b32 v185, v158 :: v_dual_mov_b32 v186, v163
	;; [unrolled: 1-line block ×3, first 2 shown]
	s_wait_loadcnt_dscnt 0x702
	v_dual_mul_f32 v9, v168, v129 :: v_dual_mul_f32 v15, v169, v129
	v_dual_mul_f32 v17, v171, v131 :: v_dual_mul_f32 v11, v170, v131
	s_wait_loadcnt_dscnt 0x601
	s_delay_alu instid0(VALU_DEP_2) | instskip(NEXT) | instid1(VALU_DEP_3)
	v_dual_mul_f32 v13, v172, v133 :: v_dual_fmac_f32 v9, v169, v128
	v_dual_fma_f32 v15, v168, v128, -v15 :: v_dual_mul_f32 v19, v173, v133
	v_mul_f32_e32 v21, v175, v135
	s_wait_loadcnt 0x4
	v_dual_mov_b32 v128, v143 :: v_dual_fma_f32 v17, v170, v130, -v17
	v_dual_fmac_f32 v11, v171, v130 :: v_dual_add_f32 v9, 0, v9
	v_dual_add_f32 v15, 0, v15 :: v_dual_fmac_f32 v13, v173, v132
	v_dual_mul_f32 v191, v174, v135 :: v_dual_mul_f32 v193, v152, v137
	v_dual_mul_f32 v23, v153, v137 :: v_dual_mov_b32 v192, v139
	s_delay_alu instid0(VALU_DEP_4) | instskip(NEXT) | instid1(VALU_DEP_4)
	v_dual_fma_f32 v19, v172, v132, -v19 :: v_dual_add_f32 v9, v9, v11
	v_dual_add_f32 v11, v15, v17 :: v_dual_fma_f32 v190, v174, v134, -v21
	s_delay_alu instid0(VALU_DEP_4) | instskip(NEXT) | instid1(VALU_DEP_4)
	v_fmac_f32_e32 v191, v175, v134
	v_pk_mul_f32 v[132:133], v[182:183], v[192:193] op_sel_hi:[1,0]
	s_delay_alu instid0(VALU_DEP_3)
	v_dual_add_f32 v135, v9, v13 :: v_dual_add_f32 v134, v11, v19
	v_fmac_f32_e32 v193, v153, v136
	v_pk_mul_f32 v[194:195], v[156:157], v[140:141] op_sel:[1,1] op_sel_hi:[0,1]
	s_wait_loadcnt 0x3
	v_dual_mov_b32 v168, v147 :: v_dual_fma_f32 v192, v152, v136, -v23
	v_pk_fma_f32 v[136:137], v[154:155], v[138:139], v[132:133] op_sel_hi:[1,0,1]
	v_pk_add_f32 v[134:135], v[134:135], v[190:191]
	v_pk_fma_f32 v[132:133], v[154:155], v[138:139], v[132:133] neg_lo:[0,0,1] neg_hi:[0,0,1]
	v_pk_fma_f32 v[152:153], v[156:157], v[140:141], v[194:195] op_sel_hi:[1,0,1]
	v_pk_mul_f32 v[128:129], v[184:185], v[128:129] op_sel_hi:[1,0]
	v_mov_b32_e32 v133, v137
	v_pk_add_f32 v[134:135], v[134:135], v[192:193]
	v_pk_fma_f32 v[138:139], v[156:157], v[140:141], v[194:195] neg_lo:[0,0,1] neg_hi:[0,0,1]
	v_pk_mul_f32 v[130:131], v[160:161], v[144:145] op_sel:[1,1] op_sel_hi:[0,1]
	v_mov_b32_e32 v139, v153
	v_pk_fma_f32 v[140:141], v[158:159], v[142:143], v[128:129] op_sel_hi:[1,0,1]
	v_pk_add_f32 v[132:133], v[134:135], v[132:133]
	v_pk_fma_f32 v[128:129], v[158:159], v[142:143], v[128:129] neg_lo:[0,0,1] neg_hi:[0,0,1]
	v_pk_fma_f32 v[134:135], v[160:161], v[144:145], v[130:131] op_sel_hi:[1,0,1]
	v_pk_mul_f32 v[152:153], v[186:187], v[168:169] op_sel_hi:[1,0]
	s_wait_loadcnt 0x2
	v_dual_mov_b32 v129, v141 :: v_dual_mov_b32 v134, v151
	v_pk_add_f32 v[132:133], v[132:133], v[138:139]
	v_pk_fma_f32 v[130:131], v[160:161], v[144:145], v[130:131] neg_lo:[0,0,1] neg_hi:[0,0,1]
	v_pk_mul_f32 v[136:137], v[164:165], v[148:149] op_sel:[1,1] op_sel_hi:[0,1]
	v_pk_fma_f32 v[138:139], v[162:163], v[146:147], v[152:153] op_sel_hi:[1,0,1]
	v_mov_b32_e32 v131, v135
	v_pk_add_f32 v[128:129], v[132:133], v[128:129]
	v_pk_fma_f32 v[140:141], v[162:163], v[146:147], v[152:153] neg_lo:[0,0,1] neg_hi:[0,0,1]
	v_pk_fma_f32 v[132:133], v[164:165], v[148:149], v[136:137] op_sel_hi:[1,0,1]
	v_pk_mul_f32 v[134:135], v[188:189], v[134:135] op_sel_hi:[1,0]
	v_mov_b32_e32 v141, v139
	v_pk_add_f32 v[128:129], v[128:129], v[130:131]
	v_pk_fma_f32 v[130:131], v[164:165], v[148:149], v[136:137] neg_lo:[0,0,1] neg_hi:[0,0,1]
	v_mov_b32_e32 v131, v133
	v_pk_fma_f32 v[132:133], v[166:167], v[150:151], v[134:135] op_sel_hi:[1,0,1]
	s_wait_loadcnt_dscnt 0x100
	v_pk_mul_f32 v[136:137], v[180:181], v[176:177] op_sel:[1,1] op_sel_hi:[0,1]
	v_pk_add_f32 v[128:129], v[128:129], v[140:141]
	v_pk_fma_f32 v[134:135], v[166:167], v[150:151], v[134:135] neg_lo:[0,0,1] neg_hi:[0,0,1]
	v_mov_b32_e32 v135, v133
	s_delay_alu instid0(VALU_DEP_4) | instskip(NEXT) | instid1(VALU_DEP_4)
	v_pk_fma_f32 v[132:133], v[180:181], v[176:177], v[136:137] neg_lo:[0,0,1] neg_hi:[0,0,1]
	v_pk_add_f32 v[128:129], v[128:129], v[130:131]
	v_pk_fma_f32 v[130:131], v[180:181], v[176:177], v[136:137] op_sel_hi:[1,0,1]
	s_delay_alu instid0(VALU_DEP_2) | instskip(NEXT) | instid1(VALU_DEP_2)
	v_pk_add_f32 v[128:129], v[128:129], v[134:135]
	v_mov_b32_e32 v133, v131
	s_delay_alu instid0(VALU_DEP_1) | instskip(SKIP_1) | instid1(VALU_DEP_1)
	v_pk_add_f32 v[128:129], v[128:129], v[132:133]
	s_wait_loadcnt 0x0
	v_pk_add_f32 v[128:129], v[178:179], v[128:129] neg_lo:[0,1] neg_hi:[0,1]
	scratch_store_b64 off, v[128:129], off offset:392
	s_wait_xcnt 0x0
	v_cmpx_lt_u32_e32 48, v0
	s_cbranch_execz .LBB62_295
; %bb.294:
	scratch_load_b64 v[128:129], off, off offset:384
	v_mov_b64_e32 v[130:131], 0
	scratch_store_b64 off, v[130:131], off offset:384
	s_wait_loadcnt 0x0
	ds_store_b64 v1, v[128:129]
.LBB62_295:
	s_wait_xcnt 0x0
	s_or_b32 exec_lo, exec_lo, s0
	s_wait_storecnt_dscnt 0x0
	s_barrier_signal -1
	s_barrier_wait -1
	s_clause 0x7
	scratch_load_b128 v[128:131], off, off offset:392
	scratch_load_b128 v[132:135], off, off offset:408
	;; [unrolled: 1-line block ×7, first 2 shown]
	scratch_load_b64 v[184:185], off, off offset:384
	ds_load_2addr_b64 v[156:159], v5 offset0:119 offset1:120
	ds_load_2addr_b64 v[160:163], v5 offset0:121 offset1:122
	;; [unrolled: 1-line block ×7, first 2 shown]
	s_mov_b32 s0, exec_lo
	s_wait_dscnt 0x6
	v_dual_mov_b32 v186, v159 :: v_dual_mov_b32 v187, v158
	s_wait_dscnt 0x5
	v_dual_mov_b32 v188, v163 :: v_dual_mov_b32 v189, v162
	;; [unrolled: 2-line block ×4, first 2 shown]
	s_wait_loadcnt_dscnt 0x702
	v_dual_mul_f32 v5, v172, v129 :: v_dual_mul_f32 v9, v174, v131
	v_dual_mul_f32 v15, v173, v129 :: v_dual_mul_f32 v17, v175, v131
	s_wait_loadcnt_dscnt 0x601
	v_dual_mul_f32 v11, v176, v133 :: v_dual_mul_f32 v13, v178, v135
	s_delay_alu instid0(VALU_DEP_2) | instskip(SKIP_1) | instid1(VALU_DEP_2)
	v_dual_fmac_f32 v5, v173, v128 :: v_dual_fma_f32 v15, v172, v128, -v15
	v_dual_mul_f32 v19, v177, v133 :: v_dual_mul_f32 v21, v179, v135
	v_dual_fmac_f32 v9, v175, v130 :: v_dual_add_f32 v5, 0, v5
	s_delay_alu instid0(VALU_DEP_3) | instskip(SKIP_2) | instid1(VALU_DEP_3)
	v_dual_fma_f32 v17, v174, v130, -v17 :: v_dual_add_f32 v15, 0, v15
	s_wait_loadcnt 0x4
	v_dual_mov_b32 v130, v143 :: v_dual_fmac_f32 v11, v177, v132
	v_dual_fma_f32 v19, v176, v132, -v19 :: v_dual_add_f32 v5, v5, v9
	s_delay_alu instid0(VALU_DEP_3)
	v_dual_add_f32 v9, v15, v17 :: v_dual_fma_f32 v15, v178, v134, -v21
	s_wait_dscnt 0x0
	v_dual_mul_f32 v195, v180, v137 :: v_dual_mul_f32 v197, v182, v139
	v_dual_mul_f32 v23, v181, v137 :: v_dual_mul_f32 v25, v183, v139
	v_dual_fmac_f32 v13, v179, v134 :: v_dual_add_f32 v5, v5, v11
	s_wait_loadcnt 0x3
	v_dual_add_f32 v9, v9, v19 :: v_dual_mov_b32 v134, v147
	v_pk_mul_f32 v[128:129], v[156:157], v[140:141] op_sel:[1,1] op_sel_hi:[0,1]
	v_dual_fmac_f32 v195, v181, v136 :: v_dual_fmac_f32 v197, v183, v138
	v_dual_fma_f32 v194, v180, v136, -v23 :: v_dual_add_f32 v137, v5, v13
	s_delay_alu instid0(VALU_DEP_4) | instskip(NEXT) | instid1(VALU_DEP_4)
	v_dual_add_f32 v136, v9, v15 :: v_dual_fma_f32 v196, v182, v138, -v25
	v_pk_fma_f32 v[138:139], v[156:157], v[140:141], v[128:129] op_sel_hi:[1,0,1]
	v_pk_mul_f32 v[130:131], v[186:187], v[130:131] op_sel_hi:[1,0]
	v_pk_fma_f32 v[128:129], v[156:157], v[140:141], v[128:129] neg_lo:[0,0,1] neg_hi:[0,0,1]
	s_delay_alu instid0(VALU_DEP_4)
	v_pk_add_f32 v[136:137], v[136:137], v[194:195]
	v_pk_mul_f32 v[132:133], v[160:161], v[144:145] op_sel:[1,1] op_sel_hi:[0,1]
	v_mov_b32_e32 v129, v139
	v_pk_fma_f32 v[138:139], v[158:159], v[142:143], v[130:131] op_sel_hi:[1,0,1]
	v_pk_fma_f32 v[130:131], v[158:159], v[142:143], v[130:131] neg_lo:[0,0,1] neg_hi:[0,0,1]
	v_pk_add_f32 v[136:137], v[136:137], v[196:197]
	v_pk_fma_f32 v[140:141], v[160:161], v[144:145], v[132:133] op_sel_hi:[1,0,1]
	v_pk_mul_f32 v[134:135], v[188:189], v[134:135] op_sel_hi:[1,0]
	v_mov_b32_e32 v131, v139
	s_wait_loadcnt 0x2
	v_pk_mul_f32 v[172:173], v[164:165], v[148:149] op_sel:[1,1] op_sel_hi:[0,1]
	v_pk_add_f32 v[128:129], v[136:137], v[128:129]
	v_mov_b32_e32 v136, v151
	v_pk_fma_f32 v[132:133], v[160:161], v[144:145], v[132:133] neg_lo:[0,0,1] neg_hi:[0,0,1]
	v_mov_b32_e32 v133, v141
	v_pk_fma_f32 v[138:139], v[162:163], v[146:147], v[134:135] op_sel_hi:[1,0,1]
	v_pk_add_f32 v[128:129], v[128:129], v[130:131]
	v_pk_fma_f32 v[130:131], v[164:165], v[148:149], v[172:173] op_sel_hi:[1,0,1]
	v_pk_mul_f32 v[136:137], v[190:191], v[136:137] op_sel_hi:[1,0]
	v_pk_fma_f32 v[134:135], v[162:163], v[146:147], v[134:135] neg_lo:[0,0,1] neg_hi:[0,0,1]
	v_mov_b32_e32 v135, v139
	v_pk_add_f32 v[128:129], v[128:129], v[132:133]
	v_pk_fma_f32 v[138:139], v[164:165], v[148:149], v[172:173] neg_lo:[0,0,1] neg_hi:[0,0,1]
	v_mov_b32_e32 v139, v131
	v_pk_fma_f32 v[130:131], v[166:167], v[150:151], v[136:137] op_sel_hi:[1,0,1]
	s_wait_loadcnt 0x1
	v_pk_mul_f32 v[132:133], v[168:169], v[152:153] op_sel:[1,1] op_sel_hi:[0,1]
	v_pk_add_f32 v[128:129], v[128:129], v[134:135]
	v_mov_b32_e32 v130, v155
	v_pk_fma_f32 v[136:137], v[166:167], v[150:151], v[136:137] neg_lo:[0,0,1] neg_hi:[0,0,1]
	v_mov_b32_e32 v137, v131
	v_pk_fma_f32 v[134:135], v[168:169], v[152:153], v[132:133] op_sel_hi:[1,0,1]
	v_pk_add_f32 v[128:129], v[128:129], v[138:139]
	v_pk_mul_f32 v[130:131], v[192:193], v[130:131] op_sel_hi:[1,0]
	v_pk_fma_f32 v[132:133], v[168:169], v[152:153], v[132:133] neg_lo:[0,0,1] neg_hi:[0,0,1]
	s_delay_alu instid0(VALU_DEP_4) | instskip(NEXT) | instid1(VALU_DEP_4)
	v_mov_b32_e32 v133, v135
	v_pk_add_f32 v[128:129], v[128:129], v[136:137]
	s_delay_alu instid0(VALU_DEP_4) | instskip(SKIP_1) | instid1(VALU_DEP_2)
	v_pk_fma_f32 v[134:135], v[170:171], v[154:155], v[130:131] op_sel_hi:[1,0,1]
	v_pk_fma_f32 v[130:131], v[170:171], v[154:155], v[130:131] neg_lo:[0,0,1] neg_hi:[0,0,1]
	v_mov_b32_e32 v131, v135
	s_delay_alu instid0(VALU_DEP_4) | instskip(NEXT) | instid1(VALU_DEP_1)
	v_pk_add_f32 v[128:129], v[128:129], v[132:133]
	v_pk_add_f32 v[128:129], v[128:129], v[130:131]
	s_wait_loadcnt 0x0
	s_delay_alu instid0(VALU_DEP_1)
	v_pk_add_f32 v[128:129], v[184:185], v[128:129] neg_lo:[0,1] neg_hi:[0,1]
	scratch_store_b64 off, v[128:129], off offset:384
	s_wait_xcnt 0x0
	v_cmpx_lt_u32_e32 47, v0
	s_cbranch_execz .LBB62_297
; %bb.296:
	scratch_load_b64 v[128:129], off, off offset:376
	v_mov_b64_e32 v[130:131], 0
	scratch_store_b64 off, v[130:131], off offset:376
	s_wait_loadcnt 0x0
	ds_store_b64 v1, v[128:129]
.LBB62_297:
	s_wait_xcnt 0x0
	s_or_b32 exec_lo, exec_lo, s0
	s_wait_storecnt_dscnt 0x0
	s_barrier_signal -1
	s_barrier_wait -1
	s_clause 0x8
	scratch_load_b128 v[128:131], off, off offset:384
	scratch_load_b128 v[132:135], off, off offset:400
	;; [unrolled: 1-line block ×7, first 2 shown]
	scratch_load_b64 v[184:185], off, off offset:496
	scratch_load_b64 v[186:187], off, off offset:376
	v_mov_b32_e32 v5, 0
	ds_load_b128 v[156:159], v5 offset:944
	ds_load_b128 v[160:163], v5 offset:960
	ds_load_b128 v[164:167], v5 offset:976
	ds_load_b128 v[168:171], v5 offset:992
	ds_load_b128 v[172:175], v5 offset:896
	ds_load_b128 v[176:179], v5 offset:912
	ds_load_b128 v[180:183], v5 offset:928
	ds_load_b64 v[188:189], v5 offset:1008
	s_mov_b32 s0, exec_lo
	s_wait_dscnt 0x7
	v_dual_mov_b32 v190, v159 :: v_dual_mov_b32 v191, v158
	s_wait_dscnt 0x4
	v_dual_mov_b32 v192, v163 :: v_dual_mov_b32 v197, v170
	v_dual_mov_b32 v193, v162 :: v_dual_mov_b32 v194, v167
	;; [unrolled: 1-line block ×3, first 2 shown]
	s_wait_loadcnt_dscnt 0x803
	v_dual_mul_f32 v9, v172, v129 :: v_dual_mul_f32 v19, v173, v129
	v_dual_mul_f32 v21, v175, v131 :: v_dual_mul_f32 v11, v174, v131
	s_wait_loadcnt_dscnt 0x702
	v_mul_f32_e32 v13, v176, v133
	s_wait_loadcnt 0x5
	v_dual_mul_f32 v31, v157, v141 :: v_dual_fma_f32 v19, v172, v128, -v19
	v_dual_fmac_f32 v9, v173, v128 :: v_dual_mov_b32 v128, v143
	v_dual_mul_f32 v23, v177, v133 :: v_dual_mul_f32 v25, v179, v135
	v_dual_fmac_f32 v11, v175, v130 :: v_dual_fma_f32 v21, v174, v130, -v21
	s_delay_alu instid0(VALU_DEP_3) | instskip(SKIP_3) | instid1(VALU_DEP_3)
	v_dual_add_f32 v9, 0, v9 :: v_dual_add_f32 v19, 0, v19
	s_wait_dscnt 0x1
	v_dual_mul_f32 v15, v178, v135 :: v_dual_mul_f32 v17, v180, v137
	v_dual_fmac_f32 v13, v177, v132 :: v_dual_fma_f32 v23, v176, v132, -v23
	v_dual_add_f32 v9, v9, v11 :: v_dual_add_f32 v11, v19, v21
	v_dual_mul_f32 v27, v181, v137 :: v_dual_mul_f32 v29, v183, v139
	s_wait_loadcnt 0x4
	v_dual_mov_b32 v132, v147 :: v_dual_fma_f32 v19, v178, v134, -v25
	s_delay_alu instid0(VALU_DEP_3) | instskip(SKIP_2) | instid1(VALU_DEP_3)
	v_dual_fmac_f32 v15, v179, v134 :: v_dual_add_f32 v9, v9, v13
	v_dual_add_f32 v11, v11, v23 :: v_dual_fmac_f32 v17, v181, v136
	v_dual_mul_f32 v199, v182, v139 :: v_dual_mul_f32 v201, v156, v141
	v_dual_fma_f32 v13, v180, v136, -v27 :: v_dual_add_f32 v9, v9, v15
	s_delay_alu instid0(VALU_DEP_3) | instskip(NEXT) | instid1(VALU_DEP_3)
	v_dual_add_f32 v11, v11, v19 :: v_dual_fma_f32 v198, v182, v138, -v29
	v_fmac_f32_e32 v199, v183, v138
	v_pk_mul_f32 v[128:129], v[190:191], v[128:129] op_sel_hi:[1,0]
	s_delay_alu instid0(VALU_DEP_4) | instskip(NEXT) | instid1(VALU_DEP_4)
	v_add_f32_e32 v137, v9, v17
	v_dual_add_f32 v136, v11, v13 :: v_dual_fmac_f32 v201, v157, v140
	v_pk_mul_f32 v[130:131], v[160:161], v[144:145] op_sel:[1,1] op_sel_hi:[0,1]
	s_wait_loadcnt 0x3
	v_dual_mov_b32 v138, v151 :: v_dual_fma_f32 v200, v156, v140, -v31
	v_pk_fma_f32 v[140:141], v[158:159], v[142:143], v[128:129] op_sel_hi:[1,0,1]
	v_pk_add_f32 v[136:137], v[136:137], v[198:199]
	v_pk_fma_f32 v[128:129], v[158:159], v[142:143], v[128:129] neg_lo:[0,0,1] neg_hi:[0,0,1]
	v_pk_fma_f32 v[156:157], v[160:161], v[144:145], v[130:131] op_sel_hi:[1,0,1]
	v_pk_mul_f32 v[132:133], v[192:193], v[132:133] op_sel_hi:[1,0]
	v_mov_b32_e32 v129, v141
	v_pk_add_f32 v[136:137], v[136:137], v[200:201]
	v_pk_fma_f32 v[130:131], v[160:161], v[144:145], v[130:131] neg_lo:[0,0,1] neg_hi:[0,0,1]
	v_pk_mul_f32 v[134:135], v[164:165], v[148:149] op_sel:[1,1] op_sel_hi:[0,1]
	v_mov_b32_e32 v131, v157
	v_pk_fma_f32 v[142:143], v[162:163], v[146:147], v[132:133] op_sel_hi:[1,0,1]
	v_pk_add_f32 v[128:129], v[136:137], v[128:129]
	v_pk_fma_f32 v[132:133], v[162:163], v[146:147], v[132:133] neg_lo:[0,0,1] neg_hi:[0,0,1]
	v_pk_fma_f32 v[136:137], v[164:165], v[148:149], v[134:135] op_sel_hi:[1,0,1]
	v_pk_mul_f32 v[138:139], v[194:195], v[138:139] op_sel_hi:[1,0]
	v_mov_b32_e32 v133, v143
	v_pk_add_f32 v[128:129], v[128:129], v[130:131]
	v_pk_fma_f32 v[134:135], v[164:165], v[148:149], v[134:135] neg_lo:[0,0,1] neg_hi:[0,0,1]
	s_wait_loadcnt 0x2
	v_pk_mul_f32 v[140:141], v[168:169], v[152:153] op_sel:[1,1] op_sel_hi:[0,1]
	v_dual_mov_b32 v130, v155 :: v_dual_mov_b32 v135, v137
	v_pk_fma_f32 v[136:137], v[166:167], v[150:151], v[138:139] op_sel_hi:[1,0,1]
	v_pk_add_f32 v[128:129], v[128:129], v[132:133]
	v_pk_fma_f32 v[138:139], v[166:167], v[150:151], v[138:139] neg_lo:[0,0,1] neg_hi:[0,0,1]
	v_pk_fma_f32 v[132:133], v[168:169], v[152:153], v[140:141] op_sel_hi:[1,0,1]
	v_pk_mul_f32 v[130:131], v[196:197], v[130:131] op_sel_hi:[1,0]
	v_mov_b32_e32 v139, v137
	v_pk_add_f32 v[128:129], v[128:129], v[134:135]
	v_pk_fma_f32 v[134:135], v[168:169], v[152:153], v[140:141] neg_lo:[0,0,1] neg_hi:[0,0,1]
	v_mov_b32_e32 v135, v133
	v_pk_fma_f32 v[132:133], v[170:171], v[154:155], v[130:131] op_sel_hi:[1,0,1]
	s_wait_loadcnt_dscnt 0x100
	v_pk_mul_f32 v[136:137], v[188:189], v[184:185] op_sel:[1,1] op_sel_hi:[0,1]
	v_pk_add_f32 v[128:129], v[128:129], v[138:139]
	v_pk_fma_f32 v[130:131], v[170:171], v[154:155], v[130:131] neg_lo:[0,0,1] neg_hi:[0,0,1]
	v_mov_b32_e32 v131, v133
	s_delay_alu instid0(VALU_DEP_4) | instskip(NEXT) | instid1(VALU_DEP_4)
	v_pk_fma_f32 v[132:133], v[188:189], v[184:185], v[136:137] op_sel_hi:[1,0,1]
	v_pk_add_f32 v[128:129], v[128:129], v[134:135]
	v_pk_fma_f32 v[134:135], v[188:189], v[184:185], v[136:137] neg_lo:[0,0,1] neg_hi:[0,0,1]
	s_delay_alu instid0(VALU_DEP_3) | instskip(NEXT) | instid1(VALU_DEP_3)
	v_mov_b32_e32 v135, v133
	v_pk_add_f32 v[128:129], v[128:129], v[130:131]
	s_delay_alu instid0(VALU_DEP_1) | instskip(SKIP_1) | instid1(VALU_DEP_1)
	v_pk_add_f32 v[128:129], v[128:129], v[134:135]
	s_wait_loadcnt 0x0
	v_pk_add_f32 v[128:129], v[186:187], v[128:129] neg_lo:[0,1] neg_hi:[0,1]
	scratch_store_b64 off, v[128:129], off offset:376
	s_wait_xcnt 0x0
	v_cmpx_lt_u32_e32 46, v0
	s_cbranch_execz .LBB62_299
; %bb.298:
	scratch_load_b64 v[128:129], off, off offset:368
	v_mov_b64_e32 v[130:131], 0
	scratch_store_b64 off, v[130:131], off offset:368
	s_wait_loadcnt 0x0
	ds_store_b64 v1, v[128:129]
.LBB62_299:
	s_wait_xcnt 0x0
	s_or_b32 exec_lo, exec_lo, s0
	s_wait_storecnt_dscnt 0x0
	s_barrier_signal -1
	s_barrier_wait -1
	s_clause 0x8
	scratch_load_b128 v[128:131], off, off offset:376
	scratch_load_b128 v[132:135], off, off offset:392
	;; [unrolled: 1-line block ×8, first 2 shown]
	scratch_load_b64 v[192:193], off, off offset:368
	ds_load_2addr_b64 v[160:163], v5 offset0:119 offset1:120
	ds_load_2addr_b64 v[164:167], v5 offset0:121 offset1:122
	;; [unrolled: 1-line block ×8, first 2 shown]
	s_mov_b32 s0, exec_lo
	s_wait_dscnt 0x7
	v_dual_mov_b32 v194, v163 :: v_dual_mov_b32 v195, v162
	s_wait_dscnt 0x6
	v_dual_mov_b32 v196, v167 :: v_dual_mov_b32 v197, v166
	;; [unrolled: 2-line block ×4, first 2 shown]
	s_wait_loadcnt_dscnt 0x803
	v_dual_mul_f32 v5, v176, v129 :: v_dual_mul_f32 v9, v178, v131
	v_dual_mul_f32 v19, v177, v129 :: v_dual_mul_f32 v21, v179, v131
	s_wait_loadcnt_dscnt 0x702
	v_dual_mul_f32 v11, v180, v133 :: v_dual_mul_f32 v13, v182, v135
	s_delay_alu instid0(VALU_DEP_2) | instskip(SKIP_3) | instid1(VALU_DEP_3)
	v_dual_fmac_f32 v5, v177, v128 :: v_dual_fma_f32 v19, v176, v128, -v19
	v_dual_mul_f32 v23, v181, v133 :: v_dual_mul_f32 v25, v183, v135
	s_wait_loadcnt_dscnt 0x500
	v_dual_mul_f32 v31, v189, v141 :: v_dual_fmac_f32 v9, v179, v130
	v_dual_fma_f32 v21, v178, v130, -v21 :: v_dual_add_f32 v5, 0, v5
	v_dual_add_f32 v19, 0, v19 :: v_dual_fmac_f32 v11, v181, v132
	v_dual_mul_f32 v33, v191, v143 :: v_dual_fma_f32 v23, v180, v132, -v23
	s_delay_alu instid0(VALU_DEP_3) | instskip(NEXT) | instid1(VALU_DEP_3)
	v_dual_add_f32 v5, v5, v9 :: v_dual_fmac_f32 v13, v183, v134
	v_dual_add_f32 v9, v19, v21 :: v_dual_fma_f32 v19, v182, v134, -v25
	v_dual_mul_f32 v15, v184, v137 :: v_dual_mul_f32 v17, v186, v139
	v_dual_mul_f32 v27, v185, v137 :: v_dual_mul_f32 v29, v187, v139
	s_wait_loadcnt 0x4
	v_dual_add_f32 v5, v5, v11 :: v_dual_mov_b32 v130, v147
	s_delay_alu instid0(VALU_DEP_2) | instskip(SKIP_2) | instid1(VALU_DEP_4)
	v_dual_add_f32 v9, v9, v23 :: v_dual_fma_f32 v11, v184, v136, -v27
	v_pk_mul_f32 v[128:129], v[160:161], v[144:145] op_sel:[1,1] op_sel_hi:[0,1]
	v_dual_fmac_f32 v15, v185, v136 :: v_dual_fmac_f32 v17, v187, v138
	v_dual_add_f32 v5, v5, v13 :: v_dual_fma_f32 v13, v186, v138, -v29
	s_wait_loadcnt 0x3
	v_dual_add_f32 v9, v9, v19 :: v_dual_mov_b32 v134, v151
	v_dual_mul_f32 v203, v188, v141 :: v_dual_mul_f32 v205, v190, v143
	s_delay_alu instid0(VALU_DEP_3) | instskip(NEXT) | instid1(VALU_DEP_3)
	v_dual_add_f32 v5, v5, v15 :: v_dual_fma_f32 v202, v188, v140, -v31
	v_add_f32_e32 v9, v9, v11
	v_pk_fma_f32 v[138:139], v[160:161], v[144:145], v[128:129] op_sel_hi:[1,0,1]
	v_pk_mul_f32 v[130:131], v[194:195], v[130:131] op_sel_hi:[1,0]
	v_pk_fma_f32 v[128:129], v[160:161], v[144:145], v[128:129] neg_lo:[0,0,1] neg_hi:[0,0,1]
	v_dual_fmac_f32 v203, v189, v140 :: v_dual_fma_f32 v204, v190, v142, -v33
	s_delay_alu instid0(VALU_DEP_4)
	v_dual_add_f32 v137, v5, v17 :: v_dual_mov_b32 v129, v139
	v_fmac_f32_e32 v205, v191, v142
	v_pk_fma_f32 v[138:139], v[162:163], v[146:147], v[130:131] op_sel_hi:[1,0,1]
	v_add_f32_e32 v136, v9, v13
	v_pk_fma_f32 v[130:131], v[162:163], v[146:147], v[130:131] neg_lo:[0,0,1] neg_hi:[0,0,1]
	v_pk_mul_f32 v[132:133], v[164:165], v[148:149] op_sel:[1,1] op_sel_hi:[0,1]
	v_pk_mul_f32 v[134:135], v[196:197], v[134:135] op_sel_hi:[1,0]
	v_mov_b32_e32 v131, v139
	v_pk_add_f32 v[136:137], v[136:137], v[202:203]
	s_wait_loadcnt 0x2
	v_pk_mul_f32 v[140:141], v[168:169], v[152:153] op_sel:[1,1] op_sel_hi:[0,1]
	v_pk_fma_f32 v[142:143], v[164:165], v[148:149], v[132:133] op_sel_hi:[1,0,1]
	v_pk_fma_f32 v[132:133], v[164:165], v[148:149], v[132:133] neg_lo:[0,0,1] neg_hi:[0,0,1]
	v_pk_fma_f32 v[138:139], v[166:167], v[150:151], v[134:135] op_sel_hi:[1,0,1]
	v_pk_add_f32 v[136:137], v[136:137], v[204:205]
	v_pk_fma_f32 v[134:135], v[166:167], v[150:151], v[134:135] neg_lo:[0,0,1] neg_hi:[0,0,1]
	v_mov_b32_e32 v133, v143
	s_delay_alu instid0(VALU_DEP_3) | instskip(SKIP_1) | instid1(VALU_DEP_2)
	v_pk_add_f32 v[128:129], v[136:137], v[128:129]
	v_mov_b32_e32 v136, v155
	v_pk_add_f32 v[128:129], v[128:129], v[130:131]
	v_pk_fma_f32 v[130:131], v[168:169], v[152:153], v[140:141] op_sel_hi:[1,0,1]
	s_delay_alu instid0(VALU_DEP_3)
	v_pk_mul_f32 v[136:137], v[198:199], v[136:137] op_sel_hi:[1,0]
	v_mov_b32_e32 v135, v139
	v_pk_fma_f32 v[138:139], v[168:169], v[152:153], v[140:141] neg_lo:[0,0,1] neg_hi:[0,0,1]
	v_pk_add_f32 v[128:129], v[128:129], v[132:133]
	v_mov_b32_e32 v139, v131
	v_pk_fma_f32 v[130:131], v[170:171], v[154:155], v[136:137] op_sel_hi:[1,0,1]
	s_wait_loadcnt 0x1
	v_pk_mul_f32 v[132:133], v[172:173], v[156:157] op_sel:[1,1] op_sel_hi:[0,1]
	v_mov_b32_e32 v130, v159
	v_pk_add_f32 v[128:129], v[128:129], v[134:135]
	v_pk_fma_f32 v[136:137], v[170:171], v[154:155], v[136:137] neg_lo:[0,0,1] neg_hi:[0,0,1]
	v_mov_b32_e32 v137, v131
	v_pk_fma_f32 v[134:135], v[172:173], v[156:157], v[132:133] op_sel_hi:[1,0,1]
	v_pk_mul_f32 v[130:131], v[200:201], v[130:131] op_sel_hi:[1,0]
	v_pk_add_f32 v[128:129], v[128:129], v[138:139]
	v_pk_fma_f32 v[132:133], v[172:173], v[156:157], v[132:133] neg_lo:[0,0,1] neg_hi:[0,0,1]
	s_delay_alu instid0(VALU_DEP_4) | instskip(NEXT) | instid1(VALU_DEP_4)
	v_mov_b32_e32 v133, v135
	v_pk_fma_f32 v[134:135], v[174:175], v[158:159], v[130:131] op_sel_hi:[1,0,1]
	s_delay_alu instid0(VALU_DEP_4) | instskip(SKIP_1) | instid1(VALU_DEP_3)
	v_pk_add_f32 v[128:129], v[128:129], v[136:137]
	v_pk_fma_f32 v[130:131], v[174:175], v[158:159], v[130:131] neg_lo:[0,0,1] neg_hi:[0,0,1]
	v_mov_b32_e32 v131, v135
	s_delay_alu instid0(VALU_DEP_3) | instskip(NEXT) | instid1(VALU_DEP_1)
	v_pk_add_f32 v[128:129], v[128:129], v[132:133]
	v_pk_add_f32 v[128:129], v[128:129], v[130:131]
	s_wait_loadcnt 0x0
	s_delay_alu instid0(VALU_DEP_1)
	v_pk_add_f32 v[128:129], v[192:193], v[128:129] neg_lo:[0,1] neg_hi:[0,1]
	scratch_store_b64 off, v[128:129], off offset:368
	s_wait_xcnt 0x0
	v_cmpx_lt_u32_e32 45, v0
	s_cbranch_execz .LBB62_301
; %bb.300:
	scratch_load_b64 v[128:129], off, off offset:360
	v_mov_b64_e32 v[130:131], 0
	scratch_store_b64 off, v[130:131], off offset:360
	s_wait_loadcnt 0x0
	ds_store_b64 v1, v[128:129]
.LBB62_301:
	s_wait_xcnt 0x0
	s_or_b32 exec_lo, exec_lo, s0
	s_wait_storecnt_dscnt 0x0
	s_barrier_signal -1
	s_barrier_wait -1
	s_clause 0x9
	scratch_load_b128 v[128:131], off, off offset:368
	scratch_load_b128 v[132:135], off, off offset:384
	;; [unrolled: 1-line block ×8, first 2 shown]
	scratch_load_b64 v[192:193], off, off offset:496
	scratch_load_b64 v[194:195], off, off offset:360
	v_mov_b32_e32 v5, 0
	ds_load_b128 v[160:163], v5 offset:944
	ds_load_b128 v[164:167], v5 offset:960
	;; [unrolled: 1-line block ×8, first 2 shown]
	ds_load_b64 v[196:197], v5 offset:1008
	s_mov_b32 s0, exec_lo
	s_wait_dscnt 0x8
	v_dual_mov_b32 v198, v163 :: v_dual_mov_b32 v199, v162
	s_wait_dscnt 0x5
	v_dual_mov_b32 v200, v167 :: v_dual_mov_b32 v205, v174
	v_dual_mov_b32 v201, v166 :: v_dual_mov_b32 v202, v171
	;; [unrolled: 1-line block ×3, first 2 shown]
	s_wait_loadcnt_dscnt 0x904
	v_dual_mul_f32 v9, v176, v129 :: v_dual_mul_f32 v23, v177, v129
	v_dual_mul_f32 v25, v179, v131 :: v_dual_mul_f32 v11, v178, v131
	s_wait_loadcnt_dscnt 0x803
	v_mul_f32_e32 v13, v180, v133
	s_wait_loadcnt_dscnt 0x601
	v_dual_mul_f32 v35, v189, v141 :: v_dual_fma_f32 v23, v176, v128, -v23
	v_dual_fmac_f32 v9, v177, v128 :: v_dual_mul_f32 v37, v191, v143
	v_dual_mul_f32 v27, v181, v133 :: v_dual_mul_f32 v29, v183, v135
	v_dual_fmac_f32 v11, v179, v130 :: v_dual_fma_f32 v25, v178, v130, -v25
	s_delay_alu instid0(VALU_DEP_3)
	v_dual_add_f32 v9, 0, v9 :: v_dual_add_f32 v23, 0, v23
	v_dual_mul_f32 v15, v182, v135 :: v_dual_mul_f32 v17, v184, v137
	s_wait_loadcnt 0x5
	v_dual_mul_f32 v39, v161, v145 :: v_dual_fma_f32 v27, v180, v132, -v27
	v_fmac_f32_e32 v13, v181, v132
	v_dual_add_f32 v9, v9, v11 :: v_dual_mov_b32 v128, v147
	v_add_f32_e32 v11, v23, v25
	v_dual_mul_f32 v31, v185, v137 :: v_dual_mul_f32 v33, v187, v139
	v_dual_fmac_f32 v15, v183, v134 :: v_dual_fma_f32 v23, v182, v134, -v29
	s_delay_alu instid0(VALU_DEP_3) | instskip(SKIP_1) | instid1(VALU_DEP_4)
	v_dual_add_f32 v9, v9, v13 :: v_dual_add_f32 v11, v11, v27
	v_dual_mul_f32 v19, v186, v139 :: v_dual_mul_f32 v21, v188, v141
	v_dual_fmac_f32 v17, v185, v136 :: v_dual_fma_f32 v13, v184, v136, -v31
	s_wait_loadcnt 0x4
	s_delay_alu instid0(VALU_DEP_3) | instskip(SKIP_1) | instid1(VALU_DEP_2)
	v_dual_add_f32 v9, v9, v15 :: v_dual_mov_b32 v132, v151
	v_dual_add_f32 v11, v11, v23 :: v_dual_fma_f32 v15, v186, v138, -v33
	v_dual_fmac_f32 v19, v187, v138 :: v_dual_add_f32 v9, v9, v17
	v_dual_mul_f32 v207, v190, v143 :: v_dual_mul_f32 v209, v160, v145
	s_delay_alu instid0(VALU_DEP_3) | instskip(NEXT) | instid1(VALU_DEP_3)
	v_dual_add_f32 v11, v11, v13 :: v_dual_fmac_f32 v21, v189, v140
	v_dual_fma_f32 v13, v188, v140, -v35 :: v_dual_add_f32 v9, v9, v19
	s_delay_alu instid0(VALU_DEP_3) | instskip(NEXT) | instid1(VALU_DEP_3)
	v_fmac_f32_e32 v207, v191, v142
	v_dual_add_f32 v11, v11, v15 :: v_dual_fma_f32 v206, v190, v142, -v37
	v_pk_mul_f32 v[128:129], v[198:199], v[128:129] op_sel_hi:[1,0]
	s_delay_alu instid0(VALU_DEP_4) | instskip(SKIP_1) | instid1(VALU_DEP_4)
	v_add_f32_e32 v137, v9, v21
	v_pk_mul_f32 v[130:131], v[164:165], v[148:149] op_sel:[1,1] op_sel_hi:[0,1]
	v_dual_add_f32 v136, v11, v13 :: v_dual_fmac_f32 v209, v161, v144
	s_wait_loadcnt 0x3
	v_dual_mov_b32 v138, v155 :: v_dual_fma_f32 v208, v160, v144, -v39
	v_pk_fma_f32 v[140:141], v[162:163], v[146:147], v[128:129] op_sel_hi:[1,0,1]
	s_delay_alu instid0(VALU_DEP_3)
	v_pk_add_f32 v[136:137], v[136:137], v[206:207]
	v_pk_fma_f32 v[128:129], v[162:163], v[146:147], v[128:129] neg_lo:[0,0,1] neg_hi:[0,0,1]
	v_pk_fma_f32 v[142:143], v[164:165], v[148:149], v[130:131] op_sel_hi:[1,0,1]
	v_pk_mul_f32 v[132:133], v[200:201], v[132:133] op_sel_hi:[1,0]
	v_mov_b32_e32 v129, v141
	v_pk_add_f32 v[136:137], v[136:137], v[208:209]
	v_pk_fma_f32 v[130:131], v[164:165], v[148:149], v[130:131] neg_lo:[0,0,1] neg_hi:[0,0,1]
	v_pk_mul_f32 v[134:135], v[168:169], v[152:153] op_sel:[1,1] op_sel_hi:[0,1]
	v_mov_b32_e32 v131, v143
	v_pk_fma_f32 v[142:143], v[166:167], v[150:151], v[132:133] op_sel_hi:[1,0,1]
	v_pk_add_f32 v[128:129], v[136:137], v[128:129]
	v_pk_fma_f32 v[132:133], v[166:167], v[150:151], v[132:133] neg_lo:[0,0,1] neg_hi:[0,0,1]
	v_pk_fma_f32 v[136:137], v[168:169], v[152:153], v[134:135] op_sel_hi:[1,0,1]
	v_pk_mul_f32 v[138:139], v[202:203], v[138:139] op_sel_hi:[1,0]
	v_mov_b32_e32 v133, v143
	v_pk_add_f32 v[128:129], v[128:129], v[130:131]
	v_pk_fma_f32 v[134:135], v[168:169], v[152:153], v[134:135] neg_lo:[0,0,1] neg_hi:[0,0,1]
	s_wait_loadcnt 0x2
	v_pk_mul_f32 v[140:141], v[172:173], v[156:157] op_sel:[1,1] op_sel_hi:[0,1]
	v_dual_mov_b32 v130, v159 :: v_dual_mov_b32 v135, v137
	v_pk_fma_f32 v[136:137], v[170:171], v[154:155], v[138:139] op_sel_hi:[1,0,1]
	v_pk_add_f32 v[128:129], v[128:129], v[132:133]
	v_pk_fma_f32 v[138:139], v[170:171], v[154:155], v[138:139] neg_lo:[0,0,1] neg_hi:[0,0,1]
	v_pk_fma_f32 v[132:133], v[172:173], v[156:157], v[140:141] op_sel_hi:[1,0,1]
	v_pk_mul_f32 v[130:131], v[204:205], v[130:131] op_sel_hi:[1,0]
	v_mov_b32_e32 v139, v137
	v_pk_add_f32 v[128:129], v[128:129], v[134:135]
	v_pk_fma_f32 v[134:135], v[172:173], v[156:157], v[140:141] neg_lo:[0,0,1] neg_hi:[0,0,1]
	v_mov_b32_e32 v135, v133
	v_pk_fma_f32 v[132:133], v[174:175], v[158:159], v[130:131] op_sel_hi:[1,0,1]
	s_wait_loadcnt_dscnt 0x100
	v_pk_mul_f32 v[136:137], v[196:197], v[192:193] op_sel:[1,1] op_sel_hi:[0,1]
	v_pk_add_f32 v[128:129], v[128:129], v[138:139]
	v_pk_fma_f32 v[130:131], v[174:175], v[158:159], v[130:131] neg_lo:[0,0,1] neg_hi:[0,0,1]
	v_mov_b32_e32 v131, v133
	s_delay_alu instid0(VALU_DEP_4) | instskip(NEXT) | instid1(VALU_DEP_4)
	v_pk_fma_f32 v[132:133], v[196:197], v[192:193], v[136:137] op_sel_hi:[1,0,1]
	v_pk_add_f32 v[128:129], v[128:129], v[134:135]
	v_pk_fma_f32 v[134:135], v[196:197], v[192:193], v[136:137] neg_lo:[0,0,1] neg_hi:[0,0,1]
	s_delay_alu instid0(VALU_DEP_3) | instskip(NEXT) | instid1(VALU_DEP_3)
	v_mov_b32_e32 v135, v133
	v_pk_add_f32 v[128:129], v[128:129], v[130:131]
	s_delay_alu instid0(VALU_DEP_1) | instskip(SKIP_1) | instid1(VALU_DEP_1)
	v_pk_add_f32 v[128:129], v[128:129], v[134:135]
	s_wait_loadcnt 0x0
	v_pk_add_f32 v[128:129], v[194:195], v[128:129] neg_lo:[0,1] neg_hi:[0,1]
	scratch_store_b64 off, v[128:129], off offset:360
	s_wait_xcnt 0x0
	v_cmpx_lt_u32_e32 44, v0
	s_cbranch_execz .LBB62_303
; %bb.302:
	scratch_load_b64 v[128:129], off, off offset:352
	v_mov_b64_e32 v[130:131], 0
	scratch_store_b64 off, v[130:131], off offset:352
	s_wait_loadcnt 0x0
	ds_store_b64 v1, v[128:129]
.LBB62_303:
	s_wait_xcnt 0x0
	s_or_b32 exec_lo, exec_lo, s0
	s_wait_storecnt_dscnt 0x0
	s_barrier_signal -1
	s_barrier_wait -1
	s_clause 0x9
	scratch_load_b128 v[128:131], off, off offset:360
	scratch_load_b128 v[132:135], off, off offset:376
	;; [unrolled: 1-line block ×9, first 2 shown]
	scratch_load_b64 v[200:201], off, off offset:352
	ds_load_2addr_b64 v[164:167], v5 offset0:119 offset1:120
	ds_load_2addr_b64 v[168:171], v5 offset0:121 offset1:122
	;; [unrolled: 1-line block ×9, first 2 shown]
	s_mov_b32 s0, exec_lo
	s_wait_dscnt 0x8
	v_dual_mov_b32 v202, v167 :: v_dual_mov_b32 v203, v166
	s_wait_dscnt 0x7
	v_dual_mov_b32 v204, v171 :: v_dual_mov_b32 v205, v170
	;; [unrolled: 2-line block ×4, first 2 shown]
	s_wait_loadcnt_dscnt 0x904
	v_dual_mul_f32 v5, v180, v129 :: v_dual_mul_f32 v9, v182, v131
	v_dual_mul_f32 v23, v181, v129 :: v_dual_mul_f32 v25, v183, v131
	s_wait_loadcnt_dscnt 0x803
	v_dual_mul_f32 v11, v184, v133 :: v_dual_mul_f32 v13, v186, v135
	s_delay_alu instid0(VALU_DEP_2) | instskip(SKIP_3) | instid1(VALU_DEP_3)
	v_dual_fmac_f32 v5, v181, v128 :: v_dual_fma_f32 v23, v180, v128, -v23
	v_dual_mul_f32 v27, v185, v133 :: v_dual_mul_f32 v29, v187, v135
	s_wait_loadcnt_dscnt 0x601
	v_dual_mul_f32 v35, v193, v141 :: v_dual_fmac_f32 v9, v183, v130
	v_dual_fma_f32 v25, v182, v130, -v25 :: v_dual_add_f32 v5, 0, v5
	v_dual_add_f32 v23, 0, v23 :: v_dual_fmac_f32 v11, v185, v132
	v_dual_mul_f32 v37, v195, v143 :: v_dual_fma_f32 v27, v184, v132, -v27
	s_delay_alu instid0(VALU_DEP_3) | instskip(NEXT) | instid1(VALU_DEP_3)
	v_dual_add_f32 v5, v5, v9 :: v_dual_fmac_f32 v13, v187, v134
	v_dual_add_f32 v9, v23, v25 :: v_dual_fma_f32 v25, v186, v134, -v29
	v_dual_mul_f32 v15, v188, v137 :: v_dual_mul_f32 v17, v190, v139
	v_dual_mul_f32 v31, v189, v137 :: v_dual_mul_f32 v33, v191, v139
	s_delay_alu instid0(VALU_DEP_4) | instskip(NEXT) | instid1(VALU_DEP_3)
	v_add_f32_e32 v5, v5, v11
	v_dual_add_f32 v9, v9, v27 :: v_dual_fmac_f32 v17, v191, v138
	s_delay_alu instid0(VALU_DEP_4) | instskip(NEXT) | instid1(VALU_DEP_3)
	v_fmac_f32_e32 v15, v189, v136
	v_dual_fma_f32 v27, v188, v136, -v31 :: v_dual_add_f32 v5, v5, v13
	s_wait_loadcnt 0x4
	s_delay_alu instid0(VALU_DEP_3) | instskip(SKIP_1) | instid1(VALU_DEP_3)
	v_dual_mov_b32 v130, v151 :: v_dual_add_f32 v9, v9, v25
	v_dual_mul_f32 v19, v192, v141 :: v_dual_mul_f32 v21, v194, v143
	v_dual_fma_f32 v13, v190, v138, -v33 :: v_dual_add_f32 v5, v5, v15
	s_delay_alu instid0(VALU_DEP_3)
	v_dual_fma_f32 v15, v192, v140, -v35 :: v_dual_add_f32 v9, v9, v27
	s_wait_dscnt 0x0
	v_dual_mul_f32 v211, v196, v145 :: v_dual_mul_f32 v213, v198, v147
	v_dual_mul_f32 v23, v197, v145 :: v_dual_mul_f32 v11, v199, v147
	v_pk_mul_f32 v[128:129], v[164:165], v[148:149] op_sel:[1,1] op_sel_hi:[0,1]
	s_wait_loadcnt 0x3
	v_dual_fmac_f32 v19, v193, v140 :: v_dual_mov_b32 v134, v155
	v_dual_add_f32 v9, v9, v13 :: v_dual_fmac_f32 v213, v199, v146
	v_dual_fmac_f32 v21, v195, v142 :: v_dual_add_f32 v5, v5, v17
	v_fma_f32 v210, v196, v144, -v23
	v_pk_mul_f32 v[132:133], v[168:169], v[152:153] op_sel:[1,1] op_sel_hi:[0,1]
	v_fma_f32 v13, v194, v142, -v37
	v_pk_fma_f32 v[138:139], v[164:165], v[148:149], v[128:129] op_sel_hi:[1,0,1]
	v_dual_add_f32 v5, v5, v19 :: v_dual_fma_f32 v212, v198, v146, -v11
	v_add_f32_e32 v9, v9, v15
	v_pk_mul_f32 v[130:131], v[202:203], v[130:131] op_sel_hi:[1,0]
	v_pk_fma_f32 v[128:129], v[164:165], v[148:149], v[128:129] neg_lo:[0,0,1] neg_hi:[0,0,1]
	s_delay_alu instid0(VALU_DEP_4)
	v_dual_add_f32 v137, v5, v21 :: v_dual_mov_b32 v129, v139
	v_pk_fma_f32 v[142:143], v[168:169], v[152:153], v[132:133] op_sel_hi:[1,0,1]
	v_add_f32_e32 v136, v9, v13
	v_pk_fma_f32 v[138:139], v[166:167], v[150:151], v[130:131] op_sel_hi:[1,0,1]
	v_fmac_f32_e32 v211, v197, v144
	v_pk_fma_f32 v[130:131], v[166:167], v[150:151], v[130:131] neg_lo:[0,0,1] neg_hi:[0,0,1]
	v_pk_fma_f32 v[132:133], v[168:169], v[152:153], v[132:133] neg_lo:[0,0,1] neg_hi:[0,0,1]
	s_delay_alu instid0(VALU_DEP_4) | instskip(NEXT) | instid1(VALU_DEP_4)
	v_dual_mov_b32 v133, v143 :: v_dual_mov_b32 v131, v139
	v_pk_add_f32 v[136:137], v[136:137], v[210:211]
	v_pk_mul_f32 v[134:135], v[204:205], v[134:135] op_sel_hi:[1,0]
	s_wait_loadcnt 0x2
	v_pk_mul_f32 v[140:141], v[172:173], v[156:157] op_sel:[1,1] op_sel_hi:[0,1]
	s_delay_alu instid0(VALU_DEP_3) | instskip(NEXT) | instid1(VALU_DEP_3)
	v_pk_add_f32 v[136:137], v[136:137], v[212:213]
	v_pk_fma_f32 v[138:139], v[170:171], v[154:155], v[134:135] op_sel_hi:[1,0,1]
	v_pk_fma_f32 v[134:135], v[170:171], v[154:155], v[134:135] neg_lo:[0,0,1] neg_hi:[0,0,1]
	s_delay_alu instid0(VALU_DEP_3) | instskip(SKIP_1) | instid1(VALU_DEP_2)
	v_pk_add_f32 v[128:129], v[136:137], v[128:129]
	v_mov_b32_e32 v136, v159
	v_pk_add_f32 v[128:129], v[128:129], v[130:131]
	v_pk_fma_f32 v[130:131], v[172:173], v[156:157], v[140:141] op_sel_hi:[1,0,1]
	s_delay_alu instid0(VALU_DEP_3)
	v_pk_mul_f32 v[136:137], v[206:207], v[136:137] op_sel_hi:[1,0]
	v_mov_b32_e32 v135, v139
	v_pk_fma_f32 v[138:139], v[172:173], v[156:157], v[140:141] neg_lo:[0,0,1] neg_hi:[0,0,1]
	v_pk_add_f32 v[128:129], v[128:129], v[132:133]
	v_mov_b32_e32 v139, v131
	v_pk_fma_f32 v[130:131], v[174:175], v[158:159], v[136:137] op_sel_hi:[1,0,1]
	s_wait_loadcnt 0x1
	v_pk_mul_f32 v[132:133], v[176:177], v[160:161] op_sel:[1,1] op_sel_hi:[0,1]
	v_mov_b32_e32 v130, v163
	v_pk_add_f32 v[128:129], v[128:129], v[134:135]
	v_pk_fma_f32 v[136:137], v[174:175], v[158:159], v[136:137] neg_lo:[0,0,1] neg_hi:[0,0,1]
	v_mov_b32_e32 v137, v131
	v_pk_fma_f32 v[134:135], v[176:177], v[160:161], v[132:133] op_sel_hi:[1,0,1]
	v_pk_mul_f32 v[130:131], v[208:209], v[130:131] op_sel_hi:[1,0]
	v_pk_add_f32 v[128:129], v[128:129], v[138:139]
	v_pk_fma_f32 v[132:133], v[176:177], v[160:161], v[132:133] neg_lo:[0,0,1] neg_hi:[0,0,1]
	s_delay_alu instid0(VALU_DEP_4) | instskip(NEXT) | instid1(VALU_DEP_4)
	v_mov_b32_e32 v133, v135
	v_pk_fma_f32 v[134:135], v[178:179], v[162:163], v[130:131] op_sel_hi:[1,0,1]
	s_delay_alu instid0(VALU_DEP_4) | instskip(SKIP_1) | instid1(VALU_DEP_3)
	v_pk_add_f32 v[128:129], v[128:129], v[136:137]
	v_pk_fma_f32 v[130:131], v[178:179], v[162:163], v[130:131] neg_lo:[0,0,1] neg_hi:[0,0,1]
	v_mov_b32_e32 v131, v135
	s_delay_alu instid0(VALU_DEP_3) | instskip(NEXT) | instid1(VALU_DEP_1)
	v_pk_add_f32 v[128:129], v[128:129], v[132:133]
	v_pk_add_f32 v[128:129], v[128:129], v[130:131]
	s_wait_loadcnt 0x0
	s_delay_alu instid0(VALU_DEP_1)
	v_pk_add_f32 v[128:129], v[200:201], v[128:129] neg_lo:[0,1] neg_hi:[0,1]
	scratch_store_b64 off, v[128:129], off offset:352
	s_wait_xcnt 0x0
	v_cmpx_lt_u32_e32 43, v0
	s_cbranch_execz .LBB62_305
; %bb.304:
	scratch_load_b64 v[128:129], off, off offset:344
	v_mov_b64_e32 v[130:131], 0
	scratch_store_b64 off, v[130:131], off offset:344
	s_wait_loadcnt 0x0
	ds_store_b64 v1, v[128:129]
.LBB62_305:
	s_wait_xcnt 0x0
	s_or_b32 exec_lo, exec_lo, s0
	s_wait_storecnt_dscnt 0x0
	s_barrier_signal -1
	s_barrier_wait -1
	s_clause 0xa
	scratch_load_b128 v[128:131], off, off offset:352
	scratch_load_b128 v[132:135], off, off offset:368
	;; [unrolled: 1-line block ×9, first 2 shown]
	scratch_load_b64 v[200:201], off, off offset:496
	scratch_load_b64 v[202:203], off, off offset:344
	v_mov_b32_e32 v5, 0
	ds_load_b128 v[164:167], v5 offset:944
	ds_load_b128 v[168:171], v5 offset:960
	;; [unrolled: 1-line block ×9, first 2 shown]
	ds_load_b64 v[204:205], v5 offset:1008
	s_mov_b32 s0, exec_lo
	s_wait_dscnt 0x9
	v_dual_mov_b32 v206, v167 :: v_dual_mov_b32 v207, v166
	s_wait_dscnt 0x6
	v_dual_mov_b32 v208, v171 :: v_dual_mov_b32 v213, v178
	v_dual_mov_b32 v209, v170 :: v_dual_mov_b32 v210, v175
	;; [unrolled: 1-line block ×3, first 2 shown]
	s_wait_loadcnt_dscnt 0xa05
	v_dual_mul_f32 v9, v180, v129 :: v_dual_mul_f32 v27, v181, v129
	v_dual_mul_f32 v29, v183, v131 :: v_dual_mul_f32 v11, v182, v131
	s_wait_loadcnt_dscnt 0x904
	v_mul_f32_e32 v13, v184, v133
	s_wait_loadcnt_dscnt 0x702
	v_dual_mul_f32 v39, v193, v141 :: v_dual_fma_f32 v27, v180, v128, -v27
	v_dual_fmac_f32 v9, v181, v128 :: v_dual_mul_f32 v41, v195, v143
	v_dual_mul_f32 v31, v185, v133 :: v_dual_mul_f32 v33, v187, v135
	v_dual_fmac_f32 v11, v183, v130 :: v_dual_fma_f32 v29, v182, v130, -v29
	s_delay_alu instid0(VALU_DEP_3) | instskip(SKIP_4) | instid1(VALU_DEP_3)
	v_dual_add_f32 v9, 0, v9 :: v_dual_add_f32 v27, 0, v27
	v_dual_mul_f32 v15, v186, v135 :: v_dual_mul_f32 v17, v188, v137
	s_wait_loadcnt_dscnt 0x601
	v_dual_mul_f32 v43, v197, v145 :: v_dual_fma_f32 v31, v184, v132, -v31
	v_fmac_f32_e32 v13, v185, v132
	v_dual_add_f32 v9, v9, v11 :: v_dual_fmac_f32 v15, v187, v134
	v_add_f32_e32 v11, v27, v29
	v_dual_mul_f32 v35, v189, v137 :: v_dual_mul_f32 v37, v191, v139
	v_dual_mul_f32 v27, v199, v147 :: v_dual_fma_f32 v29, v186, v134, -v33
	s_delay_alu instid0(VALU_DEP_3) | instskip(SKIP_3) | instid1(VALU_DEP_3)
	v_dual_add_f32 v9, v9, v13 :: v_dual_add_f32 v11, v11, v31
	v_dual_mul_f32 v19, v190, v139 :: v_dual_mul_f32 v21, v192, v141
	s_wait_loadcnt 0x5
	v_dual_mul_f32 v13, v165, v149 :: v_dual_fma_f32 v31, v188, v136, -v35
	v_dual_fmac_f32 v17, v189, v136 :: v_dual_add_f32 v11, v11, v29
	v_dual_add_f32 v9, v9, v15 :: v_dual_mov_b32 v128, v151
	v_dual_fmac_f32 v19, v191, v138 :: v_dual_fma_f32 v15, v190, v138, -v37
	s_delay_alu instid0(VALU_DEP_2) | instskip(SKIP_3) | instid1(VALU_DEP_3)
	v_dual_add_f32 v11, v11, v31 :: v_dual_add_f32 v9, v9, v17
	v_dual_mul_f32 v23, v194, v143 :: v_dual_mul_f32 v25, v196, v145
	v_dual_fmac_f32 v21, v193, v140 :: v_dual_fma_f32 v17, v192, v140, -v39
	s_wait_loadcnt 0x4
	v_dual_add_f32 v9, v9, v19 :: v_dual_mov_b32 v132, v155
	v_dual_add_f32 v11, v11, v15 :: v_dual_fma_f32 v15, v194, v142, -v41
	s_delay_alu instid0(VALU_DEP_2) | instskip(SKIP_1) | instid1(VALU_DEP_3)
	v_dual_fmac_f32 v23, v195, v142 :: v_dual_add_f32 v9, v9, v21
	v_dual_mul_f32 v215, v198, v147 :: v_dual_mul_f32 v217, v164, v149
	v_dual_add_f32 v11, v11, v17 :: v_dual_fmac_f32 v25, v197, v144
	s_delay_alu instid0(VALU_DEP_3) | instskip(NEXT) | instid1(VALU_DEP_3)
	v_dual_fma_f32 v17, v196, v144, -v43 :: v_dual_add_f32 v9, v9, v23
	v_fmac_f32_e32 v215, v199, v146
	s_delay_alu instid0(VALU_DEP_3) | instskip(SKIP_1) | instid1(VALU_DEP_4)
	v_dual_add_f32 v11, v11, v15 :: v_dual_fma_f32 v214, v198, v146, -v27
	v_pk_mul_f32 v[128:129], v[206:207], v[128:129] op_sel_hi:[1,0]
	v_add_f32_e32 v137, v9, v25
	v_pk_mul_f32 v[130:131], v[168:169], v[152:153] op_sel:[1,1] op_sel_hi:[0,1]
	s_delay_alu instid0(VALU_DEP_4) | instskip(SKIP_3) | instid1(VALU_DEP_3)
	v_dual_add_f32 v136, v11, v17 :: v_dual_fmac_f32 v217, v165, v148
	s_wait_loadcnt 0x3
	v_dual_mov_b32 v138, v159 :: v_dual_fma_f32 v216, v164, v148, -v13
	v_pk_fma_f32 v[140:141], v[166:167], v[150:151], v[128:129] op_sel_hi:[1,0,1]
	v_pk_add_f32 v[136:137], v[136:137], v[214:215]
	v_pk_fma_f32 v[128:129], v[166:167], v[150:151], v[128:129] neg_lo:[0,0,1] neg_hi:[0,0,1]
	v_pk_fma_f32 v[142:143], v[168:169], v[152:153], v[130:131] op_sel_hi:[1,0,1]
	v_pk_mul_f32 v[132:133], v[208:209], v[132:133] op_sel_hi:[1,0]
	v_mov_b32_e32 v129, v141
	v_pk_add_f32 v[136:137], v[136:137], v[216:217]
	v_pk_fma_f32 v[130:131], v[168:169], v[152:153], v[130:131] neg_lo:[0,0,1] neg_hi:[0,0,1]
	v_pk_mul_f32 v[134:135], v[172:173], v[156:157] op_sel:[1,1] op_sel_hi:[0,1]
	v_mov_b32_e32 v131, v143
	v_pk_fma_f32 v[142:143], v[170:171], v[154:155], v[132:133] op_sel_hi:[1,0,1]
	v_pk_add_f32 v[128:129], v[136:137], v[128:129]
	v_pk_fma_f32 v[132:133], v[170:171], v[154:155], v[132:133] neg_lo:[0,0,1] neg_hi:[0,0,1]
	v_pk_fma_f32 v[136:137], v[172:173], v[156:157], v[134:135] op_sel_hi:[1,0,1]
	v_pk_mul_f32 v[138:139], v[210:211], v[138:139] op_sel_hi:[1,0]
	v_mov_b32_e32 v133, v143
	v_pk_add_f32 v[128:129], v[128:129], v[130:131]
	v_pk_fma_f32 v[134:135], v[172:173], v[156:157], v[134:135] neg_lo:[0,0,1] neg_hi:[0,0,1]
	s_wait_loadcnt 0x2
	v_pk_mul_f32 v[140:141], v[176:177], v[160:161] op_sel:[1,1] op_sel_hi:[0,1]
	v_dual_mov_b32 v130, v163 :: v_dual_mov_b32 v135, v137
	v_pk_fma_f32 v[136:137], v[174:175], v[158:159], v[138:139] op_sel_hi:[1,0,1]
	v_pk_add_f32 v[128:129], v[128:129], v[132:133]
	v_pk_fma_f32 v[138:139], v[174:175], v[158:159], v[138:139] neg_lo:[0,0,1] neg_hi:[0,0,1]
	v_pk_fma_f32 v[132:133], v[176:177], v[160:161], v[140:141] op_sel_hi:[1,0,1]
	v_pk_mul_f32 v[130:131], v[212:213], v[130:131] op_sel_hi:[1,0]
	v_mov_b32_e32 v139, v137
	v_pk_add_f32 v[128:129], v[128:129], v[134:135]
	v_pk_fma_f32 v[134:135], v[176:177], v[160:161], v[140:141] neg_lo:[0,0,1] neg_hi:[0,0,1]
	v_mov_b32_e32 v135, v133
	v_pk_fma_f32 v[132:133], v[178:179], v[162:163], v[130:131] op_sel_hi:[1,0,1]
	s_wait_loadcnt_dscnt 0x100
	v_pk_mul_f32 v[136:137], v[204:205], v[200:201] op_sel:[1,1] op_sel_hi:[0,1]
	v_pk_add_f32 v[128:129], v[128:129], v[138:139]
	v_pk_fma_f32 v[130:131], v[178:179], v[162:163], v[130:131] neg_lo:[0,0,1] neg_hi:[0,0,1]
	v_mov_b32_e32 v131, v133
	s_delay_alu instid0(VALU_DEP_4) | instskip(NEXT) | instid1(VALU_DEP_4)
	v_pk_fma_f32 v[132:133], v[204:205], v[200:201], v[136:137] op_sel_hi:[1,0,1]
	v_pk_add_f32 v[128:129], v[128:129], v[134:135]
	v_pk_fma_f32 v[134:135], v[204:205], v[200:201], v[136:137] neg_lo:[0,0,1] neg_hi:[0,0,1]
	s_delay_alu instid0(VALU_DEP_3) | instskip(NEXT) | instid1(VALU_DEP_3)
	v_mov_b32_e32 v135, v133
	v_pk_add_f32 v[128:129], v[128:129], v[130:131]
	s_delay_alu instid0(VALU_DEP_1) | instskip(SKIP_1) | instid1(VALU_DEP_1)
	v_pk_add_f32 v[128:129], v[128:129], v[134:135]
	s_wait_loadcnt 0x0
	v_pk_add_f32 v[128:129], v[202:203], v[128:129] neg_lo:[0,1] neg_hi:[0,1]
	scratch_store_b64 off, v[128:129], off offset:344
	s_wait_xcnt 0x0
	v_cmpx_lt_u32_e32 42, v0
	s_cbranch_execz .LBB62_307
; %bb.306:
	scratch_load_b64 v[128:129], off, off offset:336
	v_mov_b64_e32 v[130:131], 0
	scratch_store_b64 off, v[130:131], off offset:336
	s_wait_loadcnt 0x0
	ds_store_b64 v1, v[128:129]
.LBB62_307:
	s_wait_xcnt 0x0
	s_or_b32 exec_lo, exec_lo, s0
	s_wait_storecnt_dscnt 0x0
	s_barrier_signal -1
	s_barrier_wait -1
	s_clause 0xa
	scratch_load_b128 v[128:131], off, off offset:344
	scratch_load_b128 v[132:135], off, off offset:360
	;; [unrolled: 1-line block ×10, first 2 shown]
	scratch_load_b64 v[208:209], off, off offset:336
	ds_load_2addr_b64 v[168:171], v5 offset0:119 offset1:120
	ds_load_2addr_b64 v[172:175], v5 offset0:121 offset1:122
	;; [unrolled: 1-line block ×10, first 2 shown]
	s_mov_b32 s0, exec_lo
	s_wait_dscnt 0x9
	v_dual_mov_b32 v210, v171 :: v_dual_mov_b32 v211, v170
	s_wait_dscnt 0x8
	v_dual_mov_b32 v212, v175 :: v_dual_mov_b32 v213, v174
	;; [unrolled: 2-line block ×4, first 2 shown]
	s_wait_loadcnt_dscnt 0xa05
	v_dual_mul_f32 v5, v184, v129 :: v_dual_mul_f32 v9, v186, v131
	v_dual_mul_f32 v27, v185, v129 :: v_dual_mul_f32 v29, v187, v131
	s_wait_loadcnt_dscnt 0x904
	v_dual_mul_f32 v11, v188, v133 :: v_dual_mul_f32 v13, v190, v135
	s_delay_alu instid0(VALU_DEP_2) | instskip(SKIP_3) | instid1(VALU_DEP_3)
	v_dual_fmac_f32 v5, v185, v128 :: v_dual_fma_f32 v27, v184, v128, -v27
	v_dual_mul_f32 v31, v189, v133 :: v_dual_mul_f32 v33, v191, v135
	s_wait_loadcnt_dscnt 0x702
	v_dual_mul_f32 v39, v197, v141 :: v_dual_fmac_f32 v9, v187, v130
	v_dual_fma_f32 v29, v186, v130, -v29 :: v_dual_add_f32 v5, 0, v5
	v_dual_add_f32 v27, 0, v27 :: v_dual_fmac_f32 v11, v189, v132
	v_dual_mul_f32 v41, v199, v143 :: v_dual_fma_f32 v31, v188, v132, -v31
	s_delay_alu instid0(VALU_DEP_3) | instskip(NEXT) | instid1(VALU_DEP_3)
	v_dual_add_f32 v5, v5, v9 :: v_dual_fmac_f32 v13, v191, v134
	v_dual_add_f32 v9, v27, v29 :: v_dual_fma_f32 v29, v190, v134, -v33
	v_dual_mul_f32 v15, v192, v137 :: v_dual_mul_f32 v17, v194, v139
	v_dual_mul_f32 v35, v193, v137 :: v_dual_mul_f32 v37, v195, v139
	s_delay_alu instid0(VALU_DEP_4) | instskip(NEXT) | instid1(VALU_DEP_3)
	v_add_f32_e32 v5, v5, v11
	v_dual_add_f32 v9, v9, v31 :: v_dual_fmac_f32 v17, v195, v138
	s_delay_alu instid0(VALU_DEP_4) | instskip(NEXT) | instid1(VALU_DEP_3)
	v_fmac_f32_e32 v15, v193, v136
	v_dual_fma_f32 v31, v192, v136, -v35 :: v_dual_add_f32 v5, v5, v13
	s_delay_alu instid0(VALU_DEP_3) | instskip(SKIP_1) | instid1(VALU_DEP_3)
	v_add_f32_e32 v9, v9, v29
	v_dual_mul_f32 v19, v196, v141 :: v_dual_mul_f32 v21, v198, v143
	v_dual_fma_f32 v29, v194, v138, -v37 :: v_dual_add_f32 v5, v5, v15
	s_wait_loadcnt 0x4
	s_delay_alu instid0(VALU_DEP_3)
	v_dual_add_f32 v9, v9, v31 :: v_dual_mov_b32 v130, v155
	s_wait_dscnt 0x1
	v_dual_mul_f32 v23, v200, v145 :: v_dual_mul_f32 v25, v202, v147
	v_dual_mul_f32 v27, v201, v145 :: v_dual_mul_f32 v11, v203, v147
	v_fmac_f32_e32 v19, v197, v140
	v_dual_fma_f32 v31, v196, v140, -v39 :: v_dual_add_f32 v5, v5, v17
	s_delay_alu instid0(VALU_DEP_3) | instskip(SKIP_3) | instid1(VALU_DEP_3)
	v_dual_add_f32 v9, v9, v29 :: v_dual_fma_f32 v11, v202, v146, -v11
	s_wait_dscnt 0x0
	v_dual_mul_f32 v13, v205, v149 :: v_dual_fmac_f32 v21, v199, v142
	v_pk_mul_f32 v[128:129], v[168:169], v[152:153] op_sel:[1,1] op_sel_hi:[0,1]
	v_dual_fma_f32 v17, v198, v142, -v41 :: v_dual_add_f32 v9, v9, v31
	s_delay_alu instid0(VALU_DEP_3)
	v_fma_f32 v218, v204, v148, -v13
	v_dual_fmac_f32 v25, v203, v146 :: v_dual_add_f32 v5, v5, v19
	s_wait_loadcnt 0x3
	v_dual_mov_b32 v134, v159 :: v_dual_mul_f32 v219, v204, v149
	v_dual_mul_f32 v221, v206, v151 :: v_dual_mul_f32 v15, v207, v151
	v_fmac_f32_e32 v23, v201, v144
	v_dual_fma_f32 v19, v200, v144, -v27 :: v_dual_add_f32 v5, v5, v21
	v_pk_fma_f32 v[138:139], v[168:169], v[152:153], v[128:129] op_sel_hi:[1,0,1]
	v_add_f32_e32 v9, v9, v17
	v_pk_mul_f32 v[130:131], v[210:211], v[130:131] op_sel_hi:[1,0]
	v_pk_fma_f32 v[128:129], v[168:169], v[152:153], v[128:129] neg_lo:[0,0,1] neg_hi:[0,0,1]
	v_pk_mul_f32 v[132:133], v[172:173], v[156:157] op_sel:[1,1] op_sel_hi:[0,1]
	v_dual_fmac_f32 v221, v207, v150 :: v_dual_fma_f32 v220, v206, v150, -v15
	v_dual_mov_b32 v129, v139 :: v_dual_add_f32 v9, v9, v19
	v_pk_fma_f32 v[138:139], v[170:171], v[154:155], v[130:131] op_sel_hi:[1,0,1]
	v_add_f32_e32 v5, v5, v23
	v_pk_mul_f32 v[134:135], v[212:213], v[134:135] op_sel_hi:[1,0]
	v_pk_fma_f32 v[130:131], v[170:171], v[154:155], v[130:131] neg_lo:[0,0,1] neg_hi:[0,0,1]
	v_add_f32_e32 v136, v9, v11
	v_pk_fma_f32 v[142:143], v[172:173], v[156:157], v[132:133] op_sel_hi:[1,0,1]
	v_dual_fmac_f32 v219, v205, v148 :: v_dual_mov_b32 v131, v139
	v_pk_fma_f32 v[138:139], v[174:175], v[158:159], v[134:135] op_sel_hi:[1,0,1]
	v_add_f32_e32 v137, v5, v25
	v_pk_fma_f32 v[132:133], v[172:173], v[156:157], v[132:133] neg_lo:[0,0,1] neg_hi:[0,0,1]
	v_pk_fma_f32 v[134:135], v[174:175], v[158:159], v[134:135] neg_lo:[0,0,1] neg_hi:[0,0,1]
	s_delay_alu instid0(VALU_DEP_4) | instskip(NEXT) | instid1(VALU_DEP_4)
	v_dual_mov_b32 v133, v143 :: v_dual_mov_b32 v135, v139
	v_pk_add_f32 v[136:137], v[136:137], v[218:219]
	s_wait_loadcnt 0x2
	v_pk_mul_f32 v[140:141], v[176:177], v[160:161] op_sel:[1,1] op_sel_hi:[0,1]
	s_delay_alu instid0(VALU_DEP_2) | instskip(NEXT) | instid1(VALU_DEP_2)
	v_pk_add_f32 v[136:137], v[136:137], v[220:221]
	v_pk_fma_f32 v[138:139], v[176:177], v[160:161], v[140:141] neg_lo:[0,0,1] neg_hi:[0,0,1]
	s_delay_alu instid0(VALU_DEP_2) | instskip(SKIP_1) | instid1(VALU_DEP_2)
	v_pk_add_f32 v[128:129], v[136:137], v[128:129]
	v_mov_b32_e32 v136, v163
	v_pk_add_f32 v[128:129], v[128:129], v[130:131]
	v_pk_fma_f32 v[130:131], v[176:177], v[160:161], v[140:141] op_sel_hi:[1,0,1]
	s_delay_alu instid0(VALU_DEP_3) | instskip(NEXT) | instid1(VALU_DEP_3)
	v_pk_mul_f32 v[136:137], v[214:215], v[136:137] op_sel_hi:[1,0]
	v_pk_add_f32 v[128:129], v[128:129], v[132:133]
	s_delay_alu instid0(VALU_DEP_3) | instskip(NEXT) | instid1(VALU_DEP_3)
	v_mov_b32_e32 v139, v131
	v_pk_fma_f32 v[130:131], v[178:179], v[162:163], v[136:137] op_sel_hi:[1,0,1]
	s_wait_loadcnt 0x1
	v_pk_mul_f32 v[132:133], v[180:181], v[164:165] op_sel:[1,1] op_sel_hi:[0,1]
	v_mov_b32_e32 v130, v167
	v_pk_add_f32 v[128:129], v[128:129], v[134:135]
	v_pk_fma_f32 v[136:137], v[178:179], v[162:163], v[136:137] neg_lo:[0,0,1] neg_hi:[0,0,1]
	v_mov_b32_e32 v137, v131
	v_pk_fma_f32 v[134:135], v[180:181], v[164:165], v[132:133] op_sel_hi:[1,0,1]
	v_pk_mul_f32 v[130:131], v[216:217], v[130:131] op_sel_hi:[1,0]
	v_pk_add_f32 v[128:129], v[128:129], v[138:139]
	v_pk_fma_f32 v[132:133], v[180:181], v[164:165], v[132:133] neg_lo:[0,0,1] neg_hi:[0,0,1]
	s_delay_alu instid0(VALU_DEP_4) | instskip(NEXT) | instid1(VALU_DEP_4)
	v_mov_b32_e32 v133, v135
	v_pk_fma_f32 v[134:135], v[182:183], v[166:167], v[130:131] op_sel_hi:[1,0,1]
	s_delay_alu instid0(VALU_DEP_4) | instskip(SKIP_1) | instid1(VALU_DEP_3)
	v_pk_add_f32 v[128:129], v[128:129], v[136:137]
	v_pk_fma_f32 v[130:131], v[182:183], v[166:167], v[130:131] neg_lo:[0,0,1] neg_hi:[0,0,1]
	v_mov_b32_e32 v131, v135
	s_delay_alu instid0(VALU_DEP_3) | instskip(NEXT) | instid1(VALU_DEP_1)
	v_pk_add_f32 v[128:129], v[128:129], v[132:133]
	v_pk_add_f32 v[128:129], v[128:129], v[130:131]
	s_wait_loadcnt 0x0
	s_delay_alu instid0(VALU_DEP_1)
	v_pk_add_f32 v[128:129], v[208:209], v[128:129] neg_lo:[0,1] neg_hi:[0,1]
	scratch_store_b64 off, v[128:129], off offset:336
	s_wait_xcnt 0x0
	v_cmpx_lt_u32_e32 41, v0
	s_cbranch_execz .LBB62_309
; %bb.308:
	scratch_load_b64 v[128:129], off, off offset:328
	v_mov_b64_e32 v[130:131], 0
	scratch_store_b64 off, v[130:131], off offset:328
	s_wait_loadcnt 0x0
	ds_store_b64 v1, v[128:129]
.LBB62_309:
	s_wait_xcnt 0x0
	s_or_b32 exec_lo, exec_lo, s0
	s_wait_storecnt_dscnt 0x0
	s_barrier_signal -1
	s_barrier_wait -1
	s_clause 0xb
	scratch_load_b128 v[128:131], off, off offset:336
	scratch_load_b128 v[132:135], off, off offset:352
	;; [unrolled: 1-line block ×10, first 2 shown]
	scratch_load_b64 v[208:209], off, off offset:496
	scratch_load_b64 v[210:211], off, off offset:328
	v_mov_b32_e32 v5, 0
	ds_load_b128 v[168:171], v5 offset:944
	ds_load_b128 v[172:175], v5 offset:960
	;; [unrolled: 1-line block ×10, first 2 shown]
	ds_load_b64 v[212:213], v5 offset:1008
	s_mov_b32 s0, exec_lo
	s_wait_dscnt 0xa
	v_dual_mov_b32 v214, v171 :: v_dual_mov_b32 v215, v170
	s_wait_dscnt 0x7
	v_dual_mov_b32 v216, v175 :: v_dual_mov_b32 v221, v182
	v_dual_mov_b32 v217, v174 :: v_dual_mov_b32 v218, v179
	v_dual_mov_b32 v219, v178 :: v_dual_mov_b32 v220, v183
	s_wait_loadcnt_dscnt 0xb06
	v_dual_mul_f32 v9, v184, v129 :: v_dual_mul_f32 v31, v185, v129
	v_dual_mul_f32 v33, v187, v131 :: v_dual_mul_f32 v11, v186, v131
	s_wait_loadcnt_dscnt 0xa05
	v_mul_f32_e32 v13, v188, v133
	s_wait_loadcnt_dscnt 0x803
	v_dual_mul_f32 v43, v197, v141 :: v_dual_fma_f32 v31, v184, v128, -v31
	v_dual_fmac_f32 v9, v185, v128 :: v_dual_mul_f32 v45, v199, v143
	v_dual_mul_f32 v35, v189, v133 :: v_dual_mul_f32 v37, v191, v135
	v_dual_fmac_f32 v11, v187, v130 :: v_dual_fma_f32 v33, v186, v130, -v33
	s_delay_alu instid0(VALU_DEP_3) | instskip(SKIP_4) | instid1(VALU_DEP_3)
	v_dual_add_f32 v9, 0, v9 :: v_dual_add_f32 v31, 0, v31
	v_dual_mul_f32 v15, v190, v135 :: v_dual_mul_f32 v17, v192, v137
	s_wait_loadcnt_dscnt 0x702
	v_dual_mul_f32 v47, v201, v145 :: v_dual_fma_f32 v35, v188, v132, -v35
	v_fmac_f32_e32 v13, v189, v132
	v_dual_add_f32 v9, v9, v11 :: v_dual_fmac_f32 v15, v191, v134
	v_add_f32_e32 v11, v31, v33
	v_dual_mul_f32 v39, v193, v137 :: v_dual_mul_f32 v41, v195, v139
	v_dual_mul_f32 v31, v203, v147 :: v_dual_fma_f32 v33, v190, v134, -v37
	s_delay_alu instid0(VALU_DEP_3) | instskip(SKIP_3) | instid1(VALU_DEP_3)
	v_dual_add_f32 v9, v9, v13 :: v_dual_add_f32 v11, v11, v35
	v_dual_mul_f32 v19, v194, v139 :: v_dual_mul_f32 v21, v196, v141
	s_wait_loadcnt_dscnt 0x601
	v_dual_mul_f32 v13, v205, v149 :: v_dual_fma_f32 v35, v192, v136, -v39
	v_dual_fmac_f32 v17, v193, v136 :: v_dual_add_f32 v11, v11, v33
	s_delay_alu instid0(VALU_DEP_3) | instskip(SKIP_1) | instid1(VALU_DEP_2)
	v_dual_add_f32 v9, v9, v15 :: v_dual_fmac_f32 v19, v195, v138
	v_dual_mul_f32 v15, v207, v151 :: v_dual_fma_f32 v33, v194, v138, -v41
	v_dual_add_f32 v11, v11, v35 :: v_dual_add_f32 v9, v9, v17
	v_dual_mul_f32 v23, v198, v143 :: v_dual_mul_f32 v25, v200, v145
	s_wait_loadcnt 0x5
	v_dual_mul_f32 v17, v169, v153 :: v_dual_fma_f32 v35, v196, v140, -v43
	s_delay_alu instid0(VALU_DEP_3) | instskip(SKIP_2) | instid1(VALU_DEP_2)
	v_dual_fmac_f32 v21, v197, v140 :: v_dual_add_f32 v11, v11, v33
	v_dual_add_f32 v9, v9, v19 :: v_dual_mov_b32 v128, v155
	v_dual_fmac_f32 v23, v199, v142 :: v_dual_fma_f32 v19, v198, v142, -v45
	v_dual_add_f32 v11, v11, v35 :: v_dual_add_f32 v9, v9, v21
	v_dual_mul_f32 v27, v202, v147 :: v_dual_mul_f32 v29, v204, v149
	v_dual_fmac_f32 v25, v201, v144 :: v_dual_fma_f32 v21, v200, v144, -v47
	s_wait_loadcnt 0x4
	s_delay_alu instid0(VALU_DEP_3) | instskip(SKIP_1) | instid1(VALU_DEP_2)
	v_dual_add_f32 v9, v9, v23 :: v_dual_mov_b32 v132, v159
	v_dual_add_f32 v11, v11, v19 :: v_dual_fma_f32 v19, v202, v146, -v31
	v_dual_fmac_f32 v27, v203, v146 :: v_dual_add_f32 v9, v9, v25
	v_dual_mul_f32 v223, v206, v151 :: v_dual_mul_f32 v225, v168, v153
	s_delay_alu instid0(VALU_DEP_3) | instskip(NEXT) | instid1(VALU_DEP_3)
	v_dual_add_f32 v11, v11, v21 :: v_dual_fmac_f32 v29, v205, v148
	v_dual_fma_f32 v13, v204, v148, -v13 :: v_dual_add_f32 v9, v9, v27
	s_delay_alu instid0(VALU_DEP_3) | instskip(NEXT) | instid1(VALU_DEP_3)
	v_fmac_f32_e32 v223, v207, v150
	v_dual_add_f32 v11, v11, v19 :: v_dual_fma_f32 v222, v206, v150, -v15
	v_pk_mul_f32 v[128:129], v[214:215], v[128:129] op_sel_hi:[1,0]
	s_delay_alu instid0(VALU_DEP_4) | instskip(SKIP_1) | instid1(VALU_DEP_4)
	v_add_f32_e32 v137, v9, v29
	v_pk_mul_f32 v[130:131], v[172:173], v[156:157] op_sel:[1,1] op_sel_hi:[0,1]
	v_dual_add_f32 v136, v11, v13 :: v_dual_fmac_f32 v225, v169, v152
	s_wait_loadcnt 0x3
	v_dual_mov_b32 v138, v163 :: v_dual_fma_f32 v224, v168, v152, -v17
	v_pk_fma_f32 v[140:141], v[170:171], v[154:155], v[128:129] op_sel_hi:[1,0,1]
	s_delay_alu instid0(VALU_DEP_3)
	v_pk_add_f32 v[136:137], v[136:137], v[222:223]
	v_pk_fma_f32 v[128:129], v[170:171], v[154:155], v[128:129] neg_lo:[0,0,1] neg_hi:[0,0,1]
	v_pk_fma_f32 v[142:143], v[172:173], v[156:157], v[130:131] op_sel_hi:[1,0,1]
	v_pk_mul_f32 v[132:133], v[216:217], v[132:133] op_sel_hi:[1,0]
	v_mov_b32_e32 v129, v141
	v_pk_add_f32 v[136:137], v[136:137], v[224:225]
	v_pk_fma_f32 v[130:131], v[172:173], v[156:157], v[130:131] neg_lo:[0,0,1] neg_hi:[0,0,1]
	v_pk_mul_f32 v[134:135], v[176:177], v[160:161] op_sel:[1,1] op_sel_hi:[0,1]
	v_mov_b32_e32 v131, v143
	v_pk_fma_f32 v[142:143], v[174:175], v[158:159], v[132:133] op_sel_hi:[1,0,1]
	v_pk_add_f32 v[128:129], v[136:137], v[128:129]
	v_pk_fma_f32 v[132:133], v[174:175], v[158:159], v[132:133] neg_lo:[0,0,1] neg_hi:[0,0,1]
	v_pk_fma_f32 v[136:137], v[176:177], v[160:161], v[134:135] op_sel_hi:[1,0,1]
	v_pk_mul_f32 v[138:139], v[218:219], v[138:139] op_sel_hi:[1,0]
	v_mov_b32_e32 v133, v143
	v_pk_add_f32 v[128:129], v[128:129], v[130:131]
	v_pk_fma_f32 v[134:135], v[176:177], v[160:161], v[134:135] neg_lo:[0,0,1] neg_hi:[0,0,1]
	s_wait_loadcnt 0x2
	v_pk_mul_f32 v[140:141], v[180:181], v[164:165] op_sel:[1,1] op_sel_hi:[0,1]
	v_dual_mov_b32 v130, v167 :: v_dual_mov_b32 v135, v137
	v_pk_fma_f32 v[136:137], v[178:179], v[162:163], v[138:139] op_sel_hi:[1,0,1]
	v_pk_add_f32 v[128:129], v[128:129], v[132:133]
	v_pk_fma_f32 v[138:139], v[178:179], v[162:163], v[138:139] neg_lo:[0,0,1] neg_hi:[0,0,1]
	v_pk_fma_f32 v[132:133], v[180:181], v[164:165], v[140:141] op_sel_hi:[1,0,1]
	v_pk_mul_f32 v[130:131], v[220:221], v[130:131] op_sel_hi:[1,0]
	v_mov_b32_e32 v139, v137
	v_pk_add_f32 v[128:129], v[128:129], v[134:135]
	v_pk_fma_f32 v[134:135], v[180:181], v[164:165], v[140:141] neg_lo:[0,0,1] neg_hi:[0,0,1]
	v_mov_b32_e32 v135, v133
	v_pk_fma_f32 v[132:133], v[182:183], v[166:167], v[130:131] op_sel_hi:[1,0,1]
	s_wait_loadcnt_dscnt 0x100
	v_pk_mul_f32 v[136:137], v[212:213], v[208:209] op_sel:[1,1] op_sel_hi:[0,1]
	v_pk_add_f32 v[128:129], v[128:129], v[138:139]
	v_pk_fma_f32 v[130:131], v[182:183], v[166:167], v[130:131] neg_lo:[0,0,1] neg_hi:[0,0,1]
	v_mov_b32_e32 v131, v133
	s_delay_alu instid0(VALU_DEP_4) | instskip(NEXT) | instid1(VALU_DEP_4)
	v_pk_fma_f32 v[132:133], v[212:213], v[208:209], v[136:137] op_sel_hi:[1,0,1]
	v_pk_add_f32 v[128:129], v[128:129], v[134:135]
	v_pk_fma_f32 v[134:135], v[212:213], v[208:209], v[136:137] neg_lo:[0,0,1] neg_hi:[0,0,1]
	s_delay_alu instid0(VALU_DEP_3) | instskip(NEXT) | instid1(VALU_DEP_3)
	v_mov_b32_e32 v135, v133
	v_pk_add_f32 v[128:129], v[128:129], v[130:131]
	s_delay_alu instid0(VALU_DEP_1) | instskip(SKIP_1) | instid1(VALU_DEP_1)
	v_pk_add_f32 v[128:129], v[128:129], v[134:135]
	s_wait_loadcnt 0x0
	v_pk_add_f32 v[128:129], v[210:211], v[128:129] neg_lo:[0,1] neg_hi:[0,1]
	scratch_store_b64 off, v[128:129], off offset:328
	s_wait_xcnt 0x0
	v_cmpx_lt_u32_e32 40, v0
	s_cbranch_execz .LBB62_311
; %bb.310:
	scratch_load_b64 v[128:129], off, off offset:320
	v_mov_b64_e32 v[130:131], 0
	scratch_store_b64 off, v[130:131], off offset:320
	s_wait_loadcnt 0x0
	ds_store_b64 v1, v[128:129]
.LBB62_311:
	s_wait_xcnt 0x0
	s_or_b32 exec_lo, exec_lo, s0
	s_wait_storecnt_dscnt 0x0
	s_barrier_signal -1
	s_barrier_wait -1
	s_clause 0xb
	scratch_load_b128 v[128:131], off, off offset:328
	scratch_load_b128 v[132:135], off, off offset:344
	;; [unrolled: 1-line block ×11, first 2 shown]
	scratch_load_b64 v[216:217], off, off offset:320
	ds_load_2addr_b64 v[172:175], v5 offset0:119 offset1:120
	ds_load_2addr_b64 v[176:179], v5 offset0:121 offset1:122
	;; [unrolled: 1-line block ×11, first 2 shown]
	s_mov_b32 s0, exec_lo
	s_wait_dscnt 0xa
	v_dual_mov_b32 v218, v175 :: v_dual_mov_b32 v219, v174
	s_wait_dscnt 0x9
	v_dual_mov_b32 v220, v179 :: v_dual_mov_b32 v221, v178
	;; [unrolled: 2-line block ×4, first 2 shown]
	s_wait_loadcnt_dscnt 0xb06
	v_dual_mul_f32 v5, v188, v129 :: v_dual_mul_f32 v9, v190, v131
	v_dual_mul_f32 v31, v189, v129 :: v_dual_mul_f32 v33, v191, v131
	s_wait_loadcnt_dscnt 0xa05
	v_dual_mul_f32 v11, v192, v133 :: v_dual_mul_f32 v13, v194, v135
	s_delay_alu instid0(VALU_DEP_2) | instskip(SKIP_3) | instid1(VALU_DEP_3)
	v_dual_fmac_f32 v5, v189, v128 :: v_dual_fma_f32 v31, v188, v128, -v31
	v_dual_mul_f32 v35, v193, v133 :: v_dual_mul_f32 v37, v195, v135
	s_wait_loadcnt_dscnt 0x803
	v_dual_mul_f32 v43, v201, v141 :: v_dual_fmac_f32 v9, v191, v130
	v_dual_fma_f32 v33, v190, v130, -v33 :: v_dual_add_f32 v5, 0, v5
	v_dual_add_f32 v31, 0, v31 :: v_dual_fmac_f32 v11, v193, v132
	v_dual_mul_f32 v45, v203, v143 :: v_dual_fma_f32 v35, v192, v132, -v35
	s_delay_alu instid0(VALU_DEP_3) | instskip(NEXT) | instid1(VALU_DEP_3)
	v_dual_add_f32 v5, v5, v9 :: v_dual_fmac_f32 v13, v195, v134
	v_dual_add_f32 v9, v31, v33 :: v_dual_fma_f32 v33, v194, v134, -v37
	v_dual_mul_f32 v15, v196, v137 :: v_dual_mul_f32 v17, v198, v139
	v_dual_mul_f32 v39, v197, v137 :: v_dual_mul_f32 v41, v199, v139
	s_delay_alu instid0(VALU_DEP_3) | instskip(NEXT) | instid1(VALU_DEP_3)
	v_add_f32_e32 v9, v9, v35
	v_dual_add_f32 v5, v5, v11 :: v_dual_fmac_f32 v17, v199, v138
	s_wait_loadcnt_dscnt 0x702
	s_delay_alu instid0(VALU_DEP_3) | instskip(NEXT) | instid1(VALU_DEP_3)
	v_dual_fma_f32 v35, v196, v136, -v39 :: v_dual_mul_f32 v31, v205, v145
	v_dual_mul_f32 v11, v207, v147 :: v_dual_add_f32 v9, v9, v33
	v_dual_fmac_f32 v15, v197, v136 :: v_dual_fma_f32 v33, v198, v138, -v41
	v_add_f32_e32 v5, v5, v13
	v_dual_mul_f32 v19, v200, v141 :: v_dual_mul_f32 v21, v202, v143
	s_delay_alu instid0(VALU_DEP_4) | instskip(NEXT) | instid1(VALU_DEP_3)
	v_dual_add_f32 v9, v9, v35 :: v_dual_fma_f32 v31, v204, v144, -v31
	v_dual_add_f32 v5, v5, v15 :: v_dual_fma_f32 v35, v200, v140, -v43
	v_dual_mul_f32 v23, v204, v145 :: v_dual_mul_f32 v25, v206, v147
	s_delay_alu instid0(VALU_DEP_3) | instskip(SKIP_2) | instid1(VALU_DEP_3)
	v_dual_add_f32 v9, v9, v33 :: v_dual_fma_f32 v11, v206, v146, -v11
	s_wait_loadcnt_dscnt 0x601
	v_dual_mul_f32 v27, v208, v149 :: v_dual_mul_f32 v29, v210, v151
	v_dual_fmac_f32 v19, v201, v140 :: v_dual_fmac_f32 v25, v207, v146
	v_dual_fma_f32 v33, v202, v142, -v45 :: v_dual_add_f32 v5, v5, v17
	s_delay_alu instid0(VALU_DEP_3) | instskip(SKIP_3) | instid1(VALU_DEP_2)
	v_dual_add_f32 v9, v9, v35 :: v_dual_fmac_f32 v29, v211, v150
	v_dual_mul_f32 v13, v209, v149 :: v_dual_fmac_f32 v21, v203, v142
	s_wait_loadcnt_dscnt 0x400
	v_dual_mul_f32 v17, v213, v153 :: v_dual_mov_b32 v130, v159
	v_dual_add_f32 v5, v5, v19 :: v_dual_fma_f32 v13, v208, v148, -v13
	s_delay_alu instid0(VALU_DEP_2)
	v_dual_add_f32 v9, v9, v33 :: v_dual_fma_f32 v226, v212, v152, -v17
	v_mul_f32_e32 v15, v211, v151
	v_dual_mul_f32 v19, v215, v155 :: v_dual_fmac_f32 v23, v205, v144
	s_wait_loadcnt 0x3
	v_dual_mov_b32 v134, v163 :: v_dual_add_f32 v5, v5, v21
	v_pk_mul_f32 v[128:129], v[172:173], v[156:157] op_sel:[1,1] op_sel_hi:[0,1]
	s_delay_alu instid0(VALU_DEP_3) | instskip(SKIP_1) | instid1(VALU_DEP_3)
	v_dual_add_f32 v9, v9, v31 :: v_dual_fma_f32 v228, v214, v154, -v19
	v_dual_mul_f32 v227, v212, v153 :: v_dual_mul_f32 v229, v214, v155
	v_pk_fma_f32 v[138:139], v[172:173], v[156:157], v[128:129] op_sel_hi:[1,0,1]
	s_delay_alu instid0(VALU_DEP_3) | instskip(NEXT) | instid1(VALU_DEP_3)
	v_dual_add_f32 v9, v9, v11 :: v_dual_fma_f32 v11, v210, v150, -v15
	v_dual_add_f32 v5, v5, v23 :: v_dual_fmac_f32 v229, v215, v154
	v_pk_mul_f32 v[130:131], v[218:219], v[130:131] op_sel_hi:[1,0]
	v_pk_fma_f32 v[128:129], v[172:173], v[156:157], v[128:129] neg_lo:[0,0,1] neg_hi:[0,0,1]
	v_dual_fmac_f32 v27, v209, v148 :: v_dual_mov_b32 v129, v139
	v_pk_mul_f32 v[132:133], v[176:177], v[160:161] op_sel:[1,1] op_sel_hi:[0,1]
	s_delay_alu instid0(VALU_DEP_4) | instskip(SKIP_4) | instid1(VALU_DEP_4)
	v_pk_fma_f32 v[138:139], v[174:175], v[158:159], v[130:131] op_sel_hi:[1,0,1]
	v_add_f32_e32 v5, v5, v25
	v_pk_mul_f32 v[134:135], v[220:221], v[134:135] op_sel_hi:[1,0]
	v_pk_fma_f32 v[130:131], v[174:175], v[158:159], v[130:131] neg_lo:[0,0,1] neg_hi:[0,0,1]
	v_pk_fma_f32 v[142:143], v[176:177], v[160:161], v[132:133] op_sel_hi:[1,0,1]
	v_dual_mov_b32 v131, v139 :: v_dual_add_f32 v5, v5, v27
	s_delay_alu instid0(VALU_DEP_4)
	v_pk_fma_f32 v[138:139], v[178:179], v[162:163], v[134:135] op_sel_hi:[1,0,1]
	v_add_f32_e32 v9, v9, v13
	v_pk_fma_f32 v[132:133], v[176:177], v[160:161], v[132:133] neg_lo:[0,0,1] neg_hi:[0,0,1]
	v_pk_fma_f32 v[134:135], v[178:179], v[162:163], v[134:135] neg_lo:[0,0,1] neg_hi:[0,0,1]
	v_dual_fmac_f32 v227, v213, v152 :: v_dual_mov_b32 v133, v143
	v_dual_add_f32 v137, v5, v29 :: v_dual_mov_b32 v135, v139
	v_add_f32_e32 v136, v9, v11
	s_wait_loadcnt 0x2
	v_pk_mul_f32 v[140:141], v[180:181], v[164:165] op_sel:[1,1] op_sel_hi:[0,1]
	s_delay_alu instid0(VALU_DEP_2) | instskip(NEXT) | instid1(VALU_DEP_2)
	v_pk_add_f32 v[136:137], v[136:137], v[226:227]
	v_pk_fma_f32 v[138:139], v[180:181], v[164:165], v[140:141] neg_lo:[0,0,1] neg_hi:[0,0,1]
	s_delay_alu instid0(VALU_DEP_2) | instskip(NEXT) | instid1(VALU_DEP_1)
	v_pk_add_f32 v[136:137], v[136:137], v[228:229]
	v_pk_add_f32 v[128:129], v[136:137], v[128:129]
	v_mov_b32_e32 v136, v167
	s_delay_alu instid0(VALU_DEP_2) | instskip(SKIP_1) | instid1(VALU_DEP_3)
	v_pk_add_f32 v[128:129], v[128:129], v[130:131]
	v_pk_fma_f32 v[130:131], v[180:181], v[164:165], v[140:141] op_sel_hi:[1,0,1]
	v_pk_mul_f32 v[136:137], v[222:223], v[136:137] op_sel_hi:[1,0]
	s_delay_alu instid0(VALU_DEP_3) | instskip(NEXT) | instid1(VALU_DEP_3)
	v_pk_add_f32 v[128:129], v[128:129], v[132:133]
	v_mov_b32_e32 v139, v131
	s_delay_alu instid0(VALU_DEP_3)
	v_pk_fma_f32 v[130:131], v[182:183], v[166:167], v[136:137] op_sel_hi:[1,0,1]
	s_wait_loadcnt 0x1
	v_pk_mul_f32 v[132:133], v[184:185], v[168:169] op_sel:[1,1] op_sel_hi:[0,1]
	v_mov_b32_e32 v130, v171
	v_pk_add_f32 v[128:129], v[128:129], v[134:135]
	v_pk_fma_f32 v[136:137], v[182:183], v[166:167], v[136:137] neg_lo:[0,0,1] neg_hi:[0,0,1]
	v_mov_b32_e32 v137, v131
	v_pk_fma_f32 v[134:135], v[184:185], v[168:169], v[132:133] op_sel_hi:[1,0,1]
	v_pk_mul_f32 v[130:131], v[224:225], v[130:131] op_sel_hi:[1,0]
	v_pk_add_f32 v[128:129], v[128:129], v[138:139]
	v_pk_fma_f32 v[132:133], v[184:185], v[168:169], v[132:133] neg_lo:[0,0,1] neg_hi:[0,0,1]
	s_delay_alu instid0(VALU_DEP_4) | instskip(NEXT) | instid1(VALU_DEP_4)
	v_mov_b32_e32 v133, v135
	v_pk_fma_f32 v[134:135], v[186:187], v[170:171], v[130:131] op_sel_hi:[1,0,1]
	s_delay_alu instid0(VALU_DEP_4) | instskip(SKIP_1) | instid1(VALU_DEP_3)
	v_pk_add_f32 v[128:129], v[128:129], v[136:137]
	v_pk_fma_f32 v[130:131], v[186:187], v[170:171], v[130:131] neg_lo:[0,0,1] neg_hi:[0,0,1]
	v_mov_b32_e32 v131, v135
	s_delay_alu instid0(VALU_DEP_3) | instskip(NEXT) | instid1(VALU_DEP_1)
	v_pk_add_f32 v[128:129], v[128:129], v[132:133]
	v_pk_add_f32 v[128:129], v[128:129], v[130:131]
	s_wait_loadcnt 0x0
	s_delay_alu instid0(VALU_DEP_1)
	v_pk_add_f32 v[128:129], v[216:217], v[128:129] neg_lo:[0,1] neg_hi:[0,1]
	scratch_store_b64 off, v[128:129], off offset:320
	s_wait_xcnt 0x0
	v_cmpx_lt_u32_e32 39, v0
	s_cbranch_execz .LBB62_313
; %bb.312:
	scratch_load_b64 v[128:129], off, off offset:312
	v_mov_b64_e32 v[130:131], 0
	scratch_store_b64 off, v[130:131], off offset:312
	s_wait_loadcnt 0x0
	ds_store_b64 v1, v[128:129]
.LBB62_313:
	s_wait_xcnt 0x0
	s_or_b32 exec_lo, exec_lo, s0
	s_wait_storecnt_dscnt 0x0
	s_barrier_signal -1
	s_barrier_wait -1
	s_clause 0xc
	scratch_load_b128 v[128:131], off, off offset:320
	scratch_load_b128 v[132:135], off, off offset:336
	;; [unrolled: 1-line block ×11, first 2 shown]
	scratch_load_b64 v[216:217], off, off offset:496
	scratch_load_b64 v[218:219], off, off offset:312
	v_mov_b32_e32 v5, 0
	ds_load_b128 v[172:175], v5 offset:944
	ds_load_b128 v[176:179], v5 offset:960
	;; [unrolled: 1-line block ×11, first 2 shown]
	ds_load_b64 v[220:221], v5 offset:1008
	s_mov_b32 s0, exec_lo
	s_wait_dscnt 0xb
	v_dual_mov_b32 v222, v175 :: v_dual_mov_b32 v223, v174
	s_wait_dscnt 0x8
	v_dual_mov_b32 v224, v179 :: v_dual_mov_b32 v229, v186
	v_dual_mov_b32 v225, v178 :: v_dual_mov_b32 v226, v183
	;; [unrolled: 1-line block ×3, first 2 shown]
	s_wait_loadcnt_dscnt 0xc07
	v_dual_mul_f32 v9, v188, v129 :: v_dual_mul_f32 v35, v189, v129
	v_dual_mul_f32 v37, v191, v131 :: v_dual_mul_f32 v11, v190, v131
	s_wait_loadcnt_dscnt 0xb06
	v_mul_f32_e32 v13, v192, v133
	s_wait_loadcnt_dscnt 0x904
	v_dual_mul_f32 v47, v201, v141 :: v_dual_fma_f32 v35, v188, v128, -v35
	v_dual_fmac_f32 v9, v189, v128 :: v_dual_mul_f32 v49, v203, v143
	v_dual_mul_f32 v39, v193, v133 :: v_dual_mul_f32 v41, v195, v135
	v_dual_fmac_f32 v11, v191, v130 :: v_dual_fma_f32 v37, v190, v130, -v37
	s_delay_alu instid0(VALU_DEP_3) | instskip(SKIP_4) | instid1(VALU_DEP_3)
	v_dual_add_f32 v9, 0, v9 :: v_dual_add_f32 v35, 0, v35
	v_dual_mul_f32 v15, v194, v135 :: v_dual_mul_f32 v17, v196, v137
	s_wait_loadcnt_dscnt 0x803
	v_dual_mul_f32 v51, v205, v145 :: v_dual_fma_f32 v39, v192, v132, -v39
	v_fmac_f32_e32 v13, v193, v132
	v_dual_add_f32 v9, v9, v11 :: v_dual_fmac_f32 v15, v195, v134
	v_add_f32_e32 v11, v35, v37
	v_dual_mul_f32 v43, v197, v137 :: v_dual_mul_f32 v45, v199, v139
	v_dual_mul_f32 v35, v207, v147 :: v_dual_fma_f32 v37, v194, v134, -v41
	s_delay_alu instid0(VALU_DEP_3) | instskip(SKIP_3) | instid1(VALU_DEP_3)
	v_dual_add_f32 v9, v9, v13 :: v_dual_add_f32 v11, v11, v39
	v_dual_mul_f32 v19, v198, v139 :: v_dual_mul_f32 v21, v200, v141
	s_wait_loadcnt_dscnt 0x701
	v_dual_mul_f32 v13, v213, v149 :: v_dual_fma_f32 v39, v196, v136, -v43
	v_dual_fmac_f32 v17, v197, v136 :: v_dual_add_f32 v11, v11, v37
	s_delay_alu instid0(VALU_DEP_3) | instskip(SKIP_1) | instid1(VALU_DEP_2)
	v_dual_add_f32 v9, v9, v15 :: v_dual_fmac_f32 v19, v199, v138
	v_dual_mul_f32 v15, v215, v151 :: v_dual_fma_f32 v37, v198, v138, -v45
	v_dual_add_f32 v11, v11, v39 :: v_dual_add_f32 v9, v9, v17
	v_dual_mul_f32 v23, v202, v143 :: v_dual_mul_f32 v25, v204, v145
	s_wait_loadcnt 0x6
	v_dual_mul_f32 v17, v209, v153 :: v_dual_fma_f32 v39, v200, v140, -v47
	s_delay_alu instid0(VALU_DEP_3) | instskip(NEXT) | instid1(VALU_DEP_3)
	v_dual_fmac_f32 v21, v201, v140 :: v_dual_add_f32 v11, v11, v37
	v_dual_add_f32 v9, v9, v19 :: v_dual_fmac_f32 v23, v203, v142
	v_dual_mul_f32 v19, v211, v155 :: v_dual_fma_f32 v37, v202, v142, -v49
	s_delay_alu instid0(VALU_DEP_2) | instskip(SKIP_3) | instid1(VALU_DEP_3)
	v_dual_add_f32 v11, v11, v39 :: v_dual_add_f32 v9, v9, v21
	v_dual_mul_f32 v27, v206, v147 :: v_dual_mul_f32 v29, v212, v149
	s_wait_loadcnt 0x5
	v_dual_mul_f32 v21, v173, v157 :: v_dual_fma_f32 v39, v204, v144, -v51
	v_dual_fmac_f32 v25, v205, v144 :: v_dual_add_f32 v11, v11, v37
	v_dual_add_f32 v9, v9, v23 :: v_dual_mov_b32 v128, v159
	v_fmac_f32_e32 v27, v207, v146
	s_delay_alu instid0(VALU_DEP_3) | instskip(NEXT) | instid1(VALU_DEP_3)
	v_dual_fma_f32 v23, v206, v146, -v35 :: v_dual_add_f32 v11, v11, v39
	v_dual_add_f32 v9, v9, v25 :: v_dual_mul_f32 v31, v214, v151
	v_dual_mul_f32 v33, v208, v153 :: v_dual_fmac_f32 v29, v213, v148
	s_delay_alu instid0(VALU_DEP_3) | instskip(SKIP_1) | instid1(VALU_DEP_3)
	v_dual_add_f32 v11, v11, v23 :: v_dual_fma_f32 v13, v212, v148, -v13
	s_wait_loadcnt 0x4
	v_dual_add_f32 v9, v9, v27 :: v_dual_mov_b32 v132, v163
	v_fma_f32 v15, v214, v150, -v15
	v_fmac_f32_e32 v31, v215, v150
	v_dual_add_f32 v11, v11, v13 :: v_dual_fmac_f32 v33, v209, v152
	s_delay_alu instid0(VALU_DEP_4) | instskip(SKIP_1) | instid1(VALU_DEP_3)
	v_dual_add_f32 v9, v9, v29 :: v_dual_mul_f32 v231, v210, v155
	v_mul_f32_e32 v233, v172, v157
	v_dual_fma_f32 v13, v208, v152, -v17 :: v_dual_add_f32 v11, v11, v15
	s_delay_alu instid0(VALU_DEP_3) | instskip(NEXT) | instid1(VALU_DEP_4)
	v_dual_fma_f32 v230, v210, v154, -v19 :: v_dual_add_f32 v9, v9, v31
	v_fmac_f32_e32 v231, v211, v154
	v_pk_mul_f32 v[128:129], v[222:223], v[128:129] op_sel_hi:[1,0]
	s_delay_alu instid0(VALU_DEP_4) | instskip(NEXT) | instid1(VALU_DEP_4)
	v_dual_add_f32 v136, v11, v13 :: v_dual_fmac_f32 v233, v173, v156
	v_add_f32_e32 v137, v9, v33
	v_pk_mul_f32 v[130:131], v[176:177], v[160:161] op_sel:[1,1] op_sel_hi:[0,1]
	s_wait_loadcnt 0x3
	v_dual_mov_b32 v138, v167 :: v_dual_fma_f32 v232, v172, v156, -v21
	v_pk_fma_f32 v[140:141], v[174:175], v[158:159], v[128:129] op_sel_hi:[1,0,1]
	v_pk_add_f32 v[136:137], v[136:137], v[230:231]
	v_pk_fma_f32 v[128:129], v[174:175], v[158:159], v[128:129] neg_lo:[0,0,1] neg_hi:[0,0,1]
	v_pk_fma_f32 v[142:143], v[176:177], v[160:161], v[130:131] op_sel_hi:[1,0,1]
	v_pk_mul_f32 v[132:133], v[224:225], v[132:133] op_sel_hi:[1,0]
	v_mov_b32_e32 v129, v141
	v_pk_add_f32 v[136:137], v[136:137], v[232:233]
	v_pk_fma_f32 v[130:131], v[176:177], v[160:161], v[130:131] neg_lo:[0,0,1] neg_hi:[0,0,1]
	v_pk_mul_f32 v[134:135], v[180:181], v[164:165] op_sel:[1,1] op_sel_hi:[0,1]
	v_mov_b32_e32 v131, v143
	v_pk_fma_f32 v[142:143], v[178:179], v[162:163], v[132:133] op_sel_hi:[1,0,1]
	v_pk_add_f32 v[128:129], v[136:137], v[128:129]
	v_pk_fma_f32 v[132:133], v[178:179], v[162:163], v[132:133] neg_lo:[0,0,1] neg_hi:[0,0,1]
	v_pk_fma_f32 v[136:137], v[180:181], v[164:165], v[134:135] op_sel_hi:[1,0,1]
	v_pk_mul_f32 v[138:139], v[226:227], v[138:139] op_sel_hi:[1,0]
	v_mov_b32_e32 v133, v143
	v_pk_add_f32 v[128:129], v[128:129], v[130:131]
	v_pk_fma_f32 v[134:135], v[180:181], v[164:165], v[134:135] neg_lo:[0,0,1] neg_hi:[0,0,1]
	s_wait_loadcnt 0x2
	v_pk_mul_f32 v[140:141], v[184:185], v[168:169] op_sel:[1,1] op_sel_hi:[0,1]
	v_dual_mov_b32 v130, v171 :: v_dual_mov_b32 v135, v137
	v_pk_fma_f32 v[136:137], v[182:183], v[166:167], v[138:139] op_sel_hi:[1,0,1]
	v_pk_add_f32 v[128:129], v[128:129], v[132:133]
	v_pk_fma_f32 v[138:139], v[182:183], v[166:167], v[138:139] neg_lo:[0,0,1] neg_hi:[0,0,1]
	v_pk_fma_f32 v[132:133], v[184:185], v[168:169], v[140:141] op_sel_hi:[1,0,1]
	v_pk_mul_f32 v[130:131], v[228:229], v[130:131] op_sel_hi:[1,0]
	v_mov_b32_e32 v139, v137
	v_pk_add_f32 v[128:129], v[128:129], v[134:135]
	v_pk_fma_f32 v[134:135], v[184:185], v[168:169], v[140:141] neg_lo:[0,0,1] neg_hi:[0,0,1]
	v_mov_b32_e32 v135, v133
	v_pk_fma_f32 v[132:133], v[186:187], v[170:171], v[130:131] op_sel_hi:[1,0,1]
	s_wait_loadcnt_dscnt 0x100
	v_pk_mul_f32 v[136:137], v[220:221], v[216:217] op_sel:[1,1] op_sel_hi:[0,1]
	v_pk_add_f32 v[128:129], v[128:129], v[138:139]
	v_pk_fma_f32 v[130:131], v[186:187], v[170:171], v[130:131] neg_lo:[0,0,1] neg_hi:[0,0,1]
	v_mov_b32_e32 v131, v133
	s_delay_alu instid0(VALU_DEP_4) | instskip(NEXT) | instid1(VALU_DEP_4)
	v_pk_fma_f32 v[132:133], v[220:221], v[216:217], v[136:137] op_sel_hi:[1,0,1]
	v_pk_add_f32 v[128:129], v[128:129], v[134:135]
	v_pk_fma_f32 v[134:135], v[220:221], v[216:217], v[136:137] neg_lo:[0,0,1] neg_hi:[0,0,1]
	s_delay_alu instid0(VALU_DEP_3) | instskip(NEXT) | instid1(VALU_DEP_3)
	v_mov_b32_e32 v135, v133
	v_pk_add_f32 v[128:129], v[128:129], v[130:131]
	s_delay_alu instid0(VALU_DEP_1) | instskip(SKIP_1) | instid1(VALU_DEP_1)
	v_pk_add_f32 v[128:129], v[128:129], v[134:135]
	s_wait_loadcnt 0x0
	v_pk_add_f32 v[128:129], v[218:219], v[128:129] neg_lo:[0,1] neg_hi:[0,1]
	scratch_store_b64 off, v[128:129], off offset:312
	s_wait_xcnt 0x0
	v_cmpx_lt_u32_e32 38, v0
	s_cbranch_execz .LBB62_315
; %bb.314:
	scratch_load_b64 v[128:129], off, off offset:304
	v_mov_b64_e32 v[130:131], 0
	scratch_store_b64 off, v[130:131], off offset:304
	s_wait_loadcnt 0x0
	ds_store_b64 v1, v[128:129]
.LBB62_315:
	s_wait_xcnt 0x0
	s_or_b32 exec_lo, exec_lo, s0
	s_wait_storecnt_dscnt 0x0
	s_barrier_signal -1
	s_barrier_wait -1
	s_clause 0xc
	scratch_load_b128 v[128:131], off, off offset:312
	scratch_load_b128 v[132:135], off, off offset:328
	;; [unrolled: 1-line block ×12, first 2 shown]
	scratch_load_b64 v[224:225], off, off offset:304
	ds_load_2addr_b64 v[176:179], v5 offset0:119 offset1:120
	ds_load_2addr_b64 v[180:183], v5 offset0:121 offset1:122
	;; [unrolled: 1-line block ×12, first 2 shown]
	s_mov_b32 s0, exec_lo
	s_wait_dscnt 0xb
	v_dual_mov_b32 v226, v179 :: v_dual_mov_b32 v227, v178
	s_wait_dscnt 0xa
	v_dual_mov_b32 v228, v183 :: v_dual_mov_b32 v229, v182
	;; [unrolled: 2-line block ×4, first 2 shown]
	s_wait_loadcnt_dscnt 0xc07
	v_dual_mul_f32 v5, v192, v129 :: v_dual_mul_f32 v9, v194, v131
	v_dual_mul_f32 v35, v193, v129 :: v_dual_mul_f32 v37, v195, v131
	s_wait_loadcnt_dscnt 0xb06
	v_dual_mul_f32 v11, v196, v133 :: v_dual_mul_f32 v13, v198, v135
	s_delay_alu instid0(VALU_DEP_2) | instskip(SKIP_3) | instid1(VALU_DEP_3)
	v_dual_fmac_f32 v5, v193, v128 :: v_dual_fma_f32 v35, v192, v128, -v35
	v_dual_mul_f32 v39, v197, v133 :: v_dual_mul_f32 v41, v199, v135
	s_wait_loadcnt_dscnt 0x904
	v_dual_mul_f32 v47, v205, v141 :: v_dual_fmac_f32 v9, v195, v130
	v_dual_fma_f32 v37, v194, v130, -v37 :: v_dual_add_f32 v5, 0, v5
	v_dual_add_f32 v35, 0, v35 :: v_dual_fmac_f32 v11, v197, v132
	v_dual_mul_f32 v49, v207, v143 :: v_dual_fma_f32 v39, v196, v132, -v39
	s_delay_alu instid0(VALU_DEP_3) | instskip(NEXT) | instid1(VALU_DEP_3)
	v_dual_add_f32 v5, v5, v9 :: v_dual_fmac_f32 v13, v199, v134
	v_dual_add_f32 v9, v35, v37 :: v_dual_fma_f32 v37, v198, v134, -v41
	v_dual_mul_f32 v15, v200, v137 :: v_dual_mul_f32 v17, v202, v139
	v_dual_mul_f32 v43, v201, v137 :: v_dual_mul_f32 v45, v203, v139
	s_delay_alu instid0(VALU_DEP_3) | instskip(NEXT) | instid1(VALU_DEP_3)
	v_add_f32_e32 v9, v9, v39
	v_dual_add_f32 v5, v5, v11 :: v_dual_fmac_f32 v17, v203, v138
	s_wait_loadcnt_dscnt 0x803
	s_delay_alu instid0(VALU_DEP_3) | instskip(NEXT) | instid1(VALU_DEP_3)
	v_dual_fma_f32 v39, v200, v136, -v43 :: v_dual_mul_f32 v35, v209, v145
	v_dual_mul_f32 v11, v211, v147 :: v_dual_add_f32 v9, v9, v37
	v_dual_fmac_f32 v15, v201, v136 :: v_dual_fma_f32 v37, v202, v138, -v45
	v_add_f32_e32 v5, v5, v13
	v_dual_mul_f32 v19, v204, v141 :: v_dual_mul_f32 v21, v206, v143
	s_delay_alu instid0(VALU_DEP_4) | instskip(NEXT) | instid1(VALU_DEP_3)
	v_dual_add_f32 v9, v9, v39 :: v_dual_fma_f32 v35, v208, v144, -v35
	v_dual_add_f32 v5, v5, v15 :: v_dual_fma_f32 v39, v204, v140, -v47
	v_dual_mul_f32 v23, v208, v145 :: v_dual_mul_f32 v25, v210, v147
	s_delay_alu instid0(VALU_DEP_3) | instskip(SKIP_2) | instid1(VALU_DEP_3)
	v_dual_add_f32 v9, v9, v37 :: v_dual_fma_f32 v11, v210, v146, -v11
	s_wait_loadcnt_dscnt 0x702
	v_dual_mul_f32 v27, v212, v149 :: v_dual_mul_f32 v29, v214, v151
	v_dual_fmac_f32 v19, v205, v140 :: v_dual_fmac_f32 v25, v211, v146
	v_dual_fma_f32 v37, v206, v142, -v49 :: v_dual_add_f32 v5, v5, v17
	s_delay_alu instid0(VALU_DEP_3)
	v_dual_add_f32 v9, v9, v39 :: v_dual_fmac_f32 v29, v215, v150
	v_dual_mul_f32 v13, v213, v149 :: v_dual_fmac_f32 v21, v207, v142
	s_wait_loadcnt_dscnt 0x601
	v_mul_f32_e32 v17, v217, v153
	v_add_f32_e32 v5, v5, v19
	v_dual_add_f32 v9, v9, v37 :: v_dual_mul_f32 v15, v215, v151
	s_wait_loadcnt 0x4
	v_dual_fmac_f32 v23, v209, v144 :: v_dual_mov_b32 v130, v163
	s_delay_alu instid0(VALU_DEP_3) | instskip(SKIP_4) | instid1(VALU_DEP_3)
	v_dual_fma_f32 v13, v212, v148, -v13 :: v_dual_add_f32 v5, v5, v21
	s_wait_loadcnt 0x3
	v_dual_add_f32 v9, v9, v35 :: v_dual_mov_b32 v134, v167
	v_dual_mul_f32 v19, v219, v155 :: v_dual_mul_f32 v31, v216, v153
	v_mul_f32_e32 v33, v218, v155
	v_dual_add_f32 v9, v9, v11 :: v_dual_fma_f32 v11, v214, v150, -v15
	v_add_f32_e32 v5, v5, v23
	s_wait_dscnt 0x0
	v_mul_f32_e32 v23, v223, v159
	v_pk_mul_f32 v[128:129], v[176:177], v[160:161] op_sel:[1,1] op_sel_hi:[0,1]
	v_dual_mul_f32 v235, v220, v157 :: v_dual_mul_f32 v237, v222, v159
	v_dual_mul_f32 v21, v221, v157 :: v_dual_fmac_f32 v33, v219, v154
	s_delay_alu instid0(VALU_DEP_4) | instskip(NEXT) | instid1(VALU_DEP_3)
	v_dual_fma_f32 v236, v222, v158, -v23 :: v_dual_add_f32 v9, v9, v13
	v_dual_fmac_f32 v27, v213, v148 :: v_dual_fmac_f32 v237, v223, v158
	v_pk_fma_f32 v[138:139], v[176:177], v[160:161], v[128:129] op_sel_hi:[1,0,1]
	v_pk_mul_f32 v[130:131], v[226:227], v[130:131] op_sel_hi:[1,0]
	s_delay_alu instid0(VALU_DEP_4) | instskip(SKIP_3) | instid1(VALU_DEP_3)
	v_dual_add_f32 v9, v9, v11 :: v_dual_fma_f32 v11, v218, v154, -v19
	v_dual_add_f32 v5, v5, v25 :: v_dual_fma_f32 v234, v220, v156, -v21
	v_pk_fma_f32 v[128:129], v[176:177], v[160:161], v[128:129] neg_lo:[0,0,1] neg_hi:[0,0,1]
	v_pk_mul_f32 v[132:133], v[180:181], v[164:165] op_sel:[1,1] op_sel_hi:[0,1]
	v_dual_mov_b32 v129, v139 :: v_dual_add_f32 v5, v5, v27
	v_pk_fma_f32 v[138:139], v[178:179], v[162:163], v[130:131] op_sel_hi:[1,0,1]
	v_pk_mul_f32 v[134:135], v[228:229], v[134:135] op_sel_hi:[1,0]
	v_pk_fma_f32 v[130:131], v[178:179], v[162:163], v[130:131] neg_lo:[0,0,1] neg_hi:[0,0,1]
	v_dual_fmac_f32 v31, v217, v152 :: v_dual_fma_f32 v13, v216, v152, -v17
	v_pk_fma_f32 v[142:143], v[180:181], v[164:165], v[132:133] op_sel_hi:[1,0,1]
	v_dual_add_f32 v5, v5, v29 :: v_dual_mov_b32 v131, v139
	v_pk_fma_f32 v[138:139], v[182:183], v[166:167], v[134:135] op_sel_hi:[1,0,1]
	v_pk_fma_f32 v[132:133], v[180:181], v[164:165], v[132:133] neg_lo:[0,0,1] neg_hi:[0,0,1]
	v_pk_fma_f32 v[134:135], v[182:183], v[166:167], v[134:135] neg_lo:[0,0,1] neg_hi:[0,0,1]
	s_delay_alu instid0(VALU_DEP_4) | instskip(NEXT) | instid1(VALU_DEP_4)
	v_dual_mov_b32 v133, v143 :: v_dual_add_f32 v5, v5, v31
	v_dual_mov_b32 v135, v139 :: v_dual_add_f32 v9, v9, v13
	v_fmac_f32_e32 v235, v221, v156
	s_wait_loadcnt 0x2
	v_pk_mul_f32 v[140:141], v[184:185], v[168:169] op_sel:[1,1] op_sel_hi:[0,1]
	v_add_f32_e32 v137, v5, v33
	v_add_f32_e32 v136, v9, v11
	s_delay_alu instid0(VALU_DEP_3) | instskip(NEXT) | instid1(VALU_DEP_2)
	v_pk_fma_f32 v[138:139], v[184:185], v[168:169], v[140:141] neg_lo:[0,0,1] neg_hi:[0,0,1]
	v_pk_add_f32 v[136:137], v[136:137], v[234:235]
	s_delay_alu instid0(VALU_DEP_1) | instskip(NEXT) | instid1(VALU_DEP_1)
	v_pk_add_f32 v[136:137], v[136:137], v[236:237]
	v_pk_add_f32 v[128:129], v[136:137], v[128:129]
	v_mov_b32_e32 v136, v171
	s_delay_alu instid0(VALU_DEP_2) | instskip(SKIP_1) | instid1(VALU_DEP_3)
	v_pk_add_f32 v[128:129], v[128:129], v[130:131]
	v_pk_fma_f32 v[130:131], v[184:185], v[168:169], v[140:141] op_sel_hi:[1,0,1]
	v_pk_mul_f32 v[136:137], v[230:231], v[136:137] op_sel_hi:[1,0]
	s_delay_alu instid0(VALU_DEP_3) | instskip(NEXT) | instid1(VALU_DEP_3)
	v_pk_add_f32 v[128:129], v[128:129], v[132:133]
	v_mov_b32_e32 v139, v131
	s_delay_alu instid0(VALU_DEP_3)
	v_pk_fma_f32 v[130:131], v[186:187], v[170:171], v[136:137] op_sel_hi:[1,0,1]
	s_wait_loadcnt 0x1
	v_pk_mul_f32 v[132:133], v[188:189], v[172:173] op_sel:[1,1] op_sel_hi:[0,1]
	v_mov_b32_e32 v130, v175
	v_pk_add_f32 v[128:129], v[128:129], v[134:135]
	v_pk_fma_f32 v[136:137], v[186:187], v[170:171], v[136:137] neg_lo:[0,0,1] neg_hi:[0,0,1]
	v_mov_b32_e32 v137, v131
	v_pk_fma_f32 v[134:135], v[188:189], v[172:173], v[132:133] op_sel_hi:[1,0,1]
	v_pk_mul_f32 v[130:131], v[232:233], v[130:131] op_sel_hi:[1,0]
	v_pk_add_f32 v[128:129], v[128:129], v[138:139]
	v_pk_fma_f32 v[132:133], v[188:189], v[172:173], v[132:133] neg_lo:[0,0,1] neg_hi:[0,0,1]
	s_delay_alu instid0(VALU_DEP_4) | instskip(NEXT) | instid1(VALU_DEP_4)
	v_mov_b32_e32 v133, v135
	v_pk_fma_f32 v[134:135], v[190:191], v[174:175], v[130:131] op_sel_hi:[1,0,1]
	s_delay_alu instid0(VALU_DEP_4) | instskip(SKIP_1) | instid1(VALU_DEP_3)
	v_pk_add_f32 v[128:129], v[128:129], v[136:137]
	v_pk_fma_f32 v[130:131], v[190:191], v[174:175], v[130:131] neg_lo:[0,0,1] neg_hi:[0,0,1]
	v_mov_b32_e32 v131, v135
	s_delay_alu instid0(VALU_DEP_3) | instskip(NEXT) | instid1(VALU_DEP_1)
	v_pk_add_f32 v[128:129], v[128:129], v[132:133]
	v_pk_add_f32 v[128:129], v[128:129], v[130:131]
	s_wait_loadcnt 0x0
	s_delay_alu instid0(VALU_DEP_1)
	v_pk_add_f32 v[128:129], v[224:225], v[128:129] neg_lo:[0,1] neg_hi:[0,1]
	scratch_store_b64 off, v[128:129], off offset:304
	s_wait_xcnt 0x0
	v_cmpx_lt_u32_e32 37, v0
	s_cbranch_execz .LBB62_317
; %bb.316:
	scratch_load_b64 v[128:129], off, off offset:296
	v_mov_b64_e32 v[130:131], 0
	scratch_store_b64 off, v[130:131], off offset:296
	s_wait_loadcnt 0x0
	ds_store_b64 v1, v[128:129]
.LBB62_317:
	s_wait_xcnt 0x0
	s_or_b32 exec_lo, exec_lo, s0
	s_wait_storecnt_dscnt 0x0
	s_barrier_signal -1
	s_barrier_wait -1
	s_clause 0xd
	scratch_load_b128 v[128:131], off, off offset:304
	scratch_load_b128 v[132:135], off, off offset:320
	scratch_load_b128 v[136:139], off, off offset:336
	scratch_load_b128 v[140:143], off, off offset:352
	scratch_load_b128 v[144:147], off, off offset:368
	scratch_load_b128 v[148:151], off, off offset:384
	scratch_load_b128 v[152:155], off, off offset:400
	scratch_load_b128 v[156:159], off, off offset:416
	scratch_load_b128 v[160:163], off, off offset:432
	scratch_load_b128 v[164:167], off, off offset:448
	scratch_load_b128 v[168:171], off, off offset:464
	scratch_load_b128 v[172:175], off, off offset:480
	scratch_load_b64 v[224:225], off, off offset:496
	scratch_load_b64 v[226:227], off, off offset:296
	v_mov_b32_e32 v5, 0
	ds_load_b128 v[176:179], v5 offset:944
	ds_load_b128 v[180:183], v5 offset:960
	;; [unrolled: 1-line block ×12, first 2 shown]
	ds_load_b64 v[228:229], v5 offset:1008
	s_mov_b32 s0, exec_lo
	s_wait_dscnt 0xc
	v_dual_mov_b32 v230, v179 :: v_dual_mov_b32 v231, v178
	s_wait_dscnt 0x9
	v_dual_mov_b32 v232, v183 :: v_dual_mov_b32 v237, v190
	v_dual_mov_b32 v233, v182 :: v_dual_mov_b32 v234, v187
	;; [unrolled: 1-line block ×3, first 2 shown]
	s_wait_loadcnt_dscnt 0xd08
	v_dual_mul_f32 v9, v192, v129 :: v_dual_mul_f32 v39, v193, v129
	v_dual_mul_f32 v41, v195, v131 :: v_dual_mul_f32 v11, v194, v131
	s_wait_loadcnt_dscnt 0xc07
	v_mul_f32_e32 v13, v196, v133
	s_wait_loadcnt_dscnt 0xa05
	v_dual_mul_f32 v51, v205, v141 :: v_dual_fma_f32 v39, v192, v128, -v39
	v_dual_fmac_f32 v9, v193, v128 :: v_dual_mul_f32 v53, v207, v143
	v_dual_mul_f32 v43, v197, v133 :: v_dual_mul_f32 v45, v199, v135
	v_dual_fmac_f32 v11, v195, v130 :: v_dual_fma_f32 v41, v194, v130, -v41
	s_delay_alu instid0(VALU_DEP_3) | instskip(SKIP_4) | instid1(VALU_DEP_3)
	v_dual_add_f32 v9, 0, v9 :: v_dual_add_f32 v39, 0, v39
	v_dual_mul_f32 v15, v198, v135 :: v_dual_mul_f32 v17, v200, v137
	s_wait_loadcnt_dscnt 0x904
	v_dual_mul_f32 v55, v209, v145 :: v_dual_fma_f32 v43, v196, v132, -v43
	v_fmac_f32_e32 v13, v197, v132
	v_dual_add_f32 v9, v9, v11 :: v_dual_fmac_f32 v15, v199, v134
	v_add_f32_e32 v11, v39, v41
	v_dual_mul_f32 v47, v201, v137 :: v_dual_mul_f32 v49, v203, v139
	v_dual_mul_f32 v39, v211, v147 :: v_dual_fma_f32 v41, v198, v134, -v45
	s_delay_alu instid0(VALU_DEP_3) | instskip(SKIP_3) | instid1(VALU_DEP_3)
	v_dual_add_f32 v9, v9, v13 :: v_dual_add_f32 v11, v11, v43
	v_dual_mul_f32 v19, v202, v139 :: v_dual_mul_f32 v21, v204, v141
	s_wait_loadcnt_dscnt 0x803
	v_dual_mul_f32 v13, v213, v149 :: v_dual_fma_f32 v43, v200, v136, -v47
	v_dual_fmac_f32 v17, v201, v136 :: v_dual_add_f32 v11, v11, v41
	s_delay_alu instid0(VALU_DEP_3) | instskip(SKIP_1) | instid1(VALU_DEP_2)
	v_dual_add_f32 v9, v9, v15 :: v_dual_fmac_f32 v19, v203, v138
	v_dual_mul_f32 v15, v215, v151 :: v_dual_fma_f32 v41, v202, v138, -v49
	v_dual_add_f32 v11, v11, v43 :: v_dual_add_f32 v9, v9, v17
	v_dual_mul_f32 v23, v206, v143 :: v_dual_mul_f32 v25, v208, v145
	s_wait_loadcnt_dscnt 0x702
	v_dual_mul_f32 v17, v217, v153 :: v_dual_fma_f32 v43, v204, v140, -v51
	s_delay_alu instid0(VALU_DEP_3) | instskip(NEXT) | instid1(VALU_DEP_3)
	v_dual_fmac_f32 v21, v205, v140 :: v_dual_add_f32 v11, v11, v41
	v_dual_add_f32 v9, v9, v19 :: v_dual_fmac_f32 v23, v207, v142
	v_dual_mul_f32 v19, v219, v155 :: v_dual_fma_f32 v41, v206, v142, -v53
	s_delay_alu instid0(VALU_DEP_2) | instskip(SKIP_3) | instid1(VALU_DEP_3)
	v_dual_add_f32 v11, v11, v43 :: v_dual_add_f32 v9, v9, v21
	v_dual_mul_f32 v27, v210, v147 :: v_dual_mul_f32 v29, v212, v149
	s_wait_loadcnt_dscnt 0x601
	v_dual_mul_f32 v21, v221, v157 :: v_dual_fma_f32 v43, v208, v144, -v55
	v_dual_fmac_f32 v25, v209, v144 :: v_dual_add_f32 v11, v11, v41
	s_delay_alu instid0(VALU_DEP_3) | instskip(SKIP_1) | instid1(VALU_DEP_2)
	v_dual_add_f32 v9, v9, v23 :: v_dual_fmac_f32 v27, v211, v146
	v_dual_mul_f32 v23, v223, v159 :: v_dual_fma_f32 v39, v210, v146, -v39
	v_dual_add_f32 v11, v11, v43 :: v_dual_add_f32 v9, v9, v25
	v_dual_mul_f32 v31, v214, v151 :: v_dual_mul_f32 v33, v216, v153
	s_wait_loadcnt 0x5
	v_dual_mul_f32 v25, v177, v161 :: v_dual_fma_f32 v13, v212, v148, -v13
	s_delay_alu instid0(VALU_DEP_3) | instskip(SKIP_2) | instid1(VALU_DEP_3)
	v_dual_fmac_f32 v29, v213, v148 :: v_dual_add_f32 v11, v11, v39
	v_dual_add_f32 v9, v9, v27 :: v_dual_mov_b32 v128, v163
	v_fmac_f32_e32 v31, v215, v150
	v_dual_fma_f32 v15, v214, v150, -v15 :: v_dual_add_f32 v11, v11, v13
	s_delay_alu instid0(VALU_DEP_3) | instskip(SKIP_1) | instid1(VALU_DEP_3)
	v_dual_add_f32 v9, v9, v29 :: v_dual_mul_f32 v35, v218, v155
	v_dual_mul_f32 v37, v220, v157 :: v_dual_fmac_f32 v33, v217, v152
	v_dual_add_f32 v11, v11, v15 :: v_dual_fma_f32 v13, v216, v152, -v17
	s_wait_loadcnt 0x4
	s_delay_alu instid0(VALU_DEP_3) | instskip(SKIP_3) | instid1(VALU_DEP_4)
	v_dual_add_f32 v9, v9, v31 :: v_dual_mov_b32 v132, v167
	v_fma_f32 v15, v218, v154, -v19
	v_fmac_f32_e32 v35, v219, v154
	v_dual_add_f32 v11, v11, v13 :: v_dual_fmac_f32 v37, v221, v156
	v_dual_add_f32 v9, v9, v33 :: v_dual_mul_f32 v239, v222, v159
	v_mul_f32_e32 v241, v176, v161
	s_delay_alu instid0(VALU_DEP_3) | instskip(NEXT) | instid1(VALU_DEP_3)
	v_dual_fma_f32 v13, v220, v156, -v21 :: v_dual_add_f32 v11, v11, v15
	v_dual_fma_f32 v238, v222, v158, -v23 :: v_dual_add_f32 v9, v9, v35
	s_delay_alu instid0(VALU_DEP_4) | instskip(SKIP_1) | instid1(VALU_DEP_4)
	v_fmac_f32_e32 v239, v223, v158
	v_pk_mul_f32 v[128:129], v[230:231], v[128:129] op_sel_hi:[1,0]
	v_dual_add_f32 v136, v11, v13 :: v_dual_fmac_f32 v241, v177, v160
	s_delay_alu instid0(VALU_DEP_4)
	v_add_f32_e32 v137, v9, v37
	v_pk_mul_f32 v[130:131], v[180:181], v[164:165] op_sel:[1,1] op_sel_hi:[0,1]
	s_wait_loadcnt 0x3
	v_dual_mov_b32 v138, v171 :: v_dual_fma_f32 v240, v176, v160, -v25
	v_pk_fma_f32 v[140:141], v[178:179], v[162:163], v[128:129] op_sel_hi:[1,0,1]
	v_pk_add_f32 v[136:137], v[136:137], v[238:239]
	v_pk_fma_f32 v[128:129], v[178:179], v[162:163], v[128:129] neg_lo:[0,0,1] neg_hi:[0,0,1]
	v_pk_fma_f32 v[142:143], v[180:181], v[164:165], v[130:131] op_sel_hi:[1,0,1]
	v_pk_mul_f32 v[132:133], v[232:233], v[132:133] op_sel_hi:[1,0]
	v_mov_b32_e32 v129, v141
	v_pk_add_f32 v[136:137], v[136:137], v[240:241]
	v_pk_fma_f32 v[130:131], v[180:181], v[164:165], v[130:131] neg_lo:[0,0,1] neg_hi:[0,0,1]
	v_pk_mul_f32 v[134:135], v[184:185], v[168:169] op_sel:[1,1] op_sel_hi:[0,1]
	v_mov_b32_e32 v131, v143
	v_pk_fma_f32 v[142:143], v[182:183], v[166:167], v[132:133] op_sel_hi:[1,0,1]
	v_pk_add_f32 v[128:129], v[136:137], v[128:129]
	v_pk_fma_f32 v[132:133], v[182:183], v[166:167], v[132:133] neg_lo:[0,0,1] neg_hi:[0,0,1]
	v_pk_fma_f32 v[136:137], v[184:185], v[168:169], v[134:135] op_sel_hi:[1,0,1]
	v_pk_mul_f32 v[138:139], v[234:235], v[138:139] op_sel_hi:[1,0]
	v_mov_b32_e32 v133, v143
	v_pk_add_f32 v[128:129], v[128:129], v[130:131]
	v_pk_fma_f32 v[134:135], v[184:185], v[168:169], v[134:135] neg_lo:[0,0,1] neg_hi:[0,0,1]
	s_wait_loadcnt 0x2
	v_pk_mul_f32 v[140:141], v[188:189], v[172:173] op_sel:[1,1] op_sel_hi:[0,1]
	v_dual_mov_b32 v130, v175 :: v_dual_mov_b32 v135, v137
	v_pk_fma_f32 v[136:137], v[186:187], v[170:171], v[138:139] op_sel_hi:[1,0,1]
	v_pk_add_f32 v[128:129], v[128:129], v[132:133]
	v_pk_fma_f32 v[138:139], v[186:187], v[170:171], v[138:139] neg_lo:[0,0,1] neg_hi:[0,0,1]
	v_pk_fma_f32 v[132:133], v[188:189], v[172:173], v[140:141] op_sel_hi:[1,0,1]
	v_pk_mul_f32 v[130:131], v[236:237], v[130:131] op_sel_hi:[1,0]
	v_mov_b32_e32 v139, v137
	v_pk_add_f32 v[128:129], v[128:129], v[134:135]
	v_pk_fma_f32 v[134:135], v[188:189], v[172:173], v[140:141] neg_lo:[0,0,1] neg_hi:[0,0,1]
	v_mov_b32_e32 v135, v133
	v_pk_fma_f32 v[132:133], v[190:191], v[174:175], v[130:131] op_sel_hi:[1,0,1]
	s_wait_loadcnt_dscnt 0x100
	v_pk_mul_f32 v[136:137], v[228:229], v[224:225] op_sel:[1,1] op_sel_hi:[0,1]
	v_pk_add_f32 v[128:129], v[128:129], v[138:139]
	v_pk_fma_f32 v[130:131], v[190:191], v[174:175], v[130:131] neg_lo:[0,0,1] neg_hi:[0,0,1]
	v_mov_b32_e32 v131, v133
	s_delay_alu instid0(VALU_DEP_4) | instskip(NEXT) | instid1(VALU_DEP_4)
	v_pk_fma_f32 v[132:133], v[228:229], v[224:225], v[136:137] op_sel_hi:[1,0,1]
	v_pk_add_f32 v[128:129], v[128:129], v[134:135]
	v_pk_fma_f32 v[134:135], v[228:229], v[224:225], v[136:137] neg_lo:[0,0,1] neg_hi:[0,0,1]
	s_delay_alu instid0(VALU_DEP_3) | instskip(NEXT) | instid1(VALU_DEP_3)
	v_mov_b32_e32 v135, v133
	v_pk_add_f32 v[128:129], v[128:129], v[130:131]
	s_delay_alu instid0(VALU_DEP_1) | instskip(SKIP_1) | instid1(VALU_DEP_1)
	v_pk_add_f32 v[128:129], v[128:129], v[134:135]
	s_wait_loadcnt 0x0
	v_pk_add_f32 v[128:129], v[226:227], v[128:129] neg_lo:[0,1] neg_hi:[0,1]
	scratch_store_b64 off, v[128:129], off offset:296
	s_wait_xcnt 0x0
	v_cmpx_lt_u32_e32 36, v0
	s_cbranch_execz .LBB62_319
; %bb.318:
	scratch_load_b64 v[128:129], off, off offset:288
	v_mov_b64_e32 v[130:131], 0
	scratch_store_b64 off, v[130:131], off offset:288
	s_wait_loadcnt 0x0
	ds_store_b64 v1, v[128:129]
.LBB62_319:
	s_wait_xcnt 0x0
	s_or_b32 exec_lo, exec_lo, s0
	s_wait_storecnt_dscnt 0x0
	s_barrier_signal -1
	s_barrier_wait -1
	s_clause 0xd
	scratch_load_b128 v[128:131], off, off offset:296
	scratch_load_b128 v[132:135], off, off offset:312
	;; [unrolled: 1-line block ×13, first 2 shown]
	scratch_load_b64 v[232:233], off, off offset:288
	ds_load_2addr_b64 v[180:183], v5 offset0:119 offset1:120
	ds_load_2addr_b64 v[184:187], v5 offset0:121 offset1:122
	;; [unrolled: 1-line block ×13, first 2 shown]
	s_mov_b32 s0, exec_lo
	s_wait_dscnt 0xc
	v_dual_mov_b32 v234, v183 :: v_dual_mov_b32 v235, v182
	s_wait_dscnt 0xb
	v_dual_mov_b32 v236, v187 :: v_dual_mov_b32 v237, v186
	;; [unrolled: 2-line block ×4, first 2 shown]
	s_wait_loadcnt_dscnt 0xd08
	v_dual_mul_f32 v5, v196, v129 :: v_dual_mul_f32 v9, v198, v131
	v_dual_mul_f32 v39, v197, v129 :: v_dual_mul_f32 v41, v199, v131
	s_wait_loadcnt_dscnt 0xc07
	v_dual_mul_f32 v11, v200, v133 :: v_dual_mul_f32 v13, v202, v135
	s_delay_alu instid0(VALU_DEP_2) | instskip(SKIP_3) | instid1(VALU_DEP_3)
	v_dual_fmac_f32 v5, v197, v128 :: v_dual_fma_f32 v39, v196, v128, -v39
	v_dual_mul_f32 v43, v201, v133 :: v_dual_mul_f32 v45, v203, v135
	s_wait_loadcnt_dscnt 0xa05
	v_dual_mul_f32 v51, v209, v141 :: v_dual_fmac_f32 v9, v199, v130
	v_dual_fma_f32 v41, v198, v130, -v41 :: v_dual_add_f32 v5, 0, v5
	v_dual_add_f32 v39, 0, v39 :: v_dual_fmac_f32 v11, v201, v132
	v_dual_mul_f32 v53, v211, v143 :: v_dual_fma_f32 v43, v200, v132, -v43
	s_delay_alu instid0(VALU_DEP_3) | instskip(NEXT) | instid1(VALU_DEP_3)
	v_dual_add_f32 v5, v5, v9 :: v_dual_fmac_f32 v13, v203, v134
	v_dual_add_f32 v9, v39, v41 :: v_dual_fma_f32 v41, v202, v134, -v45
	v_dual_mul_f32 v15, v204, v137 :: v_dual_mul_f32 v17, v206, v139
	v_dual_mul_f32 v47, v205, v137 :: v_dual_mul_f32 v49, v207, v139
	s_delay_alu instid0(VALU_DEP_3) | instskip(NEXT) | instid1(VALU_DEP_3)
	v_add_f32_e32 v9, v9, v43
	v_dual_add_f32 v5, v5, v11 :: v_dual_fmac_f32 v17, v207, v138
	s_wait_loadcnt_dscnt 0x903
	s_delay_alu instid0(VALU_DEP_3) | instskip(NEXT) | instid1(VALU_DEP_3)
	v_dual_fma_f32 v43, v204, v136, -v47 :: v_dual_mul_f32 v39, v217, v145
	v_dual_mul_f32 v11, v219, v147 :: v_dual_add_f32 v9, v9, v41
	v_dual_fmac_f32 v15, v205, v136 :: v_dual_fma_f32 v41, v206, v138, -v49
	s_delay_alu instid0(VALU_DEP_3) | instskip(NEXT) | instid1(VALU_DEP_3)
	v_dual_add_f32 v5, v5, v13 :: v_dual_fma_f32 v39, v216, v144, -v39
	v_dual_add_f32 v9, v9, v43 :: v_dual_fma_f32 v43, v208, v140, -v51
	v_dual_mul_f32 v19, v208, v141 :: v_dual_mul_f32 v21, v210, v143
	s_wait_loadcnt_dscnt 0x802
	v_dual_mul_f32 v27, v220, v149 :: v_dual_mul_f32 v29, v222, v151
	s_delay_alu instid0(VALU_DEP_3) | instskip(SKIP_2) | instid1(VALU_DEP_3)
	v_dual_add_f32 v9, v9, v41 :: v_dual_fma_f32 v11, v218, v146, -v11
	v_dual_add_f32 v5, v5, v15 :: v_dual_fma_f32 v41, v210, v142, -v53
	v_dual_mul_f32 v23, v216, v145 :: v_dual_mul_f32 v25, v218, v147
	v_dual_add_f32 v9, v9, v43 :: v_dual_fmac_f32 v29, v223, v150
	v_fmac_f32_e32 v19, v209, v140
	s_delay_alu instid0(VALU_DEP_4)
	v_add_f32_e32 v5, v5, v17
	s_wait_loadcnt_dscnt 0x701
	v_mul_f32_e32 v17, v225, v153
	v_add_f32_e32 v9, v9, v41
	v_dual_mul_f32 v13, v221, v149 :: v_dual_fmac_f32 v21, v211, v142
	v_dual_fmac_f32 v25, v219, v146 :: v_dual_add_f32 v5, v5, v19
	s_wait_loadcnt 0x4
	s_delay_alu instid0(VALU_DEP_3) | instskip(SKIP_1) | instid1(VALU_DEP_3)
	v_dual_add_f32 v9, v9, v39 :: v_dual_mov_b32 v130, v167
	v_dual_mul_f32 v15, v223, v151 :: v_dual_fmac_f32 v23, v217, v144
	v_dual_fma_f32 v13, v220, v148, -v13 :: v_dual_add_f32 v5, v5, v21
	s_delay_alu instid0(VALU_DEP_3) | instskip(SKIP_3) | instid1(VALU_DEP_4)
	v_dual_add_f32 v9, v9, v11 :: v_dual_mul_f32 v31, v224, v153
	v_dual_mul_f32 v33, v226, v155 :: v_dual_mul_f32 v243, v212, v161
	v_mul_f32_e32 v245, v214, v163
	v_dual_mul_f32 v19, v227, v155 :: v_dual_fma_f32 v15, v222, v150, -v15
	v_dual_add_f32 v9, v9, v13 :: v_dual_mul_f32 v13, v215, v163
	s_wait_dscnt 0x0
	v_dual_add_f32 v5, v5, v23 :: v_dual_mul_f32 v35, v228, v157
	v_dual_mul_f32 v37, v230, v159 :: v_dual_mul_f32 v21, v229, v157
	v_fmac_f32_e32 v33, v227, v154
	v_dual_mul_f32 v23, v231, v159 :: v_dual_fmac_f32 v27, v221, v148
	s_delay_alu instid0(VALU_DEP_3)
	v_fmac_f32_e32 v37, v231, v158
	v_fma_f32 v17, v224, v152, -v17
	s_wait_loadcnt 0x3
	v_pk_mul_f32 v[132:133], v[184:185], v[168:169] op_sel:[1,1] op_sel_hi:[0,1]
	v_dual_fmac_f32 v245, v215, v162 :: v_dual_add_f32 v9, v9, v15
	v_dual_fma_f32 v15, v226, v154, -v19 :: v_dual_add_f32 v5, v5, v25
	v_dual_mul_f32 v11, v213, v161 :: v_dual_mov_b32 v134, v171
	v_pk_mul_f32 v[128:129], v[180:181], v[164:165] op_sel:[1,1] op_sel_hi:[0,1]
	v_pk_fma_f32 v[142:143], v[184:185], v[168:169], v[132:133] op_sel_hi:[1,0,1]
	v_dual_add_f32 v9, v9, v17 :: v_dual_fma_f32 v17, v228, v156, -v21
	s_delay_alu instid0(VALU_DEP_4) | instskip(SKIP_2) | instid1(VALU_DEP_3)
	v_dual_add_f32 v5, v5, v27 :: v_dual_fma_f32 v242, v212, v160, -v11
	v_dual_fmac_f32 v31, v225, v152 :: v_dual_fma_f32 v244, v214, v162, -v13
	v_pk_fma_f32 v[138:139], v[180:181], v[164:165], v[128:129] op_sel_hi:[1,0,1]
	v_add_f32_e32 v5, v5, v29
	v_pk_mul_f32 v[130:131], v[234:235], v[130:131] op_sel_hi:[1,0]
	v_pk_fma_f32 v[128:129], v[180:181], v[164:165], v[128:129] neg_lo:[0,0,1] neg_hi:[0,0,1]
	v_pk_mul_f32 v[134:135], v[236:237], v[134:135] op_sel_hi:[1,0]
	s_delay_alu instid0(VALU_DEP_4) | instskip(NEXT) | instid1(VALU_DEP_4)
	v_dual_mov_b32 v129, v139 :: v_dual_add_f32 v5, v5, v31
	v_pk_fma_f32 v[138:139], v[182:183], v[166:167], v[130:131] op_sel_hi:[1,0,1]
	v_pk_fma_f32 v[130:131], v[182:183], v[166:167], v[130:131] neg_lo:[0,0,1] neg_hi:[0,0,1]
	v_pk_fma_f32 v[132:133], v[184:185], v[168:169], v[132:133] neg_lo:[0,0,1] neg_hi:[0,0,1]
	s_delay_alu instid0(VALU_DEP_4) | instskip(NEXT) | instid1(VALU_DEP_4)
	v_dual_mov_b32 v133, v143 :: v_dual_add_f32 v5, v5, v33
	v_dual_add_f32 v9, v9, v15 :: v_dual_mov_b32 v131, v139
	v_pk_fma_f32 v[138:139], v[186:187], v[170:171], v[134:135] op_sel_hi:[1,0,1]
	v_fmac_f32_e32 v35, v229, v156
	v_pk_fma_f32 v[134:135], v[186:187], v[170:171], v[134:135] neg_lo:[0,0,1] neg_hi:[0,0,1]
	s_delay_alu instid0(VALU_DEP_4) | instskip(NEXT) | instid1(VALU_DEP_3)
	v_dual_fma_f32 v15, v230, v158, -v23 :: v_dual_add_f32 v9, v9, v17
	v_dual_mov_b32 v135, v139 :: v_dual_add_f32 v5, v5, v35
	v_fmac_f32_e32 v243, v213, v160
	s_wait_loadcnt 0x2
	v_pk_mul_f32 v[140:141], v[188:189], v[172:173] op_sel:[1,1] op_sel_hi:[0,1]
	v_add_f32_e32 v136, v9, v15
	v_add_f32_e32 v137, v5, v37
	s_delay_alu instid0(VALU_DEP_3) | instskip(NEXT) | instid1(VALU_DEP_2)
	v_pk_fma_f32 v[138:139], v[188:189], v[172:173], v[140:141] neg_lo:[0,0,1] neg_hi:[0,0,1]
	v_pk_add_f32 v[136:137], v[136:137], v[242:243]
	s_delay_alu instid0(VALU_DEP_1) | instskip(NEXT) | instid1(VALU_DEP_1)
	v_pk_add_f32 v[136:137], v[136:137], v[244:245]
	v_pk_add_f32 v[128:129], v[136:137], v[128:129]
	v_mov_b32_e32 v136, v175
	s_delay_alu instid0(VALU_DEP_2) | instskip(SKIP_1) | instid1(VALU_DEP_3)
	v_pk_add_f32 v[128:129], v[128:129], v[130:131]
	v_pk_fma_f32 v[130:131], v[188:189], v[172:173], v[140:141] op_sel_hi:[1,0,1]
	v_pk_mul_f32 v[136:137], v[238:239], v[136:137] op_sel_hi:[1,0]
	s_delay_alu instid0(VALU_DEP_3) | instskip(NEXT) | instid1(VALU_DEP_3)
	v_pk_add_f32 v[128:129], v[128:129], v[132:133]
	v_mov_b32_e32 v139, v131
	s_delay_alu instid0(VALU_DEP_3)
	v_pk_fma_f32 v[130:131], v[190:191], v[174:175], v[136:137] op_sel_hi:[1,0,1]
	s_wait_loadcnt 0x1
	v_pk_mul_f32 v[132:133], v[192:193], v[176:177] op_sel:[1,1] op_sel_hi:[0,1]
	v_mov_b32_e32 v130, v179
	v_pk_add_f32 v[128:129], v[128:129], v[134:135]
	v_pk_fma_f32 v[136:137], v[190:191], v[174:175], v[136:137] neg_lo:[0,0,1] neg_hi:[0,0,1]
	v_mov_b32_e32 v137, v131
	v_pk_fma_f32 v[134:135], v[192:193], v[176:177], v[132:133] op_sel_hi:[1,0,1]
	v_pk_mul_f32 v[130:131], v[240:241], v[130:131] op_sel_hi:[1,0]
	v_pk_add_f32 v[128:129], v[128:129], v[138:139]
	v_pk_fma_f32 v[132:133], v[192:193], v[176:177], v[132:133] neg_lo:[0,0,1] neg_hi:[0,0,1]
	s_delay_alu instid0(VALU_DEP_4) | instskip(NEXT) | instid1(VALU_DEP_4)
	v_mov_b32_e32 v133, v135
	v_pk_fma_f32 v[134:135], v[194:195], v[178:179], v[130:131] op_sel_hi:[1,0,1]
	s_delay_alu instid0(VALU_DEP_4) | instskip(SKIP_1) | instid1(VALU_DEP_3)
	v_pk_add_f32 v[128:129], v[128:129], v[136:137]
	v_pk_fma_f32 v[130:131], v[194:195], v[178:179], v[130:131] neg_lo:[0,0,1] neg_hi:[0,0,1]
	v_mov_b32_e32 v131, v135
	s_delay_alu instid0(VALU_DEP_3) | instskip(NEXT) | instid1(VALU_DEP_1)
	v_pk_add_f32 v[128:129], v[128:129], v[132:133]
	v_pk_add_f32 v[128:129], v[128:129], v[130:131]
	s_wait_loadcnt 0x0
	s_delay_alu instid0(VALU_DEP_1)
	v_pk_add_f32 v[128:129], v[232:233], v[128:129] neg_lo:[0,1] neg_hi:[0,1]
	scratch_store_b64 off, v[128:129], off offset:288
	s_wait_xcnt 0x0
	v_cmpx_lt_u32_e32 35, v0
	s_cbranch_execz .LBB62_321
; %bb.320:
	scratch_load_b64 v[128:129], off, off offset:280
	v_mov_b64_e32 v[130:131], 0
	scratch_store_b64 off, v[130:131], off offset:280
	s_wait_loadcnt 0x0
	ds_store_b64 v1, v[128:129]
.LBB62_321:
	s_wait_xcnt 0x0
	s_or_b32 exec_lo, exec_lo, s0
	s_wait_storecnt_dscnt 0x0
	s_barrier_signal -1
	s_barrier_wait -1
	s_clause 0xe
	scratch_load_b128 v[128:131], off, off offset:288
	scratch_load_b128 v[132:135], off, off offset:304
	;; [unrolled: 1-line block ×13, first 2 shown]
	scratch_load_b64 v[232:233], off, off offset:496
	scratch_load_b64 v[234:235], off, off offset:280
	v_mov_b32_e32 v5, 0
	ds_load_b128 v[180:183], v5 offset:944
	ds_load_b128 v[184:187], v5 offset:960
	;; [unrolled: 1-line block ×13, first 2 shown]
	ds_load_b64 v[236:237], v5 offset:1008
	s_mov_b32 s0, exec_lo
	s_wait_dscnt 0xd
	v_dual_mov_b32 v238, v183 :: v_dual_mov_b32 v239, v182
	s_wait_dscnt 0xa
	v_dual_mov_b32 v240, v187 :: v_dual_mov_b32 v245, v194
	v_dual_mov_b32 v241, v186 :: v_dual_mov_b32 v242, v191
	;; [unrolled: 1-line block ×3, first 2 shown]
	s_wait_loadcnt_dscnt 0xe09
	v_dual_mul_f32 v9, v196, v129 :: v_dual_mul_f32 v43, v197, v129
	v_dual_mul_f32 v45, v199, v131 :: v_dual_mul_f32 v11, v198, v131
	s_wait_loadcnt_dscnt 0xd08
	v_mul_f32_e32 v13, v200, v133
	s_wait_loadcnt_dscnt 0xb05
	v_dual_mul_f32 v55, v213, v141 :: v_dual_fma_f32 v43, v196, v128, -v43
	v_dual_fmac_f32 v9, v197, v128 :: v_dual_mul_f32 v57, v215, v143
	v_dual_mul_f32 v47, v201, v133 :: v_dual_mul_f32 v49, v203, v135
	v_dual_fmac_f32 v11, v199, v130 :: v_dual_fma_f32 v45, v198, v130, -v45
	s_delay_alu instid0(VALU_DEP_3) | instskip(SKIP_4) | instid1(VALU_DEP_3)
	v_dual_add_f32 v9, 0, v9 :: v_dual_add_f32 v43, 0, v43
	v_dual_mul_f32 v15, v202, v135 :: v_dual_mul_f32 v17, v204, v137
	s_wait_loadcnt_dscnt 0xa04
	v_dual_mul_f32 v59, v217, v145 :: v_dual_fma_f32 v47, v200, v132, -v47
	v_fmac_f32_e32 v13, v201, v132
	v_dual_add_f32 v9, v9, v11 :: v_dual_fmac_f32 v15, v203, v134
	v_add_f32_e32 v11, v43, v45
	v_dual_mul_f32 v51, v205, v137 :: v_dual_mul_f32 v53, v207, v139
	v_dual_mul_f32 v43, v219, v147 :: v_dual_fma_f32 v45, v202, v134, -v49
	s_delay_alu instid0(VALU_DEP_3) | instskip(SKIP_3) | instid1(VALU_DEP_3)
	v_dual_add_f32 v9, v9, v13 :: v_dual_add_f32 v11, v11, v47
	v_dual_mul_f32 v19, v206, v139 :: v_dual_mul_f32 v21, v212, v141
	s_wait_loadcnt_dscnt 0x903
	v_dual_mul_f32 v13, v221, v149 :: v_dual_fma_f32 v47, v204, v136, -v51
	v_dual_fmac_f32 v17, v205, v136 :: v_dual_add_f32 v11, v11, v45
	s_delay_alu instid0(VALU_DEP_3) | instskip(SKIP_1) | instid1(VALU_DEP_2)
	v_dual_add_f32 v9, v9, v15 :: v_dual_fmac_f32 v19, v207, v138
	v_dual_mul_f32 v15, v223, v151 :: v_dual_fma_f32 v45, v206, v138, -v53
	v_dual_add_f32 v11, v11, v47 :: v_dual_add_f32 v9, v9, v17
	v_dual_mul_f32 v23, v214, v143 :: v_dual_mul_f32 v25, v216, v145
	s_wait_loadcnt_dscnt 0x802
	v_dual_mul_f32 v17, v225, v153 :: v_dual_fma_f32 v47, v212, v140, -v55
	s_delay_alu instid0(VALU_DEP_3) | instskip(NEXT) | instid1(VALU_DEP_3)
	v_dual_fmac_f32 v21, v213, v140 :: v_dual_add_f32 v11, v11, v45
	v_dual_add_f32 v9, v9, v19 :: v_dual_fmac_f32 v23, v215, v142
	v_dual_mul_f32 v19, v227, v155 :: v_dual_fma_f32 v45, v214, v142, -v57
	s_delay_alu instid0(VALU_DEP_2) | instskip(SKIP_3) | instid1(VALU_DEP_3)
	v_dual_add_f32 v11, v11, v47 :: v_dual_add_f32 v9, v9, v21
	v_dual_mul_f32 v27, v218, v147 :: v_dual_mul_f32 v29, v220, v149
	s_wait_loadcnt_dscnt 0x701
	v_dual_mul_f32 v21, v229, v157 :: v_dual_fma_f32 v47, v216, v144, -v59
	v_dual_fmac_f32 v25, v217, v144 :: v_dual_add_f32 v11, v11, v45
	s_delay_alu instid0(VALU_DEP_3) | instskip(SKIP_1) | instid1(VALU_DEP_2)
	v_dual_add_f32 v9, v9, v23 :: v_dual_fmac_f32 v27, v219, v146
	v_dual_mul_f32 v23, v231, v159 :: v_dual_fma_f32 v43, v218, v146, -v43
	v_dual_add_f32 v11, v11, v47 :: v_dual_add_f32 v9, v9, v25
	v_dual_mul_f32 v31, v222, v151 :: v_dual_mul_f32 v33, v224, v153
	s_wait_loadcnt 0x6
	v_dual_mul_f32 v25, v209, v161 :: v_dual_fma_f32 v13, v220, v148, -v13
	s_delay_alu instid0(VALU_DEP_3) | instskip(NEXT) | instid1(VALU_DEP_3)
	v_dual_fmac_f32 v29, v221, v148 :: v_dual_add_f32 v11, v11, v43
	v_dual_add_f32 v9, v9, v27 :: v_dual_fmac_f32 v31, v223, v150
	v_dual_mul_f32 v27, v211, v163 :: v_dual_fma_f32 v15, v222, v150, -v15
	s_delay_alu instid0(VALU_DEP_3) | instskip(NEXT) | instid1(VALU_DEP_3)
	v_dual_add_f32 v11, v11, v13 :: v_dual_fmac_f32 v33, v225, v152
	v_dual_add_f32 v9, v9, v29 :: v_dual_fma_f32 v17, v224, v152, -v17
	v_dual_mul_f32 v35, v226, v155 :: v_dual_mul_f32 v37, v228, v157
	s_wait_loadcnt 0x5
	s_delay_alu instid0(VALU_DEP_3) | instskip(NEXT) | instid1(VALU_DEP_3)
	v_dual_mul_f32 v13, v181, v165 :: v_dual_add_f32 v11, v11, v15
	v_dual_add_f32 v9, v9, v31 :: v_dual_mov_b32 v128, v167
	s_delay_alu instid0(VALU_DEP_3) | instskip(NEXT) | instid1(VALU_DEP_3)
	v_fmac_f32_e32 v35, v227, v154
	v_dual_fma_f32 v15, v226, v154, -v19 :: v_dual_add_f32 v11, v11, v17
	s_delay_alu instid0(VALU_DEP_3) | instskip(SKIP_1) | instid1(VALU_DEP_3)
	v_dual_add_f32 v9, v9, v33 :: v_dual_mul_f32 v39, v230, v159
	v_dual_mul_f32 v41, v208, v161 :: v_dual_fmac_f32 v37, v229, v156
	v_dual_add_f32 v11, v11, v15 :: v_dual_fma_f32 v17, v228, v156, -v21
	s_wait_loadcnt 0x4
	s_delay_alu instid0(VALU_DEP_3) | instskip(SKIP_3) | instid1(VALU_DEP_4)
	v_dual_add_f32 v9, v9, v35 :: v_dual_mov_b32 v132, v171
	v_fma_f32 v15, v230, v158, -v23
	v_fmac_f32_e32 v39, v231, v158
	v_dual_add_f32 v11, v11, v17 :: v_dual_fmac_f32 v41, v209, v160
	v_dual_add_f32 v9, v9, v37 :: v_dual_mul_f32 v247, v210, v163
	v_mul_f32_e32 v249, v180, v165
	s_delay_alu instid0(VALU_DEP_3) | instskip(NEXT) | instid1(VALU_DEP_3)
	v_dual_fma_f32 v17, v208, v160, -v25 :: v_dual_add_f32 v11, v11, v15
	v_dual_fma_f32 v246, v210, v162, -v27 :: v_dual_add_f32 v9, v9, v39
	s_delay_alu instid0(VALU_DEP_4) | instskip(SKIP_1) | instid1(VALU_DEP_4)
	v_fmac_f32_e32 v247, v211, v162
	v_pk_mul_f32 v[128:129], v[238:239], v[128:129] op_sel_hi:[1,0]
	v_dual_add_f32 v136, v11, v17 :: v_dual_fmac_f32 v249, v181, v164
	s_delay_alu instid0(VALU_DEP_4)
	v_add_f32_e32 v137, v9, v41
	v_pk_mul_f32 v[130:131], v[184:185], v[168:169] op_sel:[1,1] op_sel_hi:[0,1]
	s_wait_loadcnt 0x3
	v_dual_mov_b32 v138, v175 :: v_dual_fma_f32 v248, v180, v164, -v13
	v_pk_fma_f32 v[140:141], v[182:183], v[166:167], v[128:129] op_sel_hi:[1,0,1]
	v_pk_add_f32 v[136:137], v[136:137], v[246:247]
	v_pk_fma_f32 v[128:129], v[182:183], v[166:167], v[128:129] neg_lo:[0,0,1] neg_hi:[0,0,1]
	v_pk_fma_f32 v[142:143], v[184:185], v[168:169], v[130:131] op_sel_hi:[1,0,1]
	v_pk_mul_f32 v[132:133], v[240:241], v[132:133] op_sel_hi:[1,0]
	v_mov_b32_e32 v129, v141
	v_pk_add_f32 v[136:137], v[136:137], v[248:249]
	v_pk_fma_f32 v[130:131], v[184:185], v[168:169], v[130:131] neg_lo:[0,0,1] neg_hi:[0,0,1]
	v_pk_mul_f32 v[134:135], v[188:189], v[172:173] op_sel:[1,1] op_sel_hi:[0,1]
	v_mov_b32_e32 v131, v143
	v_pk_fma_f32 v[142:143], v[186:187], v[170:171], v[132:133] op_sel_hi:[1,0,1]
	v_pk_add_f32 v[128:129], v[136:137], v[128:129]
	v_pk_fma_f32 v[132:133], v[186:187], v[170:171], v[132:133] neg_lo:[0,0,1] neg_hi:[0,0,1]
	v_pk_fma_f32 v[136:137], v[188:189], v[172:173], v[134:135] op_sel_hi:[1,0,1]
	v_pk_mul_f32 v[138:139], v[242:243], v[138:139] op_sel_hi:[1,0]
	v_mov_b32_e32 v133, v143
	v_pk_add_f32 v[128:129], v[128:129], v[130:131]
	v_pk_fma_f32 v[134:135], v[188:189], v[172:173], v[134:135] neg_lo:[0,0,1] neg_hi:[0,0,1]
	s_wait_loadcnt 0x2
	v_pk_mul_f32 v[140:141], v[192:193], v[176:177] op_sel:[1,1] op_sel_hi:[0,1]
	v_dual_mov_b32 v130, v179 :: v_dual_mov_b32 v135, v137
	v_pk_fma_f32 v[136:137], v[190:191], v[174:175], v[138:139] op_sel_hi:[1,0,1]
	v_pk_add_f32 v[128:129], v[128:129], v[132:133]
	v_pk_fma_f32 v[138:139], v[190:191], v[174:175], v[138:139] neg_lo:[0,0,1] neg_hi:[0,0,1]
	v_pk_fma_f32 v[132:133], v[192:193], v[176:177], v[140:141] op_sel_hi:[1,0,1]
	v_pk_mul_f32 v[130:131], v[244:245], v[130:131] op_sel_hi:[1,0]
	v_mov_b32_e32 v139, v137
	v_pk_add_f32 v[128:129], v[128:129], v[134:135]
	v_pk_fma_f32 v[134:135], v[192:193], v[176:177], v[140:141] neg_lo:[0,0,1] neg_hi:[0,0,1]
	v_mov_b32_e32 v135, v133
	v_pk_fma_f32 v[132:133], v[194:195], v[178:179], v[130:131] op_sel_hi:[1,0,1]
	s_wait_loadcnt_dscnt 0x100
	v_pk_mul_f32 v[136:137], v[236:237], v[232:233] op_sel:[1,1] op_sel_hi:[0,1]
	v_pk_add_f32 v[128:129], v[128:129], v[138:139]
	v_pk_fma_f32 v[130:131], v[194:195], v[178:179], v[130:131] neg_lo:[0,0,1] neg_hi:[0,0,1]
	v_mov_b32_e32 v131, v133
	s_delay_alu instid0(VALU_DEP_4) | instskip(NEXT) | instid1(VALU_DEP_4)
	v_pk_fma_f32 v[132:133], v[236:237], v[232:233], v[136:137] op_sel_hi:[1,0,1]
	v_pk_add_f32 v[128:129], v[128:129], v[134:135]
	v_pk_fma_f32 v[134:135], v[236:237], v[232:233], v[136:137] neg_lo:[0,0,1] neg_hi:[0,0,1]
	s_delay_alu instid0(VALU_DEP_3) | instskip(NEXT) | instid1(VALU_DEP_3)
	v_mov_b32_e32 v135, v133
	v_pk_add_f32 v[128:129], v[128:129], v[130:131]
	s_delay_alu instid0(VALU_DEP_1) | instskip(SKIP_1) | instid1(VALU_DEP_1)
	v_pk_add_f32 v[128:129], v[128:129], v[134:135]
	s_wait_loadcnt 0x0
	v_pk_add_f32 v[128:129], v[234:235], v[128:129] neg_lo:[0,1] neg_hi:[0,1]
	scratch_store_b64 off, v[128:129], off offset:280
	s_wait_xcnt 0x0
	v_cmpx_lt_u32_e32 34, v0
	s_cbranch_execz .LBB62_323
; %bb.322:
	scratch_load_b64 v[128:129], off, off offset:272
	v_mov_b64_e32 v[130:131], 0
	scratch_store_b64 off, v[130:131], off offset:272
	s_wait_loadcnt 0x0
	ds_store_b64 v1, v[128:129]
.LBB62_323:
	s_wait_xcnt 0x0
	s_or_b32 exec_lo, exec_lo, s0
	s_wait_storecnt_dscnt 0x0
	s_barrier_signal -1
	s_barrier_wait -1
	s_clause 0xe
	scratch_load_b128 v[128:131], off, off offset:280
	scratch_load_b128 v[132:135], off, off offset:296
	;; [unrolled: 1-line block ×14, first 2 shown]
	scratch_load_b64 v[240:241], off, off offset:272
	ds_load_2addr_b64 v[184:187], v5 offset0:119 offset1:120
	ds_load_2addr_b64 v[188:191], v5 offset0:121 offset1:122
	;; [unrolled: 1-line block ×14, first 2 shown]
	s_mov_b32 s0, exec_lo
	s_wait_dscnt 0xd
	v_dual_mov_b32 v242, v187 :: v_dual_mov_b32 v243, v186
	s_wait_dscnt 0xc
	v_dual_mov_b32 v244, v191 :: v_dual_mov_b32 v245, v190
	;; [unrolled: 2-line block ×4, first 2 shown]
	s_wait_loadcnt_dscnt 0xe09
	v_dual_mul_f32 v5, v200, v129 :: v_dual_mul_f32 v9, v202, v131
	v_dual_mul_f32 v43, v201, v129 :: v_dual_mul_f32 v45, v203, v131
	s_wait_loadcnt_dscnt 0xd08
	v_dual_mul_f32 v11, v204, v133 :: v_dual_mul_f32 v13, v206, v135
	s_delay_alu instid0(VALU_DEP_2) | instskip(SKIP_3) | instid1(VALU_DEP_3)
	v_dual_fmac_f32 v5, v201, v128 :: v_dual_fma_f32 v43, v200, v128, -v43
	v_dual_mul_f32 v47, v205, v133 :: v_dual_mul_f32 v49, v207, v135
	s_wait_loadcnt_dscnt 0xb06
	v_dual_mul_f32 v55, v213, v141 :: v_dual_fmac_f32 v9, v203, v130
	v_dual_fma_f32 v45, v202, v130, -v45 :: v_dual_add_f32 v5, 0, v5
	v_dual_add_f32 v43, 0, v43 :: v_dual_fmac_f32 v11, v205, v132
	v_dual_mul_f32 v57, v215, v143 :: v_dual_fma_f32 v47, v204, v132, -v47
	s_delay_alu instid0(VALU_DEP_3) | instskip(NEXT) | instid1(VALU_DEP_3)
	v_dual_add_f32 v5, v5, v9 :: v_dual_fmac_f32 v13, v207, v134
	v_dual_add_f32 v9, v43, v45 :: v_dual_fma_f32 v45, v206, v134, -v49
	v_dual_mul_f32 v15, v208, v137 :: v_dual_mul_f32 v17, v210, v139
	v_dual_mul_f32 v51, v209, v137 :: v_dual_mul_f32 v53, v211, v139
	s_delay_alu instid0(VALU_DEP_3) | instskip(NEXT) | instid1(VALU_DEP_3)
	v_add_f32_e32 v9, v9, v47
	v_dual_add_f32 v5, v5, v11 :: v_dual_fmac_f32 v17, v211, v138
	s_wait_loadcnt_dscnt 0xa05
	s_delay_alu instid0(VALU_DEP_3) | instskip(NEXT) | instid1(VALU_DEP_3)
	v_dual_fma_f32 v47, v208, v136, -v51 :: v_dual_mul_f32 v43, v217, v145
	v_dual_mul_f32 v11, v219, v147 :: v_dual_add_f32 v9, v9, v45
	v_dual_fmac_f32 v15, v209, v136 :: v_dual_fma_f32 v45, v210, v138, -v53
	v_add_f32_e32 v5, v5, v13
	v_dual_mul_f32 v19, v212, v141 :: v_dual_mul_f32 v21, v214, v143
	s_delay_alu instid0(VALU_DEP_4) | instskip(NEXT) | instid1(VALU_DEP_3)
	v_dual_add_f32 v9, v9, v47 :: v_dual_fma_f32 v43, v216, v144, -v43
	v_dual_add_f32 v5, v5, v15 :: v_dual_fma_f32 v47, v212, v140, -v55
	v_dual_mul_f32 v23, v216, v145 :: v_dual_mul_f32 v25, v218, v147
	s_delay_alu instid0(VALU_DEP_3) | instskip(SKIP_2) | instid1(VALU_DEP_3)
	v_dual_add_f32 v9, v9, v45 :: v_dual_fma_f32 v11, v218, v146, -v11
	s_wait_loadcnt_dscnt 0x904
	v_dual_mul_f32 v27, v220, v149 :: v_dual_mul_f32 v29, v222, v151
	v_dual_fmac_f32 v19, v213, v140 :: v_dual_fmac_f32 v25, v219, v146
	v_dual_fma_f32 v45, v214, v142, -v57 :: v_dual_add_f32 v5, v5, v17
	s_delay_alu instid0(VALU_DEP_3)
	v_dual_add_f32 v9, v9, v47 :: v_dual_fmac_f32 v29, v223, v150
	s_wait_loadcnt_dscnt 0x803
	v_dual_mul_f32 v31, v224, v153 :: v_dual_mul_f32 v33, v226, v155
	v_dual_mul_f32 v13, v221, v149 :: v_dual_fmac_f32 v21, v215, v142
	v_mul_f32_e32 v17, v225, v153
	v_add_f32_e32 v5, v5, v19
	v_dual_add_f32 v9, v9, v45 :: v_dual_mul_f32 v15, v223, v151
	s_delay_alu instid0(VALU_DEP_4) | instskip(NEXT) | instid1(VALU_DEP_3)
	v_fma_f32 v13, v220, v148, -v13
	v_dual_fmac_f32 v33, v227, v154 :: v_dual_add_f32 v5, v5, v21
	s_wait_loadcnt_dscnt 0x702
	v_mul_f32_e32 v21, v229, v157
	v_add_f32_e32 v9, v9, v43
	s_wait_loadcnt_dscnt 0x601
	v_dual_fmac_f32 v23, v217, v144 :: v_dual_mul_f32 v39, v232, v161
	s_delay_alu instid0(VALU_DEP_3) | instskip(NEXT) | instid1(VALU_DEP_3)
	v_dual_mul_f32 v41, v234, v163 :: v_dual_fma_f32 v21, v228, v156, -v21
	v_add_f32_e32 v9, v9, v11
	v_dual_mul_f32 v19, v227, v155 :: v_dual_fma_f32 v15, v222, v150, -v15
	v_dual_mul_f32 v35, v228, v157 :: v_dual_mul_f32 v37, v230, v159
	s_delay_alu instid0(VALU_DEP_3) | instskip(SKIP_1) | instid1(VALU_DEP_4)
	v_dual_add_f32 v9, v9, v13 :: v_dual_fmac_f32 v41, v235, v162
	v_mul_f32_e32 v13, v235, v163
	v_dual_add_f32 v5, v5, v23 :: v_dual_fma_f32 v19, v226, v154, -v19
	s_wait_loadcnt_dscnt 0x500
	v_dual_mul_f32 v251, v236, v165 :: v_dual_mul_f32 v253, v238, v167
	v_dual_mul_f32 v23, v231, v159 :: v_dual_fmac_f32 v27, v221, v148
	s_delay_alu instid0(VALU_DEP_3) | instskip(SKIP_1) | instid1(VALU_DEP_4)
	v_dual_add_f32 v5, v5, v25 :: v_dual_fmac_f32 v37, v231, v158
	v_dual_fma_f32 v17, v224, v152, -v17 :: v_dual_add_f32 v9, v9, v15
	v_dual_mul_f32 v15, v237, v165 :: v_dual_fmac_f32 v251, v237, v164
	s_wait_loadcnt 0x4
	v_dual_mul_f32 v11, v233, v161 :: v_dual_mov_b32 v130, v171
	v_dual_fmac_f32 v31, v225, v152 :: v_dual_fma_f32 v13, v234, v162, -v13
	s_delay_alu instid0(VALU_DEP_3) | instskip(SKIP_1) | instid1(VALU_DEP_4)
	v_dual_fma_f32 v250, v236, v164, -v15 :: v_dual_add_f32 v9, v9, v17
	v_mul_f32_e32 v17, v239, v167
	v_dual_add_f32 v5, v5, v27 :: v_dual_fma_f32 v11, v232, v160, -v11
	v_pk_mul_f32 v[128:129], v[184:185], v[168:169] op_sel:[1,1] op_sel_hi:[0,1]
	s_wait_loadcnt 0x3
	v_mov_b32_e32 v134, v175
	v_pk_mul_f32 v[130:131], v[242:243], v[130:131] op_sel_hi:[1,0]
	v_add_f32_e32 v5, v5, v29
	v_pk_mul_f32 v[132:133], v[188:189], v[172:173] op_sel:[1,1] op_sel_hi:[0,1]
	v_pk_fma_f32 v[138:139], v[184:185], v[168:169], v[128:129] op_sel_hi:[1,0,1]
	v_pk_fma_f32 v[128:129], v[184:185], v[168:169], v[128:129] neg_lo:[0,0,1] neg_hi:[0,0,1]
	v_fmac_f32_e32 v35, v229, v156
	v_dual_add_f32 v5, v5, v31 :: v_dual_fmac_f32 v253, v239, v166
	v_dual_fma_f32 v252, v238, v166, -v17 :: v_dual_add_f32 v9, v9, v19
	v_mov_b32_e32 v129, v139
	v_pk_fma_f32 v[138:139], v[186:187], v[170:171], v[130:131] op_sel_hi:[1,0,1]
	s_delay_alu instid0(VALU_DEP_4)
	v_add_f32_e32 v5, v5, v33
	v_pk_mul_f32 v[134:135], v[244:245], v[134:135] op_sel_hi:[1,0]
	v_pk_fma_f32 v[130:131], v[186:187], v[170:171], v[130:131] neg_lo:[0,0,1] neg_hi:[0,0,1]
	v_fma_f32 v19, v230, v158, -v23
	v_pk_fma_f32 v[142:143], v[188:189], v[172:173], v[132:133] op_sel_hi:[1,0,1]
	v_dual_mov_b32 v131, v139 :: v_dual_add_f32 v5, v5, v35
	v_pk_fma_f32 v[138:139], v[190:191], v[174:175], v[134:135] op_sel_hi:[1,0,1]
	v_add_f32_e32 v9, v9, v21
	v_pk_fma_f32 v[132:133], v[188:189], v[172:173], v[132:133] neg_lo:[0,0,1] neg_hi:[0,0,1]
	v_pk_fma_f32 v[134:135], v[190:191], v[174:175], v[134:135] neg_lo:[0,0,1] neg_hi:[0,0,1]
	v_dual_fmac_f32 v39, v233, v160 :: v_dual_mov_b32 v133, v143
	v_dual_add_f32 v5, v5, v37 :: v_dual_mov_b32 v135, v139
	v_add_f32_e32 v9, v9, v19
	s_wait_loadcnt 0x2
	v_pk_mul_f32 v[140:141], v[192:193], v[176:177] op_sel:[1,1] op_sel_hi:[0,1]
	s_delay_alu instid0(VALU_DEP_3) | instskip(NEXT) | instid1(VALU_DEP_3)
	v_add_f32_e32 v5, v5, v39
	v_add_f32_e32 v9, v9, v11
	s_delay_alu instid0(VALU_DEP_3) | instskip(NEXT) | instid1(VALU_DEP_3)
	v_pk_fma_f32 v[138:139], v[192:193], v[176:177], v[140:141] neg_lo:[0,0,1] neg_hi:[0,0,1]
	v_add_f32_e32 v137, v5, v41
	s_delay_alu instid0(VALU_DEP_3) | instskip(NEXT) | instid1(VALU_DEP_1)
	v_add_f32_e32 v136, v9, v13
	v_pk_add_f32 v[136:137], v[136:137], v[250:251]
	s_delay_alu instid0(VALU_DEP_1) | instskip(NEXT) | instid1(VALU_DEP_1)
	v_pk_add_f32 v[136:137], v[136:137], v[252:253]
	v_pk_add_f32 v[128:129], v[136:137], v[128:129]
	v_mov_b32_e32 v136, v179
	s_delay_alu instid0(VALU_DEP_2) | instskip(SKIP_1) | instid1(VALU_DEP_3)
	v_pk_add_f32 v[128:129], v[128:129], v[130:131]
	v_pk_fma_f32 v[130:131], v[192:193], v[176:177], v[140:141] op_sel_hi:[1,0,1]
	v_pk_mul_f32 v[136:137], v[246:247], v[136:137] op_sel_hi:[1,0]
	s_delay_alu instid0(VALU_DEP_3) | instskip(NEXT) | instid1(VALU_DEP_3)
	v_pk_add_f32 v[128:129], v[128:129], v[132:133]
	v_mov_b32_e32 v139, v131
	s_delay_alu instid0(VALU_DEP_3)
	v_pk_fma_f32 v[130:131], v[194:195], v[178:179], v[136:137] op_sel_hi:[1,0,1]
	s_wait_loadcnt 0x1
	v_pk_mul_f32 v[132:133], v[196:197], v[180:181] op_sel:[1,1] op_sel_hi:[0,1]
	v_mov_b32_e32 v130, v183
	v_pk_add_f32 v[128:129], v[128:129], v[134:135]
	v_pk_fma_f32 v[136:137], v[194:195], v[178:179], v[136:137] neg_lo:[0,0,1] neg_hi:[0,0,1]
	v_mov_b32_e32 v137, v131
	v_pk_fma_f32 v[134:135], v[196:197], v[180:181], v[132:133] op_sel_hi:[1,0,1]
	v_pk_mul_f32 v[130:131], v[248:249], v[130:131] op_sel_hi:[1,0]
	v_pk_add_f32 v[128:129], v[128:129], v[138:139]
	v_pk_fma_f32 v[132:133], v[196:197], v[180:181], v[132:133] neg_lo:[0,0,1] neg_hi:[0,0,1]
	s_delay_alu instid0(VALU_DEP_4) | instskip(NEXT) | instid1(VALU_DEP_4)
	v_mov_b32_e32 v133, v135
	v_pk_fma_f32 v[134:135], v[198:199], v[182:183], v[130:131] op_sel_hi:[1,0,1]
	s_delay_alu instid0(VALU_DEP_4) | instskip(SKIP_1) | instid1(VALU_DEP_3)
	v_pk_add_f32 v[128:129], v[128:129], v[136:137]
	v_pk_fma_f32 v[130:131], v[198:199], v[182:183], v[130:131] neg_lo:[0,0,1] neg_hi:[0,0,1]
	v_mov_b32_e32 v131, v135
	s_delay_alu instid0(VALU_DEP_3) | instskip(NEXT) | instid1(VALU_DEP_1)
	v_pk_add_f32 v[128:129], v[128:129], v[132:133]
	v_pk_add_f32 v[128:129], v[128:129], v[130:131]
	s_wait_loadcnt 0x0
	s_delay_alu instid0(VALU_DEP_1)
	v_pk_add_f32 v[128:129], v[240:241], v[128:129] neg_lo:[0,1] neg_hi:[0,1]
	scratch_store_b64 off, v[128:129], off offset:272
	s_wait_xcnt 0x0
	v_cmpx_lt_u32_e32 33, v0
	s_cbranch_execz .LBB62_325
; %bb.324:
	scratch_load_b64 v[128:129], off, off offset:264
	v_mov_b64_e32 v[130:131], 0
	scratch_store_b64 off, v[130:131], off offset:264
	s_wait_loadcnt 0x0
	ds_store_b64 v1, v[128:129]
.LBB62_325:
	s_wait_xcnt 0x0
	s_or_b32 exec_lo, exec_lo, s0
	s_wait_storecnt_dscnt 0x0
	s_barrier_signal -1
	s_barrier_wait -1
	s_clause 0xf
	scratch_load_b128 v[128:131], off, off offset:272
	scratch_load_b128 v[132:135], off, off offset:288
	;; [unrolled: 1-line block ×14, first 2 shown]
	scratch_load_b64 v[240:241], off, off offset:496
	scratch_load_b64 v[242:243], off, off offset:264
	v_mov_b32_e32 v5, 0
	ds_load_b128 v[184:187], v5 offset:944
	ds_load_b128 v[188:191], v5 offset:960
	ds_load_b128 v[192:195], v5 offset:976
	ds_load_b128 v[196:199], v5 offset:992
	ds_load_b128 v[200:203], v5 offset:784
	ds_load_b128 v[204:207], v5 offset:800
	ds_load_b128 v[208:211], v5 offset:816
	ds_load_b128 v[212:215], v5 offset:832
	ds_load_b128 v[216:219], v5 offset:848
	ds_load_b128 v[220:223], v5 offset:864
	ds_load_b128 v[224:227], v5 offset:880
	ds_load_b128 v[228:231], v5 offset:896
	ds_load_b128 v[232:235], v5 offset:912
	ds_load_b128 v[236:239], v5 offset:928
	ds_load_b64 v[244:245], v5 offset:1008
	s_mov_b32 s0, exec_lo
	s_wait_dscnt 0xe
	v_dual_mov_b32 v246, v187 :: v_dual_mov_b32 v247, v186
	s_wait_dscnt 0xb
	v_dual_mov_b32 v248, v191 :: v_dual_mov_b32 v253, v198
	v_dual_mov_b32 v249, v190 :: v_dual_mov_b32 v250, v195
	;; [unrolled: 1-line block ×3, first 2 shown]
	s_wait_loadcnt_dscnt 0xf0a
	v_dual_mul_f32 v9, v200, v129 :: v_dual_mul_f32 v11, v202, v131
	s_wait_loadcnt_dscnt 0xe09
	v_dual_mul_f32 v13, v204, v133 :: v_dual_mul_f32 v49, v203, v131
	v_mul_f32_e32 v51, v205, v133
	s_delay_alu instid0(VALU_DEP_3) | instskip(SKIP_1) | instid1(VALU_DEP_3)
	v_dual_mul_f32 v47, v201, v129 :: v_dual_fmac_f32 v9, v201, v128
	s_wait_loadcnt_dscnt 0xc07
	v_dual_mul_f32 v61, v215, v143 :: v_dual_fma_f32 v49, v202, v130, -v49
	s_wait_loadcnt_dscnt 0x601
	s_delay_alu instid0(VALU_DEP_2) | instskip(SKIP_2) | instid1(VALU_DEP_3)
	v_dual_mul_f32 v255, v238, v167 :: v_dual_fma_f32 v47, v200, v128, -v47
	v_dual_fmac_f32 v11, v203, v130 :: v_dual_add_f32 v9, 0, v9
	v_dual_mul_f32 v15, v206, v135 :: v_dual_mul_f32 v17, v208, v137
	v_dual_add_f32 v47, 0, v47 :: v_dual_mul_f32 v63, v217, v145
	v_dual_mul_f32 v53, v207, v135 :: v_dual_mul_f32 v55, v209, v137
	v_dual_fmac_f32 v13, v205, v132 :: v_dual_fma_f32 v51, v204, v132, -v51
	s_delay_alu instid0(VALU_DEP_3) | instskip(NEXT) | instid1(VALU_DEP_3)
	v_dual_add_f32 v9, v9, v11 :: v_dual_add_f32 v11, v47, v49
	v_dual_mul_f32 v47, v219, v147 :: v_dual_fma_f32 v49, v206, v134, -v53
	s_delay_alu instid0(VALU_DEP_2) | instskip(NEXT) | instid1(VALU_DEP_3)
	v_dual_fmac_f32 v15, v207, v134 :: v_dual_add_f32 v9, v9, v13
	v_dual_add_f32 v11, v11, v51 :: v_dual_mul_f32 v13, v221, v149
	v_dual_mul_f32 v19, v210, v139 :: v_dual_mul_f32 v21, v212, v141
	v_dual_mul_f32 v57, v211, v139 :: v_dual_mul_f32 v59, v213, v141
	v_dual_fmac_f32 v17, v209, v136 :: v_dual_fma_f32 v51, v208, v136, -v55
	s_delay_alu instid0(VALU_DEP_4) | instskip(NEXT) | instid1(VALU_DEP_3)
	v_dual_add_f32 v9, v9, v15 :: v_dual_add_f32 v11, v11, v49
	v_dual_mul_f32 v15, v223, v151 :: v_dual_fma_f32 v49, v210, v138, -v57
	s_delay_alu instid0(VALU_DEP_2) | instskip(NEXT) | instid1(VALU_DEP_3)
	v_dual_fmac_f32 v19, v211, v138 :: v_dual_add_f32 v9, v9, v17
	v_dual_add_f32 v11, v11, v51 :: v_dual_mul_f32 v17, v225, v153
	v_dual_mul_f32 v23, v214, v143 :: v_dual_mul_f32 v25, v216, v145
	v_dual_fmac_f32 v21, v213, v140 :: v_dual_fma_f32 v51, v212, v140, -v59
	s_delay_alu instid0(VALU_DEP_3) | instskip(SKIP_1) | instid1(VALU_DEP_2)
	v_dual_add_f32 v9, v9, v19 :: v_dual_add_f32 v11, v11, v49
	v_dual_mul_f32 v19, v227, v155 :: v_dual_fma_f32 v49, v214, v142, -v61
	v_dual_fmac_f32 v23, v215, v142 :: v_dual_add_f32 v9, v9, v21
	s_delay_alu instid0(VALU_DEP_3) | instskip(SKIP_2) | instid1(VALU_DEP_3)
	v_dual_add_f32 v11, v11, v51 :: v_dual_mul_f32 v21, v229, v157
	v_dual_mul_f32 v27, v218, v147 :: v_dual_mul_f32 v29, v220, v149
	v_dual_fmac_f32 v25, v217, v144 :: v_dual_fma_f32 v51, v216, v144, -v63
	v_dual_add_f32 v9, v9, v23 :: v_dual_add_f32 v11, v11, v49
	v_dual_mul_f32 v23, v231, v159 :: v_dual_fma_f32 v47, v218, v146, -v47
	s_delay_alu instid0(VALU_DEP_2) | instskip(NEXT) | instid1(VALU_DEP_3)
	v_dual_fmac_f32 v27, v219, v146 :: v_dual_add_f32 v9, v9, v25
	v_dual_add_f32 v11, v11, v51 :: v_dual_mul_f32 v25, v233, v161
	v_dual_mul_f32 v31, v222, v151 :: v_dual_mul_f32 v33, v224, v153
	s_delay_alu instid0(VALU_DEP_2) | instskip(NEXT) | instid1(VALU_DEP_4)
	v_dual_fmac_f32 v29, v221, v148 :: v_dual_add_f32 v11, v11, v47
	v_dual_fma_f32 v13, v220, v148, -v13 :: v_dual_add_f32 v9, v9, v27
	v_dual_mul_f32 v27, v235, v163 :: v_dual_fma_f32 v15, v222, v150, -v15
	s_delay_alu instid0(VALU_DEP_4) | instskip(NEXT) | instid1(VALU_DEP_3)
	v_fmac_f32_e32 v31, v223, v150
	v_dual_add_f32 v11, v11, v13 :: v_dual_fmac_f32 v33, v225, v152
	s_delay_alu instid0(VALU_DEP_4) | instskip(SKIP_2) | instid1(VALU_DEP_3)
	v_dual_add_f32 v9, v9, v29 :: v_dual_mul_f32 v35, v226, v155
	v_mul_f32_e32 v37, v228, v157
	v_dual_mul_f32 v13, v237, v165 :: v_dual_fma_f32 v17, v224, v152, -v17
	v_dual_add_f32 v9, v9, v31 :: v_dual_fmac_f32 v35, v227, v154
	v_dual_add_f32 v11, v11, v15 :: v_dual_fma_f32 v19, v226, v154, -v19
	s_delay_alu instid0(VALU_DEP_2) | instskip(SKIP_1) | instid1(VALU_DEP_3)
	v_dual_mul_f32 v15, v239, v167 :: v_dual_add_f32 v9, v9, v33
	v_dual_mul_f32 v39, v230, v159 :: v_dual_mul_f32 v41, v232, v161
	v_dual_add_f32 v11, v11, v17 :: v_dual_fmac_f32 v37, v229, v156
	s_wait_loadcnt 0x5
	v_dual_mul_f32 v17, v185, v169 :: v_dual_fma_f32 v21, v228, v156, -v21
	v_dual_add_f32 v9, v9, v35 :: v_dual_mov_b32 v128, v171
	s_delay_alu instid0(VALU_DEP_3) | instskip(NEXT) | instid1(VALU_DEP_2)
	v_dual_add_f32 v11, v11, v19 :: v_dual_fma_f32 v19, v230, v158, -v23
	v_dual_fmac_f32 v39, v231, v158 :: v_dual_add_f32 v9, v9, v37
	v_dual_mul_f32 v43, v234, v163 :: v_dual_mul_f32 v45, v236, v165
	s_delay_alu instid0(VALU_DEP_3) | instskip(NEXT) | instid1(VALU_DEP_3)
	v_dual_add_f32 v11, v11, v21 :: v_dual_fmac_f32 v41, v233, v160
	v_dual_fma_f32 v21, v232, v160, -v25 :: v_dual_add_f32 v9, v9, v39
	s_wait_loadcnt 0x4
	v_mov_b32_e32 v132, v175
	s_delay_alu instid0(VALU_DEP_3) | instskip(SKIP_2) | instid1(VALU_DEP_3)
	v_dual_add_f32 v11, v11, v19 :: v_dual_fma_f32 v19, v234, v162, -v27
	v_dual_fmac_f32 v43, v235, v162 :: v_dual_fmac_f32 v45, v237, v164
	v_add_f32_e32 v9, v9, v41
	v_dual_add_f32 v11, v11, v21 :: v_dual_fma_f32 v13, v236, v164, -v13
	v_pk_mul_f32 v[128:129], v[246:247], v[128:129] op_sel_hi:[1,0]
	s_set_vgpr_msb 64                       ;  msbs: dst=1 src0=0 src1=0 src2=0
	v_dual_mul_f32 v1 /*v257*/, v184, v169 :: v_dual_fma_f32 v0 /*v256*/, v184, v168, -v17
	s_set_vgpr_msb 0                        ;  msbs: dst=0 src0=0 src1=0 src2=0
	v_dual_add_f32 v9, v9, v43 :: v_dual_fmac_f32 v255, v239, v166
	v_dual_add_f32 v11, v11, v19 :: v_dual_fma_f32 v254, v238, v166, -v15
	v_pk_fma_f32 v[140:141], v[186:187], v[170:171], v[128:129] op_sel_hi:[1,0,1]
	s_wait_loadcnt 0x3
	s_delay_alu instid0(VALU_DEP_3) | instskip(NEXT) | instid1(VALU_DEP_3)
	v_dual_add_f32 v137, v9, v45 :: v_dual_mov_b32 v138, v179
	v_add_f32_e32 v136, v11, v13
	v_pk_fma_f32 v[128:129], v[186:187], v[170:171], v[128:129] neg_lo:[0,0,1] neg_hi:[0,0,1]
	v_pk_mul_f32 v[130:131], v[188:189], v[172:173] op_sel:[1,1] op_sel_hi:[0,1]
	s_set_vgpr_msb 64                       ;  msbs: dst=1 src0=0 src1=0 src2=0
	v_fmac_f32_e32 v1 /*v257*/, v185, v168
	s_set_vgpr_msb 0                        ;  msbs: dst=0 src0=0 src1=0 src2=0
	v_mov_b32_e32 v129, v141
	v_pk_add_f32 v[136:137], v[136:137], v[254:255]
	v_pk_mul_f32 v[132:133], v[248:249], v[132:133] op_sel_hi:[1,0]
	v_pk_fma_f32 v[142:143], v[188:189], v[172:173], v[130:131] op_sel_hi:[1,0,1]
	v_pk_fma_f32 v[130:131], v[188:189], v[172:173], v[130:131] neg_lo:[0,0,1] neg_hi:[0,0,1]
	v_pk_mul_f32 v[134:135], v[192:193], v[176:177] op_sel:[1,1] op_sel_hi:[0,1]
	s_set_vgpr_msb 4                        ;  msbs: dst=0 src0=0 src1=1 src2=0
	v_pk_add_f32 v[136:137], v[136:137], v[0:1] /*v[256:257]*/
	s_set_vgpr_msb 0                        ;  msbs: dst=0 src0=0 src1=0 src2=0
	v_pk_mul_f32 v[138:139], v[250:251], v[138:139] op_sel_hi:[1,0]
	v_mov_b32_e32 v131, v143
	v_pk_fma_f32 v[142:143], v[190:191], v[174:175], v[132:133] op_sel_hi:[1,0,1]
	v_pk_fma_f32 v[132:133], v[190:191], v[174:175], v[132:133] neg_lo:[0,0,1] neg_hi:[0,0,1]
	v_pk_add_f32 v[128:129], v[136:137], v[128:129]
	v_pk_fma_f32 v[136:137], v[192:193], v[176:177], v[134:135] op_sel_hi:[1,0,1]
	v_pk_fma_f32 v[134:135], v[192:193], v[176:177], v[134:135] neg_lo:[0,0,1] neg_hi:[0,0,1]
	v_mov_b32_e32 v133, v143
	s_wait_loadcnt 0x2
	v_pk_mul_f32 v[140:141], v[196:197], v[180:181] op_sel:[1,1] op_sel_hi:[0,1]
	v_pk_add_f32 v[128:129], v[128:129], v[130:131]
	v_dual_mov_b32 v130, v183 :: v_dual_mov_b32 v135, v137
	v_pk_fma_f32 v[136:137], v[194:195], v[178:179], v[138:139] op_sel_hi:[1,0,1]
	v_pk_fma_f32 v[138:139], v[194:195], v[178:179], v[138:139] neg_lo:[0,0,1] neg_hi:[0,0,1]
	s_delay_alu instid0(VALU_DEP_4)
	v_pk_add_f32 v[128:129], v[128:129], v[132:133]
	v_pk_fma_f32 v[132:133], v[196:197], v[180:181], v[140:141] op_sel_hi:[1,0,1]
	v_pk_mul_f32 v[130:131], v[252:253], v[130:131] op_sel_hi:[1,0]
	v_mov_b32_e32 v139, v137
	s_wait_loadcnt_dscnt 0x100
	v_pk_mul_f32 v[136:137], v[244:245], v[240:241] op_sel:[1,1] op_sel_hi:[0,1]
	v_pk_add_f32 v[128:129], v[128:129], v[134:135]
	v_pk_fma_f32 v[134:135], v[196:197], v[180:181], v[140:141] neg_lo:[0,0,1] neg_hi:[0,0,1]
	v_mov_b32_e32 v135, v133
	v_pk_fma_f32 v[132:133], v[198:199], v[182:183], v[130:131] op_sel_hi:[1,0,1]
	v_pk_fma_f32 v[130:131], v[198:199], v[182:183], v[130:131] neg_lo:[0,0,1] neg_hi:[0,0,1]
	v_pk_add_f32 v[128:129], v[128:129], v[138:139]
	s_delay_alu instid0(VALU_DEP_3) | instskip(SKIP_1) | instid1(VALU_DEP_3)
	v_mov_b32_e32 v131, v133
	v_pk_fma_f32 v[132:133], v[244:245], v[240:241], v[136:137] op_sel_hi:[1,0,1]
	v_pk_add_f32 v[128:129], v[128:129], v[134:135]
	v_pk_fma_f32 v[134:135], v[244:245], v[240:241], v[136:137] neg_lo:[0,0,1] neg_hi:[0,0,1]
	s_delay_alu instid0(VALU_DEP_3) | instskip(NEXT) | instid1(VALU_DEP_3)
	v_mov_b32_e32 v135, v133
	v_pk_add_f32 v[128:129], v[128:129], v[130:131]
	s_delay_alu instid0(VALU_DEP_1) | instskip(SKIP_1) | instid1(VALU_DEP_1)
	v_pk_add_f32 v[128:129], v[128:129], v[134:135]
	s_wait_loadcnt 0x0
	v_pk_add_f32 v[128:129], v[242:243], v[128:129] neg_lo:[0,1] neg_hi:[0,1]
	scratch_store_b64 off, v[128:129], off offset:264
	s_wait_xcnt 0x0
	v_cmpx_lt_u32_e32 32, v0
	s_cbranch_execz .LBB62_327
; %bb.326:
	scratch_load_b64 v[128:129], off, off offset:256
	v_mov_b64_e32 v[130:131], 0
	scratch_store_b64 off, v[130:131], off offset:256
	s_wait_loadcnt 0x0
	ds_store_b64 v1, v[128:129]
.LBB62_327:
	s_wait_xcnt 0x0
	s_or_b32 exec_lo, exec_lo, s0
	s_wait_storecnt_dscnt 0x0
	s_barrier_signal -1
	s_barrier_wait -1
	s_clause 0xf
	scratch_load_b128 v[128:131], off, off offset:264
	scratch_load_b128 v[132:135], off, off offset:280
	;; [unrolled: 1-line block ×15, first 2 shown]
	scratch_load_b64 v[248:249], off, off offset:256
	ds_load_2addr_b64 v[188:191], v5 offset0:119 offset1:120
	ds_load_2addr_b64 v[192:195], v5 offset0:121 offset1:122
	ds_load_2addr_b64 v[196:199], v5 offset0:123 offset1:124
	ds_load_2addr_b64 v[200:203], v5 offset0:125 offset1:126
	ds_load_2addr_b64 v[204:207], v5 offset0:97 offset1:98
	ds_load_2addr_b64 v[208:211], v5 offset0:99 offset1:100
	ds_load_2addr_b64 v[212:215], v5 offset0:117 offset1:118
	ds_load_2addr_b64 v[216:219], v5 offset0:101 offset1:102
	ds_load_2addr_b64 v[220:223], v5 offset0:103 offset1:104
	ds_load_2addr_b64 v[224:227], v5 offset0:105 offset1:106
	ds_load_2addr_b64 v[228:231], v5 offset0:107 offset1:108
	ds_load_2addr_b64 v[232:235], v5 offset0:109 offset1:110
	ds_load_2addr_b64 v[236:239], v5 offset0:111 offset1:112
	ds_load_2addr_b64 v[240:243], v5 offset0:113 offset1:114
	ds_load_2addr_b64 v[244:247], v5 offset0:115 offset1:116
	s_mov_b32 s0, exec_lo
	s_wait_dscnt 0xe
	v_dual_mov_b32 v250, v191 :: v_dual_mov_b32 v251, v190
	s_wait_dscnt 0xd
	v_dual_mov_b32 v252, v195 :: v_dual_mov_b32 v253, v194
	s_wait_dscnt 0xc
	v_dual_mov_b32 v254, v199 :: v_dual_mov_b32 v255, v198
	s_wait_dscnt 0xb
	s_set_vgpr_msb 64                       ;  msbs: dst=1 src0=0 src1=0 src2=0
	v_dual_mov_b32 v0 /*v256*/, v203 :: v_dual_mov_b32 v1 /*v257*/, v202
	s_wait_loadcnt_dscnt 0xf0a
	s_set_vgpr_msb 0                        ;  msbs: dst=0 src0=0 src1=0 src2=0
	v_dual_mul_f32 v5, v204, v129 :: v_dual_mul_f32 v9, v206, v131
	v_dual_mul_f32 v47, v205, v129 :: v_dual_mul_f32 v49, v207, v131
	s_wait_loadcnt_dscnt 0xe09
	v_dual_mul_f32 v11, v208, v133 :: v_dual_mul_f32 v13, v210, v135
	s_delay_alu instid0(VALU_DEP_2) | instskip(SKIP_3) | instid1(VALU_DEP_3)
	v_dual_fmac_f32 v5, v205, v128 :: v_dual_fma_f32 v47, v204, v128, -v47
	v_dual_mul_f32 v51, v209, v133 :: v_dual_mul_f32 v53, v211, v135
	s_wait_loadcnt_dscnt 0xc06
	v_dual_mul_f32 v59, v221, v141 :: v_dual_fmac_f32 v9, v207, v130
	v_dual_fma_f32 v49, v206, v130, -v49 :: v_dual_add_f32 v5, 0, v5
	v_dual_add_f32 v47, 0, v47 :: v_dual_fmac_f32 v11, v209, v132
	v_dual_mul_f32 v61, v223, v143 :: v_dual_fma_f32 v51, v208, v132, -v51
	s_delay_alu instid0(VALU_DEP_3) | instskip(NEXT) | instid1(VALU_DEP_3)
	v_dual_add_f32 v5, v5, v9 :: v_dual_fmac_f32 v13, v211, v134
	v_dual_add_f32 v9, v47, v49 :: v_dual_fma_f32 v49, v210, v134, -v53
	v_dual_mul_f32 v15, v216, v137 :: v_dual_mul_f32 v17, v218, v139
	v_dual_mul_f32 v55, v217, v137 :: v_dual_mul_f32 v57, v219, v139
	s_delay_alu instid0(VALU_DEP_3) | instskip(NEXT) | instid1(VALU_DEP_3)
	v_add_f32_e32 v9, v9, v51
	v_dual_add_f32 v5, v5, v11 :: v_dual_fmac_f32 v17, v219, v138
	s_wait_loadcnt_dscnt 0xb05
	s_delay_alu instid0(VALU_DEP_3) | instskip(NEXT) | instid1(VALU_DEP_3)
	v_dual_fma_f32 v51, v216, v136, -v55 :: v_dual_mul_f32 v47, v225, v145
	v_dual_mul_f32 v11, v227, v147 :: v_dual_add_f32 v9, v9, v49
	v_dual_fmac_f32 v15, v217, v136 :: v_dual_fma_f32 v49, v218, v138, -v57
	v_add_f32_e32 v5, v5, v13
	v_dual_mul_f32 v19, v220, v141 :: v_dual_mul_f32 v21, v222, v143
	s_delay_alu instid0(VALU_DEP_4) | instskip(NEXT) | instid1(VALU_DEP_3)
	v_dual_add_f32 v9, v9, v51 :: v_dual_fma_f32 v47, v224, v144, -v47
	v_dual_add_f32 v5, v5, v15 :: v_dual_fma_f32 v51, v220, v140, -v59
	v_dual_mul_f32 v23, v224, v145 :: v_dual_mul_f32 v25, v226, v147
	s_delay_alu instid0(VALU_DEP_3) | instskip(SKIP_2) | instid1(VALU_DEP_3)
	v_dual_add_f32 v9, v9, v49 :: v_dual_fma_f32 v11, v226, v146, -v11
	s_wait_loadcnt_dscnt 0xa04
	v_dual_mul_f32 v27, v228, v149 :: v_dual_mul_f32 v29, v230, v151
	v_dual_fmac_f32 v19, v221, v140 :: v_dual_fmac_f32 v25, v227, v146
	v_dual_fma_f32 v49, v222, v142, -v61 :: v_dual_add_f32 v5, v5, v17
	s_delay_alu instid0(VALU_DEP_3)
	v_dual_add_f32 v9, v9, v51 :: v_dual_fmac_f32 v29, v231, v150
	s_wait_loadcnt_dscnt 0x903
	v_dual_mul_f32 v31, v232, v153 :: v_dual_mul_f32 v33, v234, v155
	v_dual_mul_f32 v13, v229, v149 :: v_dual_fmac_f32 v21, v223, v142
	v_mul_f32_e32 v17, v233, v153
	v_add_f32_e32 v5, v5, v19
	v_dual_add_f32 v9, v9, v49 :: v_dual_mul_f32 v15, v231, v151
	s_delay_alu instid0(VALU_DEP_4) | instskip(NEXT) | instid1(VALU_DEP_3)
	v_fma_f32 v13, v228, v148, -v13
	v_dual_fmac_f32 v33, v235, v154 :: v_dual_add_f32 v5, v5, v21
	s_wait_loadcnt_dscnt 0x802
	v_mul_f32_e32 v21, v237, v157
	s_wait_loadcnt_dscnt 0x701
	v_dual_add_f32 v9, v9, v47 :: v_dual_mul_f32 v39, v240, v161
	v_dual_mul_f32 v41, v242, v163 :: v_dual_fmac_f32 v23, v225, v144
	s_delay_alu instid0(VALU_DEP_2) | instskip(SKIP_1) | instid1(VALU_DEP_3)
	v_dual_fma_f32 v21, v236, v156, -v21 :: v_dual_add_f32 v9, v9, v11
	v_dual_fma_f32 v15, v230, v150, -v15 :: v_dual_mul_f32 v19, v235, v155
	v_dual_fmac_f32 v41, v243, v162 :: v_dual_mul_f32 v35, v236, v157
	s_delay_alu instid0(VALU_DEP_3) | instskip(SKIP_1) | instid1(VALU_DEP_4)
	v_dual_mul_f32 v37, v238, v159 :: v_dual_add_f32 v9, v9, v13
	v_mul_f32_e32 v13, v243, v163
	v_dual_add_f32 v5, v5, v23 :: v_dual_fma_f32 v19, v234, v154, -v19
	v_dual_mul_f32 v23, v239, v159 :: v_dual_fma_f32 v17, v232, v152, -v17
	s_delay_alu instid0(VALU_DEP_4) | instskip(SKIP_1) | instid1(VALU_DEP_4)
	v_add_f32_e32 v9, v9, v15
	v_fmac_f32_e32 v27, v229, v148
	v_dual_add_f32 v5, v5, v25 :: v_dual_fmac_f32 v37, v239, v158
	v_mul_f32_e32 v11, v241, v161
	s_wait_loadcnt_dscnt 0x600
	v_dual_add_f32 v9, v9, v17 :: v_dual_mul_f32 v17, v247, v167
	v_dual_fmac_f32 v31, v233, v152 :: v_dual_fma_f32 v13, v242, v162, -v13
	s_wait_loadcnt 0x4
	v_pk_mul_f32 v[128:129], v[188:189], v[172:173] op_sel:[1,1] op_sel_hi:[0,1]
	s_delay_alu instid0(VALU_DEP_3) | instskip(SKIP_3) | instid1(VALU_DEP_3)
	v_dual_add_f32 v9, v9, v19 :: v_dual_mov_b32 v130, v175
	v_dual_mul_f32 v43, v244, v165 :: v_dual_mul_f32 v45, v246, v167
	s_wait_loadcnt 0x3
	v_dual_fmac_f32 v35, v237, v156 :: v_dual_mov_b32 v134, v179
	v_dual_add_f32 v9, v9, v21 :: v_dual_mul_f32 v21, v215, v171
	v_dual_add_f32 v5, v5, v27 :: v_dual_fma_f32 v11, v240, v160, -v11
	v_pk_fma_f32 v[138:139], v[188:189], v[172:173], v[128:129] op_sel_hi:[1,0,1]
	v_pk_mul_f32 v[130:131], v[250:251], v[130:131] op_sel_hi:[1,0]
	v_pk_fma_f32 v[128:129], v[188:189], v[172:173], v[128:129] neg_lo:[0,0,1] neg_hi:[0,0,1]
	s_delay_alu instid0(VALU_DEP_4)
	v_add_f32_e32 v5, v5, v29
	v_pk_mul_f32 v[132:133], v[192:193], v[176:177] op_sel:[1,1] op_sel_hi:[0,1]
	v_fmac_f32_e32 v45, v247, v166
	v_mov_b32_e32 v129, v139
	v_pk_fma_f32 v[138:139], v[190:191], v[174:175], v[130:131] op_sel_hi:[1,0,1]
	v_add_f32_e32 v5, v5, v31
	v_pk_mul_f32 v[134:135], v[252:253], v[134:135] op_sel_hi:[1,0]
	v_pk_fma_f32 v[130:131], v[190:191], v[174:175], v[130:131] neg_lo:[0,0,1] neg_hi:[0,0,1]
	v_fma_f32 v23, v238, v158, -v23
	v_pk_fma_f32 v[142:143], v[192:193], v[176:177], v[132:133] op_sel_hi:[1,0,1]
	v_dual_add_f32 v5, v5, v33 :: v_dual_mov_b32 v131, v139
	v_pk_fma_f32 v[138:139], v[194:195], v[178:179], v[134:135] op_sel_hi:[1,0,1]
	v_pk_fma_f32 v[132:133], v[192:193], v[176:177], v[132:133] neg_lo:[0,0,1] neg_hi:[0,0,1]
	v_pk_fma_f32 v[134:135], v[194:195], v[178:179], v[134:135] neg_lo:[0,0,1] neg_hi:[0,0,1]
	s_delay_alu instid0(VALU_DEP_4) | instskip(NEXT) | instid1(VALU_DEP_4)
	v_dual_add_f32 v5, v5, v35 :: v_dual_mov_b32 v133, v143
	v_dual_fmac_f32 v39, v241, v160 :: v_dual_mov_b32 v135, v139
	v_add_f32_e32 v9, v9, v23
	s_delay_alu instid0(VALU_DEP_3)
	v_add_f32_e32 v5, v5, v37
	v_dual_mul_f32 v15, v245, v165 :: v_dual_fmac_f32 v43, v245, v164
	s_set_vgpr_msb 64                       ;  msbs: dst=1 src0=0 src1=0 src2=0
	v_dual_mul_f32 v3 /*v259*/, v212, v169 :: v_dual_mul_f32 v5 /*v261*/, v214, v171
	s_set_vgpr_msb 0                        ;  msbs: dst=0 src0=0 src1=0 src2=0
	v_add_f32_e32 v5, v5, v39
	v_dual_add_f32 v9, v9, v11 :: v_dual_fma_f32 v11, v244, v164, -v15
	v_mul_f32_e32 v19, v213, v169
	s_set_vgpr_msb 64                       ;  msbs: dst=1 src0=0 src1=0 src2=0
	v_dual_fmac_f32 v3 /*v259*/, v213, v168 :: v_dual_fmac_f32 v5 /*v261*/, v215, v170
	s_set_vgpr_msb 0                        ;  msbs: dst=0 src0=0 src1=0 src2=0
	v_add_f32_e32 v5, v5, v41
	v_dual_add_f32 v9, v9, v13 :: v_dual_fma_f32 v13, v246, v166, -v17
	s_set_vgpr_msb 64                       ;  msbs: dst=1 src0=0 src1=0 src2=0
	v_dual_fma_f32 v2 /*v258*/, v212, v168, -v19 :: v_dual_fma_f32 v4 /*v260*/, v214, v170, -v21
	s_set_vgpr_msb 0                        ;  msbs: dst=0 src0=0 src1=0 src2=0
	v_add_f32_e32 v5, v5, v43
	v_add_f32_e32 v9, v9, v11
	s_wait_loadcnt 0x2
	v_pk_mul_f32 v[140:141], v[196:197], v[180:181] op_sel:[1,1] op_sel_hi:[0,1]
	s_delay_alu instid0(VALU_DEP_3) | instskip(NEXT) | instid1(VALU_DEP_3)
	v_add_f32_e32 v137, v5, v45
	v_add_f32_e32 v136, v9, v13
	s_delay_alu instid0(VALU_DEP_3) | instskip(SKIP_1) | instid1(VALU_DEP_2)
	v_pk_fma_f32 v[138:139], v[196:197], v[180:181], v[140:141] neg_lo:[0,0,1] neg_hi:[0,0,1]
	s_set_vgpr_msb 4                        ;  msbs: dst=0 src0=0 src1=1 src2=0
	v_pk_add_f32 v[136:137], v[136:137], v[2:3] /*v[258:259]*/
	s_delay_alu instid0(VALU_DEP_1) | instskip(SKIP_1) | instid1(VALU_DEP_1)
	v_pk_add_f32 v[136:137], v[136:137], v[4:5] /*v[260:261]*/
	s_set_vgpr_msb 0                        ;  msbs: dst=0 src0=0 src1=0 src2=0
	v_pk_add_f32 v[128:129], v[136:137], v[128:129]
	v_mov_b32_e32 v136, v183
	s_delay_alu instid0(VALU_DEP_2) | instskip(SKIP_1) | instid1(VALU_DEP_3)
	v_pk_add_f32 v[128:129], v[128:129], v[130:131]
	v_pk_fma_f32 v[130:131], v[196:197], v[180:181], v[140:141] op_sel_hi:[1,0,1]
	v_pk_mul_f32 v[136:137], v[254:255], v[136:137] op_sel_hi:[1,0]
	s_delay_alu instid0(VALU_DEP_3) | instskip(NEXT) | instid1(VALU_DEP_3)
	v_pk_add_f32 v[128:129], v[128:129], v[132:133]
	v_mov_b32_e32 v139, v131
	s_delay_alu instid0(VALU_DEP_3)
	v_pk_fma_f32 v[130:131], v[198:199], v[182:183], v[136:137] op_sel_hi:[1,0,1]
	s_wait_loadcnt 0x1
	v_pk_mul_f32 v[132:133], v[200:201], v[184:185] op_sel:[1,1] op_sel_hi:[0,1]
	v_mov_b32_e32 v130, v187
	v_pk_add_f32 v[128:129], v[128:129], v[134:135]
	v_pk_fma_f32 v[136:137], v[198:199], v[182:183], v[136:137] neg_lo:[0,0,1] neg_hi:[0,0,1]
	v_mov_b32_e32 v137, v131
	v_pk_fma_f32 v[134:135], v[200:201], v[184:185], v[132:133] op_sel_hi:[1,0,1]
	s_set_vgpr_msb 1                        ;  msbs: dst=0 src0=1 src1=0 src2=0
	v_pk_mul_f32 v[130:131], v[0:1] /*v[256:257]*/, v[130:131] op_sel_hi:[1,0]
	s_set_vgpr_msb 0                        ;  msbs: dst=0 src0=0 src1=0 src2=0
	v_pk_add_f32 v[128:129], v[128:129], v[138:139]
	v_pk_fma_f32 v[132:133], v[200:201], v[184:185], v[132:133] neg_lo:[0,0,1] neg_hi:[0,0,1]
	v_mov_b32_e32 v133, v135
	v_pk_fma_f32 v[134:135], v[202:203], v[186:187], v[130:131] op_sel_hi:[1,0,1]
	s_delay_alu instid0(VALU_DEP_4) | instskip(SKIP_1) | instid1(VALU_DEP_3)
	v_pk_add_f32 v[128:129], v[128:129], v[136:137]
	v_pk_fma_f32 v[130:131], v[202:203], v[186:187], v[130:131] neg_lo:[0,0,1] neg_hi:[0,0,1]
	v_mov_b32_e32 v131, v135
	s_delay_alu instid0(VALU_DEP_3) | instskip(NEXT) | instid1(VALU_DEP_1)
	v_pk_add_f32 v[128:129], v[128:129], v[132:133]
	v_pk_add_f32 v[128:129], v[128:129], v[130:131]
	s_wait_loadcnt 0x0
	s_delay_alu instid0(VALU_DEP_1)
	v_pk_add_f32 v[128:129], v[248:249], v[128:129] neg_lo:[0,1] neg_hi:[0,1]
	scratch_store_b64 off, v[128:129], off offset:256
	s_wait_xcnt 0x0
	v_cmpx_lt_u32_e32 31, v0
	s_cbranch_execz .LBB62_329
; %bb.328:
	scratch_load_b64 v[128:129], off, off offset:248
	v_mov_b64_e32 v[130:131], 0
	scratch_store_b64 off, v[130:131], off offset:248
	s_wait_loadcnt 0x0
	ds_store_b64 v1, v[128:129]
.LBB62_329:
	s_wait_xcnt 0x0
	s_or_b32 exec_lo, exec_lo, s0
	s_wait_storecnt_dscnt 0x0
	s_barrier_signal -1
	s_barrier_wait -1
	s_clause 0x10
	scratch_load_b128 v[128:131], off, off offset:256
	scratch_load_b128 v[132:135], off, off offset:272
	;; [unrolled: 1-line block ×15, first 2 shown]
	scratch_load_b64 v[248:249], off, off offset:496
	scratch_load_b64 v[250:251], off, off offset:248
	v_mov_b32_e32 v5, 0
	ds_load_b128 v[188:191], v5 offset:944
	ds_load_b128 v[192:195], v5 offset:960
	;; [unrolled: 1-line block ×15, first 2 shown]
	ds_load_b64 v[252:253], v5 offset:1008
	s_mov_b32 s0, exec_lo
	s_wait_dscnt 0xf
	v_dual_mov_b32 v255, v190 :: v_dual_mov_b32 v254, v191
	s_wait_dscnt 0xe
	s_set_vgpr_msb 64                       ;  msbs: dst=1 src0=0 src1=0 src2=0
	v_dual_mov_b32 v0 /*v256*/, v195 :: v_dual_mov_b32 v1 /*v257*/, v194
	s_wait_dscnt 0xd
	v_dual_mov_b32 v2 /*v258*/, v199 :: v_dual_mov_b32 v3 /*v259*/, v198
	s_wait_dscnt 0xc
	v_dual_mov_b32 v4 /*v260*/, v203 :: v_dual_mov_b32 v5 /*v261*/, v202
	s_wait_loadcnt_dscnt 0x100b
	s_set_vgpr_msb 0                        ;  msbs: dst=0 src0=0 src1=0 src2=0
	v_dual_mul_f32 v9, v204, v129 :: v_dual_mul_f32 v51, v205, v129
	v_dual_mul_f32 v53, v207, v131 :: v_dual_mul_f32 v11, v206, v131
	s_wait_loadcnt_dscnt 0xf09
	v_mul_f32_e32 v13, v212, v133
	s_wait_loadcnt_dscnt 0xd07
	v_dual_mul_f32 v63, v221, v141 :: v_dual_fma_f32 v51, v204, v128, -v51
	v_dual_fmac_f32 v9, v205, v128 :: v_dual_mul_f32 v65, v223, v143
	v_dual_mul_f32 v55, v213, v133 :: v_dual_mul_f32 v57, v215, v135
	v_dual_fmac_f32 v11, v207, v130 :: v_dual_fma_f32 v53, v206, v130, -v53
	s_delay_alu instid0(VALU_DEP_3) | instskip(SKIP_4) | instid1(VALU_DEP_3)
	v_dual_add_f32 v9, 0, v9 :: v_dual_add_f32 v51, 0, v51
	v_dual_mul_f32 v15, v214, v135 :: v_dual_mul_f32 v17, v216, v137
	s_wait_loadcnt_dscnt 0xc06
	v_dual_mul_f32 v67, v225, v145 :: v_dual_fma_f32 v55, v212, v132, -v55
	v_fmac_f32_e32 v13, v213, v132
	v_dual_add_f32 v9, v9, v11 :: v_dual_fmac_f32 v15, v215, v134
	v_add_f32_e32 v11, v51, v53
	v_dual_mul_f32 v59, v217, v137 :: v_dual_mul_f32 v61, v219, v139
	v_dual_mul_f32 v51, v227, v147 :: v_dual_fma_f32 v53, v214, v134, -v57
	s_delay_alu instid0(VALU_DEP_3) | instskip(SKIP_3) | instid1(VALU_DEP_3)
	v_dual_add_f32 v9, v9, v13 :: v_dual_add_f32 v11, v11, v55
	v_dual_mul_f32 v19, v218, v139 :: v_dual_mul_f32 v21, v220, v141
	s_wait_loadcnt_dscnt 0xb05
	v_dual_mul_f32 v13, v229, v149 :: v_dual_fma_f32 v55, v216, v136, -v59
	v_dual_fmac_f32 v17, v217, v136 :: v_dual_add_f32 v11, v11, v53
	s_delay_alu instid0(VALU_DEP_3) | instskip(SKIP_1) | instid1(VALU_DEP_2)
	v_dual_add_f32 v9, v9, v15 :: v_dual_fmac_f32 v19, v219, v138
	v_dual_mul_f32 v15, v231, v151 :: v_dual_fma_f32 v53, v218, v138, -v61
	v_dual_add_f32 v11, v11, v55 :: v_dual_add_f32 v9, v9, v17
	v_dual_mul_f32 v23, v222, v143 :: v_dual_mul_f32 v25, v224, v145
	s_wait_loadcnt_dscnt 0xa04
	v_dual_mul_f32 v17, v233, v153 :: v_dual_fma_f32 v55, v220, v140, -v63
	s_delay_alu instid0(VALU_DEP_3) | instskip(NEXT) | instid1(VALU_DEP_3)
	v_dual_fmac_f32 v21, v221, v140 :: v_dual_add_f32 v11, v11, v53
	v_dual_add_f32 v9, v9, v19 :: v_dual_fmac_f32 v23, v223, v142
	v_dual_mul_f32 v19, v235, v155 :: v_dual_fma_f32 v53, v222, v142, -v65
	s_delay_alu instid0(VALU_DEP_2) | instskip(SKIP_3) | instid1(VALU_DEP_3)
	v_dual_add_f32 v11, v11, v55 :: v_dual_add_f32 v9, v9, v21
	v_dual_mul_f32 v27, v226, v147 :: v_dual_mul_f32 v29, v228, v149
	s_wait_loadcnt_dscnt 0x903
	v_dual_mul_f32 v21, v237, v157 :: v_dual_fma_f32 v55, v224, v144, -v67
	v_dual_fmac_f32 v25, v225, v144 :: v_dual_add_f32 v11, v11, v53
	s_delay_alu instid0(VALU_DEP_3) | instskip(SKIP_1) | instid1(VALU_DEP_2)
	v_dual_add_f32 v9, v9, v23 :: v_dual_fmac_f32 v27, v227, v146
	v_dual_mul_f32 v23, v239, v159 :: v_dual_fma_f32 v51, v226, v146, -v51
	v_dual_add_f32 v11, v11, v55 :: v_dual_add_f32 v9, v9, v25
	v_dual_mul_f32 v31, v230, v151 :: v_dual_mul_f32 v33, v232, v153
	s_wait_loadcnt_dscnt 0x802
	v_dual_mul_f32 v25, v241, v161 :: v_dual_fma_f32 v13, v228, v148, -v13
	s_delay_alu instid0(VALU_DEP_3) | instskip(NEXT) | instid1(VALU_DEP_3)
	v_dual_fmac_f32 v29, v229, v148 :: v_dual_add_f32 v11, v11, v51
	v_dual_add_f32 v9, v9, v27 :: v_dual_fmac_f32 v31, v231, v150
	v_dual_mul_f32 v27, v243, v163 :: v_dual_fma_f32 v15, v230, v150, -v15
	s_delay_alu instid0(VALU_DEP_3) | instskip(NEXT) | instid1(VALU_DEP_3)
	v_dual_add_f32 v11, v11, v13 :: v_dual_fmac_f32 v33, v233, v152
	v_dual_add_f32 v9, v9, v29 :: v_dual_fma_f32 v17, v232, v152, -v17
	v_dual_mul_f32 v35, v234, v155 :: v_dual_mul_f32 v37, v236, v157
	s_wait_loadcnt_dscnt 0x701
	s_delay_alu instid0(VALU_DEP_3) | instskip(NEXT) | instid1(VALU_DEP_2)
	v_dual_mul_f32 v13, v245, v165 :: v_dual_add_f32 v11, v11, v15
	v_dual_add_f32 v9, v9, v31 :: v_dual_fmac_f32 v35, v235, v154
	v_dual_mul_f32 v15, v247, v167 :: v_dual_fma_f32 v19, v234, v154, -v19
	s_delay_alu instid0(VALU_DEP_3) | instskip(NEXT) | instid1(VALU_DEP_3)
	v_dual_add_f32 v11, v11, v17 :: v_dual_fmac_f32 v37, v237, v156
	v_dual_add_f32 v9, v9, v33 :: v_dual_fma_f32 v21, v236, v156, -v21
	v_dual_mul_f32 v39, v238, v159 :: v_dual_mul_f32 v41, v240, v161
	s_wait_loadcnt 0x6
	s_delay_alu instid0(VALU_DEP_3) | instskip(NEXT) | instid1(VALU_DEP_2)
	v_dual_mul_f32 v17, v209, v169 :: v_dual_add_f32 v11, v11, v19
	v_dual_add_f32 v9, v9, v35 :: v_dual_fmac_f32 v39, v239, v158
	v_dual_mul_f32 v19, v211, v171 :: v_dual_fma_f32 v23, v238, v158, -v23
	s_delay_alu instid0(VALU_DEP_3) | instskip(NEXT) | instid1(VALU_DEP_3)
	v_dual_add_f32 v11, v11, v21 :: v_dual_fmac_f32 v41, v241, v160
	v_dual_add_f32 v9, v9, v37 :: v_dual_fma_f32 v25, v240, v160, -v25
	v_dual_mul_f32 v43, v242, v163 :: v_dual_mul_f32 v45, v244, v165
	s_wait_loadcnt 0x5
	s_delay_alu instid0(VALU_DEP_3) | instskip(NEXT) | instid1(VALU_DEP_3)
	v_dual_mul_f32 v21, v189, v173 :: v_dual_add_f32 v11, v11, v23
	v_dual_add_f32 v9, v9, v39 :: v_dual_mov_b32 v128, v175
	s_delay_alu instid0(VALU_DEP_3) | instskip(NEXT) | instid1(VALU_DEP_3)
	v_fmac_f32_e32 v43, v243, v162
	v_dual_fma_f32 v23, v242, v162, -v27 :: v_dual_add_f32 v11, v11, v25
	s_delay_alu instid0(VALU_DEP_3) | instskip(SKIP_1) | instid1(VALU_DEP_3)
	v_dual_add_f32 v9, v9, v41 :: v_dual_mul_f32 v47, v246, v167
	v_dual_mul_f32 v49, v208, v169 :: v_dual_fmac_f32 v45, v245, v164
	v_dual_add_f32 v11, v11, v23 :: v_dual_fma_f32 v13, v244, v164, -v13
	s_wait_loadcnt 0x4
	s_delay_alu instid0(VALU_DEP_3) | instskip(SKIP_3) | instid1(VALU_DEP_4)
	v_dual_add_f32 v9, v9, v43 :: v_dual_mov_b32 v132, v179
	v_fma_f32 v15, v246, v166, -v15
	v_fmac_f32_e32 v47, v247, v166
	v_dual_add_f32 v11, v11, v13 :: v_dual_fmac_f32 v49, v209, v168
	v_add_f32_e32 v9, v9, v45
	s_set_vgpr_msb 64                       ;  msbs: dst=1 src0=0 src1=0 src2=0
	v_dual_mul_f32 v7 /*v263*/, v210, v171 :: v_dual_mul_f32 v9 /*v265*/, v188, v173
	s_set_vgpr_msb 0                        ;  msbs: dst=0 src0=0 src1=0 src2=0
	v_fma_f32 v13, v208, v168, -v17
	v_pk_mul_f32 v[128:129], v[254:255], v[128:129] op_sel_hi:[1,0]
	v_add_f32_e32 v9, v9, v47
	v_add_f32_e32 v11, v11, v15
	s_set_vgpr_msb 64                       ;  msbs: dst=1 src0=0 src1=0 src2=0
	v_dual_fmac_f32 v7 /*v263*/, v211, v170 :: v_dual_fmac_f32 v9 /*v265*/, v189, v172
	v_dual_fma_f32 v6 /*v262*/, v210, v170, -v19 :: v_dual_fma_f32 v8 /*v264*/, v188, v172, -v21
	s_set_vgpr_msb 0                        ;  msbs: dst=0 src0=0 src1=0 src2=0
	v_add_f32_e32 v137, v9, v49
	v_pk_fma_f32 v[140:141], v[190:191], v[174:175], v[128:129] op_sel_hi:[1,0,1]
	v_add_f32_e32 v136, v11, v13
	v_pk_fma_f32 v[128:129], v[190:191], v[174:175], v[128:129] neg_lo:[0,0,1] neg_hi:[0,0,1]
	v_pk_mul_f32 v[130:131], v[192:193], v[176:177] op_sel:[1,1] op_sel_hi:[0,1]
	s_set_vgpr_msb 1                        ;  msbs: dst=0 src0=1 src1=0 src2=0
	v_pk_mul_f32 v[132:133], v[0:1] /*v[256:257]*/, v[132:133] op_sel_hi:[1,0]
	s_set_vgpr_msb 4                        ;  msbs: dst=0 src0=0 src1=1 src2=0
	v_mov_b32_e32 v129, v141
	v_pk_add_f32 v[136:137], v[136:137], v[6:7] /*v[262:263]*/
	s_wait_loadcnt 0x3
	s_set_vgpr_msb 0                        ;  msbs: dst=0 src0=0 src1=0 src2=0
	v_pk_mul_f32 v[134:135], v[196:197], v[180:181] op_sel:[1,1] op_sel_hi:[0,1]
	v_pk_fma_f32 v[142:143], v[192:193], v[176:177], v[130:131] op_sel_hi:[1,0,1]
	v_pk_fma_f32 v[130:131], v[192:193], v[176:177], v[130:131] neg_lo:[0,0,1] neg_hi:[0,0,1]
	v_mov_b32_e32 v138, v183
	s_set_vgpr_msb 4                        ;  msbs: dst=0 src0=0 src1=1 src2=0
	v_pk_add_f32 v[136:137], v[136:137], v[8:9] /*v[264:265]*/
	s_wait_loadcnt 0x2
	s_set_vgpr_msb 0                        ;  msbs: dst=0 src0=0 src1=0 src2=0
	v_pk_mul_f32 v[140:141], v[200:201], v[184:185] op_sel:[1,1] op_sel_hi:[0,1]
	v_mov_b32_e32 v131, v143
	v_pk_fma_f32 v[142:143], v[194:195], v[178:179], v[132:133] op_sel_hi:[1,0,1]
	v_pk_fma_f32 v[132:133], v[194:195], v[178:179], v[132:133] neg_lo:[0,0,1] neg_hi:[0,0,1]
	v_pk_add_f32 v[128:129], v[136:137], v[128:129]
	v_pk_fma_f32 v[136:137], v[196:197], v[180:181], v[134:135] op_sel_hi:[1,0,1]
	s_set_vgpr_msb 1                        ;  msbs: dst=0 src0=1 src1=0 src2=0
	v_pk_mul_f32 v[138:139], v[2:3] /*v[258:259]*/, v[138:139] op_sel_hi:[1,0]
	s_set_vgpr_msb 0                        ;  msbs: dst=0 src0=0 src1=0 src2=0
	v_mov_b32_e32 v133, v143
	v_pk_fma_f32 v[134:135], v[196:197], v[180:181], v[134:135] neg_lo:[0,0,1] neg_hi:[0,0,1]
	v_pk_add_f32 v[128:129], v[128:129], v[130:131]
	v_dual_mov_b32 v130, v187 :: v_dual_mov_b32 v135, v137
	v_pk_fma_f32 v[136:137], v[198:199], v[182:183], v[138:139] op_sel_hi:[1,0,1]
	v_pk_fma_f32 v[138:139], v[198:199], v[182:183], v[138:139] neg_lo:[0,0,1] neg_hi:[0,0,1]
	s_delay_alu instid0(VALU_DEP_4)
	v_pk_add_f32 v[128:129], v[128:129], v[132:133]
	v_pk_fma_f32 v[132:133], v[200:201], v[184:185], v[140:141] op_sel_hi:[1,0,1]
	s_set_vgpr_msb 1                        ;  msbs: dst=0 src0=1 src1=0 src2=0
	v_pk_mul_f32 v[130:131], v[4:5] /*v[260:261]*/, v[130:131] op_sel_hi:[1,0]
	s_set_vgpr_msb 0                        ;  msbs: dst=0 src0=0 src1=0 src2=0
	v_mov_b32_e32 v139, v137
	s_wait_loadcnt_dscnt 0x100
	v_pk_mul_f32 v[136:137], v[252:253], v[248:249] op_sel:[1,1] op_sel_hi:[0,1]
	v_pk_add_f32 v[128:129], v[128:129], v[134:135]
	v_pk_fma_f32 v[134:135], v[200:201], v[184:185], v[140:141] neg_lo:[0,0,1] neg_hi:[0,0,1]
	v_mov_b32_e32 v135, v133
	v_pk_fma_f32 v[132:133], v[202:203], v[186:187], v[130:131] op_sel_hi:[1,0,1]
	v_pk_fma_f32 v[130:131], v[202:203], v[186:187], v[130:131] neg_lo:[0,0,1] neg_hi:[0,0,1]
	v_pk_add_f32 v[128:129], v[128:129], v[138:139]
	s_delay_alu instid0(VALU_DEP_3) | instskip(SKIP_1) | instid1(VALU_DEP_3)
	v_mov_b32_e32 v131, v133
	v_pk_fma_f32 v[132:133], v[252:253], v[248:249], v[136:137] op_sel_hi:[1,0,1]
	v_pk_add_f32 v[128:129], v[128:129], v[134:135]
	v_pk_fma_f32 v[134:135], v[252:253], v[248:249], v[136:137] neg_lo:[0,0,1] neg_hi:[0,0,1]
	s_delay_alu instid0(VALU_DEP_3) | instskip(NEXT) | instid1(VALU_DEP_3)
	v_mov_b32_e32 v135, v133
	v_pk_add_f32 v[128:129], v[128:129], v[130:131]
	s_delay_alu instid0(VALU_DEP_1) | instskip(SKIP_1) | instid1(VALU_DEP_1)
	v_pk_add_f32 v[128:129], v[128:129], v[134:135]
	s_wait_loadcnt 0x0
	v_pk_add_f32 v[128:129], v[250:251], v[128:129] neg_lo:[0,1] neg_hi:[0,1]
	scratch_store_b64 off, v[128:129], off offset:248
	s_wait_xcnt 0x0
	v_cmpx_lt_u32_e32 30, v0
	s_cbranch_execz .LBB62_331
; %bb.330:
	scratch_load_b64 v[128:129], off, off offset:240
	v_mov_b64_e32 v[130:131], 0
	scratch_store_b64 off, v[130:131], off offset:240
	s_wait_loadcnt 0x0
	ds_store_b64 v1, v[128:129]
.LBB62_331:
	s_wait_xcnt 0x0
	s_or_b32 exec_lo, exec_lo, s0
	s_wait_storecnt_dscnt 0x0
	s_barrier_signal -1
	s_barrier_wait -1
	s_clause 0x11
	scratch_load_b128 v[128:131], off, off offset:248
	scratch_load_b128 v[132:135], off, off offset:264
	;; [unrolled: 1-line block ×16, first 2 shown]
	s_set_vgpr_msb 64                       ;  msbs: dst=1 src0=0 src1=0 src2=0
	scratch_load_b64 v[0:1] /*v[256:257]*/, off, off offset:240
	s_set_vgpr_msb 0                        ;  msbs: dst=0 src0=0 src1=0 src2=0
	ds_load_2addr_b64 v[192:195], v5 offset0:119 offset1:120
	ds_load_2addr_b64 v[196:199], v5 offset0:121 offset1:122
	;; [unrolled: 1-line block ×16, first 2 shown]
	s_mov_b32 s0, exec_lo
	s_wait_dscnt 0xf
	s_set_vgpr_msb 64                       ;  msbs: dst=1 src0=0 src1=0 src2=0
	v_dual_mov_b32 v2 /*v258*/, v195 :: v_dual_mov_b32 v3 /*v259*/, v194
	s_wait_dscnt 0xe
	v_dual_mov_b32 v4 /*v260*/, v199 :: v_dual_mov_b32 v5 /*v261*/, v198
	s_wait_dscnt 0xd
	;; [unrolled: 2-line block ×3, first 2 shown]
	v_dual_mov_b32 v8 /*v264*/, v207 :: v_dual_mov_b32 v9 /*v265*/, v206
	s_wait_loadcnt_dscnt 0x100b
	s_set_vgpr_msb 0                        ;  msbs: dst=0 src0=0 src1=0 src2=0
	v_dual_mul_f32 v5, v208, v129 :: v_dual_mul_f32 v9, v210, v131
	v_dual_mul_f32 v51, v209, v129 :: v_dual_mul_f32 v53, v211, v131
	s_wait_loadcnt_dscnt 0xf0a
	v_dual_mul_f32 v11, v212, v133 :: v_dual_mul_f32 v13, v214, v135
	s_delay_alu instid0(VALU_DEP_2) | instskip(SKIP_3) | instid1(VALU_DEP_3)
	v_dual_fmac_f32 v5, v209, v128 :: v_dual_fma_f32 v51, v208, v128, -v51
	v_dual_mul_f32 v55, v213, v133 :: v_dual_mul_f32 v57, v215, v135
	s_wait_loadcnt_dscnt 0xd08
	v_dual_mul_f32 v63, v221, v141 :: v_dual_fmac_f32 v9, v211, v130
	v_dual_fma_f32 v53, v210, v130, -v53 :: v_dual_add_f32 v5, 0, v5
	v_dual_add_f32 v51, 0, v51 :: v_dual_fmac_f32 v11, v213, v132
	v_dual_mul_f32 v65, v223, v143 :: v_dual_fma_f32 v55, v212, v132, -v55
	s_delay_alu instid0(VALU_DEP_3) | instskip(NEXT) | instid1(VALU_DEP_3)
	v_dual_add_f32 v5, v5, v9 :: v_dual_fmac_f32 v13, v215, v134
	v_dual_add_f32 v9, v51, v53 :: v_dual_fma_f32 v53, v214, v134, -v57
	v_dual_mul_f32 v15, v216, v137 :: v_dual_mul_f32 v17, v218, v139
	v_dual_mul_f32 v59, v217, v137 :: v_dual_mul_f32 v61, v219, v139
	s_delay_alu instid0(VALU_DEP_3) | instskip(NEXT) | instid1(VALU_DEP_3)
	v_add_f32_e32 v9, v9, v55
	v_dual_add_f32 v5, v5, v11 :: v_dual_fmac_f32 v17, v219, v138
	s_wait_loadcnt_dscnt 0xc07
	s_delay_alu instid0(VALU_DEP_3) | instskip(NEXT) | instid1(VALU_DEP_3)
	v_dual_fma_f32 v55, v216, v136, -v59 :: v_dual_mul_f32 v51, v225, v145
	v_dual_mul_f32 v11, v227, v147 :: v_dual_add_f32 v9, v9, v53
	v_dual_fmac_f32 v15, v217, v136 :: v_dual_fma_f32 v53, v218, v138, -v61
	v_add_f32_e32 v5, v5, v13
	v_dual_mul_f32 v19, v220, v141 :: v_dual_mul_f32 v21, v222, v143
	s_delay_alu instid0(VALU_DEP_4) | instskip(NEXT) | instid1(VALU_DEP_3)
	v_dual_add_f32 v9, v9, v55 :: v_dual_fma_f32 v51, v224, v144, -v51
	v_dual_add_f32 v5, v5, v15 :: v_dual_fma_f32 v55, v220, v140, -v63
	v_dual_mul_f32 v23, v224, v145 :: v_dual_mul_f32 v25, v226, v147
	s_delay_alu instid0(VALU_DEP_3) | instskip(SKIP_2) | instid1(VALU_DEP_3)
	v_dual_add_f32 v9, v9, v53 :: v_dual_fma_f32 v11, v226, v146, -v11
	s_wait_loadcnt_dscnt 0xb06
	v_dual_mul_f32 v27, v228, v149 :: v_dual_mul_f32 v29, v230, v151
	v_dual_fmac_f32 v19, v221, v140 :: v_dual_fmac_f32 v25, v227, v146
	v_dual_fma_f32 v53, v222, v142, -v65 :: v_dual_add_f32 v5, v5, v17
	s_delay_alu instid0(VALU_DEP_3)
	v_dual_add_f32 v9, v9, v55 :: v_dual_fmac_f32 v29, v231, v150
	s_wait_loadcnt_dscnt 0xa05
	v_dual_mul_f32 v31, v232, v153 :: v_dual_mul_f32 v33, v234, v155
	v_dual_mul_f32 v13, v229, v149 :: v_dual_fmac_f32 v21, v223, v142
	v_mul_f32_e32 v17, v233, v153
	v_add_f32_e32 v5, v5, v19
	v_dual_add_f32 v9, v9, v53 :: v_dual_mul_f32 v15, v231, v151
	s_delay_alu instid0(VALU_DEP_4) | instskip(NEXT) | instid1(VALU_DEP_3)
	v_fma_f32 v13, v228, v148, -v13
	v_dual_fmac_f32 v33, v235, v154 :: v_dual_add_f32 v5, v5, v21
	s_wait_loadcnt_dscnt 0x904
	v_mul_f32_e32 v21, v237, v157
	s_wait_loadcnt_dscnt 0x803
	v_dual_add_f32 v9, v9, v51 :: v_dual_mul_f32 v39, v240, v161
	v_dual_mul_f32 v41, v242, v163 :: v_dual_fmac_f32 v23, v225, v144
	s_delay_alu instid0(VALU_DEP_2) | instskip(SKIP_3) | instid1(VALU_DEP_3)
	v_dual_fma_f32 v21, v236, v156, -v21 :: v_dual_add_f32 v9, v9, v11
	s_wait_loadcnt_dscnt 0x702
	v_dual_fma_f32 v15, v230, v150, -v15 :: v_dual_mul_f32 v43, v244, v165
	v_mul_f32_e32 v45, v246, v167
	v_dual_mul_f32 v19, v235, v155 :: v_dual_add_f32 v9, v9, v13
	v_dual_fmac_f32 v41, v243, v162 :: v_dual_mul_f32 v13, v243, v163
	s_delay_alu instid0(VALU_DEP_2) | instskip(SKIP_1) | instid1(VALU_DEP_4)
	v_dual_add_f32 v5, v5, v23 :: v_dual_fma_f32 v19, v234, v154, -v19
	v_dual_mul_f32 v23, v239, v159 :: v_dual_fma_f32 v17, v232, v152, -v17
	v_add_f32_e32 v9, v9, v15
	v_dual_mul_f32 v15, v245, v165 :: v_dual_fmac_f32 v43, v245, v164
	v_dual_mul_f32 v35, v236, v157 :: v_dual_mul_f32 v37, v238, v159
	s_wait_loadcnt_dscnt 0x601
	v_dual_mul_f32 v47, v248, v169 :: v_dual_mul_f32 v49, v250, v171
	s_delay_alu instid0(VALU_DEP_3) | instskip(SKIP_2) | instid1(VALU_DEP_3)
	v_dual_fma_f32 v15, v244, v164, -v15 :: v_dual_add_f32 v9, v9, v17
	v_dual_fmac_f32 v27, v229, v148 :: v_dual_mul_f32 v17, v247, v167
	v_dual_add_f32 v5, v5, v25 :: v_dual_fmac_f32 v37, v239, v158
	v_dual_add_f32 v9, v9, v19 :: v_dual_fmac_f32 v49, v251, v170
	v_dual_mul_f32 v11, v241, v161 :: v_dual_fma_f32 v23, v238, v158, -v23
	v_dual_fmac_f32 v31, v233, v152 :: v_dual_fma_f32 v13, v242, v162, -v13
	s_wait_loadcnt 0x3
	s_delay_alu instid0(VALU_DEP_3) | instskip(SKIP_2) | instid1(VALU_DEP_3)
	v_dual_add_f32 v9, v9, v21 :: v_dual_mov_b32 v134, v183
	v_mul_f32_e32 v21, v251, v171
	v_dual_add_f32 v5, v5, v27 :: v_dual_fma_f32 v11, v240, v160, -v11
	v_add_f32_e32 v9, v9, v23
	v_dual_fmac_f32 v35, v237, v156 :: v_dual_mov_b32 v130, v179
	s_delay_alu instid0(VALU_DEP_3) | instskip(SKIP_1) | instid1(VALU_DEP_4)
	v_add_f32_e32 v5, v5, v29
	v_dual_mul_f32 v19, v249, v169 :: v_dual_fmac_f32 v47, v249, v168
	v_add_f32_e32 v9, v9, v11
	s_wait_dscnt 0x0
	v_mul_f32_e32 v11, v255, v175
	v_dual_add_f32 v5, v5, v31 :: v_dual_fmac_f32 v45, v247, v166
	v_pk_mul_f32 v[128:129], v[192:193], v[176:177] op_sel:[1,1] op_sel_hi:[0,1]
	v_dual_add_f32 v9, v9, v13 :: v_dual_fma_f32 v13, v246, v166, -v17
	s_delay_alu instid0(VALU_DEP_3)
	v_add_f32_e32 v5, v5, v33
	s_set_vgpr_msb 1                        ;  msbs: dst=0 src0=1 src1=0 src2=0
	v_pk_mul_f32 v[130:131], v[2:3] /*v[258:259]*/, v[130:131] op_sel_hi:[1,0]
	s_set_vgpr_msb 0                        ;  msbs: dst=0 src0=0 src1=0 src2=0
	v_pk_fma_f32 v[138:139], v[192:193], v[176:177], v[128:129] op_sel_hi:[1,0,1]
	v_dual_add_f32 v9, v9, v15 :: v_dual_fma_f32 v15, v248, v168, -v19
	v_add_f32_e32 v5, v5, v35
	v_pk_fma_f32 v[128:129], v[192:193], v[176:177], v[128:129] neg_lo:[0,0,1] neg_hi:[0,0,1]
	s_delay_alu instid0(VALU_DEP_4) | instskip(NEXT) | instid1(VALU_DEP_4)
	v_dual_fmac_f32 v39, v241, v160 :: v_dual_mov_b32 v129, v139
	v_dual_add_f32 v9, v9, v13 :: v_dual_fma_f32 v13, v250, v170, -v21
	v_pk_fma_f32 v[138:139], v[194:195], v[178:179], v[130:131] op_sel_hi:[1,0,1]
	v_add_f32_e32 v5, v5, v37
	s_set_vgpr_msb 1                        ;  msbs: dst=0 src0=1 src1=0 src2=0
	v_pk_mul_f32 v[134:135], v[4:5] /*v[260:261]*/, v[134:135] op_sel_hi:[1,0]
	s_set_vgpr_msb 0                        ;  msbs: dst=0 src0=0 src1=0 src2=0
	v_pk_fma_f32 v[130:131], v[194:195], v[178:179], v[130:131] neg_lo:[0,0,1] neg_hi:[0,0,1]
	v_pk_mul_f32 v[132:133], v[196:197], v[180:181] op_sel:[1,1] op_sel_hi:[0,1]
	v_mov_b32_e32 v131, v139
	s_set_vgpr_msb 64                       ;  msbs: dst=1 src0=0 src1=0 src2=0
	v_dual_mul_f32 v11 /*v267*/, v252, v173 :: v_dual_mul_f32 v13 /*v269*/, v254, v175
	s_set_vgpr_msb 0                        ;  msbs: dst=0 src0=0 src1=0 src2=0
	v_pk_fma_f32 v[138:139], v[198:199], v[182:183], v[134:135] op_sel_hi:[1,0,1]
	v_add_f32_e32 v5, v5, v39
	v_pk_fma_f32 v[134:135], v[198:199], v[182:183], v[134:135] neg_lo:[0,0,1] neg_hi:[0,0,1]
	v_add_f32_e32 v9, v9, v15
	v_pk_fma_f32 v[142:143], v[196:197], v[180:181], v[132:133] op_sel_hi:[1,0,1]
	s_delay_alu instid0(VALU_DEP_4)
	v_dual_mov_b32 v135, v139 :: v_dual_add_f32 v5, v5, v41
	v_mul_f32_e32 v23, v253, v173
	v_pk_fma_f32 v[132:133], v[196:197], v[180:181], v[132:133] neg_lo:[0,0,1] neg_hi:[0,0,1]
	s_set_vgpr_msb 64                       ;  msbs: dst=1 src0=0 src1=0 src2=0
	v_dual_fmac_f32 v11 /*v267*/, v253, v172 :: v_dual_fmac_f32 v13 /*v269*/, v255, v174
	s_set_vgpr_msb 0                        ;  msbs: dst=0 src0=0 src1=0 src2=0
	v_add_f32_e32 v5, v5, v43
	v_dual_add_f32 v136, v9, v13 :: v_dual_mov_b32 v133, v143
	s_set_vgpr_msb 64                       ;  msbs: dst=1 src0=0 src1=0 src2=0
	v_fma_f32 v10 /*v266*/, v252, v172, -v23
	v_fma_f32 v12 /*v268*/, v254, v174, -v11
	s_set_vgpr_msb 0                        ;  msbs: dst=0 src0=0 src1=0 src2=0
	v_add_f32_e32 v5, v5, v45
	s_wait_loadcnt 0x2
	v_pk_mul_f32 v[140:141], v[200:201], v[184:185] op_sel:[1,1] op_sel_hi:[0,1]
	s_delay_alu instid0(VALU_DEP_2) | instskip(NEXT) | instid1(VALU_DEP_2)
	v_add_f32_e32 v5, v5, v47
	v_pk_fma_f32 v[138:139], v[200:201], v[184:185], v[140:141] neg_lo:[0,0,1] neg_hi:[0,0,1]
	s_delay_alu instid0(VALU_DEP_2) | instskip(SKIP_1) | instid1(VALU_DEP_1)
	v_add_f32_e32 v137, v5, v49
	s_set_vgpr_msb 4                        ;  msbs: dst=0 src0=0 src1=1 src2=0
	v_pk_add_f32 v[136:137], v[136:137], v[10:11] /*v[266:267]*/
	s_delay_alu instid0(VALU_DEP_1) | instskip(SKIP_1) | instid1(VALU_DEP_1)
	v_pk_add_f32 v[136:137], v[136:137], v[12:13] /*v[268:269]*/
	s_set_vgpr_msb 0                        ;  msbs: dst=0 src0=0 src1=0 src2=0
	v_pk_add_f32 v[128:129], v[136:137], v[128:129]
	v_mov_b32_e32 v136, v187
	s_delay_alu instid0(VALU_DEP_2) | instskip(SKIP_2) | instid1(VALU_DEP_3)
	v_pk_add_f32 v[128:129], v[128:129], v[130:131]
	v_pk_fma_f32 v[130:131], v[200:201], v[184:185], v[140:141] op_sel_hi:[1,0,1]
	s_set_vgpr_msb 1                        ;  msbs: dst=0 src0=1 src1=0 src2=0
	v_pk_mul_f32 v[136:137], v[6:7] /*v[262:263]*/, v[136:137] op_sel_hi:[1,0]
	s_set_vgpr_msb 0                        ;  msbs: dst=0 src0=0 src1=0 src2=0
	v_pk_add_f32 v[128:129], v[128:129], v[132:133]
	v_mov_b32_e32 v139, v131
	s_delay_alu instid0(VALU_DEP_3)
	v_pk_fma_f32 v[130:131], v[202:203], v[186:187], v[136:137] op_sel_hi:[1,0,1]
	s_wait_loadcnt 0x1
	v_pk_mul_f32 v[132:133], v[204:205], v[188:189] op_sel:[1,1] op_sel_hi:[0,1]
	v_mov_b32_e32 v130, v191
	v_pk_add_f32 v[128:129], v[128:129], v[134:135]
	v_pk_fma_f32 v[136:137], v[202:203], v[186:187], v[136:137] neg_lo:[0,0,1] neg_hi:[0,0,1]
	v_mov_b32_e32 v137, v131
	v_pk_fma_f32 v[134:135], v[204:205], v[188:189], v[132:133] op_sel_hi:[1,0,1]
	s_set_vgpr_msb 1                        ;  msbs: dst=0 src0=1 src1=0 src2=0
	v_pk_mul_f32 v[130:131], v[8:9] /*v[264:265]*/, v[130:131] op_sel_hi:[1,0]
	s_set_vgpr_msb 0                        ;  msbs: dst=0 src0=0 src1=0 src2=0
	v_pk_add_f32 v[128:129], v[128:129], v[138:139]
	v_pk_fma_f32 v[132:133], v[204:205], v[188:189], v[132:133] neg_lo:[0,0,1] neg_hi:[0,0,1]
	v_mov_b32_e32 v133, v135
	v_pk_fma_f32 v[134:135], v[206:207], v[190:191], v[130:131] op_sel_hi:[1,0,1]
	s_delay_alu instid0(VALU_DEP_4) | instskip(SKIP_1) | instid1(VALU_DEP_3)
	v_pk_add_f32 v[128:129], v[128:129], v[136:137]
	v_pk_fma_f32 v[130:131], v[206:207], v[190:191], v[130:131] neg_lo:[0,0,1] neg_hi:[0,0,1]
	v_mov_b32_e32 v131, v135
	s_delay_alu instid0(VALU_DEP_3) | instskip(NEXT) | instid1(VALU_DEP_1)
	v_pk_add_f32 v[128:129], v[128:129], v[132:133]
	v_pk_add_f32 v[128:129], v[128:129], v[130:131]
	s_wait_loadcnt 0x0
	s_set_vgpr_msb 1                        ;  msbs: dst=0 src0=1 src1=0 src2=0
	s_delay_alu instid0(VALU_DEP_1)
	v_pk_add_f32 v[128:129], v[0:1] /*v[256:257]*/, v[128:129] neg_lo:[0,1] neg_hi:[0,1]
	scratch_store_b64 off, v[128:129], off offset:240
	s_wait_xcnt 0x0
	v_cmpx_lt_u32_e32 29, v0
	s_set_vgpr_msb 0                        ;  msbs: dst=0 src0=0 src1=0 src2=0
	s_cbranch_execz .LBB62_333
; %bb.332:
	scratch_load_b64 v[128:129], off, off offset:232
	v_mov_b64_e32 v[130:131], 0
	scratch_store_b64 off, v[130:131], off offset:232
	s_wait_loadcnt 0x0
	ds_store_b64 v1, v[128:129]
.LBB62_333:
	s_wait_xcnt 0x0
	s_or_b32 exec_lo, exec_lo, s0
	s_wait_storecnt_dscnt 0x0
	s_barrier_signal -1
	s_barrier_wait -1
	s_clause 0x12
	scratch_load_b128 v[128:131], off, off offset:240
	scratch_load_b128 v[132:135], off, off offset:256
	;; [unrolled: 1-line block ×16, first 2 shown]
	s_set_vgpr_msb 64                       ;  msbs: dst=1 src0=0 src1=0 src2=0
	scratch_load_b64 v[0:1] /*v[256:257]*/, off, off offset:496
	scratch_load_b64 v[2:3] /*v[258:259]*/, off, off offset:232
	s_set_vgpr_msb 0                        ;  msbs: dst=0 src0=0 src1=0 src2=0
	v_mov_b32_e32 v5, 0
	ds_load_b128 v[192:195], v5 offset:944
	ds_load_b128 v[196:199], v5 offset:960
	;; [unrolled: 1-line block ×16, first 2 shown]
	s_set_vgpr_msb 64                       ;  msbs: dst=1 src0=0 src1=0 src2=0
	ds_load_b64 v[4:5] /*v[260:261]*/, v5 offset:1008
	s_mov_b32 s0, exec_lo
	s_wait_dscnt 0x10
	v_dual_mov_b32 v6 /*v262*/, v195 :: v_dual_mov_b32 v7 /*v263*/, v194
	s_wait_dscnt 0xf
	v_dual_mov_b32 v8 /*v264*/, v199 :: v_dual_mov_b32 v9 /*v265*/, v198
	;; [unrolled: 2-line block ×4, first 2 shown]
	s_wait_loadcnt_dscnt 0x110c
	s_set_vgpr_msb 0                        ;  msbs: dst=0 src0=0 src1=0 src2=0
	v_dual_mul_f32 v9, v208, v129 :: v_dual_mul_f32 v55, v209, v129
	v_dual_mul_f32 v57, v211, v131 :: v_dual_mul_f32 v11, v210, v131
	s_wait_loadcnt_dscnt 0x100b
	v_mul_f32_e32 v13, v212, v133
	s_wait_loadcnt_dscnt 0xe09
	v_dual_mul_f32 v67, v221, v141 :: v_dual_fma_f32 v55, v208, v128, -v55
	v_dual_fmac_f32 v9, v209, v128 :: v_dual_mul_f32 v69, v223, v143
	v_dual_mul_f32 v59, v213, v133 :: v_dual_mul_f32 v61, v215, v135
	v_dual_fmac_f32 v11, v211, v130 :: v_dual_fma_f32 v57, v210, v130, -v57
	s_delay_alu instid0(VALU_DEP_3) | instskip(SKIP_4) | instid1(VALU_DEP_3)
	v_dual_add_f32 v9, 0, v9 :: v_dual_add_f32 v55, 0, v55
	v_dual_mul_f32 v15, v214, v135 :: v_dual_mul_f32 v17, v216, v137
	s_wait_loadcnt_dscnt 0xd08
	v_dual_mul_f32 v71, v225, v145 :: v_dual_fma_f32 v59, v212, v132, -v59
	v_fmac_f32_e32 v13, v213, v132
	v_dual_add_f32 v9, v9, v11 :: v_dual_fmac_f32 v15, v215, v134
	v_add_f32_e32 v11, v55, v57
	v_dual_mul_f32 v63, v217, v137 :: v_dual_mul_f32 v65, v219, v139
	v_dual_mul_f32 v55, v227, v147 :: v_dual_fma_f32 v57, v214, v134, -v61
	s_delay_alu instid0(VALU_DEP_3) | instskip(SKIP_3) | instid1(VALU_DEP_3)
	v_dual_add_f32 v9, v9, v13 :: v_dual_add_f32 v11, v11, v59
	v_dual_mul_f32 v19, v218, v139 :: v_dual_mul_f32 v21, v220, v141
	s_wait_loadcnt_dscnt 0xc07
	v_dual_mul_f32 v13, v229, v149 :: v_dual_fma_f32 v59, v216, v136, -v63
	v_dual_fmac_f32 v17, v217, v136 :: v_dual_add_f32 v11, v11, v57
	s_delay_alu instid0(VALU_DEP_3) | instskip(SKIP_1) | instid1(VALU_DEP_2)
	v_dual_add_f32 v9, v9, v15 :: v_dual_fmac_f32 v19, v219, v138
	v_dual_mul_f32 v15, v231, v151 :: v_dual_fma_f32 v57, v218, v138, -v65
	v_dual_add_f32 v11, v11, v59 :: v_dual_add_f32 v9, v9, v17
	v_dual_mul_f32 v23, v222, v143 :: v_dual_mul_f32 v25, v224, v145
	s_wait_loadcnt_dscnt 0xb06
	v_dual_mul_f32 v17, v233, v153 :: v_dual_fma_f32 v59, v220, v140, -v67
	s_delay_alu instid0(VALU_DEP_3) | instskip(NEXT) | instid1(VALU_DEP_3)
	v_dual_fmac_f32 v21, v221, v140 :: v_dual_add_f32 v11, v11, v57
	v_dual_add_f32 v9, v9, v19 :: v_dual_fmac_f32 v23, v223, v142
	v_dual_mul_f32 v19, v235, v155 :: v_dual_fma_f32 v57, v222, v142, -v69
	s_delay_alu instid0(VALU_DEP_2) | instskip(SKIP_3) | instid1(VALU_DEP_3)
	v_dual_add_f32 v11, v11, v59 :: v_dual_add_f32 v9, v9, v21
	v_dual_mul_f32 v27, v226, v147 :: v_dual_mul_f32 v29, v228, v149
	s_wait_loadcnt_dscnt 0xa05
	v_dual_mul_f32 v21, v237, v157 :: v_dual_fma_f32 v59, v224, v144, -v71
	v_dual_fmac_f32 v25, v225, v144 :: v_dual_add_f32 v11, v11, v57
	s_delay_alu instid0(VALU_DEP_3) | instskip(SKIP_1) | instid1(VALU_DEP_2)
	v_dual_add_f32 v9, v9, v23 :: v_dual_fmac_f32 v27, v227, v146
	v_dual_mul_f32 v23, v239, v159 :: v_dual_fma_f32 v55, v226, v146, -v55
	v_dual_add_f32 v11, v11, v59 :: v_dual_add_f32 v9, v9, v25
	v_dual_mul_f32 v31, v230, v151 :: v_dual_mul_f32 v33, v232, v153
	s_wait_loadcnt_dscnt 0x904
	v_dual_mul_f32 v25, v241, v161 :: v_dual_fma_f32 v13, v228, v148, -v13
	s_delay_alu instid0(VALU_DEP_3) | instskip(NEXT) | instid1(VALU_DEP_3)
	v_dual_fmac_f32 v29, v229, v148 :: v_dual_add_f32 v11, v11, v55
	v_dual_add_f32 v9, v9, v27 :: v_dual_fmac_f32 v31, v231, v150
	v_dual_mul_f32 v27, v243, v163 :: v_dual_fma_f32 v15, v230, v150, -v15
	s_delay_alu instid0(VALU_DEP_3) | instskip(NEXT) | instid1(VALU_DEP_3)
	v_dual_add_f32 v11, v11, v13 :: v_dual_fmac_f32 v33, v233, v152
	v_dual_add_f32 v9, v9, v29 :: v_dual_fma_f32 v17, v232, v152, -v17
	v_dual_mul_f32 v35, v234, v155 :: v_dual_mul_f32 v37, v236, v157
	s_wait_loadcnt_dscnt 0x803
	s_delay_alu instid0(VALU_DEP_3) | instskip(NEXT) | instid1(VALU_DEP_2)
	v_dual_mul_f32 v13, v245, v165 :: v_dual_add_f32 v11, v11, v15
	v_dual_add_f32 v9, v9, v31 :: v_dual_fmac_f32 v35, v235, v154
	v_dual_mul_f32 v15, v247, v167 :: v_dual_fma_f32 v19, v234, v154, -v19
	s_delay_alu instid0(VALU_DEP_3) | instskip(NEXT) | instid1(VALU_DEP_3)
	v_dual_add_f32 v11, v11, v17 :: v_dual_fmac_f32 v37, v237, v156
	v_dual_add_f32 v9, v9, v33 :: v_dual_fma_f32 v21, v236, v156, -v21
	v_dual_mul_f32 v39, v238, v159 :: v_dual_mul_f32 v41, v240, v161
	s_wait_loadcnt_dscnt 0x702
	s_delay_alu instid0(VALU_DEP_3) | instskip(NEXT) | instid1(VALU_DEP_2)
	v_dual_mul_f32 v17, v249, v169 :: v_dual_add_f32 v11, v11, v19
	;; [unrolled: 9-line block ×3, first 2 shown]
	v_dual_add_f32 v9, v9, v39 :: v_dual_fmac_f32 v43, v243, v162
	v_dual_mul_f32 v23, v255, v175 :: v_dual_fma_f32 v27, v242, v162, -v27
	s_delay_alu instid0(VALU_DEP_3) | instskip(NEXT) | instid1(VALU_DEP_3)
	v_dual_add_f32 v11, v11, v25 :: v_dual_fmac_f32 v45, v245, v164
	v_dual_add_f32 v9, v9, v41 :: v_dual_fma_f32 v13, v244, v164, -v13
	v_dual_mul_f32 v47, v246, v167 :: v_dual_mul_f32 v49, v248, v169
	s_wait_loadcnt 0x5
	s_delay_alu instid0(VALU_DEP_3) | instskip(NEXT) | instid1(VALU_DEP_3)
	v_dual_mul_f32 v25, v193, v177 :: v_dual_add_f32 v11, v11, v27
	v_dual_add_f32 v9, v9, v43 :: v_dual_mov_b32 v128, v179
	s_delay_alu instid0(VALU_DEP_3) | instskip(NEXT) | instid1(VALU_DEP_3)
	v_fmac_f32_e32 v47, v247, v166
	v_dual_fma_f32 v15, v246, v166, -v15 :: v_dual_add_f32 v11, v11, v13
	s_delay_alu instid0(VALU_DEP_3) | instskip(SKIP_1) | instid1(VALU_DEP_3)
	v_dual_add_f32 v9, v9, v45 :: v_dual_mul_f32 v51, v250, v171
	v_dual_mul_f32 v53, v252, v173 :: v_dual_fmac_f32 v49, v249, v168
	v_dual_add_f32 v11, v11, v15 :: v_dual_fma_f32 v13, v248, v168, -v17
	s_wait_loadcnt 0x4
	s_delay_alu instid0(VALU_DEP_3) | instskip(SKIP_3) | instid1(VALU_DEP_4)
	v_dual_add_f32 v9, v9, v47 :: v_dual_mov_b32 v132, v183
	v_fma_f32 v15, v250, v170, -v19
	v_fmac_f32_e32 v51, v251, v170
	v_dual_add_f32 v11, v11, v13 :: v_dual_fmac_f32 v53, v253, v172
	v_add_f32_e32 v9, v9, v49
	s_set_vgpr_msb 64                       ;  msbs: dst=1 src0=0 src1=0 src2=0
	v_dual_mul_f32 v15 /*v271*/, v254, v175 :: v_dual_mul_f32 v17 /*v273*/, v192, v177
	s_set_vgpr_msb 0                        ;  msbs: dst=0 src0=0 src1=0 src2=0
	v_fma_f32 v13, v252, v172, -v21
	s_set_vgpr_msb 1                        ;  msbs: dst=0 src0=1 src1=0 src2=0
	v_pk_mul_f32 v[128:129], v[6:7] /*v[262:263]*/, v[128:129] op_sel_hi:[1,0]
	s_set_vgpr_msb 0                        ;  msbs: dst=0 src0=0 src1=0 src2=0
	v_add_f32_e32 v9, v9, v51
	v_add_f32_e32 v11, v11, v15
	s_set_vgpr_msb 64                       ;  msbs: dst=1 src0=0 src1=0 src2=0
	v_dual_fmac_f32 v15 /*v271*/, v255, v174 :: v_dual_fmac_f32 v17 /*v273*/, v193, v176
	v_dual_fma_f32 v14 /*v270*/, v254, v174, -v23 :: v_dual_fma_f32 v16 /*v272*/, v192, v176, -v25
	s_set_vgpr_msb 0                        ;  msbs: dst=0 src0=0 src1=0 src2=0
	v_add_f32_e32 v137, v9, v53
	v_pk_fma_f32 v[140:141], v[194:195], v[178:179], v[128:129] op_sel_hi:[1,0,1]
	v_add_f32_e32 v136, v11, v13
	v_pk_fma_f32 v[128:129], v[194:195], v[178:179], v[128:129] neg_lo:[0,0,1] neg_hi:[0,0,1]
	v_pk_mul_f32 v[130:131], v[196:197], v[180:181] op_sel:[1,1] op_sel_hi:[0,1]
	s_set_vgpr_msb 1                        ;  msbs: dst=0 src0=1 src1=0 src2=0
	v_pk_mul_f32 v[132:133], v[8:9] /*v[264:265]*/, v[132:133] op_sel_hi:[1,0]
	s_set_vgpr_msb 4                        ;  msbs: dst=0 src0=0 src1=1 src2=0
	v_mov_b32_e32 v129, v141
	v_pk_add_f32 v[136:137], v[136:137], v[14:15] /*v[270:271]*/
	s_wait_loadcnt 0x3
	s_set_vgpr_msb 0                        ;  msbs: dst=0 src0=0 src1=0 src2=0
	v_pk_mul_f32 v[134:135], v[200:201], v[184:185] op_sel:[1,1] op_sel_hi:[0,1]
	v_pk_fma_f32 v[142:143], v[196:197], v[180:181], v[130:131] op_sel_hi:[1,0,1]
	v_pk_fma_f32 v[130:131], v[196:197], v[180:181], v[130:131] neg_lo:[0,0,1] neg_hi:[0,0,1]
	v_mov_b32_e32 v138, v187
	s_set_vgpr_msb 4                        ;  msbs: dst=0 src0=0 src1=1 src2=0
	v_pk_add_f32 v[136:137], v[136:137], v[16:17] /*v[272:273]*/
	s_wait_loadcnt 0x2
	s_set_vgpr_msb 0                        ;  msbs: dst=0 src0=0 src1=0 src2=0
	v_pk_mul_f32 v[140:141], v[204:205], v[188:189] op_sel:[1,1] op_sel_hi:[0,1]
	v_mov_b32_e32 v131, v143
	v_pk_fma_f32 v[142:143], v[198:199], v[182:183], v[132:133] op_sel_hi:[1,0,1]
	v_pk_fma_f32 v[132:133], v[198:199], v[182:183], v[132:133] neg_lo:[0,0,1] neg_hi:[0,0,1]
	v_pk_add_f32 v[128:129], v[136:137], v[128:129]
	v_pk_fma_f32 v[136:137], v[200:201], v[184:185], v[134:135] op_sel_hi:[1,0,1]
	s_set_vgpr_msb 1                        ;  msbs: dst=0 src0=1 src1=0 src2=0
	v_pk_mul_f32 v[138:139], v[10:11] /*v[266:267]*/, v[138:139] op_sel_hi:[1,0]
	s_set_vgpr_msb 0                        ;  msbs: dst=0 src0=0 src1=0 src2=0
	v_mov_b32_e32 v133, v143
	v_pk_fma_f32 v[134:135], v[200:201], v[184:185], v[134:135] neg_lo:[0,0,1] neg_hi:[0,0,1]
	v_pk_add_f32 v[128:129], v[128:129], v[130:131]
	v_dual_mov_b32 v130, v191 :: v_dual_mov_b32 v135, v137
	v_pk_fma_f32 v[136:137], v[202:203], v[186:187], v[138:139] op_sel_hi:[1,0,1]
	v_pk_fma_f32 v[138:139], v[202:203], v[186:187], v[138:139] neg_lo:[0,0,1] neg_hi:[0,0,1]
	s_delay_alu instid0(VALU_DEP_4)
	v_pk_add_f32 v[128:129], v[128:129], v[132:133]
	v_pk_fma_f32 v[132:133], v[204:205], v[188:189], v[140:141] op_sel_hi:[1,0,1]
	s_set_vgpr_msb 1                        ;  msbs: dst=0 src0=1 src1=0 src2=0
	v_pk_mul_f32 v[130:131], v[12:13] /*v[268:269]*/, v[130:131] op_sel_hi:[1,0]
	s_set_vgpr_msb 0                        ;  msbs: dst=0 src0=0 src1=0 src2=0
	v_mov_b32_e32 v139, v137
	s_wait_loadcnt_dscnt 0x100
	s_set_vgpr_msb 5                        ;  msbs: dst=0 src0=1 src1=1 src2=0
	v_pk_mul_f32 v[136:137], v[4:5] /*v[260:261]*/, v[0:1] /*v[256:257]*/ op_sel:[1,1] op_sel_hi:[0,1]
	s_set_vgpr_msb 0                        ;  msbs: dst=0 src0=0 src1=0 src2=0
	v_pk_add_f32 v[128:129], v[128:129], v[134:135]
	v_pk_fma_f32 v[134:135], v[204:205], v[188:189], v[140:141] neg_lo:[0,0,1] neg_hi:[0,0,1]
	v_mov_b32_e32 v135, v133
	v_pk_fma_f32 v[132:133], v[206:207], v[190:191], v[130:131] op_sel_hi:[1,0,1]
	v_pk_fma_f32 v[130:131], v[206:207], v[190:191], v[130:131] neg_lo:[0,0,1] neg_hi:[0,0,1]
	v_pk_add_f32 v[128:129], v[128:129], v[138:139]
	s_delay_alu instid0(VALU_DEP_3)
	v_mov_b32_e32 v131, v133
	s_set_vgpr_msb 5                        ;  msbs: dst=0 src0=1 src1=1 src2=0
	v_pk_fma_f32 v[132:133], v[4:5] /*v[260:261]*/, v[0:1] /*v[256:257]*/, v[136:137] op_sel_hi:[1,0,1]
	s_set_vgpr_msb 0                        ;  msbs: dst=0 src0=0 src1=0 src2=0
	v_pk_add_f32 v[128:129], v[128:129], v[134:135]
	s_set_vgpr_msb 5                        ;  msbs: dst=0 src0=1 src1=1 src2=0
	v_pk_fma_f32 v[134:135], v[4:5] /*v[260:261]*/, v[0:1] /*v[256:257]*/, v[136:137] neg_lo:[0,0,1] neg_hi:[0,0,1]
	s_set_vgpr_msb 0                        ;  msbs: dst=0 src0=0 src1=0 src2=0
	v_mov_b32_e32 v135, v133
	v_pk_add_f32 v[128:129], v[128:129], v[130:131]
	s_delay_alu instid0(VALU_DEP_1) | instskip(SKIP_2) | instid1(VALU_DEP_1)
	v_pk_add_f32 v[128:129], v[128:129], v[134:135]
	s_wait_loadcnt 0x0
	s_set_vgpr_msb 1                        ;  msbs: dst=0 src0=1 src1=0 src2=0
	v_pk_add_f32 v[128:129], v[2:3] /*v[258:259]*/, v[128:129] neg_lo:[0,1] neg_hi:[0,1]
	scratch_store_b64 off, v[128:129], off offset:232
	s_wait_xcnt 0x0
	v_cmpx_lt_u32_e32 28, v0
	s_set_vgpr_msb 0                        ;  msbs: dst=0 src0=0 src1=0 src2=0
	s_cbranch_execz .LBB62_335
; %bb.334:
	scratch_load_b64 v[128:129], off, off offset:224
	v_mov_b64_e32 v[130:131], 0
	scratch_store_b64 off, v[130:131], off offset:224
	s_wait_loadcnt 0x0
	ds_store_b64 v1, v[128:129]
.LBB62_335:
	s_wait_xcnt 0x0
	s_or_b32 exec_lo, exec_lo, s0
	s_wait_storecnt_dscnt 0x0
	s_barrier_signal -1
	s_barrier_wait -1
	s_clause 0x12
	scratch_load_b128 v[128:131], off, off offset:232
	scratch_load_b128 v[132:135], off, off offset:248
	;; [unrolled: 1-line block ×17, first 2 shown]
	s_set_vgpr_msb 64                       ;  msbs: dst=1 src0=0 src1=0 src2=0
	scratch_load_b64 v[8:9] /*v[264:265]*/, off, off offset:224
	s_set_vgpr_msb 0                        ;  msbs: dst=0 src0=0 src1=0 src2=0
	ds_load_2addr_b64 v[196:199], v5 offset0:119 offset1:120
	ds_load_2addr_b64 v[200:203], v5 offset0:121 offset1:122
	;; [unrolled: 1-line block ×15, first 2 shown]
	s_set_vgpr_msb 64                       ;  msbs: dst=1 src0=0 src1=0 src2=0
	ds_load_2addr_b64 v[0:3] /*v[256:259]*/, v5 offset0:113 offset1:114
	ds_load_2addr_b64 v[4:7] /*v[260:263]*/, v5 offset0:115 offset1:116
	s_mov_b32 s0, exec_lo
	s_wait_dscnt 0x10
	v_dual_mov_b32 v10 /*v266*/, v199 :: v_dual_mov_b32 v11 /*v267*/, v198
	s_wait_dscnt 0xf
	v_dual_mov_b32 v12 /*v268*/, v203 :: v_dual_mov_b32 v13 /*v269*/, v202
	;; [unrolled: 2-line block ×4, first 2 shown]
	s_wait_loadcnt_dscnt 0x110b
	s_set_vgpr_msb 0                        ;  msbs: dst=0 src0=0 src1=0 src2=0
	v_dual_mul_f32 v5, v216, v129 :: v_dual_mul_f32 v9, v218, v131
	v_dual_mul_f32 v55, v217, v129 :: v_dual_mul_f32 v57, v219, v131
	s_wait_loadcnt_dscnt 0x100a
	v_dual_mul_f32 v11, v220, v133 :: v_dual_mul_f32 v13, v222, v135
	s_delay_alu instid0(VALU_DEP_2) | instskip(SKIP_3) | instid1(VALU_DEP_3)
	v_dual_fmac_f32 v5, v217, v128 :: v_dual_fma_f32 v55, v216, v128, -v55
	v_dual_mul_f32 v59, v221, v133 :: v_dual_mul_f32 v61, v223, v135
	s_wait_loadcnt_dscnt 0xe08
	v_dual_mul_f32 v67, v229, v141 :: v_dual_fmac_f32 v9, v219, v130
	v_dual_fma_f32 v57, v218, v130, -v57 :: v_dual_add_f32 v5, 0, v5
	v_dual_add_f32 v55, 0, v55 :: v_dual_fmac_f32 v11, v221, v132
	v_dual_mul_f32 v69, v231, v143 :: v_dual_fma_f32 v59, v220, v132, -v59
	s_delay_alu instid0(VALU_DEP_3) | instskip(NEXT) | instid1(VALU_DEP_3)
	v_dual_add_f32 v5, v5, v9 :: v_dual_fmac_f32 v13, v223, v134
	v_dual_add_f32 v9, v55, v57 :: v_dual_fma_f32 v57, v222, v134, -v61
	v_dual_mul_f32 v15, v224, v137 :: v_dual_mul_f32 v17, v226, v139
	v_dual_mul_f32 v63, v225, v137 :: v_dual_mul_f32 v65, v227, v139
	s_delay_alu instid0(VALU_DEP_3) | instskip(NEXT) | instid1(VALU_DEP_3)
	v_add_f32_e32 v9, v9, v59
	v_dual_add_f32 v5, v5, v11 :: v_dual_fmac_f32 v17, v227, v138
	s_wait_loadcnt_dscnt 0xd07
	s_delay_alu instid0(VALU_DEP_3) | instskip(NEXT) | instid1(VALU_DEP_3)
	v_dual_fma_f32 v59, v224, v136, -v63 :: v_dual_mul_f32 v55, v233, v145
	v_dual_mul_f32 v11, v235, v147 :: v_dual_add_f32 v9, v9, v57
	v_dual_fmac_f32 v15, v225, v136 :: v_dual_fma_f32 v57, v226, v138, -v65
	v_add_f32_e32 v5, v5, v13
	v_dual_mul_f32 v19, v228, v141 :: v_dual_mul_f32 v21, v230, v143
	s_delay_alu instid0(VALU_DEP_4) | instskip(NEXT) | instid1(VALU_DEP_3)
	v_dual_add_f32 v9, v9, v59 :: v_dual_fma_f32 v55, v232, v144, -v55
	v_dual_add_f32 v5, v5, v15 :: v_dual_fma_f32 v59, v228, v140, -v67
	v_dual_mul_f32 v23, v232, v145 :: v_dual_mul_f32 v25, v234, v147
	s_delay_alu instid0(VALU_DEP_3) | instskip(SKIP_2) | instid1(VALU_DEP_3)
	v_dual_add_f32 v9, v9, v57 :: v_dual_fma_f32 v11, v234, v146, -v11
	s_wait_loadcnt_dscnt 0xc06
	v_dual_mul_f32 v27, v236, v149 :: v_dual_mul_f32 v29, v238, v151
	v_dual_fmac_f32 v19, v229, v140 :: v_dual_fmac_f32 v25, v235, v146
	v_dual_fma_f32 v57, v230, v142, -v69 :: v_dual_add_f32 v5, v5, v17
	s_delay_alu instid0(VALU_DEP_3)
	v_dual_add_f32 v9, v9, v59 :: v_dual_fmac_f32 v29, v239, v150
	s_wait_loadcnt_dscnt 0xb05
	v_dual_mul_f32 v31, v240, v153 :: v_dual_mul_f32 v33, v242, v155
	v_dual_mul_f32 v13, v237, v149 :: v_dual_fmac_f32 v21, v231, v142
	v_mul_f32_e32 v17, v241, v153
	v_add_f32_e32 v5, v5, v19
	v_dual_add_f32 v9, v9, v57 :: v_dual_mul_f32 v15, v239, v151
	s_delay_alu instid0(VALU_DEP_4) | instskip(NEXT) | instid1(VALU_DEP_3)
	v_fma_f32 v13, v236, v148, -v13
	v_dual_fmac_f32 v33, v243, v154 :: v_dual_add_f32 v5, v5, v21
	s_wait_loadcnt_dscnt 0xa04
	v_mul_f32_e32 v21, v245, v157
	v_add_f32_e32 v9, v9, v55
	s_wait_loadcnt_dscnt 0x903
	v_dual_fmac_f32 v23, v233, v144 :: v_dual_mul_f32 v39, v248, v161
	s_delay_alu instid0(VALU_DEP_3) | instskip(NEXT) | instid1(VALU_DEP_3)
	v_dual_mul_f32 v41, v250, v163 :: v_dual_fma_f32 v21, v244, v156, -v21
	v_add_f32_e32 v9, v9, v11
	v_dual_mul_f32 v19, v243, v155 :: v_dual_fma_f32 v15, v238, v150, -v15
	v_dual_mul_f32 v35, v244, v157 :: v_dual_mul_f32 v37, v246, v159
	s_delay_alu instid0(VALU_DEP_3) | instskip(SKIP_1) | instid1(VALU_DEP_4)
	v_dual_add_f32 v9, v9, v13 :: v_dual_fmac_f32 v41, v251, v162
	v_mul_f32_e32 v13, v251, v163
	v_dual_add_f32 v5, v5, v23 :: v_dual_fma_f32 v19, v242, v154, -v19
	s_wait_loadcnt_dscnt 0x802
	v_dual_mul_f32 v43, v252, v165 :: v_dual_mul_f32 v45, v254, v167
	v_dual_mul_f32 v23, v247, v159 :: v_dual_fmac_f32 v27, v237, v148
	s_delay_alu instid0(VALU_DEP_3) | instskip(SKIP_1) | instid1(VALU_DEP_4)
	v_dual_add_f32 v5, v5, v25 :: v_dual_fmac_f32 v37, v247, v158
	v_dual_fma_f32 v17, v240, v152, -v17 :: v_dual_add_f32 v9, v9, v15
	v_dual_fmac_f32 v45, v255, v166 :: v_dual_mul_f32 v11, v249, v161
	v_fmac_f32_e32 v39, v249, v160
	v_dual_fmac_f32 v31, v241, v152 :: v_dual_fma_f32 v13, v250, v162, -v13
	s_delay_alu instid0(VALU_DEP_4) | instskip(NEXT) | instid1(VALU_DEP_4)
	v_dual_add_f32 v9, v9, v17 :: v_dual_mul_f32 v17, v255, v167
	v_dual_add_f32 v5, v5, v27 :: v_dual_fma_f32 v11, v248, v160, -v11
	v_dual_mul_f32 v15, v253, v165 :: v_dual_fmac_f32 v43, v253, v164
	s_wait_loadcnt 0x4
	v_dual_fmac_f32 v35, v245, v156 :: v_dual_mov_b32 v130, v183
	s_delay_alu instid0(VALU_DEP_2) | instskip(SKIP_3) | instid1(VALU_DEP_3)
	v_dual_add_f32 v5, v5, v29 :: v_dual_fma_f32 v15, v252, v164, -v15
	v_pk_mul_f32 v[128:129], v[196:197], v[180:181] op_sel:[1,1] op_sel_hi:[0,1]
	s_wait_loadcnt 0x3
	v_dual_fma_f32 v17, v254, v166, -v17 :: v_dual_mov_b32 v134, v187
	v_add_f32_e32 v5, v5, v31
	s_set_vgpr_msb 1                        ;  msbs: dst=0 src0=1 src1=0 src2=0
	v_pk_mul_f32 v[130:131], v[10:11] /*v[266:267]*/, v[130:131] op_sel_hi:[1,0]
	s_set_vgpr_msb 0                        ;  msbs: dst=0 src0=0 src1=0 src2=0
	v_pk_fma_f32 v[138:139], v[196:197], v[180:181], v[128:129] op_sel_hi:[1,0,1]
	v_add_f32_e32 v9, v9, v19
	v_pk_fma_f32 v[128:129], v[196:197], v[180:181], v[128:129] neg_lo:[0,0,1] neg_hi:[0,0,1]
	v_dual_add_f32 v5, v5, v33 :: v_dual_fma_f32 v23, v246, v158, -v23
	v_pk_mul_f32 v[132:133], v[200:201], v[184:185] op_sel:[1,1] op_sel_hi:[0,1]
	s_delay_alu instid0(VALU_DEP_4) | instskip(SKIP_1) | instid1(VALU_DEP_4)
	v_dual_mov_b32 v129, v139 :: v_dual_add_f32 v9, v9, v21
	v_pk_fma_f32 v[138:139], v[198:199], v[182:183], v[130:131] op_sel_hi:[1,0,1]
	v_add_f32_e32 v5, v5, v35
	s_set_vgpr_msb 1                        ;  msbs: dst=0 src0=1 src1=0 src2=0
	v_pk_mul_f32 v[134:135], v[12:13] /*v[268:269]*/, v[134:135] op_sel_hi:[1,0]
	s_set_vgpr_msb 0                        ;  msbs: dst=0 src0=0 src1=0 src2=0
	v_pk_fma_f32 v[130:131], v[198:199], v[182:183], v[130:131] neg_lo:[0,0,1] neg_hi:[0,0,1]
	v_pk_fma_f32 v[142:143], v[200:201], v[184:185], v[132:133] op_sel_hi:[1,0,1]
	v_dual_mov_b32 v131, v139 :: v_dual_add_f32 v5, v5, v37
	v_pk_fma_f32 v[138:139], v[202:203], v[186:187], v[134:135] op_sel_hi:[1,0,1]
	v_add_f32_e32 v9, v9, v23
	v_pk_fma_f32 v[132:133], v[200:201], v[184:185], v[132:133] neg_lo:[0,0,1] neg_hi:[0,0,1]
	v_pk_fma_f32 v[134:135], v[202:203], v[186:187], v[134:135] neg_lo:[0,0,1] neg_hi:[0,0,1]
	v_dual_mov_b32 v133, v143 :: v_dual_add_f32 v5, v5, v39
	s_delay_alu instid0(VALU_DEP_4)
	v_dual_mov_b32 v135, v139 :: v_dual_add_f32 v9, v9, v11
	s_wait_dscnt 0x1
	s_set_vgpr_msb 1                        ;  msbs: dst=0 src0=1 src1=0 src2=0
	v_dual_mul_f32 v47, v0 /*v256*/, v169 :: v_dual_mul_f32 v49, v2 /*v258*/, v171
	s_set_vgpr_msb 0                        ;  msbs: dst=0 src0=0 src1=0 src2=0
	v_add_f32_e32 v5, v5, v41
	s_set_vgpr_msb 1                        ;  msbs: dst=0 src0=1 src1=0 src2=0
	v_dual_mul_f32 v19, v1 /*v257*/, v169 :: v_dual_mul_f32 v21, v3 /*v259*/, v171
	s_set_vgpr_msb 0                        ;  msbs: dst=0 src0=0 src1=0 src2=0
	v_add_f32_e32 v9, v9, v13
	s_set_vgpr_msb 1                        ;  msbs: dst=0 src0=1 src1=0 src2=0
	v_dual_fmac_f32 v47, v1 /*v257*/, v168 :: v_dual_fmac_f32 v49, v3 /*v259*/, v170
	s_set_vgpr_msb 0                        ;  msbs: dst=0 src0=0 src1=0 src2=0
	v_add_f32_e32 v5, v5, v43
	s_set_vgpr_msb 1                        ;  msbs: dst=0 src0=1 src1=0 src2=0
	v_fma_f32 v19, v0 /*v256*/, v168, -v19
	s_set_vgpr_msb 0                        ;  msbs: dst=0 src0=0 src1=0 src2=0
	v_add_f32_e32 v9, v9, v15
	s_wait_dscnt 0x0
	s_set_vgpr_msb 1                        ;  msbs: dst=0 src0=1 src1=0 src2=0
	v_dual_mul_f32 v51, v4 /*v260*/, v173 :: v_dual_mul_f32 v53, v6 /*v262*/, v175
	s_set_vgpr_msb 0                        ;  msbs: dst=0 src0=0 src1=0 src2=0
	v_add_f32_e32 v5, v5, v45
	s_set_vgpr_msb 1                        ;  msbs: dst=0 src0=1 src1=0 src2=0
	v_dual_mul_f32 v23, v5 /*v261*/, v173 :: v_dual_mul_f32 v11, v7 /*v263*/, v175
	s_set_vgpr_msb 0                        ;  msbs: dst=0 src0=0 src1=0 src2=0
	v_add_f32_e32 v9, v9, v17
	s_set_vgpr_msb 1                        ;  msbs: dst=0 src0=1 src1=0 src2=0
	v_fma_f32 v17, v2 /*v258*/, v170, -v21
	s_set_vgpr_msb 0                        ;  msbs: dst=0 src0=0 src1=0 src2=0
	v_add_f32_e32 v5, v5, v47
	s_set_vgpr_msb 1                        ;  msbs: dst=0 src0=1 src1=0 src2=0
	v_dual_fmac_f32 v51, v5 /*v261*/, v172 :: v_dual_fmac_f32 v53, v7 /*v263*/, v174
	s_set_vgpr_msb 0                        ;  msbs: dst=0 src0=0 src1=0 src2=0
	v_add_f32_e32 v9, v9, v19
	s_set_vgpr_msb 1                        ;  msbs: dst=0 src0=1 src1=0 src2=0
	v_fma_f32 v19, v4 /*v260*/, v172, -v23
	s_set_vgpr_msb 0                        ;  msbs: dst=0 src0=0 src1=0 src2=0
	v_add_f32_e32 v5, v5, v49
	s_set_vgpr_msb 64                       ;  msbs: dst=1 src0=0 src1=0 src2=0
	v_dual_mul_f32 v19 /*v275*/, v212, v177 :: v_dual_mul_f32 v21 /*v277*/, v214, v179
	s_set_vgpr_msb 0                        ;  msbs: dst=0 src0=0 src1=0 src2=0
	v_add_f32_e32 v9, v9, v17
	v_mul_f32_e32 v13, v213, v177
	s_set_vgpr_msb 1                        ;  msbs: dst=0 src0=1 src1=0 src2=0
	v_fma_f32 v11, v6 /*v262*/, v174, -v11
	s_set_vgpr_msb 0                        ;  msbs: dst=0 src0=0 src1=0 src2=0
	v_add_f32_e32 v5, v5, v51
	v_mul_f32_e32 v15, v215, v179
	v_add_f32_e32 v9, v9, v19
	s_set_vgpr_msb 64                       ;  msbs: dst=1 src0=0 src1=0 src2=0
	v_dual_fmac_f32 v19 /*v275*/, v213, v176 :: v_dual_fmac_f32 v21 /*v277*/, v215, v178
	s_delay_alu instid0(VALU_DEP_3)
	v_dual_fma_f32 v18 /*v274*/, v212, v176, -v13 :: v_dual_fma_f32 v20 /*v276*/, v214, v178, -v15
	s_set_vgpr_msb 0                        ;  msbs: dst=0 src0=0 src1=0 src2=0
	v_add_f32_e32 v137, v5, v53
	v_add_f32_e32 v136, v9, v11
	s_wait_loadcnt 0x2
	v_pk_mul_f32 v[140:141], v[204:205], v[188:189] op_sel:[1,1] op_sel_hi:[0,1]
	s_set_vgpr_msb 4                        ;  msbs: dst=0 src0=0 src1=1 src2=0
	s_delay_alu instid0(VALU_DEP_2) | instskip(SKIP_1) | instid1(VALU_DEP_2)
	v_pk_add_f32 v[136:137], v[136:137], v[18:19] /*v[274:275]*/
	s_set_vgpr_msb 0                        ;  msbs: dst=0 src0=0 src1=0 src2=0
	v_pk_fma_f32 v[138:139], v[204:205], v[188:189], v[140:141] neg_lo:[0,0,1] neg_hi:[0,0,1]
	s_set_vgpr_msb 4                        ;  msbs: dst=0 src0=0 src1=1 src2=0
	s_delay_alu instid0(VALU_DEP_2) | instskip(SKIP_1) | instid1(VALU_DEP_1)
	v_pk_add_f32 v[136:137], v[136:137], v[20:21] /*v[276:277]*/
	s_set_vgpr_msb 0                        ;  msbs: dst=0 src0=0 src1=0 src2=0
	v_pk_add_f32 v[128:129], v[136:137], v[128:129]
	v_mov_b32_e32 v136, v191
	s_delay_alu instid0(VALU_DEP_2) | instskip(SKIP_2) | instid1(VALU_DEP_3)
	v_pk_add_f32 v[128:129], v[128:129], v[130:131]
	v_pk_fma_f32 v[130:131], v[204:205], v[188:189], v[140:141] op_sel_hi:[1,0,1]
	s_set_vgpr_msb 1                        ;  msbs: dst=0 src0=1 src1=0 src2=0
	v_pk_mul_f32 v[136:137], v[14:15] /*v[270:271]*/, v[136:137] op_sel_hi:[1,0]
	s_set_vgpr_msb 0                        ;  msbs: dst=0 src0=0 src1=0 src2=0
	v_pk_add_f32 v[128:129], v[128:129], v[132:133]
	v_mov_b32_e32 v139, v131
	s_delay_alu instid0(VALU_DEP_3)
	v_pk_fma_f32 v[130:131], v[206:207], v[190:191], v[136:137] op_sel_hi:[1,0,1]
	s_wait_loadcnt 0x1
	v_pk_mul_f32 v[132:133], v[208:209], v[192:193] op_sel:[1,1] op_sel_hi:[0,1]
	v_mov_b32_e32 v130, v195
	v_pk_add_f32 v[128:129], v[128:129], v[134:135]
	v_pk_fma_f32 v[136:137], v[206:207], v[190:191], v[136:137] neg_lo:[0,0,1] neg_hi:[0,0,1]
	v_mov_b32_e32 v137, v131
	v_pk_fma_f32 v[134:135], v[208:209], v[192:193], v[132:133] op_sel_hi:[1,0,1]
	s_set_vgpr_msb 1                        ;  msbs: dst=0 src0=1 src1=0 src2=0
	v_pk_mul_f32 v[130:131], v[16:17] /*v[272:273]*/, v[130:131] op_sel_hi:[1,0]
	s_set_vgpr_msb 0                        ;  msbs: dst=0 src0=0 src1=0 src2=0
	v_pk_add_f32 v[128:129], v[128:129], v[138:139]
	v_pk_fma_f32 v[132:133], v[208:209], v[192:193], v[132:133] neg_lo:[0,0,1] neg_hi:[0,0,1]
	v_mov_b32_e32 v133, v135
	v_pk_fma_f32 v[134:135], v[210:211], v[194:195], v[130:131] op_sel_hi:[1,0,1]
	s_delay_alu instid0(VALU_DEP_4) | instskip(SKIP_1) | instid1(VALU_DEP_3)
	v_pk_add_f32 v[128:129], v[128:129], v[136:137]
	v_pk_fma_f32 v[130:131], v[210:211], v[194:195], v[130:131] neg_lo:[0,0,1] neg_hi:[0,0,1]
	v_mov_b32_e32 v131, v135
	s_delay_alu instid0(VALU_DEP_3) | instskip(NEXT) | instid1(VALU_DEP_1)
	v_pk_add_f32 v[128:129], v[128:129], v[132:133]
	v_pk_add_f32 v[128:129], v[128:129], v[130:131]
	s_wait_loadcnt 0x0
	s_set_vgpr_msb 1                        ;  msbs: dst=0 src0=1 src1=0 src2=0
	s_delay_alu instid0(VALU_DEP_1)
	v_pk_add_f32 v[128:129], v[8:9] /*v[264:265]*/, v[128:129] neg_lo:[0,1] neg_hi:[0,1]
	scratch_store_b64 off, v[128:129], off offset:224
	s_wait_xcnt 0x0
	v_cmpx_lt_u32_e32 27, v0
	s_set_vgpr_msb 0                        ;  msbs: dst=0 src0=0 src1=0 src2=0
	s_cbranch_execz .LBB62_337
; %bb.336:
	scratch_load_b64 v[128:129], off, off offset:216
	v_mov_b64_e32 v[130:131], 0
	scratch_store_b64 off, v[130:131], off offset:216
	s_wait_loadcnt 0x0
	ds_store_b64 v1, v[128:129]
.LBB62_337:
	s_wait_xcnt 0x0
	s_or_b32 exec_lo, exec_lo, s0
	s_wait_storecnt_dscnt 0x0
	s_barrier_signal -1
	s_barrier_wait -1
	s_clause 0x13
	scratch_load_b128 v[128:131], off, off offset:224
	scratch_load_b128 v[132:135], off, off offset:240
	;; [unrolled: 1-line block ×17, first 2 shown]
	s_set_vgpr_msb 64                       ;  msbs: dst=1 src0=0 src1=0 src2=0
	scratch_load_b64 v[8:9] /*v[264:265]*/, off, off offset:496
	scratch_load_b64 v[10:11] /*v[266:267]*/, off, off offset:216
	s_set_vgpr_msb 0                        ;  msbs: dst=0 src0=0 src1=0 src2=0
	v_mov_b32_e32 v5, 0
	ds_load_b128 v[196:199], v5 offset:944
	ds_load_b128 v[200:203], v5 offset:960
	;; [unrolled: 1-line block ×15, first 2 shown]
	s_set_vgpr_msb 64                       ;  msbs: dst=1 src0=0 src1=0 src2=0
	ds_load_b128 v[0:3] /*v[256:259]*/, v5 offset:896
	ds_load_b128 v[4:7] /*v[260:263]*/, v5 offset:912
	ds_load_b64 v[12:13] /*v[268:269]*/, v5 offset:1008
	s_mov_b32 s0, exec_lo
	s_wait_dscnt 0x11
	v_dual_mov_b32 v14 /*v270*/, v199 :: v_dual_mov_b32 v15 /*v271*/, v198
	s_wait_dscnt 0x10
	v_dual_mov_b32 v16 /*v272*/, v203 :: v_dual_mov_b32 v17 /*v273*/, v202
	;; [unrolled: 2-line block ×4, first 2 shown]
	s_wait_loadcnt_dscnt 0x120c
	s_set_vgpr_msb 0                        ;  msbs: dst=0 src0=0 src1=0 src2=0
	v_dual_mul_f32 v9, v216, v129 :: v_dual_mul_f32 v59, v217, v129
	v_dual_mul_f32 v61, v219, v131 :: v_dual_mul_f32 v11, v218, v131
	s_wait_loadcnt_dscnt 0x110b
	v_mul_f32_e32 v13, v220, v133
	s_wait_loadcnt_dscnt 0xf09
	v_dual_mul_f32 v71, v229, v141 :: v_dual_fma_f32 v59, v216, v128, -v59
	v_dual_fmac_f32 v9, v217, v128 :: v_dual_mul_f32 v73, v231, v143
	v_dual_mul_f32 v63, v221, v133 :: v_dual_mul_f32 v65, v223, v135
	v_dual_fmac_f32 v11, v219, v130 :: v_dual_fma_f32 v61, v218, v130, -v61
	s_delay_alu instid0(VALU_DEP_3) | instskip(SKIP_4) | instid1(VALU_DEP_3)
	v_dual_add_f32 v9, 0, v9 :: v_dual_add_f32 v59, 0, v59
	v_dual_mul_f32 v15, v222, v135 :: v_dual_mul_f32 v17, v224, v137
	s_wait_loadcnt_dscnt 0xe08
	v_dual_mul_f32 v75, v233, v145 :: v_dual_fma_f32 v63, v220, v132, -v63
	v_fmac_f32_e32 v13, v221, v132
	v_dual_add_f32 v9, v9, v11 :: v_dual_fmac_f32 v15, v223, v134
	v_add_f32_e32 v11, v59, v61
	v_dual_mul_f32 v67, v225, v137 :: v_dual_mul_f32 v69, v227, v139
	v_dual_mul_f32 v59, v235, v147 :: v_dual_fma_f32 v61, v222, v134, -v65
	s_delay_alu instid0(VALU_DEP_3) | instskip(SKIP_3) | instid1(VALU_DEP_3)
	v_dual_add_f32 v9, v9, v13 :: v_dual_add_f32 v11, v11, v63
	v_dual_mul_f32 v19, v226, v139 :: v_dual_mul_f32 v21, v228, v141
	s_wait_loadcnt_dscnt 0xd07
	v_dual_mul_f32 v13, v237, v149 :: v_dual_fma_f32 v63, v224, v136, -v67
	v_dual_fmac_f32 v17, v225, v136 :: v_dual_add_f32 v11, v11, v61
	s_delay_alu instid0(VALU_DEP_3) | instskip(SKIP_1) | instid1(VALU_DEP_2)
	v_dual_add_f32 v9, v9, v15 :: v_dual_fmac_f32 v19, v227, v138
	v_dual_mul_f32 v15, v239, v151 :: v_dual_fma_f32 v61, v226, v138, -v69
	v_dual_add_f32 v11, v11, v63 :: v_dual_add_f32 v9, v9, v17
	v_dual_mul_f32 v23, v230, v143 :: v_dual_mul_f32 v25, v232, v145
	s_wait_loadcnt_dscnt 0xc06
	v_dual_mul_f32 v17, v241, v153 :: v_dual_fma_f32 v63, v228, v140, -v71
	s_delay_alu instid0(VALU_DEP_3) | instskip(NEXT) | instid1(VALU_DEP_3)
	v_dual_fmac_f32 v21, v229, v140 :: v_dual_add_f32 v11, v11, v61
	v_dual_add_f32 v9, v9, v19 :: v_dual_fmac_f32 v23, v231, v142
	v_dual_mul_f32 v19, v243, v155 :: v_dual_fma_f32 v61, v230, v142, -v73
	s_delay_alu instid0(VALU_DEP_2) | instskip(SKIP_3) | instid1(VALU_DEP_3)
	v_dual_add_f32 v11, v11, v63 :: v_dual_add_f32 v9, v9, v21
	v_dual_mul_f32 v27, v234, v147 :: v_dual_mul_f32 v29, v236, v149
	s_wait_loadcnt_dscnt 0xb05
	v_dual_mul_f32 v21, v245, v157 :: v_dual_fma_f32 v63, v232, v144, -v75
	v_dual_fmac_f32 v25, v233, v144 :: v_dual_add_f32 v11, v11, v61
	s_delay_alu instid0(VALU_DEP_3) | instskip(SKIP_1) | instid1(VALU_DEP_2)
	v_dual_add_f32 v9, v9, v23 :: v_dual_fmac_f32 v27, v235, v146
	v_dual_mul_f32 v23, v247, v159 :: v_dual_fma_f32 v59, v234, v146, -v59
	v_dual_add_f32 v11, v11, v63 :: v_dual_add_f32 v9, v9, v25
	v_dual_mul_f32 v31, v238, v151 :: v_dual_mul_f32 v33, v240, v153
	s_wait_loadcnt_dscnt 0xa04
	v_dual_mul_f32 v25, v249, v161 :: v_dual_fma_f32 v13, v236, v148, -v13
	s_delay_alu instid0(VALU_DEP_3) | instskip(NEXT) | instid1(VALU_DEP_3)
	v_dual_fmac_f32 v29, v237, v148 :: v_dual_add_f32 v11, v11, v59
	v_dual_add_f32 v9, v9, v27 :: v_dual_fmac_f32 v31, v239, v150
	v_dual_mul_f32 v27, v251, v163 :: v_dual_fma_f32 v15, v238, v150, -v15
	s_delay_alu instid0(VALU_DEP_3) | instskip(NEXT) | instid1(VALU_DEP_3)
	v_dual_add_f32 v11, v11, v13 :: v_dual_fmac_f32 v33, v241, v152
	v_dual_add_f32 v9, v9, v29 :: v_dual_fma_f32 v17, v240, v152, -v17
	v_dual_mul_f32 v35, v242, v155 :: v_dual_mul_f32 v37, v244, v157
	s_wait_loadcnt_dscnt 0x903
	s_delay_alu instid0(VALU_DEP_3) | instskip(NEXT) | instid1(VALU_DEP_2)
	v_dual_mul_f32 v13, v253, v165 :: v_dual_add_f32 v11, v11, v15
	v_dual_add_f32 v9, v9, v31 :: v_dual_fmac_f32 v35, v243, v154
	v_dual_mul_f32 v15, v255, v167 :: v_dual_fma_f32 v19, v242, v154, -v19
	s_delay_alu instid0(VALU_DEP_3) | instskip(NEXT) | instid1(VALU_DEP_3)
	v_dual_add_f32 v11, v11, v17 :: v_dual_fmac_f32 v37, v245, v156
	v_dual_add_f32 v9, v9, v33 :: v_dual_fma_f32 v21, v244, v156, -v21
	v_dual_mul_f32 v39, v246, v159 :: v_dual_mul_f32 v41, v248, v161
	s_delay_alu instid0(VALU_DEP_3) | instskip(NEXT) | instid1(VALU_DEP_2)
	v_dual_add_f32 v11, v11, v19 :: v_dual_fma_f32 v23, v246, v158, -v23
	v_dual_add_f32 v9, v9, v35 :: v_dual_fmac_f32 v39, v247, v158
	v_dual_mul_f32 v43, v250, v163 :: v_dual_mul_f32 v45, v252, v165
	s_delay_alu instid0(VALU_DEP_3) | instskip(NEXT) | instid1(VALU_DEP_3)
	v_dual_add_f32 v11, v11, v21 :: v_dual_fmac_f32 v41, v249, v160
	v_dual_add_f32 v9, v9, v37 :: v_dual_fma_f32 v25, v248, v160, -v25
	s_delay_alu instid0(VALU_DEP_3) | instskip(NEXT) | instid1(VALU_DEP_3)
	v_fmac_f32_e32 v43, v251, v162
	v_dual_add_f32 v11, v11, v23 :: v_dual_fma_f32 v27, v250, v162, -v27
	s_delay_alu instid0(VALU_DEP_3) | instskip(SKIP_2) | instid1(VALU_DEP_3)
	v_add_f32_e32 v9, v9, v39
	s_wait_loadcnt 0x6
	v_dual_mul_f32 v47, v254, v167 :: v_dual_mul_f32 v57, v208, v177
	v_dual_add_f32 v11, v11, v25 :: v_dual_fmac_f32 v45, v253, v164
	s_delay_alu instid0(VALU_DEP_3) | instskip(NEXT) | instid1(VALU_DEP_2)
	v_dual_add_f32 v9, v9, v41 :: v_dual_fma_f32 v13, v252, v164, -v13
	v_dual_mul_f32 v25, v209, v177 :: v_dual_add_f32 v11, v11, v27
	s_wait_dscnt 0x2
	s_set_vgpr_msb 1                        ;  msbs: dst=0 src0=1 src1=0 src2=0
	v_dual_mul_f32 v49, v0 /*v256*/, v169 :: v_dual_mul_f32 v51, v2 /*v258*/, v171
	s_set_vgpr_msb 0                        ;  msbs: dst=0 src0=0 src1=0 src2=0
	v_dual_add_f32 v9, v9, v43 :: v_dual_fmac_f32 v47, v255, v166
	s_set_vgpr_msb 1                        ;  msbs: dst=0 src0=1 src1=0 src2=0
	v_dual_mul_f32 v17, v1 /*v257*/, v169 :: v_dual_mul_f32 v19, v3 /*v259*/, v171
	s_set_vgpr_msb 0                        ;  msbs: dst=0 src0=0 src1=0 src2=0
	v_dual_mul_f32 v27, v211, v179 :: v_dual_fma_f32 v15, v254, v166, -v15
	v_add_f32_e32 v11, v11, v13
	v_add_f32_e32 v9, v9, v45
	s_set_vgpr_msb 1                        ;  msbs: dst=0 src0=1 src1=0 src2=0
	v_dual_fmac_f32 v49, v1 /*v257*/, v168 :: v_dual_fmac_f32 v51, v3 /*v259*/, v170
	v_fma_f32 v17, v0 /*v256*/, v168, -v17
	s_set_vgpr_msb 0                        ;  msbs: dst=0 src0=0 src1=0 src2=0
	v_add_f32_e32 v11, v11, v15
	v_add_f32_e32 v9, v9, v47
	s_wait_dscnt 0x1
	s_set_vgpr_msb 1                        ;  msbs: dst=0 src0=1 src1=0 src2=0
	v_dual_mul_f32 v53, v4 /*v260*/, v173 :: v_dual_mul_f32 v55, v6 /*v262*/, v175
	v_dual_mul_f32 v21, v5 /*v261*/, v173 :: v_dual_mul_f32 v23, v7 /*v263*/, v175
	v_fma_f32 v15, v2 /*v258*/, v170, -v19
	s_set_vgpr_msb 0                        ;  msbs: dst=0 src0=0 src1=0 src2=0
	v_add_f32_e32 v11, v11, v17
	v_add_f32_e32 v9, v9, v49
	s_set_vgpr_msb 1                        ;  msbs: dst=0 src0=1 src1=0 src2=0
	v_dual_fmac_f32 v53, v5 /*v261*/, v172 :: v_dual_fmac_f32 v55, v7 /*v263*/, v174
	v_fma_f32 v17, v4 /*v260*/, v172, -v21
	s_set_vgpr_msb 0                        ;  msbs: dst=0 src0=0 src1=0 src2=0
	v_add_f32_e32 v11, v11, v15
	v_add_f32_e32 v9, v9, v51
	s_wait_loadcnt 0x5
	v_dual_mul_f32 v13, v197, v181 :: v_dual_mov_b32 v128, v183
	s_wait_loadcnt 0x4
	v_mov_b32_e32 v132, v187
	s_set_vgpr_msb 1                        ;  msbs: dst=0 src0=1 src1=0 src2=0
	v_fma_f32 v15, v6 /*v262*/, v174, -v23
	s_set_vgpr_msb 0                        ;  msbs: dst=0 src0=0 src1=0 src2=0
	v_add_f32_e32 v9, v9, v53
	v_dual_add_f32 v11, v11, v17 :: v_dual_fmac_f32 v57, v209, v176
	s_set_vgpr_msb 64                       ;  msbs: dst=1 src0=0 src1=0 src2=0
	v_dual_mul_f32 v23 /*v279*/, v210, v179 :: v_dual_mul_f32 v25 /*v281*/, v196, v181
	s_set_vgpr_msb 0                        ;  msbs: dst=0 src0=0 src1=0 src2=0
	v_dual_fma_f32 v17, v208, v176, -v25 :: v_dual_add_f32 v9, v9, v55
	v_add_f32_e32 v11, v11, v15
	s_set_vgpr_msb 1                        ;  msbs: dst=0 src0=1 src1=0 src2=0
	v_pk_mul_f32 v[128:129], v[14:15] /*v[270:271]*/, v[128:129] op_sel_hi:[1,0]
	s_set_vgpr_msb 64                       ;  msbs: dst=1 src0=0 src1=0 src2=0
	v_dual_fmac_f32 v23 /*v279*/, v211, v178 :: v_dual_fmac_f32 v25 /*v281*/, v197, v180
	v_dual_fma_f32 v22 /*v278*/, v210, v178, -v27 :: v_dual_fma_f32 v24 /*v280*/, v196, v180, -v13
	s_set_vgpr_msb 0                        ;  msbs: dst=0 src0=0 src1=0 src2=0
	v_add_f32_e32 v137, v9, v57
	v_pk_fma_f32 v[140:141], v[198:199], v[182:183], v[128:129] op_sel_hi:[1,0,1]
	v_add_f32_e32 v136, v11, v17
	v_pk_fma_f32 v[128:129], v[198:199], v[182:183], v[128:129] neg_lo:[0,0,1] neg_hi:[0,0,1]
	v_pk_mul_f32 v[130:131], v[200:201], v[184:185] op_sel:[1,1] op_sel_hi:[0,1]
	s_set_vgpr_msb 1                        ;  msbs: dst=0 src0=1 src1=0 src2=0
	v_pk_mul_f32 v[132:133], v[16:17] /*v[272:273]*/, v[132:133] op_sel_hi:[1,0]
	s_set_vgpr_msb 4                        ;  msbs: dst=0 src0=0 src1=1 src2=0
	v_mov_b32_e32 v129, v141
	v_pk_add_f32 v[136:137], v[136:137], v[22:23] /*v[278:279]*/
	s_wait_loadcnt 0x3
	s_set_vgpr_msb 0                        ;  msbs: dst=0 src0=0 src1=0 src2=0
	v_pk_mul_f32 v[134:135], v[204:205], v[188:189] op_sel:[1,1] op_sel_hi:[0,1]
	v_pk_fma_f32 v[142:143], v[200:201], v[184:185], v[130:131] op_sel_hi:[1,0,1]
	v_pk_fma_f32 v[130:131], v[200:201], v[184:185], v[130:131] neg_lo:[0,0,1] neg_hi:[0,0,1]
	v_mov_b32_e32 v138, v191
	s_set_vgpr_msb 4                        ;  msbs: dst=0 src0=0 src1=1 src2=0
	v_pk_add_f32 v[136:137], v[136:137], v[24:25] /*v[280:281]*/
	s_wait_loadcnt 0x2
	s_set_vgpr_msb 0                        ;  msbs: dst=0 src0=0 src1=0 src2=0
	v_pk_mul_f32 v[140:141], v[212:213], v[192:193] op_sel:[1,1] op_sel_hi:[0,1]
	v_mov_b32_e32 v131, v143
	v_pk_fma_f32 v[142:143], v[202:203], v[186:187], v[132:133] op_sel_hi:[1,0,1]
	v_pk_fma_f32 v[132:133], v[202:203], v[186:187], v[132:133] neg_lo:[0,0,1] neg_hi:[0,0,1]
	v_pk_add_f32 v[128:129], v[136:137], v[128:129]
	v_pk_fma_f32 v[136:137], v[204:205], v[188:189], v[134:135] op_sel_hi:[1,0,1]
	s_set_vgpr_msb 1                        ;  msbs: dst=0 src0=1 src1=0 src2=0
	v_pk_mul_f32 v[138:139], v[18:19] /*v[274:275]*/, v[138:139] op_sel_hi:[1,0]
	s_set_vgpr_msb 0                        ;  msbs: dst=0 src0=0 src1=0 src2=0
	v_mov_b32_e32 v133, v143
	v_pk_fma_f32 v[134:135], v[204:205], v[188:189], v[134:135] neg_lo:[0,0,1] neg_hi:[0,0,1]
	v_pk_add_f32 v[128:129], v[128:129], v[130:131]
	v_dual_mov_b32 v130, v195 :: v_dual_mov_b32 v135, v137
	v_pk_fma_f32 v[136:137], v[206:207], v[190:191], v[138:139] op_sel_hi:[1,0,1]
	v_pk_fma_f32 v[138:139], v[206:207], v[190:191], v[138:139] neg_lo:[0,0,1] neg_hi:[0,0,1]
	s_delay_alu instid0(VALU_DEP_4)
	v_pk_add_f32 v[128:129], v[128:129], v[132:133]
	v_pk_fma_f32 v[132:133], v[212:213], v[192:193], v[140:141] op_sel_hi:[1,0,1]
	s_set_vgpr_msb 1                        ;  msbs: dst=0 src0=1 src1=0 src2=0
	v_pk_mul_f32 v[130:131], v[20:21] /*v[276:277]*/, v[130:131] op_sel_hi:[1,0]
	s_set_vgpr_msb 0                        ;  msbs: dst=0 src0=0 src1=0 src2=0
	v_mov_b32_e32 v139, v137
	s_wait_loadcnt_dscnt 0x100
	s_set_vgpr_msb 5                        ;  msbs: dst=0 src0=1 src1=1 src2=0
	v_pk_mul_f32 v[136:137], v[12:13] /*v[268:269]*/, v[8:9] /*v[264:265]*/ op_sel:[1,1] op_sel_hi:[0,1]
	s_set_vgpr_msb 0                        ;  msbs: dst=0 src0=0 src1=0 src2=0
	v_pk_add_f32 v[128:129], v[128:129], v[134:135]
	v_pk_fma_f32 v[134:135], v[212:213], v[192:193], v[140:141] neg_lo:[0,0,1] neg_hi:[0,0,1]
	v_mov_b32_e32 v135, v133
	v_pk_fma_f32 v[132:133], v[214:215], v[194:195], v[130:131] op_sel_hi:[1,0,1]
	v_pk_fma_f32 v[130:131], v[214:215], v[194:195], v[130:131] neg_lo:[0,0,1] neg_hi:[0,0,1]
	v_pk_add_f32 v[128:129], v[128:129], v[138:139]
	s_delay_alu instid0(VALU_DEP_3)
	v_mov_b32_e32 v131, v133
	s_set_vgpr_msb 5                        ;  msbs: dst=0 src0=1 src1=1 src2=0
	v_pk_fma_f32 v[132:133], v[12:13] /*v[268:269]*/, v[8:9] /*v[264:265]*/, v[136:137] op_sel_hi:[1,0,1]
	s_set_vgpr_msb 0                        ;  msbs: dst=0 src0=0 src1=0 src2=0
	v_pk_add_f32 v[128:129], v[128:129], v[134:135]
	s_set_vgpr_msb 5                        ;  msbs: dst=0 src0=1 src1=1 src2=0
	v_pk_fma_f32 v[134:135], v[12:13] /*v[268:269]*/, v[8:9] /*v[264:265]*/, v[136:137] neg_lo:[0,0,1] neg_hi:[0,0,1]
	s_set_vgpr_msb 0                        ;  msbs: dst=0 src0=0 src1=0 src2=0
	v_mov_b32_e32 v135, v133
	v_pk_add_f32 v[128:129], v[128:129], v[130:131]
	s_delay_alu instid0(VALU_DEP_1) | instskip(SKIP_2) | instid1(VALU_DEP_1)
	v_pk_add_f32 v[128:129], v[128:129], v[134:135]
	s_wait_loadcnt 0x0
	s_set_vgpr_msb 1                        ;  msbs: dst=0 src0=1 src1=0 src2=0
	v_pk_add_f32 v[128:129], v[10:11] /*v[266:267]*/, v[128:129] neg_lo:[0,1] neg_hi:[0,1]
	scratch_store_b64 off, v[128:129], off offset:216
	s_wait_xcnt 0x0
	v_cmpx_lt_u32_e32 26, v0
	s_set_vgpr_msb 0                        ;  msbs: dst=0 src0=0 src1=0 src2=0
	s_cbranch_execz .LBB62_339
; %bb.338:
	scratch_load_b64 v[128:129], off, off offset:208
	v_mov_b64_e32 v[130:131], 0
	scratch_store_b64 off, v[130:131], off offset:208
	s_wait_loadcnt 0x0
	ds_store_b64 v1, v[128:129]
.LBB62_339:
	s_wait_xcnt 0x0
	s_or_b32 exec_lo, exec_lo, s0
	s_wait_storecnt_dscnt 0x0
	s_barrier_signal -1
	s_barrier_wait -1
	s_clause 0x13
	scratch_load_b128 v[128:131], off, off offset:216
	scratch_load_b128 v[132:135], off, off offset:232
	;; [unrolled: 1-line block ×18, first 2 shown]
	s_set_vgpr_msb 64                       ;  msbs: dst=1 src0=0 src1=0 src2=0
	scratch_load_b64 v[16:17] /*v[272:273]*/, off, off offset:208
	s_set_vgpr_msb 0                        ;  msbs: dst=0 src0=0 src1=0 src2=0
	ds_load_2addr_b64 v[200:203], v5 offset0:119 offset1:120
	ds_load_2addr_b64 v[204:207], v5 offset0:121 offset1:122
	;; [unrolled: 1-line block ×14, first 2 shown]
	s_set_vgpr_msb 64                       ;  msbs: dst=1 src0=0 src1=0 src2=0
	ds_load_2addr_b64 v[0:3] /*v[256:259]*/, v5 offset0:111 offset1:112
	ds_load_2addr_b64 v[4:7] /*v[260:263]*/, v5 offset0:113 offset1:114
	;; [unrolled: 1-line block ×4, first 2 shown]
	s_mov_b32 s0, exec_lo
	s_wait_dscnt 0x11
	v_dual_mov_b32 v18 /*v274*/, v203 :: v_dual_mov_b32 v19 /*v275*/, v202
	s_wait_dscnt 0x10
	v_dual_mov_b32 v20 /*v276*/, v207 :: v_dual_mov_b32 v21 /*v277*/, v206
	;; [unrolled: 2-line block ×4, first 2 shown]
	s_wait_loadcnt_dscnt 0x120d
	s_set_vgpr_msb 0                        ;  msbs: dst=0 src0=0 src1=0 src2=0
	v_dual_mul_f32 v5, v216, v129 :: v_dual_mul_f32 v9, v218, v131
	v_dual_mul_f32 v59, v217, v129 :: v_dual_mul_f32 v61, v219, v131
	s_wait_loadcnt_dscnt 0x110c
	v_dual_mul_f32 v11, v220, v133 :: v_dual_mul_f32 v13, v222, v135
	s_delay_alu instid0(VALU_DEP_2) | instskip(SKIP_3) | instid1(VALU_DEP_3)
	v_dual_fmac_f32 v5, v217, v128 :: v_dual_fma_f32 v59, v216, v128, -v59
	v_dual_mul_f32 v63, v221, v133 :: v_dual_mul_f32 v65, v223, v135
	s_wait_loadcnt_dscnt 0xf0a
	v_dual_mul_f32 v71, v229, v141 :: v_dual_fmac_f32 v9, v219, v130
	v_dual_fma_f32 v61, v218, v130, -v61 :: v_dual_add_f32 v5, 0, v5
	v_dual_add_f32 v59, 0, v59 :: v_dual_fmac_f32 v11, v221, v132
	v_dual_mul_f32 v73, v231, v143 :: v_dual_fma_f32 v63, v220, v132, -v63
	s_delay_alu instid0(VALU_DEP_3) | instskip(NEXT) | instid1(VALU_DEP_3)
	v_dual_add_f32 v5, v5, v9 :: v_dual_fmac_f32 v13, v223, v134
	v_dual_add_f32 v9, v59, v61 :: v_dual_fma_f32 v61, v222, v134, -v65
	v_dual_mul_f32 v15, v224, v137 :: v_dual_mul_f32 v17, v226, v139
	v_dual_mul_f32 v67, v225, v137 :: v_dual_mul_f32 v69, v227, v139
	s_delay_alu instid0(VALU_DEP_3) | instskip(NEXT) | instid1(VALU_DEP_3)
	v_add_f32_e32 v9, v9, v63
	v_dual_add_f32 v5, v5, v11 :: v_dual_fmac_f32 v17, v227, v138
	s_wait_loadcnt_dscnt 0xe09
	s_delay_alu instid0(VALU_DEP_3) | instskip(NEXT) | instid1(VALU_DEP_3)
	v_dual_fma_f32 v63, v224, v136, -v67 :: v_dual_mul_f32 v59, v233, v145
	v_dual_mul_f32 v11, v235, v147 :: v_dual_add_f32 v9, v9, v61
	v_dual_fmac_f32 v15, v225, v136 :: v_dual_fma_f32 v61, v226, v138, -v69
	v_add_f32_e32 v5, v5, v13
	v_dual_mul_f32 v19, v228, v141 :: v_dual_mul_f32 v21, v230, v143
	s_delay_alu instid0(VALU_DEP_4) | instskip(NEXT) | instid1(VALU_DEP_3)
	v_dual_add_f32 v9, v9, v63 :: v_dual_fma_f32 v59, v232, v144, -v59
	v_dual_add_f32 v5, v5, v15 :: v_dual_fma_f32 v63, v228, v140, -v71
	v_dual_mul_f32 v23, v232, v145 :: v_dual_mul_f32 v25, v234, v147
	s_delay_alu instid0(VALU_DEP_3) | instskip(SKIP_2) | instid1(VALU_DEP_3)
	v_dual_add_f32 v9, v9, v61 :: v_dual_fma_f32 v11, v234, v146, -v11
	s_wait_loadcnt_dscnt 0xd08
	v_dual_mul_f32 v27, v236, v149 :: v_dual_mul_f32 v29, v238, v151
	v_dual_fmac_f32 v19, v229, v140 :: v_dual_fmac_f32 v25, v235, v146
	v_dual_fma_f32 v61, v230, v142, -v73 :: v_dual_add_f32 v5, v5, v17
	s_delay_alu instid0(VALU_DEP_3)
	v_dual_add_f32 v9, v9, v63 :: v_dual_fmac_f32 v29, v239, v150
	s_wait_loadcnt_dscnt 0xc07
	v_dual_mul_f32 v31, v240, v153 :: v_dual_mul_f32 v33, v242, v155
	v_dual_mul_f32 v13, v237, v149 :: v_dual_fmac_f32 v21, v231, v142
	v_mul_f32_e32 v17, v241, v153
	v_add_f32_e32 v5, v5, v19
	v_dual_add_f32 v9, v9, v61 :: v_dual_mul_f32 v15, v239, v151
	s_delay_alu instid0(VALU_DEP_4) | instskip(NEXT) | instid1(VALU_DEP_3)
	v_fma_f32 v13, v236, v148, -v13
	v_dual_fmac_f32 v33, v243, v154 :: v_dual_add_f32 v5, v5, v21
	s_wait_loadcnt_dscnt 0xb06
	v_mul_f32_e32 v21, v245, v157
	v_add_f32_e32 v9, v9, v59
	s_wait_loadcnt_dscnt 0xa05
	v_dual_fmac_f32 v23, v233, v144 :: v_dual_mul_f32 v39, v248, v161
	s_delay_alu instid0(VALU_DEP_3) | instskip(NEXT) | instid1(VALU_DEP_3)
	v_dual_mul_f32 v41, v250, v163 :: v_dual_fma_f32 v21, v244, v156, -v21
	v_add_f32_e32 v9, v9, v11
	v_dual_mul_f32 v19, v243, v155 :: v_dual_fma_f32 v15, v238, v150, -v15
	v_dual_mul_f32 v35, v244, v157 :: v_dual_mul_f32 v37, v246, v159
	s_delay_alu instid0(VALU_DEP_3) | instskip(SKIP_1) | instid1(VALU_DEP_4)
	v_dual_add_f32 v9, v9, v13 :: v_dual_fmac_f32 v41, v251, v162
	v_mul_f32_e32 v13, v251, v163
	v_dual_add_f32 v5, v5, v23 :: v_dual_fma_f32 v19, v242, v154, -v19
	s_wait_loadcnt_dscnt 0x904
	v_dual_mul_f32 v43, v252, v165 :: v_dual_mul_f32 v45, v254, v167
	v_dual_mul_f32 v23, v247, v159 :: v_dual_fmac_f32 v27, v237, v148
	s_delay_alu instid0(VALU_DEP_3) | instskip(SKIP_1) | instid1(VALU_DEP_4)
	v_dual_add_f32 v5, v5, v25 :: v_dual_fmac_f32 v37, v247, v158
	v_dual_fma_f32 v17, v240, v152, -v17 :: v_dual_add_f32 v9, v9, v15
	v_dual_fmac_f32 v45, v255, v166 :: v_dual_mul_f32 v11, v249, v161
	v_fmac_f32_e32 v39, v249, v160
	v_dual_fmac_f32 v31, v241, v152 :: v_dual_fma_f32 v13, v250, v162, -v13
	s_wait_loadcnt 0x4
	v_dual_add_f32 v9, v9, v17 :: v_dual_mov_b32 v130, v187
	v_mul_f32_e32 v17, v255, v167
	v_dual_add_f32 v5, v5, v27 :: v_dual_fma_f32 v11, v248, v160, -v11
	v_dual_mul_f32 v15, v253, v165 :: v_dual_fmac_f32 v43, v253, v164
	v_pk_mul_f32 v[128:129], v[200:201], v[184:185] op_sel:[1,1] op_sel_hi:[0,1]
	s_delay_alu instid0(VALU_DEP_3)
	v_add_f32_e32 v5, v5, v29
	s_set_vgpr_msb 1                        ;  msbs: dst=0 src0=1 src1=0 src2=0
	v_pk_mul_f32 v[130:131], v[18:19] /*v[274:275]*/, v[130:131] op_sel_hi:[1,0]
	s_set_vgpr_msb 0                        ;  msbs: dst=0 src0=0 src1=0 src2=0
	v_fma_f32 v15, v252, v164, -v15
	s_wait_loadcnt 0x3
	v_dual_fmac_f32 v35, v245, v156 :: v_dual_mov_b32 v134, v191
	v_dual_add_f32 v5, v5, v31 :: v_dual_fma_f32 v17, v254, v166, -v17
	v_pk_fma_f32 v[138:139], v[200:201], v[184:185], v[128:129] op_sel_hi:[1,0,1]
	v_pk_fma_f32 v[128:129], v[200:201], v[184:185], v[128:129] neg_lo:[0,0,1] neg_hi:[0,0,1]
	v_pk_mul_f32 v[132:133], v[204:205], v[188:189] op_sel:[1,1] op_sel_hi:[0,1]
	s_delay_alu instid0(VALU_DEP_4) | instskip(NEXT) | instid1(VALU_DEP_4)
	v_dual_add_f32 v5, v5, v33 :: v_dual_fma_f32 v23, v246, v158, -v23
	v_mov_b32_e32 v129, v139
	v_pk_fma_f32 v[138:139], v[202:203], v[186:187], v[130:131] op_sel_hi:[1,0,1]
	v_add_f32_e32 v9, v9, v19
	v_pk_fma_f32 v[130:131], v[202:203], v[186:187], v[130:131] neg_lo:[0,0,1] neg_hi:[0,0,1]
	v_add_f32_e32 v5, v5, v35
	v_pk_fma_f32 v[142:143], v[204:205], v[188:189], v[132:133] op_sel_hi:[1,0,1]
	s_set_vgpr_msb 1                        ;  msbs: dst=0 src0=1 src1=0 src2=0
	v_pk_mul_f32 v[134:135], v[20:21] /*v[276:277]*/, v[134:135] op_sel_hi:[1,0]
	s_set_vgpr_msb 0                        ;  msbs: dst=0 src0=0 src1=0 src2=0
	v_dual_mov_b32 v131, v139 :: v_dual_add_f32 v9, v9, v21
	v_pk_fma_f32 v[132:133], v[204:205], v[188:189], v[132:133] neg_lo:[0,0,1] neg_hi:[0,0,1]
	v_mov_b32_e32 v133, v143
	v_pk_fma_f32 v[138:139], v[206:207], v[190:191], v[134:135] op_sel_hi:[1,0,1]
	v_add_f32_e32 v5, v5, v37
	v_add_f32_e32 v9, v9, v23
	v_pk_fma_f32 v[134:135], v[206:207], v[190:191], v[134:135] neg_lo:[0,0,1] neg_hi:[0,0,1]
	s_wait_dscnt 0x3
	s_set_vgpr_msb 1                        ;  msbs: dst=0 src0=1 src1=0 src2=0
	v_dual_mul_f32 v47, v0 /*v256*/, v169 :: v_dual_mul_f32 v49, v2 /*v258*/, v171
	s_set_vgpr_msb 0                        ;  msbs: dst=0 src0=0 src1=0 src2=0
	v_dual_mov_b32 v135, v139 :: v_dual_add_f32 v5, v5, v39
	v_add_f32_e32 v9, v9, v11
	s_set_vgpr_msb 1                        ;  msbs: dst=0 src0=1 src1=0 src2=0
	v_dual_mul_f32 v19, v1 /*v257*/, v169 :: v_dual_mul_f32 v21, v3 /*v259*/, v171
	v_dual_fmac_f32 v47, v1 /*v257*/, v168 :: v_dual_fmac_f32 v49, v3 /*v259*/, v170
	s_set_vgpr_msb 0                        ;  msbs: dst=0 src0=0 src1=0 src2=0
	v_add_f32_e32 v5, v5, v41
	v_add_f32_e32 v9, v9, v13
	s_set_vgpr_msb 1                        ;  msbs: dst=0 src0=1 src1=0 src2=0
	v_fma_f32 v19, v0 /*v256*/, v168, -v19
	s_wait_dscnt 0x2
	v_dual_mul_f32 v51, v4 /*v260*/, v173 :: v_dual_mul_f32 v53, v6 /*v262*/, v175
	s_set_vgpr_msb 0                        ;  msbs: dst=0 src0=0 src1=0 src2=0
	v_add_f32_e32 v5, v5, v43
	v_add_f32_e32 v9, v9, v15
	s_set_vgpr_msb 1                        ;  msbs: dst=0 src0=1 src1=0 src2=0
	v_dual_mul_f32 v23, v5 /*v261*/, v173 :: v_dual_mul_f32 v11, v7 /*v263*/, v175
	v_fma_f32 v21, v2 /*v258*/, v170, -v21
	s_set_vgpr_msb 0                        ;  msbs: dst=0 src0=0 src1=0 src2=0
	v_add_f32_e32 v5, v5, v45
	v_add_f32_e32 v9, v9, v17
	s_wait_dscnt 0x0
	s_set_vgpr_msb 1                        ;  msbs: dst=0 src0=1 src1=0 src2=0
	v_mul_f32_e32 v17, v13 /*v269*/, v181
	v_dual_mul_f32 v55, v8 /*v264*/, v177 :: v_dual_mul_f32 v57, v10 /*v266*/, v179
	s_set_vgpr_msb 0                        ;  msbs: dst=0 src0=0 src1=0 src2=0
	v_add_f32_e32 v5, v5, v47
	v_add_f32_e32 v9, v9, v19
	s_set_vgpr_msb 1                        ;  msbs: dst=0 src0=1 src1=0 src2=0
	v_dual_mul_f32 v19, v15 /*v271*/, v183 :: v_dual_fmac_f32 v51, v5 /*v261*/, v172
	v_dual_fmac_f32 v53, v7 /*v263*/, v174 :: v_dual_fma_f32 v23, v4 /*v260*/, v172, -v23
	v_fmac_f32_e32 v57, v11 /*v267*/, v178
	s_set_vgpr_msb 0                        ;  msbs: dst=0 src0=0 src1=0 src2=0
	v_add_f32_e32 v5, v5, v49
	v_add_f32_e32 v9, v9, v21
	s_set_vgpr_msb 1                        ;  msbs: dst=0 src0=1 src1=0 src2=0
	v_dual_mul_f32 v13, v9 /*v265*/, v177 :: v_dual_mul_f32 v15, v11 /*v267*/, v179
	v_fma_f32 v11, v6 /*v262*/, v174, -v11
	s_set_vgpr_msb 0                        ;  msbs: dst=0 src0=0 src1=0 src2=0
	v_add_f32_e32 v5, v5, v51
	v_add_f32_e32 v9, v9, v23
	s_set_vgpr_msb 1                        ;  msbs: dst=0 src0=1 src1=0 src2=0
	v_dual_fmac_f32 v55, v9 /*v265*/, v176 :: v_dual_fma_f32 v13, v8 /*v264*/, v176, -v13
	s_set_vgpr_msb 0x41                     ;  msbs: dst=1 src0=1 src1=0 src2=0
	v_dual_mul_f32 v27 /*v283*/, v12 /*v268*/, v181 :: v_dual_mul_f32 v29 /*v285*/, v14 /*v270*/, v183
	s_set_vgpr_msb 0                        ;  msbs: dst=0 src0=0 src1=0 src2=0
	v_add_f32_e32 v5, v5, v53
	v_add_f32_e32 v9, v9, v11
	s_set_vgpr_msb 1                        ;  msbs: dst=0 src0=1 src1=0 src2=0
	v_fma_f32 v11, v10 /*v266*/, v178, -v15
	s_set_vgpr_msb 0x41                     ;  msbs: dst=1 src0=1 src1=0 src2=0
	v_dual_fmac_f32 v27 /*v283*/, v13 /*v269*/, v180 :: v_dual_fmac_f32 v29 /*v285*/, v15 /*v271*/, v182
	s_set_vgpr_msb 0                        ;  msbs: dst=0 src0=0 src1=0 src2=0
	v_add_f32_e32 v5, v5, v55
	v_add_f32_e32 v9, v9, v13
	s_set_vgpr_msb 0x41                     ;  msbs: dst=1 src0=1 src1=0 src2=0
	v_dual_fma_f32 v26 /*v282*/, v12 /*v268*/, v180, -v17 :: v_dual_fma_f32 v28 /*v284*/, v14 /*v270*/, v182, -v19
	s_wait_loadcnt 0x2
	s_set_vgpr_msb 0                        ;  msbs: dst=0 src0=0 src1=0 src2=0
	v_pk_mul_f32 v[140:141], v[208:209], v[192:193] op_sel:[1,1] op_sel_hi:[0,1]
	v_add_f32_e32 v137, v5, v57
	v_add_f32_e32 v136, v9, v11
	s_delay_alu instid0(VALU_DEP_3) | instskip(SKIP_1) | instid1(VALU_DEP_2)
	v_pk_fma_f32 v[138:139], v[208:209], v[192:193], v[140:141] neg_lo:[0,0,1] neg_hi:[0,0,1]
	s_set_vgpr_msb 4                        ;  msbs: dst=0 src0=0 src1=1 src2=0
	v_pk_add_f32 v[136:137], v[136:137], v[26:27] /*v[282:283]*/
	s_delay_alu instid0(VALU_DEP_1) | instskip(SKIP_1) | instid1(VALU_DEP_1)
	v_pk_add_f32 v[136:137], v[136:137], v[28:29] /*v[284:285]*/
	s_set_vgpr_msb 0                        ;  msbs: dst=0 src0=0 src1=0 src2=0
	v_pk_add_f32 v[128:129], v[136:137], v[128:129]
	v_mov_b32_e32 v136, v195
	s_delay_alu instid0(VALU_DEP_2) | instskip(SKIP_2) | instid1(VALU_DEP_3)
	v_pk_add_f32 v[128:129], v[128:129], v[130:131]
	v_pk_fma_f32 v[130:131], v[208:209], v[192:193], v[140:141] op_sel_hi:[1,0,1]
	s_set_vgpr_msb 1                        ;  msbs: dst=0 src0=1 src1=0 src2=0
	v_pk_mul_f32 v[136:137], v[22:23] /*v[278:279]*/, v[136:137] op_sel_hi:[1,0]
	s_set_vgpr_msb 0                        ;  msbs: dst=0 src0=0 src1=0 src2=0
	v_pk_add_f32 v[128:129], v[128:129], v[132:133]
	v_mov_b32_e32 v139, v131
	s_delay_alu instid0(VALU_DEP_3)
	v_pk_fma_f32 v[130:131], v[210:211], v[194:195], v[136:137] op_sel_hi:[1,0,1]
	s_wait_loadcnt 0x1
	v_pk_mul_f32 v[132:133], v[212:213], v[196:197] op_sel:[1,1] op_sel_hi:[0,1]
	v_mov_b32_e32 v130, v199
	v_pk_add_f32 v[128:129], v[128:129], v[134:135]
	v_pk_fma_f32 v[136:137], v[210:211], v[194:195], v[136:137] neg_lo:[0,0,1] neg_hi:[0,0,1]
	v_mov_b32_e32 v137, v131
	v_pk_fma_f32 v[134:135], v[212:213], v[196:197], v[132:133] op_sel_hi:[1,0,1]
	s_set_vgpr_msb 1                        ;  msbs: dst=0 src0=1 src1=0 src2=0
	v_pk_mul_f32 v[130:131], v[24:25] /*v[280:281]*/, v[130:131] op_sel_hi:[1,0]
	s_set_vgpr_msb 0                        ;  msbs: dst=0 src0=0 src1=0 src2=0
	v_pk_add_f32 v[128:129], v[128:129], v[138:139]
	v_pk_fma_f32 v[132:133], v[212:213], v[196:197], v[132:133] neg_lo:[0,0,1] neg_hi:[0,0,1]
	v_mov_b32_e32 v133, v135
	v_pk_fma_f32 v[134:135], v[214:215], v[198:199], v[130:131] op_sel_hi:[1,0,1]
	s_delay_alu instid0(VALU_DEP_4) | instskip(SKIP_1) | instid1(VALU_DEP_3)
	v_pk_add_f32 v[128:129], v[128:129], v[136:137]
	v_pk_fma_f32 v[130:131], v[214:215], v[198:199], v[130:131] neg_lo:[0,0,1] neg_hi:[0,0,1]
	v_mov_b32_e32 v131, v135
	s_delay_alu instid0(VALU_DEP_3) | instskip(NEXT) | instid1(VALU_DEP_1)
	v_pk_add_f32 v[128:129], v[128:129], v[132:133]
	v_pk_add_f32 v[128:129], v[128:129], v[130:131]
	s_wait_loadcnt 0x0
	s_set_vgpr_msb 1                        ;  msbs: dst=0 src0=1 src1=0 src2=0
	s_delay_alu instid0(VALU_DEP_1)
	v_pk_add_f32 v[128:129], v[16:17] /*v[272:273]*/, v[128:129] neg_lo:[0,1] neg_hi:[0,1]
	scratch_store_b64 off, v[128:129], off offset:208
	s_wait_xcnt 0x0
	v_cmpx_lt_u32_e32 25, v0
	s_set_vgpr_msb 0                        ;  msbs: dst=0 src0=0 src1=0 src2=0
	s_cbranch_execz .LBB62_341
; %bb.340:
	scratch_load_b64 v[128:129], off, off offset:200
	v_mov_b64_e32 v[130:131], 0
	scratch_store_b64 off, v[130:131], off offset:200
	s_wait_loadcnt 0x0
	ds_store_b64 v1, v[128:129]
.LBB62_341:
	s_wait_xcnt 0x0
	s_or_b32 exec_lo, exec_lo, s0
	s_wait_storecnt_dscnt 0x0
	s_barrier_signal -1
	s_barrier_wait -1
	s_clause 0x14
	scratch_load_b128 v[128:131], off, off offset:208
	scratch_load_b128 v[132:135], off, off offset:224
	;; [unrolled: 1-line block ×18, first 2 shown]
	s_set_vgpr_msb 64                       ;  msbs: dst=1 src0=0 src1=0 src2=0
	scratch_load_b64 v[16:17] /*v[272:273]*/, off, off offset:496
	scratch_load_b64 v[18:19] /*v[274:275]*/, off, off offset:200
	s_set_vgpr_msb 0                        ;  msbs: dst=0 src0=0 src1=0 src2=0
	v_mov_b32_e32 v5, 0
	ds_load_b128 v[200:203], v5 offset:944
	ds_load_b128 v[204:207], v5 offset:960
	;; [unrolled: 1-line block ×14, first 2 shown]
	s_set_vgpr_msb 64                       ;  msbs: dst=1 src0=0 src1=0 src2=0
	ds_load_b128 v[0:3] /*v[256:259]*/, v5 offset:880
	ds_load_b128 v[4:7] /*v[260:263]*/, v5 offset:896
	;; [unrolled: 1-line block ×4, first 2 shown]
	ds_load_b64 v[20:21] /*v[276:277]*/, v5 offset:1008
	s_mov_b32 s0, exec_lo
	s_wait_dscnt 0x12
	v_dual_mov_b32 v22 /*v278*/, v203 :: v_dual_mov_b32 v23 /*v279*/, v202
	s_wait_dscnt 0x11
	v_dual_mov_b32 v24 /*v280*/, v207 :: v_dual_mov_b32 v25 /*v281*/, v206
	;; [unrolled: 2-line block ×4, first 2 shown]
	s_wait_loadcnt 0x13
	s_set_vgpr_msb 0                        ;  msbs: dst=0 src0=0 src1=0 src2=0
	v_dual_mul_f32 v9, v212, v129 :: v_dual_mul_f32 v11, v214, v131
	s_wait_loadcnt 0x12
	v_dual_mul_f32 v13, v216, v133 :: v_dual_mul_f32 v65, v215, v131
	v_mul_f32_e32 v67, v217, v133
	s_delay_alu instid0(VALU_DEP_3) | instskip(SKIP_1) | instid1(VALU_DEP_3)
	v_dual_mul_f32 v63, v213, v129 :: v_dual_fmac_f32 v9, v213, v128
	s_wait_loadcnt_dscnt 0x100b
	v_dual_mul_f32 v77, v231, v143 :: v_dual_fma_f32 v65, v214, v130, -v65
	s_wait_loadcnt_dscnt 0xa05
	s_delay_alu instid0(VALU_DEP_2)
	v_dual_mul_f32 v47, v254, v167 :: v_dual_fma_f32 v63, v212, v128, -v63
	v_dual_fmac_f32 v11, v215, v130 :: v_dual_add_f32 v9, 0, v9
	s_wait_loadcnt_dscnt 0x601
	s_set_vgpr_msb 1                        ;  msbs: dst=0 src0=1 src1=0 src2=0
	v_mul_f32_e32 v61, v12 /*v268*/, v181
	s_set_vgpr_msb 0                        ;  msbs: dst=0 src0=0 src1=0 src2=0
	v_dual_mul_f32 v15, v218, v135 :: v_dual_mul_f32 v17, v224, v137
	v_add_f32_e32 v63, 0, v63
	v_dual_mul_f32 v69, v219, v135 :: v_dual_mul_f32 v71, v225, v137
	v_dual_mul_f32 v79, v233, v145 :: v_dual_fma_f32 v67, v216, v132, -v67
	v_fmac_f32_e32 v13, v217, v132
	v_dual_add_f32 v9, v9, v11 :: v_dual_fmac_f32 v15, v219, v134
	v_add_f32_e32 v11, v63, v65
	v_dual_mul_f32 v63, v235, v147 :: v_dual_fma_f32 v65, v218, v134, -v69
	s_delay_alu instid0(VALU_DEP_3) | instskip(NEXT) | instid1(VALU_DEP_3)
	v_dual_add_f32 v9, v9, v13 :: v_dual_mul_f32 v19, v226, v139
	v_dual_mul_f32 v21, v228, v141 :: v_dual_add_f32 v11, v11, v67
	v_dual_mul_f32 v73, v227, v139 :: v_dual_mul_f32 v75, v229, v141
	v_dual_mul_f32 v13, v237, v149 :: v_dual_fma_f32 v67, v224, v136, -v71
	s_delay_alu instid0(VALU_DEP_3) | instskip(SKIP_1) | instid1(VALU_DEP_4)
	v_dual_fmac_f32 v17, v225, v136 :: v_dual_add_f32 v11, v11, v65
	v_dual_add_f32 v9, v9, v15 :: v_dual_fmac_f32 v19, v227, v138
	v_dual_mul_f32 v15, v239, v151 :: v_dual_fma_f32 v65, v226, v138, -v73
	s_delay_alu instid0(VALU_DEP_2) | instskip(SKIP_2) | instid1(VALU_DEP_3)
	v_dual_add_f32 v11, v11, v67 :: v_dual_add_f32 v9, v9, v17
	v_dual_mul_f32 v23, v230, v143 :: v_dual_mul_f32 v25, v232, v145
	v_dual_mul_f32 v17, v241, v153 :: v_dual_fma_f32 v67, v228, v140, -v75
	v_dual_fmac_f32 v21, v229, v140 :: v_dual_add_f32 v11, v11, v65
	s_delay_alu instid0(VALU_DEP_3) | instskip(SKIP_1) | instid1(VALU_DEP_2)
	v_dual_add_f32 v9, v9, v19 :: v_dual_fmac_f32 v23, v231, v142
	v_dual_mul_f32 v19, v243, v155 :: v_dual_fma_f32 v65, v230, v142, -v77
	v_dual_add_f32 v11, v11, v67 :: v_dual_add_f32 v9, v9, v21
	v_dual_mul_f32 v27, v234, v147 :: v_dual_mul_f32 v29, v236, v149
	v_dual_mul_f32 v21, v245, v157 :: v_dual_fma_f32 v67, v232, v144, -v79
	s_delay_alu instid0(VALU_DEP_3) | instskip(NEXT) | instid1(VALU_DEP_3)
	v_dual_fmac_f32 v25, v233, v144 :: v_dual_add_f32 v11, v11, v65
	v_dual_add_f32 v9, v9, v23 :: v_dual_fmac_f32 v27, v235, v146
	v_dual_mul_f32 v23, v247, v159 :: v_dual_fma_f32 v63, v234, v146, -v63
	s_delay_alu instid0(VALU_DEP_2) | instskip(SKIP_2) | instid1(VALU_DEP_3)
	v_dual_add_f32 v11, v11, v67 :: v_dual_add_f32 v9, v9, v25
	v_dual_mul_f32 v31, v238, v151 :: v_dual_mul_f32 v33, v240, v153
	v_dual_mul_f32 v25, v249, v161 :: v_dual_fma_f32 v13, v236, v148, -v13
	v_dual_fmac_f32 v29, v237, v148 :: v_dual_add_f32 v11, v11, v63
	s_delay_alu instid0(VALU_DEP_3) | instskip(SKIP_1) | instid1(VALU_DEP_3)
	v_dual_add_f32 v9, v9, v27 :: v_dual_fmac_f32 v31, v239, v150
	v_dual_mul_f32 v27, v251, v163 :: v_dual_fma_f32 v15, v238, v150, -v15
	v_dual_add_f32 v11, v11, v13 :: v_dual_fmac_f32 v33, v241, v152
	s_delay_alu instid0(VALU_DEP_3) | instskip(SKIP_1) | instid1(VALU_DEP_3)
	v_dual_add_f32 v9, v9, v29 :: v_dual_fma_f32 v17, v240, v152, -v17
	v_dual_mul_f32 v35, v242, v155 :: v_dual_mul_f32 v37, v244, v157
	v_dual_mul_f32 v13, v253, v165 :: v_dual_add_f32 v11, v11, v15
	s_delay_alu instid0(VALU_DEP_2) | instskip(SKIP_1) | instid1(VALU_DEP_3)
	v_dual_add_f32 v9, v9, v31 :: v_dual_fmac_f32 v35, v243, v154
	v_dual_mul_f32 v15, v255, v167 :: v_dual_fma_f32 v19, v242, v154, -v19
	v_dual_add_f32 v11, v11, v17 :: v_dual_fmac_f32 v37, v245, v156
	s_delay_alu instid0(VALU_DEP_3) | instskip(SKIP_1) | instid1(VALU_DEP_3)
	v_dual_add_f32 v9, v9, v33 :: v_dual_fma_f32 v21, v244, v156, -v21
	v_dual_mul_f32 v39, v246, v159 :: v_dual_mul_f32 v41, v248, v161
	v_dual_add_f32 v11, v11, v19 :: v_dual_fma_f32 v23, v246, v158, -v23
	s_delay_alu instid0(VALU_DEP_2) | instskip(SKIP_1) | instid1(VALU_DEP_3)
	v_dual_add_f32 v9, v9, v35 :: v_dual_fmac_f32 v39, v247, v158
	v_dual_mul_f32 v43, v250, v163 :: v_dual_mul_f32 v45, v252, v165
	v_dual_add_f32 v11, v11, v21 :: v_dual_fmac_f32 v41, v249, v160
	s_delay_alu instid0(VALU_DEP_3) | instskip(NEXT) | instid1(VALU_DEP_3)
	v_dual_add_f32 v9, v9, v37 :: v_dual_fma_f32 v25, v248, v160, -v25
	v_fmac_f32_e32 v43, v251, v162
	s_delay_alu instid0(VALU_DEP_3) | instskip(NEXT) | instid1(VALU_DEP_3)
	v_dual_add_f32 v11, v11, v23 :: v_dual_fma_f32 v27, v250, v162, -v27
	v_add_f32_e32 v9, v9, v39
	v_fmac_f32_e32 v45, v253, v164
	s_delay_alu instid0(VALU_DEP_3)
	v_dual_fma_f32 v13, v252, v164, -v13 :: v_dual_add_f32 v11, v11, v25
	s_set_vgpr_msb 1                        ;  msbs: dst=0 src0=1 src1=0 src2=0
	v_dual_mul_f32 v49, v0 /*v256*/, v169 :: v_dual_mul_f32 v51, v2 /*v258*/, v171
	s_set_vgpr_msb 0                        ;  msbs: dst=0 src0=0 src1=0 src2=0
	v_add_f32_e32 v9, v9, v41
	s_set_vgpr_msb 1                        ;  msbs: dst=0 src0=1 src1=0 src2=0
	v_dual_mul_f32 v17, v1 /*v257*/, v169 :: v_dual_mul_f32 v19, v3 /*v259*/, v171
	s_set_vgpr_msb 0                        ;  msbs: dst=0 src0=0 src1=0 src2=0
	v_dual_add_f32 v11, v11, v27 :: v_dual_fma_f32 v15, v254, v166, -v15
	v_dual_add_f32 v9, v9, v43 :: v_dual_fmac_f32 v47, v255, v166
	s_set_vgpr_msb 1                        ;  msbs: dst=0 src0=1 src1=0 src2=0
	v_dual_mul_f32 v53, v4 /*v260*/, v173 :: v_dual_mul_f32 v55, v6 /*v262*/, v175
	s_set_vgpr_msb 0                        ;  msbs: dst=0 src0=0 src1=0 src2=0
	v_add_f32_e32 v11, v11, v13
	v_add_f32_e32 v9, v9, v45
	s_set_vgpr_msb 1                        ;  msbs: dst=0 src0=1 src1=0 src2=0
	v_dual_mul_f32 v21, v5 /*v261*/, v173 :: v_dual_mul_f32 v23, v7 /*v263*/, v175
	v_dual_mul_f32 v13, v13 /*v269*/, v181 :: v_dual_fma_f32 v17, v0 /*v256*/, v168, -v17
	v_fmac_f32_e32 v49, v1 /*v257*/, v168
	s_set_vgpr_msb 0                        ;  msbs: dst=0 src0=0 src1=0 src2=0
	v_add_f32_e32 v11, v11, v15
	v_add_f32_e32 v9, v9, v47
	s_set_vgpr_msb 1                        ;  msbs: dst=0 src0=1 src1=0 src2=0
	v_mul_f32_e32 v15, v15 /*v271*/, v183
	v_dual_fmac_f32 v51, v3 /*v259*/, v170 :: v_dual_fmac_f32 v53, v5 /*v261*/, v172
	v_dual_fma_f32 v19, v2 /*v258*/, v170, -v19 :: v_dual_fma_f32 v21, v4 /*v260*/, v172, -v21
	s_set_vgpr_msb 0                        ;  msbs: dst=0 src0=0 src1=0 src2=0
	v_add_f32_e32 v11, v11, v17
	v_add_f32_e32 v9, v9, v49
	s_set_vgpr_msb 1                        ;  msbs: dst=0 src0=1 src1=0 src2=0
	v_dual_mul_f32 v57, v8 /*v264*/, v177 :: v_dual_mul_f32 v59, v10 /*v266*/, v179
	v_dual_mul_f32 v25, v9 /*v265*/, v177 :: v_dual_mul_f32 v27, v11 /*v267*/, v179
	s_set_vgpr_msb 0                        ;  msbs: dst=0 src0=0 src1=0 src2=0
	v_add_f32_e32 v11, v11, v19
	v_add_f32_e32 v9, v9, v51
	s_set_vgpr_msb 1                        ;  msbs: dst=0 src0=1 src1=0 src2=0
	v_dual_fmac_f32 v55, v7 /*v263*/, v174 :: v_dual_fmac_f32 v57, v9 /*v265*/, v176
	v_fma_f32 v19, v6 /*v262*/, v174, -v23
	s_set_vgpr_msb 0                        ;  msbs: dst=0 src0=0 src1=0 src2=0
	v_add_f32_e32 v11, v11, v21
	s_set_vgpr_msb 1                        ;  msbs: dst=0 src0=1 src1=0 src2=0
	v_fma_f32 v21, v8 /*v264*/, v176, -v25
	s_set_vgpr_msb 0                        ;  msbs: dst=0 src0=0 src1=0 src2=0
	v_add_f32_e32 v9, v9, v53
	s_wait_loadcnt 0x5
	v_dual_mul_f32 v17, v201, v185 :: v_dual_mov_b32 v128, v187
	v_add_f32_e32 v11, v11, v19
	s_set_vgpr_msb 1                        ;  msbs: dst=0 src0=1 src1=0 src2=0
	v_dual_fmac_f32 v59, v11 /*v267*/, v178 :: v_dual_fmac_f32 v61, v13 /*v269*/, v180
	s_wait_loadcnt 0x4
	s_set_vgpr_msb 0                        ;  msbs: dst=0 src0=0 src1=0 src2=0
	v_dual_add_f32 v9, v9, v55 :: v_dual_mov_b32 v132, v191
	s_set_vgpr_msb 1                        ;  msbs: dst=0 src0=1 src1=0 src2=0
	v_dual_fma_f32 v19, v10 /*v266*/, v178, -v27 :: v_dual_fma_f32 v13, v12 /*v268*/, v180, -v13
	s_set_vgpr_msb 0x41                     ;  msbs: dst=1 src0=1 src1=0 src2=0
	v_dual_mul_f32 v31 /*v287*/, v14 /*v270*/, v183 :: v_dual_fma_f32 v30 /*v286*/, v14 /*v270*/, v182, -v15
	s_set_vgpr_msb 0                        ;  msbs: dst=0 src0=0 src1=0 src2=0
	v_add_f32_e32 v9, v9, v57
	v_add_f32_e32 v11, v11, v21
	s_set_vgpr_msb 1                        ;  msbs: dst=0 src0=1 src1=0 src2=0
	v_pk_mul_f32 v[128:129], v[22:23] /*v[278:279]*/, v[128:129] op_sel_hi:[1,0]
	s_set_vgpr_msb 64                       ;  msbs: dst=1 src0=0 src1=0 src2=0
	v_dual_mul_f32 v33 /*v289*/, v200, v185 :: v_dual_fma_f32 v32 /*v288*/, v200, v184, -v17
	s_set_vgpr_msb 0                        ;  msbs: dst=0 src0=0 src1=0 src2=0
	v_add_f32_e32 v9, v9, v59
	v_add_f32_e32 v11, v11, v19
	s_set_vgpr_msb 0x41                     ;  msbs: dst=1 src0=1 src1=0 src2=0
	v_fmac_f32_e32 v31 /*v287*/, v15 /*v271*/, v182
	s_set_vgpr_msb 0                        ;  msbs: dst=0 src0=0 src1=0 src2=0
	v_pk_fma_f32 v[140:141], v[202:203], v[186:187], v[128:129] op_sel_hi:[1,0,1]
	v_pk_fma_f32 v[128:129], v[202:203], v[186:187], v[128:129] neg_lo:[0,0,1] neg_hi:[0,0,1]
	v_add_f32_e32 v137, v9, v61
	v_add_f32_e32 v136, v11, v13
	v_pk_mul_f32 v[130:131], v[204:205], v[188:189] op_sel:[1,1] op_sel_hi:[0,1]
	s_set_vgpr_msb 64                       ;  msbs: dst=1 src0=0 src1=0 src2=0
	v_fmac_f32_e32 v33 /*v289*/, v201, v184
	s_set_vgpr_msb 0                        ;  msbs: dst=0 src0=0 src1=0 src2=0
	v_mov_b32_e32 v129, v141
	s_set_vgpr_msb 1                        ;  msbs: dst=0 src0=1 src1=0 src2=0
	v_pk_mul_f32 v[132:133], v[24:25] /*v[280:281]*/, v[132:133] op_sel_hi:[1,0]
	s_set_vgpr_msb 4                        ;  msbs: dst=0 src0=0 src1=1 src2=0
	v_pk_add_f32 v[136:137], v[136:137], v[30:31] /*v[286:287]*/
	s_set_vgpr_msb 0                        ;  msbs: dst=0 src0=0 src1=0 src2=0
	v_pk_fma_f32 v[142:143], v[204:205], v[188:189], v[130:131] op_sel_hi:[1,0,1]
	v_pk_fma_f32 v[130:131], v[204:205], v[188:189], v[130:131] neg_lo:[0,0,1] neg_hi:[0,0,1]
	s_wait_loadcnt 0x3
	v_pk_mul_f32 v[134:135], v[208:209], v[192:193] op_sel:[1,1] op_sel_hi:[0,1]
	v_mov_b32_e32 v138, v195
	s_set_vgpr_msb 4                        ;  msbs: dst=0 src0=0 src1=1 src2=0
	v_pk_add_f32 v[136:137], v[136:137], v[32:33] /*v[288:289]*/
	v_mov_b32_e32 v131, v143
	s_set_vgpr_msb 0                        ;  msbs: dst=0 src0=0 src1=0 src2=0
	v_pk_fma_f32 v[142:143], v[206:207], v[190:191], v[132:133] op_sel_hi:[1,0,1]
	v_pk_fma_f32 v[132:133], v[206:207], v[190:191], v[132:133] neg_lo:[0,0,1] neg_hi:[0,0,1]
	s_set_vgpr_msb 1                        ;  msbs: dst=0 src0=1 src1=0 src2=0
	v_pk_mul_f32 v[138:139], v[26:27] /*v[282:283]*/, v[138:139] op_sel_hi:[1,0]
	s_set_vgpr_msb 0                        ;  msbs: dst=0 src0=0 src1=0 src2=0
	v_pk_add_f32 v[128:129], v[136:137], v[128:129]
	v_pk_fma_f32 v[136:137], v[208:209], v[192:193], v[134:135] op_sel_hi:[1,0,1]
	v_mov_b32_e32 v133, v143
	v_pk_fma_f32 v[134:135], v[208:209], v[192:193], v[134:135] neg_lo:[0,0,1] neg_hi:[0,0,1]
	s_wait_loadcnt 0x2
	v_pk_mul_f32 v[140:141], v[220:221], v[196:197] op_sel:[1,1] op_sel_hi:[0,1]
	v_pk_add_f32 v[128:129], v[128:129], v[130:131]
	v_dual_mov_b32 v130, v199 :: v_dual_mov_b32 v135, v137
	v_pk_fma_f32 v[136:137], v[210:211], v[194:195], v[138:139] op_sel_hi:[1,0,1]
	v_pk_fma_f32 v[138:139], v[210:211], v[194:195], v[138:139] neg_lo:[0,0,1] neg_hi:[0,0,1]
	s_delay_alu instid0(VALU_DEP_4)
	v_pk_add_f32 v[128:129], v[128:129], v[132:133]
	v_pk_fma_f32 v[132:133], v[220:221], v[196:197], v[140:141] op_sel_hi:[1,0,1]
	s_set_vgpr_msb 1                        ;  msbs: dst=0 src0=1 src1=0 src2=0
	v_pk_mul_f32 v[130:131], v[28:29] /*v[284:285]*/, v[130:131] op_sel_hi:[1,0]
	s_set_vgpr_msb 0                        ;  msbs: dst=0 src0=0 src1=0 src2=0
	v_mov_b32_e32 v139, v137
	s_wait_loadcnt_dscnt 0x100
	s_set_vgpr_msb 5                        ;  msbs: dst=0 src0=1 src1=1 src2=0
	v_pk_mul_f32 v[136:137], v[20:21] /*v[276:277]*/, v[16:17] /*v[272:273]*/ op_sel:[1,1] op_sel_hi:[0,1]
	s_set_vgpr_msb 0                        ;  msbs: dst=0 src0=0 src1=0 src2=0
	v_pk_add_f32 v[128:129], v[128:129], v[134:135]
	v_pk_fma_f32 v[134:135], v[220:221], v[196:197], v[140:141] neg_lo:[0,0,1] neg_hi:[0,0,1]
	v_mov_b32_e32 v135, v133
	v_pk_fma_f32 v[132:133], v[222:223], v[198:199], v[130:131] op_sel_hi:[1,0,1]
	v_pk_fma_f32 v[130:131], v[222:223], v[198:199], v[130:131] neg_lo:[0,0,1] neg_hi:[0,0,1]
	v_pk_add_f32 v[128:129], v[128:129], v[138:139]
	s_delay_alu instid0(VALU_DEP_3)
	v_mov_b32_e32 v131, v133
	s_set_vgpr_msb 5                        ;  msbs: dst=0 src0=1 src1=1 src2=0
	v_pk_fma_f32 v[132:133], v[20:21] /*v[276:277]*/, v[16:17] /*v[272:273]*/, v[136:137] op_sel_hi:[1,0,1]
	s_set_vgpr_msb 0                        ;  msbs: dst=0 src0=0 src1=0 src2=0
	v_pk_add_f32 v[128:129], v[128:129], v[134:135]
	s_set_vgpr_msb 5                        ;  msbs: dst=0 src0=1 src1=1 src2=0
	v_pk_fma_f32 v[134:135], v[20:21] /*v[276:277]*/, v[16:17] /*v[272:273]*/, v[136:137] neg_lo:[0,0,1] neg_hi:[0,0,1]
	s_set_vgpr_msb 0                        ;  msbs: dst=0 src0=0 src1=0 src2=0
	v_mov_b32_e32 v135, v133
	v_pk_add_f32 v[128:129], v[128:129], v[130:131]
	s_delay_alu instid0(VALU_DEP_1) | instskip(SKIP_2) | instid1(VALU_DEP_1)
	v_pk_add_f32 v[128:129], v[128:129], v[134:135]
	s_wait_loadcnt 0x0
	s_set_vgpr_msb 1                        ;  msbs: dst=0 src0=1 src1=0 src2=0
	v_pk_add_f32 v[128:129], v[18:19] /*v[274:275]*/, v[128:129] neg_lo:[0,1] neg_hi:[0,1]
	scratch_store_b64 off, v[128:129], off offset:200
	s_wait_xcnt 0x0
	v_cmpx_lt_u32_e32 24, v0
	s_set_vgpr_msb 0                        ;  msbs: dst=0 src0=0 src1=0 src2=0
	s_cbranch_execz .LBB62_343
; %bb.342:
	scratch_load_b64 v[128:129], off, off offset:192
	v_mov_b64_e32 v[130:131], 0
	scratch_store_b64 off, v[130:131], off offset:192
	s_wait_loadcnt 0x0
	ds_store_b64 v1, v[128:129]
.LBB62_343:
	s_wait_xcnt 0x0
	s_or_b32 exec_lo, exec_lo, s0
	s_wait_storecnt_dscnt 0x0
	s_barrier_signal -1
	s_barrier_wait -1
	s_clause 0xd
	scratch_load_b128 v[132:135], off, off offset:200
	scratch_load_b128 v[140:143], off, off offset:216
	scratch_load_b128 v[148:151], off, off offset:232
	scratch_load_b128 v[156:159], off, off offset:248
	scratch_load_b128 v[164:167], off, off offset:264
	scratch_load_b128 v[172:175], off, off offset:280
	scratch_load_b128 v[180:183], off, off offset:296
	scratch_load_b128 v[188:191], off, off offset:312
	scratch_load_b128 v[196:199], off, off offset:328
	scratch_load_b128 v[204:207], off, off offset:344
	scratch_load_b128 v[212:215], off, off offset:360
	scratch_load_b128 v[220:223], off, off offset:376
	scratch_load_b128 v[228:231], off, off offset:392
	scratch_load_b128 v[236:239], off, off offset:408
	ds_load_2addr_b64 v[128:131], v5 offset0:89 offset1:90
	ds_load_2addr_b64 v[136:139], v5 offset0:91 offset1:92
	;; [unrolled: 1-line block ×7, first 2 shown]
	scratch_load_b128 v[244:247], off, off offset:424
	ds_load_2addr_b64 v[176:179], v5 offset0:101 offset1:102
	ds_load_2addr_b64 v[184:187], v5 offset0:103 offset1:104
	;; [unrolled: 1-line block ×8, first 2 shown]
	s_clause 0x4
	scratch_load_b128 v[248:251], off, off offset:440
	scratch_load_b128 v[252:255], off, off offset:456
	s_set_vgpr_msb 64                       ;  msbs: dst=1 src0=0 src1=0 src2=0
	scratch_load_b128 v[0:3] /*v[256:259]*/, off, off offset:472
	scratch_load_b128 v[4:7] /*v[260:263]*/, off, off offset:488
	s_mov_b32 s0, exec_lo
	s_wait_loadcnt_dscnt 0x120e
	s_set_vgpr_msb 0                        ;  msbs: dst=0 src0=0 src1=0 src2=0
	v_dual_mul_f32 v9, v128, v133 :: v_dual_mul_f32 v11, v130, v135
	s_delay_alu instid0(VALU_DEP_1) | instskip(NEXT) | instid1(VALU_DEP_1)
	v_dual_fmac_f32 v9, v129, v132 :: v_dual_fmac_f32 v11, v131, v134
	v_add_f32_e32 v9, 0, v9
	s_wait_loadcnt_dscnt 0x110d
	s_delay_alu instid0(VALU_DEP_1) | instskip(NEXT) | instid1(VALU_DEP_1)
	v_dual_add_f32 v9, v9, v11 :: v_dual_mul_f32 v11, v136, v141
	v_fmac_f32_e32 v11, v137, v140
	s_wait_loadcnt_dscnt 0x408
	s_set_vgpr_msb 64                       ;  msbs: dst=1 src0=0 src1=0 src2=0
	v_dual_mul_f32 v11 /*v267*/, v240, v245 :: v_dual_mul_f32 v13 /*v269*/, v242, v247
	s_set_vgpr_msb 0                        ;  msbs: dst=0 src0=0 src1=0 src2=0
	v_add_f32_e32 v9, v9, v11
	v_mul_f32_e32 v11, v138, v143
	s_set_vgpr_msb 64                       ;  msbs: dst=1 src0=0 src1=0 src2=0
	v_fmac_f32_e32 v11 /*v267*/, v241, v244
	s_set_vgpr_msb 0                        ;  msbs: dst=0 src0=0 src1=0 src2=0
	s_delay_alu instid0(VALU_DEP_2) | instskip(NEXT) | instid1(VALU_DEP_1)
	v_fmac_f32_e32 v11, v139, v142
	v_dual_add_f32 v9, v9, v11 :: v_dual_mul_f32 v11, v144, v149
	s_delay_alu instid0(VALU_DEP_1) | instskip(NEXT) | instid1(VALU_DEP_1)
	v_fmac_f32_e32 v11, v145, v148
	v_add_f32_e32 v9, v9, v11
	v_mul_f32_e32 v11, v146, v151
	s_delay_alu instid0(VALU_DEP_1) | instskip(NEXT) | instid1(VALU_DEP_1)
	v_fmac_f32_e32 v11, v147, v150
	v_dual_add_f32 v9, v9, v11 :: v_dual_mul_f32 v11, v152, v157
	s_delay_alu instid0(VALU_DEP_1) | instskip(NEXT) | instid1(VALU_DEP_1)
	v_fmac_f32_e32 v11, v153, v156
	v_add_f32_e32 v9, v9, v11
	v_mul_f32_e32 v11, v154, v159
	s_delay_alu instid0(VALU_DEP_1) | instskip(NEXT) | instid1(VALU_DEP_1)
	v_fmac_f32_e32 v11, v155, v158
	v_dual_add_f32 v9, v9, v11 :: v_dual_mul_f32 v11, v160, v165
	s_delay_alu instid0(VALU_DEP_1) | instskip(NEXT) | instid1(VALU_DEP_1)
	v_fmac_f32_e32 v11, v161, v164
	v_add_f32_e32 v9, v9, v11
	v_mul_f32_e32 v11, v162, v167
	s_delay_alu instid0(VALU_DEP_1) | instskip(NEXT) | instid1(VALU_DEP_1)
	v_fmac_f32_e32 v11, v163, v166
	v_dual_add_f32 v9, v9, v11 :: v_dual_mul_f32 v11, v168, v173
	s_delay_alu instid0(VALU_DEP_1) | instskip(NEXT) | instid1(VALU_DEP_1)
	v_fmac_f32_e32 v11, v169, v172
	v_add_f32_e32 v9, v9, v11
	v_mul_f32_e32 v11, v170, v175
	s_delay_alu instid0(VALU_DEP_1) | instskip(SKIP_1) | instid1(VALU_DEP_1)
	v_fmac_f32_e32 v11, v171, v174
	s_wait_dscnt 0x7
	v_dual_add_f32 v9, v9, v11 :: v_dual_mul_f32 v11, v176, v181
	s_delay_alu instid0(VALU_DEP_1) | instskip(NEXT) | instid1(VALU_DEP_1)
	v_fmac_f32_e32 v11, v177, v180
	v_add_f32_e32 v9, v9, v11
	v_mul_f32_e32 v11, v178, v183
	s_delay_alu instid0(VALU_DEP_1) | instskip(SKIP_1) | instid1(VALU_DEP_1)
	v_fmac_f32_e32 v11, v179, v182
	s_wait_dscnt 0x6
	v_dual_add_f32 v9, v9, v11 :: v_dual_mul_f32 v11, v184, v189
	s_delay_alu instid0(VALU_DEP_1) | instskip(NEXT) | instid1(VALU_DEP_1)
	v_fmac_f32_e32 v11, v185, v188
	v_add_f32_e32 v9, v9, v11
	v_mul_f32_e32 v11, v186, v191
	s_delay_alu instid0(VALU_DEP_1) | instskip(SKIP_1) | instid1(VALU_DEP_1)
	v_fmac_f32_e32 v11, v187, v190
	s_wait_dscnt 0x5
	v_dual_add_f32 v9, v9, v11 :: v_dual_mul_f32 v11, v192, v197
	s_delay_alu instid0(VALU_DEP_1) | instskip(NEXT) | instid1(VALU_DEP_1)
	v_fmac_f32_e32 v11, v193, v196
	v_add_f32_e32 v9, v9, v11
	v_mul_f32_e32 v11, v194, v199
	s_delay_alu instid0(VALU_DEP_1) | instskip(SKIP_1) | instid1(VALU_DEP_1)
	v_fmac_f32_e32 v11, v195, v198
	s_wait_dscnt 0x4
	v_dual_add_f32 v9, v9, v11 :: v_dual_mul_f32 v11, v200, v205
	s_delay_alu instid0(VALU_DEP_1) | instskip(NEXT) | instid1(VALU_DEP_1)
	v_fmac_f32_e32 v11, v201, v204
	v_add_f32_e32 v9, v9, v11
	v_mul_f32_e32 v11, v202, v207
	s_delay_alu instid0(VALU_DEP_1) | instskip(SKIP_1) | instid1(VALU_DEP_1)
	v_fmac_f32_e32 v11, v203, v206
	s_wait_dscnt 0x3
	v_dual_add_f32 v9, v9, v11 :: v_dual_mul_f32 v11, v208, v213
	s_delay_alu instid0(VALU_DEP_1) | instskip(NEXT) | instid1(VALU_DEP_1)
	v_fmac_f32_e32 v11, v209, v212
	v_add_f32_e32 v9, v9, v11
	v_mul_f32_e32 v11, v210, v215
	s_delay_alu instid0(VALU_DEP_1) | instskip(SKIP_1) | instid1(VALU_DEP_1)
	v_fmac_f32_e32 v11, v211, v214
	s_wait_dscnt 0x2
	v_dual_add_f32 v9, v9, v11 :: v_dual_mul_f32 v11, v216, v221
	s_delay_alu instid0(VALU_DEP_1) | instskip(NEXT) | instid1(VALU_DEP_1)
	v_fmac_f32_e32 v11, v217, v220
	v_add_f32_e32 v9, v9, v11
	v_mul_f32_e32 v11, v218, v223
	s_delay_alu instid0(VALU_DEP_1) | instskip(SKIP_1) | instid1(VALU_DEP_1)
	v_fmac_f32_e32 v11, v219, v222
	s_wait_dscnt 0x1
	v_dual_add_f32 v9, v9, v11 :: v_dual_mul_f32 v11, v224, v229
	s_delay_alu instid0(VALU_DEP_1) | instskip(NEXT) | instid1(VALU_DEP_1)
	v_fmac_f32_e32 v11, v225, v228
	v_add_f32_e32 v9, v9, v11
	v_mul_f32_e32 v11, v226, v231
	s_delay_alu instid0(VALU_DEP_1) | instskip(SKIP_1) | instid1(VALU_DEP_1)
	v_fmac_f32_e32 v11, v227, v230
	s_wait_dscnt 0x0
	v_dual_add_f32 v9, v9, v11 :: v_dual_mul_f32 v11, v232, v237
	s_delay_alu instid0(VALU_DEP_1) | instskip(NEXT) | instid1(VALU_DEP_1)
	v_fmac_f32_e32 v11, v233, v236
	v_add_f32_e32 v9, v9, v11
	v_mul_f32_e32 v11, v234, v239
	s_delay_alu instid0(VALU_DEP_1) | instskip(SKIP_1) | instid1(VALU_DEP_1)
	v_fmac_f32_e32 v11, v235, v238
	s_set_vgpr_msb 64                       ;  msbs: dst=1 src0=0 src1=0 src2=0
	v_add_f32_e32 v9 /*v265*/, v9, v11
	s_set_vgpr_msb 0                        ;  msbs: dst=0 src0=0 src1=0 src2=0
	v_dual_mul_f32 v9, v129, v133 :: v_dual_mul_f32 v11, v131, v135
	s_delay_alu instid0(VALU_DEP_1) | instskip(NEXT) | instid1(VALU_DEP_1)
	v_dual_fma_f32 v9, v128, v132, -v9 :: v_dual_fma_f32 v11, v130, v134, -v11
	v_add_f32_e32 v9, 0, v9
	s_delay_alu instid0(VALU_DEP_1) | instskip(SKIP_1) | instid1(VALU_DEP_1)
	v_add_f32_e32 v9, v9, v11
	v_mul_f32_e32 v11, v137, v141
	v_fma_f32 v11, v136, v140, -v11
	s_delay_alu instid0(VALU_DEP_1) | instskip(SKIP_1) | instid1(VALU_DEP_1)
	v_add_f32_e32 v9, v9, v11
	v_mul_f32_e32 v11, v139, v143
	v_fma_f32 v11, v138, v142, -v11
	ds_load_2addr_b64 v[128:131], v5 offset0:119 offset1:120
	ds_load_2addr_b64 v[132:135], v5 offset0:121 offset1:122
	;; [unrolled: 1-line block ×4, first 2 shown]
	v_add_f32_e32 v9, v9, v11
	v_mul_f32_e32 v11, v145, v149
	s_delay_alu instid0(VALU_DEP_1) | instskip(NEXT) | instid1(VALU_DEP_1)
	v_fma_f32 v11, v144, v148, -v11
	v_add_f32_e32 v9, v9, v11
	v_mul_f32_e32 v11, v147, v151
	s_delay_alu instid0(VALU_DEP_1) | instskip(SKIP_2) | instid1(VALU_DEP_2)
	v_fma_f32 v11, v146, v150, -v11
	s_wait_loadcnt_dscnt 0x303
	v_pk_mul_f32 v[146:147], v[128:129], v[248:249] op_sel:[1,1] op_sel_hi:[0,1]
	v_add_f32_e32 v9, v9, v11
	v_mul_f32_e32 v11, v153, v157
	s_delay_alu instid0(VALU_DEP_3) | instskip(SKIP_1) | instid1(VALU_DEP_3)
	v_pk_fma_f32 v[148:149], v[128:129], v[248:249], v[146:147] neg_lo:[0,0,1] neg_hi:[0,0,1]
	v_pk_fma_f32 v[128:129], v[128:129], v[248:249], v[146:147] op_sel_hi:[1,0,1]
	v_dual_mov_b32 v146, v251 :: v_dual_fma_f32 v11, v152, v156, -v11
	s_delay_alu instid0(VALU_DEP_2) | instskip(NEXT) | instid1(VALU_DEP_2)
	v_mov_b32_e32 v149, v129
	v_add_f32_e32 v9, v9, v11
	v_mul_f32_e32 v11, v155, v159
	s_delay_alu instid0(VALU_DEP_1) | instskip(NEXT) | instid1(VALU_DEP_1)
	v_fma_f32 v11, v154, v158, -v11
	v_add_f32_e32 v9, v9, v11
	v_mul_f32_e32 v11, v161, v165
	s_delay_alu instid0(VALU_DEP_1) | instskip(NEXT) | instid1(VALU_DEP_1)
	v_fma_f32 v11, v160, v164, -v11
	;; [unrolled: 4-line block ×20, first 2 shown]
	v_add_f32_e32 v9, v9, v11
	v_mul_f32_e32 v11, v235, v239
	s_delay_alu instid0(VALU_DEP_1) | instskip(SKIP_1) | instid1(VALU_DEP_1)
	v_fma_f32 v11, v234, v238, -v11
	s_set_vgpr_msb 64                       ;  msbs: dst=1 src0=0 src1=0 src2=0
	v_dual_fmac_f32 v13 /*v269*/, v243, v246 :: v_dual_add_f32 v8 /*v264*/, v9, v11
	s_set_vgpr_msb 0                        ;  msbs: dst=0 src0=0 src1=0 src2=0
	v_mul_f32_e32 v9, v241, v245
	s_set_vgpr_msb 64                       ;  msbs: dst=1 src0=0 src1=0 src2=0
	s_delay_alu instid0(VALU_DEP_1) | instskip(SKIP_3) | instid1(VALU_DEP_1)
	v_fma_f32 v10 /*v266*/, v240, v244, -v9
	s_set_vgpr_msb 0                        ;  msbs: dst=0 src0=0 src1=0 src2=0
	v_mul_f32_e32 v9, v243, v247
	s_set_vgpr_msb 64                       ;  msbs: dst=1 src0=0 src1=0 src2=0
	v_fma_f32 v12 /*v268*/, v242, v246, -v9
	s_set_vgpr_msb 5                        ;  msbs: dst=0 src0=1 src1=1 src2=0
	v_pk_add_f32 v[144:145], v[8:9] /*v[264:265]*/, v[10:11] /*v[266:267]*/
	s_set_vgpr_msb 4                        ;  msbs: dst=0 src0=0 src1=1 src2=0
	s_delay_alu instid0(VALU_DEP_1) | instskip(SKIP_1) | instid1(VALU_DEP_1)
	v_pk_add_f32 v[144:145], v[144:145], v[12:13] /*v[268:269]*/
	s_set_vgpr_msb 0                        ;  msbs: dst=0 src0=0 src1=0 src2=0
	v_pk_add_f32 v[128:129], v[144:145], v[148:149]
	v_dual_mov_b32 v144, v131 :: v_dual_mov_b32 v145, v130
	s_delay_alu instid0(VALU_DEP_1) | instskip(NEXT) | instid1(VALU_DEP_1)
	v_pk_mul_f32 v[144:145], v[144:145], v[146:147] op_sel_hi:[1,0]
	v_pk_fma_f32 v[146:147], v[130:131], v[250:251], v[144:145] neg_lo:[0,0,1] neg_hi:[0,0,1]
	v_pk_fma_f32 v[130:131], v[130:131], v[250:251], v[144:145] op_sel_hi:[1,0,1]
	s_delay_alu instid0(VALU_DEP_1) | instskip(SKIP_2) | instid1(VALU_DEP_2)
	v_mov_b32_e32 v147, v131
	s_wait_loadcnt_dscnt 0x202
	v_pk_mul_f32 v[130:131], v[132:133], v[252:253] op_sel:[1,1] op_sel_hi:[0,1]
	v_pk_add_f32 v[128:129], v[128:129], v[146:147]
	s_delay_alu instid0(VALU_DEP_2) | instskip(SKIP_2) | instid1(VALU_DEP_2)
	v_pk_fma_f32 v[144:145], v[132:133], v[252:253], v[130:131] neg_lo:[0,0,1] neg_hi:[0,0,1]
	v_pk_fma_f32 v[130:131], v[132:133], v[252:253], v[130:131] op_sel_hi:[1,0,1]
	v_dual_mov_b32 v130, v135 :: v_dual_mov_b32 v132, v255
	v_dual_mov_b32 v145, v131 :: v_dual_mov_b32 v131, v134
	s_delay_alu instid0(VALU_DEP_1) | instskip(NEXT) | instid1(VALU_DEP_2)
	v_pk_add_f32 v[128:129], v[128:129], v[144:145]
	v_pk_mul_f32 v[130:131], v[130:131], v[132:133] op_sel_hi:[1,0]
	s_delay_alu instid0(VALU_DEP_1) | instskip(SKIP_1) | instid1(VALU_DEP_1)
	v_pk_fma_f32 v[132:133], v[134:135], v[254:255], v[130:131] neg_lo:[0,0,1] neg_hi:[0,0,1]
	v_pk_fma_f32 v[130:131], v[134:135], v[254:255], v[130:131] op_sel_hi:[1,0,1]
	v_mov_b32_e32 v133, v131
	s_wait_loadcnt_dscnt 0x101
	s_set_vgpr_msb 4                        ;  msbs: dst=0 src0=0 src1=1 src2=0
	v_pk_mul_f32 v[130:131], v[136:137], v[0:1] /*v[256:257]*/ op_sel:[1,1] op_sel_hi:[0,1]
	s_set_vgpr_msb 0                        ;  msbs: dst=0 src0=0 src1=0 src2=0
	v_pk_add_f32 v[128:129], v[128:129], v[132:133]
	s_set_vgpr_msb 4                        ;  msbs: dst=0 src0=0 src1=1 src2=0
	s_delay_alu instid0(VALU_DEP_2) | instskip(SKIP_1) | instid1(VALU_DEP_1)
	v_pk_fma_f32 v[132:133], v[136:137], v[0:1] /*v[256:257]*/, v[130:131] neg_lo:[0,0,1] neg_hi:[0,0,1]
	v_pk_fma_f32 v[130:131], v[136:137], v[0:1] /*v[256:257]*/, v[130:131] op_sel_hi:[1,0,1]
	v_dual_mov_b32 v130, v139 :: v_dual_mov_b32 v133, v131
	v_mov_b32_e32 v131, v138
	s_set_vgpr_msb 0                        ;  msbs: dst=0 src0=0 src1=0 src2=0
	s_delay_alu instid0(VALU_DEP_2) | instskip(SKIP_3) | instid1(VALU_DEP_1)
	v_pk_add_f32 v[128:129], v[128:129], v[132:133]
	s_set_vgpr_msb 1                        ;  msbs: dst=0 src0=1 src1=0 src2=0
	v_mov_b32_e32 v132, v3 /*v259*/
	s_set_vgpr_msb 0                        ;  msbs: dst=0 src0=0 src1=0 src2=0
	v_pk_mul_f32 v[130:131], v[130:131], v[132:133] op_sel_hi:[1,0]
	s_set_vgpr_msb 4                        ;  msbs: dst=0 src0=0 src1=1 src2=0
	s_delay_alu instid0(VALU_DEP_1) | instskip(SKIP_1) | instid1(VALU_DEP_1)
	v_pk_fma_f32 v[132:133], v[138:139], v[2:3] /*v[258:259]*/, v[130:131] neg_lo:[0,0,1] neg_hi:[0,0,1]
	v_pk_fma_f32 v[130:131], v[138:139], v[2:3] /*v[258:259]*/, v[130:131] op_sel_hi:[1,0,1]
	v_mov_b32_e32 v133, v131
	s_wait_loadcnt_dscnt 0x0
	v_pk_mul_f32 v[130:131], v[140:141], v[4:5] /*v[260:261]*/ op_sel:[1,1] op_sel_hi:[0,1]
	s_set_vgpr_msb 0                        ;  msbs: dst=0 src0=0 src1=0 src2=0
	s_delay_alu instid0(VALU_DEP_2) | instskip(SKIP_1) | instid1(VALU_DEP_2)
	v_pk_add_f32 v[128:129], v[128:129], v[132:133]
	s_set_vgpr_msb 4                        ;  msbs: dst=0 src0=0 src1=1 src2=0
	v_pk_fma_f32 v[132:133], v[140:141], v[4:5] /*v[260:261]*/, v[130:131] neg_lo:[0,0,1] neg_hi:[0,0,1]
	v_pk_fma_f32 v[130:131], v[140:141], v[4:5] /*v[260:261]*/, v[130:131] op_sel_hi:[1,0,1]
	s_delay_alu instid0(VALU_DEP_1) | instskip(SKIP_2) | instid1(VALU_DEP_2)
	v_dual_mov_b32 v130, v143 :: v_dual_mov_b32 v133, v131
	v_mov_b32_e32 v131, v142
	s_set_vgpr_msb 0                        ;  msbs: dst=0 src0=0 src1=0 src2=0
	v_pk_add_f32 v[128:129], v[128:129], v[132:133]
	s_set_vgpr_msb 1                        ;  msbs: dst=0 src0=1 src1=0 src2=0
	v_mov_b32_e32 v132, v7 /*v263*/
	s_set_vgpr_msb 0                        ;  msbs: dst=0 src0=0 src1=0 src2=0
	s_delay_alu instid0(VALU_DEP_1) | instskip(SKIP_1) | instid1(VALU_DEP_1)
	v_pk_mul_f32 v[130:131], v[130:131], v[132:133] op_sel_hi:[1,0]
	s_set_vgpr_msb 4                        ;  msbs: dst=0 src0=0 src1=1 src2=0
	v_pk_fma_f32 v[132:133], v[142:143], v[6:7] /*v[262:263]*/, v[130:131] neg_lo:[0,0,1] neg_hi:[0,0,1]
	v_pk_fma_f32 v[130:131], v[142:143], v[6:7] /*v[262:263]*/, v[130:131] op_sel_hi:[1,0,1]
	s_delay_alu instid0(VALU_DEP_1) | instskip(SKIP_4) | instid1(VALU_DEP_1)
	v_mov_b32_e32 v133, v131
	scratch_load_b64 v[130:131], off, off offset:192
	s_set_vgpr_msb 0                        ;  msbs: dst=0 src0=0 src1=0 src2=0
	v_pk_add_f32 v[128:129], v[128:129], v[132:133]
	s_wait_loadcnt 0x0
	v_pk_add_f32 v[128:129], v[130:131], v[128:129] neg_lo:[0,1] neg_hi:[0,1]
	scratch_store_b64 off, v[128:129], off offset:192
	s_wait_xcnt 0x0
	v_cmpx_lt_u32_e32 23, v0
	s_cbranch_execz .LBB62_345
; %bb.344:
	scratch_load_b64 v[128:129], off, off offset:184
	v_mov_b64_e32 v[130:131], 0
	scratch_store_b64 off, v[130:131], off offset:184
	s_wait_loadcnt 0x0
	ds_store_b64 v1, v[128:129]
.LBB62_345:
	s_wait_xcnt 0x0
	s_or_b32 exec_lo, exec_lo, s0
	v_mov_b32_e32 v5, 0
	s_wait_storecnt_dscnt 0x0
	s_barrier_signal -1
	s_barrier_wait -1
	ds_load_b128 v[128:131], v5 offset:704
	ds_load_b128 v[132:135], v5 offset:720
	;; [unrolled: 1-line block ×4, first 2 shown]
	s_clause 0xf
	scratch_load_b128 v[144:147], off, off offset:192
	scratch_load_b128 v[148:151], off, off offset:208
	;; [unrolled: 1-line block ×16, first 2 shown]
	s_mov_b32 s0, exec_lo
	s_wait_loadcnt_dscnt 0xf03
	v_mul_f32_e32 v9, v128, v145
	ds_load_b128 v[240:243], v5 offset:928
	ds_load_b128 v[248:251], v5 offset:944
	;; [unrolled: 1-line block ×4, first 2 shown]
	v_dual_fmac_f32 v9, v129, v144 :: v_dual_mul_f32 v11, v130, v147
	ds_load_b128 v[176:179], v5 offset:800
	ds_load_b128 v[184:187], v5 offset:816
	;; [unrolled: 1-line block ×4, first 2 shown]
	v_dual_add_f32 v9, 0, v9 :: v_dual_fmac_f32 v11, v131, v146
	ds_load_b128 v[208:211], v5 offset:864
	ds_load_b128 v[216:219], v5 offset:880
	;; [unrolled: 1-line block ×4, first 2 shown]
	s_wait_loadcnt_dscnt 0xe0e
	v_dual_add_f32 v9, v9, v11 :: v_dual_mul_f32 v11, v132, v149
	s_set_vgpr_msb 64                       ;  msbs: dst=1 src0=0 src1=0 src2=0
	s_clause 0x3
	scratch_load_b128 v[0:3] /*v[256:259]*/, off, off offset:448
	scratch_load_b128 v[4:7] /*v[260:263]*/, off, off offset:464
	;; [unrolled: 1-line block ×3, first 2 shown]
	scratch_load_b64 v[18:19] /*v[274:275]*/, off, off offset:496
	s_wait_loadcnt_dscnt 0x40a
	v_dual_mul_f32 v15 /*v271*/, v242, v247 :: v_dual_mul_f32 v17 /*v273*/, v248, v253
	s_set_vgpr_msb 0                        ;  msbs: dst=0 src0=0 src1=0 src2=0
	v_fmac_f32_e32 v11, v133, v148
	s_set_vgpr_msb 64                       ;  msbs: dst=1 src0=0 src1=0 src2=0
	s_delay_alu instid0(VALU_DEP_2) | instskip(SKIP_1) | instid1(VALU_DEP_2)
	v_dual_fmac_f32 v15 /*v271*/, v243, v246 :: v_dual_fmac_f32 v17 /*v273*/, v249, v252
	s_set_vgpr_msb 0                        ;  msbs: dst=0 src0=0 src1=0 src2=0
	v_add_f32_e32 v9, v9, v11
	v_mul_f32_e32 v11, v134, v151
	s_delay_alu instid0(VALU_DEP_1) | instskip(NEXT) | instid1(VALU_DEP_1)
	v_fmac_f32_e32 v11, v135, v150
	v_dual_add_f32 v9, v9, v11 :: v_dual_mul_f32 v11, v136, v153
	s_delay_alu instid0(VALU_DEP_1) | instskip(NEXT) | instid1(VALU_DEP_1)
	v_fmac_f32_e32 v11, v137, v152
	v_add_f32_e32 v9, v9, v11
	v_mul_f32_e32 v11, v138, v155
	s_delay_alu instid0(VALU_DEP_1) | instskip(NEXT) | instid1(VALU_DEP_1)
	v_fmac_f32_e32 v11, v139, v154
	v_dual_add_f32 v9, v9, v11 :: v_dual_mul_f32 v11, v140, v157
	s_delay_alu instid0(VALU_DEP_1) | instskip(NEXT) | instid1(VALU_DEP_1)
	v_fmac_f32_e32 v11, v141, v156
	v_add_f32_e32 v9, v9, v11
	v_mul_f32_e32 v11, v142, v159
	s_delay_alu instid0(VALU_DEP_1) | instskip(SKIP_1) | instid1(VALU_DEP_1)
	v_fmac_f32_e32 v11, v143, v158
	s_wait_dscnt 0x9
	v_dual_add_f32 v9, v9, v11 :: v_dual_mul_f32 v11, v160, v165
	s_delay_alu instid0(VALU_DEP_1) | instskip(NEXT) | instid1(VALU_DEP_1)
	v_fmac_f32_e32 v11, v161, v164
	v_add_f32_e32 v9, v9, v11
	v_mul_f32_e32 v11, v162, v167
	s_delay_alu instid0(VALU_DEP_1) | instskip(SKIP_1) | instid1(VALU_DEP_1)
	v_fmac_f32_e32 v11, v163, v166
	s_wait_dscnt 0x8
	;; [unrolled: 8-line block ×10, first 2 shown]
	v_dual_add_f32 v9, v9, v11 :: v_dual_mul_f32 v11, v232, v237
	s_delay_alu instid0(VALU_DEP_1) | instskip(NEXT) | instid1(VALU_DEP_1)
	v_fmac_f32_e32 v11, v233, v236
	v_add_f32_e32 v9, v9, v11
	v_mul_f32_e32 v11, v234, v239
	s_delay_alu instid0(VALU_DEP_1) | instskip(NEXT) | instid1(VALU_DEP_1)
	v_fmac_f32_e32 v11, v235, v238
	v_dual_add_f32 v9, v9, v11 :: v_dual_mul_f32 v11, v240, v245
	s_delay_alu instid0(VALU_DEP_1) | instskip(SKIP_1) | instid1(VALU_DEP_1)
	v_fmac_f32_e32 v11, v241, v244
	s_set_vgpr_msb 64                       ;  msbs: dst=1 src0=0 src1=0 src2=0
	v_add_f32_e32 v13 /*v269*/, v9, v11
	s_set_vgpr_msb 0                        ;  msbs: dst=0 src0=0 src1=0 src2=0
	v_dual_mul_f32 v9, v129, v145 :: v_dual_mul_f32 v11, v131, v147
	s_delay_alu instid0(VALU_DEP_1) | instskip(NEXT) | instid1(VALU_DEP_2)
	v_dual_mov_b32 v145, v250 :: v_dual_fma_f32 v9, v128, v144, -v9
	v_dual_fma_f32 v11, v130, v146, -v11 :: v_dual_mov_b32 v144, v251
	s_delay_alu instid0(VALU_DEP_2) | instskip(NEXT) | instid1(VALU_DEP_1)
	v_dual_mov_b32 v146, v255 :: v_dual_add_f32 v9, 0, v9
	v_pk_mul_f32 v[144:145], v[144:145], v[146:147] op_sel_hi:[1,0]
	s_delay_alu instid0(VALU_DEP_2) | instskip(SKIP_1) | instid1(VALU_DEP_3)
	v_add_f32_e32 v9, v9, v11
	v_mul_f32_e32 v11, v133, v149
	v_pk_fma_f32 v[146:147], v[250:251], v[254:255], v[144:145] neg_lo:[0,0,1] neg_hi:[0,0,1]
	v_pk_fma_f32 v[144:145], v[250:251], v[254:255], v[144:145] op_sel_hi:[1,0,1]
	s_delay_alu instid0(VALU_DEP_1) | instskip(NEXT) | instid1(VALU_DEP_1)
	v_dual_fma_f32 v11, v132, v148, -v11 :: v_dual_mov_b32 v147, v145
	v_add_f32_e32 v9, v9, v11
	v_mul_f32_e32 v11, v135, v151
	s_delay_alu instid0(VALU_DEP_1) | instskip(NEXT) | instid1(VALU_DEP_1)
	v_fma_f32 v11, v134, v150, -v11
	v_add_f32_e32 v9, v9, v11
	v_mul_f32_e32 v11, v137, v153
	s_delay_alu instid0(VALU_DEP_1) | instskip(NEXT) | instid1(VALU_DEP_1)
	v_fma_f32 v11, v136, v152, -v11
	;; [unrolled: 4-line block ×3, first 2 shown]
	v_add_f32_e32 v9, v9, v11
	v_mul_f32_e32 v11, v141, v157
	s_delay_alu instid0(VALU_DEP_1)
	v_fma_f32 v11, v140, v156, -v11
	ds_load_b128 v[128:131], v5 offset:960
	ds_load_b128 v[132:135], v5 offset:976
	;; [unrolled: 1-line block ×3, first 2 shown]
	ds_load_b64 v[140:141], v5 offset:1008
	v_add_f32_e32 v9, v9, v11
	v_mul_f32_e32 v11, v143, v159
	s_delay_alu instid0(VALU_DEP_1) | instskip(NEXT) | instid1(VALU_DEP_1)
	v_fma_f32 v11, v142, v158, -v11
	v_add_f32_e32 v9, v9, v11
	v_mul_f32_e32 v11, v161, v165
	s_wait_loadcnt_dscnt 0x303
	s_set_vgpr_msb 4                        ;  msbs: dst=0 src0=0 src1=1 src2=0
	v_pk_mul_f32 v[144:145], v[128:129], v[0:1] /*v[256:257]*/ op_sel:[1,1] op_sel_hi:[0,1]
	s_set_vgpr_msb 0                        ;  msbs: dst=0 src0=0 src1=0 src2=0
	v_fma_f32 v11, v160, v164, -v11
	s_delay_alu instid0(VALU_DEP_1) | instskip(SKIP_1) | instid1(VALU_DEP_1)
	v_add_f32_e32 v9, v9, v11
	v_mul_f32_e32 v11, v163, v167
	v_fma_f32 v11, v162, v166, -v11
	s_delay_alu instid0(VALU_DEP_1) | instskip(SKIP_1) | instid1(VALU_DEP_1)
	v_add_f32_e32 v9, v9, v11
	v_mul_f32_e32 v11, v169, v173
	;; [unrolled: 4-line block ×20, first 2 shown]
	v_fma_f32 v11, v240, v244, -v11
	s_set_vgpr_msb 64                       ;  msbs: dst=1 src0=0 src1=0 src2=0
	s_delay_alu instid0(VALU_DEP_1) | instskip(SKIP_3) | instid1(VALU_DEP_1)
	v_add_f32_e32 v12 /*v268*/, v9, v11
	s_set_vgpr_msb 0                        ;  msbs: dst=0 src0=0 src1=0 src2=0
	v_mul_f32_e32 v9, v243, v247
	s_set_vgpr_msb 64                       ;  msbs: dst=1 src0=0 src1=0 src2=0
	v_fma_f32 v14 /*v270*/, v242, v246, -v9
	s_set_vgpr_msb 0                        ;  msbs: dst=0 src0=0 src1=0 src2=0
	v_mul_f32_e32 v9, v249, v253
	s_set_vgpr_msb 5                        ;  msbs: dst=0 src0=1 src1=1 src2=0
	s_delay_alu instid0(VALU_DEP_2) | instskip(SKIP_1) | instid1(VALU_DEP_2)
	v_pk_add_f32 v[142:143], v[12:13] /*v[268:269]*/, v[14:15] /*v[270:271]*/
	s_set_vgpr_msb 64                       ;  msbs: dst=1 src0=0 src1=0 src2=0
	v_fma_f32 v16 /*v272*/, v248, v252, -v9
	s_set_vgpr_msb 4                        ;  msbs: dst=0 src0=0 src1=1 src2=0
	s_delay_alu instid0(VALU_DEP_1) | instskip(SKIP_1) | instid1(VALU_DEP_1)
	v_pk_add_f32 v[142:143], v[142:143], v[16:17] /*v[272:273]*/
	s_set_vgpr_msb 0                        ;  msbs: dst=0 src0=0 src1=0 src2=0
	v_pk_add_f32 v[142:143], v[142:143], v[146:147]
	s_set_vgpr_msb 4                        ;  msbs: dst=0 src0=0 src1=1 src2=0
	v_pk_fma_f32 v[146:147], v[128:129], v[0:1] /*v[256:257]*/, v[144:145] neg_lo:[0,0,1] neg_hi:[0,0,1]
	v_pk_fma_f32 v[128:129], v[128:129], v[0:1] /*v[256:257]*/, v[144:145] op_sel_hi:[1,0,1]
	s_set_vgpr_msb 1                        ;  msbs: dst=0 src0=1 src1=0 src2=0
	v_mov_b32_e32 v144, v3 /*v259*/
	s_set_vgpr_msb 0                        ;  msbs: dst=0 src0=0 src1=0 src2=0
	s_delay_alu instid0(VALU_DEP_2) | instskip(NEXT) | instid1(VALU_DEP_1)
	v_mov_b32_e32 v147, v129
	v_pk_add_f32 v[128:129], v[142:143], v[146:147]
	v_dual_mov_b32 v142, v131 :: v_dual_mov_b32 v143, v130
	s_delay_alu instid0(VALU_DEP_1) | instskip(SKIP_1) | instid1(VALU_DEP_1)
	v_pk_mul_f32 v[142:143], v[142:143], v[144:145] op_sel_hi:[1,0]
	s_set_vgpr_msb 4                        ;  msbs: dst=0 src0=0 src1=1 src2=0
	v_pk_fma_f32 v[144:145], v[130:131], v[2:3] /*v[258:259]*/, v[142:143] neg_lo:[0,0,1] neg_hi:[0,0,1]
	v_pk_fma_f32 v[130:131], v[130:131], v[2:3] /*v[258:259]*/, v[142:143] op_sel_hi:[1,0,1]
	s_delay_alu instid0(VALU_DEP_1) | instskip(SKIP_3) | instid1(VALU_DEP_2)
	v_mov_b32_e32 v145, v131
	s_wait_loadcnt_dscnt 0x202
	v_pk_mul_f32 v[130:131], v[132:133], v[4:5] /*v[260:261]*/ op_sel:[1,1] op_sel_hi:[0,1]
	s_set_vgpr_msb 0                        ;  msbs: dst=0 src0=0 src1=0 src2=0
	v_pk_add_f32 v[128:129], v[128:129], v[144:145]
	s_set_vgpr_msb 4                        ;  msbs: dst=0 src0=0 src1=1 src2=0
	s_delay_alu instid0(VALU_DEP_2)
	v_pk_fma_f32 v[142:143], v[132:133], v[4:5] /*v[260:261]*/, v[130:131] neg_lo:[0,0,1] neg_hi:[0,0,1]
	v_pk_fma_f32 v[130:131], v[132:133], v[4:5] /*v[260:261]*/, v[130:131] op_sel_hi:[1,0,1]
	v_mov_b32_e32 v130, v135
	s_set_vgpr_msb 1                        ;  msbs: dst=0 src0=1 src1=0 src2=0
	v_mov_b32_e32 v132, v7 /*v263*/
	s_set_vgpr_msb 0                        ;  msbs: dst=0 src0=0 src1=0 src2=0
	v_dual_mov_b32 v143, v131 :: v_dual_mov_b32 v131, v134
	s_delay_alu instid0(VALU_DEP_1) | instskip(NEXT) | instid1(VALU_DEP_2)
	v_pk_add_f32 v[128:129], v[128:129], v[142:143]
	v_pk_mul_f32 v[130:131], v[130:131], v[132:133] op_sel_hi:[1,0]
	s_set_vgpr_msb 4                        ;  msbs: dst=0 src0=0 src1=1 src2=0
	s_delay_alu instid0(VALU_DEP_1) | instskip(SKIP_1) | instid1(VALU_DEP_1)
	v_pk_fma_f32 v[132:133], v[134:135], v[6:7] /*v[262:263]*/, v[130:131] neg_lo:[0,0,1] neg_hi:[0,0,1]
	v_pk_fma_f32 v[130:131], v[134:135], v[6:7] /*v[262:263]*/, v[130:131] op_sel_hi:[1,0,1]
	v_mov_b32_e32 v133, v131
	s_wait_loadcnt_dscnt 0x101
	v_pk_mul_f32 v[130:131], v[136:137], v[8:9] /*v[264:265]*/ op_sel:[1,1] op_sel_hi:[0,1]
	s_set_vgpr_msb 0                        ;  msbs: dst=0 src0=0 src1=0 src2=0
	s_delay_alu instid0(VALU_DEP_2) | instskip(SKIP_1) | instid1(VALU_DEP_2)
	v_pk_add_f32 v[128:129], v[128:129], v[132:133]
	s_set_vgpr_msb 4                        ;  msbs: dst=0 src0=0 src1=1 src2=0
	v_pk_fma_f32 v[132:133], v[136:137], v[8:9] /*v[264:265]*/, v[130:131] neg_lo:[0,0,1] neg_hi:[0,0,1]
	v_pk_fma_f32 v[130:131], v[136:137], v[8:9] /*v[264:265]*/, v[130:131] op_sel_hi:[1,0,1]
	s_delay_alu instid0(VALU_DEP_1) | instskip(SKIP_2) | instid1(VALU_DEP_2)
	v_dual_mov_b32 v130, v139 :: v_dual_mov_b32 v133, v131
	v_mov_b32_e32 v131, v138
	s_set_vgpr_msb 0                        ;  msbs: dst=0 src0=0 src1=0 src2=0
	v_pk_add_f32 v[128:129], v[128:129], v[132:133]
	s_set_vgpr_msb 1                        ;  msbs: dst=0 src0=1 src1=0 src2=0
	v_mov_b32_e32 v132, v11 /*v267*/
	s_set_vgpr_msb 0                        ;  msbs: dst=0 src0=0 src1=0 src2=0
	s_delay_alu instid0(VALU_DEP_1) | instskip(SKIP_1) | instid1(VALU_DEP_1)
	v_pk_mul_f32 v[130:131], v[130:131], v[132:133] op_sel_hi:[1,0]
	s_set_vgpr_msb 4                        ;  msbs: dst=0 src0=0 src1=1 src2=0
	v_pk_fma_f32 v[132:133], v[138:139], v[10:11] /*v[266:267]*/, v[130:131] neg_lo:[0,0,1] neg_hi:[0,0,1]
	v_pk_fma_f32 v[130:131], v[138:139], v[10:11] /*v[266:267]*/, v[130:131] op_sel_hi:[1,0,1]
	s_delay_alu instid0(VALU_DEP_1) | instskip(SKIP_3) | instid1(VALU_DEP_2)
	v_mov_b32_e32 v133, v131
	s_wait_loadcnt_dscnt 0x0
	v_pk_mul_f32 v[130:131], v[140:141], v[18:19] /*v[274:275]*/ op_sel:[1,1] op_sel_hi:[0,1]
	s_set_vgpr_msb 0                        ;  msbs: dst=0 src0=0 src1=0 src2=0
	v_pk_add_f32 v[128:129], v[128:129], v[132:133]
	s_set_vgpr_msb 4                        ;  msbs: dst=0 src0=0 src1=1 src2=0
	s_delay_alu instid0(VALU_DEP_2) | instskip(SKIP_1) | instid1(VALU_DEP_1)
	v_pk_fma_f32 v[132:133], v[140:141], v[18:19] /*v[274:275]*/, v[130:131] neg_lo:[0,0,1] neg_hi:[0,0,1]
	v_pk_fma_f32 v[130:131], v[140:141], v[18:19] /*v[274:275]*/, v[130:131] op_sel_hi:[1,0,1]
	v_mov_b32_e32 v133, v131
	scratch_load_b64 v[130:131], off, off offset:184
	s_set_vgpr_msb 0                        ;  msbs: dst=0 src0=0 src1=0 src2=0
	v_pk_add_f32 v[128:129], v[128:129], v[132:133]
	s_wait_loadcnt 0x0
	s_delay_alu instid0(VALU_DEP_1)
	v_pk_add_f32 v[128:129], v[130:131], v[128:129] neg_lo:[0,1] neg_hi:[0,1]
	scratch_store_b64 off, v[128:129], off offset:184
	s_wait_xcnt 0x0
	v_cmpx_lt_u32_e32 22, v0
	s_cbranch_execz .LBB62_347
; %bb.346:
	scratch_load_b64 v[128:129], off, off offset:176
	v_mov_b64_e32 v[130:131], 0
	scratch_store_b64 off, v[130:131], off offset:176
	s_wait_loadcnt 0x0
	ds_store_b64 v1, v[128:129]
.LBB62_347:
	s_wait_xcnt 0x0
	s_or_b32 exec_lo, exec_lo, s0
	s_wait_storecnt_dscnt 0x0
	s_barrier_signal -1
	s_barrier_wait -1
	s_clause 0xf
	scratch_load_b128 v[132:135], off, off offset:184
	scratch_load_b128 v[140:143], off, off offset:200
	;; [unrolled: 1-line block ×16, first 2 shown]
	ds_load_2addr_b64 v[128:131], v5 offset0:87 offset1:88
	ds_load_2addr_b64 v[136:139], v5 offset0:89 offset1:90
	;; [unrolled: 1-line block ×16, first 2 shown]
	s_set_vgpr_msb 64                       ;  msbs: dst=1 src0=0 src1=0 src2=0
	s_clause 0x3
	scratch_load_b128 v[0:3] /*v[256:259]*/, off, off offset:440
	scratch_load_b128 v[4:7] /*v[260:263]*/, off, off offset:456
	;; [unrolled: 1-line block ×4, first 2 shown]
	s_mov_b32 s0, exec_lo
	s_wait_loadcnt_dscnt 0x130f
	s_set_vgpr_msb 0                        ;  msbs: dst=0 src0=0 src1=0 src2=0
	v_dual_mul_f32 v9, v128, v133 :: v_dual_mul_f32 v11, v130, v135
	s_delay_alu instid0(VALU_DEP_1) | instskip(NEXT) | instid1(VALU_DEP_1)
	v_dual_fmac_f32 v9, v129, v132 :: v_dual_fmac_f32 v11, v131, v134
	v_add_f32_e32 v9, 0, v9
	s_wait_loadcnt_dscnt 0x120e
	s_delay_alu instid0(VALU_DEP_1)
	v_dual_add_f32 v9, v9, v11 :: v_dual_mul_f32 v11, v136, v141
	s_wait_loadcnt_dscnt 0x408
	s_set_vgpr_msb 64                       ;  msbs: dst=1 src0=0 src1=0 src2=0
	v_dual_mul_f32 v19 /*v275*/, v248, v253 :: v_dual_mul_f32 v21 /*v277*/, v250, v255
	s_set_vgpr_msb 0                        ;  msbs: dst=0 src0=0 src1=0 src2=0
	v_fmac_f32_e32 v11, v137, v140
	s_set_vgpr_msb 64                       ;  msbs: dst=1 src0=0 src1=0 src2=0
	s_delay_alu instid0(VALU_DEP_2) | instskip(SKIP_1) | instid1(VALU_DEP_2)
	v_fmac_f32_e32 v19 /*v275*/, v249, v252
	s_set_vgpr_msb 0                        ;  msbs: dst=0 src0=0 src1=0 src2=0
	v_add_f32_e32 v9, v9, v11
	v_mul_f32_e32 v11, v138, v143
	s_delay_alu instid0(VALU_DEP_1) | instskip(NEXT) | instid1(VALU_DEP_1)
	v_fmac_f32_e32 v11, v139, v142
	v_dual_add_f32 v9, v9, v11 :: v_dual_mul_f32 v11, v144, v149
	s_delay_alu instid0(VALU_DEP_1) | instskip(NEXT) | instid1(VALU_DEP_1)
	v_fmac_f32_e32 v11, v145, v148
	v_add_f32_e32 v9, v9, v11
	v_mul_f32_e32 v11, v146, v151
	s_delay_alu instid0(VALU_DEP_1) | instskip(NEXT) | instid1(VALU_DEP_1)
	v_fmac_f32_e32 v11, v147, v150
	v_dual_add_f32 v9, v9, v11 :: v_dual_mul_f32 v11, v152, v157
	s_delay_alu instid0(VALU_DEP_1) | instskip(NEXT) | instid1(VALU_DEP_1)
	v_fmac_f32_e32 v11, v153, v156
	;; [unrolled: 7-line block ×4, first 2 shown]
	v_add_f32_e32 v9, v9, v11
	v_mul_f32_e32 v11, v170, v175
	s_delay_alu instid0(VALU_DEP_1) | instskip(SKIP_1) | instid1(VALU_DEP_1)
	v_fmac_f32_e32 v11, v171, v174
	s_wait_dscnt 0x7
	v_dual_add_f32 v9, v9, v11 :: v_dual_mul_f32 v11, v176, v181
	s_delay_alu instid0(VALU_DEP_1) | instskip(NEXT) | instid1(VALU_DEP_1)
	v_fmac_f32_e32 v11, v177, v180
	v_add_f32_e32 v9, v9, v11
	v_mul_f32_e32 v11, v178, v183
	s_delay_alu instid0(VALU_DEP_1) | instskip(SKIP_1) | instid1(VALU_DEP_1)
	v_fmac_f32_e32 v11, v179, v182
	s_wait_dscnt 0x6
	v_dual_add_f32 v9, v9, v11 :: v_dual_mul_f32 v11, v184, v189
	s_delay_alu instid0(VALU_DEP_1) | instskip(NEXT) | instid1(VALU_DEP_1)
	v_fmac_f32_e32 v11, v185, v188
	;; [unrolled: 8-line block ×8, first 2 shown]
	v_add_f32_e32 v9, v9, v11
	v_mul_f32_e32 v11, v234, v239
	s_delay_alu instid0(VALU_DEP_1) | instskip(NEXT) | instid1(VALU_DEP_1)
	v_fmac_f32_e32 v11, v235, v238
	v_dual_add_f32 v9, v9, v11 :: v_dual_mul_f32 v11, v240, v245
	s_delay_alu instid0(VALU_DEP_1) | instskip(NEXT) | instid1(VALU_DEP_1)
	v_fmac_f32_e32 v11, v241, v244
	v_add_f32_e32 v9, v9, v11
	v_mul_f32_e32 v11, v242, v247
	s_delay_alu instid0(VALU_DEP_1) | instskip(SKIP_1) | instid1(VALU_DEP_1)
	v_fmac_f32_e32 v11, v243, v246
	s_set_vgpr_msb 64                       ;  msbs: dst=1 src0=0 src1=0 src2=0
	v_add_f32_e32 v17 /*v273*/, v9, v11
	s_set_vgpr_msb 0                        ;  msbs: dst=0 src0=0 src1=0 src2=0
	v_dual_mul_f32 v9, v129, v133 :: v_dual_mul_f32 v11, v131, v135
	s_delay_alu instid0(VALU_DEP_1) | instskip(NEXT) | instid1(VALU_DEP_1)
	v_dual_fma_f32 v9, v128, v132, -v9 :: v_dual_fma_f32 v11, v130, v134, -v11
	v_add_f32_e32 v9, 0, v9
	s_delay_alu instid0(VALU_DEP_1) | instskip(SKIP_1) | instid1(VALU_DEP_1)
	v_add_f32_e32 v9, v9, v11
	v_mul_f32_e32 v11, v137, v141
	v_fma_f32 v11, v136, v140, -v11
	s_delay_alu instid0(VALU_DEP_1) | instskip(SKIP_1) | instid1(VALU_DEP_1)
	v_add_f32_e32 v9, v9, v11
	v_mul_f32_e32 v11, v139, v143
	v_fma_f32 v11, v138, v142, -v11
	ds_load_2addr_b64 v[128:131], v5 offset0:119 offset1:120
	ds_load_2addr_b64 v[132:135], v5 offset0:121 offset1:122
	;; [unrolled: 1-line block ×4, first 2 shown]
	v_add_f32_e32 v9, v9, v11
	v_mul_f32_e32 v11, v145, v149
	s_delay_alu instid0(VALU_DEP_1) | instskip(NEXT) | instid1(VALU_DEP_1)
	v_fma_f32 v11, v144, v148, -v11
	v_add_f32_e32 v9, v9, v11
	v_mul_f32_e32 v11, v147, v151
	s_delay_alu instid0(VALU_DEP_1)
	v_fma_f32 v11, v146, v150, -v11
	s_wait_loadcnt_dscnt 0x303
	s_set_vgpr_msb 4                        ;  msbs: dst=0 src0=0 src1=1 src2=0
	v_pk_mul_f32 v[146:147], v[128:129], v[0:1] /*v[256:257]*/ op_sel:[1,1] op_sel_hi:[0,1]
	s_set_vgpr_msb 0                        ;  msbs: dst=0 src0=0 src1=0 src2=0
	v_add_f32_e32 v9, v9, v11
	v_mul_f32_e32 v11, v153, v157
	s_set_vgpr_msb 4                        ;  msbs: dst=0 src0=0 src1=1 src2=0
	v_pk_fma_f32 v[148:149], v[128:129], v[0:1] /*v[256:257]*/, v[146:147] neg_lo:[0,0,1] neg_hi:[0,0,1]
	v_pk_fma_f32 v[128:129], v[128:129], v[0:1] /*v[256:257]*/, v[146:147] op_sel_hi:[1,0,1]
	s_set_vgpr_msb 1                        ;  msbs: dst=0 src0=1 src1=0 src2=0
	v_mov_b32_e32 v146, v3 /*v259*/
	s_set_vgpr_msb 0                        ;  msbs: dst=0 src0=0 src1=0 src2=0
	s_delay_alu instid0(VALU_DEP_2) | instskip(NEXT) | instid1(VALU_DEP_1)
	v_dual_fma_f32 v11, v152, v156, -v11 :: v_dual_mov_b32 v149, v129
	v_add_f32_e32 v9, v9, v11
	v_mul_f32_e32 v11, v155, v159
	s_delay_alu instid0(VALU_DEP_1) | instskip(NEXT) | instid1(VALU_DEP_1)
	v_fma_f32 v11, v154, v158, -v11
	v_add_f32_e32 v9, v9, v11
	v_mul_f32_e32 v11, v161, v165
	s_delay_alu instid0(VALU_DEP_1) | instskip(NEXT) | instid1(VALU_DEP_1)
	v_fma_f32 v11, v160, v164, -v11
	;; [unrolled: 4-line block ×22, first 2 shown]
	v_add_f32_e32 v9, v9, v11
	v_mul_f32_e32 v11, v243, v247
	s_delay_alu instid0(VALU_DEP_1) | instskip(SKIP_1) | instid1(VALU_DEP_1)
	v_fma_f32 v11, v242, v246, -v11
	s_set_vgpr_msb 64                       ;  msbs: dst=1 src0=0 src1=0 src2=0
	v_dual_fmac_f32 v21 /*v277*/, v251, v254 :: v_dual_add_f32 v16 /*v272*/, v9, v11
	s_set_vgpr_msb 0                        ;  msbs: dst=0 src0=0 src1=0 src2=0
	v_mul_f32_e32 v9, v249, v253
	s_set_vgpr_msb 64                       ;  msbs: dst=1 src0=0 src1=0 src2=0
	s_delay_alu instid0(VALU_DEP_1) | instskip(SKIP_3) | instid1(VALU_DEP_1)
	v_fma_f32 v18 /*v274*/, v248, v252, -v9
	s_set_vgpr_msb 0                        ;  msbs: dst=0 src0=0 src1=0 src2=0
	v_mul_f32_e32 v9, v251, v255
	s_set_vgpr_msb 64                       ;  msbs: dst=1 src0=0 src1=0 src2=0
	v_fma_f32 v20 /*v276*/, v250, v254, -v9
	s_set_vgpr_msb 5                        ;  msbs: dst=0 src0=1 src1=1 src2=0
	v_pk_add_f32 v[144:145], v[16:17] /*v[272:273]*/, v[18:19] /*v[274:275]*/
	s_set_vgpr_msb 4                        ;  msbs: dst=0 src0=0 src1=1 src2=0
	s_delay_alu instid0(VALU_DEP_1) | instskip(SKIP_1) | instid1(VALU_DEP_1)
	v_pk_add_f32 v[144:145], v[144:145], v[20:21] /*v[276:277]*/
	s_set_vgpr_msb 0                        ;  msbs: dst=0 src0=0 src1=0 src2=0
	v_pk_add_f32 v[128:129], v[144:145], v[148:149]
	v_dual_mov_b32 v144, v131 :: v_dual_mov_b32 v145, v130
	s_delay_alu instid0(VALU_DEP_1) | instskip(SKIP_1) | instid1(VALU_DEP_1)
	v_pk_mul_f32 v[144:145], v[144:145], v[146:147] op_sel_hi:[1,0]
	s_set_vgpr_msb 4                        ;  msbs: dst=0 src0=0 src1=1 src2=0
	v_pk_fma_f32 v[146:147], v[130:131], v[2:3] /*v[258:259]*/, v[144:145] neg_lo:[0,0,1] neg_hi:[0,0,1]
	v_pk_fma_f32 v[130:131], v[130:131], v[2:3] /*v[258:259]*/, v[144:145] op_sel_hi:[1,0,1]
	s_delay_alu instid0(VALU_DEP_1) | instskip(SKIP_3) | instid1(VALU_DEP_2)
	v_mov_b32_e32 v147, v131
	s_wait_loadcnt_dscnt 0x202
	v_pk_mul_f32 v[130:131], v[132:133], v[4:5] /*v[260:261]*/ op_sel:[1,1] op_sel_hi:[0,1]
	s_set_vgpr_msb 0                        ;  msbs: dst=0 src0=0 src1=0 src2=0
	v_pk_add_f32 v[128:129], v[128:129], v[146:147]
	s_set_vgpr_msb 4                        ;  msbs: dst=0 src0=0 src1=1 src2=0
	s_delay_alu instid0(VALU_DEP_2)
	v_pk_fma_f32 v[144:145], v[132:133], v[4:5] /*v[260:261]*/, v[130:131] neg_lo:[0,0,1] neg_hi:[0,0,1]
	v_pk_fma_f32 v[130:131], v[132:133], v[4:5] /*v[260:261]*/, v[130:131] op_sel_hi:[1,0,1]
	v_mov_b32_e32 v130, v135
	s_set_vgpr_msb 1                        ;  msbs: dst=0 src0=1 src1=0 src2=0
	v_mov_b32_e32 v132, v7 /*v263*/
	s_set_vgpr_msb 0                        ;  msbs: dst=0 src0=0 src1=0 src2=0
	v_dual_mov_b32 v145, v131 :: v_dual_mov_b32 v131, v134
	s_delay_alu instid0(VALU_DEP_1) | instskip(NEXT) | instid1(VALU_DEP_2)
	v_pk_add_f32 v[128:129], v[128:129], v[144:145]
	v_pk_mul_f32 v[130:131], v[130:131], v[132:133] op_sel_hi:[1,0]
	s_set_vgpr_msb 4                        ;  msbs: dst=0 src0=0 src1=1 src2=0
	s_delay_alu instid0(VALU_DEP_1) | instskip(SKIP_1) | instid1(VALU_DEP_1)
	v_pk_fma_f32 v[132:133], v[134:135], v[6:7] /*v[262:263]*/, v[130:131] neg_lo:[0,0,1] neg_hi:[0,0,1]
	v_pk_fma_f32 v[130:131], v[134:135], v[6:7] /*v[262:263]*/, v[130:131] op_sel_hi:[1,0,1]
	v_mov_b32_e32 v133, v131
	s_wait_loadcnt_dscnt 0x101
	v_pk_mul_f32 v[130:131], v[136:137], v[8:9] /*v[264:265]*/ op_sel:[1,1] op_sel_hi:[0,1]
	s_set_vgpr_msb 0                        ;  msbs: dst=0 src0=0 src1=0 src2=0
	s_delay_alu instid0(VALU_DEP_2) | instskip(SKIP_1) | instid1(VALU_DEP_2)
	v_pk_add_f32 v[128:129], v[128:129], v[132:133]
	s_set_vgpr_msb 4                        ;  msbs: dst=0 src0=0 src1=1 src2=0
	v_pk_fma_f32 v[132:133], v[136:137], v[8:9] /*v[264:265]*/, v[130:131] neg_lo:[0,0,1] neg_hi:[0,0,1]
	v_pk_fma_f32 v[130:131], v[136:137], v[8:9] /*v[264:265]*/, v[130:131] op_sel_hi:[1,0,1]
	s_delay_alu instid0(VALU_DEP_1) | instskip(SKIP_2) | instid1(VALU_DEP_2)
	v_dual_mov_b32 v130, v139 :: v_dual_mov_b32 v133, v131
	v_mov_b32_e32 v131, v138
	s_set_vgpr_msb 0                        ;  msbs: dst=0 src0=0 src1=0 src2=0
	v_pk_add_f32 v[128:129], v[128:129], v[132:133]
	s_set_vgpr_msb 1                        ;  msbs: dst=0 src0=1 src1=0 src2=0
	v_mov_b32_e32 v132, v11 /*v267*/
	s_set_vgpr_msb 0                        ;  msbs: dst=0 src0=0 src1=0 src2=0
	s_delay_alu instid0(VALU_DEP_1) | instskip(SKIP_1) | instid1(VALU_DEP_1)
	v_pk_mul_f32 v[130:131], v[130:131], v[132:133] op_sel_hi:[1,0]
	s_set_vgpr_msb 4                        ;  msbs: dst=0 src0=0 src1=1 src2=0
	v_pk_fma_f32 v[132:133], v[138:139], v[10:11] /*v[266:267]*/, v[130:131] neg_lo:[0,0,1] neg_hi:[0,0,1]
	v_pk_fma_f32 v[130:131], v[138:139], v[10:11] /*v[266:267]*/, v[130:131] op_sel_hi:[1,0,1]
	s_delay_alu instid0(VALU_DEP_1) | instskip(SKIP_3) | instid1(VALU_DEP_2)
	v_mov_b32_e32 v133, v131
	s_wait_loadcnt_dscnt 0x0
	v_pk_mul_f32 v[130:131], v[140:141], v[12:13] /*v[268:269]*/ op_sel:[1,1] op_sel_hi:[0,1]
	s_set_vgpr_msb 0                        ;  msbs: dst=0 src0=0 src1=0 src2=0
	v_pk_add_f32 v[128:129], v[128:129], v[132:133]
	s_set_vgpr_msb 4                        ;  msbs: dst=0 src0=0 src1=1 src2=0
	s_delay_alu instid0(VALU_DEP_2) | instskip(SKIP_1) | instid1(VALU_DEP_1)
	v_pk_fma_f32 v[132:133], v[140:141], v[12:13] /*v[268:269]*/, v[130:131] neg_lo:[0,0,1] neg_hi:[0,0,1]
	v_pk_fma_f32 v[130:131], v[140:141], v[12:13] /*v[268:269]*/, v[130:131] op_sel_hi:[1,0,1]
	v_dual_mov_b32 v130, v143 :: v_dual_mov_b32 v133, v131
	v_mov_b32_e32 v131, v142
	s_set_vgpr_msb 0                        ;  msbs: dst=0 src0=0 src1=0 src2=0
	s_delay_alu instid0(VALU_DEP_2) | instskip(SKIP_3) | instid1(VALU_DEP_1)
	v_pk_add_f32 v[128:129], v[128:129], v[132:133]
	s_set_vgpr_msb 1                        ;  msbs: dst=0 src0=1 src1=0 src2=0
	v_mov_b32_e32 v132, v15 /*v271*/
	s_set_vgpr_msb 0                        ;  msbs: dst=0 src0=0 src1=0 src2=0
	v_pk_mul_f32 v[130:131], v[130:131], v[132:133] op_sel_hi:[1,0]
	s_set_vgpr_msb 4                        ;  msbs: dst=0 src0=0 src1=1 src2=0
	s_delay_alu instid0(VALU_DEP_1) | instskip(SKIP_1) | instid1(VALU_DEP_1)
	v_pk_fma_f32 v[132:133], v[142:143], v[14:15] /*v[270:271]*/, v[130:131] neg_lo:[0,0,1] neg_hi:[0,0,1]
	v_pk_fma_f32 v[130:131], v[142:143], v[14:15] /*v[270:271]*/, v[130:131] op_sel_hi:[1,0,1]
	v_mov_b32_e32 v133, v131
	scratch_load_b64 v[130:131], off, off offset:176
	s_set_vgpr_msb 0                        ;  msbs: dst=0 src0=0 src1=0 src2=0
	v_pk_add_f32 v[128:129], v[128:129], v[132:133]
	s_wait_loadcnt 0x0
	s_delay_alu instid0(VALU_DEP_1)
	v_pk_add_f32 v[128:129], v[130:131], v[128:129] neg_lo:[0,1] neg_hi:[0,1]
	scratch_store_b64 off, v[128:129], off offset:176
	s_wait_xcnt 0x0
	v_cmpx_lt_u32_e32 21, v0
	s_cbranch_execz .LBB62_349
; %bb.348:
	scratch_load_b64 v[128:129], off, off offset:168
	v_mov_b64_e32 v[130:131], 0
	scratch_store_b64 off, v[130:131], off offset:168
	s_wait_loadcnt 0x0
	ds_store_b64 v1, v[128:129]
.LBB62_349:
	s_wait_xcnt 0x0
	s_or_b32 exec_lo, exec_lo, s0
	v_mov_b32_e32 v5, 0
	s_wait_storecnt_dscnt 0x0
	s_barrier_signal -1
	s_barrier_wait -1
	ds_load_b128 v[128:131], v5 offset:688
	ds_load_b128 v[132:135], v5 offset:704
	;; [unrolled: 1-line block ×4, first 2 shown]
	s_clause 0x11
	scratch_load_b128 v[144:147], off, off offset:176
	scratch_load_b128 v[148:151], off, off offset:192
	;; [unrolled: 1-line block ×16, first 2 shown]
	s_set_vgpr_msb 64                       ;  msbs: dst=1 src0=0 src1=0 src2=0
	scratch_load_b128 v[4:7] /*v[260:263]*/, off, off offset:432
	s_mov_b32 s0, exec_lo
	s_wait_loadcnt_dscnt 0x1003
	s_set_vgpr_msb 0                        ;  msbs: dst=0 src0=0 src1=0 src2=0
	v_mul_f32_e32 v9, v128, v145
	ds_load_b128 v[240:243], v5 offset:912
	ds_load_b128 v[248:251], v5 offset:928
	ds_load_b128 v[160:163], v5 offset:752
	ds_load_b128 v[168:171], v5 offset:768
	v_dual_fmac_f32 v9, v129, v144 :: v_dual_mul_f32 v11, v130, v147
	ds_load_b128 v[176:179], v5 offset:784
	ds_load_b128 v[184:187], v5 offset:800
	;; [unrolled: 1-line block ×4, first 2 shown]
	v_dual_add_f32 v9, 0, v9 :: v_dual_fmac_f32 v11, v131, v146
	ds_load_b128 v[208:211], v5 offset:848
	ds_load_b128 v[216:219], v5 offset:864
	;; [unrolled: 1-line block ×4, first 2 shown]
	s_wait_loadcnt_dscnt 0xf0e
	v_dual_add_f32 v9, v9, v11 :: v_dual_mul_f32 v11, v132, v149
	s_set_vgpr_msb 64                       ;  msbs: dst=1 src0=0 src1=0 src2=0
	ds_load_b128 v[0:3] /*v[256:259]*/, v5 offset:944
	s_clause 0x3
	scratch_load_b128 v[8:11] /*v[264:267]*/, off, off offset:448
	scratch_load_b128 v[12:15] /*v[268:271]*/, off, off offset:464
	;; [unrolled: 1-line block ×3, first 2 shown]
	scratch_load_b64 v[26:27] /*v[282:283]*/, off, off offset:496
	s_wait_loadcnt_dscnt 0x50b
	v_mul_f32_e32 v23 /*v279*/, v250, v255
	s_set_vgpr_msb 0                        ;  msbs: dst=0 src0=0 src1=0 src2=0
	v_fmac_f32_e32 v11, v133, v148
	s_delay_alu instid0(VALU_DEP_1) | instskip(SKIP_1) | instid1(VALU_DEP_1)
	v_add_f32_e32 v9, v9, v11
	v_mul_f32_e32 v11, v134, v151
	v_fmac_f32_e32 v11, v135, v150
	s_delay_alu instid0(VALU_DEP_1) | instskip(NEXT) | instid1(VALU_DEP_1)
	v_dual_add_f32 v9, v9, v11 :: v_dual_mul_f32 v11, v136, v153
	v_fmac_f32_e32 v11, v137, v152
	s_delay_alu instid0(VALU_DEP_1) | instskip(SKIP_1) | instid1(VALU_DEP_1)
	v_add_f32_e32 v9, v9, v11
	v_mul_f32_e32 v11, v138, v155
	v_fmac_f32_e32 v11, v139, v154
	s_delay_alu instid0(VALU_DEP_1) | instskip(NEXT) | instid1(VALU_DEP_1)
	v_dual_add_f32 v9, v9, v11 :: v_dual_mul_f32 v11, v140, v157
	v_fmac_f32_e32 v11, v141, v156
	s_delay_alu instid0(VALU_DEP_1) | instskip(SKIP_1) | instid1(VALU_DEP_1)
	v_add_f32_e32 v9, v9, v11
	v_mul_f32_e32 v11, v142, v159
	v_fmac_f32_e32 v11, v143, v158
	s_wait_dscnt 0xa
	s_delay_alu instid0(VALU_DEP_1) | instskip(NEXT) | instid1(VALU_DEP_1)
	v_dual_add_f32 v9, v9, v11 :: v_dual_mul_f32 v11, v160, v165
	v_fmac_f32_e32 v11, v161, v164
	s_delay_alu instid0(VALU_DEP_1) | instskip(SKIP_1) | instid1(VALU_DEP_1)
	v_add_f32_e32 v9, v9, v11
	v_mul_f32_e32 v11, v162, v167
	v_fmac_f32_e32 v11, v163, v166
	s_wait_dscnt 0x9
	;; [unrolled: 8-line block ×10, first 2 shown]
	s_delay_alu instid0(VALU_DEP_1) | instskip(NEXT) | instid1(VALU_DEP_1)
	v_dual_add_f32 v9, v9, v11 :: v_dual_mul_f32 v11, v232, v237
	v_fmac_f32_e32 v11, v233, v236
	s_delay_alu instid0(VALU_DEP_1) | instskip(SKIP_1) | instid1(VALU_DEP_1)
	v_add_f32_e32 v9, v9, v11
	v_mul_f32_e32 v11, v234, v239
	v_fmac_f32_e32 v11, v235, v238
	s_delay_alu instid0(VALU_DEP_1) | instskip(NEXT) | instid1(VALU_DEP_1)
	v_dual_add_f32 v9, v9, v11 :: v_dual_mul_f32 v11, v240, v245
	v_fmac_f32_e32 v11, v241, v244
	s_delay_alu instid0(VALU_DEP_1) | instskip(SKIP_1) | instid1(VALU_DEP_1)
	v_add_f32_e32 v9, v9, v11
	v_mul_f32_e32 v11, v242, v247
	v_fmac_f32_e32 v11, v243, v246
	s_delay_alu instid0(VALU_DEP_1) | instskip(NEXT) | instid1(VALU_DEP_1)
	v_dual_add_f32 v9, v9, v11 :: v_dual_mul_f32 v11, v248, v253
	v_fmac_f32_e32 v11, v249, v252
	s_set_vgpr_msb 64                       ;  msbs: dst=1 src0=0 src1=0 src2=0
	s_delay_alu instid0(VALU_DEP_1)
	v_add_f32_e32 v21 /*v277*/, v9, v11
	s_set_vgpr_msb 0                        ;  msbs: dst=0 src0=0 src1=0 src2=0
	v_dual_mul_f32 v9, v129, v145 :: v_dual_mul_f32 v11, v131, v147
	s_wait_dscnt 0x0
	s_set_vgpr_msb 1                        ;  msbs: dst=0 src0=1 src1=0 src2=0
	v_mov_b32_e32 v145, v2 /*v258*/
	s_set_vgpr_msb 0                        ;  msbs: dst=0 src0=0 src1=0 src2=0
	v_dual_fma_f32 v9, v128, v144, -v9 :: v_dual_fma_f32 v11, v130, v146, -v11
	s_wait_loadcnt 0x4
	s_set_vgpr_msb 1                        ;  msbs: dst=0 src0=1 src1=0 src2=0
	v_dual_mov_b32 v146, v7 /*v263*/ :: v_dual_mov_b32 v144, v3 /*v259*/
	s_delay_alu instid0(VALU_DEP_2) | instskip(SKIP_1) | instid1(VALU_DEP_2)
	v_add_f32_e32 v9, 0, v9
	s_set_vgpr_msb 0                        ;  msbs: dst=0 src0=0 src1=0 src2=0
	v_pk_mul_f32 v[144:145], v[144:145], v[146:147] op_sel_hi:[1,0]
	s_delay_alu instid0(VALU_DEP_2) | instskip(SKIP_2) | instid1(VALU_DEP_3)
	v_add_f32_e32 v9, v9, v11
	v_mul_f32_e32 v11, v133, v149
	s_set_vgpr_msb 5                        ;  msbs: dst=0 src0=1 src1=1 src2=0
	v_pk_fma_f32 v[146:147], v[2:3] /*v[258:259]*/, v[6:7] /*v[262:263]*/, v[144:145] neg_lo:[0,0,1] neg_hi:[0,0,1]
	v_pk_fma_f32 v[144:145], v[2:3] /*v[258:259]*/, v[6:7] /*v[262:263]*/, v[144:145] op_sel_hi:[1,0,1]
	s_set_vgpr_msb 0                        ;  msbs: dst=0 src0=0 src1=0 src2=0
	s_delay_alu instid0(VALU_DEP_1) | instskip(NEXT) | instid1(VALU_DEP_1)
	v_dual_fma_f32 v11, v132, v148, -v11 :: v_dual_mov_b32 v147, v145
	v_add_f32_e32 v9, v9, v11
	v_mul_f32_e32 v11, v135, v151
	s_delay_alu instid0(VALU_DEP_1) | instskip(NEXT) | instid1(VALU_DEP_1)
	v_fma_f32 v11, v134, v150, -v11
	v_add_f32_e32 v9, v9, v11
	v_mul_f32_e32 v11, v137, v153
	s_delay_alu instid0(VALU_DEP_1) | instskip(NEXT) | instid1(VALU_DEP_1)
	v_fma_f32 v11, v136, v152, -v11
	;; [unrolled: 4-line block ×3, first 2 shown]
	v_add_f32_e32 v9, v9, v11
	v_mul_f32_e32 v11, v141, v157
	s_delay_alu instid0(VALU_DEP_1)
	v_fma_f32 v11, v140, v156, -v11
	ds_load_b128 v[128:131], v5 offset:960
	ds_load_b128 v[132:135], v5 offset:976
	;; [unrolled: 1-line block ×3, first 2 shown]
	ds_load_b64 v[140:141], v5 offset:1008
	v_add_f32_e32 v9, v9, v11
	v_mul_f32_e32 v11, v143, v159
	s_delay_alu instid0(VALU_DEP_1) | instskip(NEXT) | instid1(VALU_DEP_1)
	v_fma_f32 v11, v142, v158, -v11
	v_add_f32_e32 v9, v9, v11
	v_mul_f32_e32 v11, v161, v165
	s_wait_loadcnt_dscnt 0x303
	s_set_vgpr_msb 4                        ;  msbs: dst=0 src0=0 src1=1 src2=0
	v_pk_mul_f32 v[144:145], v[128:129], v[8:9] /*v[264:265]*/ op_sel:[1,1] op_sel_hi:[0,1]
	s_set_vgpr_msb 0                        ;  msbs: dst=0 src0=0 src1=0 src2=0
	v_fma_f32 v11, v160, v164, -v11
	s_delay_alu instid0(VALU_DEP_1) | instskip(SKIP_1) | instid1(VALU_DEP_1)
	v_add_f32_e32 v9, v9, v11
	v_mul_f32_e32 v11, v163, v167
	v_fma_f32 v11, v162, v166, -v11
	s_delay_alu instid0(VALU_DEP_1) | instskip(SKIP_1) | instid1(VALU_DEP_1)
	v_add_f32_e32 v9, v9, v11
	v_mul_f32_e32 v11, v169, v173
	;; [unrolled: 4-line block ×22, first 2 shown]
	v_fma_f32 v11, v248, v252, -v11
	s_set_vgpr_msb 64                       ;  msbs: dst=1 src0=0 src1=0 src2=0
	s_delay_alu instid0(VALU_DEP_1) | instskip(SKIP_3) | instid1(VALU_DEP_1)
	v_add_f32_e32 v20 /*v276*/, v9, v11
	s_set_vgpr_msb 0                        ;  msbs: dst=0 src0=0 src1=0 src2=0
	v_mul_f32_e32 v9, v251, v255
	s_set_vgpr_msb 64                       ;  msbs: dst=1 src0=0 src1=0 src2=0
	v_fma_f32 v22 /*v278*/, v250, v254, -v9
	s_set_vgpr_msb 5                        ;  msbs: dst=0 src0=1 src1=1 src2=0
	v_mul_f32_e32 v9, v1 /*v257*/, v5 /*v261*/
	s_set_vgpr_msb 64                       ;  msbs: dst=1 src0=0 src1=0 src2=0
	v_fmac_f32_e32 v23 /*v279*/, v251, v254
	s_set_vgpr_msb 0x45                     ;  msbs: dst=1 src0=1 src1=1 src2=0
	s_delay_alu instid0(VALU_DEP_2) | instskip(SKIP_1) | instid1(VALU_DEP_2)
	v_dual_mul_f32 v25 /*v281*/, v0 /*v256*/, v5 /*v261*/ :: v_dual_fma_f32 v24 /*v280*/, v0 /*v256*/, v4 /*v260*/, -v9
	s_set_vgpr_msb 5                        ;  msbs: dst=0 src0=1 src1=1 src2=0
	v_pk_add_f32 v[142:143], v[20:21] /*v[276:277]*/, v[22:23] /*v[278:279]*/
	s_set_vgpr_msb 0x45                     ;  msbs: dst=1 src0=1 src1=1 src2=0
	s_delay_alu instid0(VALU_DEP_2) | instskip(SKIP_1) | instid1(VALU_DEP_1)
	v_fmac_f32_e32 v25 /*v281*/, v1 /*v257*/, v4 /*v260*/
	s_set_vgpr_msb 4                        ;  msbs: dst=0 src0=0 src1=1 src2=0
	v_pk_add_f32 v[142:143], v[142:143], v[24:25] /*v[280:281]*/
	s_set_vgpr_msb 0                        ;  msbs: dst=0 src0=0 src1=0 src2=0
	s_delay_alu instid0(VALU_DEP_1)
	v_pk_add_f32 v[142:143], v[142:143], v[146:147]
	s_set_vgpr_msb 4                        ;  msbs: dst=0 src0=0 src1=1 src2=0
	v_pk_fma_f32 v[146:147], v[128:129], v[8:9] /*v[264:265]*/, v[144:145] neg_lo:[0,0,1] neg_hi:[0,0,1]
	v_pk_fma_f32 v[128:129], v[128:129], v[8:9] /*v[264:265]*/, v[144:145] op_sel_hi:[1,0,1]
	s_set_vgpr_msb 1                        ;  msbs: dst=0 src0=1 src1=0 src2=0
	v_mov_b32_e32 v144, v11 /*v267*/
	s_set_vgpr_msb 0                        ;  msbs: dst=0 src0=0 src1=0 src2=0
	s_delay_alu instid0(VALU_DEP_2) | instskip(NEXT) | instid1(VALU_DEP_1)
	v_mov_b32_e32 v147, v129
	v_pk_add_f32 v[128:129], v[142:143], v[146:147]
	v_dual_mov_b32 v142, v131 :: v_dual_mov_b32 v143, v130
	s_delay_alu instid0(VALU_DEP_1) | instskip(SKIP_1) | instid1(VALU_DEP_1)
	v_pk_mul_f32 v[142:143], v[142:143], v[144:145] op_sel_hi:[1,0]
	s_set_vgpr_msb 4                        ;  msbs: dst=0 src0=0 src1=1 src2=0
	v_pk_fma_f32 v[144:145], v[130:131], v[10:11] /*v[266:267]*/, v[142:143] neg_lo:[0,0,1] neg_hi:[0,0,1]
	v_pk_fma_f32 v[130:131], v[130:131], v[10:11] /*v[266:267]*/, v[142:143] op_sel_hi:[1,0,1]
	s_delay_alu instid0(VALU_DEP_1) | instskip(SKIP_3) | instid1(VALU_DEP_2)
	v_mov_b32_e32 v145, v131
	s_wait_loadcnt_dscnt 0x202
	v_pk_mul_f32 v[130:131], v[132:133], v[12:13] /*v[268:269]*/ op_sel:[1,1] op_sel_hi:[0,1]
	s_set_vgpr_msb 0                        ;  msbs: dst=0 src0=0 src1=0 src2=0
	v_pk_add_f32 v[128:129], v[128:129], v[144:145]
	s_set_vgpr_msb 4                        ;  msbs: dst=0 src0=0 src1=1 src2=0
	s_delay_alu instid0(VALU_DEP_2)
	v_pk_fma_f32 v[142:143], v[132:133], v[12:13] /*v[268:269]*/, v[130:131] neg_lo:[0,0,1] neg_hi:[0,0,1]
	v_pk_fma_f32 v[130:131], v[132:133], v[12:13] /*v[268:269]*/, v[130:131] op_sel_hi:[1,0,1]
	v_mov_b32_e32 v130, v135
	s_set_vgpr_msb 1                        ;  msbs: dst=0 src0=1 src1=0 src2=0
	v_mov_b32_e32 v132, v15 /*v271*/
	s_set_vgpr_msb 0                        ;  msbs: dst=0 src0=0 src1=0 src2=0
	v_dual_mov_b32 v143, v131 :: v_dual_mov_b32 v131, v134
	s_delay_alu instid0(VALU_DEP_1) | instskip(NEXT) | instid1(VALU_DEP_2)
	v_pk_add_f32 v[128:129], v[128:129], v[142:143]
	v_pk_mul_f32 v[130:131], v[130:131], v[132:133] op_sel_hi:[1,0]
	s_set_vgpr_msb 4                        ;  msbs: dst=0 src0=0 src1=1 src2=0
	s_delay_alu instid0(VALU_DEP_1) | instskip(SKIP_1) | instid1(VALU_DEP_1)
	v_pk_fma_f32 v[132:133], v[134:135], v[14:15] /*v[270:271]*/, v[130:131] neg_lo:[0,0,1] neg_hi:[0,0,1]
	v_pk_fma_f32 v[130:131], v[134:135], v[14:15] /*v[270:271]*/, v[130:131] op_sel_hi:[1,0,1]
	v_mov_b32_e32 v133, v131
	s_wait_loadcnt_dscnt 0x101
	v_pk_mul_f32 v[130:131], v[136:137], v[16:17] /*v[272:273]*/ op_sel:[1,1] op_sel_hi:[0,1]
	s_set_vgpr_msb 0                        ;  msbs: dst=0 src0=0 src1=0 src2=0
	s_delay_alu instid0(VALU_DEP_2) | instskip(SKIP_1) | instid1(VALU_DEP_2)
	v_pk_add_f32 v[128:129], v[128:129], v[132:133]
	s_set_vgpr_msb 4                        ;  msbs: dst=0 src0=0 src1=1 src2=0
	v_pk_fma_f32 v[132:133], v[136:137], v[16:17] /*v[272:273]*/, v[130:131] neg_lo:[0,0,1] neg_hi:[0,0,1]
	v_pk_fma_f32 v[130:131], v[136:137], v[16:17] /*v[272:273]*/, v[130:131] op_sel_hi:[1,0,1]
	s_delay_alu instid0(VALU_DEP_1) | instskip(SKIP_2) | instid1(VALU_DEP_2)
	v_dual_mov_b32 v130, v139 :: v_dual_mov_b32 v133, v131
	v_mov_b32_e32 v131, v138
	s_set_vgpr_msb 0                        ;  msbs: dst=0 src0=0 src1=0 src2=0
	v_pk_add_f32 v[128:129], v[128:129], v[132:133]
	s_set_vgpr_msb 1                        ;  msbs: dst=0 src0=1 src1=0 src2=0
	v_mov_b32_e32 v132, v19 /*v275*/
	s_set_vgpr_msb 0                        ;  msbs: dst=0 src0=0 src1=0 src2=0
	s_delay_alu instid0(VALU_DEP_1) | instskip(SKIP_1) | instid1(VALU_DEP_1)
	v_pk_mul_f32 v[130:131], v[130:131], v[132:133] op_sel_hi:[1,0]
	s_set_vgpr_msb 4                        ;  msbs: dst=0 src0=0 src1=1 src2=0
	v_pk_fma_f32 v[132:133], v[138:139], v[18:19] /*v[274:275]*/, v[130:131] neg_lo:[0,0,1] neg_hi:[0,0,1]
	v_pk_fma_f32 v[130:131], v[138:139], v[18:19] /*v[274:275]*/, v[130:131] op_sel_hi:[1,0,1]
	s_delay_alu instid0(VALU_DEP_1) | instskip(SKIP_3) | instid1(VALU_DEP_2)
	v_mov_b32_e32 v133, v131
	s_wait_loadcnt_dscnt 0x0
	v_pk_mul_f32 v[130:131], v[140:141], v[26:27] /*v[282:283]*/ op_sel:[1,1] op_sel_hi:[0,1]
	s_set_vgpr_msb 0                        ;  msbs: dst=0 src0=0 src1=0 src2=0
	v_pk_add_f32 v[128:129], v[128:129], v[132:133]
	s_set_vgpr_msb 4                        ;  msbs: dst=0 src0=0 src1=1 src2=0
	s_delay_alu instid0(VALU_DEP_2) | instskip(SKIP_1) | instid1(VALU_DEP_1)
	v_pk_fma_f32 v[132:133], v[140:141], v[26:27] /*v[282:283]*/, v[130:131] neg_lo:[0,0,1] neg_hi:[0,0,1]
	v_pk_fma_f32 v[130:131], v[140:141], v[26:27] /*v[282:283]*/, v[130:131] op_sel_hi:[1,0,1]
	v_mov_b32_e32 v133, v131
	scratch_load_b64 v[130:131], off, off offset:168
	s_set_vgpr_msb 0                        ;  msbs: dst=0 src0=0 src1=0 src2=0
	v_pk_add_f32 v[128:129], v[128:129], v[132:133]
	s_wait_loadcnt 0x0
	s_delay_alu instid0(VALU_DEP_1)
	v_pk_add_f32 v[128:129], v[130:131], v[128:129] neg_lo:[0,1] neg_hi:[0,1]
	scratch_store_b64 off, v[128:129], off offset:168
	s_wait_xcnt 0x0
	v_cmpx_lt_u32_e32 20, v0
	s_cbranch_execz .LBB62_351
; %bb.350:
	scratch_load_b64 v[128:129], off, off offset:160
	v_mov_b64_e32 v[130:131], 0
	scratch_store_b64 off, v[130:131], off offset:160
	s_wait_loadcnt 0x0
	ds_store_b64 v1, v[128:129]
.LBB62_351:
	s_wait_xcnt 0x0
	s_or_b32 exec_lo, exec_lo, s0
	s_wait_storecnt_dscnt 0x0
	s_barrier_signal -1
	s_barrier_wait -1
	s_clause 0xf
	scratch_load_b128 v[132:135], off, off offset:168
	scratch_load_b128 v[140:143], off, off offset:184
	;; [unrolled: 1-line block ×16, first 2 shown]
	ds_load_2addr_b64 v[128:131], v5 offset0:85 offset1:86
	ds_load_2addr_b64 v[136:139], v5 offset0:87 offset1:88
	;; [unrolled: 1-line block ×16, first 2 shown]
	s_set_vgpr_msb 64                       ;  msbs: dst=1 src0=0 src1=0 src2=0
	scratch_load_b128 v[4:7] /*v[260:263]*/, off, off offset:424
	ds_load_2addr_b64 v[0:3] /*v[256:259]*/, v5 offset0:117 offset1:118
	s_clause 0x3
	scratch_load_b128 v[8:11] /*v[264:267]*/, off, off offset:440
	scratch_load_b128 v[12:15] /*v[268:271]*/, off, off offset:456
	;; [unrolled: 1-line block ×4, first 2 shown]
	s_mov_b32 s0, exec_lo
	s_wait_loadcnt_dscnt 0x1410
	s_set_vgpr_msb 0                        ;  msbs: dst=0 src0=0 src1=0 src2=0
	v_dual_mul_f32 v9, v128, v133 :: v_dual_mul_f32 v11, v130, v135
	s_delay_alu instid0(VALU_DEP_1) | instskip(NEXT) | instid1(VALU_DEP_1)
	v_dual_fmac_f32 v9, v129, v132 :: v_dual_fmac_f32 v11, v131, v134
	v_add_f32_e32 v9, 0, v9
	s_wait_loadcnt_dscnt 0x130f
	s_delay_alu instid0(VALU_DEP_1) | instskip(NEXT) | instid1(VALU_DEP_1)
	v_dual_add_f32 v9, v9, v11 :: v_dual_mul_f32 v11, v136, v141
	v_fmac_f32_e32 v11, v137, v140
	s_delay_alu instid0(VALU_DEP_1) | instskip(SKIP_1) | instid1(VALU_DEP_1)
	v_add_f32_e32 v9, v9, v11
	v_mul_f32_e32 v11, v138, v143
	v_fmac_f32_e32 v11, v139, v142
	s_wait_loadcnt_dscnt 0x400
	s_set_vgpr_msb 0x45                     ;  msbs: dst=1 src0=1 src1=1 src2=0
	v_dual_mul_f32 v27 /*v283*/, v0 /*v256*/, v5 /*v261*/ :: v_dual_mul_f32 v29 /*v285*/, v2 /*v258*/, v7 /*v263*/
	s_set_vgpr_msb 0                        ;  msbs: dst=0 src0=0 src1=0 src2=0
	v_dual_add_f32 v9, v9, v11 :: v_dual_mul_f32 v11, v144, v149
	s_set_vgpr_msb 0x45                     ;  msbs: dst=1 src0=1 src1=1 src2=0
	s_delay_alu instid0(VALU_DEP_2) | instskip(SKIP_1) | instid1(VALU_DEP_2)
	v_dual_fmac_f32 v27 /*v283*/, v1 /*v257*/, v4 /*v260*/ :: v_dual_fmac_f32 v29 /*v285*/, v3 /*v259*/, v6 /*v262*/
	s_set_vgpr_msb 0                        ;  msbs: dst=0 src0=0 src1=0 src2=0
	v_fmac_f32_e32 v11, v145, v148
	s_delay_alu instid0(VALU_DEP_1) | instskip(SKIP_1) | instid1(VALU_DEP_1)
	v_add_f32_e32 v9, v9, v11
	v_mul_f32_e32 v11, v146, v151
	v_fmac_f32_e32 v11, v147, v150
	s_delay_alu instid0(VALU_DEP_1) | instskip(NEXT) | instid1(VALU_DEP_1)
	v_dual_add_f32 v9, v9, v11 :: v_dual_mul_f32 v11, v152, v157
	v_fmac_f32_e32 v11, v153, v156
	s_delay_alu instid0(VALU_DEP_1) | instskip(SKIP_1) | instid1(VALU_DEP_1)
	v_add_f32_e32 v9, v9, v11
	v_mul_f32_e32 v11, v154, v159
	v_fmac_f32_e32 v11, v155, v158
	s_delay_alu instid0(VALU_DEP_1) | instskip(NEXT) | instid1(VALU_DEP_1)
	v_dual_add_f32 v9, v9, v11 :: v_dual_mul_f32 v11, v160, v165
	;; [unrolled: 7-line block ×13, first 2 shown]
	v_fmac_f32_e32 v11, v249, v252
	s_delay_alu instid0(VALU_DEP_1) | instskip(SKIP_1) | instid1(VALU_DEP_1)
	v_add_f32_e32 v9, v9, v11
	v_mul_f32_e32 v11, v250, v255
	v_fmac_f32_e32 v11, v251, v254
	s_set_vgpr_msb 64                       ;  msbs: dst=1 src0=0 src1=0 src2=0
	s_delay_alu instid0(VALU_DEP_1) | instskip(SKIP_2) | instid1(VALU_DEP_1)
	v_add_f32_e32 v25 /*v281*/, v9, v11
	s_set_vgpr_msb 0                        ;  msbs: dst=0 src0=0 src1=0 src2=0
	v_dual_mul_f32 v9, v129, v133 :: v_dual_mul_f32 v11, v131, v135
	v_dual_fma_f32 v9, v128, v132, -v9 :: v_dual_fma_f32 v11, v130, v134, -v11
	s_delay_alu instid0(VALU_DEP_1) | instskip(NEXT) | instid1(VALU_DEP_1)
	v_add_f32_e32 v9, 0, v9
	v_add_f32_e32 v9, v9, v11
	v_mul_f32_e32 v11, v137, v141
	s_delay_alu instid0(VALU_DEP_1) | instskip(NEXT) | instid1(VALU_DEP_1)
	v_fma_f32 v11, v136, v140, -v11
	v_add_f32_e32 v9, v9, v11
	v_mul_f32_e32 v11, v139, v143
	s_delay_alu instid0(VALU_DEP_1)
	v_fma_f32 v11, v138, v142, -v11
	ds_load_2addr_b64 v[128:131], v5 offset0:119 offset1:120
	ds_load_2addr_b64 v[132:135], v5 offset0:121 offset1:122
	;; [unrolled: 1-line block ×4, first 2 shown]
	v_add_f32_e32 v9, v9, v11
	v_mul_f32_e32 v11, v145, v149
	s_delay_alu instid0(VALU_DEP_1) | instskip(NEXT) | instid1(VALU_DEP_1)
	v_fma_f32 v11, v144, v148, -v11
	v_add_f32_e32 v9, v9, v11
	v_mul_f32_e32 v11, v147, v151
	s_delay_alu instid0(VALU_DEP_1)
	v_fma_f32 v11, v146, v150, -v11
	s_wait_loadcnt_dscnt 0x303
	s_set_vgpr_msb 4                        ;  msbs: dst=0 src0=0 src1=1 src2=0
	v_pk_mul_f32 v[146:147], v[128:129], v[8:9] /*v[264:265]*/ op_sel:[1,1] op_sel_hi:[0,1]
	s_set_vgpr_msb 0                        ;  msbs: dst=0 src0=0 src1=0 src2=0
	v_add_f32_e32 v9, v9, v11
	v_mul_f32_e32 v11, v153, v157
	s_set_vgpr_msb 4                        ;  msbs: dst=0 src0=0 src1=1 src2=0
	v_pk_fma_f32 v[148:149], v[128:129], v[8:9] /*v[264:265]*/, v[146:147] neg_lo:[0,0,1] neg_hi:[0,0,1]
	v_pk_fma_f32 v[128:129], v[128:129], v[8:9] /*v[264:265]*/, v[146:147] op_sel_hi:[1,0,1]
	s_set_vgpr_msb 1                        ;  msbs: dst=0 src0=1 src1=0 src2=0
	v_mov_b32_e32 v146, v11 /*v267*/
	s_set_vgpr_msb 0                        ;  msbs: dst=0 src0=0 src1=0 src2=0
	s_delay_alu instid0(VALU_DEP_2) | instskip(NEXT) | instid1(VALU_DEP_1)
	v_dual_fma_f32 v11, v152, v156, -v11 :: v_dual_mov_b32 v149, v129
	v_add_f32_e32 v9, v9, v11
	v_mul_f32_e32 v11, v155, v159
	s_delay_alu instid0(VALU_DEP_1) | instskip(NEXT) | instid1(VALU_DEP_1)
	v_fma_f32 v11, v154, v158, -v11
	v_add_f32_e32 v9, v9, v11
	v_mul_f32_e32 v11, v161, v165
	s_delay_alu instid0(VALU_DEP_1) | instskip(NEXT) | instid1(VALU_DEP_1)
	v_fma_f32 v11, v160, v164, -v11
	;; [unrolled: 4-line block ×24, first 2 shown]
	v_add_f32_e32 v9, v9, v11
	v_mul_f32_e32 v11, v251, v255
	s_delay_alu instid0(VALU_DEP_1) | instskip(SKIP_1) | instid1(VALU_DEP_1)
	v_fma_f32 v11, v250, v254, -v11
	s_set_vgpr_msb 64                       ;  msbs: dst=1 src0=0 src1=0 src2=0
	v_add_f32_e32 v24 /*v280*/, v9, v11
	s_set_vgpr_msb 5                        ;  msbs: dst=0 src0=1 src1=1 src2=0
	v_mul_f32_e32 v9, v1 /*v257*/, v5 /*v261*/
	s_set_vgpr_msb 0x45                     ;  msbs: dst=1 src0=1 src1=1 src2=0
	s_delay_alu instid0(VALU_DEP_1) | instskip(SKIP_3) | instid1(VALU_DEP_1)
	v_fma_f32 v26 /*v282*/, v0 /*v256*/, v4 /*v260*/, -v9
	s_set_vgpr_msb 5                        ;  msbs: dst=0 src0=1 src1=1 src2=0
	v_mul_f32_e32 v9, v3 /*v259*/, v7 /*v263*/
	s_set_vgpr_msb 0x45                     ;  msbs: dst=1 src0=1 src1=1 src2=0
	v_fma_f32 v28 /*v284*/, v2 /*v258*/, v6 /*v262*/, -v9
	s_set_vgpr_msb 5                        ;  msbs: dst=0 src0=1 src1=1 src2=0
	v_pk_add_f32 v[144:145], v[24:25] /*v[280:281]*/, v[26:27] /*v[282:283]*/
	s_set_vgpr_msb 4                        ;  msbs: dst=0 src0=0 src1=1 src2=0
	s_delay_alu instid0(VALU_DEP_1) | instskip(SKIP_1) | instid1(VALU_DEP_1)
	v_pk_add_f32 v[144:145], v[144:145], v[28:29] /*v[284:285]*/
	s_set_vgpr_msb 0                        ;  msbs: dst=0 src0=0 src1=0 src2=0
	v_pk_add_f32 v[128:129], v[144:145], v[148:149]
	v_dual_mov_b32 v144, v131 :: v_dual_mov_b32 v145, v130
	s_delay_alu instid0(VALU_DEP_1) | instskip(SKIP_1) | instid1(VALU_DEP_1)
	v_pk_mul_f32 v[144:145], v[144:145], v[146:147] op_sel_hi:[1,0]
	s_set_vgpr_msb 4                        ;  msbs: dst=0 src0=0 src1=1 src2=0
	v_pk_fma_f32 v[146:147], v[130:131], v[10:11] /*v[266:267]*/, v[144:145] neg_lo:[0,0,1] neg_hi:[0,0,1]
	v_pk_fma_f32 v[130:131], v[130:131], v[10:11] /*v[266:267]*/, v[144:145] op_sel_hi:[1,0,1]
	s_delay_alu instid0(VALU_DEP_1) | instskip(SKIP_3) | instid1(VALU_DEP_2)
	v_mov_b32_e32 v147, v131
	s_wait_loadcnt_dscnt 0x202
	v_pk_mul_f32 v[130:131], v[132:133], v[12:13] /*v[268:269]*/ op_sel:[1,1] op_sel_hi:[0,1]
	s_set_vgpr_msb 0                        ;  msbs: dst=0 src0=0 src1=0 src2=0
	v_pk_add_f32 v[128:129], v[128:129], v[146:147]
	s_set_vgpr_msb 4                        ;  msbs: dst=0 src0=0 src1=1 src2=0
	s_delay_alu instid0(VALU_DEP_2)
	v_pk_fma_f32 v[144:145], v[132:133], v[12:13] /*v[268:269]*/, v[130:131] neg_lo:[0,0,1] neg_hi:[0,0,1]
	v_pk_fma_f32 v[130:131], v[132:133], v[12:13] /*v[268:269]*/, v[130:131] op_sel_hi:[1,0,1]
	v_mov_b32_e32 v130, v135
	s_set_vgpr_msb 1                        ;  msbs: dst=0 src0=1 src1=0 src2=0
	v_mov_b32_e32 v132, v15 /*v271*/
	s_set_vgpr_msb 0                        ;  msbs: dst=0 src0=0 src1=0 src2=0
	v_dual_mov_b32 v145, v131 :: v_dual_mov_b32 v131, v134
	s_delay_alu instid0(VALU_DEP_1) | instskip(NEXT) | instid1(VALU_DEP_2)
	v_pk_add_f32 v[128:129], v[128:129], v[144:145]
	v_pk_mul_f32 v[130:131], v[130:131], v[132:133] op_sel_hi:[1,0]
	s_set_vgpr_msb 4                        ;  msbs: dst=0 src0=0 src1=1 src2=0
	s_delay_alu instid0(VALU_DEP_1) | instskip(SKIP_1) | instid1(VALU_DEP_1)
	v_pk_fma_f32 v[132:133], v[134:135], v[14:15] /*v[270:271]*/, v[130:131] neg_lo:[0,0,1] neg_hi:[0,0,1]
	v_pk_fma_f32 v[130:131], v[134:135], v[14:15] /*v[270:271]*/, v[130:131] op_sel_hi:[1,0,1]
	v_mov_b32_e32 v133, v131
	s_wait_loadcnt_dscnt 0x101
	v_pk_mul_f32 v[130:131], v[136:137], v[16:17] /*v[272:273]*/ op_sel:[1,1] op_sel_hi:[0,1]
	s_set_vgpr_msb 0                        ;  msbs: dst=0 src0=0 src1=0 src2=0
	s_delay_alu instid0(VALU_DEP_2) | instskip(SKIP_1) | instid1(VALU_DEP_2)
	v_pk_add_f32 v[128:129], v[128:129], v[132:133]
	s_set_vgpr_msb 4                        ;  msbs: dst=0 src0=0 src1=1 src2=0
	v_pk_fma_f32 v[132:133], v[136:137], v[16:17] /*v[272:273]*/, v[130:131] neg_lo:[0,0,1] neg_hi:[0,0,1]
	v_pk_fma_f32 v[130:131], v[136:137], v[16:17] /*v[272:273]*/, v[130:131] op_sel_hi:[1,0,1]
	s_delay_alu instid0(VALU_DEP_1) | instskip(SKIP_2) | instid1(VALU_DEP_2)
	v_dual_mov_b32 v130, v139 :: v_dual_mov_b32 v133, v131
	v_mov_b32_e32 v131, v138
	s_set_vgpr_msb 0                        ;  msbs: dst=0 src0=0 src1=0 src2=0
	v_pk_add_f32 v[128:129], v[128:129], v[132:133]
	s_set_vgpr_msb 1                        ;  msbs: dst=0 src0=1 src1=0 src2=0
	v_mov_b32_e32 v132, v19 /*v275*/
	s_set_vgpr_msb 0                        ;  msbs: dst=0 src0=0 src1=0 src2=0
	s_delay_alu instid0(VALU_DEP_1) | instskip(SKIP_1) | instid1(VALU_DEP_1)
	v_pk_mul_f32 v[130:131], v[130:131], v[132:133] op_sel_hi:[1,0]
	s_set_vgpr_msb 4                        ;  msbs: dst=0 src0=0 src1=1 src2=0
	v_pk_fma_f32 v[132:133], v[138:139], v[18:19] /*v[274:275]*/, v[130:131] neg_lo:[0,0,1] neg_hi:[0,0,1]
	v_pk_fma_f32 v[130:131], v[138:139], v[18:19] /*v[274:275]*/, v[130:131] op_sel_hi:[1,0,1]
	s_delay_alu instid0(VALU_DEP_1) | instskip(SKIP_3) | instid1(VALU_DEP_2)
	v_mov_b32_e32 v133, v131
	s_wait_loadcnt_dscnt 0x0
	v_pk_mul_f32 v[130:131], v[140:141], v[20:21] /*v[276:277]*/ op_sel:[1,1] op_sel_hi:[0,1]
	s_set_vgpr_msb 0                        ;  msbs: dst=0 src0=0 src1=0 src2=0
	v_pk_add_f32 v[128:129], v[128:129], v[132:133]
	s_set_vgpr_msb 4                        ;  msbs: dst=0 src0=0 src1=1 src2=0
	s_delay_alu instid0(VALU_DEP_2) | instskip(SKIP_1) | instid1(VALU_DEP_1)
	v_pk_fma_f32 v[132:133], v[140:141], v[20:21] /*v[276:277]*/, v[130:131] neg_lo:[0,0,1] neg_hi:[0,0,1]
	v_pk_fma_f32 v[130:131], v[140:141], v[20:21] /*v[276:277]*/, v[130:131] op_sel_hi:[1,0,1]
	v_dual_mov_b32 v130, v143 :: v_dual_mov_b32 v133, v131
	v_mov_b32_e32 v131, v142
	s_set_vgpr_msb 0                        ;  msbs: dst=0 src0=0 src1=0 src2=0
	s_delay_alu instid0(VALU_DEP_2) | instskip(SKIP_3) | instid1(VALU_DEP_1)
	v_pk_add_f32 v[128:129], v[128:129], v[132:133]
	s_set_vgpr_msb 1                        ;  msbs: dst=0 src0=1 src1=0 src2=0
	v_mov_b32_e32 v132, v23 /*v279*/
	s_set_vgpr_msb 0                        ;  msbs: dst=0 src0=0 src1=0 src2=0
	v_pk_mul_f32 v[130:131], v[130:131], v[132:133] op_sel_hi:[1,0]
	s_set_vgpr_msb 4                        ;  msbs: dst=0 src0=0 src1=1 src2=0
	s_delay_alu instid0(VALU_DEP_1) | instskip(SKIP_1) | instid1(VALU_DEP_1)
	v_pk_fma_f32 v[132:133], v[142:143], v[22:23] /*v[278:279]*/, v[130:131] neg_lo:[0,0,1] neg_hi:[0,0,1]
	v_pk_fma_f32 v[130:131], v[142:143], v[22:23] /*v[278:279]*/, v[130:131] op_sel_hi:[1,0,1]
	v_mov_b32_e32 v133, v131
	scratch_load_b64 v[130:131], off, off offset:160
	s_set_vgpr_msb 0                        ;  msbs: dst=0 src0=0 src1=0 src2=0
	v_pk_add_f32 v[128:129], v[128:129], v[132:133]
	s_wait_loadcnt 0x0
	s_delay_alu instid0(VALU_DEP_1)
	v_pk_add_f32 v[128:129], v[130:131], v[128:129] neg_lo:[0,1] neg_hi:[0,1]
	scratch_store_b64 off, v[128:129], off offset:160
	s_wait_xcnt 0x0
	v_cmpx_lt_u32_e32 19, v0
	s_cbranch_execz .LBB62_353
; %bb.352:
	scratch_load_b64 v[128:129], off, off offset:152
	v_mov_b64_e32 v[130:131], 0
	scratch_store_b64 off, v[130:131], off offset:152
	s_wait_loadcnt 0x0
	ds_store_b64 v1, v[128:129]
.LBB62_353:
	s_wait_xcnt 0x0
	s_or_b32 exec_lo, exec_lo, s0
	v_mov_b32_e32 v5, 0
	s_wait_storecnt_dscnt 0x0
	s_barrier_signal -1
	s_barrier_wait -1
	ds_load_b128 v[128:131], v5 offset:672
	ds_load_b128 v[132:135], v5 offset:688
	;; [unrolled: 1-line block ×4, first 2 shown]
	s_clause 0x12
	scratch_load_b128 v[144:147], off, off offset:160
	scratch_load_b128 v[148:151], off, off offset:176
	;; [unrolled: 1-line block ×16, first 2 shown]
	s_set_vgpr_msb 64                       ;  msbs: dst=1 src0=0 src1=0 src2=0
	scratch_load_b128 v[4:7] /*v[260:263]*/, off, off offset:416
	scratch_load_b128 v[12:15] /*v[268:271]*/, off, off offset:432
	s_mov_b32 s0, exec_lo
	s_wait_loadcnt_dscnt 0x1103
	s_set_vgpr_msb 0                        ;  msbs: dst=0 src0=0 src1=0 src2=0
	v_mul_f32_e32 v9, v128, v145
	ds_load_b128 v[160:163], v5 offset:736
	ds_load_b128 v[168:171], v5 offset:752
	;; [unrolled: 1-line block ×4, first 2 shown]
	v_dual_fmac_f32 v9, v129, v144 :: v_dual_mul_f32 v11, v130, v147
	ds_load_b128 v[192:195], v5 offset:800
	ds_load_b128 v[200:203], v5 offset:816
	;; [unrolled: 1-line block ×4, first 2 shown]
	v_dual_add_f32 v9, 0, v9 :: v_dual_fmac_f32 v11, v131, v146
	ds_load_b128 v[224:227], v5 offset:864
	ds_load_b128 v[232:235], v5 offset:880
	ds_load_b128 v[240:243], v5 offset:896
	ds_load_b128 v[248:251], v5 offset:912
	s_wait_loadcnt_dscnt 0x100e
	v_dual_add_f32 v9, v9, v11 :: v_dual_mul_f32 v11, v132, v149
	s_set_vgpr_msb 64                       ;  msbs: dst=1 src0=0 src1=0 src2=0
	ds_load_b128 v[0:3] /*v[256:259]*/, v5 offset:928
	ds_load_b128 v[8:11] /*v[264:267]*/, v5 offset:944
	s_clause 0x3
	scratch_load_b128 v[16:19] /*v[272:275]*/, off, off offset:448
	scratch_load_b128 v[20:23] /*v[276:279]*/, off, off offset:464
	;; [unrolled: 1-line block ×3, first 2 shown]
	scratch_load_b64 v[34:35] /*v[290:291]*/, off, off offset:496
	s_set_vgpr_msb 0                        ;  msbs: dst=0 src0=0 src1=0 src2=0
	v_fmac_f32_e32 v11, v133, v148
	s_delay_alu instid0(VALU_DEP_1) | instskip(SKIP_1) | instid1(VALU_DEP_1)
	v_add_f32_e32 v9, v9, v11
	v_mul_f32_e32 v11, v134, v151
	v_fmac_f32_e32 v11, v135, v150
	s_wait_loadcnt_dscnt 0x130f
	s_delay_alu instid0(VALU_DEP_1)
	v_dual_add_f32 v9, v9, v11 :: v_dual_mul_f32 v11, v136, v153
	s_wait_loadcnt_dscnt 0x400
	s_set_vgpr_msb 0x45                     ;  msbs: dst=1 src0=1 src1=1 src2=0
	v_dual_mul_f32 v31 /*v287*/, v2 /*v258*/, v7 /*v263*/ :: v_dual_mul_f32 v33 /*v289*/, v8 /*v264*/, v13 /*v269*/
	s_set_vgpr_msb 0                        ;  msbs: dst=0 src0=0 src1=0 src2=0
	v_fmac_f32_e32 v11, v137, v152
	s_set_vgpr_msb 0x45                     ;  msbs: dst=1 src0=1 src1=1 src2=0
	s_delay_alu instid0(VALU_DEP_2) | instskip(SKIP_1) | instid1(VALU_DEP_2)
	v_dual_fmac_f32 v31 /*v287*/, v3 /*v259*/, v6 /*v262*/ :: v_dual_fmac_f32 v33 /*v289*/, v9 /*v265*/, v12 /*v268*/
	s_set_vgpr_msb 0                        ;  msbs: dst=0 src0=0 src1=0 src2=0
	v_add_f32_e32 v9, v9, v11
	v_mul_f32_e32 v11, v138, v155
	s_delay_alu instid0(VALU_DEP_1) | instskip(NEXT) | instid1(VALU_DEP_1)
	v_fmac_f32_e32 v11, v139, v154
	v_dual_add_f32 v9, v9, v11 :: v_dual_mul_f32 v11, v140, v157
	s_delay_alu instid0(VALU_DEP_1) | instskip(NEXT) | instid1(VALU_DEP_1)
	v_fmac_f32_e32 v11, v141, v156
	v_add_f32_e32 v9, v9, v11
	v_mul_f32_e32 v11, v142, v159
	s_delay_alu instid0(VALU_DEP_1) | instskip(NEXT) | instid1(VALU_DEP_1)
	v_fmac_f32_e32 v11, v143, v158
	v_dual_add_f32 v9, v9, v11 :: v_dual_mul_f32 v11, v160, v165
	s_delay_alu instid0(VALU_DEP_1) | instskip(NEXT) | instid1(VALU_DEP_1)
	v_fmac_f32_e32 v11, v161, v164
	;; [unrolled: 7-line block ×13, first 2 shown]
	v_add_f32_e32 v9, v9, v11
	v_mul_f32_e32 v11, v250, v255
	s_delay_alu instid0(VALU_DEP_1) | instskip(NEXT) | instid1(VALU_DEP_1)
	v_fmac_f32_e32 v11, v251, v254
	v_add_f32_e32 v9, v9, v11
	s_set_vgpr_msb 5                        ;  msbs: dst=0 src0=1 src1=1 src2=0
	v_mul_f32_e32 v11, v0 /*v256*/, v5 /*v261*/
	s_delay_alu instid0(VALU_DEP_1) | instskip(SKIP_1) | instid1(VALU_DEP_1)
	v_fmac_f32_e32 v11, v1 /*v257*/, v4 /*v260*/
	s_set_vgpr_msb 64                       ;  msbs: dst=1 src0=0 src1=0 src2=0
	v_add_f32_e32 v29 /*v285*/, v9, v11
	s_set_vgpr_msb 0                        ;  msbs: dst=0 src0=0 src1=0 src2=0
	v_dual_mul_f32 v9, v129, v145 :: v_dual_mul_f32 v11, v131, v147
	s_set_vgpr_msb 1                        ;  msbs: dst=0 src0=1 src1=0 src2=0
	v_mov_b32_e32 v145, v10 /*v266*/
	s_set_vgpr_msb 0                        ;  msbs: dst=0 src0=0 src1=0 src2=0
	s_delay_alu instid0(VALU_DEP_2) | instskip(SKIP_2) | instid1(VALU_DEP_2)
	v_dual_fma_f32 v9, v128, v144, -v9 :: v_dual_fma_f32 v11, v130, v146, -v11
	s_set_vgpr_msb 1                        ;  msbs: dst=0 src0=1 src1=0 src2=0
	v_dual_mov_b32 v144, v11 /*v267*/ :: v_dual_mov_b32 v146, v15 /*v271*/
	v_add_f32_e32 v9, 0, v9
	s_set_vgpr_msb 0                        ;  msbs: dst=0 src0=0 src1=0 src2=0
	s_delay_alu instid0(VALU_DEP_2) | instskip(NEXT) | instid1(VALU_DEP_2)
	v_pk_mul_f32 v[144:145], v[144:145], v[146:147] op_sel_hi:[1,0]
	v_add_f32_e32 v9, v9, v11
	v_mul_f32_e32 v11, v133, v149
	s_set_vgpr_msb 5                        ;  msbs: dst=0 src0=1 src1=1 src2=0
	s_delay_alu instid0(VALU_DEP_3) | instskip(SKIP_2) | instid1(VALU_DEP_1)
	v_pk_fma_f32 v[146:147], v[10:11] /*v[266:267]*/, v[14:15] /*v[270:271]*/, v[144:145] neg_lo:[0,0,1] neg_hi:[0,0,1]
	v_pk_fma_f32 v[144:145], v[10:11] /*v[266:267]*/, v[14:15] /*v[270:271]*/, v[144:145] op_sel_hi:[1,0,1]
	s_set_vgpr_msb 0                        ;  msbs: dst=0 src0=0 src1=0 src2=0
	v_dual_fma_f32 v11, v132, v148, -v11 :: v_dual_mov_b32 v147, v145
	s_delay_alu instid0(VALU_DEP_1) | instskip(SKIP_1) | instid1(VALU_DEP_1)
	v_add_f32_e32 v9, v9, v11
	v_mul_f32_e32 v11, v135, v151
	v_fma_f32 v11, v134, v150, -v11
	s_delay_alu instid0(VALU_DEP_1) | instskip(SKIP_1) | instid1(VALU_DEP_1)
	v_add_f32_e32 v9, v9, v11
	v_mul_f32_e32 v11, v137, v153
	v_fma_f32 v11, v136, v152, -v11
	;; [unrolled: 4-line block ×4, first 2 shown]
	ds_load_b128 v[128:131], v5 offset:960
	ds_load_b128 v[132:135], v5 offset:976
	;; [unrolled: 1-line block ×3, first 2 shown]
	ds_load_b64 v[140:141], v5 offset:1008
	v_add_f32_e32 v9, v9, v11
	v_mul_f32_e32 v11, v143, v159
	s_delay_alu instid0(VALU_DEP_1) | instskip(NEXT) | instid1(VALU_DEP_1)
	v_fma_f32 v11, v142, v158, -v11
	v_add_f32_e32 v9, v9, v11
	v_mul_f32_e32 v11, v161, v165
	s_wait_loadcnt_dscnt 0x303
	s_set_vgpr_msb 4                        ;  msbs: dst=0 src0=0 src1=1 src2=0
	v_pk_mul_f32 v[144:145], v[128:129], v[16:17] /*v[272:273]*/ op_sel:[1,1] op_sel_hi:[0,1]
	s_set_vgpr_msb 0                        ;  msbs: dst=0 src0=0 src1=0 src2=0
	v_fma_f32 v11, v160, v164, -v11
	s_delay_alu instid0(VALU_DEP_1) | instskip(SKIP_1) | instid1(VALU_DEP_1)
	v_add_f32_e32 v9, v9, v11
	v_mul_f32_e32 v11, v163, v167
	v_fma_f32 v11, v162, v166, -v11
	s_delay_alu instid0(VALU_DEP_1) | instskip(SKIP_1) | instid1(VALU_DEP_1)
	v_add_f32_e32 v9, v9, v11
	v_mul_f32_e32 v11, v169, v173
	;; [unrolled: 4-line block ×23, first 2 shown]
	v_fma_f32 v11, v250, v254, -v11
	s_delay_alu instid0(VALU_DEP_1) | instskip(SKIP_2) | instid1(VALU_DEP_1)
	v_add_f32_e32 v9, v9, v11
	s_set_vgpr_msb 5                        ;  msbs: dst=0 src0=1 src1=1 src2=0
	v_mul_f32_e32 v11, v1 /*v257*/, v5 /*v261*/
	v_fma_f32 v11, v0 /*v256*/, v4 /*v260*/, -v11
	s_set_vgpr_msb 64                       ;  msbs: dst=1 src0=0 src1=0 src2=0
	s_delay_alu instid0(VALU_DEP_1) | instskip(SKIP_3) | instid1(VALU_DEP_1)
	v_add_f32_e32 v28 /*v284*/, v9, v11
	s_set_vgpr_msb 5                        ;  msbs: dst=0 src0=1 src1=1 src2=0
	v_mul_f32_e32 v9, v3 /*v259*/, v7 /*v263*/
	s_set_vgpr_msb 0x45                     ;  msbs: dst=1 src0=1 src1=1 src2=0
	v_fma_f32 v30 /*v286*/, v2 /*v258*/, v6 /*v262*/, -v9
	s_set_vgpr_msb 5                        ;  msbs: dst=0 src0=1 src1=1 src2=0
	v_mul_f32_e32 v9, v9 /*v265*/, v13 /*v269*/
	s_set_vgpr_msb 0x45                     ;  msbs: dst=1 src0=1 src1=1 src2=0
	s_delay_alu instid0(VALU_DEP_1) | instskip(SKIP_3) | instid1(VALU_DEP_1)
	v_fma_f32 v32 /*v288*/, v8 /*v264*/, v12 /*v268*/, -v9
	s_set_vgpr_msb 5                        ;  msbs: dst=0 src0=1 src1=1 src2=0
	v_pk_add_f32 v[142:143], v[28:29] /*v[284:285]*/, v[30:31] /*v[286:287]*/
	s_set_vgpr_msb 4                        ;  msbs: dst=0 src0=0 src1=1 src2=0
	v_pk_add_f32 v[142:143], v[142:143], v[32:33] /*v[288:289]*/
	s_set_vgpr_msb 0                        ;  msbs: dst=0 src0=0 src1=0 src2=0
	s_delay_alu instid0(VALU_DEP_1)
	v_pk_add_f32 v[142:143], v[142:143], v[146:147]
	s_set_vgpr_msb 4                        ;  msbs: dst=0 src0=0 src1=1 src2=0
	v_pk_fma_f32 v[146:147], v[128:129], v[16:17] /*v[272:273]*/, v[144:145] neg_lo:[0,0,1] neg_hi:[0,0,1]
	v_pk_fma_f32 v[128:129], v[128:129], v[16:17] /*v[272:273]*/, v[144:145] op_sel_hi:[1,0,1]
	s_set_vgpr_msb 1                        ;  msbs: dst=0 src0=1 src1=0 src2=0
	v_mov_b32_e32 v144, v19 /*v275*/
	s_set_vgpr_msb 0                        ;  msbs: dst=0 src0=0 src1=0 src2=0
	s_delay_alu instid0(VALU_DEP_2) | instskip(NEXT) | instid1(VALU_DEP_1)
	v_mov_b32_e32 v147, v129
	v_pk_add_f32 v[128:129], v[142:143], v[146:147]
	v_dual_mov_b32 v142, v131 :: v_dual_mov_b32 v143, v130
	s_delay_alu instid0(VALU_DEP_1) | instskip(SKIP_1) | instid1(VALU_DEP_1)
	v_pk_mul_f32 v[142:143], v[142:143], v[144:145] op_sel_hi:[1,0]
	s_set_vgpr_msb 4                        ;  msbs: dst=0 src0=0 src1=1 src2=0
	v_pk_fma_f32 v[144:145], v[130:131], v[18:19] /*v[274:275]*/, v[142:143] neg_lo:[0,0,1] neg_hi:[0,0,1]
	v_pk_fma_f32 v[130:131], v[130:131], v[18:19] /*v[274:275]*/, v[142:143] op_sel_hi:[1,0,1]
	s_delay_alu instid0(VALU_DEP_1) | instskip(SKIP_3) | instid1(VALU_DEP_2)
	v_mov_b32_e32 v145, v131
	s_wait_loadcnt_dscnt 0x202
	v_pk_mul_f32 v[130:131], v[132:133], v[20:21] /*v[276:277]*/ op_sel:[1,1] op_sel_hi:[0,1]
	s_set_vgpr_msb 0                        ;  msbs: dst=0 src0=0 src1=0 src2=0
	v_pk_add_f32 v[128:129], v[128:129], v[144:145]
	s_set_vgpr_msb 4                        ;  msbs: dst=0 src0=0 src1=1 src2=0
	s_delay_alu instid0(VALU_DEP_2)
	v_pk_fma_f32 v[142:143], v[132:133], v[20:21] /*v[276:277]*/, v[130:131] neg_lo:[0,0,1] neg_hi:[0,0,1]
	v_pk_fma_f32 v[130:131], v[132:133], v[20:21] /*v[276:277]*/, v[130:131] op_sel_hi:[1,0,1]
	v_mov_b32_e32 v130, v135
	s_set_vgpr_msb 1                        ;  msbs: dst=0 src0=1 src1=0 src2=0
	v_mov_b32_e32 v132, v23 /*v279*/
	s_set_vgpr_msb 0                        ;  msbs: dst=0 src0=0 src1=0 src2=0
	v_dual_mov_b32 v143, v131 :: v_dual_mov_b32 v131, v134
	s_delay_alu instid0(VALU_DEP_1) | instskip(NEXT) | instid1(VALU_DEP_2)
	v_pk_add_f32 v[128:129], v[128:129], v[142:143]
	v_pk_mul_f32 v[130:131], v[130:131], v[132:133] op_sel_hi:[1,0]
	s_set_vgpr_msb 4                        ;  msbs: dst=0 src0=0 src1=1 src2=0
	s_delay_alu instid0(VALU_DEP_1) | instskip(SKIP_1) | instid1(VALU_DEP_1)
	v_pk_fma_f32 v[132:133], v[134:135], v[22:23] /*v[278:279]*/, v[130:131] neg_lo:[0,0,1] neg_hi:[0,0,1]
	v_pk_fma_f32 v[130:131], v[134:135], v[22:23] /*v[278:279]*/, v[130:131] op_sel_hi:[1,0,1]
	v_mov_b32_e32 v133, v131
	s_wait_loadcnt_dscnt 0x101
	v_pk_mul_f32 v[130:131], v[136:137], v[24:25] /*v[280:281]*/ op_sel:[1,1] op_sel_hi:[0,1]
	s_set_vgpr_msb 0                        ;  msbs: dst=0 src0=0 src1=0 src2=0
	s_delay_alu instid0(VALU_DEP_2) | instskip(SKIP_1) | instid1(VALU_DEP_2)
	v_pk_add_f32 v[128:129], v[128:129], v[132:133]
	s_set_vgpr_msb 4                        ;  msbs: dst=0 src0=0 src1=1 src2=0
	v_pk_fma_f32 v[132:133], v[136:137], v[24:25] /*v[280:281]*/, v[130:131] neg_lo:[0,0,1] neg_hi:[0,0,1]
	v_pk_fma_f32 v[130:131], v[136:137], v[24:25] /*v[280:281]*/, v[130:131] op_sel_hi:[1,0,1]
	s_delay_alu instid0(VALU_DEP_1) | instskip(SKIP_2) | instid1(VALU_DEP_2)
	v_dual_mov_b32 v130, v139 :: v_dual_mov_b32 v133, v131
	v_mov_b32_e32 v131, v138
	s_set_vgpr_msb 0                        ;  msbs: dst=0 src0=0 src1=0 src2=0
	v_pk_add_f32 v[128:129], v[128:129], v[132:133]
	s_set_vgpr_msb 1                        ;  msbs: dst=0 src0=1 src1=0 src2=0
	v_mov_b32_e32 v132, v27 /*v283*/
	s_set_vgpr_msb 0                        ;  msbs: dst=0 src0=0 src1=0 src2=0
	s_delay_alu instid0(VALU_DEP_1) | instskip(SKIP_1) | instid1(VALU_DEP_1)
	v_pk_mul_f32 v[130:131], v[130:131], v[132:133] op_sel_hi:[1,0]
	s_set_vgpr_msb 4                        ;  msbs: dst=0 src0=0 src1=1 src2=0
	v_pk_fma_f32 v[132:133], v[138:139], v[26:27] /*v[282:283]*/, v[130:131] neg_lo:[0,0,1] neg_hi:[0,0,1]
	v_pk_fma_f32 v[130:131], v[138:139], v[26:27] /*v[282:283]*/, v[130:131] op_sel_hi:[1,0,1]
	s_delay_alu instid0(VALU_DEP_1) | instskip(SKIP_3) | instid1(VALU_DEP_2)
	v_mov_b32_e32 v133, v131
	s_wait_loadcnt_dscnt 0x0
	v_pk_mul_f32 v[130:131], v[140:141], v[34:35] /*v[290:291]*/ op_sel:[1,1] op_sel_hi:[0,1]
	s_set_vgpr_msb 0                        ;  msbs: dst=0 src0=0 src1=0 src2=0
	v_pk_add_f32 v[128:129], v[128:129], v[132:133]
	s_set_vgpr_msb 4                        ;  msbs: dst=0 src0=0 src1=1 src2=0
	s_delay_alu instid0(VALU_DEP_2) | instskip(SKIP_1) | instid1(VALU_DEP_1)
	v_pk_fma_f32 v[132:133], v[140:141], v[34:35] /*v[290:291]*/, v[130:131] neg_lo:[0,0,1] neg_hi:[0,0,1]
	v_pk_fma_f32 v[130:131], v[140:141], v[34:35] /*v[290:291]*/, v[130:131] op_sel_hi:[1,0,1]
	v_mov_b32_e32 v133, v131
	scratch_load_b64 v[130:131], off, off offset:152
	s_set_vgpr_msb 0                        ;  msbs: dst=0 src0=0 src1=0 src2=0
	v_pk_add_f32 v[128:129], v[128:129], v[132:133]
	s_wait_loadcnt 0x0
	s_delay_alu instid0(VALU_DEP_1)
	v_pk_add_f32 v[128:129], v[130:131], v[128:129] neg_lo:[0,1] neg_hi:[0,1]
	scratch_store_b64 off, v[128:129], off offset:152
	s_wait_xcnt 0x0
	v_cmpx_lt_u32_e32 18, v0
	s_cbranch_execz .LBB62_355
; %bb.354:
	scratch_load_b64 v[128:129], off, off offset:144
	v_mov_b64_e32 v[130:131], 0
	scratch_store_b64 off, v[130:131], off offset:144
	s_wait_loadcnt 0x0
	ds_store_b64 v1, v[128:129]
.LBB62_355:
	s_wait_xcnt 0x0
	s_or_b32 exec_lo, exec_lo, s0
	s_wait_storecnt_dscnt 0x0
	s_barrier_signal -1
	s_barrier_wait -1
	s_clause 0xf
	scratch_load_b128 v[132:135], off, off offset:152
	scratch_load_b128 v[140:143], off, off offset:168
	;; [unrolled: 1-line block ×16, first 2 shown]
	ds_load_2addr_b64 v[128:131], v5 offset0:83 offset1:84
	ds_load_2addr_b64 v[136:139], v5 offset0:85 offset1:86
	s_set_vgpr_msb 64                       ;  msbs: dst=1 src0=0 src1=0 src2=0
	s_clause 0x1
	scratch_load_b128 v[4:7] /*v[260:263]*/, off, off offset:408
	scratch_load_b128 v[12:15] /*v[268:271]*/, off, off offset:424
	s_set_vgpr_msb 0                        ;  msbs: dst=0 src0=0 src1=0 src2=0
	ds_load_2addr_b64 v[144:147], v5 offset0:87 offset1:88
	ds_load_2addr_b64 v[152:155], v5 offset0:89 offset1:90
	;; [unrolled: 1-line block ×14, first 2 shown]
	s_set_vgpr_msb 64                       ;  msbs: dst=1 src0=0 src1=0 src2=0
	ds_load_2addr_b64 v[0:3] /*v[256:259]*/, v5 offset0:115 offset1:116
	ds_load_2addr_b64 v[8:11] /*v[264:267]*/, v5 offset0:117 offset1:118
	s_clause 0x3
	scratch_load_b128 v[16:19] /*v[272:275]*/, off, off offset:440
	scratch_load_b128 v[20:23] /*v[276:279]*/, off, off offset:456
	;; [unrolled: 1-line block ×4, first 2 shown]
	s_mov_b32 s0, exec_lo
	s_wait_loadcnt_dscnt 0x1511
	s_set_vgpr_msb 0                        ;  msbs: dst=0 src0=0 src1=0 src2=0
	v_dual_mul_f32 v9, v128, v133 :: v_dual_mul_f32 v11, v130, v135
	s_delay_alu instid0(VALU_DEP_1) | instskip(NEXT) | instid1(VALU_DEP_1)
	v_dual_fmac_f32 v9, v129, v132 :: v_dual_fmac_f32 v11, v131, v134
	v_add_f32_e32 v9, 0, v9
	s_wait_loadcnt_dscnt 0x1410
	s_delay_alu instid0(VALU_DEP_1)
	v_dual_add_f32 v9, v9, v11 :: v_dual_mul_f32 v11, v136, v141
	s_wait_loadcnt_dscnt 0x400
	s_set_vgpr_msb 0x45                     ;  msbs: dst=1 src0=1 src1=1 src2=0
	v_dual_mul_f32 v35 /*v291*/, v8 /*v264*/, v13 /*v269*/ :: v_dual_mul_f32 v37 /*v293*/, v10 /*v266*/, v15 /*v271*/
	s_set_vgpr_msb 0                        ;  msbs: dst=0 src0=0 src1=0 src2=0
	v_fmac_f32_e32 v11, v137, v140
	s_set_vgpr_msb 0x45                     ;  msbs: dst=1 src0=1 src1=1 src2=0
	s_delay_alu instid0(VALU_DEP_2) | instskip(SKIP_1) | instid1(VALU_DEP_2)
	v_dual_fmac_f32 v35 /*v291*/, v9 /*v265*/, v12 /*v268*/ :: v_dual_fmac_f32 v37 /*v293*/, v11 /*v267*/, v14 /*v270*/
	s_set_vgpr_msb 0                        ;  msbs: dst=0 src0=0 src1=0 src2=0
	v_add_f32_e32 v9, v9, v11
	v_mul_f32_e32 v11, v138, v143
	s_delay_alu instid0(VALU_DEP_1) | instskip(NEXT) | instid1(VALU_DEP_1)
	v_fmac_f32_e32 v11, v139, v142
	v_dual_add_f32 v9, v9, v11 :: v_dual_mul_f32 v11, v144, v149
	s_delay_alu instid0(VALU_DEP_1) | instskip(NEXT) | instid1(VALU_DEP_1)
	v_fmac_f32_e32 v11, v145, v148
	v_add_f32_e32 v9, v9, v11
	v_mul_f32_e32 v11, v146, v151
	s_delay_alu instid0(VALU_DEP_1) | instskip(NEXT) | instid1(VALU_DEP_1)
	v_fmac_f32_e32 v11, v147, v150
	v_dual_add_f32 v9, v9, v11 :: v_dual_mul_f32 v11, v152, v157
	s_delay_alu instid0(VALU_DEP_1) | instskip(NEXT) | instid1(VALU_DEP_1)
	v_fmac_f32_e32 v11, v153, v156
	v_add_f32_e32 v9, v9, v11
	v_mul_f32_e32 v11, v154, v159
	s_delay_alu instid0(VALU_DEP_1) | instskip(NEXT) | instid1(VALU_DEP_1)
	v_fmac_f32_e32 v11, v155, v158
	v_dual_add_f32 v9, v9, v11 :: v_dual_mul_f32 v11, v160, v165
	s_delay_alu instid0(VALU_DEP_1) | instskip(NEXT) | instid1(VALU_DEP_1)
	v_fmac_f32_e32 v11, v161, v164
	v_add_f32_e32 v9, v9, v11
	v_mul_f32_e32 v11, v162, v167
	s_delay_alu instid0(VALU_DEP_1) | instskip(NEXT) | instid1(VALU_DEP_1)
	v_fmac_f32_e32 v11, v163, v166
	v_dual_add_f32 v9, v9, v11 :: v_dual_mul_f32 v11, v168, v173
	s_delay_alu instid0(VALU_DEP_1) | instskip(NEXT) | instid1(VALU_DEP_1)
	v_fmac_f32_e32 v11, v169, v172
	v_add_f32_e32 v9, v9, v11
	v_mul_f32_e32 v11, v170, v175
	s_delay_alu instid0(VALU_DEP_1) | instskip(NEXT) | instid1(VALU_DEP_1)
	v_fmac_f32_e32 v11, v171, v174
	v_dual_add_f32 v9, v9, v11 :: v_dual_mul_f32 v11, v176, v181
	s_delay_alu instid0(VALU_DEP_1) | instskip(NEXT) | instid1(VALU_DEP_1)
	v_fmac_f32_e32 v11, v177, v180
	v_add_f32_e32 v9, v9, v11
	v_mul_f32_e32 v11, v178, v183
	s_delay_alu instid0(VALU_DEP_1) | instskip(NEXT) | instid1(VALU_DEP_1)
	v_fmac_f32_e32 v11, v179, v182
	v_dual_add_f32 v9, v9, v11 :: v_dual_mul_f32 v11, v184, v189
	s_delay_alu instid0(VALU_DEP_1) | instskip(NEXT) | instid1(VALU_DEP_1)
	v_fmac_f32_e32 v11, v185, v188
	v_add_f32_e32 v9, v9, v11
	v_mul_f32_e32 v11, v186, v191
	s_delay_alu instid0(VALU_DEP_1) | instskip(NEXT) | instid1(VALU_DEP_1)
	v_fmac_f32_e32 v11, v187, v190
	v_dual_add_f32 v9, v9, v11 :: v_dual_mul_f32 v11, v192, v197
	s_delay_alu instid0(VALU_DEP_1) | instskip(NEXT) | instid1(VALU_DEP_1)
	v_fmac_f32_e32 v11, v193, v196
	v_add_f32_e32 v9, v9, v11
	v_mul_f32_e32 v11, v194, v199
	s_delay_alu instid0(VALU_DEP_1) | instskip(NEXT) | instid1(VALU_DEP_1)
	v_fmac_f32_e32 v11, v195, v198
	v_dual_add_f32 v9, v9, v11 :: v_dual_mul_f32 v11, v200, v205
	s_delay_alu instid0(VALU_DEP_1) | instskip(NEXT) | instid1(VALU_DEP_1)
	v_fmac_f32_e32 v11, v201, v204
	v_add_f32_e32 v9, v9, v11
	v_mul_f32_e32 v11, v202, v207
	s_delay_alu instid0(VALU_DEP_1) | instskip(NEXT) | instid1(VALU_DEP_1)
	v_fmac_f32_e32 v11, v203, v206
	v_dual_add_f32 v9, v9, v11 :: v_dual_mul_f32 v11, v208, v213
	s_delay_alu instid0(VALU_DEP_1) | instskip(NEXT) | instid1(VALU_DEP_1)
	v_fmac_f32_e32 v11, v209, v212
	v_add_f32_e32 v9, v9, v11
	v_mul_f32_e32 v11, v210, v215
	s_delay_alu instid0(VALU_DEP_1) | instskip(NEXT) | instid1(VALU_DEP_1)
	v_fmac_f32_e32 v11, v211, v214
	v_dual_add_f32 v9, v9, v11 :: v_dual_mul_f32 v11, v216, v221
	s_delay_alu instid0(VALU_DEP_1) | instskip(NEXT) | instid1(VALU_DEP_1)
	v_fmac_f32_e32 v11, v217, v220
	v_add_f32_e32 v9, v9, v11
	v_mul_f32_e32 v11, v218, v223
	s_delay_alu instid0(VALU_DEP_1) | instskip(NEXT) | instid1(VALU_DEP_1)
	v_fmac_f32_e32 v11, v219, v222
	v_dual_add_f32 v9, v9, v11 :: v_dual_mul_f32 v11, v224, v229
	s_delay_alu instid0(VALU_DEP_1) | instskip(NEXT) | instid1(VALU_DEP_1)
	v_fmac_f32_e32 v11, v225, v228
	v_add_f32_e32 v9, v9, v11
	v_mul_f32_e32 v11, v226, v231
	s_delay_alu instid0(VALU_DEP_1) | instskip(NEXT) | instid1(VALU_DEP_1)
	v_fmac_f32_e32 v11, v227, v230
	v_dual_add_f32 v9, v9, v11 :: v_dual_mul_f32 v11, v232, v237
	s_delay_alu instid0(VALU_DEP_1) | instskip(NEXT) | instid1(VALU_DEP_1)
	v_fmac_f32_e32 v11, v233, v236
	v_add_f32_e32 v9, v9, v11
	v_mul_f32_e32 v11, v234, v239
	s_delay_alu instid0(VALU_DEP_1) | instskip(NEXT) | instid1(VALU_DEP_1)
	v_fmac_f32_e32 v11, v235, v238
	v_dual_add_f32 v9, v9, v11 :: v_dual_mul_f32 v11, v240, v245
	s_delay_alu instid0(VALU_DEP_1) | instskip(NEXT) | instid1(VALU_DEP_1)
	v_fmac_f32_e32 v11, v241, v244
	v_add_f32_e32 v9, v9, v11
	v_mul_f32_e32 v11, v242, v247
	s_delay_alu instid0(VALU_DEP_1) | instskip(NEXT) | instid1(VALU_DEP_1)
	v_fmac_f32_e32 v11, v243, v246
	v_dual_add_f32 v9, v9, v11 :: v_dual_mul_f32 v11, v248, v253
	s_delay_alu instid0(VALU_DEP_1) | instskip(NEXT) | instid1(VALU_DEP_1)
	v_fmac_f32_e32 v11, v249, v252
	v_add_f32_e32 v9, v9, v11
	v_mul_f32_e32 v11, v250, v255
	s_delay_alu instid0(VALU_DEP_1) | instskip(NEXT) | instid1(VALU_DEP_1)
	v_fmac_f32_e32 v11, v251, v254
	v_add_f32_e32 v9, v9, v11
	s_set_vgpr_msb 5                        ;  msbs: dst=0 src0=1 src1=1 src2=0
	v_mul_f32_e32 v11, v0 /*v256*/, v5 /*v261*/
	s_delay_alu instid0(VALU_DEP_1) | instskip(SKIP_1) | instid1(VALU_DEP_1)
	v_fmac_f32_e32 v11, v1 /*v257*/, v4 /*v260*/
	s_set_vgpr_msb 0                        ;  msbs: dst=0 src0=0 src1=0 src2=0
	v_add_f32_e32 v9, v9, v11
	s_set_vgpr_msb 5                        ;  msbs: dst=0 src0=1 src1=1 src2=0
	v_mul_f32_e32 v11, v2 /*v258*/, v7 /*v263*/
	s_delay_alu instid0(VALU_DEP_1) | instskip(SKIP_1) | instid1(VALU_DEP_1)
	v_fmac_f32_e32 v11, v3 /*v259*/, v6 /*v262*/
	s_set_vgpr_msb 64                       ;  msbs: dst=1 src0=0 src1=0 src2=0
	v_add_f32_e32 v33 /*v289*/, v9, v11
	s_set_vgpr_msb 0                        ;  msbs: dst=0 src0=0 src1=0 src2=0
	v_dual_mul_f32 v9, v129, v133 :: v_dual_mul_f32 v11, v131, v135
	s_delay_alu instid0(VALU_DEP_1) | instskip(NEXT) | instid1(VALU_DEP_1)
	v_dual_fma_f32 v9, v128, v132, -v9 :: v_dual_fma_f32 v11, v130, v134, -v11
	v_add_f32_e32 v9, 0, v9
	s_delay_alu instid0(VALU_DEP_1) | instskip(SKIP_1) | instid1(VALU_DEP_1)
	v_add_f32_e32 v9, v9, v11
	v_mul_f32_e32 v11, v137, v141
	v_fma_f32 v11, v136, v140, -v11
	s_delay_alu instid0(VALU_DEP_1) | instskip(SKIP_1) | instid1(VALU_DEP_1)
	v_add_f32_e32 v9, v9, v11
	v_mul_f32_e32 v11, v139, v143
	v_fma_f32 v11, v138, v142, -v11
	ds_load_2addr_b64 v[128:131], v5 offset0:119 offset1:120
	ds_load_2addr_b64 v[132:135], v5 offset0:121 offset1:122
	;; [unrolled: 1-line block ×4, first 2 shown]
	v_add_f32_e32 v9, v9, v11
	v_mul_f32_e32 v11, v145, v149
	s_delay_alu instid0(VALU_DEP_1) | instskip(NEXT) | instid1(VALU_DEP_1)
	v_fma_f32 v11, v144, v148, -v11
	v_add_f32_e32 v9, v9, v11
	v_mul_f32_e32 v11, v147, v151
	s_delay_alu instid0(VALU_DEP_1)
	v_fma_f32 v11, v146, v150, -v11
	s_wait_loadcnt_dscnt 0x303
	s_set_vgpr_msb 4                        ;  msbs: dst=0 src0=0 src1=1 src2=0
	v_pk_mul_f32 v[146:147], v[128:129], v[16:17] /*v[272:273]*/ op_sel:[1,1] op_sel_hi:[0,1]
	s_set_vgpr_msb 0                        ;  msbs: dst=0 src0=0 src1=0 src2=0
	v_add_f32_e32 v9, v9, v11
	v_mul_f32_e32 v11, v153, v157
	s_set_vgpr_msb 4                        ;  msbs: dst=0 src0=0 src1=1 src2=0
	v_pk_fma_f32 v[148:149], v[128:129], v[16:17] /*v[272:273]*/, v[146:147] neg_lo:[0,0,1] neg_hi:[0,0,1]
	v_pk_fma_f32 v[128:129], v[128:129], v[16:17] /*v[272:273]*/, v[146:147] op_sel_hi:[1,0,1]
	s_set_vgpr_msb 1                        ;  msbs: dst=0 src0=1 src1=0 src2=0
	v_mov_b32_e32 v146, v19 /*v275*/
	s_set_vgpr_msb 0                        ;  msbs: dst=0 src0=0 src1=0 src2=0
	s_delay_alu instid0(VALU_DEP_2) | instskip(NEXT) | instid1(VALU_DEP_1)
	v_dual_fma_f32 v11, v152, v156, -v11 :: v_dual_mov_b32 v149, v129
	v_add_f32_e32 v9, v9, v11
	v_mul_f32_e32 v11, v155, v159
	s_delay_alu instid0(VALU_DEP_1) | instskip(NEXT) | instid1(VALU_DEP_1)
	v_fma_f32 v11, v154, v158, -v11
	v_add_f32_e32 v9, v9, v11
	v_mul_f32_e32 v11, v161, v165
	s_delay_alu instid0(VALU_DEP_1) | instskip(NEXT) | instid1(VALU_DEP_1)
	v_fma_f32 v11, v160, v164, -v11
	;; [unrolled: 4-line block ×25, first 2 shown]
	v_add_f32_e32 v9, v9, v11
	s_set_vgpr_msb 5                        ;  msbs: dst=0 src0=1 src1=1 src2=0
	v_mul_f32_e32 v11, v1 /*v257*/, v5 /*v261*/
	s_delay_alu instid0(VALU_DEP_1) | instskip(SKIP_1) | instid1(VALU_DEP_1)
	v_fma_f32 v11, v0 /*v256*/, v4 /*v260*/, -v11
	s_set_vgpr_msb 0                        ;  msbs: dst=0 src0=0 src1=0 src2=0
	v_add_f32_e32 v9, v9, v11
	s_set_vgpr_msb 5                        ;  msbs: dst=0 src0=1 src1=1 src2=0
	v_mul_f32_e32 v11, v3 /*v259*/, v7 /*v263*/
	s_delay_alu instid0(VALU_DEP_1) | instskip(SKIP_1) | instid1(VALU_DEP_1)
	v_fma_f32 v11, v2 /*v258*/, v6 /*v262*/, -v11
	s_set_vgpr_msb 64                       ;  msbs: dst=1 src0=0 src1=0 src2=0
	v_add_f32_e32 v32 /*v288*/, v9, v11
	s_set_vgpr_msb 5                        ;  msbs: dst=0 src0=1 src1=1 src2=0
	v_mul_f32_e32 v9, v9 /*v265*/, v13 /*v269*/
	s_set_vgpr_msb 0x45                     ;  msbs: dst=1 src0=1 src1=1 src2=0
	s_delay_alu instid0(VALU_DEP_1) | instskip(SKIP_3) | instid1(VALU_DEP_1)
	v_fma_f32 v34 /*v290*/, v8 /*v264*/, v12 /*v268*/, -v9
	s_set_vgpr_msb 5                        ;  msbs: dst=0 src0=1 src1=1 src2=0
	v_mul_f32_e32 v9, v11 /*v267*/, v15 /*v271*/
	s_set_vgpr_msb 0x45                     ;  msbs: dst=1 src0=1 src1=1 src2=0
	v_fma_f32 v36 /*v292*/, v10 /*v266*/, v14 /*v270*/, -v9
	s_set_vgpr_msb 5                        ;  msbs: dst=0 src0=1 src1=1 src2=0
	v_pk_add_f32 v[144:145], v[32:33] /*v[288:289]*/, v[34:35] /*v[290:291]*/
	s_set_vgpr_msb 4                        ;  msbs: dst=0 src0=0 src1=1 src2=0
	s_delay_alu instid0(VALU_DEP_1) | instskip(SKIP_1) | instid1(VALU_DEP_1)
	v_pk_add_f32 v[144:145], v[144:145], v[36:37] /*v[292:293]*/
	s_set_vgpr_msb 0                        ;  msbs: dst=0 src0=0 src1=0 src2=0
	v_pk_add_f32 v[128:129], v[144:145], v[148:149]
	v_dual_mov_b32 v144, v131 :: v_dual_mov_b32 v145, v130
	s_delay_alu instid0(VALU_DEP_1) | instskip(SKIP_1) | instid1(VALU_DEP_1)
	v_pk_mul_f32 v[144:145], v[144:145], v[146:147] op_sel_hi:[1,0]
	s_set_vgpr_msb 4                        ;  msbs: dst=0 src0=0 src1=1 src2=0
	v_pk_fma_f32 v[146:147], v[130:131], v[18:19] /*v[274:275]*/, v[144:145] neg_lo:[0,0,1] neg_hi:[0,0,1]
	v_pk_fma_f32 v[130:131], v[130:131], v[18:19] /*v[274:275]*/, v[144:145] op_sel_hi:[1,0,1]
	s_delay_alu instid0(VALU_DEP_1) | instskip(SKIP_3) | instid1(VALU_DEP_2)
	v_mov_b32_e32 v147, v131
	s_wait_loadcnt_dscnt 0x202
	v_pk_mul_f32 v[130:131], v[132:133], v[20:21] /*v[276:277]*/ op_sel:[1,1] op_sel_hi:[0,1]
	s_set_vgpr_msb 0                        ;  msbs: dst=0 src0=0 src1=0 src2=0
	v_pk_add_f32 v[128:129], v[128:129], v[146:147]
	s_set_vgpr_msb 4                        ;  msbs: dst=0 src0=0 src1=1 src2=0
	s_delay_alu instid0(VALU_DEP_2)
	v_pk_fma_f32 v[144:145], v[132:133], v[20:21] /*v[276:277]*/, v[130:131] neg_lo:[0,0,1] neg_hi:[0,0,1]
	v_pk_fma_f32 v[130:131], v[132:133], v[20:21] /*v[276:277]*/, v[130:131] op_sel_hi:[1,0,1]
	v_mov_b32_e32 v130, v135
	s_set_vgpr_msb 1                        ;  msbs: dst=0 src0=1 src1=0 src2=0
	v_mov_b32_e32 v132, v23 /*v279*/
	s_set_vgpr_msb 0                        ;  msbs: dst=0 src0=0 src1=0 src2=0
	v_dual_mov_b32 v145, v131 :: v_dual_mov_b32 v131, v134
	s_delay_alu instid0(VALU_DEP_1) | instskip(NEXT) | instid1(VALU_DEP_2)
	v_pk_add_f32 v[128:129], v[128:129], v[144:145]
	v_pk_mul_f32 v[130:131], v[130:131], v[132:133] op_sel_hi:[1,0]
	s_set_vgpr_msb 4                        ;  msbs: dst=0 src0=0 src1=1 src2=0
	s_delay_alu instid0(VALU_DEP_1) | instskip(SKIP_1) | instid1(VALU_DEP_1)
	v_pk_fma_f32 v[132:133], v[134:135], v[22:23] /*v[278:279]*/, v[130:131] neg_lo:[0,0,1] neg_hi:[0,0,1]
	v_pk_fma_f32 v[130:131], v[134:135], v[22:23] /*v[278:279]*/, v[130:131] op_sel_hi:[1,0,1]
	v_mov_b32_e32 v133, v131
	s_wait_loadcnt_dscnt 0x101
	v_pk_mul_f32 v[130:131], v[136:137], v[24:25] /*v[280:281]*/ op_sel:[1,1] op_sel_hi:[0,1]
	s_set_vgpr_msb 0                        ;  msbs: dst=0 src0=0 src1=0 src2=0
	s_delay_alu instid0(VALU_DEP_2) | instskip(SKIP_1) | instid1(VALU_DEP_2)
	v_pk_add_f32 v[128:129], v[128:129], v[132:133]
	s_set_vgpr_msb 4                        ;  msbs: dst=0 src0=0 src1=1 src2=0
	v_pk_fma_f32 v[132:133], v[136:137], v[24:25] /*v[280:281]*/, v[130:131] neg_lo:[0,0,1] neg_hi:[0,0,1]
	v_pk_fma_f32 v[130:131], v[136:137], v[24:25] /*v[280:281]*/, v[130:131] op_sel_hi:[1,0,1]
	s_delay_alu instid0(VALU_DEP_1) | instskip(SKIP_2) | instid1(VALU_DEP_2)
	v_dual_mov_b32 v130, v139 :: v_dual_mov_b32 v133, v131
	v_mov_b32_e32 v131, v138
	s_set_vgpr_msb 0                        ;  msbs: dst=0 src0=0 src1=0 src2=0
	v_pk_add_f32 v[128:129], v[128:129], v[132:133]
	s_set_vgpr_msb 1                        ;  msbs: dst=0 src0=1 src1=0 src2=0
	v_mov_b32_e32 v132, v27 /*v283*/
	s_set_vgpr_msb 0                        ;  msbs: dst=0 src0=0 src1=0 src2=0
	s_delay_alu instid0(VALU_DEP_1) | instskip(SKIP_1) | instid1(VALU_DEP_1)
	v_pk_mul_f32 v[130:131], v[130:131], v[132:133] op_sel_hi:[1,0]
	s_set_vgpr_msb 4                        ;  msbs: dst=0 src0=0 src1=1 src2=0
	v_pk_fma_f32 v[132:133], v[138:139], v[26:27] /*v[282:283]*/, v[130:131] neg_lo:[0,0,1] neg_hi:[0,0,1]
	v_pk_fma_f32 v[130:131], v[138:139], v[26:27] /*v[282:283]*/, v[130:131] op_sel_hi:[1,0,1]
	s_delay_alu instid0(VALU_DEP_1) | instskip(SKIP_3) | instid1(VALU_DEP_2)
	v_mov_b32_e32 v133, v131
	s_wait_loadcnt_dscnt 0x0
	v_pk_mul_f32 v[130:131], v[140:141], v[28:29] /*v[284:285]*/ op_sel:[1,1] op_sel_hi:[0,1]
	s_set_vgpr_msb 0                        ;  msbs: dst=0 src0=0 src1=0 src2=0
	v_pk_add_f32 v[128:129], v[128:129], v[132:133]
	s_set_vgpr_msb 4                        ;  msbs: dst=0 src0=0 src1=1 src2=0
	s_delay_alu instid0(VALU_DEP_2) | instskip(SKIP_1) | instid1(VALU_DEP_1)
	v_pk_fma_f32 v[132:133], v[140:141], v[28:29] /*v[284:285]*/, v[130:131] neg_lo:[0,0,1] neg_hi:[0,0,1]
	v_pk_fma_f32 v[130:131], v[140:141], v[28:29] /*v[284:285]*/, v[130:131] op_sel_hi:[1,0,1]
	v_dual_mov_b32 v130, v143 :: v_dual_mov_b32 v133, v131
	v_mov_b32_e32 v131, v142
	s_set_vgpr_msb 0                        ;  msbs: dst=0 src0=0 src1=0 src2=0
	s_delay_alu instid0(VALU_DEP_2) | instskip(SKIP_3) | instid1(VALU_DEP_1)
	v_pk_add_f32 v[128:129], v[128:129], v[132:133]
	s_set_vgpr_msb 1                        ;  msbs: dst=0 src0=1 src1=0 src2=0
	v_mov_b32_e32 v132, v31 /*v287*/
	s_set_vgpr_msb 0                        ;  msbs: dst=0 src0=0 src1=0 src2=0
	v_pk_mul_f32 v[130:131], v[130:131], v[132:133] op_sel_hi:[1,0]
	s_set_vgpr_msb 4                        ;  msbs: dst=0 src0=0 src1=1 src2=0
	s_delay_alu instid0(VALU_DEP_1) | instskip(SKIP_1) | instid1(VALU_DEP_1)
	v_pk_fma_f32 v[132:133], v[142:143], v[30:31] /*v[286:287]*/, v[130:131] neg_lo:[0,0,1] neg_hi:[0,0,1]
	v_pk_fma_f32 v[130:131], v[142:143], v[30:31] /*v[286:287]*/, v[130:131] op_sel_hi:[1,0,1]
	v_mov_b32_e32 v133, v131
	scratch_load_b64 v[130:131], off, off offset:144
	s_set_vgpr_msb 0                        ;  msbs: dst=0 src0=0 src1=0 src2=0
	v_pk_add_f32 v[128:129], v[128:129], v[132:133]
	s_wait_loadcnt 0x0
	s_delay_alu instid0(VALU_DEP_1)
	v_pk_add_f32 v[128:129], v[130:131], v[128:129] neg_lo:[0,1] neg_hi:[0,1]
	scratch_store_b64 off, v[128:129], off offset:144
	s_wait_xcnt 0x0
	v_cmpx_lt_u32_e32 17, v0
	s_cbranch_execz .LBB62_357
; %bb.356:
	scratch_load_b64 v[128:129], off, off offset:136
	v_mov_b64_e32 v[130:131], 0
	scratch_store_b64 off, v[130:131], off offset:136
	s_wait_loadcnt 0x0
	ds_store_b64 v1, v[128:129]
.LBB62_357:
	s_wait_xcnt 0x0
	s_or_b32 exec_lo, exec_lo, s0
	v_mov_b32_e32 v5, 0
	s_wait_storecnt_dscnt 0x0
	s_barrier_signal -1
	s_barrier_wait -1
	ds_load_b128 v[128:131], v5 offset:656
	ds_load_b128 v[132:135], v5 offset:672
	;; [unrolled: 1-line block ×4, first 2 shown]
	s_clause 0x13
	scratch_load_b128 v[144:147], off, off offset:144
	scratch_load_b128 v[148:151], off, off offset:160
	;; [unrolled: 1-line block ×16, first 2 shown]
	s_set_vgpr_msb 64                       ;  msbs: dst=1 src0=0 src1=0 src2=0
	scratch_load_b128 v[4:7] /*v[260:263]*/, off, off offset:400
	scratch_load_b128 v[12:15] /*v[268:271]*/, off, off offset:416
	;; [unrolled: 1-line block ×3, first 2 shown]
	s_mov_b32 s0, exec_lo
	s_wait_loadcnt_dscnt 0x1203
	s_set_vgpr_msb 0                        ;  msbs: dst=0 src0=0 src1=0 src2=0
	v_mul_f32_e32 v9, v128, v145
	ds_load_b128 v[160:163], v5 offset:720
	ds_load_b128 v[168:171], v5 offset:736
	;; [unrolled: 1-line block ×4, first 2 shown]
	v_dual_fmac_f32 v9, v129, v144 :: v_dual_mul_f32 v11, v130, v147
	ds_load_b128 v[192:195], v5 offset:784
	ds_load_b128 v[200:203], v5 offset:800
	;; [unrolled: 1-line block ×4, first 2 shown]
	v_dual_add_f32 v9, 0, v9 :: v_dual_fmac_f32 v11, v131, v146
	ds_load_b128 v[224:227], v5 offset:848
	ds_load_b128 v[232:235], v5 offset:864
	;; [unrolled: 1-line block ×4, first 2 shown]
	s_wait_loadcnt_dscnt 0x110e
	v_dual_add_f32 v9, v9, v11 :: v_dual_mul_f32 v11, v132, v149
	s_set_vgpr_msb 64                       ;  msbs: dst=1 src0=0 src1=0 src2=0
	ds_load_b128 v[0:3] /*v[256:259]*/, v5 offset:912
	ds_load_b128 v[8:11] /*v[264:267]*/, v5 offset:928
	;; [unrolled: 1-line block ×3, first 2 shown]
	s_clause 0x3
	scratch_load_b128 v[24:27] /*v[280:283]*/, off, off offset:448
	scratch_load_b128 v[28:31] /*v[284:287]*/, off, off offset:464
	;; [unrolled: 1-line block ×3, first 2 shown]
	scratch_load_b64 v[42:43] /*v[298:299]*/, off, off offset:496
	s_set_vgpr_msb 0                        ;  msbs: dst=0 src0=0 src1=0 src2=0
	v_fmac_f32_e32 v11, v133, v148
	s_delay_alu instid0(VALU_DEP_1) | instskip(SKIP_1) | instid1(VALU_DEP_1)
	v_add_f32_e32 v9, v9, v11
	v_mul_f32_e32 v11, v134, v151
	v_fmac_f32_e32 v11, v135, v150
	s_wait_loadcnt_dscnt 0x1410
	s_delay_alu instid0(VALU_DEP_1)
	v_dual_add_f32 v9, v9, v11 :: v_dual_mul_f32 v11, v136, v153
	s_wait_loadcnt_dscnt 0x400
	s_set_vgpr_msb 0x45                     ;  msbs: dst=1 src0=1 src1=1 src2=0
	v_dual_mul_f32 v39 /*v295*/, v10 /*v266*/, v15 /*v271*/ :: v_dual_mul_f32 v41 /*v297*/, v16 /*v272*/, v21 /*v277*/
	s_set_vgpr_msb 0                        ;  msbs: dst=0 src0=0 src1=0 src2=0
	v_fmac_f32_e32 v11, v137, v152
	s_set_vgpr_msb 0x45                     ;  msbs: dst=1 src0=1 src1=1 src2=0
	s_delay_alu instid0(VALU_DEP_2) | instskip(SKIP_1) | instid1(VALU_DEP_2)
	v_dual_fmac_f32 v39 /*v295*/, v11 /*v267*/, v14 /*v270*/ :: v_dual_fmac_f32 v41 /*v297*/, v17 /*v273*/, v20 /*v276*/
	s_set_vgpr_msb 0                        ;  msbs: dst=0 src0=0 src1=0 src2=0
	v_add_f32_e32 v9, v9, v11
	v_mul_f32_e32 v11, v138, v155
	s_delay_alu instid0(VALU_DEP_1) | instskip(NEXT) | instid1(VALU_DEP_1)
	v_fmac_f32_e32 v11, v139, v154
	v_dual_add_f32 v9, v9, v11 :: v_dual_mul_f32 v11, v140, v157
	s_delay_alu instid0(VALU_DEP_1) | instskip(NEXT) | instid1(VALU_DEP_1)
	v_fmac_f32_e32 v11, v141, v156
	v_add_f32_e32 v9, v9, v11
	v_mul_f32_e32 v11, v142, v159
	s_delay_alu instid0(VALU_DEP_1) | instskip(NEXT) | instid1(VALU_DEP_1)
	v_fmac_f32_e32 v11, v143, v158
	v_dual_add_f32 v9, v9, v11 :: v_dual_mul_f32 v11, v160, v165
	s_delay_alu instid0(VALU_DEP_1) | instskip(NEXT) | instid1(VALU_DEP_1)
	v_fmac_f32_e32 v11, v161, v164
	;; [unrolled: 7-line block ×13, first 2 shown]
	v_add_f32_e32 v9, v9, v11
	v_mul_f32_e32 v11, v250, v255
	s_delay_alu instid0(VALU_DEP_1) | instskip(NEXT) | instid1(VALU_DEP_1)
	v_fmac_f32_e32 v11, v251, v254
	v_add_f32_e32 v9, v9, v11
	s_set_vgpr_msb 5                        ;  msbs: dst=0 src0=1 src1=1 src2=0
	v_mul_f32_e32 v11, v0 /*v256*/, v5 /*v261*/
	s_delay_alu instid0(VALU_DEP_1) | instskip(SKIP_1) | instid1(VALU_DEP_1)
	v_fmac_f32_e32 v11, v1 /*v257*/, v4 /*v260*/
	s_set_vgpr_msb 0                        ;  msbs: dst=0 src0=0 src1=0 src2=0
	v_add_f32_e32 v9, v9, v11
	s_set_vgpr_msb 5                        ;  msbs: dst=0 src0=1 src1=1 src2=0
	v_mul_f32_e32 v11, v2 /*v258*/, v7 /*v263*/
	s_delay_alu instid0(VALU_DEP_1) | instskip(SKIP_1) | instid1(VALU_DEP_1)
	v_fmac_f32_e32 v11, v3 /*v259*/, v6 /*v262*/
	s_set_vgpr_msb 0                        ;  msbs: dst=0 src0=0 src1=0 src2=0
	v_add_f32_e32 v9, v9, v11
	s_set_vgpr_msb 5                        ;  msbs: dst=0 src0=1 src1=1 src2=0
	v_mul_f32_e32 v11, v8 /*v264*/, v13 /*v269*/
	s_delay_alu instid0(VALU_DEP_1) | instskip(SKIP_1) | instid1(VALU_DEP_1)
	v_fmac_f32_e32 v11, v9 /*v265*/, v12 /*v268*/
	s_set_vgpr_msb 64                       ;  msbs: dst=1 src0=0 src1=0 src2=0
	v_add_f32_e32 v37 /*v293*/, v9, v11
	s_set_vgpr_msb 0                        ;  msbs: dst=0 src0=0 src1=0 src2=0
	v_dual_mul_f32 v9, v129, v145 :: v_dual_mul_f32 v11, v131, v147
	s_set_vgpr_msb 1                        ;  msbs: dst=0 src0=1 src1=0 src2=0
	v_mov_b32_e32 v145, v18 /*v274*/
	s_set_vgpr_msb 0                        ;  msbs: dst=0 src0=0 src1=0 src2=0
	s_delay_alu instid0(VALU_DEP_2) | instskip(SKIP_2) | instid1(VALU_DEP_2)
	v_dual_fma_f32 v9, v128, v144, -v9 :: v_dual_fma_f32 v11, v130, v146, -v11
	s_set_vgpr_msb 1                        ;  msbs: dst=0 src0=1 src1=0 src2=0
	v_dual_mov_b32 v144, v19 /*v275*/ :: v_dual_mov_b32 v146, v23 /*v279*/
	v_add_f32_e32 v9, 0, v9
	s_set_vgpr_msb 0                        ;  msbs: dst=0 src0=0 src1=0 src2=0
	s_delay_alu instid0(VALU_DEP_2) | instskip(NEXT) | instid1(VALU_DEP_2)
	v_pk_mul_f32 v[144:145], v[144:145], v[146:147] op_sel_hi:[1,0]
	v_add_f32_e32 v9, v9, v11
	v_mul_f32_e32 v11, v133, v149
	s_set_vgpr_msb 5                        ;  msbs: dst=0 src0=1 src1=1 src2=0
	s_delay_alu instid0(VALU_DEP_3) | instskip(SKIP_2) | instid1(VALU_DEP_1)
	v_pk_fma_f32 v[146:147], v[18:19] /*v[274:275]*/, v[22:23] /*v[278:279]*/, v[144:145] neg_lo:[0,0,1] neg_hi:[0,0,1]
	v_pk_fma_f32 v[144:145], v[18:19] /*v[274:275]*/, v[22:23] /*v[278:279]*/, v[144:145] op_sel_hi:[1,0,1]
	s_set_vgpr_msb 0                        ;  msbs: dst=0 src0=0 src1=0 src2=0
	v_dual_fma_f32 v11, v132, v148, -v11 :: v_dual_mov_b32 v147, v145
	s_delay_alu instid0(VALU_DEP_1) | instskip(SKIP_1) | instid1(VALU_DEP_1)
	v_add_f32_e32 v9, v9, v11
	v_mul_f32_e32 v11, v135, v151
	v_fma_f32 v11, v134, v150, -v11
	s_delay_alu instid0(VALU_DEP_1) | instskip(SKIP_1) | instid1(VALU_DEP_1)
	v_add_f32_e32 v9, v9, v11
	v_mul_f32_e32 v11, v137, v153
	v_fma_f32 v11, v136, v152, -v11
	;; [unrolled: 4-line block ×4, first 2 shown]
	ds_load_b128 v[128:131], v5 offset:960
	ds_load_b128 v[132:135], v5 offset:976
	;; [unrolled: 1-line block ×3, first 2 shown]
	ds_load_b64 v[140:141], v5 offset:1008
	v_add_f32_e32 v9, v9, v11
	v_mul_f32_e32 v11, v143, v159
	s_delay_alu instid0(VALU_DEP_1) | instskip(NEXT) | instid1(VALU_DEP_1)
	v_fma_f32 v11, v142, v158, -v11
	v_add_f32_e32 v9, v9, v11
	v_mul_f32_e32 v11, v161, v165
	s_wait_loadcnt_dscnt 0x303
	s_set_vgpr_msb 4                        ;  msbs: dst=0 src0=0 src1=1 src2=0
	v_pk_mul_f32 v[144:145], v[128:129], v[24:25] /*v[280:281]*/ op_sel:[1,1] op_sel_hi:[0,1]
	s_set_vgpr_msb 0                        ;  msbs: dst=0 src0=0 src1=0 src2=0
	v_fma_f32 v11, v160, v164, -v11
	s_delay_alu instid0(VALU_DEP_1) | instskip(SKIP_1) | instid1(VALU_DEP_1)
	v_add_f32_e32 v9, v9, v11
	v_mul_f32_e32 v11, v163, v167
	v_fma_f32 v11, v162, v166, -v11
	s_delay_alu instid0(VALU_DEP_1) | instskip(SKIP_1) | instid1(VALU_DEP_1)
	v_add_f32_e32 v9, v9, v11
	v_mul_f32_e32 v11, v169, v173
	v_fma_f32 v11, v168, v172, -v11
	s_delay_alu instid0(VALU_DEP_1) | instskip(SKIP_1) | instid1(VALU_DEP_1)
	v_add_f32_e32 v9, v9, v11
	v_mul_f32_e32 v11, v171, v175
	v_fma_f32 v11, v170, v174, -v11
	s_delay_alu instid0(VALU_DEP_1) | instskip(SKIP_1) | instid1(VALU_DEP_1)
	v_add_f32_e32 v9, v9, v11
	v_mul_f32_e32 v11, v177, v181
	v_fma_f32 v11, v176, v180, -v11
	s_delay_alu instid0(VALU_DEP_1) | instskip(SKIP_1) | instid1(VALU_DEP_1)
	v_add_f32_e32 v9, v9, v11
	v_mul_f32_e32 v11, v179, v183
	v_fma_f32 v11, v178, v182, -v11
	s_delay_alu instid0(VALU_DEP_1) | instskip(SKIP_1) | instid1(VALU_DEP_1)
	v_add_f32_e32 v9, v9, v11
	v_mul_f32_e32 v11, v185, v189
	v_fma_f32 v11, v184, v188, -v11
	s_delay_alu instid0(VALU_DEP_1) | instskip(SKIP_1) | instid1(VALU_DEP_1)
	v_add_f32_e32 v9, v9, v11
	v_mul_f32_e32 v11, v187, v191
	v_fma_f32 v11, v186, v190, -v11
	s_delay_alu instid0(VALU_DEP_1) | instskip(SKIP_1) | instid1(VALU_DEP_1)
	v_add_f32_e32 v9, v9, v11
	v_mul_f32_e32 v11, v193, v197
	v_fma_f32 v11, v192, v196, -v11
	s_delay_alu instid0(VALU_DEP_1) | instskip(SKIP_1) | instid1(VALU_DEP_1)
	v_add_f32_e32 v9, v9, v11
	v_mul_f32_e32 v11, v195, v199
	v_fma_f32 v11, v194, v198, -v11
	s_delay_alu instid0(VALU_DEP_1) | instskip(SKIP_1) | instid1(VALU_DEP_1)
	v_add_f32_e32 v9, v9, v11
	v_mul_f32_e32 v11, v201, v205
	v_fma_f32 v11, v200, v204, -v11
	s_delay_alu instid0(VALU_DEP_1) | instskip(SKIP_1) | instid1(VALU_DEP_1)
	v_add_f32_e32 v9, v9, v11
	v_mul_f32_e32 v11, v203, v207
	v_fma_f32 v11, v202, v206, -v11
	s_delay_alu instid0(VALU_DEP_1) | instskip(SKIP_1) | instid1(VALU_DEP_1)
	v_add_f32_e32 v9, v9, v11
	v_mul_f32_e32 v11, v209, v213
	v_fma_f32 v11, v208, v212, -v11
	s_delay_alu instid0(VALU_DEP_1) | instskip(SKIP_1) | instid1(VALU_DEP_1)
	v_add_f32_e32 v9, v9, v11
	v_mul_f32_e32 v11, v211, v215
	v_fma_f32 v11, v210, v214, -v11
	s_delay_alu instid0(VALU_DEP_1) | instskip(SKIP_1) | instid1(VALU_DEP_1)
	v_add_f32_e32 v9, v9, v11
	v_mul_f32_e32 v11, v217, v221
	v_fma_f32 v11, v216, v220, -v11
	s_delay_alu instid0(VALU_DEP_1) | instskip(SKIP_1) | instid1(VALU_DEP_1)
	v_add_f32_e32 v9, v9, v11
	v_mul_f32_e32 v11, v219, v223
	v_fma_f32 v11, v218, v222, -v11
	s_delay_alu instid0(VALU_DEP_1) | instskip(SKIP_1) | instid1(VALU_DEP_1)
	v_add_f32_e32 v9, v9, v11
	v_mul_f32_e32 v11, v225, v229
	v_fma_f32 v11, v224, v228, -v11
	s_delay_alu instid0(VALU_DEP_1) | instskip(SKIP_1) | instid1(VALU_DEP_1)
	v_add_f32_e32 v9, v9, v11
	v_mul_f32_e32 v11, v227, v231
	v_fma_f32 v11, v226, v230, -v11
	s_delay_alu instid0(VALU_DEP_1) | instskip(SKIP_1) | instid1(VALU_DEP_1)
	v_add_f32_e32 v9, v9, v11
	v_mul_f32_e32 v11, v233, v237
	v_fma_f32 v11, v232, v236, -v11
	s_delay_alu instid0(VALU_DEP_1) | instskip(SKIP_1) | instid1(VALU_DEP_1)
	v_add_f32_e32 v9, v9, v11
	v_mul_f32_e32 v11, v235, v239
	v_fma_f32 v11, v234, v238, -v11
	s_delay_alu instid0(VALU_DEP_1) | instskip(SKIP_1) | instid1(VALU_DEP_1)
	v_add_f32_e32 v9, v9, v11
	v_mul_f32_e32 v11, v241, v245
	v_fma_f32 v11, v240, v244, -v11
	s_delay_alu instid0(VALU_DEP_1) | instskip(SKIP_1) | instid1(VALU_DEP_1)
	v_add_f32_e32 v9, v9, v11
	v_mul_f32_e32 v11, v243, v247
	v_fma_f32 v11, v242, v246, -v11
	s_delay_alu instid0(VALU_DEP_1) | instskip(SKIP_1) | instid1(VALU_DEP_1)
	v_add_f32_e32 v9, v9, v11
	v_mul_f32_e32 v11, v249, v253
	v_fma_f32 v11, v248, v252, -v11
	s_delay_alu instid0(VALU_DEP_1) | instskip(SKIP_1) | instid1(VALU_DEP_1)
	v_add_f32_e32 v9, v9, v11
	v_mul_f32_e32 v11, v251, v255
	v_fma_f32 v11, v250, v254, -v11
	s_delay_alu instid0(VALU_DEP_1) | instskip(SKIP_2) | instid1(VALU_DEP_1)
	v_add_f32_e32 v9, v9, v11
	s_set_vgpr_msb 5                        ;  msbs: dst=0 src0=1 src1=1 src2=0
	v_mul_f32_e32 v11, v1 /*v257*/, v5 /*v261*/
	v_fma_f32 v11, v0 /*v256*/, v4 /*v260*/, -v11
	s_set_vgpr_msb 0                        ;  msbs: dst=0 src0=0 src1=0 src2=0
	s_delay_alu instid0(VALU_DEP_1) | instskip(SKIP_2) | instid1(VALU_DEP_1)
	v_add_f32_e32 v9, v9, v11
	s_set_vgpr_msb 5                        ;  msbs: dst=0 src0=1 src1=1 src2=0
	v_mul_f32_e32 v11, v3 /*v259*/, v7 /*v263*/
	v_fma_f32 v11, v2 /*v258*/, v6 /*v262*/, -v11
	s_set_vgpr_msb 0                        ;  msbs: dst=0 src0=0 src1=0 src2=0
	s_delay_alu instid0(VALU_DEP_1) | instskip(SKIP_2) | instid1(VALU_DEP_1)
	v_add_f32_e32 v9, v9, v11
	s_set_vgpr_msb 5                        ;  msbs: dst=0 src0=1 src1=1 src2=0
	v_mul_f32_e32 v11, v9 /*v265*/, v13 /*v269*/
	v_fma_f32 v11, v8 /*v264*/, v12 /*v268*/, -v11
	s_set_vgpr_msb 64                       ;  msbs: dst=1 src0=0 src1=0 src2=0
	s_delay_alu instid0(VALU_DEP_1) | instskip(SKIP_3) | instid1(VALU_DEP_1)
	v_add_f32_e32 v36 /*v292*/, v9, v11
	s_set_vgpr_msb 5                        ;  msbs: dst=0 src0=1 src1=1 src2=0
	v_mul_f32_e32 v9, v11 /*v267*/, v15 /*v271*/
	s_set_vgpr_msb 0x45                     ;  msbs: dst=1 src0=1 src1=1 src2=0
	v_fma_f32 v38 /*v294*/, v10 /*v266*/, v14 /*v270*/, -v9
	s_set_vgpr_msb 5                        ;  msbs: dst=0 src0=1 src1=1 src2=0
	v_mul_f32_e32 v9, v17 /*v273*/, v21 /*v277*/
	s_set_vgpr_msb 0x45                     ;  msbs: dst=1 src0=1 src1=1 src2=0
	s_delay_alu instid0(VALU_DEP_1) | instskip(SKIP_3) | instid1(VALU_DEP_1)
	v_fma_f32 v40 /*v296*/, v16 /*v272*/, v20 /*v276*/, -v9
	s_set_vgpr_msb 5                        ;  msbs: dst=0 src0=1 src1=1 src2=0
	v_pk_add_f32 v[142:143], v[36:37] /*v[292:293]*/, v[38:39] /*v[294:295]*/
	s_set_vgpr_msb 4                        ;  msbs: dst=0 src0=0 src1=1 src2=0
	v_pk_add_f32 v[142:143], v[142:143], v[40:41] /*v[296:297]*/
	s_set_vgpr_msb 0                        ;  msbs: dst=0 src0=0 src1=0 src2=0
	s_delay_alu instid0(VALU_DEP_1)
	v_pk_add_f32 v[142:143], v[142:143], v[146:147]
	s_set_vgpr_msb 4                        ;  msbs: dst=0 src0=0 src1=1 src2=0
	v_pk_fma_f32 v[146:147], v[128:129], v[24:25] /*v[280:281]*/, v[144:145] neg_lo:[0,0,1] neg_hi:[0,0,1]
	v_pk_fma_f32 v[128:129], v[128:129], v[24:25] /*v[280:281]*/, v[144:145] op_sel_hi:[1,0,1]
	s_set_vgpr_msb 1                        ;  msbs: dst=0 src0=1 src1=0 src2=0
	v_mov_b32_e32 v144, v27 /*v283*/
	s_set_vgpr_msb 0                        ;  msbs: dst=0 src0=0 src1=0 src2=0
	s_delay_alu instid0(VALU_DEP_2) | instskip(NEXT) | instid1(VALU_DEP_1)
	v_mov_b32_e32 v147, v129
	v_pk_add_f32 v[128:129], v[142:143], v[146:147]
	v_dual_mov_b32 v142, v131 :: v_dual_mov_b32 v143, v130
	s_delay_alu instid0(VALU_DEP_1) | instskip(SKIP_1) | instid1(VALU_DEP_1)
	v_pk_mul_f32 v[142:143], v[142:143], v[144:145] op_sel_hi:[1,0]
	s_set_vgpr_msb 4                        ;  msbs: dst=0 src0=0 src1=1 src2=0
	v_pk_fma_f32 v[144:145], v[130:131], v[26:27] /*v[282:283]*/, v[142:143] neg_lo:[0,0,1] neg_hi:[0,0,1]
	v_pk_fma_f32 v[130:131], v[130:131], v[26:27] /*v[282:283]*/, v[142:143] op_sel_hi:[1,0,1]
	s_delay_alu instid0(VALU_DEP_1) | instskip(SKIP_3) | instid1(VALU_DEP_2)
	v_mov_b32_e32 v145, v131
	s_wait_loadcnt_dscnt 0x202
	v_pk_mul_f32 v[130:131], v[132:133], v[28:29] /*v[284:285]*/ op_sel:[1,1] op_sel_hi:[0,1]
	s_set_vgpr_msb 0                        ;  msbs: dst=0 src0=0 src1=0 src2=0
	v_pk_add_f32 v[128:129], v[128:129], v[144:145]
	s_set_vgpr_msb 4                        ;  msbs: dst=0 src0=0 src1=1 src2=0
	s_delay_alu instid0(VALU_DEP_2)
	v_pk_fma_f32 v[142:143], v[132:133], v[28:29] /*v[284:285]*/, v[130:131] neg_lo:[0,0,1] neg_hi:[0,0,1]
	v_pk_fma_f32 v[130:131], v[132:133], v[28:29] /*v[284:285]*/, v[130:131] op_sel_hi:[1,0,1]
	v_mov_b32_e32 v130, v135
	s_set_vgpr_msb 1                        ;  msbs: dst=0 src0=1 src1=0 src2=0
	v_mov_b32_e32 v132, v31 /*v287*/
	s_set_vgpr_msb 0                        ;  msbs: dst=0 src0=0 src1=0 src2=0
	v_dual_mov_b32 v143, v131 :: v_dual_mov_b32 v131, v134
	s_delay_alu instid0(VALU_DEP_1) | instskip(NEXT) | instid1(VALU_DEP_2)
	v_pk_add_f32 v[128:129], v[128:129], v[142:143]
	v_pk_mul_f32 v[130:131], v[130:131], v[132:133] op_sel_hi:[1,0]
	s_set_vgpr_msb 4                        ;  msbs: dst=0 src0=0 src1=1 src2=0
	s_delay_alu instid0(VALU_DEP_1) | instskip(SKIP_1) | instid1(VALU_DEP_1)
	v_pk_fma_f32 v[132:133], v[134:135], v[30:31] /*v[286:287]*/, v[130:131] neg_lo:[0,0,1] neg_hi:[0,0,1]
	v_pk_fma_f32 v[130:131], v[134:135], v[30:31] /*v[286:287]*/, v[130:131] op_sel_hi:[1,0,1]
	v_mov_b32_e32 v133, v131
	s_wait_loadcnt_dscnt 0x101
	v_pk_mul_f32 v[130:131], v[136:137], v[32:33] /*v[288:289]*/ op_sel:[1,1] op_sel_hi:[0,1]
	s_set_vgpr_msb 0                        ;  msbs: dst=0 src0=0 src1=0 src2=0
	s_delay_alu instid0(VALU_DEP_2) | instskip(SKIP_1) | instid1(VALU_DEP_2)
	v_pk_add_f32 v[128:129], v[128:129], v[132:133]
	s_set_vgpr_msb 4                        ;  msbs: dst=0 src0=0 src1=1 src2=0
	v_pk_fma_f32 v[132:133], v[136:137], v[32:33] /*v[288:289]*/, v[130:131] neg_lo:[0,0,1] neg_hi:[0,0,1]
	v_pk_fma_f32 v[130:131], v[136:137], v[32:33] /*v[288:289]*/, v[130:131] op_sel_hi:[1,0,1]
	s_delay_alu instid0(VALU_DEP_1) | instskip(SKIP_2) | instid1(VALU_DEP_2)
	v_dual_mov_b32 v130, v139 :: v_dual_mov_b32 v133, v131
	v_mov_b32_e32 v131, v138
	s_set_vgpr_msb 0                        ;  msbs: dst=0 src0=0 src1=0 src2=0
	v_pk_add_f32 v[128:129], v[128:129], v[132:133]
	s_set_vgpr_msb 1                        ;  msbs: dst=0 src0=1 src1=0 src2=0
	v_mov_b32_e32 v132, v35 /*v291*/
	s_set_vgpr_msb 0                        ;  msbs: dst=0 src0=0 src1=0 src2=0
	s_delay_alu instid0(VALU_DEP_1) | instskip(SKIP_1) | instid1(VALU_DEP_1)
	v_pk_mul_f32 v[130:131], v[130:131], v[132:133] op_sel_hi:[1,0]
	s_set_vgpr_msb 4                        ;  msbs: dst=0 src0=0 src1=1 src2=0
	v_pk_fma_f32 v[132:133], v[138:139], v[34:35] /*v[290:291]*/, v[130:131] neg_lo:[0,0,1] neg_hi:[0,0,1]
	v_pk_fma_f32 v[130:131], v[138:139], v[34:35] /*v[290:291]*/, v[130:131] op_sel_hi:[1,0,1]
	s_delay_alu instid0(VALU_DEP_1) | instskip(SKIP_3) | instid1(VALU_DEP_2)
	v_mov_b32_e32 v133, v131
	s_wait_loadcnt_dscnt 0x0
	v_pk_mul_f32 v[130:131], v[140:141], v[42:43] /*v[298:299]*/ op_sel:[1,1] op_sel_hi:[0,1]
	s_set_vgpr_msb 0                        ;  msbs: dst=0 src0=0 src1=0 src2=0
	v_pk_add_f32 v[128:129], v[128:129], v[132:133]
	s_set_vgpr_msb 4                        ;  msbs: dst=0 src0=0 src1=1 src2=0
	s_delay_alu instid0(VALU_DEP_2) | instskip(SKIP_1) | instid1(VALU_DEP_1)
	v_pk_fma_f32 v[132:133], v[140:141], v[42:43] /*v[298:299]*/, v[130:131] neg_lo:[0,0,1] neg_hi:[0,0,1]
	v_pk_fma_f32 v[130:131], v[140:141], v[42:43] /*v[298:299]*/, v[130:131] op_sel_hi:[1,0,1]
	v_mov_b32_e32 v133, v131
	scratch_load_b64 v[130:131], off, off offset:136
	s_set_vgpr_msb 0                        ;  msbs: dst=0 src0=0 src1=0 src2=0
	v_pk_add_f32 v[128:129], v[128:129], v[132:133]
	s_wait_loadcnt 0x0
	s_delay_alu instid0(VALU_DEP_1)
	v_pk_add_f32 v[128:129], v[130:131], v[128:129] neg_lo:[0,1] neg_hi:[0,1]
	scratch_store_b64 off, v[128:129], off offset:136
	s_wait_xcnt 0x0
	v_cmpx_lt_u32_e32 16, v0
	s_cbranch_execz .LBB62_359
; %bb.358:
	scratch_load_b64 v[128:129], off, off offset:128
	v_mov_b64_e32 v[130:131], 0
	scratch_store_b64 off, v[130:131], off offset:128
	s_wait_loadcnt 0x0
	ds_store_b64 v1, v[128:129]
.LBB62_359:
	s_wait_xcnt 0x0
	s_or_b32 exec_lo, exec_lo, s0
	s_wait_storecnt_dscnt 0x0
	s_barrier_signal -1
	s_barrier_wait -1
	s_clause 0xf
	scratch_load_b128 v[132:135], off, off offset:136
	scratch_load_b128 v[140:143], off, off offset:152
	;; [unrolled: 1-line block ×16, first 2 shown]
	ds_load_2addr_b64 v[128:131], v5 offset0:81 offset1:82
	ds_load_2addr_b64 v[136:139], v5 offset0:83 offset1:84
	s_set_vgpr_msb 64                       ;  msbs: dst=1 src0=0 src1=0 src2=0
	s_clause 0x1
	scratch_load_b128 v[4:7] /*v[260:263]*/, off, off offset:392
	scratch_load_b128 v[12:15] /*v[268:271]*/, off, off offset:408
	s_set_vgpr_msb 0                        ;  msbs: dst=0 src0=0 src1=0 src2=0
	ds_load_2addr_b64 v[144:147], v5 offset0:85 offset1:86
	ds_load_2addr_b64 v[152:155], v5 offset0:87 offset1:88
	;; [unrolled: 1-line block ×14, first 2 shown]
	s_set_vgpr_msb 64                       ;  msbs: dst=1 src0=0 src1=0 src2=0
	ds_load_2addr_b64 v[0:3] /*v[256:259]*/, v5 offset0:113 offset1:114
	ds_load_2addr_b64 v[8:11] /*v[264:267]*/, v5 offset0:115 offset1:116
	;; [unrolled: 1-line block ×3, first 2 shown]
	s_clause 0x4
	scratch_load_b128 v[20:23] /*v[276:279]*/, off, off offset:424
	scratch_load_b128 v[24:27] /*v[280:283]*/, off, off offset:440
	;; [unrolled: 1-line block ×5, first 2 shown]
	s_mov_b32 s0, exec_lo
	s_wait_loadcnt_dscnt 0x1612
	s_set_vgpr_msb 0                        ;  msbs: dst=0 src0=0 src1=0 src2=0
	v_dual_mul_f32 v9, v128, v133 :: v_dual_mul_f32 v11, v130, v135
	s_delay_alu instid0(VALU_DEP_1) | instskip(NEXT) | instid1(VALU_DEP_1)
	v_dual_fmac_f32 v9, v129, v132 :: v_dual_fmac_f32 v11, v131, v134
	v_add_f32_e32 v9, 0, v9
	s_wait_loadcnt_dscnt 0x1511
	s_delay_alu instid0(VALU_DEP_1) | instskip(NEXT) | instid1(VALU_DEP_1)
	v_dual_add_f32 v9, v9, v11 :: v_dual_mul_f32 v11, v136, v141
	v_fmac_f32_e32 v11, v137, v140
	s_delay_alu instid0(VALU_DEP_1) | instskip(SKIP_1) | instid1(VALU_DEP_1)
	v_add_f32_e32 v9, v9, v11
	v_mul_f32_e32 v11, v138, v143
	v_fmac_f32_e32 v11, v139, v142
	s_wait_loadcnt_dscnt 0x1410
	s_delay_alu instid0(VALU_DEP_1)
	v_dual_add_f32 v9, v9, v11 :: v_dual_mul_f32 v11, v144, v149
	s_wait_loadcnt_dscnt 0x400
	s_set_vgpr_msb 0x45                     ;  msbs: dst=1 src0=1 src1=1 src2=0
	v_dual_mul_f32 v43 /*v299*/, v16 /*v272*/, v21 /*v277*/ :: v_dual_mul_f32 v45 /*v301*/, v18 /*v274*/, v23 /*v279*/
	s_set_vgpr_msb 0                        ;  msbs: dst=0 src0=0 src1=0 src2=0
	v_fmac_f32_e32 v11, v145, v148
	s_set_vgpr_msb 0x45                     ;  msbs: dst=1 src0=1 src1=1 src2=0
	s_delay_alu instid0(VALU_DEP_2) | instskip(SKIP_1) | instid1(VALU_DEP_2)
	v_dual_fmac_f32 v43 /*v299*/, v17 /*v273*/, v20 /*v276*/ :: v_dual_fmac_f32 v45 /*v301*/, v19 /*v275*/, v22 /*v278*/
	s_set_vgpr_msb 0                        ;  msbs: dst=0 src0=0 src1=0 src2=0
	v_add_f32_e32 v9, v9, v11
	v_mul_f32_e32 v11, v146, v151
	s_delay_alu instid0(VALU_DEP_1) | instskip(NEXT) | instid1(VALU_DEP_1)
	v_fmac_f32_e32 v11, v147, v150
	v_dual_add_f32 v9, v9, v11 :: v_dual_mul_f32 v11, v152, v157
	s_delay_alu instid0(VALU_DEP_1) | instskip(NEXT) | instid1(VALU_DEP_1)
	v_fmac_f32_e32 v11, v153, v156
	v_add_f32_e32 v9, v9, v11
	v_mul_f32_e32 v11, v154, v159
	s_delay_alu instid0(VALU_DEP_1) | instskip(NEXT) | instid1(VALU_DEP_1)
	v_fmac_f32_e32 v11, v155, v158
	v_dual_add_f32 v9, v9, v11 :: v_dual_mul_f32 v11, v160, v165
	s_delay_alu instid0(VALU_DEP_1) | instskip(NEXT) | instid1(VALU_DEP_1)
	v_fmac_f32_e32 v11, v161, v164
	;; [unrolled: 7-line block ×13, first 2 shown]
	v_add_f32_e32 v9, v9, v11
	v_mul_f32_e32 v11, v250, v255
	s_delay_alu instid0(VALU_DEP_1) | instskip(NEXT) | instid1(VALU_DEP_1)
	v_fmac_f32_e32 v11, v251, v254
	v_add_f32_e32 v9, v9, v11
	s_set_vgpr_msb 5                        ;  msbs: dst=0 src0=1 src1=1 src2=0
	v_mul_f32_e32 v11, v0 /*v256*/, v5 /*v261*/
	s_delay_alu instid0(VALU_DEP_1) | instskip(SKIP_1) | instid1(VALU_DEP_1)
	v_fmac_f32_e32 v11, v1 /*v257*/, v4 /*v260*/
	s_set_vgpr_msb 0                        ;  msbs: dst=0 src0=0 src1=0 src2=0
	v_add_f32_e32 v9, v9, v11
	s_set_vgpr_msb 5                        ;  msbs: dst=0 src0=1 src1=1 src2=0
	v_mul_f32_e32 v11, v2 /*v258*/, v7 /*v263*/
	s_delay_alu instid0(VALU_DEP_1) | instskip(SKIP_1) | instid1(VALU_DEP_1)
	v_fmac_f32_e32 v11, v3 /*v259*/, v6 /*v262*/
	s_set_vgpr_msb 0                        ;  msbs: dst=0 src0=0 src1=0 src2=0
	;; [unrolled: 6-line block ×3, first 2 shown]
	v_add_f32_e32 v9, v9, v11
	s_set_vgpr_msb 5                        ;  msbs: dst=0 src0=1 src1=1 src2=0
	v_mul_f32_e32 v11, v10 /*v266*/, v15 /*v271*/
	s_delay_alu instid0(VALU_DEP_1) | instskip(SKIP_1) | instid1(VALU_DEP_1)
	v_fmac_f32_e32 v11, v11 /*v267*/, v14 /*v270*/
	s_set_vgpr_msb 64                       ;  msbs: dst=1 src0=0 src1=0 src2=0
	v_add_f32_e32 v41 /*v297*/, v9, v11
	s_set_vgpr_msb 0                        ;  msbs: dst=0 src0=0 src1=0 src2=0
	v_dual_mul_f32 v9, v129, v133 :: v_dual_mul_f32 v11, v131, v135
	s_delay_alu instid0(VALU_DEP_1) | instskip(NEXT) | instid1(VALU_DEP_1)
	v_dual_fma_f32 v9, v128, v132, -v9 :: v_dual_fma_f32 v11, v130, v134, -v11
	v_add_f32_e32 v9, 0, v9
	s_delay_alu instid0(VALU_DEP_1) | instskip(SKIP_1) | instid1(VALU_DEP_1)
	v_add_f32_e32 v9, v9, v11
	v_mul_f32_e32 v11, v137, v141
	v_fma_f32 v11, v136, v140, -v11
	s_delay_alu instid0(VALU_DEP_1) | instskip(SKIP_1) | instid1(VALU_DEP_1)
	v_add_f32_e32 v9, v9, v11
	v_mul_f32_e32 v11, v139, v143
	v_fma_f32 v11, v138, v142, -v11
	ds_load_2addr_b64 v[128:131], v5 offset0:119 offset1:120
	ds_load_2addr_b64 v[132:135], v5 offset0:121 offset1:122
	;; [unrolled: 1-line block ×4, first 2 shown]
	v_add_f32_e32 v9, v9, v11
	v_mul_f32_e32 v11, v145, v149
	s_delay_alu instid0(VALU_DEP_1) | instskip(NEXT) | instid1(VALU_DEP_1)
	v_fma_f32 v11, v144, v148, -v11
	v_add_f32_e32 v9, v9, v11
	v_mul_f32_e32 v11, v147, v151
	s_delay_alu instid0(VALU_DEP_1)
	v_fma_f32 v11, v146, v150, -v11
	s_wait_loadcnt_dscnt 0x303
	s_set_vgpr_msb 4                        ;  msbs: dst=0 src0=0 src1=1 src2=0
	v_pk_mul_f32 v[146:147], v[128:129], v[24:25] /*v[280:281]*/ op_sel:[1,1] op_sel_hi:[0,1]
	s_set_vgpr_msb 0                        ;  msbs: dst=0 src0=0 src1=0 src2=0
	v_add_f32_e32 v9, v9, v11
	v_mul_f32_e32 v11, v153, v157
	s_set_vgpr_msb 4                        ;  msbs: dst=0 src0=0 src1=1 src2=0
	v_pk_fma_f32 v[148:149], v[128:129], v[24:25] /*v[280:281]*/, v[146:147] neg_lo:[0,0,1] neg_hi:[0,0,1]
	v_pk_fma_f32 v[128:129], v[128:129], v[24:25] /*v[280:281]*/, v[146:147] op_sel_hi:[1,0,1]
	s_set_vgpr_msb 1                        ;  msbs: dst=0 src0=1 src1=0 src2=0
	v_mov_b32_e32 v146, v27 /*v283*/
	s_set_vgpr_msb 0                        ;  msbs: dst=0 src0=0 src1=0 src2=0
	s_delay_alu instid0(VALU_DEP_2) | instskip(NEXT) | instid1(VALU_DEP_1)
	v_dual_fma_f32 v11, v152, v156, -v11 :: v_dual_mov_b32 v149, v129
	v_add_f32_e32 v9, v9, v11
	v_mul_f32_e32 v11, v155, v159
	s_delay_alu instid0(VALU_DEP_1) | instskip(NEXT) | instid1(VALU_DEP_1)
	v_fma_f32 v11, v154, v158, -v11
	v_add_f32_e32 v9, v9, v11
	v_mul_f32_e32 v11, v161, v165
	s_delay_alu instid0(VALU_DEP_1) | instskip(NEXT) | instid1(VALU_DEP_1)
	v_fma_f32 v11, v160, v164, -v11
	;; [unrolled: 4-line block ×25, first 2 shown]
	v_add_f32_e32 v9, v9, v11
	s_set_vgpr_msb 5                        ;  msbs: dst=0 src0=1 src1=1 src2=0
	v_mul_f32_e32 v11, v1 /*v257*/, v5 /*v261*/
	s_delay_alu instid0(VALU_DEP_1) | instskip(SKIP_1) | instid1(VALU_DEP_1)
	v_fma_f32 v11, v0 /*v256*/, v4 /*v260*/, -v11
	s_set_vgpr_msb 0                        ;  msbs: dst=0 src0=0 src1=0 src2=0
	v_add_f32_e32 v9, v9, v11
	s_set_vgpr_msb 5                        ;  msbs: dst=0 src0=1 src1=1 src2=0
	v_mul_f32_e32 v11, v3 /*v259*/, v7 /*v263*/
	s_delay_alu instid0(VALU_DEP_1) | instskip(SKIP_1) | instid1(VALU_DEP_1)
	v_fma_f32 v11, v2 /*v258*/, v6 /*v262*/, -v11
	s_set_vgpr_msb 0                        ;  msbs: dst=0 src0=0 src1=0 src2=0
	;; [unrolled: 6-line block ×3, first 2 shown]
	v_add_f32_e32 v9, v9, v11
	s_set_vgpr_msb 5                        ;  msbs: dst=0 src0=1 src1=1 src2=0
	v_mul_f32_e32 v11, v11 /*v267*/, v15 /*v271*/
	s_delay_alu instid0(VALU_DEP_1) | instskip(SKIP_1) | instid1(VALU_DEP_1)
	v_fma_f32 v11, v10 /*v266*/, v14 /*v270*/, -v11
	s_set_vgpr_msb 64                       ;  msbs: dst=1 src0=0 src1=0 src2=0
	v_add_f32_e32 v40 /*v296*/, v9, v11
	s_set_vgpr_msb 5                        ;  msbs: dst=0 src0=1 src1=1 src2=0
	v_mul_f32_e32 v9, v17 /*v273*/, v21 /*v277*/
	s_set_vgpr_msb 0x45                     ;  msbs: dst=1 src0=1 src1=1 src2=0
	s_delay_alu instid0(VALU_DEP_1) | instskip(SKIP_3) | instid1(VALU_DEP_1)
	v_fma_f32 v42 /*v298*/, v16 /*v272*/, v20 /*v276*/, -v9
	s_set_vgpr_msb 5                        ;  msbs: dst=0 src0=1 src1=1 src2=0
	v_mul_f32_e32 v9, v19 /*v275*/, v23 /*v279*/
	s_set_vgpr_msb 0x45                     ;  msbs: dst=1 src0=1 src1=1 src2=0
	v_fma_f32 v44 /*v300*/, v18 /*v274*/, v22 /*v278*/, -v9
	s_set_vgpr_msb 5                        ;  msbs: dst=0 src0=1 src1=1 src2=0
	v_pk_add_f32 v[144:145], v[40:41] /*v[296:297]*/, v[42:43] /*v[298:299]*/
	s_set_vgpr_msb 4                        ;  msbs: dst=0 src0=0 src1=1 src2=0
	s_delay_alu instid0(VALU_DEP_1) | instskip(SKIP_1) | instid1(VALU_DEP_1)
	v_pk_add_f32 v[144:145], v[144:145], v[44:45] /*v[300:301]*/
	s_set_vgpr_msb 0                        ;  msbs: dst=0 src0=0 src1=0 src2=0
	v_pk_add_f32 v[128:129], v[144:145], v[148:149]
	v_dual_mov_b32 v144, v131 :: v_dual_mov_b32 v145, v130
	s_delay_alu instid0(VALU_DEP_1) | instskip(SKIP_1) | instid1(VALU_DEP_1)
	v_pk_mul_f32 v[144:145], v[144:145], v[146:147] op_sel_hi:[1,0]
	s_set_vgpr_msb 4                        ;  msbs: dst=0 src0=0 src1=1 src2=0
	v_pk_fma_f32 v[146:147], v[130:131], v[26:27] /*v[282:283]*/, v[144:145] neg_lo:[0,0,1] neg_hi:[0,0,1]
	v_pk_fma_f32 v[130:131], v[130:131], v[26:27] /*v[282:283]*/, v[144:145] op_sel_hi:[1,0,1]
	s_delay_alu instid0(VALU_DEP_1) | instskip(SKIP_3) | instid1(VALU_DEP_2)
	v_mov_b32_e32 v147, v131
	s_wait_loadcnt_dscnt 0x202
	v_pk_mul_f32 v[130:131], v[132:133], v[28:29] /*v[284:285]*/ op_sel:[1,1] op_sel_hi:[0,1]
	s_set_vgpr_msb 0                        ;  msbs: dst=0 src0=0 src1=0 src2=0
	v_pk_add_f32 v[128:129], v[128:129], v[146:147]
	s_set_vgpr_msb 4                        ;  msbs: dst=0 src0=0 src1=1 src2=0
	s_delay_alu instid0(VALU_DEP_2)
	v_pk_fma_f32 v[144:145], v[132:133], v[28:29] /*v[284:285]*/, v[130:131] neg_lo:[0,0,1] neg_hi:[0,0,1]
	v_pk_fma_f32 v[130:131], v[132:133], v[28:29] /*v[284:285]*/, v[130:131] op_sel_hi:[1,0,1]
	v_mov_b32_e32 v130, v135
	s_set_vgpr_msb 1                        ;  msbs: dst=0 src0=1 src1=0 src2=0
	v_mov_b32_e32 v132, v31 /*v287*/
	s_set_vgpr_msb 0                        ;  msbs: dst=0 src0=0 src1=0 src2=0
	v_dual_mov_b32 v145, v131 :: v_dual_mov_b32 v131, v134
	s_delay_alu instid0(VALU_DEP_1) | instskip(NEXT) | instid1(VALU_DEP_2)
	v_pk_add_f32 v[128:129], v[128:129], v[144:145]
	v_pk_mul_f32 v[130:131], v[130:131], v[132:133] op_sel_hi:[1,0]
	s_set_vgpr_msb 4                        ;  msbs: dst=0 src0=0 src1=1 src2=0
	s_delay_alu instid0(VALU_DEP_1) | instskip(SKIP_1) | instid1(VALU_DEP_1)
	v_pk_fma_f32 v[132:133], v[134:135], v[30:31] /*v[286:287]*/, v[130:131] neg_lo:[0,0,1] neg_hi:[0,0,1]
	v_pk_fma_f32 v[130:131], v[134:135], v[30:31] /*v[286:287]*/, v[130:131] op_sel_hi:[1,0,1]
	v_mov_b32_e32 v133, v131
	s_wait_loadcnt_dscnt 0x101
	v_pk_mul_f32 v[130:131], v[136:137], v[32:33] /*v[288:289]*/ op_sel:[1,1] op_sel_hi:[0,1]
	s_set_vgpr_msb 0                        ;  msbs: dst=0 src0=0 src1=0 src2=0
	s_delay_alu instid0(VALU_DEP_2) | instskip(SKIP_1) | instid1(VALU_DEP_2)
	v_pk_add_f32 v[128:129], v[128:129], v[132:133]
	s_set_vgpr_msb 4                        ;  msbs: dst=0 src0=0 src1=1 src2=0
	v_pk_fma_f32 v[132:133], v[136:137], v[32:33] /*v[288:289]*/, v[130:131] neg_lo:[0,0,1] neg_hi:[0,0,1]
	v_pk_fma_f32 v[130:131], v[136:137], v[32:33] /*v[288:289]*/, v[130:131] op_sel_hi:[1,0,1]
	s_delay_alu instid0(VALU_DEP_1) | instskip(SKIP_2) | instid1(VALU_DEP_2)
	v_dual_mov_b32 v130, v139 :: v_dual_mov_b32 v133, v131
	v_mov_b32_e32 v131, v138
	s_set_vgpr_msb 0                        ;  msbs: dst=0 src0=0 src1=0 src2=0
	v_pk_add_f32 v[128:129], v[128:129], v[132:133]
	s_set_vgpr_msb 1                        ;  msbs: dst=0 src0=1 src1=0 src2=0
	v_mov_b32_e32 v132, v35 /*v291*/
	s_set_vgpr_msb 0                        ;  msbs: dst=0 src0=0 src1=0 src2=0
	s_delay_alu instid0(VALU_DEP_1) | instskip(SKIP_1) | instid1(VALU_DEP_1)
	v_pk_mul_f32 v[130:131], v[130:131], v[132:133] op_sel_hi:[1,0]
	s_set_vgpr_msb 4                        ;  msbs: dst=0 src0=0 src1=1 src2=0
	v_pk_fma_f32 v[132:133], v[138:139], v[34:35] /*v[290:291]*/, v[130:131] neg_lo:[0,0,1] neg_hi:[0,0,1]
	v_pk_fma_f32 v[130:131], v[138:139], v[34:35] /*v[290:291]*/, v[130:131] op_sel_hi:[1,0,1]
	s_delay_alu instid0(VALU_DEP_1) | instskip(SKIP_3) | instid1(VALU_DEP_2)
	v_mov_b32_e32 v133, v131
	s_wait_loadcnt_dscnt 0x0
	v_pk_mul_f32 v[130:131], v[140:141], v[36:37] /*v[292:293]*/ op_sel:[1,1] op_sel_hi:[0,1]
	s_set_vgpr_msb 0                        ;  msbs: dst=0 src0=0 src1=0 src2=0
	v_pk_add_f32 v[128:129], v[128:129], v[132:133]
	s_set_vgpr_msb 4                        ;  msbs: dst=0 src0=0 src1=1 src2=0
	s_delay_alu instid0(VALU_DEP_2) | instskip(SKIP_1) | instid1(VALU_DEP_1)
	v_pk_fma_f32 v[132:133], v[140:141], v[36:37] /*v[292:293]*/, v[130:131] neg_lo:[0,0,1] neg_hi:[0,0,1]
	v_pk_fma_f32 v[130:131], v[140:141], v[36:37] /*v[292:293]*/, v[130:131] op_sel_hi:[1,0,1]
	v_dual_mov_b32 v130, v143 :: v_dual_mov_b32 v133, v131
	v_mov_b32_e32 v131, v142
	s_set_vgpr_msb 0                        ;  msbs: dst=0 src0=0 src1=0 src2=0
	s_delay_alu instid0(VALU_DEP_2) | instskip(SKIP_3) | instid1(VALU_DEP_1)
	v_pk_add_f32 v[128:129], v[128:129], v[132:133]
	s_set_vgpr_msb 1                        ;  msbs: dst=0 src0=1 src1=0 src2=0
	v_mov_b32_e32 v132, v39 /*v295*/
	s_set_vgpr_msb 0                        ;  msbs: dst=0 src0=0 src1=0 src2=0
	v_pk_mul_f32 v[130:131], v[130:131], v[132:133] op_sel_hi:[1,0]
	s_set_vgpr_msb 4                        ;  msbs: dst=0 src0=0 src1=1 src2=0
	s_delay_alu instid0(VALU_DEP_1) | instskip(SKIP_1) | instid1(VALU_DEP_1)
	v_pk_fma_f32 v[132:133], v[142:143], v[38:39] /*v[294:295]*/, v[130:131] neg_lo:[0,0,1] neg_hi:[0,0,1]
	v_pk_fma_f32 v[130:131], v[142:143], v[38:39] /*v[294:295]*/, v[130:131] op_sel_hi:[1,0,1]
	v_mov_b32_e32 v133, v131
	scratch_load_b64 v[130:131], off, off offset:128
	s_set_vgpr_msb 0                        ;  msbs: dst=0 src0=0 src1=0 src2=0
	v_pk_add_f32 v[128:129], v[128:129], v[132:133]
	s_wait_loadcnt 0x0
	s_delay_alu instid0(VALU_DEP_1)
	v_pk_add_f32 v[128:129], v[130:131], v[128:129] neg_lo:[0,1] neg_hi:[0,1]
	scratch_store_b64 off, v[128:129], off offset:128
	s_wait_xcnt 0x0
	v_cmpx_lt_u32_e32 15, v0
	s_cbranch_execz .LBB62_361
; %bb.360:
	scratch_load_b64 v[128:129], off, off offset:120
	v_mov_b64_e32 v[130:131], 0
	scratch_store_b64 off, v[130:131], off offset:120
	s_wait_loadcnt 0x0
	ds_store_b64 v1, v[128:129]
.LBB62_361:
	s_wait_xcnt 0x0
	s_or_b32 exec_lo, exec_lo, s0
	v_mov_b32_e32 v5, 0
	s_wait_storecnt_dscnt 0x0
	s_barrier_signal -1
	s_barrier_wait -1
	ds_load_b128 v[128:131], v5 offset:640
	ds_load_b128 v[132:135], v5 offset:656
	ds_load_b128 v[136:139], v5 offset:672
	ds_load_b128 v[140:143], v5 offset:688
	s_clause 0x14
	scratch_load_b128 v[144:147], off, off offset:128
	scratch_load_b128 v[148:151], off, off offset:144
	;; [unrolled: 1-line block ×16, first 2 shown]
	s_set_vgpr_msb 64                       ;  msbs: dst=1 src0=0 src1=0 src2=0
	scratch_load_b128 v[4:7] /*v[260:263]*/, off, off offset:384
	scratch_load_b128 v[12:15] /*v[268:271]*/, off, off offset:400
	scratch_load_b128 v[20:23] /*v[276:279]*/, off, off offset:416
	scratch_load_b128 v[28:31] /*v[284:287]*/, off, off offset:432
	s_mov_b32 s0, exec_lo
	s_wait_loadcnt_dscnt 0x1303
	s_set_vgpr_msb 0                        ;  msbs: dst=0 src0=0 src1=0 src2=0
	v_mul_f32_e32 v9, v128, v145
	ds_load_b128 v[160:163], v5 offset:704
	ds_load_b128 v[168:171], v5 offset:720
	;; [unrolled: 1-line block ×4, first 2 shown]
	v_dual_fmac_f32 v9, v129, v144 :: v_dual_mul_f32 v11, v130, v147
	ds_load_b128 v[192:195], v5 offset:768
	ds_load_b128 v[200:203], v5 offset:784
	;; [unrolled: 1-line block ×4, first 2 shown]
	v_dual_add_f32 v9, 0, v9 :: v_dual_fmac_f32 v11, v131, v146
	ds_load_b128 v[224:227], v5 offset:832
	ds_load_b128 v[232:235], v5 offset:848
	;; [unrolled: 1-line block ×4, first 2 shown]
	s_wait_loadcnt_dscnt 0x120e
	v_dual_add_f32 v9, v9, v11 :: v_dual_mul_f32 v11, v132, v149
	s_set_vgpr_msb 64                       ;  msbs: dst=1 src0=0 src1=0 src2=0
	ds_load_b128 v[0:3] /*v[256:259]*/, v5 offset:896
	ds_load_b128 v[8:11] /*v[264:267]*/, v5 offset:912
	;; [unrolled: 1-line block ×4, first 2 shown]
	s_set_vgpr_msb 0                        ;  msbs: dst=0 src0=0 src1=0 src2=0
	v_fmac_f32_e32 v11, v133, v148
	s_set_vgpr_msb 64                       ;  msbs: dst=1 src0=0 src1=0 src2=0
	s_clause 0x3
	scratch_load_b128 v[32:35] /*v[288:291]*/, off, off offset:448
	scratch_load_b128 v[36:39] /*v[292:295]*/, off, off offset:464
	;; [unrolled: 1-line block ×3, first 2 shown]
	scratch_load_b64 v[50:51] /*v[306:307]*/, off, off offset:496
	s_set_vgpr_msb 0                        ;  msbs: dst=0 src0=0 src1=0 src2=0
	v_add_f32_e32 v9, v9, v11
	v_mul_f32_e32 v11, v134, v151
	s_delay_alu instid0(VALU_DEP_1) | instskip(SKIP_1) | instid1(VALU_DEP_1)
	v_fmac_f32_e32 v11, v135, v150
	s_wait_loadcnt_dscnt 0x1511
	v_dual_add_f32 v9, v9, v11 :: v_dual_mul_f32 v11, v136, v153
	s_wait_loadcnt_dscnt 0x400
	s_set_vgpr_msb 0x45                     ;  msbs: dst=1 src0=1 src1=1 src2=0
	v_dual_mul_f32 v47 /*v303*/, v18 /*v274*/, v23 /*v279*/ :: v_dual_mul_f32 v49 /*v305*/, v24 /*v280*/, v29 /*v285*/
	s_set_vgpr_msb 0                        ;  msbs: dst=0 src0=0 src1=0 src2=0
	v_fmac_f32_e32 v11, v137, v152
	s_set_vgpr_msb 0x45                     ;  msbs: dst=1 src0=1 src1=1 src2=0
	s_delay_alu instid0(VALU_DEP_2) | instskip(SKIP_1) | instid1(VALU_DEP_2)
	v_dual_fmac_f32 v47 /*v303*/, v19 /*v275*/, v22 /*v278*/ :: v_dual_fmac_f32 v49 /*v305*/, v25 /*v281*/, v28 /*v284*/
	s_set_vgpr_msb 0                        ;  msbs: dst=0 src0=0 src1=0 src2=0
	v_add_f32_e32 v9, v9, v11
	v_mul_f32_e32 v11, v138, v155
	s_delay_alu instid0(VALU_DEP_1) | instskip(NEXT) | instid1(VALU_DEP_1)
	v_fmac_f32_e32 v11, v139, v154
	v_dual_add_f32 v9, v9, v11 :: v_dual_mul_f32 v11, v140, v157
	s_delay_alu instid0(VALU_DEP_1) | instskip(NEXT) | instid1(VALU_DEP_1)
	v_fmac_f32_e32 v11, v141, v156
	v_add_f32_e32 v9, v9, v11
	v_mul_f32_e32 v11, v142, v159
	s_delay_alu instid0(VALU_DEP_1) | instskip(NEXT) | instid1(VALU_DEP_1)
	v_fmac_f32_e32 v11, v143, v158
	v_dual_add_f32 v9, v9, v11 :: v_dual_mul_f32 v11, v160, v165
	s_delay_alu instid0(VALU_DEP_1) | instskip(NEXT) | instid1(VALU_DEP_1)
	v_fmac_f32_e32 v11, v161, v164
	;; [unrolled: 7-line block ×13, first 2 shown]
	v_add_f32_e32 v9, v9, v11
	v_mul_f32_e32 v11, v250, v255
	s_delay_alu instid0(VALU_DEP_1) | instskip(NEXT) | instid1(VALU_DEP_1)
	v_fmac_f32_e32 v11, v251, v254
	v_add_f32_e32 v9, v9, v11
	s_set_vgpr_msb 5                        ;  msbs: dst=0 src0=1 src1=1 src2=0
	v_mul_f32_e32 v11, v0 /*v256*/, v5 /*v261*/
	s_delay_alu instid0(VALU_DEP_1) | instskip(SKIP_1) | instid1(VALU_DEP_1)
	v_fmac_f32_e32 v11, v1 /*v257*/, v4 /*v260*/
	s_set_vgpr_msb 0                        ;  msbs: dst=0 src0=0 src1=0 src2=0
	v_add_f32_e32 v9, v9, v11
	s_set_vgpr_msb 5                        ;  msbs: dst=0 src0=1 src1=1 src2=0
	v_mul_f32_e32 v11, v2 /*v258*/, v7 /*v263*/
	s_delay_alu instid0(VALU_DEP_1) | instskip(SKIP_1) | instid1(VALU_DEP_1)
	v_fmac_f32_e32 v11, v3 /*v259*/, v6 /*v262*/
	s_set_vgpr_msb 0                        ;  msbs: dst=0 src0=0 src1=0 src2=0
	;; [unrolled: 6-line block ×4, first 2 shown]
	v_add_f32_e32 v9, v9, v11
	s_set_vgpr_msb 5                        ;  msbs: dst=0 src0=1 src1=1 src2=0
	v_mul_f32_e32 v11, v16 /*v272*/, v21 /*v277*/
	s_delay_alu instid0(VALU_DEP_1) | instskip(SKIP_1) | instid1(VALU_DEP_1)
	v_fmac_f32_e32 v11, v17 /*v273*/, v20 /*v276*/
	s_set_vgpr_msb 64                       ;  msbs: dst=1 src0=0 src1=0 src2=0
	v_add_f32_e32 v45 /*v301*/, v9, v11
	s_set_vgpr_msb 0                        ;  msbs: dst=0 src0=0 src1=0 src2=0
	v_dual_mul_f32 v9, v129, v145 :: v_dual_mul_f32 v11, v131, v147
	s_set_vgpr_msb 1                        ;  msbs: dst=0 src0=1 src1=0 src2=0
	v_mov_b32_e32 v145, v26 /*v282*/
	s_set_vgpr_msb 0                        ;  msbs: dst=0 src0=0 src1=0 src2=0
	s_delay_alu instid0(VALU_DEP_2) | instskip(SKIP_2) | instid1(VALU_DEP_2)
	v_dual_fma_f32 v9, v128, v144, -v9 :: v_dual_fma_f32 v11, v130, v146, -v11
	s_set_vgpr_msb 1                        ;  msbs: dst=0 src0=1 src1=0 src2=0
	v_dual_mov_b32 v144, v27 /*v283*/ :: v_dual_mov_b32 v146, v31 /*v287*/
	v_add_f32_e32 v9, 0, v9
	s_set_vgpr_msb 0                        ;  msbs: dst=0 src0=0 src1=0 src2=0
	s_delay_alu instid0(VALU_DEP_2) | instskip(NEXT) | instid1(VALU_DEP_2)
	v_pk_mul_f32 v[144:145], v[144:145], v[146:147] op_sel_hi:[1,0]
	v_add_f32_e32 v9, v9, v11
	v_mul_f32_e32 v11, v133, v149
	s_set_vgpr_msb 5                        ;  msbs: dst=0 src0=1 src1=1 src2=0
	s_delay_alu instid0(VALU_DEP_3) | instskip(SKIP_2) | instid1(VALU_DEP_1)
	v_pk_fma_f32 v[146:147], v[26:27] /*v[282:283]*/, v[30:31] /*v[286:287]*/, v[144:145] neg_lo:[0,0,1] neg_hi:[0,0,1]
	v_pk_fma_f32 v[144:145], v[26:27] /*v[282:283]*/, v[30:31] /*v[286:287]*/, v[144:145] op_sel_hi:[1,0,1]
	s_set_vgpr_msb 0                        ;  msbs: dst=0 src0=0 src1=0 src2=0
	v_dual_fma_f32 v11, v132, v148, -v11 :: v_dual_mov_b32 v147, v145
	s_delay_alu instid0(VALU_DEP_1) | instskip(SKIP_1) | instid1(VALU_DEP_1)
	v_add_f32_e32 v9, v9, v11
	v_mul_f32_e32 v11, v135, v151
	v_fma_f32 v11, v134, v150, -v11
	s_delay_alu instid0(VALU_DEP_1) | instskip(SKIP_1) | instid1(VALU_DEP_1)
	v_add_f32_e32 v9, v9, v11
	v_mul_f32_e32 v11, v137, v153
	v_fma_f32 v11, v136, v152, -v11
	;; [unrolled: 4-line block ×4, first 2 shown]
	ds_load_b128 v[128:131], v5 offset:960
	ds_load_b128 v[132:135], v5 offset:976
	;; [unrolled: 1-line block ×3, first 2 shown]
	ds_load_b64 v[140:141], v5 offset:1008
	v_add_f32_e32 v9, v9, v11
	v_mul_f32_e32 v11, v143, v159
	s_delay_alu instid0(VALU_DEP_1) | instskip(NEXT) | instid1(VALU_DEP_1)
	v_fma_f32 v11, v142, v158, -v11
	v_add_f32_e32 v9, v9, v11
	v_mul_f32_e32 v11, v161, v165
	s_wait_loadcnt_dscnt 0x303
	s_set_vgpr_msb 4                        ;  msbs: dst=0 src0=0 src1=1 src2=0
	v_pk_mul_f32 v[144:145], v[128:129], v[32:33] /*v[288:289]*/ op_sel:[1,1] op_sel_hi:[0,1]
	s_set_vgpr_msb 0                        ;  msbs: dst=0 src0=0 src1=0 src2=0
	v_fma_f32 v11, v160, v164, -v11
	s_delay_alu instid0(VALU_DEP_1) | instskip(SKIP_1) | instid1(VALU_DEP_1)
	v_add_f32_e32 v9, v9, v11
	v_mul_f32_e32 v11, v163, v167
	v_fma_f32 v11, v162, v166, -v11
	s_delay_alu instid0(VALU_DEP_1) | instskip(SKIP_1) | instid1(VALU_DEP_1)
	v_add_f32_e32 v9, v9, v11
	v_mul_f32_e32 v11, v169, v173
	;; [unrolled: 4-line block ×23, first 2 shown]
	v_fma_f32 v11, v250, v254, -v11
	s_delay_alu instid0(VALU_DEP_1) | instskip(SKIP_2) | instid1(VALU_DEP_1)
	v_add_f32_e32 v9, v9, v11
	s_set_vgpr_msb 5                        ;  msbs: dst=0 src0=1 src1=1 src2=0
	v_mul_f32_e32 v11, v1 /*v257*/, v5 /*v261*/
	v_fma_f32 v11, v0 /*v256*/, v4 /*v260*/, -v11
	s_set_vgpr_msb 0                        ;  msbs: dst=0 src0=0 src1=0 src2=0
	s_delay_alu instid0(VALU_DEP_1) | instskip(SKIP_2) | instid1(VALU_DEP_1)
	v_add_f32_e32 v9, v9, v11
	s_set_vgpr_msb 5                        ;  msbs: dst=0 src0=1 src1=1 src2=0
	v_mul_f32_e32 v11, v3 /*v259*/, v7 /*v263*/
	v_fma_f32 v11, v2 /*v258*/, v6 /*v262*/, -v11
	s_set_vgpr_msb 0                        ;  msbs: dst=0 src0=0 src1=0 src2=0
	;; [unrolled: 6-line block ×4, first 2 shown]
	s_delay_alu instid0(VALU_DEP_1) | instskip(SKIP_2) | instid1(VALU_DEP_1)
	v_add_f32_e32 v9, v9, v11
	s_set_vgpr_msb 5                        ;  msbs: dst=0 src0=1 src1=1 src2=0
	v_mul_f32_e32 v11, v17 /*v273*/, v21 /*v277*/
	v_fma_f32 v11, v16 /*v272*/, v20 /*v276*/, -v11
	s_set_vgpr_msb 64                       ;  msbs: dst=1 src0=0 src1=0 src2=0
	s_delay_alu instid0(VALU_DEP_1) | instskip(SKIP_3) | instid1(VALU_DEP_1)
	v_add_f32_e32 v44 /*v300*/, v9, v11
	s_set_vgpr_msb 5                        ;  msbs: dst=0 src0=1 src1=1 src2=0
	v_mul_f32_e32 v9, v19 /*v275*/, v23 /*v279*/
	s_set_vgpr_msb 0x45                     ;  msbs: dst=1 src0=1 src1=1 src2=0
	v_fma_f32 v46 /*v302*/, v18 /*v274*/, v22 /*v278*/, -v9
	s_set_vgpr_msb 5                        ;  msbs: dst=0 src0=1 src1=1 src2=0
	v_mul_f32_e32 v9, v25 /*v281*/, v29 /*v285*/
	s_set_vgpr_msb 0x45                     ;  msbs: dst=1 src0=1 src1=1 src2=0
	s_delay_alu instid0(VALU_DEP_1) | instskip(SKIP_3) | instid1(VALU_DEP_1)
	v_fma_f32 v48 /*v304*/, v24 /*v280*/, v28 /*v284*/, -v9
	s_set_vgpr_msb 5                        ;  msbs: dst=0 src0=1 src1=1 src2=0
	v_pk_add_f32 v[142:143], v[44:45] /*v[300:301]*/, v[46:47] /*v[302:303]*/
	s_set_vgpr_msb 4                        ;  msbs: dst=0 src0=0 src1=1 src2=0
	v_pk_add_f32 v[142:143], v[142:143], v[48:49] /*v[304:305]*/
	s_set_vgpr_msb 0                        ;  msbs: dst=0 src0=0 src1=0 src2=0
	s_delay_alu instid0(VALU_DEP_1)
	v_pk_add_f32 v[142:143], v[142:143], v[146:147]
	s_set_vgpr_msb 4                        ;  msbs: dst=0 src0=0 src1=1 src2=0
	v_pk_fma_f32 v[146:147], v[128:129], v[32:33] /*v[288:289]*/, v[144:145] neg_lo:[0,0,1] neg_hi:[0,0,1]
	v_pk_fma_f32 v[128:129], v[128:129], v[32:33] /*v[288:289]*/, v[144:145] op_sel_hi:[1,0,1]
	s_set_vgpr_msb 1                        ;  msbs: dst=0 src0=1 src1=0 src2=0
	v_mov_b32_e32 v144, v35 /*v291*/
	s_set_vgpr_msb 0                        ;  msbs: dst=0 src0=0 src1=0 src2=0
	s_delay_alu instid0(VALU_DEP_2) | instskip(NEXT) | instid1(VALU_DEP_1)
	v_mov_b32_e32 v147, v129
	v_pk_add_f32 v[128:129], v[142:143], v[146:147]
	v_dual_mov_b32 v142, v131 :: v_dual_mov_b32 v143, v130
	s_delay_alu instid0(VALU_DEP_1) | instskip(SKIP_1) | instid1(VALU_DEP_1)
	v_pk_mul_f32 v[142:143], v[142:143], v[144:145] op_sel_hi:[1,0]
	s_set_vgpr_msb 4                        ;  msbs: dst=0 src0=0 src1=1 src2=0
	v_pk_fma_f32 v[144:145], v[130:131], v[34:35] /*v[290:291]*/, v[142:143] neg_lo:[0,0,1] neg_hi:[0,0,1]
	v_pk_fma_f32 v[130:131], v[130:131], v[34:35] /*v[290:291]*/, v[142:143] op_sel_hi:[1,0,1]
	s_delay_alu instid0(VALU_DEP_1) | instskip(SKIP_3) | instid1(VALU_DEP_2)
	v_mov_b32_e32 v145, v131
	s_wait_loadcnt_dscnt 0x202
	v_pk_mul_f32 v[130:131], v[132:133], v[36:37] /*v[292:293]*/ op_sel:[1,1] op_sel_hi:[0,1]
	s_set_vgpr_msb 0                        ;  msbs: dst=0 src0=0 src1=0 src2=0
	v_pk_add_f32 v[128:129], v[128:129], v[144:145]
	s_set_vgpr_msb 4                        ;  msbs: dst=0 src0=0 src1=1 src2=0
	s_delay_alu instid0(VALU_DEP_2)
	v_pk_fma_f32 v[142:143], v[132:133], v[36:37] /*v[292:293]*/, v[130:131] neg_lo:[0,0,1] neg_hi:[0,0,1]
	v_pk_fma_f32 v[130:131], v[132:133], v[36:37] /*v[292:293]*/, v[130:131] op_sel_hi:[1,0,1]
	v_mov_b32_e32 v130, v135
	s_set_vgpr_msb 1                        ;  msbs: dst=0 src0=1 src1=0 src2=0
	v_mov_b32_e32 v132, v39 /*v295*/
	s_set_vgpr_msb 0                        ;  msbs: dst=0 src0=0 src1=0 src2=0
	v_dual_mov_b32 v143, v131 :: v_dual_mov_b32 v131, v134
	s_delay_alu instid0(VALU_DEP_1) | instskip(NEXT) | instid1(VALU_DEP_2)
	v_pk_add_f32 v[128:129], v[128:129], v[142:143]
	v_pk_mul_f32 v[130:131], v[130:131], v[132:133] op_sel_hi:[1,0]
	s_set_vgpr_msb 4                        ;  msbs: dst=0 src0=0 src1=1 src2=0
	s_delay_alu instid0(VALU_DEP_1) | instskip(SKIP_1) | instid1(VALU_DEP_1)
	v_pk_fma_f32 v[132:133], v[134:135], v[38:39] /*v[294:295]*/, v[130:131] neg_lo:[0,0,1] neg_hi:[0,0,1]
	v_pk_fma_f32 v[130:131], v[134:135], v[38:39] /*v[294:295]*/, v[130:131] op_sel_hi:[1,0,1]
	v_mov_b32_e32 v133, v131
	s_wait_loadcnt_dscnt 0x101
	v_pk_mul_f32 v[130:131], v[136:137], v[40:41] /*v[296:297]*/ op_sel:[1,1] op_sel_hi:[0,1]
	s_set_vgpr_msb 0                        ;  msbs: dst=0 src0=0 src1=0 src2=0
	s_delay_alu instid0(VALU_DEP_2) | instskip(SKIP_1) | instid1(VALU_DEP_2)
	v_pk_add_f32 v[128:129], v[128:129], v[132:133]
	s_set_vgpr_msb 4                        ;  msbs: dst=0 src0=0 src1=1 src2=0
	v_pk_fma_f32 v[132:133], v[136:137], v[40:41] /*v[296:297]*/, v[130:131] neg_lo:[0,0,1] neg_hi:[0,0,1]
	v_pk_fma_f32 v[130:131], v[136:137], v[40:41] /*v[296:297]*/, v[130:131] op_sel_hi:[1,0,1]
	s_delay_alu instid0(VALU_DEP_1) | instskip(SKIP_2) | instid1(VALU_DEP_2)
	v_dual_mov_b32 v130, v139 :: v_dual_mov_b32 v133, v131
	v_mov_b32_e32 v131, v138
	s_set_vgpr_msb 0                        ;  msbs: dst=0 src0=0 src1=0 src2=0
	v_pk_add_f32 v[128:129], v[128:129], v[132:133]
	s_set_vgpr_msb 1                        ;  msbs: dst=0 src0=1 src1=0 src2=0
	v_mov_b32_e32 v132, v43 /*v299*/
	s_set_vgpr_msb 0                        ;  msbs: dst=0 src0=0 src1=0 src2=0
	s_delay_alu instid0(VALU_DEP_1) | instskip(SKIP_1) | instid1(VALU_DEP_1)
	v_pk_mul_f32 v[130:131], v[130:131], v[132:133] op_sel_hi:[1,0]
	s_set_vgpr_msb 4                        ;  msbs: dst=0 src0=0 src1=1 src2=0
	v_pk_fma_f32 v[132:133], v[138:139], v[42:43] /*v[298:299]*/, v[130:131] neg_lo:[0,0,1] neg_hi:[0,0,1]
	v_pk_fma_f32 v[130:131], v[138:139], v[42:43] /*v[298:299]*/, v[130:131] op_sel_hi:[1,0,1]
	s_delay_alu instid0(VALU_DEP_1) | instskip(SKIP_3) | instid1(VALU_DEP_2)
	v_mov_b32_e32 v133, v131
	s_wait_loadcnt_dscnt 0x0
	v_pk_mul_f32 v[130:131], v[140:141], v[50:51] /*v[306:307]*/ op_sel:[1,1] op_sel_hi:[0,1]
	s_set_vgpr_msb 0                        ;  msbs: dst=0 src0=0 src1=0 src2=0
	v_pk_add_f32 v[128:129], v[128:129], v[132:133]
	s_set_vgpr_msb 4                        ;  msbs: dst=0 src0=0 src1=1 src2=0
	s_delay_alu instid0(VALU_DEP_2) | instskip(SKIP_1) | instid1(VALU_DEP_1)
	v_pk_fma_f32 v[132:133], v[140:141], v[50:51] /*v[306:307]*/, v[130:131] neg_lo:[0,0,1] neg_hi:[0,0,1]
	v_pk_fma_f32 v[130:131], v[140:141], v[50:51] /*v[306:307]*/, v[130:131] op_sel_hi:[1,0,1]
	v_mov_b32_e32 v133, v131
	scratch_load_b64 v[130:131], off, off offset:120
	s_set_vgpr_msb 0                        ;  msbs: dst=0 src0=0 src1=0 src2=0
	v_pk_add_f32 v[128:129], v[128:129], v[132:133]
	s_wait_loadcnt 0x0
	s_delay_alu instid0(VALU_DEP_1)
	v_pk_add_f32 v[128:129], v[130:131], v[128:129] neg_lo:[0,1] neg_hi:[0,1]
	scratch_store_b64 off, v[128:129], off offset:120
	s_wait_xcnt 0x0
	v_cmpx_lt_u32_e32 14, v0
	s_cbranch_execz .LBB62_363
; %bb.362:
	scratch_load_b64 v[128:129], off, off offset:112
	v_mov_b64_e32 v[130:131], 0
	scratch_store_b64 off, v[130:131], off offset:112
	s_wait_loadcnt 0x0
	ds_store_b64 v1, v[128:129]
.LBB62_363:
	s_wait_xcnt 0x0
	s_or_b32 exec_lo, exec_lo, s0
	s_wait_storecnt_dscnt 0x0
	s_barrier_signal -1
	s_barrier_wait -1
	s_clause 0x17
	scratch_load_b128 v[128:131], off, off offset:120
	scratch_load_b128 v[132:135], off, off offset:136
	;; [unrolled: 1-line block ×24, first 2 shown]
	ds_load_2addr_b64 v[224:227], v5 offset0:79 offset1:80
	ds_load_2addr_b64 v[228:231], v5 offset0:81 offset1:82
	;; [unrolled: 1-line block ×6, first 2 shown]
	s_set_vgpr_msb 64                       ;  msbs: dst=1 src0=0 src1=0 src2=0
	scratch_load_b64 v[64:65] /*v[320:321]*/, off, off offset:112
	s_set_vgpr_msb 0                        ;  msbs: dst=0 src0=0 src1=0 src2=0
	ds_load_2addr_b64 v[248:251], v5 offset0:87 offset1:88
	ds_load_2addr_b64 v[252:255], v5 offset0:89 offset1:90
	s_set_vgpr_msb 64                       ;  msbs: dst=1 src0=0 src1=0 src2=0
	ds_load_2addr_b64 v[0:3] /*v[256:259]*/, v5 offset0:123 offset1:124
	ds_load_2addr_b64 v[4:7] /*v[260:263]*/, v5 offset0:125 offset1:126
	ds_load_2addr_b64 v[8:11] /*v[264:267]*/, v5 offset0:91 offset1:92
	ds_load_2addr_b64 v[12:15] /*v[268:271]*/, v5 offset0:93 offset1:94
	ds_load_2addr_b64 v[16:19] /*v[272:275]*/, v5 offset0:95 offset1:96
	ds_load_2addr_b64 v[20:23] /*v[276:279]*/, v5 offset0:97 offset1:98
	ds_load_2addr_b64 v[24:27] /*v[280:283]*/, v5 offset0:99 offset1:100
	ds_load_2addr_b64 v[28:31] /*v[284:287]*/, v5 offset0:101 offset1:102
	ds_load_2addr_b64 v[32:35] /*v[288:291]*/, v5 offset0:103 offset1:104
	ds_load_2addr_b64 v[36:39] /*v[292:295]*/, v5 offset0:105 offset1:106
	ds_load_2addr_b64 v[40:43] /*v[296:299]*/, v5 offset0:107 offset1:108
	ds_load_2addr_b64 v[44:47] /*v[300:303]*/, v5 offset0:109 offset1:110
	ds_load_2addr_b64 v[48:51] /*v[304:307]*/, v5 offset0:111 offset1:112
	ds_load_2addr_b64 v[52:55] /*v[308:311]*/, v5 offset0:113 offset1:114
	ds_load_2addr_b64 v[56:59] /*v[312:315]*/, v5 offset0:115 offset1:116
	ds_load_2addr_b64 v[60:63] /*v[316:319]*/, v5 offset0:117 offset1:118
	s_mov_b32 s0, exec_lo
	s_wait_dscnt 0xf
	s_set_vgpr_msb 0x41                     ;  msbs: dst=1 src0=1 src1=0 src2=0
	v_dual_mov_b32 v70 /*v326*/, v3 /*v259*/ :: v_dual_mov_b32 v71 /*v327*/, v2 /*v258*/
	s_wait_dscnt 0xe
	v_dual_mov_b32 v72 /*v328*/, v7 /*v263*/ :: v_dual_mov_b32 v73 /*v329*/, v6 /*v262*/
	s_set_vgpr_msb 64                       ;  msbs: dst=1 src0=0 src1=0 src2=0
	v_dual_mov_b32 v66 /*v322*/, v243 :: v_dual_mov_b32 v67 /*v323*/, v242
	v_dual_mov_b32 v68 /*v324*/, v247 :: v_dual_mov_b32 v69 /*v325*/, v246
	s_wait_loadcnt 0x18
	s_set_vgpr_msb 0                        ;  msbs: dst=0 src0=0 src1=0 src2=0
	v_dual_mul_f32 v5, v224, v129 :: v_dual_mul_f32 v9, v226, v131
	v_dual_mul_f32 v83, v225, v129 :: v_dual_mul_f32 v85, v227, v131
	s_wait_loadcnt 0x17
	v_dual_mul_f32 v11, v228, v133 :: v_dual_mul_f32 v13, v230, v135
	s_delay_alu instid0(VALU_DEP_2) | instskip(SKIP_3) | instid1(VALU_DEP_3)
	v_dual_fmac_f32 v5, v225, v128 :: v_dual_fma_f32 v83, v224, v128, -v83
	v_dual_mul_f32 v87, v229, v133 :: v_dual_mul_f32 v89, v231, v135
	s_wait_loadcnt 0x15
	v_dual_mul_f32 v95, v237, v141 :: v_dual_fmac_f32 v9, v227, v130
	v_dual_fma_f32 v85, v226, v130, -v85 :: v_dual_add_f32 v5, 0, v5
	v_dual_add_f32 v83, 0, v83 :: v_dual_fmac_f32 v11, v229, v132
	v_dual_mul_f32 v97, v239, v143 :: v_dual_fma_f32 v87, v228, v132, -v87
	s_delay_alu instid0(VALU_DEP_3) | instskip(NEXT) | instid1(VALU_DEP_3)
	v_dual_add_f32 v5, v5, v9 :: v_dual_fmac_f32 v13, v231, v134
	v_dual_add_f32 v9, v83, v85 :: v_dual_fma_f32 v85, v230, v134, -v89
	v_dual_mul_f32 v15, v232, v137 :: v_dual_mul_f32 v17, v234, v139
	v_dual_mul_f32 v91, v233, v137 :: v_dual_mul_f32 v93, v235, v139
	s_delay_alu instid0(VALU_DEP_4) | instskip(NEXT) | instid1(VALU_DEP_3)
	v_add_f32_e32 v5, v5, v11
	v_dual_add_f32 v9, v9, v87 :: v_dual_fmac_f32 v17, v235, v138
	s_delay_alu instid0(VALU_DEP_4) | instskip(NEXT) | instid1(VALU_DEP_3)
	v_fmac_f32_e32 v15, v233, v136
	v_dual_fma_f32 v87, v232, v136, -v91 :: v_dual_add_f32 v5, v5, v13
	s_delay_alu instid0(VALU_DEP_3) | instskip(SKIP_4) | instid1(VALU_DEP_2)
	v_add_f32_e32 v9, v9, v85
	v_dual_mul_f32 v19, v236, v141 :: v_dual_mul_f32 v21, v238, v143
	s_wait_loadcnt 0x14
	v_dual_mul_f32 v83, v249, v145 :: v_dual_mul_f32 v11, v251, v147
	v_dual_fma_f32 v85, v234, v138, -v93 :: v_dual_add_f32 v5, v5, v15
	v_dual_add_f32 v9, v9, v87 :: v_dual_fma_f32 v83, v248, v144, -v83
	v_dual_mul_f32 v23, v248, v145 :: v_dual_mul_f32 v25, v250, v147
	s_wait_loadcnt 0x13
	v_dual_mul_f32 v13, v253, v149 :: v_dual_fmac_f32 v21, v239, v142
	v_fmac_f32_e32 v19, v237, v140
	v_dual_fma_f32 v87, v236, v140, -v95 :: v_dual_add_f32 v9, v9, v85
	s_delay_alu instid0(VALU_DEP_3)
	v_fma_f32 v13, v252, v148, -v13
	v_dual_fma_f32 v85, v238, v142, -v97 :: v_dual_add_f32 v5, v5, v17
	v_dual_fma_f32 v11, v250, v146, -v11 :: v_dual_mul_f32 v27, v252, v149
	v_dual_mul_f32 v29, v254, v151 :: v_dual_mul_f32 v15, v255, v151
	v_add_f32_e32 v9, v9, v87
	s_wait_loadcnt 0x4
	v_dual_fmac_f32 v23, v249, v144 :: v_dual_mov_b32 v130, v211
	v_dual_fmac_f32 v25, v251, v146 :: v_dual_add_f32 v5, v5, v19
	v_fmac_f32_e32 v29, v255, v150
	v_pk_mul_f32 v[128:129], v[240:241], v[208:209] op_sel:[1,1] op_sel_hi:[0,1]
	s_wait_loadcnt 0x3
	v_dual_fma_f32 v15, v254, v150, -v15 :: v_dual_mov_b32 v134, v215
	v_add_f32_e32 v5, v5, v21
	s_set_vgpr_msb 1                        ;  msbs: dst=0 src0=1 src1=0 src2=0
	v_pk_mul_f32 v[130:131], v[66:67] /*v[322:323]*/, v[130:131] op_sel_hi:[1,0]
	s_set_vgpr_msb 0                        ;  msbs: dst=0 src0=0 src1=0 src2=0
	v_pk_fma_f32 v[138:139], v[240:241], v[208:209], v[128:129] op_sel_hi:[1,0,1]
	v_add_f32_e32 v9, v9, v85
	v_pk_fma_f32 v[128:129], v[240:241], v[208:209], v[128:129] neg_lo:[0,0,1] neg_hi:[0,0,1]
	v_pk_mul_f32 v[132:133], v[244:245], v[212:213] op_sel:[1,1] op_sel_hi:[0,1]
	s_set_vgpr_msb 1                        ;  msbs: dst=0 src0=1 src1=0 src2=0
	v_pk_mul_f32 v[134:135], v[68:69] /*v[324:325]*/, v[134:135] op_sel_hi:[1,0]
	s_set_vgpr_msb 0                        ;  msbs: dst=0 src0=0 src1=0 src2=0
	v_dual_mov_b32 v129, v139 :: v_dual_add_f32 v9, v9, v83
	v_pk_fma_f32 v[138:139], v[242:243], v[210:211], v[130:131] op_sel_hi:[1,0,1]
	v_add_f32_e32 v5, v5, v23
	v_pk_fma_f32 v[130:131], v[242:243], v[210:211], v[130:131] neg_lo:[0,0,1] neg_hi:[0,0,1]
	v_pk_fma_f32 v[142:143], v[244:245], v[212:213], v[132:133] op_sel_hi:[1,0,1]
	v_fmac_f32_e32 v27, v253, v148
	v_dual_add_f32 v9, v9, v11 :: v_dual_mov_b32 v131, v139
	v_pk_fma_f32 v[138:139], v[246:247], v[214:215], v[134:135] op_sel_hi:[1,0,1]
	v_add_f32_e32 v5, v5, v25
	v_pk_fma_f32 v[132:133], v[244:245], v[212:213], v[132:133] neg_lo:[0,0,1] neg_hi:[0,0,1]
	v_pk_fma_f32 v[134:135], v[246:247], v[214:215], v[134:135] neg_lo:[0,0,1] neg_hi:[0,0,1]
	s_wait_dscnt 0xd
	s_set_vgpr_msb 1                        ;  msbs: dst=0 src0=1 src1=0 src2=0
	v_dual_mul_f32 v31, v8 /*v264*/, v153 :: v_dual_mul_f32 v33, v10 /*v266*/, v155
	v_dual_mul_f32 v17, v9 /*v265*/, v153 :: v_dual_mul_f32 v19, v11 /*v267*/, v155
	s_set_vgpr_msb 0                        ;  msbs: dst=0 src0=0 src1=0 src2=0
	v_dual_add_f32 v9, v9, v13 :: v_dual_mov_b32 v133, v143
	v_dual_mov_b32 v135, v139 :: v_dual_add_f32 v5, v5, v27
	s_set_vgpr_msb 1                        ;  msbs: dst=0 src0=1 src1=0 src2=0
	v_dual_fmac_f32 v31, v9 /*v265*/, v152 :: v_dual_fma_f32 v17, v8 /*v264*/, v152, -v17
	s_set_vgpr_msb 0                        ;  msbs: dst=0 src0=0 src1=0 src2=0
	v_add_f32_e32 v9, v9, v15
	s_wait_dscnt 0xc
	s_set_vgpr_msb 1                        ;  msbs: dst=0 src0=1 src1=0 src2=0
	v_dual_mul_f32 v35, v12 /*v268*/, v157 :: v_dual_mul_f32 v37, v14 /*v270*/, v159
	s_set_vgpr_msb 0                        ;  msbs: dst=0 src0=0 src1=0 src2=0
	v_add_f32_e32 v5, v5, v29
	s_set_vgpr_msb 1                        ;  msbs: dst=0 src0=1 src1=0 src2=0
	v_dual_mul_f32 v21, v13 /*v269*/, v157 :: v_dual_mul_f32 v23, v15 /*v271*/, v159
	s_wait_dscnt 0xa
	v_dual_mul_f32 v15, v21 /*v277*/, v165 :: v_dual_fmac_f32 v33, v11 /*v267*/, v154
	v_fma_f32 v19, v10 /*v266*/, v154, -v19
	s_set_vgpr_msb 0                        ;  msbs: dst=0 src0=0 src1=0 src2=0
	v_add_f32_e32 v5, v5, v31
	v_add_f32_e32 v9, v9, v17
	s_set_vgpr_msb 1                        ;  msbs: dst=0 src0=1 src1=0 src2=0
	v_dual_mul_f32 v17, v23 /*v279*/, v167 :: v_dual_fmac_f32 v35, v13 /*v269*/, v156
	v_fma_f32 v21, v12 /*v268*/, v156, -v21
	s_set_vgpr_msb 0                        ;  msbs: dst=0 src0=0 src1=0 src2=0
	v_add_f32_e32 v5, v5, v33
	v_add_f32_e32 v9, v9, v19
	s_set_vgpr_msb 1                        ;  msbs: dst=0 src0=1 src1=0 src2=0
	v_dual_mul_f32 v39, v16 /*v272*/, v161 :: v_dual_mul_f32 v41, v18 /*v274*/, v163
	v_dual_mul_f32 v11, v17 /*v273*/, v161 :: v_dual_mul_f32 v13, v19 /*v275*/, v163
	s_wait_dscnt 0x9
	v_dual_mul_f32 v19, v25 /*v281*/, v169 :: v_dual_fmac_f32 v37, v15 /*v271*/, v158
	v_fma_f32 v23, v14 /*v270*/, v158, -v23
	s_set_vgpr_msb 0                        ;  msbs: dst=0 src0=0 src1=0 src2=0
	v_add_f32_e32 v5, v5, v35
	v_add_f32_e32 v9, v9, v21
	s_set_vgpr_msb 1                        ;  msbs: dst=0 src0=1 src1=0 src2=0
	v_dual_mul_f32 v21, v27 /*v283*/, v171 :: v_dual_fmac_f32 v39, v17 /*v273*/, v160
	v_dual_fmac_f32 v41, v19 /*v275*/, v162 :: v_dual_fma_f32 v11, v16 /*v272*/, v160, -v11
	s_set_vgpr_msb 0                        ;  msbs: dst=0 src0=0 src1=0 src2=0
	v_add_f32_e32 v5, v5, v37
	v_add_f32_e32 v9, v9, v23
	s_set_vgpr_msb 1                        ;  msbs: dst=0 src0=1 src1=0 src2=0
	v_dual_mul_f32 v43, v20 /*v276*/, v165 :: v_dual_mul_f32 v45, v22 /*v278*/, v167
	s_wait_dscnt 0x8
	v_dual_mul_f32 v23, v29 /*v285*/, v173 :: v_dual_fma_f32 v13, v18 /*v274*/, v162, -v13
	s_set_vgpr_msb 0                        ;  msbs: dst=0 src0=0 src1=0 src2=0
	v_add_f32_e32 v5, v5, v39
	v_add_f32_e32 v9, v9, v11
	s_set_vgpr_msb 1                        ;  msbs: dst=0 src0=1 src1=0 src2=0
	v_dual_mul_f32 v11, v31 /*v287*/, v175 :: v_dual_fmac_f32 v43, v21 /*v277*/, v164
	v_dual_fmac_f32 v45, v23 /*v279*/, v166 :: v_dual_fma_f32 v15, v20 /*v276*/, v164, -v15
	s_set_vgpr_msb 0                        ;  msbs: dst=0 src0=0 src1=0 src2=0
	v_add_f32_e32 v5, v5, v41
	v_add_f32_e32 v9, v9, v13
	s_set_vgpr_msb 1                        ;  msbs: dst=0 src0=1 src1=0 src2=0
	v_dual_mul_f32 v47, v24 /*v280*/, v169 :: v_dual_mul_f32 v49, v26 /*v282*/, v171
	s_wait_dscnt 0x7
	v_dual_mul_f32 v13, v33 /*v289*/, v177 :: v_dual_fma_f32 v17, v22 /*v278*/, v166, -v17
	;; [unrolled: 13-line block ×4, first 2 shown]
	s_set_vgpr_msb 0                        ;  msbs: dst=0 src0=0 src1=0 src2=0
	v_add_f32_e32 v5, v5, v51
	v_add_f32_e32 v9, v9, v23
	s_set_vgpr_msb 1                        ;  msbs: dst=0 src0=1 src1=0 src2=0
	v_dual_mul_f32 v23, v43 /*v299*/, v187 :: v_dual_fmac_f32 v55, v33 /*v289*/, v176
	v_fma_f32 v13, v32 /*v288*/, v176, -v13
	s_set_vgpr_msb 0                        ;  msbs: dst=0 src0=0 src1=0 src2=0
	v_add_f32_e32 v5, v5, v53
	v_add_f32_e32 v9, v9, v11
	s_set_vgpr_msb 1                        ;  msbs: dst=0 src0=1 src1=0 src2=0
	v_dual_mul_f32 v59, v36 /*v292*/, v181 :: v_dual_mul_f32 v61, v38 /*v294*/, v183
	s_wait_dscnt 0x4
	v_dual_mul_f32 v11, v45 /*v301*/, v189 :: v_dual_fmac_f32 v57, v35 /*v291*/, v178
	v_fma_f32 v15, v34 /*v290*/, v178, -v15
	s_set_vgpr_msb 0                        ;  msbs: dst=0 src0=0 src1=0 src2=0
	v_add_f32_e32 v5, v5, v55
	v_add_f32_e32 v9, v9, v13
	s_set_vgpr_msb 1                        ;  msbs: dst=0 src0=1 src1=0 src2=0
	v_dual_mul_f32 v13, v47 /*v303*/, v191 :: v_dual_fmac_f32 v59, v37 /*v293*/, v180
	v_fma_f32 v17, v36 /*v292*/, v180, -v17
	s_set_vgpr_msb 0                        ;  msbs: dst=0 src0=0 src1=0 src2=0
	v_add_f32_e32 v5, v5, v57
	v_add_f32_e32 v9, v9, v15
	s_set_vgpr_msb 1                        ;  msbs: dst=0 src0=1 src1=0 src2=0
	v_dual_mul_f32 v63, v40 /*v296*/, v185 :: v_dual_mul_f32 v65, v42 /*v298*/, v187
	s_wait_dscnt 0x3
	v_dual_mul_f32 v15, v49 /*v305*/, v193 :: v_dual_fmac_f32 v61, v39 /*v295*/, v182
	v_fma_f32 v19, v38 /*v294*/, v182, -v19
	;; [unrolled: 14-line block ×3, first 2 shown]
	s_set_vgpr_msb 0                        ;  msbs: dst=0 src0=0 src1=0 src2=0
	v_add_f32_e32 v5, v5, v63
	v_add_f32_e32 v9, v9, v21
	s_set_vgpr_msb 1                        ;  msbs: dst=0 src0=1 src1=0 src2=0
	v_dual_mul_f32 v21, v55 /*v311*/, v199 :: v_dual_fmac_f32 v67, v45 /*v301*/, v188
	v_dual_fmac_f32 v69, v47 /*v303*/, v190 :: v_dual_fma_f32 v11, v44 /*v300*/, v188, -v11
	s_set_vgpr_msb 0                        ;  msbs: dst=0 src0=0 src1=0 src2=0
	v_add_f32_e32 v5, v5, v65
	v_add_f32_e32 v9, v9, v23
	s_set_vgpr_msb 1                        ;  msbs: dst=0 src0=1 src1=0 src2=0
	v_dual_mul_f32 v71, v48 /*v304*/, v193 :: v_dual_mul_f32 v73, v50 /*v306*/, v195
	s_wait_dscnt 0x1
	v_dual_mul_f32 v23, v57 /*v313*/, v201 :: v_dual_fma_f32 v13, v46 /*v302*/, v190, -v13
	s_set_vgpr_msb 0                        ;  msbs: dst=0 src0=0 src1=0 src2=0
	v_add_f32_e32 v5, v5, v67
	v_add_f32_e32 v9, v9, v11
	s_set_vgpr_msb 1                        ;  msbs: dst=0 src0=1 src1=0 src2=0
	v_dual_mul_f32 v11, v59 /*v315*/, v203 :: v_dual_fmac_f32 v71, v49 /*v305*/, v192
	v_dual_fmac_f32 v73, v51 /*v307*/, v194 :: v_dual_fma_f32 v15, v48 /*v304*/, v192, -v15
	s_set_vgpr_msb 0                        ;  msbs: dst=0 src0=0 src1=0 src2=0
	v_add_f32_e32 v5, v5, v69
	v_add_f32_e32 v9, v9, v13
	s_set_vgpr_msb 1                        ;  msbs: dst=0 src0=1 src1=0 src2=0
	v_dual_mul_f32 v75, v52 /*v308*/, v197 :: v_dual_mul_f32 v77, v54 /*v310*/, v199
	s_wait_dscnt 0x0
	v_dual_mul_f32 v13, v61 /*v317*/, v205 :: v_dual_fma_f32 v17, v50 /*v306*/, v194, -v17
	s_set_vgpr_msb 0                        ;  msbs: dst=0 src0=0 src1=0 src2=0
	v_add_f32_e32 v5, v5, v71
	v_add_f32_e32 v9, v9, v15
	s_set_vgpr_msb 1                        ;  msbs: dst=0 src0=1 src1=0 src2=0
	v_dual_mul_f32 v15, v63 /*v319*/, v207 :: v_dual_fmac_f32 v75, v53 /*v309*/, v196
	v_dual_fmac_f32 v77, v55 /*v311*/, v198 :: v_dual_fma_f32 v19, v52 /*v308*/, v196, -v19
	s_set_vgpr_msb 0                        ;  msbs: dst=0 src0=0 src1=0 src2=0
	v_add_f32_e32 v5, v5, v73
	v_add_f32_e32 v9, v9, v17
	s_set_vgpr_msb 1                        ;  msbs: dst=0 src0=1 src1=0 src2=0
	v_dual_mul_f32 v79, v56 /*v312*/, v201 :: v_dual_mul_f32 v81, v58 /*v314*/, v203
	v_fma_f32 v17, v54 /*v310*/, v198, -v21
	s_set_vgpr_msb 0                        ;  msbs: dst=0 src0=0 src1=0 src2=0
	v_add_f32_e32 v5, v5, v75
	v_add_f32_e32 v9, v9, v19
	s_set_vgpr_msb 1                        ;  msbs: dst=0 src0=1 src1=0 src2=0
	v_dual_fmac_f32 v79, v57 /*v313*/, v200 :: v_dual_fmac_f32 v81, v59 /*v315*/, v202
	v_fma_f32 v19, v56 /*v312*/, v200, -v23
	s_set_vgpr_msb 0                        ;  msbs: dst=0 src0=0 src1=0 src2=0
	v_add_f32_e32 v5, v5, v77
	v_add_f32_e32 v9, v9, v17
	s_set_vgpr_msb 0x41                     ;  msbs: dst=1 src0=1 src1=0 src2=0
	v_dual_mul_f32 v75 /*v331*/, v60 /*v316*/, v205 :: v_dual_mul_f32 v77 /*v333*/, v62 /*v318*/, v207
	s_set_vgpr_msb 1                        ;  msbs: dst=0 src0=1 src1=0 src2=0
	v_fma_f32 v11, v58 /*v314*/, v202, -v11
	s_set_vgpr_msb 0                        ;  msbs: dst=0 src0=0 src1=0 src2=0
	v_add_f32_e32 v5, v5, v79
	v_add_f32_e32 v9, v9, v19
	s_set_vgpr_msb 0x41                     ;  msbs: dst=1 src0=1 src1=0 src2=0
	v_dual_fmac_f32 v75 /*v331*/, v61 /*v317*/, v204 :: v_dual_fmac_f32 v77 /*v333*/, v63 /*v319*/, v206
	v_dual_fma_f32 v74 /*v330*/, v60 /*v316*/, v204, -v13 :: v_dual_fma_f32 v76 /*v332*/, v62 /*v318*/, v206, -v15
	s_set_vgpr_msb 0                        ;  msbs: dst=0 src0=0 src1=0 src2=0
	v_add_f32_e32 v137, v5, v81
	v_add_f32_e32 v136, v9, v11
	s_wait_loadcnt 0x2
	s_set_vgpr_msb 1                        ;  msbs: dst=0 src0=1 src1=0 src2=0
	v_pk_mul_f32 v[140:141], v[0:1] /*v[256:257]*/, v[216:217] op_sel:[1,1] op_sel_hi:[0,1]
	s_set_vgpr_msb 4                        ;  msbs: dst=0 src0=0 src1=1 src2=0
	v_pk_add_f32 v[136:137], v[136:137], v[74:75] /*v[330:331]*/
	s_set_vgpr_msb 1                        ;  msbs: dst=0 src0=1 src1=0 src2=0
	s_delay_alu instid0(VALU_DEP_2) | instskip(SKIP_1) | instid1(VALU_DEP_2)
	v_pk_fma_f32 v[138:139], v[0:1] /*v[256:257]*/, v[216:217], v[140:141] neg_lo:[0,0,1] neg_hi:[0,0,1]
	s_set_vgpr_msb 4                        ;  msbs: dst=0 src0=0 src1=1 src2=0
	v_pk_add_f32 v[136:137], v[136:137], v[76:77] /*v[332:333]*/
	s_set_vgpr_msb 0                        ;  msbs: dst=0 src0=0 src1=0 src2=0
	s_delay_alu instid0(VALU_DEP_1) | instskip(SKIP_1) | instid1(VALU_DEP_2)
	v_pk_add_f32 v[128:129], v[136:137], v[128:129]
	v_mov_b32_e32 v136, v219
	v_pk_add_f32 v[128:129], v[128:129], v[130:131]
	s_set_vgpr_msb 1                        ;  msbs: dst=0 src0=1 src1=0 src2=0
	v_pk_fma_f32 v[130:131], v[0:1] /*v[256:257]*/, v[216:217], v[140:141] op_sel_hi:[1,0,1]
	s_delay_alu instid0(VALU_DEP_3) | instskip(SKIP_2) | instid1(VALU_DEP_3)
	v_pk_mul_f32 v[136:137], v[70:71] /*v[326:327]*/, v[136:137] op_sel_hi:[1,0]
	s_set_vgpr_msb 0                        ;  msbs: dst=0 src0=0 src1=0 src2=0
	v_pk_add_f32 v[128:129], v[128:129], v[132:133]
	v_mov_b32_e32 v139, v131
	s_set_vgpr_msb 1                        ;  msbs: dst=0 src0=1 src1=0 src2=0
	v_pk_fma_f32 v[130:131], v[2:3] /*v[258:259]*/, v[218:219], v[136:137] op_sel_hi:[1,0,1]
	s_wait_loadcnt 0x1
	v_pk_mul_f32 v[132:133], v[4:5] /*v[260:261]*/, v[220:221] op_sel:[1,1] op_sel_hi:[0,1]
	s_set_vgpr_msb 0                        ;  msbs: dst=0 src0=0 src1=0 src2=0
	v_mov_b32_e32 v130, v223
	v_pk_add_f32 v[128:129], v[128:129], v[134:135]
	s_set_vgpr_msb 1                        ;  msbs: dst=0 src0=1 src1=0 src2=0
	v_pk_fma_f32 v[136:137], v[2:3] /*v[258:259]*/, v[218:219], v[136:137] neg_lo:[0,0,1] neg_hi:[0,0,1]
	s_set_vgpr_msb 0                        ;  msbs: dst=0 src0=0 src1=0 src2=0
	v_mov_b32_e32 v137, v131
	s_set_vgpr_msb 1                        ;  msbs: dst=0 src0=1 src1=0 src2=0
	v_pk_fma_f32 v[134:135], v[4:5] /*v[260:261]*/, v[220:221], v[132:133] op_sel_hi:[1,0,1]
	v_pk_mul_f32 v[130:131], v[72:73] /*v[328:329]*/, v[130:131] op_sel_hi:[1,0]
	s_set_vgpr_msb 0                        ;  msbs: dst=0 src0=0 src1=0 src2=0
	v_pk_add_f32 v[128:129], v[128:129], v[138:139]
	s_set_vgpr_msb 1                        ;  msbs: dst=0 src0=1 src1=0 src2=0
	v_pk_fma_f32 v[132:133], v[4:5] /*v[260:261]*/, v[220:221], v[132:133] neg_lo:[0,0,1] neg_hi:[0,0,1]
	s_set_vgpr_msb 0                        ;  msbs: dst=0 src0=0 src1=0 src2=0
	v_mov_b32_e32 v133, v135
	s_set_vgpr_msb 1                        ;  msbs: dst=0 src0=1 src1=0 src2=0
	v_pk_fma_f32 v[134:135], v[6:7] /*v[262:263]*/, v[222:223], v[130:131] op_sel_hi:[1,0,1]
	s_set_vgpr_msb 0                        ;  msbs: dst=0 src0=0 src1=0 src2=0
	v_pk_add_f32 v[128:129], v[128:129], v[136:137]
	s_set_vgpr_msb 1                        ;  msbs: dst=0 src0=1 src1=0 src2=0
	v_pk_fma_f32 v[130:131], v[6:7] /*v[262:263]*/, v[222:223], v[130:131] neg_lo:[0,0,1] neg_hi:[0,0,1]
	s_set_vgpr_msb 0                        ;  msbs: dst=0 src0=0 src1=0 src2=0
	v_mov_b32_e32 v131, v135
	v_pk_add_f32 v[128:129], v[128:129], v[132:133]
	s_delay_alu instid0(VALU_DEP_1) | instskip(SKIP_2) | instid1(VALU_DEP_1)
	v_pk_add_f32 v[128:129], v[128:129], v[130:131]
	s_wait_loadcnt 0x0
	s_set_vgpr_msb 1                        ;  msbs: dst=0 src0=1 src1=0 src2=0
	v_pk_add_f32 v[128:129], v[64:65] /*v[320:321]*/, v[128:129] neg_lo:[0,1] neg_hi:[0,1]
	scratch_store_b64 off, v[128:129], off offset:112
	s_wait_xcnt 0x0
	v_cmpx_lt_u32_e32 13, v0
	s_set_vgpr_msb 0                        ;  msbs: dst=0 src0=0 src1=0 src2=0
	s_cbranch_execz .LBB62_365
; %bb.364:
	scratch_load_b64 v[128:129], off, off offset:104
	v_mov_b64_e32 v[130:131], 0
	scratch_store_b64 off, v[130:131], off offset:104
	s_wait_loadcnt 0x0
	ds_store_b64 v1, v[128:129]
.LBB62_365:
	s_wait_xcnt 0x0
	s_or_b32 exec_lo, exec_lo, s0
	s_wait_storecnt_dscnt 0x0
	s_barrier_signal -1
	s_barrier_wait -1
	s_clause 0x1a
	scratch_load_b128 v[128:131], off, off offset:112
	scratch_load_b128 v[132:135], off, off offset:128
	;; [unrolled: 1-line block ×24, first 2 shown]
	s_set_vgpr_msb 64                       ;  msbs: dst=1 src0=0 src1=0 src2=0
	scratch_load_b64 v[64:65] /*v[320:321]*/, off, off offset:496
	scratch_load_b64 v[66:67] /*v[322:323]*/, off, off offset:104
	s_set_vgpr_msb 0                        ;  msbs: dst=0 src0=0 src1=0 src2=0
	v_mov_b32_e32 v5, 0
	ds_load_b128 v[224:227], v5 offset:624
	ds_load_b128 v[228:231], v5 offset:640
	;; [unrolled: 1-line block ×8, first 2 shown]
	s_set_vgpr_msb 64                       ;  msbs: dst=1 src0=0 src1=0 src2=0
	ds_load_b128 v[0:3] /*v[256:259]*/, v5 offset:976
	ds_load_b128 v[4:7] /*v[260:263]*/, v5 offset:720
	;; [unrolled: 1-line block ×16, first 2 shown]
	ds_load_b64 v[68:69] /*v[324:325]*/, v5 offset:1008
	s_wait_dscnt 0x14
	v_dual_mov_b32 v70 /*v326*/, v243 :: v_dual_mov_b32 v71 /*v327*/, v242
	s_wait_dscnt 0x11
	v_dual_mov_b32 v72 /*v328*/, v255 :: v_dual_mov_b32 v73 /*v329*/, v254
	s_wait_dscnt 0x10
	s_set_vgpr_msb 0x41                     ;  msbs: dst=1 src0=1 src1=0 src2=0
	v_dual_mov_b32 v74 /*v330*/, v3 /*v259*/ :: v_dual_mov_b32 v75 /*v331*/, v2 /*v258*/
	s_wait_dscnt 0xd
	v_dual_mov_b32 v76 /*v332*/, v15 /*v271*/ :: v_dual_mov_b32 v77 /*v333*/, v14 /*v270*/
	s_mov_b32 s0, exec_lo
	s_wait_loadcnt 0x19
	s_set_vgpr_msb 0                        ;  msbs: dst=0 src0=0 src1=0 src2=0
	v_dual_mul_f32 v9, v224, v129 :: v_dual_mul_f32 v87, v225, v129
	s_wait_loadcnt 0x18
	v_dual_mul_f32 v11, v226, v131 :: v_dual_mul_f32 v13, v228, v133
	v_dual_mul_f32 v89, v227, v131 :: v_dual_mul_f32 v91, v229, v133
	s_wait_loadcnt 0x14
	v_dual_mul_f32 v31, v250, v151 :: v_dual_fmac_f32 v9, v225, v128
	v_dual_fma_f32 v87, v224, v128, -v87 :: v_dual_mul_f32 v101, v239, v143
	s_delay_alu instid0(VALU_DEP_3) | instskip(NEXT) | instid1(VALU_DEP_3)
	v_dual_fma_f32 v89, v226, v130, -v89 :: v_dual_fmac_f32 v11, v227, v130
	v_dual_add_f32 v9, 0, v9 :: v_dual_mul_f32 v15, v230, v135
	s_delay_alu instid0(VALU_DEP_3)
	v_dual_mul_f32 v17, v232, v137 :: v_dual_add_f32 v87, 0, v87
	v_dual_mul_f32 v93, v231, v135 :: v_dual_mul_f32 v95, v233, v137
	v_dual_mul_f32 v103, v245, v145 :: v_dual_fma_f32 v91, v228, v132, -v91
	s_wait_loadcnt_dscnt 0x601
	s_set_vgpr_msb 1                        ;  msbs: dst=0 src0=1 src1=0 src2=0
	v_mul_f32_e32 v85, v60 /*v316*/, v205
	s_set_vgpr_msb 0                        ;  msbs: dst=0 src0=0 src1=0 src2=0
	v_fmac_f32_e32 v13, v229, v132
	v_dual_add_f32 v9, v9, v11 :: v_dual_fmac_f32 v15, v231, v134
	v_add_f32_e32 v11, v87, v89
	v_dual_mul_f32 v87, v247, v147 :: v_dual_fma_f32 v89, v230, v134, -v93
	s_delay_alu instid0(VALU_DEP_3) | instskip(NEXT) | instid1(VALU_DEP_3)
	v_dual_add_f32 v9, v9, v13 :: v_dual_mul_f32 v19, v234, v139
	v_dual_mul_f32 v21, v236, v141 :: v_dual_add_f32 v11, v11, v91
	v_dual_mul_f32 v97, v235, v139 :: v_dual_mul_f32 v99, v237, v141
	v_dual_mul_f32 v13, v249, v149 :: v_dual_fma_f32 v91, v232, v136, -v95
	s_delay_alu instid0(VALU_DEP_3) | instskip(SKIP_1) | instid1(VALU_DEP_4)
	v_dual_fmac_f32 v17, v233, v136 :: v_dual_add_f32 v11, v11, v89
	v_dual_add_f32 v9, v9, v15 :: v_dual_fmac_f32 v19, v235, v138
	v_dual_mul_f32 v15, v251, v151 :: v_dual_fma_f32 v89, v234, v138, -v97
	s_delay_alu instid0(VALU_DEP_2) | instskip(SKIP_2) | instid1(VALU_DEP_3)
	v_dual_add_f32 v11, v11, v91 :: v_dual_add_f32 v9, v9, v17
	v_dual_mul_f32 v23, v238, v143 :: v_dual_mul_f32 v25, v244, v145
	v_dual_fmac_f32 v21, v237, v140 :: v_dual_fma_f32 v91, v236, v140, -v99
	v_dual_add_f32 v9, v9, v19 :: v_dual_add_f32 v11, v11, v89
	s_delay_alu instid0(VALU_DEP_3) | instskip(SKIP_1) | instid1(VALU_DEP_3)
	v_dual_fmac_f32 v23, v239, v142 :: v_dual_fma_f32 v89, v238, v142, -v101
	v_dual_mul_f32 v27, v246, v147 :: v_dual_mul_f32 v29, v248, v149
	v_dual_add_f32 v9, v9, v21 :: v_dual_add_f32 v11, v11, v91
	v_dual_fmac_f32 v25, v245, v144 :: v_dual_fma_f32 v91, v244, v144, -v103
	s_set_vgpr_msb 1                        ;  msbs: dst=0 src0=1 src1=0 src2=0
	v_dual_mul_f32 v33, v4 /*v260*/, v153 :: v_dual_mul_f32 v35, v6 /*v262*/, v155
	s_set_vgpr_msb 0                        ;  msbs: dst=0 src0=0 src1=0 src2=0
	v_dual_add_f32 v9, v9, v23 :: v_dual_add_f32 v11, v11, v89
	v_fmac_f32_e32 v27, v247, v146
	v_fma_f32 v87, v246, v146, -v87
	s_set_vgpr_msb 1                        ;  msbs: dst=0 src0=1 src1=0 src2=0
	v_dual_mul_f32 v17, v5 /*v261*/, v153 :: v_dual_mul_f32 v19, v7 /*v263*/, v155
	s_set_vgpr_msb 0                        ;  msbs: dst=0 src0=0 src1=0 src2=0
	v_dual_add_f32 v9, v9, v25 :: v_dual_add_f32 v11, v11, v91
	v_fmac_f32_e32 v29, v249, v148
	v_fma_f32 v13, v248, v148, -v13
	s_set_vgpr_msb 1                        ;  msbs: dst=0 src0=1 src1=0 src2=0
	v_fmac_f32_e32 v33, v5 /*v261*/, v152
	s_set_vgpr_msb 0                        ;  msbs: dst=0 src0=0 src1=0 src2=0
	v_add_f32_e32 v9, v9, v27
	v_add_f32_e32 v11, v11, v87
	v_fmac_f32_e32 v31, v251, v150
	v_fma_f32 v15, v250, v150, -v15
	s_set_vgpr_msb 1                        ;  msbs: dst=0 src0=1 src1=0 src2=0
	v_fma_f32 v17, v4 /*v260*/, v152, -v17
	s_set_vgpr_msb 0                        ;  msbs: dst=0 src0=0 src1=0 src2=0
	v_add_f32_e32 v9, v9, v29
	v_add_f32_e32 v11, v11, v13
	s_set_vgpr_msb 1                        ;  msbs: dst=0 src0=1 src1=0 src2=0
	v_mul_f32_e32 v13, v21 /*v277*/, v165
	v_dual_mul_f32 v37, v8 /*v264*/, v157 :: v_dual_mul_f32 v39, v10 /*v266*/, v159
	v_dual_mul_f32 v21, v9 /*v265*/, v157 :: v_dual_mul_f32 v23, v11 /*v267*/, v159
	s_set_vgpr_msb 0                        ;  msbs: dst=0 src0=0 src1=0 src2=0
	v_add_f32_e32 v11, v11, v15
	v_add_f32_e32 v9, v9, v31
	s_set_vgpr_msb 1                        ;  msbs: dst=0 src0=1 src1=0 src2=0
	v_mul_f32_e32 v15, v23 /*v279*/, v167
	v_fmac_f32_e32 v35, v7 /*v263*/, v154
	v_dual_fma_f32 v19, v6 /*v262*/, v154, -v19 :: v_dual_fmac_f32 v37, v9 /*v265*/, v156
	s_set_vgpr_msb 0                        ;  msbs: dst=0 src0=0 src1=0 src2=0
	v_add_f32_e32 v11, v11, v17
	v_add_f32_e32 v9, v9, v33
	s_set_vgpr_msb 1                        ;  msbs: dst=0 src0=1 src1=0 src2=0
	v_dual_mul_f32 v17, v25 /*v281*/, v169 :: v_dual_fma_f32 v21, v8 /*v264*/, v156, -v21
	v_dual_mul_f32 v41, v16 /*v272*/, v161 :: v_dual_mul_f32 v43, v18 /*v274*/, v163
	s_set_vgpr_msb 0                        ;  msbs: dst=0 src0=0 src1=0 src2=0
	v_add_f32_e32 v11, v11, v19
	s_set_vgpr_msb 1                        ;  msbs: dst=0 src0=1 src1=0 src2=0
	v_mul_f32_e32 v19, v27 /*v283*/, v171
	s_set_vgpr_msb 0                        ;  msbs: dst=0 src0=0 src1=0 src2=0
	v_add_f32_e32 v9, v9, v35
	s_set_vgpr_msb 1                        ;  msbs: dst=0 src0=1 src1=0 src2=0
	v_dual_mul_f32 v25, v17 /*v273*/, v161 :: v_dual_mul_f32 v27, v19 /*v275*/, v163
	v_fmac_f32_e32 v39, v11 /*v267*/, v158
	v_dual_fma_f32 v23, v10 /*v266*/, v158, -v23 :: v_dual_fmac_f32 v41, v17 /*v273*/, v160
	s_set_vgpr_msb 0                        ;  msbs: dst=0 src0=0 src1=0 src2=0
	v_add_f32_e32 v11, v11, v21
	v_add_f32_e32 v9, v9, v37
	s_set_vgpr_msb 1                        ;  msbs: dst=0 src0=1 src1=0 src2=0
	v_dual_mul_f32 v21, v29 /*v285*/, v173 :: v_dual_fma_f32 v25, v16 /*v272*/, v160, -v25
	v_dual_mul_f32 v45, v20 /*v276*/, v165 :: v_dual_mul_f32 v47, v22 /*v278*/, v167
	s_set_vgpr_msb 0                        ;  msbs: dst=0 src0=0 src1=0 src2=0
	v_add_f32_e32 v11, v11, v23
	s_set_vgpr_msb 1                        ;  msbs: dst=0 src0=1 src1=0 src2=0
	v_mul_f32_e32 v23, v31 /*v287*/, v175
	s_set_vgpr_msb 0                        ;  msbs: dst=0 src0=0 src1=0 src2=0
	v_add_f32_e32 v9, v9, v39
	s_set_vgpr_msb 1                        ;  msbs: dst=0 src0=1 src1=0 src2=0
	v_fmac_f32_e32 v43, v19 /*v275*/, v162
	v_dual_fma_f32 v27, v18 /*v274*/, v162, -v27 :: v_dual_fmac_f32 v45, v21 /*v277*/, v164
	s_set_vgpr_msb 0                        ;  msbs: dst=0 src0=0 src1=0 src2=0
	v_add_f32_e32 v11, v11, v25
	v_add_f32_e32 v9, v9, v41
	s_set_vgpr_msb 1                        ;  msbs: dst=0 src0=1 src1=0 src2=0
	v_dual_mul_f32 v25, v33 /*v289*/, v177 :: v_dual_fma_f32 v13, v20 /*v276*/, v164, -v13
	v_dual_mul_f32 v49, v24 /*v280*/, v169 :: v_dual_mul_f32 v51, v26 /*v282*/, v171
	s_set_vgpr_msb 0                        ;  msbs: dst=0 src0=0 src1=0 src2=0
	v_add_f32_e32 v11, v11, v27
	s_set_vgpr_msb 1                        ;  msbs: dst=0 src0=1 src1=0 src2=0
	v_mul_f32_e32 v27, v35 /*v291*/, v179
	s_set_vgpr_msb 0                        ;  msbs: dst=0 src0=0 src1=0 src2=0
	v_add_f32_e32 v9, v9, v43
	s_set_vgpr_msb 1                        ;  msbs: dst=0 src0=1 src1=0 src2=0
	;; [unrolled: 15-line block ×9, first 2 shown]
	v_dual_fmac_f32 v75, v51 /*v307*/, v194 :: v_dual_fmac_f32 v77, v53 /*v309*/, v196
	v_dual_fma_f32 v27, v50 /*v306*/, v194, -v27 :: v_dual_fma_f32 v13, v52 /*v308*/, v196, -v13
	s_set_vgpr_msb 0                        ;  msbs: dst=0 src0=0 src1=0 src2=0
	v_add_f32_e32 v11, v11, v25
	v_add_f32_e32 v9, v9, v73
	s_set_vgpr_msb 1                        ;  msbs: dst=0 src0=1 src1=0 src2=0
	v_dual_mul_f32 v81, v56 /*v312*/, v201 :: v_dual_mul_f32 v83, v58 /*v314*/, v203
	s_wait_loadcnt 0x5
	s_set_vgpr_msb 0                        ;  msbs: dst=0 src0=0 src1=0 src2=0
	v_dual_mul_f32 v25, v241, v209 :: v_dual_add_f32 v11, v11, v27
	v_dual_add_f32 v9, v9, v75 :: v_dual_mov_b32 v128, v211
	s_set_vgpr_msb 1                        ;  msbs: dst=0 src0=1 src1=0 src2=0
	v_dual_fmac_f32 v79, v55 /*v311*/, v198 :: v_dual_fmac_f32 v81, v57 /*v313*/, v200
	v_fma_f32 v15, v54 /*v310*/, v198, -v15
	s_set_vgpr_msb 0                        ;  msbs: dst=0 src0=0 src1=0 src2=0
	v_add_f32_e32 v11, v11, v13
	s_set_vgpr_msb 1                        ;  msbs: dst=0 src0=1 src1=0 src2=0
	v_fma_f32 v13, v56 /*v312*/, v200, -v17
	s_set_vgpr_msb 0                        ;  msbs: dst=0 src0=0 src1=0 src2=0
	v_add_f32_e32 v9, v9, v77
	s_set_vgpr_msb 1                        ;  msbs: dst=0 src0=1 src1=0 src2=0
	v_dual_fmac_f32 v83, v59 /*v315*/, v202 :: v_dual_fmac_f32 v85, v61 /*v317*/, v204
	s_set_vgpr_msb 0                        ;  msbs: dst=0 src0=0 src1=0 src2=0
	v_add_f32_e32 v11, v11, v15
	s_set_vgpr_msb 1                        ;  msbs: dst=0 src0=1 src1=0 src2=0
	v_fma_f32 v15, v58 /*v314*/, v202, -v19
	s_wait_loadcnt 0x4
	s_set_vgpr_msb 0                        ;  msbs: dst=0 src0=0 src1=0 src2=0
	v_dual_add_f32 v9, v9, v79 :: v_dual_mov_b32 v132, v215
	s_set_vgpr_msb 0x41                     ;  msbs: dst=1 src0=1 src1=0 src2=0
	v_dual_mul_f32 v79 /*v335*/, v62 /*v318*/, v207 :: v_dual_fma_f32 v78 /*v334*/, v62 /*v318*/, v206, -v23
	s_set_vgpr_msb 1                        ;  msbs: dst=0 src0=1 src1=0 src2=0
	v_pk_mul_f32 v[128:129], v[70:71] /*v[326:327]*/, v[128:129] op_sel_hi:[1,0]
	s_set_vgpr_msb 0                        ;  msbs: dst=0 src0=0 src1=0 src2=0
	v_add_f32_e32 v9, v9, v81
	v_add_f32_e32 v11, v11, v13
	s_set_vgpr_msb 1                        ;  msbs: dst=0 src0=1 src1=0 src2=0
	v_fma_f32 v13, v60 /*v316*/, v204, -v21
	s_set_vgpr_msb 64                       ;  msbs: dst=1 src0=0 src1=0 src2=0
	v_dual_mul_f32 v81 /*v337*/, v240, v209 :: v_dual_fma_f32 v80 /*v336*/, v240, v208, -v25
	s_set_vgpr_msb 0                        ;  msbs: dst=0 src0=0 src1=0 src2=0
	v_add_f32_e32 v9, v9, v83
	v_add_f32_e32 v11, v11, v15
	s_set_vgpr_msb 0x41                     ;  msbs: dst=1 src0=1 src1=0 src2=0
	v_fmac_f32_e32 v79 /*v335*/, v63 /*v319*/, v206
	s_set_vgpr_msb 0                        ;  msbs: dst=0 src0=0 src1=0 src2=0
	v_pk_fma_f32 v[140:141], v[242:243], v[210:211], v[128:129] op_sel_hi:[1,0,1]
	v_pk_fma_f32 v[128:129], v[242:243], v[210:211], v[128:129] neg_lo:[0,0,1] neg_hi:[0,0,1]
	v_add_f32_e32 v137, v9, v85
	v_add_f32_e32 v136, v11, v13
	v_pk_mul_f32 v[130:131], v[252:253], v[212:213] op_sel:[1,1] op_sel_hi:[0,1]
	s_set_vgpr_msb 64                       ;  msbs: dst=1 src0=0 src1=0 src2=0
	v_fmac_f32_e32 v81 /*v337*/, v241, v208
	s_set_vgpr_msb 0                        ;  msbs: dst=0 src0=0 src1=0 src2=0
	v_mov_b32_e32 v129, v141
	s_set_vgpr_msb 1                        ;  msbs: dst=0 src0=1 src1=0 src2=0
	v_pk_mul_f32 v[132:133], v[72:73] /*v[328:329]*/, v[132:133] op_sel_hi:[1,0]
	s_set_vgpr_msb 4                        ;  msbs: dst=0 src0=0 src1=1 src2=0
	v_pk_add_f32 v[136:137], v[136:137], v[78:79] /*v[334:335]*/
	s_set_vgpr_msb 0                        ;  msbs: dst=0 src0=0 src1=0 src2=0
	v_pk_fma_f32 v[142:143], v[252:253], v[212:213], v[130:131] op_sel_hi:[1,0,1]
	v_pk_fma_f32 v[130:131], v[252:253], v[212:213], v[130:131] neg_lo:[0,0,1] neg_hi:[0,0,1]
	s_wait_loadcnt 0x3
	s_set_vgpr_msb 1                        ;  msbs: dst=0 src0=1 src1=0 src2=0
	v_pk_mul_f32 v[134:135], v[0:1] /*v[256:257]*/, v[216:217] op_sel:[1,1] op_sel_hi:[0,1]
	s_set_vgpr_msb 4                        ;  msbs: dst=0 src0=0 src1=1 src2=0
	v_mov_b32_e32 v138, v219
	v_pk_add_f32 v[136:137], v[136:137], v[80:81] /*v[336:337]*/
	v_mov_b32_e32 v131, v143
	s_set_vgpr_msb 0                        ;  msbs: dst=0 src0=0 src1=0 src2=0
	v_pk_fma_f32 v[142:143], v[254:255], v[214:215], v[132:133] op_sel_hi:[1,0,1]
	v_pk_fma_f32 v[132:133], v[254:255], v[214:215], v[132:133] neg_lo:[0,0,1] neg_hi:[0,0,1]
	s_set_vgpr_msb 1                        ;  msbs: dst=0 src0=1 src1=0 src2=0
	v_pk_mul_f32 v[138:139], v[74:75] /*v[330:331]*/, v[138:139] op_sel_hi:[1,0]
	s_set_vgpr_msb 0                        ;  msbs: dst=0 src0=0 src1=0 src2=0
	v_pk_add_f32 v[128:129], v[136:137], v[128:129]
	s_set_vgpr_msb 1                        ;  msbs: dst=0 src0=1 src1=0 src2=0
	v_pk_fma_f32 v[136:137], v[0:1] /*v[256:257]*/, v[216:217], v[134:135] op_sel_hi:[1,0,1]
	s_set_vgpr_msb 0                        ;  msbs: dst=0 src0=0 src1=0 src2=0
	v_mov_b32_e32 v133, v143
	s_set_vgpr_msb 1                        ;  msbs: dst=0 src0=1 src1=0 src2=0
	v_pk_fma_f32 v[134:135], v[0:1] /*v[256:257]*/, v[216:217], v[134:135] neg_lo:[0,0,1] neg_hi:[0,0,1]
	s_wait_loadcnt 0x2
	v_pk_mul_f32 v[140:141], v[12:13] /*v[268:269]*/, v[220:221] op_sel:[1,1] op_sel_hi:[0,1]
	s_set_vgpr_msb 0                        ;  msbs: dst=0 src0=0 src1=0 src2=0
	v_pk_add_f32 v[128:129], v[128:129], v[130:131]
	v_dual_mov_b32 v130, v223 :: v_dual_mov_b32 v135, v137
	s_set_vgpr_msb 1                        ;  msbs: dst=0 src0=1 src1=0 src2=0
	v_pk_fma_f32 v[136:137], v[2:3] /*v[258:259]*/, v[218:219], v[138:139] op_sel_hi:[1,0,1]
	v_pk_fma_f32 v[138:139], v[2:3] /*v[258:259]*/, v[218:219], v[138:139] neg_lo:[0,0,1] neg_hi:[0,0,1]
	s_set_vgpr_msb 0                        ;  msbs: dst=0 src0=0 src1=0 src2=0
	v_pk_add_f32 v[128:129], v[128:129], v[132:133]
	s_set_vgpr_msb 1                        ;  msbs: dst=0 src0=1 src1=0 src2=0
	v_pk_fma_f32 v[132:133], v[12:13] /*v[268:269]*/, v[220:221], v[140:141] op_sel_hi:[1,0,1]
	v_pk_mul_f32 v[130:131], v[76:77] /*v[332:333]*/, v[130:131] op_sel_hi:[1,0]
	s_set_vgpr_msb 0                        ;  msbs: dst=0 src0=0 src1=0 src2=0
	v_mov_b32_e32 v139, v137
	s_wait_loadcnt_dscnt 0x100
	s_set_vgpr_msb 5                        ;  msbs: dst=0 src0=1 src1=1 src2=0
	v_pk_mul_f32 v[136:137], v[68:69] /*v[324:325]*/, v[64:65] /*v[320:321]*/ op_sel:[1,1] op_sel_hi:[0,1]
	s_set_vgpr_msb 0                        ;  msbs: dst=0 src0=0 src1=0 src2=0
	v_pk_add_f32 v[128:129], v[128:129], v[134:135]
	s_set_vgpr_msb 1                        ;  msbs: dst=0 src0=1 src1=0 src2=0
	v_pk_fma_f32 v[134:135], v[12:13] /*v[268:269]*/, v[220:221], v[140:141] neg_lo:[0,0,1] neg_hi:[0,0,1]
	s_set_vgpr_msb 0                        ;  msbs: dst=0 src0=0 src1=0 src2=0
	v_mov_b32_e32 v135, v133
	s_set_vgpr_msb 1                        ;  msbs: dst=0 src0=1 src1=0 src2=0
	v_pk_fma_f32 v[132:133], v[14:15] /*v[270:271]*/, v[222:223], v[130:131] op_sel_hi:[1,0,1]
	v_pk_fma_f32 v[130:131], v[14:15] /*v[270:271]*/, v[222:223], v[130:131] neg_lo:[0,0,1] neg_hi:[0,0,1]
	s_set_vgpr_msb 0                        ;  msbs: dst=0 src0=0 src1=0 src2=0
	v_pk_add_f32 v[128:129], v[128:129], v[138:139]
	s_delay_alu instid0(VALU_DEP_3)
	v_mov_b32_e32 v131, v133
	s_set_vgpr_msb 5                        ;  msbs: dst=0 src0=1 src1=1 src2=0
	v_pk_fma_f32 v[132:133], v[68:69] /*v[324:325]*/, v[64:65] /*v[320:321]*/, v[136:137] op_sel_hi:[1,0,1]
	s_set_vgpr_msb 0                        ;  msbs: dst=0 src0=0 src1=0 src2=0
	v_pk_add_f32 v[128:129], v[128:129], v[134:135]
	s_set_vgpr_msb 5                        ;  msbs: dst=0 src0=1 src1=1 src2=0
	v_pk_fma_f32 v[134:135], v[68:69] /*v[324:325]*/, v[64:65] /*v[320:321]*/, v[136:137] neg_lo:[0,0,1] neg_hi:[0,0,1]
	s_set_vgpr_msb 0                        ;  msbs: dst=0 src0=0 src1=0 src2=0
	v_mov_b32_e32 v135, v133
	v_pk_add_f32 v[128:129], v[128:129], v[130:131]
	s_delay_alu instid0(VALU_DEP_1) | instskip(SKIP_2) | instid1(VALU_DEP_1)
	v_pk_add_f32 v[128:129], v[128:129], v[134:135]
	s_wait_loadcnt 0x0
	s_set_vgpr_msb 1                        ;  msbs: dst=0 src0=1 src1=0 src2=0
	v_pk_add_f32 v[128:129], v[66:67] /*v[322:323]*/, v[128:129] neg_lo:[0,1] neg_hi:[0,1]
	scratch_store_b64 off, v[128:129], off offset:104
	s_wait_xcnt 0x0
	v_cmpx_lt_u32_e32 12, v0
	s_set_vgpr_msb 0                        ;  msbs: dst=0 src0=0 src1=0 src2=0
	s_cbranch_execz .LBB62_367
; %bb.366:
	scratch_load_b64 v[128:129], off, off offset:96
	v_mov_b64_e32 v[130:131], 0
	scratch_store_b64 off, v[130:131], off offset:96
	s_wait_loadcnt 0x0
	ds_store_b64 v1, v[128:129]
.LBB62_367:
	s_wait_xcnt 0x0
	s_or_b32 exec_lo, exec_lo, s0
	s_wait_storecnt_dscnt 0x0
	s_barrier_signal -1
	s_barrier_wait -1
	s_clause 0x18
	scratch_load_b128 v[128:131], off, off offset:104
	scratch_load_b128 v[132:135], off, off offset:120
	;; [unrolled: 1-line block ×25, first 2 shown]
	ds_load_2addr_b64 v[228:231], v5 offset0:77 offset1:78
	ds_load_2addr_b64 v[232:235], v5 offset0:79 offset1:80
	;; [unrolled: 1-line block ×7, first 2 shown]
	s_set_vgpr_msb 64                       ;  msbs: dst=1 src0=0 src1=0 src2=0
	ds_load_2addr_b64 v[0:3] /*v[256:259]*/, v5 offset0:87 offset1:88
	ds_load_2addr_b64 v[4:7] /*v[260:263]*/, v5 offset0:121 offset1:122
	;; [unrolled: 1-line block ×12, first 2 shown]
	scratch_load_b64 v[72:73] /*v[328:329]*/, off, off offset:96
	ds_load_2addr_b64 v[48:51] /*v[304:307]*/, v5 offset0:105 offset1:106
	ds_load_2addr_b64 v[52:55] /*v[308:311]*/, v5 offset0:107 offset1:108
	;; [unrolled: 1-line block ×6, first 2 shown]
	s_mov_b32 s0, exec_lo
	s_wait_dscnt 0x13
	v_dual_mov_b32 v74 /*v330*/, v251 :: v_dual_mov_b32 v75 /*v331*/, v250
	s_wait_dscnt 0x10
	s_set_vgpr_msb 0x41                     ;  msbs: dst=1 src0=1 src1=0 src2=0
	v_dual_mov_b32 v76 /*v332*/, v7 /*v263*/ :: v_dual_mov_b32 v77 /*v333*/, v6 /*v262*/
	s_wait_dscnt 0xf
	v_dual_mov_b32 v78 /*v334*/, v11 /*v267*/ :: v_dual_mov_b32 v79 /*v335*/, v10 /*v266*/
	s_wait_dscnt 0xc
	v_dual_mov_b32 v80 /*v336*/, v23 /*v279*/ :: v_dual_mov_b32 v81 /*v337*/, v22 /*v278*/
	s_wait_loadcnt 0x19
	s_set_vgpr_msb 0                        ;  msbs: dst=0 src0=0 src1=0 src2=0
	v_dual_mul_f32 v5, v228, v129 :: v_dual_mul_f32 v9, v230, v131
	v_dual_mul_f32 v87, v229, v129 :: v_dual_mul_f32 v89, v231, v131
	s_wait_loadcnt 0x18
	v_dual_mul_f32 v11, v232, v133 :: v_dual_mul_f32 v13, v234, v135
	s_delay_alu instid0(VALU_DEP_2) | instskip(SKIP_3) | instid1(VALU_DEP_3)
	v_dual_fmac_f32 v5, v229, v128 :: v_dual_fma_f32 v87, v228, v128, -v87
	v_dual_mul_f32 v91, v233, v133 :: v_dual_mul_f32 v93, v235, v135
	s_wait_loadcnt 0x16
	v_dual_mul_f32 v99, v241, v141 :: v_dual_fmac_f32 v9, v231, v130
	v_dual_fma_f32 v89, v230, v130, -v89 :: v_dual_add_f32 v5, 0, v5
	v_dual_add_f32 v87, 0, v87 :: v_dual_fmac_f32 v11, v233, v132
	v_dual_mul_f32 v101, v243, v143 :: v_dual_fma_f32 v91, v232, v132, -v91
	s_delay_alu instid0(VALU_DEP_3) | instskip(NEXT) | instid1(VALU_DEP_3)
	v_dual_add_f32 v5, v5, v9 :: v_dual_fmac_f32 v13, v235, v134
	v_dual_add_f32 v9, v87, v89 :: v_dual_fma_f32 v89, v234, v134, -v93
	v_dual_mul_f32 v15, v236, v137 :: v_dual_mul_f32 v17, v238, v139
	v_dual_mul_f32 v95, v237, v137 :: v_dual_mul_f32 v97, v239, v139
	s_delay_alu instid0(VALU_DEP_4) | instskip(NEXT) | instid1(VALU_DEP_3)
	v_add_f32_e32 v5, v5, v11
	v_dual_add_f32 v9, v9, v91 :: v_dual_fmac_f32 v17, v239, v138
	v_dual_mul_f32 v19, v240, v141 :: v_dual_mul_f32 v21, v242, v143
	v_fmac_f32_e32 v15, v237, v136
	s_delay_alu instid0(VALU_DEP_4) | instskip(NEXT) | instid1(VALU_DEP_3)
	v_dual_fma_f32 v91, v236, v136, -v95 :: v_dual_add_f32 v5, v5, v13
	v_dual_add_f32 v9, v9, v89 :: v_dual_fmac_f32 v21, v243, v142
	s_wait_loadcnt 0x15
	v_dual_mul_f32 v87, v253, v145 :: v_dual_mul_f32 v11, v255, v147
	s_delay_alu instid0(VALU_DEP_2) | instskip(SKIP_3) | instid1(VALU_DEP_4)
	v_dual_fma_f32 v89, v238, v138, -v97 :: v_dual_add_f32 v9, v9, v91
	v_dual_fma_f32 v91, v240, v140, -v99 :: v_dual_add_f32 v5, v5, v15
	v_dual_mul_f32 v23, v252, v145 :: v_dual_mul_f32 v25, v254, v147
	v_fmac_f32_e32 v19, v241, v140
	v_dual_fma_f32 v87, v252, v144, -v87 :: v_dual_add_f32 v9, v9, v89
	s_delay_alu instid0(VALU_DEP_4) | instskip(NEXT) | instid1(VALU_DEP_4)
	v_dual_fma_f32 v89, v242, v142, -v101 :: v_dual_add_f32 v5, v5, v17
	v_dual_fma_f32 v11, v254, v146, -v11 :: v_dual_fmac_f32 v25, v255, v146
	s_wait_loadcnt 0x4
	v_pk_mul_f32 v[128:129], v[248:249], v[212:213] op_sel:[1,1] op_sel_hi:[0,1]
	s_delay_alu instid0(VALU_DEP_3) | instskip(SKIP_2) | instid1(VALU_DEP_3)
	v_dual_mov_b32 v130, v215 :: v_dual_add_f32 v5, v5, v19
	s_wait_loadcnt 0x3
	v_dual_add_f32 v9, v9, v91 :: v_dual_mov_b32 v134, v219
	v_pk_fma_f32 v[138:139], v[248:249], v[212:213], v[128:129] op_sel_hi:[1,0,1]
	s_set_vgpr_msb 1                        ;  msbs: dst=0 src0=1 src1=0 src2=0
	v_pk_mul_f32 v[130:131], v[74:75] /*v[330:331]*/, v[130:131] op_sel_hi:[1,0]
	s_set_vgpr_msb 0                        ;  msbs: dst=0 src0=0 src1=0 src2=0
	v_pk_fma_f32 v[128:129], v[248:249], v[212:213], v[128:129] neg_lo:[0,0,1] neg_hi:[0,0,1]
	v_fmac_f32_e32 v23, v253, v144
	v_add_f32_e32 v9, v9, v89
	s_set_vgpr_msb 1                        ;  msbs: dst=0 src0=1 src1=0 src2=0
	v_pk_mul_f32 v[132:133], v[4:5] /*v[260:261]*/, v[216:217] op_sel:[1,1] op_sel_hi:[0,1]
	s_set_vgpr_msb 0                        ;  msbs: dst=0 src0=0 src1=0 src2=0
	v_mov_b32_e32 v129, v139
	v_pk_fma_f32 v[138:139], v[250:251], v[214:215], v[130:131] op_sel_hi:[1,0,1]
	v_add_f32_e32 v5, v5, v21
	s_set_vgpr_msb 1                        ;  msbs: dst=0 src0=1 src1=0 src2=0
	v_pk_mul_f32 v[134:135], v[76:77] /*v[332:333]*/, v[134:135] op_sel_hi:[1,0]
	s_set_vgpr_msb 0                        ;  msbs: dst=0 src0=0 src1=0 src2=0
	v_pk_fma_f32 v[130:131], v[250:251], v[214:215], v[130:131] neg_lo:[0,0,1] neg_hi:[0,0,1]
	s_set_vgpr_msb 1                        ;  msbs: dst=0 src0=1 src1=0 src2=0
	v_dual_mul_f32 v27, v0 /*v256*/, v149 :: v_dual_mul_f32 v29, v2 /*v258*/, v151
	v_dual_mul_f32 v13, v1 /*v257*/, v149 :: v_dual_mul_f32 v15, v3 /*v259*/, v151
	v_pk_fma_f32 v[142:143], v[4:5] /*v[260:261]*/, v[216:217], v[132:133] op_sel_hi:[1,0,1]
	s_set_vgpr_msb 0                        ;  msbs: dst=0 src0=0 src1=0 src2=0
	v_dual_mov_b32 v131, v139 :: v_dual_add_f32 v5, v5, v23
	s_set_vgpr_msb 1                        ;  msbs: dst=0 src0=1 src1=0 src2=0
	v_pk_fma_f32 v[138:139], v[6:7] /*v[262:263]*/, v[218:219], v[134:135] op_sel_hi:[1,0,1]
	s_set_vgpr_msb 0                        ;  msbs: dst=0 src0=0 src1=0 src2=0
	v_add_f32_e32 v9, v9, v87
	s_set_vgpr_msb 1                        ;  msbs: dst=0 src0=1 src1=0 src2=0
	v_pk_fma_f32 v[132:133], v[4:5] /*v[260:261]*/, v[216:217], v[132:133] neg_lo:[0,0,1] neg_hi:[0,0,1]
	v_pk_fma_f32 v[134:135], v[6:7] /*v[262:263]*/, v[218:219], v[134:135] neg_lo:[0,0,1] neg_hi:[0,0,1]
	v_dual_fmac_f32 v27, v1 /*v257*/, v148 :: v_dual_fma_f32 v13, v0 /*v256*/, v148, -v13
	s_set_vgpr_msb 0                        ;  msbs: dst=0 src0=0 src1=0 src2=0
	v_dual_mov_b32 v133, v143 :: v_dual_add_f32 v5, v5, v25
	v_dual_mov_b32 v135, v139 :: v_dual_add_f32 v9, v9, v11
	s_set_vgpr_msb 1                        ;  msbs: dst=0 src0=1 src1=0 src2=0
	v_dual_mul_f32 v31, v12 /*v268*/, v153 :: v_dual_mul_f32 v33, v14 /*v270*/, v155
	v_dual_mul_f32 v17, v13 /*v269*/, v153 :: v_dual_mul_f32 v19, v15 /*v271*/, v155
	s_wait_dscnt 0xb
	v_dual_mul_f32 v11, v25 /*v281*/, v161 :: v_dual_fmac_f32 v29, v3 /*v259*/, v150
	v_fma_f32 v15, v2 /*v258*/, v150, -v15
	s_set_vgpr_msb 0                        ;  msbs: dst=0 src0=0 src1=0 src2=0
	v_add_f32_e32 v5, v5, v27
	v_add_f32_e32 v9, v9, v13
	s_set_vgpr_msb 1                        ;  msbs: dst=0 src0=1 src1=0 src2=0
	v_dual_mul_f32 v13, v27 /*v283*/, v163 :: v_dual_fmac_f32 v31, v13 /*v269*/, v152
	v_fma_f32 v17, v12 /*v268*/, v152, -v17
	s_set_vgpr_msb 0                        ;  msbs: dst=0 src0=0 src1=0 src2=0
	v_add_f32_e32 v5, v5, v29
	v_add_f32_e32 v9, v9, v15
	s_set_vgpr_msb 1                        ;  msbs: dst=0 src0=1 src1=0 src2=0
	v_dual_mul_f32 v35, v16 /*v272*/, v157 :: v_dual_mul_f32 v37, v18 /*v274*/, v159
	v_dual_mul_f32 v21, v17 /*v273*/, v157 :: v_dual_mul_f32 v23, v19 /*v275*/, v159
	s_wait_dscnt 0xa
	v_dual_mul_f32 v15, v29 /*v285*/, v165 :: v_dual_fmac_f32 v33, v15 /*v271*/, v154
	v_fma_f32 v19, v14 /*v270*/, v154, -v19
	s_set_vgpr_msb 0                        ;  msbs: dst=0 src0=0 src1=0 src2=0
	v_add_f32_e32 v5, v5, v31
	v_add_f32_e32 v9, v9, v17
	s_set_vgpr_msb 1                        ;  msbs: dst=0 src0=1 src1=0 src2=0
	v_dual_mul_f32 v17, v31 /*v287*/, v167 :: v_dual_fmac_f32 v35, v17 /*v273*/, v156
	v_fma_f32 v21, v16 /*v272*/, v156, -v21
	s_set_vgpr_msb 0                        ;  msbs: dst=0 src0=0 src1=0 src2=0
	v_add_f32_e32 v5, v5, v33
	v_add_f32_e32 v9, v9, v19
	s_set_vgpr_msb 1                        ;  msbs: dst=0 src0=1 src1=0 src2=0
	v_dual_mul_f32 v39, v24 /*v280*/, v161 :: v_dual_mul_f32 v41, v26 /*v282*/, v163
	s_wait_dscnt 0x9
	v_dual_mul_f32 v19, v33 /*v289*/, v169 :: v_dual_fmac_f32 v37, v19 /*v275*/, v158
	v_fma_f32 v23, v18 /*v274*/, v158, -v23
	s_set_vgpr_msb 0                        ;  msbs: dst=0 src0=0 src1=0 src2=0
	v_add_f32_e32 v5, v5, v35
	v_add_f32_e32 v9, v9, v21
	s_set_vgpr_msb 1                        ;  msbs: dst=0 src0=1 src1=0 src2=0
	v_dual_mul_f32 v21, v35 /*v291*/, v171 :: v_dual_fmac_f32 v39, v25 /*v281*/, v160
	v_dual_fmac_f32 v41, v27 /*v283*/, v162 :: v_dual_fma_f32 v11, v24 /*v280*/, v160, -v11
	s_set_vgpr_msb 0                        ;  msbs: dst=0 src0=0 src1=0 src2=0
	v_add_f32_e32 v5, v5, v37
	v_add_f32_e32 v9, v9, v23
	s_set_vgpr_msb 1                        ;  msbs: dst=0 src0=1 src1=0 src2=0
	v_dual_mul_f32 v43, v28 /*v284*/, v165 :: v_dual_mul_f32 v45, v30 /*v286*/, v167
	s_wait_dscnt 0x8
	v_dual_mul_f32 v23, v37 /*v293*/, v173 :: v_dual_fma_f32 v13, v26 /*v282*/, v162, -v13
	s_set_vgpr_msb 0                        ;  msbs: dst=0 src0=0 src1=0 src2=0
	v_add_f32_e32 v5, v5, v39
	v_add_f32_e32 v9, v9, v11
	s_set_vgpr_msb 1                        ;  msbs: dst=0 src0=1 src1=0 src2=0
	v_dual_mul_f32 v11, v39 /*v295*/, v175 :: v_dual_fmac_f32 v43, v29 /*v285*/, v164
	v_dual_fmac_f32 v45, v31 /*v287*/, v166 :: v_dual_fma_f32 v15, v28 /*v284*/, v164, -v15
	s_set_vgpr_msb 0                        ;  msbs: dst=0 src0=0 src1=0 src2=0
	v_add_f32_e32 v5, v5, v41
	v_add_f32_e32 v9, v9, v13
	s_set_vgpr_msb 1                        ;  msbs: dst=0 src0=1 src1=0 src2=0
	v_dual_mul_f32 v47, v32 /*v288*/, v169 :: v_dual_mul_f32 v49, v34 /*v290*/, v171
	s_wait_dscnt 0x7
	v_dual_mul_f32 v13, v41 /*v297*/, v177 :: v_dual_fma_f32 v17, v30 /*v286*/, v166, -v17
	;; [unrolled: 13-line block ×4, first 2 shown]
	s_set_vgpr_msb 0                        ;  msbs: dst=0 src0=0 src1=0 src2=0
	v_add_f32_e32 v5, v5, v51
	v_add_f32_e32 v9, v9, v23
	s_set_vgpr_msb 1                        ;  msbs: dst=0 src0=1 src1=0 src2=0
	v_dual_mul_f32 v23, v51 /*v307*/, v187 :: v_dual_fmac_f32 v55, v41 /*v297*/, v176
	v_fma_f32 v13, v40 /*v296*/, v176, -v13
	s_set_vgpr_msb 0                        ;  msbs: dst=0 src0=0 src1=0 src2=0
	v_add_f32_e32 v5, v5, v53
	v_add_f32_e32 v9, v9, v11
	s_set_vgpr_msb 1                        ;  msbs: dst=0 src0=1 src1=0 src2=0
	v_dual_mul_f32 v59, v44 /*v300*/, v181 :: v_dual_mul_f32 v61, v46 /*v302*/, v183
	s_wait_dscnt 0x4
	v_dual_mul_f32 v11, v53 /*v309*/, v189 :: v_dual_fmac_f32 v57, v43 /*v299*/, v178
	v_fma_f32 v15, v42 /*v298*/, v178, -v15
	s_set_vgpr_msb 0                        ;  msbs: dst=0 src0=0 src1=0 src2=0
	v_add_f32_e32 v5, v5, v55
	v_add_f32_e32 v9, v9, v13
	s_set_vgpr_msb 1                        ;  msbs: dst=0 src0=1 src1=0 src2=0
	v_dual_mul_f32 v13, v55 /*v311*/, v191 :: v_dual_fmac_f32 v59, v45 /*v301*/, v180
	v_fma_f32 v17, v44 /*v300*/, v180, -v17
	s_set_vgpr_msb 0                        ;  msbs: dst=0 src0=0 src1=0 src2=0
	v_add_f32_e32 v5, v5, v57
	v_add_f32_e32 v9, v9, v15
	s_set_vgpr_msb 1                        ;  msbs: dst=0 src0=1 src1=0 src2=0
	v_dual_mul_f32 v63, v48 /*v304*/, v185 :: v_dual_mul_f32 v65, v50 /*v306*/, v187
	s_wait_dscnt 0x3
	v_dual_mul_f32 v15, v57 /*v313*/, v193 :: v_dual_fmac_f32 v61, v47 /*v303*/, v182
	v_fma_f32 v19, v46 /*v302*/, v182, -v19
	;; [unrolled: 14-line block ×3, first 2 shown]
	s_set_vgpr_msb 0                        ;  msbs: dst=0 src0=0 src1=0 src2=0
	v_add_f32_e32 v5, v5, v63
	v_add_f32_e32 v9, v9, v21
	s_set_vgpr_msb 1                        ;  msbs: dst=0 src0=1 src1=0 src2=0
	v_dual_mul_f32 v21, v63 /*v319*/, v199 :: v_dual_fmac_f32 v67, v53 /*v309*/, v188
	v_dual_fmac_f32 v69, v55 /*v311*/, v190 :: v_dual_fma_f32 v11, v52 /*v308*/, v188, -v11
	s_set_vgpr_msb 0                        ;  msbs: dst=0 src0=0 src1=0 src2=0
	v_add_f32_e32 v5, v5, v65
	v_add_f32_e32 v9, v9, v23
	s_set_vgpr_msb 1                        ;  msbs: dst=0 src0=1 src1=0 src2=0
	v_dual_mul_f32 v71, v56 /*v312*/, v193 :: v_dual_mul_f32 v73, v58 /*v314*/, v195
	s_wait_dscnt 0x1
	v_dual_mul_f32 v23, v65 /*v321*/, v201 :: v_dual_fma_f32 v13, v54 /*v310*/, v190, -v13
	s_set_vgpr_msb 0                        ;  msbs: dst=0 src0=0 src1=0 src2=0
	v_add_f32_e32 v5, v5, v67
	v_add_f32_e32 v9, v9, v11
	s_set_vgpr_msb 1                        ;  msbs: dst=0 src0=1 src1=0 src2=0
	v_dual_mul_f32 v11, v67 /*v323*/, v203 :: v_dual_fmac_f32 v71, v57 /*v313*/, v192
	v_dual_fmac_f32 v73, v59 /*v315*/, v194 :: v_dual_fma_f32 v15, v56 /*v312*/, v192, -v15
	s_set_vgpr_msb 0                        ;  msbs: dst=0 src0=0 src1=0 src2=0
	v_add_f32_e32 v5, v5, v69
	v_add_f32_e32 v9, v9, v13
	s_set_vgpr_msb 1                        ;  msbs: dst=0 src0=1 src1=0 src2=0
	v_dual_mul_f32 v75, v60 /*v316*/, v197 :: v_dual_mul_f32 v77, v62 /*v318*/, v199
	s_wait_dscnt 0x0
	v_dual_mul_f32 v13, v69 /*v325*/, v205 :: v_dual_fma_f32 v17, v58 /*v314*/, v194, -v17
	s_set_vgpr_msb 0                        ;  msbs: dst=0 src0=0 src1=0 src2=0
	v_add_f32_e32 v5, v5, v71
	v_add_f32_e32 v9, v9, v15
	s_set_vgpr_msb 1                        ;  msbs: dst=0 src0=1 src1=0 src2=0
	v_dual_mul_f32 v15, v71 /*v327*/, v207 :: v_dual_fmac_f32 v75, v61 /*v317*/, v196
	v_dual_fmac_f32 v77, v63 /*v319*/, v198 :: v_dual_fma_f32 v19, v60 /*v316*/, v196, -v19
	v_fma_f32 v21, v62 /*v318*/, v198, -v21
	s_set_vgpr_msb 0                        ;  msbs: dst=0 src0=0 src1=0 src2=0
	v_add_f32_e32 v5, v5, v73
	v_add_f32_e32 v9, v9, v17
	s_set_vgpr_msb 1                        ;  msbs: dst=0 src0=1 src1=0 src2=0
	v_dual_mul_f32 v79, v64 /*v320*/, v201 :: v_dual_mul_f32 v81, v66 /*v322*/, v203
	v_dual_mul_f32 v83, v68 /*v324*/, v205 :: v_dual_mul_f32 v85, v70 /*v326*/, v207
	s_set_vgpr_msb 0                        ;  msbs: dst=0 src0=0 src1=0 src2=0
	v_add_f32_e32 v5, v5, v75
	v_add_f32_e32 v9, v9, v19
	s_set_vgpr_msb 1                        ;  msbs: dst=0 src0=1 src1=0 src2=0
	v_dual_fmac_f32 v79, v65 /*v321*/, v200 :: v_dual_fmac_f32 v81, v67 /*v323*/, v202
	v_dual_fma_f32 v23, v64 /*v320*/, v200, -v23 :: v_dual_fmac_f32 v85, v71 /*v327*/, v206
	s_set_vgpr_msb 0                        ;  msbs: dst=0 src0=0 src1=0 src2=0
	v_add_f32_e32 v5, v5, v77
	v_add_f32_e32 v9, v9, v21
	s_set_vgpr_msb 1                        ;  msbs: dst=0 src0=1 src1=0 src2=0
	v_dual_fma_f32 v11, v66 /*v322*/, v202, -v11 :: v_dual_fma_f32 v13, v68 /*v324*/, v204, -v13
	v_fmac_f32_e32 v83, v69 /*v325*/, v204
	s_set_vgpr_msb 0                        ;  msbs: dst=0 src0=0 src1=0 src2=0
	v_add_f32_e32 v5, v5, v79
	v_add_f32_e32 v9, v9, v23
	s_set_vgpr_msb 64                       ;  msbs: dst=1 src0=0 src1=0 src2=0
	v_dual_mul_f32 v83 /*v339*/, v244, v209 :: v_dual_mul_f32 v85 /*v341*/, v246, v211
	s_set_vgpr_msb 0                        ;  msbs: dst=0 src0=0 src1=0 src2=0
	v_mul_f32_e32 v17, v245, v209
	v_add_f32_e32 v5, v5, v81
	v_add_f32_e32 v9, v9, v11
	s_set_vgpr_msb 1                        ;  msbs: dst=0 src0=1 src1=0 src2=0
	v_fma_f32 v11, v70 /*v326*/, v206, -v15
	s_set_vgpr_msb 0                        ;  msbs: dst=0 src0=0 src1=0 src2=0
	v_mul_f32_e32 v19, v247, v211
	s_set_vgpr_msb 64                       ;  msbs: dst=1 src0=0 src1=0 src2=0
	v_dual_fmac_f32 v83 /*v339*/, v245, v208 :: v_dual_fmac_f32 v85 /*v341*/, v247, v210
	s_set_vgpr_msb 0                        ;  msbs: dst=0 src0=0 src1=0 src2=0
	v_add_f32_e32 v5, v5, v83
	v_add_f32_e32 v9, v9, v13
	s_set_vgpr_msb 64                       ;  msbs: dst=1 src0=0 src1=0 src2=0
	v_dual_fma_f32 v82 /*v338*/, v244, v208, -v17 :: v_dual_fma_f32 v84 /*v340*/, v246, v210, -v19
	s_wait_loadcnt 0x2
	s_set_vgpr_msb 1                        ;  msbs: dst=0 src0=1 src1=0 src2=0
	v_pk_mul_f32 v[140:141], v[8:9] /*v[264:265]*/, v[220:221] op_sel:[1,1] op_sel_hi:[0,1]
	s_set_vgpr_msb 0                        ;  msbs: dst=0 src0=0 src1=0 src2=0
	v_add_f32_e32 v137, v5, v85
	v_add_f32_e32 v136, v9, v11
	s_set_vgpr_msb 1                        ;  msbs: dst=0 src0=1 src1=0 src2=0
	v_pk_fma_f32 v[138:139], v[8:9] /*v[264:265]*/, v[220:221], v[140:141] neg_lo:[0,0,1] neg_hi:[0,0,1]
	s_set_vgpr_msb 4                        ;  msbs: dst=0 src0=0 src1=1 src2=0
	s_delay_alu instid0(VALU_DEP_2) | instskip(NEXT) | instid1(VALU_DEP_1)
	v_pk_add_f32 v[136:137], v[136:137], v[82:83] /*v[338:339]*/
	v_pk_add_f32 v[136:137], v[136:137], v[84:85] /*v[340:341]*/
	s_set_vgpr_msb 0                        ;  msbs: dst=0 src0=0 src1=0 src2=0
	s_delay_alu instid0(VALU_DEP_1) | instskip(SKIP_1) | instid1(VALU_DEP_2)
	v_pk_add_f32 v[128:129], v[136:137], v[128:129]
	v_mov_b32_e32 v136, v223
	v_pk_add_f32 v[128:129], v[128:129], v[130:131]
	s_set_vgpr_msb 1                        ;  msbs: dst=0 src0=1 src1=0 src2=0
	v_pk_fma_f32 v[130:131], v[8:9] /*v[264:265]*/, v[220:221], v[140:141] op_sel_hi:[1,0,1]
	s_delay_alu instid0(VALU_DEP_3) | instskip(SKIP_2) | instid1(VALU_DEP_3)
	v_pk_mul_f32 v[136:137], v[78:79] /*v[334:335]*/, v[136:137] op_sel_hi:[1,0]
	s_set_vgpr_msb 0                        ;  msbs: dst=0 src0=0 src1=0 src2=0
	v_pk_add_f32 v[128:129], v[128:129], v[132:133]
	v_mov_b32_e32 v139, v131
	s_set_vgpr_msb 1                        ;  msbs: dst=0 src0=1 src1=0 src2=0
	v_pk_fma_f32 v[130:131], v[10:11] /*v[266:267]*/, v[222:223], v[136:137] op_sel_hi:[1,0,1]
	s_wait_loadcnt 0x1
	v_pk_mul_f32 v[132:133], v[20:21] /*v[276:277]*/, v[224:225] op_sel:[1,1] op_sel_hi:[0,1]
	s_set_vgpr_msb 0                        ;  msbs: dst=0 src0=0 src1=0 src2=0
	v_mov_b32_e32 v130, v227
	v_pk_add_f32 v[128:129], v[128:129], v[134:135]
	s_set_vgpr_msb 1                        ;  msbs: dst=0 src0=1 src1=0 src2=0
	v_pk_fma_f32 v[136:137], v[10:11] /*v[266:267]*/, v[222:223], v[136:137] neg_lo:[0,0,1] neg_hi:[0,0,1]
	s_set_vgpr_msb 0                        ;  msbs: dst=0 src0=0 src1=0 src2=0
	v_mov_b32_e32 v137, v131
	s_set_vgpr_msb 1                        ;  msbs: dst=0 src0=1 src1=0 src2=0
	v_pk_fma_f32 v[134:135], v[20:21] /*v[276:277]*/, v[224:225], v[132:133] op_sel_hi:[1,0,1]
	v_pk_mul_f32 v[130:131], v[80:81] /*v[336:337]*/, v[130:131] op_sel_hi:[1,0]
	s_set_vgpr_msb 0                        ;  msbs: dst=0 src0=0 src1=0 src2=0
	v_pk_add_f32 v[128:129], v[128:129], v[138:139]
	s_set_vgpr_msb 1                        ;  msbs: dst=0 src0=1 src1=0 src2=0
	v_pk_fma_f32 v[132:133], v[20:21] /*v[276:277]*/, v[224:225], v[132:133] neg_lo:[0,0,1] neg_hi:[0,0,1]
	s_set_vgpr_msb 0                        ;  msbs: dst=0 src0=0 src1=0 src2=0
	v_mov_b32_e32 v133, v135
	s_set_vgpr_msb 1                        ;  msbs: dst=0 src0=1 src1=0 src2=0
	v_pk_fma_f32 v[134:135], v[22:23] /*v[278:279]*/, v[226:227], v[130:131] op_sel_hi:[1,0,1]
	s_set_vgpr_msb 0                        ;  msbs: dst=0 src0=0 src1=0 src2=0
	v_pk_add_f32 v[128:129], v[128:129], v[136:137]
	s_set_vgpr_msb 1                        ;  msbs: dst=0 src0=1 src1=0 src2=0
	v_pk_fma_f32 v[130:131], v[22:23] /*v[278:279]*/, v[226:227], v[130:131] neg_lo:[0,0,1] neg_hi:[0,0,1]
	s_set_vgpr_msb 0                        ;  msbs: dst=0 src0=0 src1=0 src2=0
	v_mov_b32_e32 v131, v135
	v_pk_add_f32 v[128:129], v[128:129], v[132:133]
	s_delay_alu instid0(VALU_DEP_1) | instskip(SKIP_2) | instid1(VALU_DEP_1)
	v_pk_add_f32 v[128:129], v[128:129], v[130:131]
	s_wait_loadcnt 0x0
	s_set_vgpr_msb 1                        ;  msbs: dst=0 src0=1 src1=0 src2=0
	v_pk_add_f32 v[128:129], v[72:73] /*v[328:329]*/, v[128:129] neg_lo:[0,1] neg_hi:[0,1]
	scratch_store_b64 off, v[128:129], off offset:96
	s_wait_xcnt 0x0
	v_cmpx_lt_u32_e32 11, v0
	s_set_vgpr_msb 0                        ;  msbs: dst=0 src0=0 src1=0 src2=0
	s_cbranch_execz .LBB62_369
; %bb.368:
	scratch_load_b64 v[128:129], off, off offset:88
	v_mov_b64_e32 v[130:131], 0
	scratch_store_b64 off, v[130:131], off offset:88
	s_wait_loadcnt 0x0
	ds_store_b64 v1, v[128:129]
.LBB62_369:
	s_wait_xcnt 0x0
	s_or_b32 exec_lo, exec_lo, s0
	s_wait_storecnt_dscnt 0x0
	s_barrier_signal -1
	s_barrier_wait -1
	s_clause 0x1b
	scratch_load_b128 v[128:131], off, off offset:96
	scratch_load_b128 v[132:135], off, off offset:112
	;; [unrolled: 1-line block ×25, first 2 shown]
	s_set_vgpr_msb 64                       ;  msbs: dst=1 src0=0 src1=0 src2=0
	scratch_load_b64 v[72:73] /*v[328:329]*/, off, off offset:496
	scratch_load_b64 v[74:75] /*v[330:331]*/, off, off offset:88
	s_set_vgpr_msb 0                        ;  msbs: dst=0 src0=0 src1=0 src2=0
	v_mov_b32_e32 v5, 0
	ds_load_b128 v[228:231], v5 offset:608
	ds_load_b128 v[232:235], v5 offset:624
	;; [unrolled: 1-line block ×7, first 2 shown]
	s_set_vgpr_msb 64                       ;  msbs: dst=1 src0=0 src1=0 src2=0
	ds_load_b128 v[0:3] /*v[256:259]*/, v5 offset:688
	ds_load_b128 v[4:7] /*v[260:263]*/, v5 offset:960
	;; [unrolled: 1-line block ×18, first 2 shown]
	ds_load_b64 v[76:77] /*v[332:333]*/, v5 offset:1008
	s_wait_dscnt 0x14
	v_dual_mov_b32 v78 /*v334*/, v251 :: v_dual_mov_b32 v79 /*v335*/, v250
	s_wait_dscnt 0x11
	s_set_vgpr_msb 0x41                     ;  msbs: dst=1 src0=1 src1=0 src2=0
	v_dual_mov_b32 v80 /*v336*/, v7 /*v263*/ :: v_dual_mov_b32 v81 /*v337*/, v6 /*v262*/
	s_wait_dscnt 0x10
	v_dual_mov_b32 v82 /*v338*/, v11 /*v267*/ :: v_dual_mov_b32 v83 /*v339*/, v10 /*v266*/
	s_wait_dscnt 0xd
	v_dual_mov_b32 v84 /*v340*/, v23 /*v279*/ :: v_dual_mov_b32 v85 /*v341*/, v22 /*v278*/
	s_mov_b32 s0, exec_lo
	s_wait_loadcnt 0x1a
	s_set_vgpr_msb 0                        ;  msbs: dst=0 src0=0 src1=0 src2=0
	v_dual_mul_f32 v9, v228, v129 :: v_dual_mul_f32 v75, v229, v129
	s_wait_loadcnt 0x19
	v_dual_mul_f32 v11, v230, v131 :: v_dual_mul_f32 v13, v232, v133
	s_wait_loadcnt 0x16
	v_mul_f32_e32 v27, v254, v147
	v_dual_mul_f32 v77, v231, v131 :: v_dual_mul_f32 v91, v233, v133
	v_dual_mul_f32 v103, v241, v141 :: v_dual_fma_f32 v75, v228, v128, -v75
	v_dual_fmac_f32 v9, v229, v128 :: v_dual_mul_f32 v105, v243, v143
	s_delay_alu instid0(VALU_DEP_3) | instskip(NEXT) | instid1(VALU_DEP_2)
	v_dual_fmac_f32 v11, v231, v130 :: v_dual_fma_f32 v77, v230, v130, -v77
	v_dual_add_f32 v75, 0, v75 :: v_dual_add_f32 v9, 0, v9
	v_dual_mul_f32 v15, v234, v135 :: v_dual_mul_f32 v17, v236, v137
	v_dual_mul_f32 v93, v235, v135 :: v_dual_mul_f32 v107, v253, v145
	v_dual_fma_f32 v91, v232, v132, -v91 :: v_dual_fmac_f32 v13, v233, v132
	s_delay_alu instid0(VALU_DEP_3)
	v_dual_add_f32 v9, v9, v11 :: v_dual_fmac_f32 v15, v235, v134
	v_add_f32_e32 v11, v75, v77
	s_wait_loadcnt 0x6
	v_mul_f32_e32 v97, v244, v209
	v_dual_mul_f32 v99, v237, v137 :: v_dual_mul_f32 v101, v239, v139
	v_dual_mul_f32 v75, v255, v147 :: v_dual_fma_f32 v77, v234, v134, -v93
	v_dual_add_f32 v9, v9, v13 :: v_dual_add_f32 v11, v11, v91
	v_dual_mul_f32 v19, v238, v139 :: v_dual_mul_f32 v21, v240, v141
	s_delay_alu instid0(VALU_DEP_4) | instskip(NEXT) | instid1(VALU_DEP_3)
	v_dual_fmac_f32 v17, v237, v136 :: v_dual_fma_f32 v91, v236, v136, -v99
	v_dual_add_f32 v9, v9, v15 :: v_dual_add_f32 v11, v11, v77
	s_delay_alu instid0(VALU_DEP_3) | instskip(SKIP_1) | instid1(VALU_DEP_3)
	v_dual_fmac_f32 v19, v239, v138 :: v_dual_fma_f32 v77, v238, v138, -v101
	v_dual_mul_f32 v23, v242, v143 :: v_dual_mul_f32 v25, v252, v145
	v_dual_add_f32 v9, v9, v17 :: v_dual_add_f32 v11, v11, v91
	v_dual_fmac_f32 v21, v241, v140 :: v_dual_fma_f32 v91, v240, v140, -v103
	s_delay_alu instid0(VALU_DEP_2) | instskip(NEXT) | instid1(VALU_DEP_3)
	v_dual_fmac_f32 v23, v243, v142 :: v_dual_add_f32 v9, v9, v19
	v_dual_add_f32 v11, v11, v77 :: v_dual_fma_f32 v77, v242, v142, -v105
	v_fmac_f32_e32 v25, v253, v144
	s_set_vgpr_msb 1                        ;  msbs: dst=0 src0=1 src1=0 src2=0
	v_dual_mul_f32 v29, v0 /*v256*/, v149 :: v_dual_mul_f32 v31, v2 /*v258*/, v151
	s_set_vgpr_msb 0                        ;  msbs: dst=0 src0=0 src1=0 src2=0
	v_dual_add_f32 v9, v9, v21 :: v_dual_add_f32 v11, v11, v91
	v_fma_f32 v91, v252, v144, -v107
	s_set_vgpr_msb 1                        ;  msbs: dst=0 src0=1 src1=0 src2=0
	v_dual_mul_f32 v13, v1 /*v257*/, v149 :: v_dual_mul_f32 v15, v3 /*v259*/, v151
	s_set_vgpr_msb 0                        ;  msbs: dst=0 src0=0 src1=0 src2=0
	v_dual_add_f32 v9, v9, v23 :: v_dual_add_f32 v11, v11, v77
	v_fmac_f32_e32 v27, v255, v146
	v_fma_f32 v75, v254, v146, -v75
	s_set_vgpr_msb 1                        ;  msbs: dst=0 src0=1 src1=0 src2=0
	v_fmac_f32_e32 v29, v1 /*v257*/, v148
	s_set_vgpr_msb 0                        ;  msbs: dst=0 src0=0 src1=0 src2=0
	v_dual_add_f32 v9, v9, v25 :: v_dual_add_f32 v11, v11, v91
	s_wait_dscnt 0xc
	s_set_vgpr_msb 1                        ;  msbs: dst=0 src0=1 src1=0 src2=0
	v_dual_mul_f32 v25, v25 /*v281*/, v161 :: v_dual_fma_f32 v13, v0 /*v256*/, v148, -v13
	v_dual_mul_f32 v33, v12 /*v268*/, v153 :: v_dual_mul_f32 v35, v14 /*v270*/, v155
	s_set_vgpr_msb 0                        ;  msbs: dst=0 src0=0 src1=0 src2=0
	v_add_f32_e32 v11, v11, v75
	v_add_f32_e32 v9, v9, v27
	s_set_vgpr_msb 1                        ;  msbs: dst=0 src0=1 src1=0 src2=0
	v_dual_mul_f32 v17, v13 /*v269*/, v153 :: v_dual_mul_f32 v19, v15 /*v271*/, v155
	v_mul_f32_e32 v27, v27 /*v283*/, v163
	v_fmac_f32_e32 v31, v3 /*v259*/, v150
	v_dual_fma_f32 v15, v2 /*v258*/, v150, -v15 :: v_dual_fmac_f32 v33, v13 /*v269*/, v152
	s_set_vgpr_msb 0                        ;  msbs: dst=0 src0=0 src1=0 src2=0
	v_add_f32_e32 v11, v11, v13
	v_add_f32_e32 v9, v9, v29
	s_wait_dscnt 0xb
	s_set_vgpr_msb 1                        ;  msbs: dst=0 src0=1 src1=0 src2=0
	v_dual_mul_f32 v13, v29 /*v285*/, v165 :: v_dual_fma_f32 v17, v12 /*v268*/, v152, -v17
	v_dual_mul_f32 v37, v16 /*v272*/, v157 :: v_dual_mul_f32 v39, v18 /*v274*/, v159
	s_set_vgpr_msb 0                        ;  msbs: dst=0 src0=0 src1=0 src2=0
	v_add_f32_e32 v11, v11, v15
	s_set_vgpr_msb 1                        ;  msbs: dst=0 src0=1 src1=0 src2=0
	v_mul_f32_e32 v15, v31 /*v287*/, v167
	s_set_vgpr_msb 0                        ;  msbs: dst=0 src0=0 src1=0 src2=0
	v_add_f32_e32 v9, v9, v31
	s_set_vgpr_msb 1                        ;  msbs: dst=0 src0=1 src1=0 src2=0
	v_dual_mul_f32 v21, v17 /*v273*/, v157 :: v_dual_mul_f32 v23, v19 /*v275*/, v159
	v_fmac_f32_e32 v35, v15 /*v271*/, v154
	v_dual_fma_f32 v19, v14 /*v270*/, v154, -v19 :: v_dual_fmac_f32 v37, v17 /*v273*/, v156
	s_set_vgpr_msb 0                        ;  msbs: dst=0 src0=0 src1=0 src2=0
	v_add_f32_e32 v11, v11, v17
	v_add_f32_e32 v9, v9, v33
	s_wait_dscnt 0xa
	s_set_vgpr_msb 1                        ;  msbs: dst=0 src0=1 src1=0 src2=0
	v_dual_mul_f32 v17, v33 /*v289*/, v169 :: v_dual_fma_f32 v21, v16 /*v272*/, v156, -v21
	v_dual_mul_f32 v41, v24 /*v280*/, v161 :: v_dual_mul_f32 v43, v26 /*v282*/, v163
	s_set_vgpr_msb 0                        ;  msbs: dst=0 src0=0 src1=0 src2=0
	v_add_f32_e32 v11, v11, v19
	s_set_vgpr_msb 1                        ;  msbs: dst=0 src0=1 src1=0 src2=0
	v_mul_f32_e32 v19, v35 /*v291*/, v171
	s_set_vgpr_msb 0                        ;  msbs: dst=0 src0=0 src1=0 src2=0
	v_add_f32_e32 v9, v9, v35
	s_set_vgpr_msb 1                        ;  msbs: dst=0 src0=1 src1=0 src2=0
	v_fmac_f32_e32 v39, v19 /*v275*/, v158
	v_dual_fma_f32 v23, v18 /*v274*/, v158, -v23 :: v_dual_fmac_f32 v41, v25 /*v281*/, v160
	s_set_vgpr_msb 0                        ;  msbs: dst=0 src0=0 src1=0 src2=0
	v_add_f32_e32 v11, v11, v21
	v_add_f32_e32 v9, v9, v37
	s_wait_dscnt 0x9
	s_set_vgpr_msb 1                        ;  msbs: dst=0 src0=1 src1=0 src2=0
	v_dual_mul_f32 v21, v37 /*v293*/, v173 :: v_dual_fma_f32 v25, v24 /*v280*/, v160, -v25
	v_dual_mul_f32 v45, v28 /*v284*/, v165 :: v_dual_mul_f32 v47, v30 /*v286*/, v167
	s_set_vgpr_msb 0                        ;  msbs: dst=0 src0=0 src1=0 src2=0
	v_add_f32_e32 v11, v11, v23
	s_set_vgpr_msb 1                        ;  msbs: dst=0 src0=1 src1=0 src2=0
	v_mul_f32_e32 v23, v39 /*v295*/, v175
	s_set_vgpr_msb 0                        ;  msbs: dst=0 src0=0 src1=0 src2=0
	v_add_f32_e32 v9, v9, v39
	s_set_vgpr_msb 1                        ;  msbs: dst=0 src0=1 src1=0 src2=0
	;; [unrolled: 16-line block ×10, first 2 shown]
	v_dual_fmac_f32 v79, v59 /*v315*/, v194 :: v_dual_fmac_f32 v81, v61 /*v317*/, v196
	v_dual_fma_f32 v27, v58 /*v314*/, v194, -v27 :: v_dual_fma_f32 v13, v60 /*v316*/, v196, -v13
	s_set_vgpr_msb 0                        ;  msbs: dst=0 src0=0 src1=0 src2=0
	v_add_f32_e32 v11, v11, v25
	v_add_f32_e32 v9, v9, v73
	v_mul_f32_e32 v25, v245, v209
	s_set_vgpr_msb 1                        ;  msbs: dst=0 src0=1 src1=0 src2=0
	v_dual_mul_f32 v85, v64 /*v320*/, v201 :: v_dual_mul_f32 v87, v66 /*v322*/, v203
	s_set_vgpr_msb 0                        ;  msbs: dst=0 src0=0 src1=0 src2=0
	v_add_f32_e32 v11, v11, v27
	v_add_f32_e32 v9, v9, v79
	s_set_vgpr_msb 1                        ;  msbs: dst=0 src0=1 src1=0 src2=0
	v_dual_fmac_f32 v83, v63 /*v319*/, v198 :: v_dual_fmac_f32 v85, v65 /*v321*/, v200
	v_dual_fma_f32 v15, v62 /*v318*/, v198, -v15 :: v_dual_fma_f32 v17, v64 /*v320*/, v200, -v17
	s_set_vgpr_msb 0                        ;  msbs: dst=0 src0=0 src1=0 src2=0
	v_add_f32_e32 v11, v11, v13
	v_dual_mul_f32 v27, v247, v211 :: v_dual_add_f32 v9, v9, v81
	s_set_vgpr_msb 1                        ;  msbs: dst=0 src0=1 src1=0 src2=0
	v_dual_mul_f32 v89, v68 /*v324*/, v205 :: v_dual_mul_f32 v95, v70 /*v326*/, v207
	s_wait_loadcnt 0x5
	s_set_vgpr_msb 0                        ;  msbs: dst=0 src0=0 src1=0 src2=0
	v_dual_mul_f32 v13, v249, v213 :: v_dual_add_f32 v11, v11, v15
	v_dual_add_f32 v9, v9, v83 :: v_dual_mov_b32 v130, v215
	s_set_vgpr_msb 1                        ;  msbs: dst=0 src0=1 src1=0 src2=0
	v_dual_fmac_f32 v87, v67 /*v323*/, v202 :: v_dual_fmac_f32 v89, v69 /*v325*/, v204
	v_fma_f32 v15, v66 /*v322*/, v202, -v19
	s_set_vgpr_msb 0                        ;  msbs: dst=0 src0=0 src1=0 src2=0
	v_add_f32_e32 v11, v11, v17
	s_set_vgpr_msb 1                        ;  msbs: dst=0 src0=1 src1=0 src2=0
	v_fma_f32 v17, v68 /*v324*/, v204, -v21
	s_set_vgpr_msb 0                        ;  msbs: dst=0 src0=0 src1=0 src2=0
	v_add_f32_e32 v9, v9, v85
	s_set_vgpr_msb 1                        ;  msbs: dst=0 src0=1 src1=0 src2=0
	v_fmac_f32_e32 v95, v71 /*v327*/, v206
	s_set_vgpr_msb 0                        ;  msbs: dst=0 src0=0 src1=0 src2=0
	v_dual_mul_f32 v129, v246, v211 :: v_dual_mul_f32 v131, v248, v213
	v_add_f32_e32 v11, v11, v15
	s_wait_loadcnt 0x4
	v_dual_add_f32 v9, v9, v87 :: v_dual_mov_b32 v134, v219
	s_set_vgpr_msb 1                        ;  msbs: dst=0 src0=1 src1=0 src2=0
	v_fma_f32 v15, v70 /*v326*/, v206, -v23
	s_set_vgpr_msb 0                        ;  msbs: dst=0 src0=0 src1=0 src2=0
	v_dual_fmac_f32 v97, v245, v208 :: v_dual_add_f32 v11, v11, v17
	v_dual_add_f32 v9, v9, v89 :: v_dual_fma_f32 v17, v244, v208, -v25
	v_fma_f32 v128, v246, v210, -v27
	s_set_vgpr_msb 1                        ;  msbs: dst=0 src0=1 src1=0 src2=0
	v_pk_mul_f32 v[138:139], v[78:79] /*v[334:335]*/, v[130:131] op_sel_hi:[1,0]
	s_set_vgpr_msb 0                        ;  msbs: dst=0 src0=0 src1=0 src2=0
	v_add_f32_e32 v11, v11, v15
	v_dual_add_f32 v9, v9, v95 :: v_dual_fmac_f32 v129, v247, v210
	s_set_vgpr_msb 1                        ;  msbs: dst=0 src0=1 src1=0 src2=0
	v_pk_mul_f32 v[132:133], v[4:5] /*v[260:261]*/, v[216:217] op_sel:[1,1] op_sel_hi:[0,1]
	s_wait_loadcnt 0x3
	s_set_vgpr_msb 0                        ;  msbs: dst=0 src0=0 src1=0 src2=0
	v_dual_mov_b32 v142, v223 :: v_dual_fma_f32 v130, v248, v212, -v13
	v_add_f32_e32 v141, v9, v97
	v_dual_add_f32 v140, v11, v17 :: v_dual_fmac_f32 v131, v249, v212
	v_pk_fma_f32 v[144:145], v[250:251], v[214:215], v[138:139] op_sel_hi:[1,0,1]
	v_pk_fma_f32 v[138:139], v[250:251], v[214:215], v[138:139] neg_lo:[0,0,1] neg_hi:[0,0,1]
	s_set_vgpr_msb 1                        ;  msbs: dst=0 src0=1 src1=0 src2=0
	v_pk_mul_f32 v[134:135], v[80:81] /*v[336:337]*/, v[134:135] op_sel_hi:[1,0]
	s_set_vgpr_msb 0                        ;  msbs: dst=0 src0=0 src1=0 src2=0
	v_pk_add_f32 v[128:129], v[140:141], v[128:129]
	s_set_vgpr_msb 1                        ;  msbs: dst=0 src0=1 src1=0 src2=0
	v_pk_fma_f32 v[140:141], v[4:5] /*v[260:261]*/, v[216:217], v[132:133] op_sel_hi:[1,0,1]
	s_set_vgpr_msb 0                        ;  msbs: dst=0 src0=0 src1=0 src2=0
	v_mov_b32_e32 v139, v145
	s_set_vgpr_msb 1                        ;  msbs: dst=0 src0=1 src1=0 src2=0
	v_pk_fma_f32 v[132:133], v[4:5] /*v[260:261]*/, v[216:217], v[132:133] neg_lo:[0,0,1] neg_hi:[0,0,1]
	v_pk_mul_f32 v[136:137], v[8:9] /*v[264:265]*/, v[220:221] op_sel:[1,1] op_sel_hi:[0,1]
	s_set_vgpr_msb 0                        ;  msbs: dst=0 src0=0 src1=0 src2=0
	v_pk_add_f32 v[128:129], v[128:129], v[130:131]
	v_mov_b32_e32 v133, v141
	s_set_vgpr_msb 1                        ;  msbs: dst=0 src0=1 src1=0 src2=0
	v_pk_fma_f32 v[140:141], v[6:7] /*v[262:263]*/, v[218:219], v[134:135] op_sel_hi:[1,0,1]
	v_pk_fma_f32 v[134:135], v[6:7] /*v[262:263]*/, v[218:219], v[134:135] neg_lo:[0,0,1] neg_hi:[0,0,1]
	v_pk_mul_f32 v[142:143], v[82:83] /*v[338:339]*/, v[142:143] op_sel_hi:[1,0]
	s_set_vgpr_msb 0                        ;  msbs: dst=0 src0=0 src1=0 src2=0
	v_pk_add_f32 v[128:129], v[128:129], v[138:139]
	s_set_vgpr_msb 1                        ;  msbs: dst=0 src0=1 src1=0 src2=0
	v_pk_fma_f32 v[138:139], v[8:9] /*v[264:265]*/, v[220:221], v[136:137] op_sel_hi:[1,0,1]
	s_set_vgpr_msb 0                        ;  msbs: dst=0 src0=0 src1=0 src2=0
	v_mov_b32_e32 v135, v141
	s_set_vgpr_msb 1                        ;  msbs: dst=0 src0=1 src1=0 src2=0
	v_pk_fma_f32 v[136:137], v[8:9] /*v[264:265]*/, v[220:221], v[136:137] neg_lo:[0,0,1] neg_hi:[0,0,1]
	s_wait_loadcnt 0x2
	v_pk_mul_f32 v[130:131], v[20:21] /*v[276:277]*/, v[224:225] op_sel:[1,1] op_sel_hi:[0,1]
	s_set_vgpr_msb 0                        ;  msbs: dst=0 src0=0 src1=0 src2=0
	v_pk_add_f32 v[128:129], v[128:129], v[132:133]
	v_dual_mov_b32 v132, v227 :: v_dual_mov_b32 v137, v139
	s_set_vgpr_msb 1                        ;  msbs: dst=0 src0=1 src1=0 src2=0
	v_pk_fma_f32 v[138:139], v[10:11] /*v[266:267]*/, v[222:223], v[142:143] op_sel_hi:[1,0,1]
	v_pk_fma_f32 v[140:141], v[10:11] /*v[266:267]*/, v[222:223], v[142:143] neg_lo:[0,0,1] neg_hi:[0,0,1]
	s_set_vgpr_msb 0                        ;  msbs: dst=0 src0=0 src1=0 src2=0
	v_pk_add_f32 v[128:129], v[128:129], v[134:135]
	s_set_vgpr_msb 1                        ;  msbs: dst=0 src0=1 src1=0 src2=0
	v_pk_fma_f32 v[134:135], v[20:21] /*v[276:277]*/, v[224:225], v[130:131] op_sel_hi:[1,0,1]
	v_pk_mul_f32 v[132:133], v[84:85] /*v[340:341]*/, v[132:133] op_sel_hi:[1,0]
	s_set_vgpr_msb 0                        ;  msbs: dst=0 src0=0 src1=0 src2=0
	v_mov_b32_e32 v141, v139
	s_set_vgpr_msb 1                        ;  msbs: dst=0 src0=1 src1=0 src2=0
	v_pk_fma_f32 v[130:131], v[20:21] /*v[276:277]*/, v[224:225], v[130:131] neg_lo:[0,0,1] neg_hi:[0,0,1]
	s_set_vgpr_msb 0                        ;  msbs: dst=0 src0=0 src1=0 src2=0
	v_pk_add_f32 v[128:129], v[128:129], v[136:137]
	v_mov_b32_e32 v131, v135
	s_set_vgpr_msb 1                        ;  msbs: dst=0 src0=1 src1=0 src2=0
	v_pk_fma_f32 v[134:135], v[22:23] /*v[278:279]*/, v[226:227], v[132:133] op_sel_hi:[1,0,1]
	s_wait_loadcnt_dscnt 0x100
	s_set_vgpr_msb 5                        ;  msbs: dst=0 src0=1 src1=1 src2=0
	v_pk_mul_f32 v[136:137], v[76:77] /*v[332:333]*/, v[72:73] /*v[328:329]*/ op_sel:[1,1] op_sel_hi:[0,1]
	s_set_vgpr_msb 1                        ;  msbs: dst=0 src0=1 src1=0 src2=0
	v_pk_fma_f32 v[132:133], v[22:23] /*v[278:279]*/, v[226:227], v[132:133] neg_lo:[0,0,1] neg_hi:[0,0,1]
	s_set_vgpr_msb 0                        ;  msbs: dst=0 src0=0 src1=0 src2=0
	v_pk_add_f32 v[128:129], v[128:129], v[140:141]
	v_mov_b32_e32 v133, v135
	s_set_vgpr_msb 5                        ;  msbs: dst=0 src0=1 src1=1 src2=0
	v_pk_fma_f32 v[134:135], v[76:77] /*v[332:333]*/, v[72:73] /*v[328:329]*/, v[136:137] neg_lo:[0,0,1] neg_hi:[0,0,1]
	s_set_vgpr_msb 0                        ;  msbs: dst=0 src0=0 src1=0 src2=0
	v_pk_add_f32 v[128:129], v[128:129], v[130:131]
	s_set_vgpr_msb 5                        ;  msbs: dst=0 src0=1 src1=1 src2=0
	v_pk_fma_f32 v[130:131], v[76:77] /*v[332:333]*/, v[72:73] /*v[328:329]*/, v[136:137] op_sel_hi:[1,0,1]
	s_set_vgpr_msb 0                        ;  msbs: dst=0 src0=0 src1=0 src2=0
	s_delay_alu instid0(VALU_DEP_2) | instskip(NEXT) | instid1(VALU_DEP_2)
	v_pk_add_f32 v[128:129], v[128:129], v[132:133]
	v_mov_b32_e32 v135, v131
	s_delay_alu instid0(VALU_DEP_1) | instskip(SKIP_2) | instid1(VALU_DEP_1)
	v_pk_add_f32 v[128:129], v[128:129], v[134:135]
	s_wait_loadcnt 0x0
	s_set_vgpr_msb 1                        ;  msbs: dst=0 src0=1 src1=0 src2=0
	v_pk_add_f32 v[128:129], v[74:75] /*v[330:331]*/, v[128:129] neg_lo:[0,1] neg_hi:[0,1]
	scratch_store_b64 off, v[128:129], off offset:88
	s_wait_xcnt 0x0
	v_cmpx_lt_u32_e32 10, v0
	s_set_vgpr_msb 0                        ;  msbs: dst=0 src0=0 src1=0 src2=0
	s_cbranch_execz .LBB62_371
; %bb.370:
	scratch_load_b64 v[128:129], off, off offset:80
	v_mov_b64_e32 v[130:131], 0
	scratch_store_b64 off, v[130:131], off offset:80
	s_wait_loadcnt 0x0
	ds_store_b64 v1, v[128:129]
.LBB62_371:
	s_wait_xcnt 0x0
	s_or_b32 exec_lo, exec_lo, s0
	s_wait_storecnt_dscnt 0x0
	s_barrier_signal -1
	s_barrier_wait -1
	s_clause 0x18
	scratch_load_b128 v[128:131], off, off offset:88
	scratch_load_b128 v[132:135], off, off offset:104
	;; [unrolled: 1-line block ×25, first 2 shown]
	ds_load_2addr_b64 v[228:231], v5 offset0:75 offset1:76
	ds_load_2addr_b64 v[232:235], v5 offset0:77 offset1:78
	scratch_load_b128 v[236:239], off, off offset:488
	ds_load_2addr_b64 v[240:243], v5 offset0:79 offset1:80
	ds_load_2addr_b64 v[244:247], v5 offset0:81 offset1:82
	;; [unrolled: 1-line block ×4, first 2 shown]
	s_set_vgpr_msb 64                       ;  msbs: dst=1 src0=0 src1=0 src2=0
	ds_load_2addr_b64 v[0:3] /*v[256:259]*/, v5 offset0:119 offset1:120
	ds_load_2addr_b64 v[4:7] /*v[260:263]*/, v5 offset0:87 offset1:88
	ds_load_2addr_b64 v[8:11] /*v[264:267]*/, v5 offset0:89 offset1:90
	ds_load_2addr_b64 v[12:15] /*v[268:271]*/, v5 offset0:121 offset1:122
	ds_load_2addr_b64 v[16:19] /*v[272:275]*/, v5 offset0:123 offset1:124
	ds_load_2addr_b64 v[20:23] /*v[276:279]*/, v5 offset0:91 offset1:92
	ds_load_2addr_b64 v[24:27] /*v[280:283]*/, v5 offset0:93 offset1:94
	ds_load_2addr_b64 v[28:31] /*v[284:287]*/, v5 offset0:125 offset1:126
	ds_load_2addr_b64 v[32:35] /*v[288:291]*/, v5 offset0:95 offset1:96
	ds_load_2addr_b64 v[36:39] /*v[292:295]*/, v5 offset0:97 offset1:98
	ds_load_2addr_b64 v[40:43] /*v[296:299]*/, v5 offset0:99 offset1:100
	ds_load_2addr_b64 v[44:47] /*v[300:303]*/, v5 offset0:101 offset1:102
	ds_load_2addr_b64 v[48:51] /*v[304:307]*/, v5 offset0:103 offset1:104
	ds_load_2addr_b64 v[52:55] /*v[308:311]*/, v5 offset0:105 offset1:106
	ds_load_2addr_b64 v[56:59] /*v[312:315]*/, v5 offset0:107 offset1:108
	ds_load_2addr_b64 v[60:63] /*v[316:319]*/, v5 offset0:109 offset1:110
	ds_load_2addr_b64 v[64:67] /*v[320:323]*/, v5 offset0:111 offset1:112
	ds_load_2addr_b64 v[68:71] /*v[324:327]*/, v5 offset0:113 offset1:114
	ds_load_2addr_b64 v[72:75] /*v[328:331]*/, v5 offset0:115 offset1:116
	ds_load_2addr_b64 v[76:79] /*v[332:335]*/, v5 offset0:117 offset1:118
	scratch_load_b64 v[80:81] /*v[336:337]*/, off, off offset:80
	s_wait_dscnt 0x13
	s_set_vgpr_msb 0x41                     ;  msbs: dst=1 src0=1 src1=0 src2=0
	v_dual_mov_b32 v82 /*v338*/, v3 /*v259*/ :: v_dual_mov_b32 v83 /*v339*/, v2 /*v258*/
	s_wait_dscnt 0x10
	v_dual_mov_b32 v84 /*v340*/, v15 /*v271*/ :: v_dual_mov_b32 v85 /*v341*/, v14 /*v270*/
	s_wait_dscnt 0xf
	;; [unrolled: 2-line block ×3, first 2 shown]
	v_dual_mov_b32 v88 /*v344*/, v31 /*v287*/ :: v_dual_mov_b32 v89 /*v345*/, v30 /*v286*/
	s_mov_b32 s0, exec_lo
	s_wait_loadcnt 0x1a
	s_set_vgpr_msb 0                        ;  msbs: dst=0 src0=0 src1=0 src2=0
	v_dual_mul_f32 v5, v228, v129 :: v_dual_mul_f32 v9, v230, v131
	v_dual_mul_f32 v91, v229, v129 :: v_dual_mul_f32 v93, v231, v131
	s_wait_loadcnt 0x19
	v_dual_mul_f32 v11, v232, v133 :: v_dual_mul_f32 v13, v234, v135
	s_delay_alu instid0(VALU_DEP_2) | instskip(SKIP_3) | instid1(VALU_DEP_3)
	v_dual_fmac_f32 v5, v229, v128 :: v_dual_fma_f32 v91, v228, v128, -v91
	v_dual_mul_f32 v95, v233, v133 :: v_dual_mul_f32 v97, v235, v135
	s_wait_loadcnt 0x17
	v_dual_mul_f32 v103, v245, v141 :: v_dual_fmac_f32 v9, v231, v130
	v_dual_fma_f32 v93, v230, v130, -v93 :: v_dual_add_f32 v5, 0, v5
	v_dual_add_f32 v91, 0, v91 :: v_dual_fmac_f32 v11, v233, v132
	v_dual_mul_f32 v105, v247, v143 :: v_dual_fma_f32 v95, v232, v132, -v95
	s_delay_alu instid0(VALU_DEP_3) | instskip(NEXT) | instid1(VALU_DEP_3)
	v_dual_add_f32 v5, v5, v9 :: v_dual_fmac_f32 v13, v235, v134
	v_dual_add_f32 v9, v91, v93 :: v_dual_fma_f32 v93, v234, v134, -v97
	v_dual_mul_f32 v15, v240, v137 :: v_dual_mul_f32 v17, v242, v139
	v_dual_mul_f32 v99, v241, v137 :: v_dual_mul_f32 v101, v243, v139
	s_delay_alu instid0(VALU_DEP_4) | instskip(NEXT) | instid1(VALU_DEP_3)
	v_add_f32_e32 v5, v5, v11
	v_dual_add_f32 v9, v9, v95 :: v_dual_fmac_f32 v17, v243, v138
	s_delay_alu instid0(VALU_DEP_4) | instskip(NEXT) | instid1(VALU_DEP_3)
	v_fmac_f32_e32 v15, v241, v136
	v_dual_fma_f32 v95, v240, v136, -v99 :: v_dual_add_f32 v5, v5, v13
	s_delay_alu instid0(VALU_DEP_3) | instskip(SKIP_4) | instid1(VALU_DEP_2)
	v_add_f32_e32 v9, v9, v93
	v_dual_mul_f32 v19, v244, v141 :: v_dual_mul_f32 v21, v246, v143
	s_wait_loadcnt 0x16
	v_dual_mul_f32 v91, v249, v145 :: v_dual_mul_f32 v11, v251, v147
	v_dual_fma_f32 v93, v242, v138, -v101 :: v_dual_add_f32 v5, v5, v15
	v_dual_add_f32 v9, v9, v95 :: v_dual_fma_f32 v91, v248, v144, -v91
	v_dual_mul_f32 v23, v248, v145 :: v_dual_mul_f32 v25, v250, v147
	s_wait_loadcnt 0x15
	v_dual_mul_f32 v13, v253, v149 :: v_dual_fmac_f32 v21, v247, v142
	v_fmac_f32_e32 v19, v245, v140
	v_dual_fma_f32 v95, v244, v140, -v103 :: v_dual_add_f32 v9, v9, v93
	s_delay_alu instid0(VALU_DEP_3)
	v_fma_f32 v13, v252, v148, -v13
	v_dual_fma_f32 v93, v246, v142, -v105 :: v_dual_add_f32 v5, v5, v17
	v_dual_fma_f32 v11, v250, v146, -v11 :: v_dual_mul_f32 v27, v252, v149
	v_dual_mul_f32 v29, v254, v151 :: v_dual_mul_f32 v15, v255, v151
	v_add_f32_e32 v9, v9, v95
	s_wait_loadcnt 0x4
	v_dual_fmac_f32 v23, v249, v144 :: v_dual_mov_b32 v130, v219
	v_dual_fmac_f32 v25, v251, v146 :: v_dual_add_f32 v5, v5, v19
	v_fmac_f32_e32 v29, v255, v150
	s_set_vgpr_msb 1                        ;  msbs: dst=0 src0=1 src1=0 src2=0
	v_pk_mul_f32 v[128:129], v[0:1] /*v[256:257]*/, v[216:217] op_sel:[1,1] op_sel_hi:[0,1]
	s_wait_loadcnt 0x3
	s_set_vgpr_msb 0                        ;  msbs: dst=0 src0=0 src1=0 src2=0
	v_dual_fma_f32 v15, v254, v150, -v15 :: v_dual_mov_b32 v134, v223
	v_add_f32_e32 v5, v5, v21
	s_set_vgpr_msb 1                        ;  msbs: dst=0 src0=1 src1=0 src2=0
	v_pk_mul_f32 v[130:131], v[82:83] /*v[338:339]*/, v[130:131] op_sel_hi:[1,0]
	v_pk_fma_f32 v[138:139], v[0:1] /*v[256:257]*/, v[216:217], v[128:129] op_sel_hi:[1,0,1]
	s_set_vgpr_msb 0                        ;  msbs: dst=0 src0=0 src1=0 src2=0
	v_add_f32_e32 v9, v9, v93
	s_set_vgpr_msb 1                        ;  msbs: dst=0 src0=1 src1=0 src2=0
	v_pk_fma_f32 v[128:129], v[0:1] /*v[256:257]*/, v[216:217], v[128:129] neg_lo:[0,0,1] neg_hi:[0,0,1]
	v_pk_mul_f32 v[132:133], v[12:13] /*v[268:269]*/, v[220:221] op_sel:[1,1] op_sel_hi:[0,1]
	v_pk_mul_f32 v[134:135], v[84:85] /*v[340:341]*/, v[134:135] op_sel_hi:[1,0]
	s_set_vgpr_msb 0                        ;  msbs: dst=0 src0=0 src1=0 src2=0
	v_dual_mov_b32 v129, v139 :: v_dual_add_f32 v9, v9, v91
	s_set_vgpr_msb 1                        ;  msbs: dst=0 src0=1 src1=0 src2=0
	v_pk_fma_f32 v[138:139], v[2:3] /*v[258:259]*/, v[218:219], v[130:131] op_sel_hi:[1,0,1]
	s_set_vgpr_msb 0                        ;  msbs: dst=0 src0=0 src1=0 src2=0
	v_add_f32_e32 v5, v5, v23
	s_set_vgpr_msb 1                        ;  msbs: dst=0 src0=1 src1=0 src2=0
	v_pk_fma_f32 v[130:131], v[2:3] /*v[258:259]*/, v[218:219], v[130:131] neg_lo:[0,0,1] neg_hi:[0,0,1]
	v_pk_fma_f32 v[142:143], v[12:13] /*v[268:269]*/, v[220:221], v[132:133] op_sel_hi:[1,0,1]
	s_set_vgpr_msb 0                        ;  msbs: dst=0 src0=0 src1=0 src2=0
	v_fmac_f32_e32 v27, v253, v148
	v_dual_add_f32 v9, v9, v11 :: v_dual_mov_b32 v131, v139
	s_set_vgpr_msb 1                        ;  msbs: dst=0 src0=1 src1=0 src2=0
	v_pk_fma_f32 v[138:139], v[14:15] /*v[270:271]*/, v[222:223], v[134:135] op_sel_hi:[1,0,1]
	s_set_vgpr_msb 0                        ;  msbs: dst=0 src0=0 src1=0 src2=0
	v_add_f32_e32 v5, v5, v25
	s_set_vgpr_msb 1                        ;  msbs: dst=0 src0=1 src1=0 src2=0
	v_pk_fma_f32 v[132:133], v[12:13] /*v[268:269]*/, v[220:221], v[132:133] neg_lo:[0,0,1] neg_hi:[0,0,1]
	v_pk_fma_f32 v[134:135], v[14:15] /*v[270:271]*/, v[222:223], v[134:135] neg_lo:[0,0,1] neg_hi:[0,0,1]
	v_dual_mul_f32 v31, v4 /*v260*/, v153 :: v_dual_mul_f32 v33, v6 /*v262*/, v155
	v_dual_mul_f32 v17, v5 /*v261*/, v153 :: v_dual_mul_f32 v19, v7 /*v263*/, v155
	s_set_vgpr_msb 0                        ;  msbs: dst=0 src0=0 src1=0 src2=0
	v_dual_add_f32 v9, v9, v13 :: v_dual_mov_b32 v133, v143
	v_dual_mov_b32 v135, v139 :: v_dual_add_f32 v5, v5, v27
	s_set_vgpr_msb 1                        ;  msbs: dst=0 src0=1 src1=0 src2=0
	v_dual_fmac_f32 v31, v5 /*v261*/, v152 :: v_dual_fma_f32 v17, v4 /*v260*/, v152, -v17
	s_set_vgpr_msb 0                        ;  msbs: dst=0 src0=0 src1=0 src2=0
	v_add_f32_e32 v9, v9, v15
	s_set_vgpr_msb 1                        ;  msbs: dst=0 src0=1 src1=0 src2=0
	v_dual_mul_f32 v35, v8 /*v264*/, v157 :: v_dual_mul_f32 v37, v10 /*v266*/, v159
	s_set_vgpr_msb 0                        ;  msbs: dst=0 src0=0 src1=0 src2=0
	v_add_f32_e32 v5, v5, v29
	s_set_vgpr_msb 1                        ;  msbs: dst=0 src0=1 src1=0 src2=0
	v_dual_mul_f32 v21, v9 /*v265*/, v157 :: v_dual_mul_f32 v23, v11 /*v267*/, v159
	v_dual_mul_f32 v15, v25 /*v281*/, v165 :: v_dual_fmac_f32 v33, v7 /*v263*/, v154
	v_fma_f32 v19, v6 /*v262*/, v154, -v19
	s_set_vgpr_msb 0                        ;  msbs: dst=0 src0=0 src1=0 src2=0
	v_add_f32_e32 v5, v5, v31
	v_add_f32_e32 v9, v9, v17
	s_set_vgpr_msb 1                        ;  msbs: dst=0 src0=1 src1=0 src2=0
	v_dual_mul_f32 v17, v27 /*v283*/, v167 :: v_dual_fmac_f32 v35, v9 /*v265*/, v156
	v_fma_f32 v21, v8 /*v264*/, v156, -v21
	s_set_vgpr_msb 0                        ;  msbs: dst=0 src0=0 src1=0 src2=0
	v_add_f32_e32 v5, v5, v33
	v_add_f32_e32 v9, v9, v19
	s_set_vgpr_msb 1                        ;  msbs: dst=0 src0=1 src1=0 src2=0
	v_dual_mul_f32 v39, v20 /*v276*/, v161 :: v_dual_mul_f32 v41, v22 /*v278*/, v163
	v_dual_mul_f32 v11, v21 /*v277*/, v161 :: v_dual_mul_f32 v13, v23 /*v279*/, v163
	s_wait_dscnt 0xb
	v_dual_mul_f32 v19, v33 /*v289*/, v169 :: v_dual_fmac_f32 v37, v11 /*v267*/, v158
	v_fma_f32 v23, v10 /*v266*/, v158, -v23
	s_set_vgpr_msb 0                        ;  msbs: dst=0 src0=0 src1=0 src2=0
	v_add_f32_e32 v5, v5, v35
	v_add_f32_e32 v9, v9, v21
	s_set_vgpr_msb 1                        ;  msbs: dst=0 src0=1 src1=0 src2=0
	v_dual_mul_f32 v21, v35 /*v291*/, v171 :: v_dual_fmac_f32 v39, v21 /*v277*/, v160
	v_dual_fmac_f32 v41, v23 /*v279*/, v162 :: v_dual_fma_f32 v11, v20 /*v276*/, v160, -v11
	s_set_vgpr_msb 0                        ;  msbs: dst=0 src0=0 src1=0 src2=0
	v_add_f32_e32 v5, v5, v37
	v_add_f32_e32 v9, v9, v23
	s_set_vgpr_msb 1                        ;  msbs: dst=0 src0=1 src1=0 src2=0
	v_dual_mul_f32 v43, v24 /*v280*/, v165 :: v_dual_mul_f32 v45, v26 /*v282*/, v167
	s_wait_dscnt 0xa
	v_dual_mul_f32 v23, v37 /*v293*/, v173 :: v_dual_fma_f32 v13, v22 /*v278*/, v162, -v13
	s_set_vgpr_msb 0                        ;  msbs: dst=0 src0=0 src1=0 src2=0
	v_add_f32_e32 v5, v5, v39
	v_add_f32_e32 v9, v9, v11
	s_set_vgpr_msb 1                        ;  msbs: dst=0 src0=1 src1=0 src2=0
	v_dual_mul_f32 v11, v39 /*v295*/, v175 :: v_dual_fmac_f32 v43, v25 /*v281*/, v164
	v_dual_fmac_f32 v45, v27 /*v283*/, v166 :: v_dual_fma_f32 v15, v24 /*v280*/, v164, -v15
	s_set_vgpr_msb 0                        ;  msbs: dst=0 src0=0 src1=0 src2=0
	v_add_f32_e32 v5, v5, v41
	v_add_f32_e32 v9, v9, v13
	s_set_vgpr_msb 1                        ;  msbs: dst=0 src0=1 src1=0 src2=0
	v_dual_mul_f32 v47, v32 /*v288*/, v169 :: v_dual_mul_f32 v49, v34 /*v290*/, v171
	s_wait_dscnt 0x9
	v_dual_mul_f32 v13, v41 /*v297*/, v177 :: v_dual_fma_f32 v17, v26 /*v282*/, v166, -v17
	;; [unrolled: 13-line block ×4, first 2 shown]
	s_set_vgpr_msb 0                        ;  msbs: dst=0 src0=0 src1=0 src2=0
	v_add_f32_e32 v5, v5, v51
	v_add_f32_e32 v9, v9, v23
	s_set_vgpr_msb 1                        ;  msbs: dst=0 src0=1 src1=0 src2=0
	v_dual_mul_f32 v23, v51 /*v307*/, v187 :: v_dual_fmac_f32 v55, v41 /*v297*/, v176
	v_fma_f32 v13, v40 /*v296*/, v176, -v13
	s_set_vgpr_msb 0                        ;  msbs: dst=0 src0=0 src1=0 src2=0
	v_add_f32_e32 v5, v5, v53
	v_add_f32_e32 v9, v9, v11
	s_set_vgpr_msb 1                        ;  msbs: dst=0 src0=1 src1=0 src2=0
	v_dual_mul_f32 v59, v44 /*v300*/, v181 :: v_dual_mul_f32 v61, v46 /*v302*/, v183
	s_wait_dscnt 0x6
	v_dual_mul_f32 v11, v53 /*v309*/, v189 :: v_dual_fmac_f32 v57, v43 /*v299*/, v178
	v_fma_f32 v15, v42 /*v298*/, v178, -v15
	s_set_vgpr_msb 0                        ;  msbs: dst=0 src0=0 src1=0 src2=0
	v_add_f32_e32 v5, v5, v55
	v_add_f32_e32 v9, v9, v13
	s_set_vgpr_msb 1                        ;  msbs: dst=0 src0=1 src1=0 src2=0
	v_dual_mul_f32 v13, v55 /*v311*/, v191 :: v_dual_fmac_f32 v59, v45 /*v301*/, v180
	v_fma_f32 v17, v44 /*v300*/, v180, -v17
	s_set_vgpr_msb 0                        ;  msbs: dst=0 src0=0 src1=0 src2=0
	v_add_f32_e32 v5, v5, v57
	v_add_f32_e32 v9, v9, v15
	s_set_vgpr_msb 1                        ;  msbs: dst=0 src0=1 src1=0 src2=0
	v_dual_mul_f32 v63, v48 /*v304*/, v185 :: v_dual_mul_f32 v65, v50 /*v306*/, v187
	s_wait_dscnt 0x5
	v_dual_mul_f32 v15, v57 /*v313*/, v193 :: v_dual_fmac_f32 v61, v47 /*v303*/, v182
	v_fma_f32 v19, v46 /*v302*/, v182, -v19
	;; [unrolled: 14-line block ×3, first 2 shown]
	s_set_vgpr_msb 0                        ;  msbs: dst=0 src0=0 src1=0 src2=0
	v_add_f32_e32 v5, v5, v63
	v_add_f32_e32 v9, v9, v21
	s_set_vgpr_msb 1                        ;  msbs: dst=0 src0=1 src1=0 src2=0
	v_dual_mul_f32 v21, v63 /*v319*/, v199 :: v_dual_fmac_f32 v67, v53 /*v309*/, v188
	v_dual_fmac_f32 v69, v55 /*v311*/, v190 :: v_dual_fma_f32 v11, v52 /*v308*/, v188, -v11
	s_set_vgpr_msb 0                        ;  msbs: dst=0 src0=0 src1=0 src2=0
	v_add_f32_e32 v5, v5, v65
	v_add_f32_e32 v9, v9, v23
	s_set_vgpr_msb 1                        ;  msbs: dst=0 src0=1 src1=0 src2=0
	v_dual_mul_f32 v71, v56 /*v312*/, v193 :: v_dual_mul_f32 v73, v58 /*v314*/, v195
	s_wait_dscnt 0x3
	v_dual_mul_f32 v23, v65 /*v321*/, v201 :: v_dual_fma_f32 v13, v54 /*v310*/, v190, -v13
	s_set_vgpr_msb 0                        ;  msbs: dst=0 src0=0 src1=0 src2=0
	v_add_f32_e32 v5, v5, v67
	v_add_f32_e32 v9, v9, v11
	s_set_vgpr_msb 1                        ;  msbs: dst=0 src0=1 src1=0 src2=0
	v_dual_mul_f32 v11, v67 /*v323*/, v203 :: v_dual_fmac_f32 v71, v57 /*v313*/, v192
	v_dual_fmac_f32 v73, v59 /*v315*/, v194 :: v_dual_fma_f32 v15, v56 /*v312*/, v192, -v15
	s_set_vgpr_msb 0                        ;  msbs: dst=0 src0=0 src1=0 src2=0
	v_add_f32_e32 v5, v5, v69
	v_add_f32_e32 v9, v9, v13
	s_set_vgpr_msb 1                        ;  msbs: dst=0 src0=1 src1=0 src2=0
	v_dual_mul_f32 v75, v60 /*v316*/, v197 :: v_dual_mul_f32 v77, v62 /*v318*/, v199
	s_wait_dscnt 0x2
	v_dual_mul_f32 v13, v69 /*v325*/, v205 :: v_dual_fma_f32 v17, v58 /*v314*/, v194, -v17
	;; [unrolled: 13-line block ×4, first 2 shown]
	s_set_vgpr_msb 0                        ;  msbs: dst=0 src0=0 src1=0 src2=0
	v_add_f32_e32 v5, v5, v79
	v_add_f32_e32 v9, v9, v23
	s_set_vgpr_msb 1                        ;  msbs: dst=0 src0=1 src1=0 src2=0
	v_dual_mul_f32 v23, v79 /*v335*/, v215 :: v_dual_fmac_f32 v83, v69 /*v325*/, v204
	v_fma_f32 v13, v68 /*v324*/, v204, -v13
	s_set_vgpr_msb 0                        ;  msbs: dst=0 src0=0 src1=0 src2=0
	v_add_f32_e32 v5, v5, v81
	v_add_f32_e32 v9, v9, v11
	s_set_vgpr_msb 1                        ;  msbs: dst=0 src0=1 src1=0 src2=0
	v_dual_mul_f32 v87, v72 /*v328*/, v209 :: v_dual_mul_f32 v89, v74 /*v330*/, v211
	v_dual_fmac_f32 v85, v71 /*v327*/, v206 :: v_dual_fma_f32 v11, v70 /*v326*/, v206, -v15
	s_set_vgpr_msb 0                        ;  msbs: dst=0 src0=0 src1=0 src2=0
	v_add_f32_e32 v5, v5, v83
	v_add_f32_e32 v9, v9, v13
	s_set_vgpr_msb 1                        ;  msbs: dst=0 src0=1 src1=0 src2=0
	v_dual_fmac_f32 v87, v73 /*v329*/, v208 :: v_dual_fma_f32 v13, v72 /*v328*/, v208, -v17
	s_set_vgpr_msb 0x41                     ;  msbs: dst=1 src0=1 src1=0 src2=0
	v_dual_mul_f32 v91 /*v347*/, v76 /*v332*/, v213 :: v_dual_mul_f32 v93 /*v349*/, v78 /*v334*/, v215
	s_set_vgpr_msb 0                        ;  msbs: dst=0 src0=0 src1=0 src2=0
	v_add_f32_e32 v5, v5, v85
	v_add_f32_e32 v9, v9, v11
	s_set_vgpr_msb 1                        ;  msbs: dst=0 src0=1 src1=0 src2=0
	v_dual_fmac_f32 v89, v75 /*v331*/, v210 :: v_dual_fma_f32 v11, v74 /*v330*/, v210, -v19
	s_set_vgpr_msb 0x41                     ;  msbs: dst=1 src0=1 src1=0 src2=0
	v_dual_fmac_f32 v91 /*v347*/, v77 /*v333*/, v212 :: v_dual_fmac_f32 v93 /*v349*/, v79 /*v335*/, v214
	s_set_vgpr_msb 0                        ;  msbs: dst=0 src0=0 src1=0 src2=0
	v_add_f32_e32 v5, v5, v87
	v_add_f32_e32 v9, v9, v13
	s_set_vgpr_msb 0x41                     ;  msbs: dst=1 src0=1 src1=0 src2=0
	v_dual_fma_f32 v90 /*v346*/, v76 /*v332*/, v212, -v21 :: v_dual_fma_f32 v92 /*v348*/, v78 /*v334*/, v214, -v23
	s_wait_loadcnt 0x2
	s_set_vgpr_msb 1                        ;  msbs: dst=0 src0=1 src1=0 src2=0
	v_pk_mul_f32 v[140:141], v[16:17] /*v[272:273]*/, v[224:225] op_sel:[1,1] op_sel_hi:[0,1]
	s_set_vgpr_msb 0                        ;  msbs: dst=0 src0=0 src1=0 src2=0
	v_add_f32_e32 v137, v5, v89
	v_add_f32_e32 v136, v9, v11
	s_set_vgpr_msb 1                        ;  msbs: dst=0 src0=1 src1=0 src2=0
	v_pk_fma_f32 v[138:139], v[16:17] /*v[272:273]*/, v[224:225], v[140:141] neg_lo:[0,0,1] neg_hi:[0,0,1]
	s_set_vgpr_msb 4                        ;  msbs: dst=0 src0=0 src1=1 src2=0
	s_delay_alu instid0(VALU_DEP_2) | instskip(NEXT) | instid1(VALU_DEP_1)
	v_pk_add_f32 v[136:137], v[136:137], v[90:91] /*v[346:347]*/
	v_pk_add_f32 v[136:137], v[136:137], v[92:93] /*v[348:349]*/
	s_set_vgpr_msb 0                        ;  msbs: dst=0 src0=0 src1=0 src2=0
	s_delay_alu instid0(VALU_DEP_1) | instskip(SKIP_1) | instid1(VALU_DEP_2)
	v_pk_add_f32 v[128:129], v[136:137], v[128:129]
	v_mov_b32_e32 v136, v227
	v_pk_add_f32 v[128:129], v[128:129], v[130:131]
	s_set_vgpr_msb 1                        ;  msbs: dst=0 src0=1 src1=0 src2=0
	v_pk_fma_f32 v[130:131], v[16:17] /*v[272:273]*/, v[224:225], v[140:141] op_sel_hi:[1,0,1]
	s_delay_alu instid0(VALU_DEP_3) | instskip(SKIP_2) | instid1(VALU_DEP_3)
	v_pk_mul_f32 v[136:137], v[86:87] /*v[342:343]*/, v[136:137] op_sel_hi:[1,0]
	s_set_vgpr_msb 0                        ;  msbs: dst=0 src0=0 src1=0 src2=0
	v_pk_add_f32 v[128:129], v[128:129], v[132:133]
	v_mov_b32_e32 v139, v131
	s_set_vgpr_msb 1                        ;  msbs: dst=0 src0=1 src1=0 src2=0
	v_pk_fma_f32 v[130:131], v[18:19] /*v[274:275]*/, v[226:227], v[136:137] op_sel_hi:[1,0,1]
	s_wait_loadcnt 0x1
	v_pk_mul_f32 v[132:133], v[28:29] /*v[284:285]*/, v[236:237] op_sel:[1,1] op_sel_hi:[0,1]
	s_set_vgpr_msb 0                        ;  msbs: dst=0 src0=0 src1=0 src2=0
	v_mov_b32_e32 v130, v239
	v_pk_add_f32 v[128:129], v[128:129], v[134:135]
	s_set_vgpr_msb 1                        ;  msbs: dst=0 src0=1 src1=0 src2=0
	v_pk_fma_f32 v[136:137], v[18:19] /*v[274:275]*/, v[226:227], v[136:137] neg_lo:[0,0,1] neg_hi:[0,0,1]
	s_set_vgpr_msb 0                        ;  msbs: dst=0 src0=0 src1=0 src2=0
	v_mov_b32_e32 v137, v131
	s_set_vgpr_msb 1                        ;  msbs: dst=0 src0=1 src1=0 src2=0
	v_pk_fma_f32 v[134:135], v[28:29] /*v[284:285]*/, v[236:237], v[132:133] op_sel_hi:[1,0,1]
	v_pk_mul_f32 v[130:131], v[88:89] /*v[344:345]*/, v[130:131] op_sel_hi:[1,0]
	s_set_vgpr_msb 0                        ;  msbs: dst=0 src0=0 src1=0 src2=0
	v_pk_add_f32 v[128:129], v[128:129], v[138:139]
	s_set_vgpr_msb 1                        ;  msbs: dst=0 src0=1 src1=0 src2=0
	v_pk_fma_f32 v[132:133], v[28:29] /*v[284:285]*/, v[236:237], v[132:133] neg_lo:[0,0,1] neg_hi:[0,0,1]
	s_set_vgpr_msb 0                        ;  msbs: dst=0 src0=0 src1=0 src2=0
	v_mov_b32_e32 v133, v135
	s_set_vgpr_msb 1                        ;  msbs: dst=0 src0=1 src1=0 src2=0
	v_pk_fma_f32 v[134:135], v[30:31] /*v[286:287]*/, v[238:239], v[130:131] op_sel_hi:[1,0,1]
	s_set_vgpr_msb 0                        ;  msbs: dst=0 src0=0 src1=0 src2=0
	v_pk_add_f32 v[128:129], v[128:129], v[136:137]
	s_set_vgpr_msb 1                        ;  msbs: dst=0 src0=1 src1=0 src2=0
	v_pk_fma_f32 v[130:131], v[30:31] /*v[286:287]*/, v[238:239], v[130:131] neg_lo:[0,0,1] neg_hi:[0,0,1]
	s_set_vgpr_msb 0                        ;  msbs: dst=0 src0=0 src1=0 src2=0
	v_mov_b32_e32 v131, v135
	v_pk_add_f32 v[128:129], v[128:129], v[132:133]
	s_delay_alu instid0(VALU_DEP_1) | instskip(SKIP_2) | instid1(VALU_DEP_1)
	v_pk_add_f32 v[128:129], v[128:129], v[130:131]
	s_wait_loadcnt 0x0
	s_set_vgpr_msb 1                        ;  msbs: dst=0 src0=1 src1=0 src2=0
	v_pk_add_f32 v[128:129], v[80:81] /*v[336:337]*/, v[128:129] neg_lo:[0,1] neg_hi:[0,1]
	scratch_store_b64 off, v[128:129], off offset:80
	s_wait_xcnt 0x0
	v_cmpx_lt_u32_e32 9, v0
	s_set_vgpr_msb 0                        ;  msbs: dst=0 src0=0 src1=0 src2=0
	s_cbranch_execz .LBB62_373
; %bb.372:
	scratch_load_b64 v[128:129], off, off offset:72
	v_mov_b64_e32 v[130:131], 0
	scratch_store_b64 off, v[130:131], off offset:72
	s_wait_loadcnt 0x0
	ds_store_b64 v1, v[128:129]
.LBB62_373:
	s_wait_xcnt 0x0
	s_or_b32 exec_lo, exec_lo, s0
	s_wait_storecnt_dscnt 0x0
	s_barrier_signal -1
	s_barrier_wait -1
	s_clause 0x1c
	scratch_load_b128 v[128:131], off, off offset:80
	scratch_load_b128 v[132:135], off, off offset:96
	;; [unrolled: 1-line block ×26, first 2 shown]
	s_set_vgpr_msb 64                       ;  msbs: dst=1 src0=0 src1=0 src2=0
	scratch_load_b64 v[80:81] /*v[336:337]*/, off, off offset:496
	scratch_load_b64 v[82:83] /*v[338:339]*/, off, off offset:72
	s_set_vgpr_msb 0                        ;  msbs: dst=0 src0=0 src1=0 src2=0
	v_mov_b32_e32 v5, 0
	ds_load_b128 v[232:235], v5 offset:592
	ds_load_b128 v[236:239], v5 offset:608
	;; [unrolled: 1-line block ×6, first 2 shown]
	s_set_vgpr_msb 64                       ;  msbs: dst=1 src0=0 src1=0 src2=0
	ds_load_b128 v[0:3] /*v[256:259]*/, v5 offset:944
	ds_load_b128 v[4:7] /*v[260:263]*/, v5 offset:688
	;; [unrolled: 1-line block ×20, first 2 shown]
	ds_load_b64 v[84:85] /*v[340:341]*/, v5 offset:1008
	s_wait_dscnt 0x14
	s_set_vgpr_msb 0x41                     ;  msbs: dst=1 src0=1 src1=0 src2=0
	v_dual_mov_b32 v86 /*v342*/, v3 /*v259*/ :: v_dual_mov_b32 v87 /*v343*/, v2 /*v258*/
	s_wait_dscnt 0x11
	v_dual_mov_b32 v88 /*v344*/, v15 /*v271*/ :: v_dual_mov_b32 v89 /*v345*/, v14 /*v270*/
	s_wait_dscnt 0x10
	;; [unrolled: 2-line block ×3, first 2 shown]
	v_dual_mov_b32 v92 /*v348*/, v31 /*v287*/ :: v_dual_mov_b32 v93 /*v349*/, v30 /*v286*/
	s_mov_b32 s0, exec_lo
	s_wait_loadcnt 0x1b
	s_set_vgpr_msb 0                        ;  msbs: dst=0 src0=0 src1=0 src2=0
	v_dual_mul_f32 v9, v232, v129 :: v_dual_mul_f32 v95, v233, v129
	s_wait_loadcnt 0x1a
	v_dual_mul_f32 v11, v234, v131 :: v_dual_mul_f32 v13, v236, v133
	v_dual_mul_f32 v97, v235, v131 :: v_dual_mul_f32 v99, v237, v133
	s_wait_loadcnt 0x16
	v_dual_mul_f32 v31, v254, v151 :: v_dual_fmac_f32 v9, v233, v128
	v_dual_fma_f32 v95, v232, v128, -v95 :: v_dual_mul_f32 v109, v247, v143
	s_delay_alu instid0(VALU_DEP_3) | instskip(NEXT) | instid1(VALU_DEP_3)
	v_dual_fma_f32 v97, v234, v130, -v97 :: v_dual_fmac_f32 v11, v235, v130
	v_dual_add_f32 v9, 0, v9 :: v_dual_mul_f32 v15, v238, v135
	v_dual_mul_f32 v17, v240, v137 :: v_dual_mul_f32 v101, v239, v135
	s_delay_alu instid0(VALU_DEP_4)
	v_dual_mul_f32 v103, v241, v137 :: v_dual_add_f32 v95, 0, v95
	v_dual_mul_f32 v111, v249, v145 :: v_dual_fma_f32 v99, v236, v132, -v99
	v_fmac_f32_e32 v13, v237, v132
	s_wait_loadcnt_dscnt 0x601
	s_set_vgpr_msb 1                        ;  msbs: dst=0 src0=1 src1=0 src2=0
	v_mul_f32_e32 v93, v76 /*v332*/, v213
	s_set_vgpr_msb 0                        ;  msbs: dst=0 src0=0 src1=0 src2=0
	v_dual_add_f32 v9, v9, v11 :: v_dual_fmac_f32 v15, v239, v134
	v_add_f32_e32 v11, v95, v97
	v_dual_mul_f32 v95, v251, v147 :: v_dual_fma_f32 v97, v238, v134, -v101
	s_delay_alu instid0(VALU_DEP_3) | instskip(NEXT) | instid1(VALU_DEP_3)
	v_dual_add_f32 v9, v9, v13 :: v_dual_mul_f32 v19, v242, v139
	v_dual_mul_f32 v21, v244, v141 :: v_dual_add_f32 v11, v11, v99
	v_dual_mul_f32 v105, v243, v139 :: v_dual_mul_f32 v107, v245, v141
	v_dual_mul_f32 v13, v253, v149 :: v_dual_fma_f32 v99, v240, v136, -v103
	s_delay_alu instid0(VALU_DEP_3) | instskip(SKIP_1) | instid1(VALU_DEP_4)
	v_dual_fmac_f32 v17, v241, v136 :: v_dual_add_f32 v11, v11, v97
	v_dual_add_f32 v9, v9, v15 :: v_dual_fmac_f32 v19, v243, v138
	v_dual_mul_f32 v15, v255, v151 :: v_dual_fma_f32 v97, v242, v138, -v105
	s_delay_alu instid0(VALU_DEP_2) | instskip(SKIP_2) | instid1(VALU_DEP_3)
	v_dual_add_f32 v11, v11, v99 :: v_dual_add_f32 v9, v9, v17
	v_dual_mul_f32 v23, v246, v143 :: v_dual_mul_f32 v25, v248, v145
	v_dual_fmac_f32 v21, v245, v140 :: v_dual_fma_f32 v99, v244, v140, -v107
	v_dual_add_f32 v9, v9, v19 :: v_dual_add_f32 v11, v11, v97
	s_delay_alu instid0(VALU_DEP_3) | instskip(SKIP_1) | instid1(VALU_DEP_3)
	v_dual_fmac_f32 v23, v247, v142 :: v_dual_fma_f32 v97, v246, v142, -v109
	v_dual_mul_f32 v27, v250, v147 :: v_dual_mul_f32 v29, v252, v149
	v_dual_add_f32 v9, v9, v21 :: v_dual_add_f32 v11, v11, v99
	v_dual_fmac_f32 v25, v249, v144 :: v_dual_fma_f32 v99, v248, v144, -v111
	s_set_vgpr_msb 1                        ;  msbs: dst=0 src0=1 src1=0 src2=0
	v_dual_mul_f32 v33, v4 /*v260*/, v153 :: v_dual_mul_f32 v35, v6 /*v262*/, v155
	s_set_vgpr_msb 0                        ;  msbs: dst=0 src0=0 src1=0 src2=0
	v_dual_add_f32 v9, v9, v23 :: v_dual_add_f32 v11, v11, v97
	v_fmac_f32_e32 v27, v251, v146
	v_fma_f32 v95, v250, v146, -v95
	s_set_vgpr_msb 1                        ;  msbs: dst=0 src0=1 src1=0 src2=0
	v_dual_mul_f32 v17, v5 /*v261*/, v153 :: v_dual_mul_f32 v19, v7 /*v263*/, v155
	s_set_vgpr_msb 0                        ;  msbs: dst=0 src0=0 src1=0 src2=0
	v_dual_add_f32 v9, v9, v25 :: v_dual_add_f32 v11, v11, v99
	v_fmac_f32_e32 v29, v253, v148
	v_fma_f32 v13, v252, v148, -v13
	s_set_vgpr_msb 1                        ;  msbs: dst=0 src0=1 src1=0 src2=0
	v_fmac_f32_e32 v33, v5 /*v261*/, v152
	s_set_vgpr_msb 0                        ;  msbs: dst=0 src0=0 src1=0 src2=0
	v_add_f32_e32 v9, v9, v27
	v_add_f32_e32 v11, v11, v95
	v_fmac_f32_e32 v31, v255, v150
	v_fma_f32 v15, v254, v150, -v15
	s_set_vgpr_msb 1                        ;  msbs: dst=0 src0=1 src1=0 src2=0
	v_fma_f32 v17, v4 /*v260*/, v152, -v17
	s_set_vgpr_msb 0                        ;  msbs: dst=0 src0=0 src1=0 src2=0
	v_add_f32_e32 v9, v9, v29
	v_add_f32_e32 v11, v11, v13
	s_set_vgpr_msb 1                        ;  msbs: dst=0 src0=1 src1=0 src2=0
	v_mul_f32_e32 v13, v25 /*v281*/, v165
	v_dual_mul_f32 v37, v8 /*v264*/, v157 :: v_dual_mul_f32 v39, v10 /*v266*/, v159
	v_dual_mul_f32 v21, v9 /*v265*/, v157 :: v_dual_mul_f32 v23, v11 /*v267*/, v159
	s_set_vgpr_msb 0                        ;  msbs: dst=0 src0=0 src1=0 src2=0
	v_add_f32_e32 v11, v11, v15
	v_add_f32_e32 v9, v9, v31
	s_set_vgpr_msb 1                        ;  msbs: dst=0 src0=1 src1=0 src2=0
	v_mul_f32_e32 v15, v27 /*v283*/, v167
	v_fmac_f32_e32 v35, v7 /*v263*/, v154
	v_dual_fma_f32 v19, v6 /*v262*/, v154, -v19 :: v_dual_fmac_f32 v37, v9 /*v265*/, v156
	s_set_vgpr_msb 0                        ;  msbs: dst=0 src0=0 src1=0 src2=0
	v_add_f32_e32 v11, v11, v17
	v_add_f32_e32 v9, v9, v33
	s_set_vgpr_msb 1                        ;  msbs: dst=0 src0=1 src1=0 src2=0
	v_dual_mul_f32 v17, v33 /*v289*/, v169 :: v_dual_fma_f32 v21, v8 /*v264*/, v156, -v21
	v_dual_mul_f32 v41, v20 /*v276*/, v161 :: v_dual_mul_f32 v43, v22 /*v278*/, v163
	s_set_vgpr_msb 0                        ;  msbs: dst=0 src0=0 src1=0 src2=0
	v_add_f32_e32 v11, v11, v19
	s_set_vgpr_msb 1                        ;  msbs: dst=0 src0=1 src1=0 src2=0
	v_mul_f32_e32 v19, v35 /*v291*/, v171
	s_set_vgpr_msb 0                        ;  msbs: dst=0 src0=0 src1=0 src2=0
	v_add_f32_e32 v9, v9, v35
	s_set_vgpr_msb 1                        ;  msbs: dst=0 src0=1 src1=0 src2=0
	v_dual_mul_f32 v25, v21 /*v277*/, v161 :: v_dual_mul_f32 v27, v23 /*v279*/, v163
	v_fmac_f32_e32 v39, v11 /*v267*/, v158
	v_dual_fma_f32 v23, v10 /*v266*/, v158, -v23 :: v_dual_fmac_f32 v41, v21 /*v277*/, v160
	s_set_vgpr_msb 0                        ;  msbs: dst=0 src0=0 src1=0 src2=0
	v_add_f32_e32 v11, v11, v21
	v_add_f32_e32 v9, v9, v37
	s_set_vgpr_msb 1                        ;  msbs: dst=0 src0=1 src1=0 src2=0
	v_dual_mul_f32 v21, v37 /*v293*/, v173 :: v_dual_fma_f32 v25, v20 /*v276*/, v160, -v25
	v_dual_mul_f32 v45, v24 /*v280*/, v165 :: v_dual_mul_f32 v47, v26 /*v282*/, v167
	s_set_vgpr_msb 0                        ;  msbs: dst=0 src0=0 src1=0 src2=0
	v_add_f32_e32 v11, v11, v23
	s_set_vgpr_msb 1                        ;  msbs: dst=0 src0=1 src1=0 src2=0
	v_mul_f32_e32 v23, v39 /*v295*/, v175
	s_set_vgpr_msb 0                        ;  msbs: dst=0 src0=0 src1=0 src2=0
	v_add_f32_e32 v9, v9, v39
	s_set_vgpr_msb 1                        ;  msbs: dst=0 src0=1 src1=0 src2=0
	v_fmac_f32_e32 v43, v23 /*v279*/, v162
	v_dual_fma_f32 v27, v22 /*v278*/, v162, -v27 :: v_dual_fmac_f32 v45, v25 /*v281*/, v164
	s_set_vgpr_msb 0                        ;  msbs: dst=0 src0=0 src1=0 src2=0
	v_add_f32_e32 v11, v11, v25
	v_add_f32_e32 v9, v9, v41
	s_set_vgpr_msb 1                        ;  msbs: dst=0 src0=1 src1=0 src2=0
	v_dual_mul_f32 v25, v41 /*v297*/, v177 :: v_dual_fma_f32 v13, v24 /*v280*/, v164, -v13
	v_dual_mul_f32 v49, v32 /*v288*/, v169 :: v_dual_mul_f32 v51, v34 /*v290*/, v171
	s_set_vgpr_msb 0                        ;  msbs: dst=0 src0=0 src1=0 src2=0
	v_add_f32_e32 v11, v11, v27
	s_set_vgpr_msb 1                        ;  msbs: dst=0 src0=1 src1=0 src2=0
	v_mul_f32_e32 v27, v43 /*v299*/, v179
	s_set_vgpr_msb 0                        ;  msbs: dst=0 src0=0 src1=0 src2=0
	v_add_f32_e32 v9, v9, v43
	s_set_vgpr_msb 1                        ;  msbs: dst=0 src0=1 src1=0 src2=0
	;; [unrolled: 15-line block ×11, first 2 shown]
	v_fmac_f32_e32 v83, v67 /*v323*/, v202
	v_dual_fma_f32 v19, v66 /*v322*/, v202, -v19 :: v_dual_fmac_f32 v85, v69 /*v325*/, v204
	s_set_vgpr_msb 0                        ;  msbs: dst=0 src0=0 src1=0 src2=0
	v_add_f32_e32 v11, v11, v17
	v_add_f32_e32 v9, v9, v81
	s_wait_loadcnt 0x5
	s_set_vgpr_msb 1                        ;  msbs: dst=0 src0=1 src1=0 src2=0
	v_dual_mul_f32 v17, v1 /*v257*/, v217 :: v_dual_fma_f32 v21, v68 /*v324*/, v204, -v21
	v_fmac_f32_e32 v87, v71 /*v327*/, v206
	s_set_vgpr_msb 0                        ;  msbs: dst=0 src0=0 src1=0 src2=0
	v_dual_mov_b32 v128, v219 :: v_dual_add_f32 v9, v9, v83
	v_add_f32_e32 v11, v11, v19
	s_set_vgpr_msb 1                        ;  msbs: dst=0 src0=1 src1=0 src2=0
	v_dual_mul_f32 v89, v72 /*v328*/, v209 :: v_dual_mul_f32 v91, v74 /*v330*/, v211
	v_fma_f32 v19, v70 /*v326*/, v206, -v23
	s_set_vgpr_msb 0                        ;  msbs: dst=0 src0=0 src1=0 src2=0
	v_add_f32_e32 v9, v9, v85
	v_add_f32_e32 v11, v11, v21
	s_set_vgpr_msb 1                        ;  msbs: dst=0 src0=1 src1=0 src2=0
	v_fmac_f32_e32 v89, v73 /*v329*/, v208
	v_dual_fma_f32 v21, v72 /*v328*/, v208, -v25 :: v_dual_fmac_f32 v91, v75 /*v331*/, v210
	s_set_vgpr_msb 0                        ;  msbs: dst=0 src0=0 src1=0 src2=0
	v_add_f32_e32 v9, v9, v87
	v_add_f32_e32 v11, v11, v19
	s_set_vgpr_msb 1                        ;  msbs: dst=0 src0=1 src1=0 src2=0
	v_pk_mul_f32 v[128:129], v[86:87] /*v[342:343]*/, v[128:129] op_sel_hi:[1,0]
	v_dual_fma_f32 v19, v74 /*v330*/, v210, -v27 :: v_dual_fmac_f32 v93, v77 /*v333*/, v212
	s_set_vgpr_msb 0                        ;  msbs: dst=0 src0=0 src1=0 src2=0
	v_add_f32_e32 v9, v9, v89
	s_set_vgpr_msb 0x41                     ;  msbs: dst=1 src0=1 src1=0 src2=0
	v_dual_mul_f32 v95 /*v351*/, v78 /*v334*/, v215 :: v_dual_mul_f32 v97 /*v353*/, v0 /*v256*/, v217
	s_set_vgpr_msb 1                        ;  msbs: dst=0 src0=1 src1=0 src2=0
	v_pk_fma_f32 v[140:141], v[2:3] /*v[258:259]*/, v[218:219], v[128:129] op_sel_hi:[1,0,1]
	s_set_vgpr_msb 0                        ;  msbs: dst=0 src0=0 src1=0 src2=0
	v_add_f32_e32 v11, v11, v21
	s_set_vgpr_msb 1                        ;  msbs: dst=0 src0=1 src1=0 src2=0
	v_pk_fma_f32 v[128:129], v[2:3] /*v[258:259]*/, v[218:219], v[128:129] neg_lo:[0,0,1] neg_hi:[0,0,1]
	s_wait_loadcnt 0x4
	s_set_vgpr_msb 0                        ;  msbs: dst=0 src0=0 src1=0 src2=0
	v_dual_mov_b32 v132, v223 :: v_dual_add_f32 v9, v9, v91
	s_set_vgpr_msb 1                        ;  msbs: dst=0 src0=1 src1=0 src2=0
	v_fma_f32 v13, v76 /*v332*/, v212, -v13
	s_set_vgpr_msb 0                        ;  msbs: dst=0 src0=0 src1=0 src2=0
	v_dual_mov_b32 v129, v141 :: v_dual_add_f32 v11, v11, v19
	s_set_vgpr_msb 0x41                     ;  msbs: dst=1 src0=1 src1=0 src2=0
	v_dual_fmac_f32 v95 /*v351*/, v79 /*v335*/, v214 :: v_dual_fmac_f32 v97 /*v353*/, v1 /*v257*/, v216
	v_dual_fma_f32 v94 /*v350*/, v78 /*v334*/, v214, -v15 :: v_dual_fma_f32 v96 /*v352*/, v0 /*v256*/, v216, -v17
	s_set_vgpr_msb 0                        ;  msbs: dst=0 src0=0 src1=0 src2=0
	v_add_f32_e32 v137, v9, v93
	v_add_f32_e32 v136, v11, v13
	s_set_vgpr_msb 1                        ;  msbs: dst=0 src0=1 src1=0 src2=0
	v_pk_mul_f32 v[130:131], v[12:13] /*v[268:269]*/, v[220:221] op_sel:[1,1] op_sel_hi:[0,1]
	v_pk_mul_f32 v[132:133], v[88:89] /*v[344:345]*/, v[132:133] op_sel_hi:[1,0]
	s_wait_loadcnt 0x3
	v_pk_mul_f32 v[134:135], v[16:17] /*v[272:273]*/, v[224:225] op_sel:[1,1] op_sel_hi:[0,1]
	s_wait_loadcnt 0x2
	v_pk_mul_f32 v[140:141], v[28:29] /*v[284:285]*/, v[228:229] op_sel:[1,1] op_sel_hi:[0,1]
	s_set_vgpr_msb 4                        ;  msbs: dst=0 src0=0 src1=1 src2=0
	v_pk_add_f32 v[136:137], v[136:137], v[94:95] /*v[350:351]*/
	s_set_vgpr_msb 1                        ;  msbs: dst=0 src0=1 src1=0 src2=0
	v_pk_fma_f32 v[142:143], v[12:13] /*v[268:269]*/, v[220:221], v[130:131] op_sel_hi:[1,0,1]
	v_pk_fma_f32 v[130:131], v[12:13] /*v[268:269]*/, v[220:221], v[130:131] neg_lo:[0,0,1] neg_hi:[0,0,1]
	s_set_vgpr_msb 4                        ;  msbs: dst=0 src0=0 src1=1 src2=0
	v_mov_b32_e32 v138, v227
	v_pk_add_f32 v[136:137], v[136:137], v[96:97] /*v[352:353]*/
	v_mov_b32_e32 v131, v143
	s_set_vgpr_msb 1                        ;  msbs: dst=0 src0=1 src1=0 src2=0
	v_pk_fma_f32 v[142:143], v[14:15] /*v[270:271]*/, v[222:223], v[132:133] op_sel_hi:[1,0,1]
	v_pk_fma_f32 v[132:133], v[14:15] /*v[270:271]*/, v[222:223], v[132:133] neg_lo:[0,0,1] neg_hi:[0,0,1]
	v_pk_mul_f32 v[138:139], v[90:91] /*v[346:347]*/, v[138:139] op_sel_hi:[1,0]
	s_set_vgpr_msb 0                        ;  msbs: dst=0 src0=0 src1=0 src2=0
	v_pk_add_f32 v[128:129], v[136:137], v[128:129]
	s_set_vgpr_msb 1                        ;  msbs: dst=0 src0=1 src1=0 src2=0
	v_pk_fma_f32 v[136:137], v[16:17] /*v[272:273]*/, v[224:225], v[134:135] op_sel_hi:[1,0,1]
	s_set_vgpr_msb 0                        ;  msbs: dst=0 src0=0 src1=0 src2=0
	v_mov_b32_e32 v133, v143
	s_set_vgpr_msb 1                        ;  msbs: dst=0 src0=1 src1=0 src2=0
	v_pk_fma_f32 v[134:135], v[16:17] /*v[272:273]*/, v[224:225], v[134:135] neg_lo:[0,0,1] neg_hi:[0,0,1]
	s_set_vgpr_msb 0                        ;  msbs: dst=0 src0=0 src1=0 src2=0
	v_pk_add_f32 v[128:129], v[128:129], v[130:131]
	v_dual_mov_b32 v130, v231 :: v_dual_mov_b32 v135, v137
	s_set_vgpr_msb 1                        ;  msbs: dst=0 src0=1 src1=0 src2=0
	v_pk_fma_f32 v[136:137], v[18:19] /*v[274:275]*/, v[226:227], v[138:139] op_sel_hi:[1,0,1]
	v_pk_fma_f32 v[138:139], v[18:19] /*v[274:275]*/, v[226:227], v[138:139] neg_lo:[0,0,1] neg_hi:[0,0,1]
	s_set_vgpr_msb 0                        ;  msbs: dst=0 src0=0 src1=0 src2=0
	v_pk_add_f32 v[128:129], v[128:129], v[132:133]
	s_set_vgpr_msb 1                        ;  msbs: dst=0 src0=1 src1=0 src2=0
	v_pk_fma_f32 v[132:133], v[28:29] /*v[284:285]*/, v[228:229], v[140:141] op_sel_hi:[1,0,1]
	v_pk_mul_f32 v[130:131], v[92:93] /*v[348:349]*/, v[130:131] op_sel_hi:[1,0]
	s_set_vgpr_msb 0                        ;  msbs: dst=0 src0=0 src1=0 src2=0
	v_mov_b32_e32 v139, v137
	s_wait_loadcnt_dscnt 0x100
	s_set_vgpr_msb 5                        ;  msbs: dst=0 src0=1 src1=1 src2=0
	v_pk_mul_f32 v[136:137], v[84:85] /*v[340:341]*/, v[80:81] /*v[336:337]*/ op_sel:[1,1] op_sel_hi:[0,1]
	s_set_vgpr_msb 0                        ;  msbs: dst=0 src0=0 src1=0 src2=0
	v_pk_add_f32 v[128:129], v[128:129], v[134:135]
	s_set_vgpr_msb 1                        ;  msbs: dst=0 src0=1 src1=0 src2=0
	v_pk_fma_f32 v[134:135], v[28:29] /*v[284:285]*/, v[228:229], v[140:141] neg_lo:[0,0,1] neg_hi:[0,0,1]
	s_set_vgpr_msb 0                        ;  msbs: dst=0 src0=0 src1=0 src2=0
	v_mov_b32_e32 v135, v133
	s_set_vgpr_msb 1                        ;  msbs: dst=0 src0=1 src1=0 src2=0
	v_pk_fma_f32 v[132:133], v[30:31] /*v[286:287]*/, v[230:231], v[130:131] op_sel_hi:[1,0,1]
	v_pk_fma_f32 v[130:131], v[30:31] /*v[286:287]*/, v[230:231], v[130:131] neg_lo:[0,0,1] neg_hi:[0,0,1]
	s_set_vgpr_msb 0                        ;  msbs: dst=0 src0=0 src1=0 src2=0
	v_pk_add_f32 v[128:129], v[128:129], v[138:139]
	s_delay_alu instid0(VALU_DEP_3)
	v_mov_b32_e32 v131, v133
	s_set_vgpr_msb 5                        ;  msbs: dst=0 src0=1 src1=1 src2=0
	v_pk_fma_f32 v[132:133], v[84:85] /*v[340:341]*/, v[80:81] /*v[336:337]*/, v[136:137] op_sel_hi:[1,0,1]
	s_set_vgpr_msb 0                        ;  msbs: dst=0 src0=0 src1=0 src2=0
	v_pk_add_f32 v[128:129], v[128:129], v[134:135]
	s_set_vgpr_msb 5                        ;  msbs: dst=0 src0=1 src1=1 src2=0
	v_pk_fma_f32 v[134:135], v[84:85] /*v[340:341]*/, v[80:81] /*v[336:337]*/, v[136:137] neg_lo:[0,0,1] neg_hi:[0,0,1]
	s_set_vgpr_msb 0                        ;  msbs: dst=0 src0=0 src1=0 src2=0
	v_mov_b32_e32 v135, v133
	v_pk_add_f32 v[128:129], v[128:129], v[130:131]
	s_delay_alu instid0(VALU_DEP_1) | instskip(SKIP_2) | instid1(VALU_DEP_1)
	v_pk_add_f32 v[128:129], v[128:129], v[134:135]
	s_wait_loadcnt 0x0
	s_set_vgpr_msb 1                        ;  msbs: dst=0 src0=1 src1=0 src2=0
	v_pk_add_f32 v[128:129], v[82:83] /*v[338:339]*/, v[128:129] neg_lo:[0,1] neg_hi:[0,1]
	scratch_store_b64 off, v[128:129], off offset:72
	s_wait_xcnt 0x0
	v_cmpx_lt_u32_e32 8, v0
	s_set_vgpr_msb 0                        ;  msbs: dst=0 src0=0 src1=0 src2=0
	s_cbranch_execz .LBB62_375
; %bb.374:
	scratch_load_b64 v[128:129], off, off offset:64
	v_mov_b64_e32 v[130:131], 0
	scratch_store_b64 off, v[130:131], off offset:64
	s_wait_loadcnt 0x0
	ds_store_b64 v1, v[128:129]
.LBB62_375:
	s_wait_xcnt 0x0
	s_or_b32 exec_lo, exec_lo, s0
	s_wait_storecnt_dscnt 0x0
	s_barrier_signal -1
	s_barrier_wait -1
	s_clause 0xf
	scratch_load_b128 v[132:135], off, off offset:72
	scratch_load_b128 v[140:143], off, off offset:88
	;; [unrolled: 1-line block ×16, first 2 shown]
	ds_load_2addr_b64 v[128:131], v5 offset0:73 offset1:74
	ds_load_2addr_b64 v[136:139], v5 offset0:75 offset1:76
	s_set_vgpr_msb 64                       ;  msbs: dst=1 src0=0 src1=0 src2=0
	s_clause 0x1
	scratch_load_b128 v[4:7] /*v[260:263]*/, off, off offset:328
	scratch_load_b128 v[12:15] /*v[268:271]*/, off, off offset:344
	s_set_vgpr_msb 0                        ;  msbs: dst=0 src0=0 src1=0 src2=0
	ds_load_2addr_b64 v[144:147], v5 offset0:77 offset1:78
	ds_load_2addr_b64 v[152:155], v5 offset0:79 offset1:80
	s_set_vgpr_msb 64                       ;  msbs: dst=1 src0=0 src1=0 src2=0
	s_clause 0x1
	scratch_load_b128 v[20:23] /*v[276:279]*/, off, off offset:360
	scratch_load_b128 v[28:31] /*v[284:287]*/, off, off offset:376
	s_set_vgpr_msb 0                        ;  msbs: dst=0 src0=0 src1=0 src2=0
	;; [unrolled: 7-line block ×3, first 2 shown]
	ds_load_2addr_b64 v[176:179], v5 offset0:85 offset1:86
	ds_load_2addr_b64 v[184:187], v5 offset0:87 offset1:88
	;; [unrolled: 1-line block ×10, first 2 shown]
	s_set_vgpr_msb 64                       ;  msbs: dst=1 src0=0 src1=0 src2=0
	ds_load_2addr_b64 v[0:3] /*v[256:259]*/, v5 offset0:105 offset1:106
	ds_load_2addr_b64 v[8:11] /*v[264:267]*/, v5 offset0:107 offset1:108
	;; [unrolled: 1-line block ×3, first 2 shown]
	scratch_load_b128 v[52:55] /*v[308:311]*/, off, off offset:424
	ds_load_2addr_b64 v[16:19] /*v[272:275]*/, v5 offset0:109 offset1:110
	ds_load_2addr_b64 v[24:27] /*v[280:283]*/, v5 offset0:111 offset1:112
	;; [unrolled: 1-line block ×4, first 2 shown]
	s_clause 0x3
	scratch_load_b128 v[56:59] /*v[312:315]*/, off, off offset:440
	scratch_load_b128 v[60:63] /*v[316:319]*/, off, off offset:456
	;; [unrolled: 1-line block ×4, first 2 shown]
	s_mov_b32 s0, exec_lo
	s_wait_loadcnt_dscnt 0x1a16
	s_set_vgpr_msb 0                        ;  msbs: dst=0 src0=0 src1=0 src2=0
	v_dual_mul_f32 v9, v128, v133 :: v_dual_mul_f32 v11, v130, v135
	s_delay_alu instid0(VALU_DEP_1) | instskip(NEXT) | instid1(VALU_DEP_1)
	v_dual_fmac_f32 v9, v129, v132 :: v_dual_fmac_f32 v11, v131, v134
	v_add_f32_e32 v9, 0, v9
	s_wait_loadcnt_dscnt 0x1915
	s_delay_alu instid0(VALU_DEP_1) | instskip(NEXT) | instid1(VALU_DEP_1)
	v_dual_add_f32 v9, v9, v11 :: v_dual_mul_f32 v11, v136, v141
	v_fmac_f32_e32 v11, v137, v140
	s_delay_alu instid0(VALU_DEP_1) | instskip(SKIP_1) | instid1(VALU_DEP_1)
	v_add_f32_e32 v9, v9, v11
	v_mul_f32_e32 v11, v138, v143
	v_fmac_f32_e32 v11, v139, v142
	s_wait_loadcnt_dscnt 0x1814
	s_delay_alu instid0(VALU_DEP_1)
	v_dual_add_f32 v9, v9, v11 :: v_dual_mul_f32 v11, v144, v149
	s_wait_loadcnt_dscnt 0x404
	s_set_vgpr_msb 0x45                     ;  msbs: dst=1 src0=1 src1=1 src2=0
	v_dual_mul_f32 v75 /*v331*/, v48 /*v304*/, v53 /*v309*/ :: v_dual_mul_f32 v77 /*v333*/, v50 /*v306*/, v55 /*v311*/
	s_set_vgpr_msb 0                        ;  msbs: dst=0 src0=0 src1=0 src2=0
	v_fmac_f32_e32 v11, v145, v148
	s_set_vgpr_msb 0x45                     ;  msbs: dst=1 src0=1 src1=1 src2=0
	s_delay_alu instid0(VALU_DEP_2) | instskip(SKIP_1) | instid1(VALU_DEP_2)
	v_dual_fmac_f32 v75 /*v331*/, v49 /*v305*/, v52 /*v308*/ :: v_dual_fmac_f32 v77 /*v333*/, v51 /*v307*/, v54 /*v310*/
	s_set_vgpr_msb 0                        ;  msbs: dst=0 src0=0 src1=0 src2=0
	v_add_f32_e32 v9, v9, v11
	v_mul_f32_e32 v11, v146, v151
	s_delay_alu instid0(VALU_DEP_1) | instskip(NEXT) | instid1(VALU_DEP_1)
	v_fmac_f32_e32 v11, v147, v150
	v_dual_add_f32 v9, v9, v11 :: v_dual_mul_f32 v11, v152, v157
	s_delay_alu instid0(VALU_DEP_1) | instskip(NEXT) | instid1(VALU_DEP_1)
	v_fmac_f32_e32 v11, v153, v156
	v_add_f32_e32 v9, v9, v11
	v_mul_f32_e32 v11, v154, v159
	s_delay_alu instid0(VALU_DEP_1) | instskip(NEXT) | instid1(VALU_DEP_1)
	v_fmac_f32_e32 v11, v155, v158
	v_dual_add_f32 v9, v9, v11 :: v_dual_mul_f32 v11, v160, v165
	s_delay_alu instid0(VALU_DEP_1) | instskip(NEXT) | instid1(VALU_DEP_1)
	v_fmac_f32_e32 v11, v161, v164
	;; [unrolled: 7-line block ×13, first 2 shown]
	v_add_f32_e32 v9, v9, v11
	v_mul_f32_e32 v11, v250, v255
	s_delay_alu instid0(VALU_DEP_1) | instskip(NEXT) | instid1(VALU_DEP_1)
	v_fmac_f32_e32 v11, v251, v254
	v_add_f32_e32 v9, v9, v11
	s_set_vgpr_msb 5                        ;  msbs: dst=0 src0=1 src1=1 src2=0
	v_mul_f32_e32 v11, v0 /*v256*/, v5 /*v261*/
	s_delay_alu instid0(VALU_DEP_1) | instskip(SKIP_1) | instid1(VALU_DEP_1)
	v_fmac_f32_e32 v11, v1 /*v257*/, v4 /*v260*/
	s_set_vgpr_msb 0                        ;  msbs: dst=0 src0=0 src1=0 src2=0
	v_add_f32_e32 v9, v9, v11
	s_set_vgpr_msb 5                        ;  msbs: dst=0 src0=1 src1=1 src2=0
	v_mul_f32_e32 v11, v2 /*v258*/, v7 /*v263*/
	s_delay_alu instid0(VALU_DEP_1) | instskip(SKIP_1) | instid1(VALU_DEP_1)
	v_fmac_f32_e32 v11, v3 /*v259*/, v6 /*v262*/
	s_set_vgpr_msb 0                        ;  msbs: dst=0 src0=0 src1=0 src2=0
	;; [unrolled: 6-line block ×4, first 2 shown]
	v_add_f32_e32 v9, v9, v11
	s_wait_dscnt 0x3
	s_set_vgpr_msb 5                        ;  msbs: dst=0 src0=1 src1=1 src2=0
	v_mul_f32_e32 v11, v16 /*v272*/, v21 /*v277*/
	s_delay_alu instid0(VALU_DEP_1) | instskip(SKIP_1) | instid1(VALU_DEP_1)
	v_fmac_f32_e32 v11, v17 /*v273*/, v20 /*v276*/
	s_set_vgpr_msb 0                        ;  msbs: dst=0 src0=0 src1=0 src2=0
	v_add_f32_e32 v9, v9, v11
	s_set_vgpr_msb 5                        ;  msbs: dst=0 src0=1 src1=1 src2=0
	v_mul_f32_e32 v11, v18 /*v274*/, v23 /*v279*/
	s_delay_alu instid0(VALU_DEP_1) | instskip(SKIP_1) | instid1(VALU_DEP_1)
	v_fmac_f32_e32 v11, v19 /*v275*/, v22 /*v278*/
	s_set_vgpr_msb 0                        ;  msbs: dst=0 src0=0 src1=0 src2=0
	v_add_f32_e32 v9, v9, v11
	s_wait_dscnt 0x2
	s_set_vgpr_msb 5                        ;  msbs: dst=0 src0=1 src1=1 src2=0
	v_mul_f32_e32 v11, v24 /*v280*/, v29 /*v285*/
	s_delay_alu instid0(VALU_DEP_1) | instskip(SKIP_1) | instid1(VALU_DEP_1)
	v_fmac_f32_e32 v11, v25 /*v281*/, v28 /*v284*/
	s_set_vgpr_msb 0                        ;  msbs: dst=0 src0=0 src1=0 src2=0
	v_add_f32_e32 v9, v9, v11
	s_set_vgpr_msb 5                        ;  msbs: dst=0 src0=1 src1=1 src2=0
	v_mul_f32_e32 v11, v26 /*v282*/, v31 /*v287*/
	s_delay_alu instid0(VALU_DEP_1) | instskip(SKIP_1) | instid1(VALU_DEP_1)
	v_fmac_f32_e32 v11, v27 /*v283*/, v30 /*v286*/
	s_set_vgpr_msb 0                        ;  msbs: dst=0 src0=0 src1=0 src2=0
	v_add_f32_e32 v9, v9, v11
	s_wait_dscnt 0x1
	s_set_vgpr_msb 5                        ;  msbs: dst=0 src0=1 src1=1 src2=0
	v_mul_f32_e32 v11, v32 /*v288*/, v37 /*v293*/
	s_delay_alu instid0(VALU_DEP_1) | instskip(SKIP_1) | instid1(VALU_DEP_1)
	v_fmac_f32_e32 v11, v33 /*v289*/, v36 /*v292*/
	s_set_vgpr_msb 0                        ;  msbs: dst=0 src0=0 src1=0 src2=0
	v_add_f32_e32 v9, v9, v11
	s_set_vgpr_msb 5                        ;  msbs: dst=0 src0=1 src1=1 src2=0
	v_mul_f32_e32 v11, v34 /*v290*/, v39 /*v295*/
	s_delay_alu instid0(VALU_DEP_1) | instskip(SKIP_1) | instid1(VALU_DEP_1)
	v_fmac_f32_e32 v11, v35 /*v291*/, v38 /*v294*/
	s_set_vgpr_msb 0                        ;  msbs: dst=0 src0=0 src1=0 src2=0
	v_add_f32_e32 v9, v9, v11
	s_wait_dscnt 0x0
	s_set_vgpr_msb 5                        ;  msbs: dst=0 src0=1 src1=1 src2=0
	v_mul_f32_e32 v11, v40 /*v296*/, v45 /*v301*/
	s_delay_alu instid0(VALU_DEP_1) | instskip(SKIP_1) | instid1(VALU_DEP_1)
	v_fmac_f32_e32 v11, v41 /*v297*/, v44 /*v300*/
	s_set_vgpr_msb 0                        ;  msbs: dst=0 src0=0 src1=0 src2=0
	v_add_f32_e32 v9, v9, v11
	s_set_vgpr_msb 5                        ;  msbs: dst=0 src0=1 src1=1 src2=0
	v_mul_f32_e32 v11, v42 /*v298*/, v47 /*v303*/
	s_delay_alu instid0(VALU_DEP_1) | instskip(SKIP_1) | instid1(VALU_DEP_1)
	v_fmac_f32_e32 v11, v43 /*v299*/, v46 /*v302*/
	s_set_vgpr_msb 64                       ;  msbs: dst=1 src0=0 src1=0 src2=0
	v_add_f32_e32 v73 /*v329*/, v9, v11
	s_set_vgpr_msb 0                        ;  msbs: dst=0 src0=0 src1=0 src2=0
	v_dual_mul_f32 v9, v129, v133 :: v_dual_mul_f32 v11, v131, v135
	s_delay_alu instid0(VALU_DEP_1) | instskip(NEXT) | instid1(VALU_DEP_1)
	v_dual_fma_f32 v9, v128, v132, -v9 :: v_dual_fma_f32 v11, v130, v134, -v11
	v_add_f32_e32 v9, 0, v9
	s_delay_alu instid0(VALU_DEP_1) | instskip(SKIP_1) | instid1(VALU_DEP_1)
	v_add_f32_e32 v9, v9, v11
	v_mul_f32_e32 v11, v137, v141
	v_fma_f32 v11, v136, v140, -v11
	s_delay_alu instid0(VALU_DEP_1) | instskip(SKIP_1) | instid1(VALU_DEP_1)
	v_add_f32_e32 v9, v9, v11
	v_mul_f32_e32 v11, v139, v143
	v_fma_f32 v11, v138, v142, -v11
	ds_load_2addr_b64 v[128:131], v5 offset0:119 offset1:120
	ds_load_2addr_b64 v[132:135], v5 offset0:121 offset1:122
	;; [unrolled: 1-line block ×4, first 2 shown]
	v_add_f32_e32 v9, v9, v11
	v_mul_f32_e32 v11, v145, v149
	s_delay_alu instid0(VALU_DEP_1) | instskip(NEXT) | instid1(VALU_DEP_1)
	v_fma_f32 v11, v144, v148, -v11
	v_add_f32_e32 v9, v9, v11
	v_mul_f32_e32 v11, v147, v151
	s_delay_alu instid0(VALU_DEP_1)
	v_fma_f32 v11, v146, v150, -v11
	s_wait_loadcnt_dscnt 0x303
	s_set_vgpr_msb 4                        ;  msbs: dst=0 src0=0 src1=1 src2=0
	v_pk_mul_f32 v[146:147], v[128:129], v[56:57] /*v[312:313]*/ op_sel:[1,1] op_sel_hi:[0,1]
	s_set_vgpr_msb 0                        ;  msbs: dst=0 src0=0 src1=0 src2=0
	v_add_f32_e32 v9, v9, v11
	v_mul_f32_e32 v11, v153, v157
	s_set_vgpr_msb 4                        ;  msbs: dst=0 src0=0 src1=1 src2=0
	v_pk_fma_f32 v[148:149], v[128:129], v[56:57] /*v[312:313]*/, v[146:147] neg_lo:[0,0,1] neg_hi:[0,0,1]
	v_pk_fma_f32 v[128:129], v[128:129], v[56:57] /*v[312:313]*/, v[146:147] op_sel_hi:[1,0,1]
	s_set_vgpr_msb 1                        ;  msbs: dst=0 src0=1 src1=0 src2=0
	v_mov_b32_e32 v146, v59 /*v315*/
	s_set_vgpr_msb 0                        ;  msbs: dst=0 src0=0 src1=0 src2=0
	s_delay_alu instid0(VALU_DEP_2) | instskip(NEXT) | instid1(VALU_DEP_1)
	v_dual_fma_f32 v11, v152, v156, -v11 :: v_dual_mov_b32 v149, v129
	v_add_f32_e32 v9, v9, v11
	v_mul_f32_e32 v11, v155, v159
	s_delay_alu instid0(VALU_DEP_1) | instskip(NEXT) | instid1(VALU_DEP_1)
	v_fma_f32 v11, v154, v158, -v11
	v_add_f32_e32 v9, v9, v11
	v_mul_f32_e32 v11, v161, v165
	s_delay_alu instid0(VALU_DEP_1) | instskip(NEXT) | instid1(VALU_DEP_1)
	v_fma_f32 v11, v160, v164, -v11
	;; [unrolled: 4-line block ×25, first 2 shown]
	v_add_f32_e32 v9, v9, v11
	s_set_vgpr_msb 5                        ;  msbs: dst=0 src0=1 src1=1 src2=0
	v_mul_f32_e32 v11, v1 /*v257*/, v5 /*v261*/
	s_delay_alu instid0(VALU_DEP_1) | instskip(SKIP_1) | instid1(VALU_DEP_1)
	v_fma_f32 v11, v0 /*v256*/, v4 /*v260*/, -v11
	s_set_vgpr_msb 0                        ;  msbs: dst=0 src0=0 src1=0 src2=0
	v_add_f32_e32 v9, v9, v11
	s_set_vgpr_msb 5                        ;  msbs: dst=0 src0=1 src1=1 src2=0
	v_mul_f32_e32 v11, v3 /*v259*/, v7 /*v263*/
	s_delay_alu instid0(VALU_DEP_1) | instskip(SKIP_1) | instid1(VALU_DEP_1)
	v_fma_f32 v11, v2 /*v258*/, v6 /*v262*/, -v11
	s_set_vgpr_msb 0                        ;  msbs: dst=0 src0=0 src1=0 src2=0
	v_add_f32_e32 v9, v9, v11
	s_set_vgpr_msb 5                        ;  msbs: dst=0 src0=1 src1=1 src2=0
	v_mul_f32_e32 v11, v9 /*v265*/, v13 /*v269*/
	s_delay_alu instid0(VALU_DEP_1) | instskip(SKIP_1) | instid1(VALU_DEP_1)
	v_fma_f32 v11, v8 /*v264*/, v12 /*v268*/, -v11
	s_set_vgpr_msb 0                        ;  msbs: dst=0 src0=0 src1=0 src2=0
	v_add_f32_e32 v9, v9, v11
	s_set_vgpr_msb 5                        ;  msbs: dst=0 src0=1 src1=1 src2=0
	v_mul_f32_e32 v11, v11 /*v267*/, v15 /*v271*/
	s_delay_alu instid0(VALU_DEP_1) | instskip(SKIP_1) | instid1(VALU_DEP_1)
	v_fma_f32 v11, v10 /*v266*/, v14 /*v270*/, -v11
	s_set_vgpr_msb 0                        ;  msbs: dst=0 src0=0 src1=0 src2=0
	v_add_f32_e32 v9, v9, v11
	s_set_vgpr_msb 5                        ;  msbs: dst=0 src0=1 src1=1 src2=0
	v_mul_f32_e32 v11, v17 /*v273*/, v21 /*v277*/
	s_delay_alu instid0(VALU_DEP_1) | instskip(SKIP_1) | instid1(VALU_DEP_1)
	v_fma_f32 v11, v16 /*v272*/, v20 /*v276*/, -v11
	s_set_vgpr_msb 0                        ;  msbs: dst=0 src0=0 src1=0 src2=0
	v_add_f32_e32 v9, v9, v11
	s_set_vgpr_msb 5                        ;  msbs: dst=0 src0=1 src1=1 src2=0
	v_mul_f32_e32 v11, v19 /*v275*/, v23 /*v279*/
	s_delay_alu instid0(VALU_DEP_1) | instskip(SKIP_1) | instid1(VALU_DEP_1)
	v_fma_f32 v11, v18 /*v274*/, v22 /*v278*/, -v11
	s_set_vgpr_msb 0                        ;  msbs: dst=0 src0=0 src1=0 src2=0
	v_add_f32_e32 v9, v9, v11
	s_set_vgpr_msb 5                        ;  msbs: dst=0 src0=1 src1=1 src2=0
	v_mul_f32_e32 v11, v25 /*v281*/, v29 /*v285*/
	s_delay_alu instid0(VALU_DEP_1) | instskip(SKIP_1) | instid1(VALU_DEP_1)
	v_fma_f32 v11, v24 /*v280*/, v28 /*v284*/, -v11
	s_set_vgpr_msb 0                        ;  msbs: dst=0 src0=0 src1=0 src2=0
	v_add_f32_e32 v9, v9, v11
	s_set_vgpr_msb 5                        ;  msbs: dst=0 src0=1 src1=1 src2=0
	v_mul_f32_e32 v11, v27 /*v283*/, v31 /*v287*/
	s_delay_alu instid0(VALU_DEP_1) | instskip(SKIP_1) | instid1(VALU_DEP_1)
	v_fma_f32 v11, v26 /*v282*/, v30 /*v286*/, -v11
	s_set_vgpr_msb 0                        ;  msbs: dst=0 src0=0 src1=0 src2=0
	v_add_f32_e32 v9, v9, v11
	s_set_vgpr_msb 5                        ;  msbs: dst=0 src0=1 src1=1 src2=0
	v_mul_f32_e32 v11, v33 /*v289*/, v37 /*v293*/
	s_delay_alu instid0(VALU_DEP_1) | instskip(SKIP_1) | instid1(VALU_DEP_1)
	v_fma_f32 v11, v32 /*v288*/, v36 /*v292*/, -v11
	s_set_vgpr_msb 0                        ;  msbs: dst=0 src0=0 src1=0 src2=0
	v_add_f32_e32 v9, v9, v11
	s_set_vgpr_msb 5                        ;  msbs: dst=0 src0=1 src1=1 src2=0
	v_mul_f32_e32 v11, v35 /*v291*/, v39 /*v295*/
	s_delay_alu instid0(VALU_DEP_1) | instskip(SKIP_1) | instid1(VALU_DEP_1)
	v_fma_f32 v11, v34 /*v290*/, v38 /*v294*/, -v11
	s_set_vgpr_msb 0                        ;  msbs: dst=0 src0=0 src1=0 src2=0
	v_add_f32_e32 v9, v9, v11
	s_set_vgpr_msb 5                        ;  msbs: dst=0 src0=1 src1=1 src2=0
	v_mul_f32_e32 v11, v41 /*v297*/, v45 /*v301*/
	s_delay_alu instid0(VALU_DEP_1) | instskip(SKIP_1) | instid1(VALU_DEP_1)
	v_fma_f32 v11, v40 /*v296*/, v44 /*v300*/, -v11
	s_set_vgpr_msb 0                        ;  msbs: dst=0 src0=0 src1=0 src2=0
	v_add_f32_e32 v9, v9, v11
	s_set_vgpr_msb 5                        ;  msbs: dst=0 src0=1 src1=1 src2=0
	v_mul_f32_e32 v11, v43 /*v299*/, v47 /*v303*/
	s_delay_alu instid0(VALU_DEP_1) | instskip(SKIP_1) | instid1(VALU_DEP_1)
	v_fma_f32 v11, v42 /*v298*/, v46 /*v302*/, -v11
	s_set_vgpr_msb 64                       ;  msbs: dst=1 src0=0 src1=0 src2=0
	v_add_f32_e32 v72 /*v328*/, v9, v11
	s_set_vgpr_msb 5                        ;  msbs: dst=0 src0=1 src1=1 src2=0
	v_mul_f32_e32 v9, v49 /*v305*/, v53 /*v309*/
	s_set_vgpr_msb 0x45                     ;  msbs: dst=1 src0=1 src1=1 src2=0
	s_delay_alu instid0(VALU_DEP_1) | instskip(SKIP_3) | instid1(VALU_DEP_1)
	v_fma_f32 v74 /*v330*/, v48 /*v304*/, v52 /*v308*/, -v9
	s_set_vgpr_msb 5                        ;  msbs: dst=0 src0=1 src1=1 src2=0
	v_mul_f32_e32 v9, v51 /*v307*/, v55 /*v311*/
	s_set_vgpr_msb 0x45                     ;  msbs: dst=1 src0=1 src1=1 src2=0
	v_fma_f32 v76 /*v332*/, v50 /*v306*/, v54 /*v310*/, -v9
	s_set_vgpr_msb 5                        ;  msbs: dst=0 src0=1 src1=1 src2=0
	v_pk_add_f32 v[144:145], v[72:73] /*v[328:329]*/, v[74:75] /*v[330:331]*/
	s_set_vgpr_msb 4                        ;  msbs: dst=0 src0=0 src1=1 src2=0
	s_delay_alu instid0(VALU_DEP_1) | instskip(SKIP_1) | instid1(VALU_DEP_1)
	v_pk_add_f32 v[144:145], v[144:145], v[76:77] /*v[332:333]*/
	s_set_vgpr_msb 0                        ;  msbs: dst=0 src0=0 src1=0 src2=0
	v_pk_add_f32 v[128:129], v[144:145], v[148:149]
	v_dual_mov_b32 v144, v131 :: v_dual_mov_b32 v145, v130
	s_delay_alu instid0(VALU_DEP_1) | instskip(SKIP_1) | instid1(VALU_DEP_1)
	v_pk_mul_f32 v[144:145], v[144:145], v[146:147] op_sel_hi:[1,0]
	s_set_vgpr_msb 4                        ;  msbs: dst=0 src0=0 src1=1 src2=0
	v_pk_fma_f32 v[146:147], v[130:131], v[58:59] /*v[314:315]*/, v[144:145] neg_lo:[0,0,1] neg_hi:[0,0,1]
	v_pk_fma_f32 v[130:131], v[130:131], v[58:59] /*v[314:315]*/, v[144:145] op_sel_hi:[1,0,1]
	s_delay_alu instid0(VALU_DEP_1) | instskip(SKIP_3) | instid1(VALU_DEP_2)
	v_mov_b32_e32 v147, v131
	s_wait_loadcnt_dscnt 0x202
	v_pk_mul_f32 v[130:131], v[132:133], v[60:61] /*v[316:317]*/ op_sel:[1,1] op_sel_hi:[0,1]
	s_set_vgpr_msb 0                        ;  msbs: dst=0 src0=0 src1=0 src2=0
	v_pk_add_f32 v[128:129], v[128:129], v[146:147]
	s_set_vgpr_msb 4                        ;  msbs: dst=0 src0=0 src1=1 src2=0
	s_delay_alu instid0(VALU_DEP_2)
	v_pk_fma_f32 v[144:145], v[132:133], v[60:61] /*v[316:317]*/, v[130:131] neg_lo:[0,0,1] neg_hi:[0,0,1]
	v_pk_fma_f32 v[130:131], v[132:133], v[60:61] /*v[316:317]*/, v[130:131] op_sel_hi:[1,0,1]
	v_mov_b32_e32 v130, v135
	s_set_vgpr_msb 1                        ;  msbs: dst=0 src0=1 src1=0 src2=0
	v_mov_b32_e32 v132, v63 /*v319*/
	s_set_vgpr_msb 0                        ;  msbs: dst=0 src0=0 src1=0 src2=0
	v_dual_mov_b32 v145, v131 :: v_dual_mov_b32 v131, v134
	s_delay_alu instid0(VALU_DEP_1) | instskip(NEXT) | instid1(VALU_DEP_2)
	v_pk_add_f32 v[128:129], v[128:129], v[144:145]
	v_pk_mul_f32 v[130:131], v[130:131], v[132:133] op_sel_hi:[1,0]
	s_set_vgpr_msb 4                        ;  msbs: dst=0 src0=0 src1=1 src2=0
	s_delay_alu instid0(VALU_DEP_1) | instskip(SKIP_1) | instid1(VALU_DEP_1)
	v_pk_fma_f32 v[132:133], v[134:135], v[62:63] /*v[318:319]*/, v[130:131] neg_lo:[0,0,1] neg_hi:[0,0,1]
	v_pk_fma_f32 v[130:131], v[134:135], v[62:63] /*v[318:319]*/, v[130:131] op_sel_hi:[1,0,1]
	v_mov_b32_e32 v133, v131
	s_wait_loadcnt_dscnt 0x101
	v_pk_mul_f32 v[130:131], v[136:137], v[64:65] /*v[320:321]*/ op_sel:[1,1] op_sel_hi:[0,1]
	s_set_vgpr_msb 0                        ;  msbs: dst=0 src0=0 src1=0 src2=0
	s_delay_alu instid0(VALU_DEP_2) | instskip(SKIP_1) | instid1(VALU_DEP_2)
	v_pk_add_f32 v[128:129], v[128:129], v[132:133]
	s_set_vgpr_msb 4                        ;  msbs: dst=0 src0=0 src1=1 src2=0
	v_pk_fma_f32 v[132:133], v[136:137], v[64:65] /*v[320:321]*/, v[130:131] neg_lo:[0,0,1] neg_hi:[0,0,1]
	v_pk_fma_f32 v[130:131], v[136:137], v[64:65] /*v[320:321]*/, v[130:131] op_sel_hi:[1,0,1]
	s_delay_alu instid0(VALU_DEP_1) | instskip(SKIP_2) | instid1(VALU_DEP_2)
	v_dual_mov_b32 v130, v139 :: v_dual_mov_b32 v133, v131
	v_mov_b32_e32 v131, v138
	s_set_vgpr_msb 0                        ;  msbs: dst=0 src0=0 src1=0 src2=0
	v_pk_add_f32 v[128:129], v[128:129], v[132:133]
	s_set_vgpr_msb 1                        ;  msbs: dst=0 src0=1 src1=0 src2=0
	v_mov_b32_e32 v132, v67 /*v323*/
	s_set_vgpr_msb 0                        ;  msbs: dst=0 src0=0 src1=0 src2=0
	s_delay_alu instid0(VALU_DEP_1) | instskip(SKIP_1) | instid1(VALU_DEP_1)
	v_pk_mul_f32 v[130:131], v[130:131], v[132:133] op_sel_hi:[1,0]
	s_set_vgpr_msb 4                        ;  msbs: dst=0 src0=0 src1=1 src2=0
	v_pk_fma_f32 v[132:133], v[138:139], v[66:67] /*v[322:323]*/, v[130:131] neg_lo:[0,0,1] neg_hi:[0,0,1]
	v_pk_fma_f32 v[130:131], v[138:139], v[66:67] /*v[322:323]*/, v[130:131] op_sel_hi:[1,0,1]
	s_delay_alu instid0(VALU_DEP_1) | instskip(SKIP_3) | instid1(VALU_DEP_2)
	v_mov_b32_e32 v133, v131
	s_wait_loadcnt_dscnt 0x0
	v_pk_mul_f32 v[130:131], v[140:141], v[68:69] /*v[324:325]*/ op_sel:[1,1] op_sel_hi:[0,1]
	s_set_vgpr_msb 0                        ;  msbs: dst=0 src0=0 src1=0 src2=0
	v_pk_add_f32 v[128:129], v[128:129], v[132:133]
	s_set_vgpr_msb 4                        ;  msbs: dst=0 src0=0 src1=1 src2=0
	s_delay_alu instid0(VALU_DEP_2) | instskip(SKIP_1) | instid1(VALU_DEP_1)
	v_pk_fma_f32 v[132:133], v[140:141], v[68:69] /*v[324:325]*/, v[130:131] neg_lo:[0,0,1] neg_hi:[0,0,1]
	v_pk_fma_f32 v[130:131], v[140:141], v[68:69] /*v[324:325]*/, v[130:131] op_sel_hi:[1,0,1]
	v_dual_mov_b32 v130, v143 :: v_dual_mov_b32 v133, v131
	v_mov_b32_e32 v131, v142
	s_set_vgpr_msb 0                        ;  msbs: dst=0 src0=0 src1=0 src2=0
	s_delay_alu instid0(VALU_DEP_2) | instskip(SKIP_3) | instid1(VALU_DEP_1)
	v_pk_add_f32 v[128:129], v[128:129], v[132:133]
	s_set_vgpr_msb 1                        ;  msbs: dst=0 src0=1 src1=0 src2=0
	v_mov_b32_e32 v132, v71 /*v327*/
	s_set_vgpr_msb 0                        ;  msbs: dst=0 src0=0 src1=0 src2=0
	v_pk_mul_f32 v[130:131], v[130:131], v[132:133] op_sel_hi:[1,0]
	s_set_vgpr_msb 4                        ;  msbs: dst=0 src0=0 src1=1 src2=0
	s_delay_alu instid0(VALU_DEP_1) | instskip(SKIP_1) | instid1(VALU_DEP_1)
	v_pk_fma_f32 v[132:133], v[142:143], v[70:71] /*v[326:327]*/, v[130:131] neg_lo:[0,0,1] neg_hi:[0,0,1]
	v_pk_fma_f32 v[130:131], v[142:143], v[70:71] /*v[326:327]*/, v[130:131] op_sel_hi:[1,0,1]
	v_mov_b32_e32 v133, v131
	scratch_load_b64 v[130:131], off, off offset:64
	s_set_vgpr_msb 0                        ;  msbs: dst=0 src0=0 src1=0 src2=0
	v_pk_add_f32 v[128:129], v[128:129], v[132:133]
	s_wait_loadcnt 0x0
	s_delay_alu instid0(VALU_DEP_1)
	v_pk_add_f32 v[128:129], v[130:131], v[128:129] neg_lo:[0,1] neg_hi:[0,1]
	scratch_store_b64 off, v[128:129], off offset:64
	s_wait_xcnt 0x0
	v_cmpx_lt_u32_e32 7, v0
	s_cbranch_execz .LBB62_377
; %bb.376:
	scratch_load_b64 v[128:129], off, off offset:56
	v_mov_b64_e32 v[130:131], 0
	scratch_store_b64 off, v[130:131], off offset:56
	s_wait_loadcnt 0x0
	ds_store_b64 v1, v[128:129]
.LBB62_377:
	s_wait_xcnt 0x0
	s_or_b32 exec_lo, exec_lo, s0
	v_mov_b32_e32 v5, 0
	s_wait_storecnt_dscnt 0x0
	s_barrier_signal -1
	s_barrier_wait -1
	ds_load_b128 v[128:131], v5 offset:576
	ds_load_b128 v[132:135], v5 offset:592
	;; [unrolled: 1-line block ×4, first 2 shown]
	s_clause 0x18
	scratch_load_b128 v[144:147], off, off offset:64
	scratch_load_b128 v[148:151], off, off offset:80
	;; [unrolled: 1-line block ×16, first 2 shown]
	s_set_vgpr_msb 64                       ;  msbs: dst=1 src0=0 src1=0 src2=0
	scratch_load_b128 v[4:7] /*v[260:263]*/, off, off offset:320
	scratch_load_b128 v[12:15] /*v[268:271]*/, off, off offset:336
	;; [unrolled: 1-line block ×8, first 2 shown]
	s_mov_b32 s0, exec_lo
	s_wait_loadcnt_dscnt 0x1703
	s_set_vgpr_msb 0                        ;  msbs: dst=0 src0=0 src1=0 src2=0
	v_mul_f32_e32 v9, v128, v145
	ds_load_b128 v[160:163], v5 offset:640
	ds_load_b128 v[168:171], v5 offset:656
	;; [unrolled: 1-line block ×4, first 2 shown]
	v_dual_fmac_f32 v9, v129, v144 :: v_dual_mul_f32 v11, v130, v147
	ds_load_b128 v[192:195], v5 offset:704
	ds_load_b128 v[200:203], v5 offset:720
	;; [unrolled: 1-line block ×4, first 2 shown]
	v_dual_add_f32 v9, 0, v9 :: v_dual_fmac_f32 v11, v131, v146
	ds_load_b128 v[224:227], v5 offset:768
	ds_load_b128 v[232:235], v5 offset:784
	;; [unrolled: 1-line block ×4, first 2 shown]
	s_wait_loadcnt_dscnt 0x160e
	v_dual_add_f32 v9, v9, v11 :: v_dual_mul_f32 v11, v132, v149
	s_set_vgpr_msb 64                       ;  msbs: dst=1 src0=0 src1=0 src2=0
	ds_load_b128 v[0:3] /*v[256:259]*/, v5 offset:832
	ds_load_b128 v[8:11] /*v[264:267]*/, v5 offset:848
	;; [unrolled: 1-line block ×4, first 2 shown]
	s_set_vgpr_msb 0                        ;  msbs: dst=0 src0=0 src1=0 src2=0
	v_fmac_f32_e32 v11, v133, v148
	s_set_vgpr_msb 64                       ;  msbs: dst=1 src0=0 src1=0 src2=0
	ds_load_b128 v[16:19] /*v[272:275]*/, v5 offset:864
	ds_load_b128 v[24:27] /*v[280:283]*/, v5 offset:880
	ds_load_b128 v[32:35] /*v[288:291]*/, v5 offset:896
	ds_load_b128 v[40:43] /*v[296:299]*/, v5 offset:912
	s_set_vgpr_msb 0                        ;  msbs: dst=0 src0=0 src1=0 src2=0
	v_add_f32_e32 v9, v9, v11
	v_mul_f32_e32 v11, v134, v151
	s_set_vgpr_msb 64                       ;  msbs: dst=1 src0=0 src1=0 src2=0
	s_clause 0x3
	scratch_load_b128 v[64:67] /*v[320:323]*/, off, off offset:448
	scratch_load_b128 v[68:71] /*v[324:327]*/, off, off offset:464
	;; [unrolled: 1-line block ×3, first 2 shown]
	scratch_load_b64 v[82:83] /*v[338:339]*/, off, off offset:496
	s_set_vgpr_msb 0                        ;  msbs: dst=0 src0=0 src1=0 src2=0
	v_fmac_f32_e32 v11, v135, v150
	s_wait_loadcnt_dscnt 0x1915
	s_delay_alu instid0(VALU_DEP_1)
	v_dual_add_f32 v9, v9, v11 :: v_dual_mul_f32 v11, v136, v153
	s_wait_loadcnt_dscnt 0x404
	s_set_vgpr_msb 0x45                     ;  msbs: dst=1 src0=1 src1=1 src2=0
	v_dual_mul_f32 v79 /*v335*/, v50 /*v306*/, v55 /*v311*/ :: v_dual_mul_f32 v81 /*v337*/, v56 /*v312*/, v61 /*v317*/
	s_set_vgpr_msb 0                        ;  msbs: dst=0 src0=0 src1=0 src2=0
	v_fmac_f32_e32 v11, v137, v152
	s_set_vgpr_msb 0x45                     ;  msbs: dst=1 src0=1 src1=1 src2=0
	s_delay_alu instid0(VALU_DEP_2) | instskip(SKIP_1) | instid1(VALU_DEP_2)
	v_dual_fmac_f32 v79 /*v335*/, v51 /*v307*/, v54 /*v310*/ :: v_dual_fmac_f32 v81 /*v337*/, v57 /*v313*/, v60 /*v316*/
	s_set_vgpr_msb 0                        ;  msbs: dst=0 src0=0 src1=0 src2=0
	v_add_f32_e32 v9, v9, v11
	v_mul_f32_e32 v11, v138, v155
	s_delay_alu instid0(VALU_DEP_1) | instskip(NEXT) | instid1(VALU_DEP_1)
	v_fmac_f32_e32 v11, v139, v154
	v_dual_add_f32 v9, v9, v11 :: v_dual_mul_f32 v11, v140, v157
	s_delay_alu instid0(VALU_DEP_1) | instskip(NEXT) | instid1(VALU_DEP_1)
	v_fmac_f32_e32 v11, v141, v156
	v_add_f32_e32 v9, v9, v11
	v_mul_f32_e32 v11, v142, v159
	s_delay_alu instid0(VALU_DEP_1) | instskip(NEXT) | instid1(VALU_DEP_1)
	v_fmac_f32_e32 v11, v143, v158
	v_dual_add_f32 v9, v9, v11 :: v_dual_mul_f32 v11, v160, v165
	s_delay_alu instid0(VALU_DEP_1) | instskip(NEXT) | instid1(VALU_DEP_1)
	v_fmac_f32_e32 v11, v161, v164
	;; [unrolled: 7-line block ×13, first 2 shown]
	v_add_f32_e32 v9, v9, v11
	v_mul_f32_e32 v11, v250, v255
	s_delay_alu instid0(VALU_DEP_1) | instskip(NEXT) | instid1(VALU_DEP_1)
	v_fmac_f32_e32 v11, v251, v254
	v_add_f32_e32 v9, v9, v11
	s_set_vgpr_msb 5                        ;  msbs: dst=0 src0=1 src1=1 src2=0
	v_mul_f32_e32 v11, v0 /*v256*/, v5 /*v261*/
	s_delay_alu instid0(VALU_DEP_1) | instskip(SKIP_1) | instid1(VALU_DEP_1)
	v_fmac_f32_e32 v11, v1 /*v257*/, v4 /*v260*/
	s_set_vgpr_msb 0                        ;  msbs: dst=0 src0=0 src1=0 src2=0
	v_add_f32_e32 v9, v9, v11
	s_set_vgpr_msb 5                        ;  msbs: dst=0 src0=1 src1=1 src2=0
	v_mul_f32_e32 v11, v2 /*v258*/, v7 /*v263*/
	s_delay_alu instid0(VALU_DEP_1) | instskip(SKIP_1) | instid1(VALU_DEP_1)
	v_fmac_f32_e32 v11, v3 /*v259*/, v6 /*v262*/
	s_set_vgpr_msb 0                        ;  msbs: dst=0 src0=0 src1=0 src2=0
	;; [unrolled: 6-line block ×4, first 2 shown]
	v_add_f32_e32 v9, v9, v11
	s_wait_dscnt 0x3
	s_set_vgpr_msb 5                        ;  msbs: dst=0 src0=1 src1=1 src2=0
	v_mul_f32_e32 v11, v16 /*v272*/, v21 /*v277*/
	s_delay_alu instid0(VALU_DEP_1) | instskip(SKIP_1) | instid1(VALU_DEP_1)
	v_fmac_f32_e32 v11, v17 /*v273*/, v20 /*v276*/
	s_set_vgpr_msb 0                        ;  msbs: dst=0 src0=0 src1=0 src2=0
	v_add_f32_e32 v9, v9, v11
	s_set_vgpr_msb 5                        ;  msbs: dst=0 src0=1 src1=1 src2=0
	v_mul_f32_e32 v11, v18 /*v274*/, v23 /*v279*/
	s_delay_alu instid0(VALU_DEP_1) | instskip(SKIP_1) | instid1(VALU_DEP_1)
	v_fmac_f32_e32 v11, v19 /*v275*/, v22 /*v278*/
	s_set_vgpr_msb 0                        ;  msbs: dst=0 src0=0 src1=0 src2=0
	v_add_f32_e32 v9, v9, v11
	s_wait_dscnt 0x2
	s_set_vgpr_msb 5                        ;  msbs: dst=0 src0=1 src1=1 src2=0
	v_mul_f32_e32 v11, v24 /*v280*/, v29 /*v285*/
	s_delay_alu instid0(VALU_DEP_1) | instskip(SKIP_1) | instid1(VALU_DEP_1)
	v_fmac_f32_e32 v11, v25 /*v281*/, v28 /*v284*/
	s_set_vgpr_msb 0                        ;  msbs: dst=0 src0=0 src1=0 src2=0
	v_add_f32_e32 v9, v9, v11
	s_set_vgpr_msb 5                        ;  msbs: dst=0 src0=1 src1=1 src2=0
	v_mul_f32_e32 v11, v26 /*v282*/, v31 /*v287*/
	s_delay_alu instid0(VALU_DEP_1) | instskip(SKIP_1) | instid1(VALU_DEP_1)
	v_fmac_f32_e32 v11, v27 /*v283*/, v30 /*v286*/
	s_set_vgpr_msb 0                        ;  msbs: dst=0 src0=0 src1=0 src2=0
	;; [unrolled: 13-line block ×4, first 2 shown]
	v_add_f32_e32 v9, v9, v11
	s_set_vgpr_msb 5                        ;  msbs: dst=0 src0=1 src1=1 src2=0
	v_mul_f32_e32 v11, v48 /*v304*/, v53 /*v309*/
	s_delay_alu instid0(VALU_DEP_1) | instskip(SKIP_1) | instid1(VALU_DEP_1)
	v_fmac_f32_e32 v11, v49 /*v305*/, v52 /*v308*/
	s_set_vgpr_msb 64                       ;  msbs: dst=1 src0=0 src1=0 src2=0
	v_add_f32_e32 v77 /*v333*/, v9, v11
	s_set_vgpr_msb 0                        ;  msbs: dst=0 src0=0 src1=0 src2=0
	v_dual_mul_f32 v9, v129, v145 :: v_dual_mul_f32 v11, v131, v147
	s_set_vgpr_msb 1                        ;  msbs: dst=0 src0=1 src1=0 src2=0
	v_mov_b32_e32 v145, v58 /*v314*/
	s_set_vgpr_msb 0                        ;  msbs: dst=0 src0=0 src1=0 src2=0
	s_delay_alu instid0(VALU_DEP_2) | instskip(SKIP_2) | instid1(VALU_DEP_2)
	v_dual_fma_f32 v9, v128, v144, -v9 :: v_dual_fma_f32 v11, v130, v146, -v11
	s_set_vgpr_msb 1                        ;  msbs: dst=0 src0=1 src1=0 src2=0
	v_dual_mov_b32 v144, v59 /*v315*/ :: v_dual_mov_b32 v146, v63 /*v319*/
	v_add_f32_e32 v9, 0, v9
	s_set_vgpr_msb 0                        ;  msbs: dst=0 src0=0 src1=0 src2=0
	s_delay_alu instid0(VALU_DEP_2) | instskip(NEXT) | instid1(VALU_DEP_2)
	v_pk_mul_f32 v[144:145], v[144:145], v[146:147] op_sel_hi:[1,0]
	v_add_f32_e32 v9, v9, v11
	v_mul_f32_e32 v11, v133, v149
	s_set_vgpr_msb 5                        ;  msbs: dst=0 src0=1 src1=1 src2=0
	s_delay_alu instid0(VALU_DEP_3) | instskip(SKIP_2) | instid1(VALU_DEP_1)
	v_pk_fma_f32 v[146:147], v[58:59] /*v[314:315]*/, v[62:63] /*v[318:319]*/, v[144:145] neg_lo:[0,0,1] neg_hi:[0,0,1]
	v_pk_fma_f32 v[144:145], v[58:59] /*v[314:315]*/, v[62:63] /*v[318:319]*/, v[144:145] op_sel_hi:[1,0,1]
	s_set_vgpr_msb 0                        ;  msbs: dst=0 src0=0 src1=0 src2=0
	v_dual_fma_f32 v11, v132, v148, -v11 :: v_dual_mov_b32 v147, v145
	s_delay_alu instid0(VALU_DEP_1) | instskip(SKIP_1) | instid1(VALU_DEP_1)
	v_add_f32_e32 v9, v9, v11
	v_mul_f32_e32 v11, v135, v151
	v_fma_f32 v11, v134, v150, -v11
	s_delay_alu instid0(VALU_DEP_1) | instskip(SKIP_1) | instid1(VALU_DEP_1)
	v_add_f32_e32 v9, v9, v11
	v_mul_f32_e32 v11, v137, v153
	v_fma_f32 v11, v136, v152, -v11
	;; [unrolled: 4-line block ×4, first 2 shown]
	ds_load_b128 v[128:131], v5 offset:960
	ds_load_b128 v[132:135], v5 offset:976
	;; [unrolled: 1-line block ×3, first 2 shown]
	ds_load_b64 v[140:141], v5 offset:1008
	v_add_f32_e32 v9, v9, v11
	v_mul_f32_e32 v11, v143, v159
	s_delay_alu instid0(VALU_DEP_1) | instskip(NEXT) | instid1(VALU_DEP_1)
	v_fma_f32 v11, v142, v158, -v11
	v_add_f32_e32 v9, v9, v11
	v_mul_f32_e32 v11, v161, v165
	s_wait_loadcnt_dscnt 0x303
	s_set_vgpr_msb 4                        ;  msbs: dst=0 src0=0 src1=1 src2=0
	v_pk_mul_f32 v[144:145], v[128:129], v[64:65] /*v[320:321]*/ op_sel:[1,1] op_sel_hi:[0,1]
	s_set_vgpr_msb 0                        ;  msbs: dst=0 src0=0 src1=0 src2=0
	v_fma_f32 v11, v160, v164, -v11
	s_delay_alu instid0(VALU_DEP_1) | instskip(SKIP_1) | instid1(VALU_DEP_1)
	v_add_f32_e32 v9, v9, v11
	v_mul_f32_e32 v11, v163, v167
	v_fma_f32 v11, v162, v166, -v11
	s_delay_alu instid0(VALU_DEP_1) | instskip(SKIP_1) | instid1(VALU_DEP_1)
	v_add_f32_e32 v9, v9, v11
	v_mul_f32_e32 v11, v169, v173
	;; [unrolled: 4-line block ×23, first 2 shown]
	v_fma_f32 v11, v250, v254, -v11
	s_delay_alu instid0(VALU_DEP_1) | instskip(SKIP_2) | instid1(VALU_DEP_1)
	v_add_f32_e32 v9, v9, v11
	s_set_vgpr_msb 5                        ;  msbs: dst=0 src0=1 src1=1 src2=0
	v_mul_f32_e32 v11, v1 /*v257*/, v5 /*v261*/
	v_fma_f32 v11, v0 /*v256*/, v4 /*v260*/, -v11
	s_set_vgpr_msb 0                        ;  msbs: dst=0 src0=0 src1=0 src2=0
	s_delay_alu instid0(VALU_DEP_1) | instskip(SKIP_2) | instid1(VALU_DEP_1)
	v_add_f32_e32 v9, v9, v11
	s_set_vgpr_msb 5                        ;  msbs: dst=0 src0=1 src1=1 src2=0
	v_mul_f32_e32 v11, v3 /*v259*/, v7 /*v263*/
	v_fma_f32 v11, v2 /*v258*/, v6 /*v262*/, -v11
	s_set_vgpr_msb 0                        ;  msbs: dst=0 src0=0 src1=0 src2=0
	;; [unrolled: 6-line block ×12, first 2 shown]
	s_delay_alu instid0(VALU_DEP_1) | instskip(SKIP_2) | instid1(VALU_DEP_1)
	v_add_f32_e32 v9, v9, v11
	s_set_vgpr_msb 5                        ;  msbs: dst=0 src0=1 src1=1 src2=0
	v_mul_f32_e32 v11, v49 /*v305*/, v53 /*v309*/
	v_fma_f32 v11, v48 /*v304*/, v52 /*v308*/, -v11
	s_set_vgpr_msb 64                       ;  msbs: dst=1 src0=0 src1=0 src2=0
	s_delay_alu instid0(VALU_DEP_1) | instskip(SKIP_3) | instid1(VALU_DEP_1)
	v_add_f32_e32 v76 /*v332*/, v9, v11
	s_set_vgpr_msb 5                        ;  msbs: dst=0 src0=1 src1=1 src2=0
	v_mul_f32_e32 v9, v51 /*v307*/, v55 /*v311*/
	s_set_vgpr_msb 0x45                     ;  msbs: dst=1 src0=1 src1=1 src2=0
	v_fma_f32 v78 /*v334*/, v50 /*v306*/, v54 /*v310*/, -v9
	s_set_vgpr_msb 5                        ;  msbs: dst=0 src0=1 src1=1 src2=0
	v_mul_f32_e32 v9, v57 /*v313*/, v61 /*v317*/
	s_set_vgpr_msb 0x45                     ;  msbs: dst=1 src0=1 src1=1 src2=0
	s_delay_alu instid0(VALU_DEP_1) | instskip(SKIP_3) | instid1(VALU_DEP_1)
	v_fma_f32 v80 /*v336*/, v56 /*v312*/, v60 /*v316*/, -v9
	s_set_vgpr_msb 5                        ;  msbs: dst=0 src0=1 src1=1 src2=0
	v_pk_add_f32 v[142:143], v[76:77] /*v[332:333]*/, v[78:79] /*v[334:335]*/
	s_set_vgpr_msb 4                        ;  msbs: dst=0 src0=0 src1=1 src2=0
	v_pk_add_f32 v[142:143], v[142:143], v[80:81] /*v[336:337]*/
	s_set_vgpr_msb 0                        ;  msbs: dst=0 src0=0 src1=0 src2=0
	s_delay_alu instid0(VALU_DEP_1)
	v_pk_add_f32 v[142:143], v[142:143], v[146:147]
	s_set_vgpr_msb 4                        ;  msbs: dst=0 src0=0 src1=1 src2=0
	v_pk_fma_f32 v[146:147], v[128:129], v[64:65] /*v[320:321]*/, v[144:145] neg_lo:[0,0,1] neg_hi:[0,0,1]
	v_pk_fma_f32 v[128:129], v[128:129], v[64:65] /*v[320:321]*/, v[144:145] op_sel_hi:[1,0,1]
	s_set_vgpr_msb 1                        ;  msbs: dst=0 src0=1 src1=0 src2=0
	v_mov_b32_e32 v144, v67 /*v323*/
	s_set_vgpr_msb 0                        ;  msbs: dst=0 src0=0 src1=0 src2=0
	s_delay_alu instid0(VALU_DEP_2) | instskip(NEXT) | instid1(VALU_DEP_1)
	v_mov_b32_e32 v147, v129
	v_pk_add_f32 v[128:129], v[142:143], v[146:147]
	v_dual_mov_b32 v142, v131 :: v_dual_mov_b32 v143, v130
	s_delay_alu instid0(VALU_DEP_1) | instskip(SKIP_1) | instid1(VALU_DEP_1)
	v_pk_mul_f32 v[142:143], v[142:143], v[144:145] op_sel_hi:[1,0]
	s_set_vgpr_msb 4                        ;  msbs: dst=0 src0=0 src1=1 src2=0
	v_pk_fma_f32 v[144:145], v[130:131], v[66:67] /*v[322:323]*/, v[142:143] neg_lo:[0,0,1] neg_hi:[0,0,1]
	v_pk_fma_f32 v[130:131], v[130:131], v[66:67] /*v[322:323]*/, v[142:143] op_sel_hi:[1,0,1]
	s_delay_alu instid0(VALU_DEP_1) | instskip(SKIP_3) | instid1(VALU_DEP_2)
	v_mov_b32_e32 v145, v131
	s_wait_loadcnt_dscnt 0x202
	v_pk_mul_f32 v[130:131], v[132:133], v[68:69] /*v[324:325]*/ op_sel:[1,1] op_sel_hi:[0,1]
	s_set_vgpr_msb 0                        ;  msbs: dst=0 src0=0 src1=0 src2=0
	v_pk_add_f32 v[128:129], v[128:129], v[144:145]
	s_set_vgpr_msb 4                        ;  msbs: dst=0 src0=0 src1=1 src2=0
	s_delay_alu instid0(VALU_DEP_2)
	v_pk_fma_f32 v[142:143], v[132:133], v[68:69] /*v[324:325]*/, v[130:131] neg_lo:[0,0,1] neg_hi:[0,0,1]
	v_pk_fma_f32 v[130:131], v[132:133], v[68:69] /*v[324:325]*/, v[130:131] op_sel_hi:[1,0,1]
	v_mov_b32_e32 v130, v135
	s_set_vgpr_msb 1                        ;  msbs: dst=0 src0=1 src1=0 src2=0
	v_mov_b32_e32 v132, v71 /*v327*/
	s_set_vgpr_msb 0                        ;  msbs: dst=0 src0=0 src1=0 src2=0
	v_dual_mov_b32 v143, v131 :: v_dual_mov_b32 v131, v134
	s_delay_alu instid0(VALU_DEP_1) | instskip(NEXT) | instid1(VALU_DEP_2)
	v_pk_add_f32 v[128:129], v[128:129], v[142:143]
	v_pk_mul_f32 v[130:131], v[130:131], v[132:133] op_sel_hi:[1,0]
	s_set_vgpr_msb 4                        ;  msbs: dst=0 src0=0 src1=1 src2=0
	s_delay_alu instid0(VALU_DEP_1) | instskip(SKIP_1) | instid1(VALU_DEP_1)
	v_pk_fma_f32 v[132:133], v[134:135], v[70:71] /*v[326:327]*/, v[130:131] neg_lo:[0,0,1] neg_hi:[0,0,1]
	v_pk_fma_f32 v[130:131], v[134:135], v[70:71] /*v[326:327]*/, v[130:131] op_sel_hi:[1,0,1]
	v_mov_b32_e32 v133, v131
	s_wait_loadcnt_dscnt 0x101
	v_pk_mul_f32 v[130:131], v[136:137], v[72:73] /*v[328:329]*/ op_sel:[1,1] op_sel_hi:[0,1]
	s_set_vgpr_msb 0                        ;  msbs: dst=0 src0=0 src1=0 src2=0
	s_delay_alu instid0(VALU_DEP_2) | instskip(SKIP_1) | instid1(VALU_DEP_2)
	v_pk_add_f32 v[128:129], v[128:129], v[132:133]
	s_set_vgpr_msb 4                        ;  msbs: dst=0 src0=0 src1=1 src2=0
	v_pk_fma_f32 v[132:133], v[136:137], v[72:73] /*v[328:329]*/, v[130:131] neg_lo:[0,0,1] neg_hi:[0,0,1]
	v_pk_fma_f32 v[130:131], v[136:137], v[72:73] /*v[328:329]*/, v[130:131] op_sel_hi:[1,0,1]
	s_delay_alu instid0(VALU_DEP_1) | instskip(SKIP_2) | instid1(VALU_DEP_2)
	v_dual_mov_b32 v130, v139 :: v_dual_mov_b32 v133, v131
	v_mov_b32_e32 v131, v138
	s_set_vgpr_msb 0                        ;  msbs: dst=0 src0=0 src1=0 src2=0
	v_pk_add_f32 v[128:129], v[128:129], v[132:133]
	s_set_vgpr_msb 1                        ;  msbs: dst=0 src0=1 src1=0 src2=0
	v_mov_b32_e32 v132, v75 /*v331*/
	s_set_vgpr_msb 0                        ;  msbs: dst=0 src0=0 src1=0 src2=0
	s_delay_alu instid0(VALU_DEP_1) | instskip(SKIP_1) | instid1(VALU_DEP_1)
	v_pk_mul_f32 v[130:131], v[130:131], v[132:133] op_sel_hi:[1,0]
	s_set_vgpr_msb 4                        ;  msbs: dst=0 src0=0 src1=1 src2=0
	v_pk_fma_f32 v[132:133], v[138:139], v[74:75] /*v[330:331]*/, v[130:131] neg_lo:[0,0,1] neg_hi:[0,0,1]
	v_pk_fma_f32 v[130:131], v[138:139], v[74:75] /*v[330:331]*/, v[130:131] op_sel_hi:[1,0,1]
	s_delay_alu instid0(VALU_DEP_1) | instskip(SKIP_3) | instid1(VALU_DEP_2)
	v_mov_b32_e32 v133, v131
	s_wait_loadcnt_dscnt 0x0
	v_pk_mul_f32 v[130:131], v[140:141], v[82:83] /*v[338:339]*/ op_sel:[1,1] op_sel_hi:[0,1]
	s_set_vgpr_msb 0                        ;  msbs: dst=0 src0=0 src1=0 src2=0
	v_pk_add_f32 v[128:129], v[128:129], v[132:133]
	s_set_vgpr_msb 4                        ;  msbs: dst=0 src0=0 src1=1 src2=0
	s_delay_alu instid0(VALU_DEP_2) | instskip(SKIP_1) | instid1(VALU_DEP_1)
	v_pk_fma_f32 v[132:133], v[140:141], v[82:83] /*v[338:339]*/, v[130:131] neg_lo:[0,0,1] neg_hi:[0,0,1]
	v_pk_fma_f32 v[130:131], v[140:141], v[82:83] /*v[338:339]*/, v[130:131] op_sel_hi:[1,0,1]
	v_mov_b32_e32 v133, v131
	scratch_load_b64 v[130:131], off, off offset:56
	s_set_vgpr_msb 0                        ;  msbs: dst=0 src0=0 src1=0 src2=0
	v_pk_add_f32 v[128:129], v[128:129], v[132:133]
	s_wait_loadcnt 0x0
	s_delay_alu instid0(VALU_DEP_1)
	v_pk_add_f32 v[128:129], v[130:131], v[128:129] neg_lo:[0,1] neg_hi:[0,1]
	scratch_store_b64 off, v[128:129], off offset:56
	s_wait_xcnt 0x0
	v_cmpx_lt_u32_e32 6, v0
	s_cbranch_execz .LBB62_379
; %bb.378:
	scratch_load_b64 v[128:129], off, off offset:48
	v_mov_b64_e32 v[130:131], 0
	scratch_store_b64 off, v[130:131], off offset:48
	s_wait_loadcnt 0x0
	ds_store_b64 v1, v[128:129]
.LBB62_379:
	s_wait_xcnt 0x0
	s_or_b32 exec_lo, exec_lo, s0
	s_wait_storecnt_dscnt 0x0
	s_barrier_signal -1
	s_barrier_wait -1
	s_clause 0xf
	scratch_load_b128 v[132:135], off, off offset:56
	scratch_load_b128 v[140:143], off, off offset:72
	scratch_load_b128 v[148:151], off, off offset:88
	scratch_load_b128 v[156:159], off, off offset:104
	scratch_load_b128 v[164:167], off, off offset:120
	scratch_load_b128 v[172:175], off, off offset:136
	scratch_load_b128 v[180:183], off, off offset:152
	scratch_load_b128 v[188:191], off, off offset:168
	scratch_load_b128 v[196:199], off, off offset:184
	scratch_load_b128 v[204:207], off, off offset:200
	scratch_load_b128 v[212:215], off, off offset:216
	scratch_load_b128 v[220:223], off, off offset:232
	scratch_load_b128 v[228:231], off, off offset:248
	scratch_load_b128 v[236:239], off, off offset:264
	scratch_load_b128 v[244:247], off, off offset:280
	scratch_load_b128 v[252:255], off, off offset:296
	ds_load_2addr_b64 v[128:131], v5 offset0:71 offset1:72
	ds_load_2addr_b64 v[136:139], v5 offset0:73 offset1:74
	s_set_vgpr_msb 64                       ;  msbs: dst=1 src0=0 src1=0 src2=0
	s_clause 0x1
	scratch_load_b128 v[4:7] /*v[260:263]*/, off, off offset:312
	scratch_load_b128 v[12:15] /*v[268:271]*/, off, off offset:328
	s_set_vgpr_msb 0                        ;  msbs: dst=0 src0=0 src1=0 src2=0
	ds_load_2addr_b64 v[144:147], v5 offset0:75 offset1:76
	ds_load_2addr_b64 v[152:155], v5 offset0:77 offset1:78
	s_set_vgpr_msb 64                       ;  msbs: dst=1 src0=0 src1=0 src2=0
	s_clause 0x1
	scratch_load_b128 v[20:23] /*v[276:279]*/, off, off offset:344
	scratch_load_b128 v[28:31] /*v[284:287]*/, off, off offset:360
	s_set_vgpr_msb 0                        ;  msbs: dst=0 src0=0 src1=0 src2=0
	;; [unrolled: 7-line block ×4, first 2 shown]
	ds_load_2addr_b64 v[192:195], v5 offset0:87 offset1:88
	ds_load_2addr_b64 v[200:203], v5 offset0:89 offset1:90
	;; [unrolled: 1-line block ×8, first 2 shown]
	s_set_vgpr_msb 64                       ;  msbs: dst=1 src0=0 src1=0 src2=0
	ds_load_2addr_b64 v[0:3] /*v[256:259]*/, v5 offset0:103 offset1:104
	ds_load_2addr_b64 v[8:11] /*v[264:267]*/, v5 offset0:105 offset1:106
	ds_load_2addr_b64 v[48:51] /*v[304:307]*/, v5 offset0:115 offset1:116
	ds_load_2addr_b64 v[56:59] /*v[312:315]*/, v5 offset0:117 offset1:118
	ds_load_2addr_b64 v[16:19] /*v[272:275]*/, v5 offset0:107 offset1:108
	ds_load_2addr_b64 v[24:27] /*v[280:283]*/, v5 offset0:109 offset1:110
	ds_load_2addr_b64 v[32:35] /*v[288:291]*/, v5 offset0:111 offset1:112
	ds_load_2addr_b64 v[40:43] /*v[296:299]*/, v5 offset0:113 offset1:114
	s_clause 0x3
	scratch_load_b128 v[64:67] /*v[320:323]*/, off, off offset:440
	scratch_load_b128 v[68:71] /*v[324:327]*/, off, off offset:456
	;; [unrolled: 1-line block ×4, first 2 shown]
	s_mov_b32 s0, exec_lo
	s_wait_loadcnt_dscnt 0x1b17
	s_set_vgpr_msb 0                        ;  msbs: dst=0 src0=0 src1=0 src2=0
	v_dual_mul_f32 v9, v128, v133 :: v_dual_mul_f32 v11, v130, v135
	s_delay_alu instid0(VALU_DEP_1) | instskip(NEXT) | instid1(VALU_DEP_1)
	v_dual_fmac_f32 v9, v129, v132 :: v_dual_fmac_f32 v11, v131, v134
	v_add_f32_e32 v9, 0, v9
	s_wait_loadcnt_dscnt 0x1a16
	s_delay_alu instid0(VALU_DEP_1) | instskip(NEXT) | instid1(VALU_DEP_1)
	v_dual_add_f32 v9, v9, v11 :: v_dual_mul_f32 v11, v136, v141
	v_fmac_f32_e32 v11, v137, v140
	s_delay_alu instid0(VALU_DEP_1)
	v_add_f32_e32 v9, v9, v11
	v_mul_f32_e32 v11, v138, v143
	s_wait_loadcnt_dscnt 0x404
	s_set_vgpr_msb 0x45                     ;  msbs: dst=1 src0=1 src1=1 src2=0
	v_dual_mul_f32 v83 /*v339*/, v56 /*v312*/, v61 /*v317*/ :: v_dual_mul_f32 v85 /*v341*/, v58 /*v314*/, v63 /*v319*/
	s_set_vgpr_msb 0                        ;  msbs: dst=0 src0=0 src1=0 src2=0
	v_fmac_f32_e32 v11, v139, v142
	s_set_vgpr_msb 0x45                     ;  msbs: dst=1 src0=1 src1=1 src2=0
	s_delay_alu instid0(VALU_DEP_2) | instskip(SKIP_1) | instid1(VALU_DEP_2)
	v_dual_fmac_f32 v83 /*v339*/, v57 /*v313*/, v60 /*v316*/ :: v_dual_fmac_f32 v85 /*v341*/, v59 /*v315*/, v62 /*v318*/
	s_set_vgpr_msb 0                        ;  msbs: dst=0 src0=0 src1=0 src2=0
	v_dual_add_f32 v9, v9, v11 :: v_dual_mul_f32 v11, v144, v149
	s_delay_alu instid0(VALU_DEP_1) | instskip(NEXT) | instid1(VALU_DEP_1)
	v_fmac_f32_e32 v11, v145, v148
	v_add_f32_e32 v9, v9, v11
	v_mul_f32_e32 v11, v146, v151
	s_delay_alu instid0(VALU_DEP_1) | instskip(NEXT) | instid1(VALU_DEP_1)
	v_fmac_f32_e32 v11, v147, v150
	v_dual_add_f32 v9, v9, v11 :: v_dual_mul_f32 v11, v152, v157
	s_delay_alu instid0(VALU_DEP_1) | instskip(NEXT) | instid1(VALU_DEP_1)
	v_fmac_f32_e32 v11, v153, v156
	v_add_f32_e32 v9, v9, v11
	v_mul_f32_e32 v11, v154, v159
	s_delay_alu instid0(VALU_DEP_1) | instskip(NEXT) | instid1(VALU_DEP_1)
	v_fmac_f32_e32 v11, v155, v158
	;; [unrolled: 7-line block ×14, first 2 shown]
	v_add_f32_e32 v9, v9, v11
	s_set_vgpr_msb 5                        ;  msbs: dst=0 src0=1 src1=1 src2=0
	v_mul_f32_e32 v11, v0 /*v256*/, v5 /*v261*/
	s_delay_alu instid0(VALU_DEP_1) | instskip(SKIP_1) | instid1(VALU_DEP_1)
	v_fmac_f32_e32 v11, v1 /*v257*/, v4 /*v260*/
	s_set_vgpr_msb 0                        ;  msbs: dst=0 src0=0 src1=0 src2=0
	v_add_f32_e32 v9, v9, v11
	s_set_vgpr_msb 5                        ;  msbs: dst=0 src0=1 src1=1 src2=0
	v_mul_f32_e32 v11, v2 /*v258*/, v7 /*v263*/
	s_delay_alu instid0(VALU_DEP_1) | instskip(SKIP_1) | instid1(VALU_DEP_1)
	v_fmac_f32_e32 v11, v3 /*v259*/, v6 /*v262*/
	s_set_vgpr_msb 0                        ;  msbs: dst=0 src0=0 src1=0 src2=0
	v_add_f32_e32 v9, v9, v11
	s_set_vgpr_msb 5                        ;  msbs: dst=0 src0=1 src1=1 src2=0
	v_mul_f32_e32 v11, v8 /*v264*/, v13 /*v269*/
	s_delay_alu instid0(VALU_DEP_1) | instskip(SKIP_1) | instid1(VALU_DEP_1)
	v_fmac_f32_e32 v11, v9 /*v265*/, v12 /*v268*/
	s_set_vgpr_msb 0                        ;  msbs: dst=0 src0=0 src1=0 src2=0
	v_add_f32_e32 v9, v9, v11
	s_set_vgpr_msb 5                        ;  msbs: dst=0 src0=1 src1=1 src2=0
	v_mul_f32_e32 v11, v10 /*v266*/, v15 /*v271*/
	s_delay_alu instid0(VALU_DEP_1) | instskip(SKIP_1) | instid1(VALU_DEP_1)
	v_fmac_f32_e32 v11, v11 /*v267*/, v14 /*v270*/
	s_set_vgpr_msb 0                        ;  msbs: dst=0 src0=0 src1=0 src2=0
	v_add_f32_e32 v9, v9, v11
	s_wait_dscnt 0x3
	s_set_vgpr_msb 5                        ;  msbs: dst=0 src0=1 src1=1 src2=0
	v_mul_f32_e32 v11, v16 /*v272*/, v21 /*v277*/
	s_delay_alu instid0(VALU_DEP_1) | instskip(SKIP_1) | instid1(VALU_DEP_1)
	v_fmac_f32_e32 v11, v17 /*v273*/, v20 /*v276*/
	s_set_vgpr_msb 0                        ;  msbs: dst=0 src0=0 src1=0 src2=0
	v_add_f32_e32 v9, v9, v11
	s_set_vgpr_msb 5                        ;  msbs: dst=0 src0=1 src1=1 src2=0
	v_mul_f32_e32 v11, v18 /*v274*/, v23 /*v279*/
	s_delay_alu instid0(VALU_DEP_1) | instskip(SKIP_1) | instid1(VALU_DEP_1)
	v_fmac_f32_e32 v11, v19 /*v275*/, v22 /*v278*/
	s_set_vgpr_msb 0                        ;  msbs: dst=0 src0=0 src1=0 src2=0
	v_add_f32_e32 v9, v9, v11
	s_wait_dscnt 0x2
	s_set_vgpr_msb 5                        ;  msbs: dst=0 src0=1 src1=1 src2=0
	v_mul_f32_e32 v11, v24 /*v280*/, v29 /*v285*/
	s_delay_alu instid0(VALU_DEP_1) | instskip(SKIP_1) | instid1(VALU_DEP_1)
	v_fmac_f32_e32 v11, v25 /*v281*/, v28 /*v284*/
	s_set_vgpr_msb 0                        ;  msbs: dst=0 src0=0 src1=0 src2=0
	v_add_f32_e32 v9, v9, v11
	s_set_vgpr_msb 5                        ;  msbs: dst=0 src0=1 src1=1 src2=0
	v_mul_f32_e32 v11, v26 /*v282*/, v31 /*v287*/
	s_delay_alu instid0(VALU_DEP_1) | instskip(SKIP_1) | instid1(VALU_DEP_1)
	v_fmac_f32_e32 v11, v27 /*v283*/, v30 /*v286*/
	s_set_vgpr_msb 0                        ;  msbs: dst=0 src0=0 src1=0 src2=0
	;; [unrolled: 13-line block ×4, first 2 shown]
	v_add_f32_e32 v9, v9, v11
	s_set_vgpr_msb 5                        ;  msbs: dst=0 src0=1 src1=1 src2=0
	v_mul_f32_e32 v11, v48 /*v304*/, v53 /*v309*/
	s_delay_alu instid0(VALU_DEP_1) | instskip(SKIP_1) | instid1(VALU_DEP_1)
	v_fmac_f32_e32 v11, v49 /*v305*/, v52 /*v308*/
	s_set_vgpr_msb 0                        ;  msbs: dst=0 src0=0 src1=0 src2=0
	v_add_f32_e32 v9, v9, v11
	s_set_vgpr_msb 5                        ;  msbs: dst=0 src0=1 src1=1 src2=0
	v_mul_f32_e32 v11, v50 /*v306*/, v55 /*v311*/
	s_delay_alu instid0(VALU_DEP_1) | instskip(SKIP_1) | instid1(VALU_DEP_1)
	v_fmac_f32_e32 v11, v51 /*v307*/, v54 /*v310*/
	s_set_vgpr_msb 64                       ;  msbs: dst=1 src0=0 src1=0 src2=0
	v_add_f32_e32 v81 /*v337*/, v9, v11
	s_set_vgpr_msb 0                        ;  msbs: dst=0 src0=0 src1=0 src2=0
	v_dual_mul_f32 v9, v129, v133 :: v_dual_mul_f32 v11, v131, v135
	s_delay_alu instid0(VALU_DEP_1) | instskip(NEXT) | instid1(VALU_DEP_1)
	v_dual_fma_f32 v9, v128, v132, -v9 :: v_dual_fma_f32 v11, v130, v134, -v11
	v_add_f32_e32 v9, 0, v9
	s_delay_alu instid0(VALU_DEP_1) | instskip(SKIP_1) | instid1(VALU_DEP_1)
	v_add_f32_e32 v9, v9, v11
	v_mul_f32_e32 v11, v137, v141
	v_fma_f32 v11, v136, v140, -v11
	s_delay_alu instid0(VALU_DEP_1) | instskip(SKIP_1) | instid1(VALU_DEP_1)
	v_add_f32_e32 v9, v9, v11
	v_mul_f32_e32 v11, v139, v143
	v_fma_f32 v11, v138, v142, -v11
	ds_load_2addr_b64 v[128:131], v5 offset0:119 offset1:120
	ds_load_2addr_b64 v[132:135], v5 offset0:121 offset1:122
	;; [unrolled: 1-line block ×4, first 2 shown]
	v_add_f32_e32 v9, v9, v11
	v_mul_f32_e32 v11, v145, v149
	s_delay_alu instid0(VALU_DEP_1) | instskip(NEXT) | instid1(VALU_DEP_1)
	v_fma_f32 v11, v144, v148, -v11
	v_add_f32_e32 v9, v9, v11
	v_mul_f32_e32 v11, v147, v151
	s_delay_alu instid0(VALU_DEP_1)
	v_fma_f32 v11, v146, v150, -v11
	s_wait_loadcnt_dscnt 0x303
	s_set_vgpr_msb 4                        ;  msbs: dst=0 src0=0 src1=1 src2=0
	v_pk_mul_f32 v[146:147], v[128:129], v[64:65] /*v[320:321]*/ op_sel:[1,1] op_sel_hi:[0,1]
	s_set_vgpr_msb 0                        ;  msbs: dst=0 src0=0 src1=0 src2=0
	v_add_f32_e32 v9, v9, v11
	v_mul_f32_e32 v11, v153, v157
	s_set_vgpr_msb 4                        ;  msbs: dst=0 src0=0 src1=1 src2=0
	v_pk_fma_f32 v[148:149], v[128:129], v[64:65] /*v[320:321]*/, v[146:147] neg_lo:[0,0,1] neg_hi:[0,0,1]
	v_pk_fma_f32 v[128:129], v[128:129], v[64:65] /*v[320:321]*/, v[146:147] op_sel_hi:[1,0,1]
	s_set_vgpr_msb 1                        ;  msbs: dst=0 src0=1 src1=0 src2=0
	v_mov_b32_e32 v146, v67 /*v323*/
	s_set_vgpr_msb 0                        ;  msbs: dst=0 src0=0 src1=0 src2=0
	s_delay_alu instid0(VALU_DEP_2) | instskip(NEXT) | instid1(VALU_DEP_1)
	v_dual_fma_f32 v11, v152, v156, -v11 :: v_dual_mov_b32 v149, v129
	v_add_f32_e32 v9, v9, v11
	v_mul_f32_e32 v11, v155, v159
	s_delay_alu instid0(VALU_DEP_1) | instskip(NEXT) | instid1(VALU_DEP_1)
	v_fma_f32 v11, v154, v158, -v11
	v_add_f32_e32 v9, v9, v11
	v_mul_f32_e32 v11, v161, v165
	s_delay_alu instid0(VALU_DEP_1) | instskip(NEXT) | instid1(VALU_DEP_1)
	v_fma_f32 v11, v160, v164, -v11
	;; [unrolled: 4-line block ×25, first 2 shown]
	v_add_f32_e32 v9, v9, v11
	s_set_vgpr_msb 5                        ;  msbs: dst=0 src0=1 src1=1 src2=0
	v_mul_f32_e32 v11, v1 /*v257*/, v5 /*v261*/
	s_delay_alu instid0(VALU_DEP_1) | instskip(SKIP_1) | instid1(VALU_DEP_1)
	v_fma_f32 v11, v0 /*v256*/, v4 /*v260*/, -v11
	s_set_vgpr_msb 0                        ;  msbs: dst=0 src0=0 src1=0 src2=0
	v_add_f32_e32 v9, v9, v11
	s_set_vgpr_msb 5                        ;  msbs: dst=0 src0=1 src1=1 src2=0
	v_mul_f32_e32 v11, v3 /*v259*/, v7 /*v263*/
	s_delay_alu instid0(VALU_DEP_1) | instskip(SKIP_1) | instid1(VALU_DEP_1)
	v_fma_f32 v11, v2 /*v258*/, v6 /*v262*/, -v11
	s_set_vgpr_msb 0                        ;  msbs: dst=0 src0=0 src1=0 src2=0
	;; [unrolled: 6-line block ×13, first 2 shown]
	v_add_f32_e32 v9, v9, v11
	s_set_vgpr_msb 5                        ;  msbs: dst=0 src0=1 src1=1 src2=0
	v_mul_f32_e32 v11, v51 /*v307*/, v55 /*v311*/
	s_delay_alu instid0(VALU_DEP_1) | instskip(SKIP_1) | instid1(VALU_DEP_1)
	v_fma_f32 v11, v50 /*v306*/, v54 /*v310*/, -v11
	s_set_vgpr_msb 64                       ;  msbs: dst=1 src0=0 src1=0 src2=0
	v_add_f32_e32 v80 /*v336*/, v9, v11
	s_set_vgpr_msb 5                        ;  msbs: dst=0 src0=1 src1=1 src2=0
	v_mul_f32_e32 v9, v57 /*v313*/, v61 /*v317*/
	s_set_vgpr_msb 0x45                     ;  msbs: dst=1 src0=1 src1=1 src2=0
	s_delay_alu instid0(VALU_DEP_1) | instskip(SKIP_3) | instid1(VALU_DEP_1)
	v_fma_f32 v82 /*v338*/, v56 /*v312*/, v60 /*v316*/, -v9
	s_set_vgpr_msb 5                        ;  msbs: dst=0 src0=1 src1=1 src2=0
	v_mul_f32_e32 v9, v59 /*v315*/, v63 /*v319*/
	s_set_vgpr_msb 0x45                     ;  msbs: dst=1 src0=1 src1=1 src2=0
	v_fma_f32 v84 /*v340*/, v58 /*v314*/, v62 /*v318*/, -v9
	s_set_vgpr_msb 5                        ;  msbs: dst=0 src0=1 src1=1 src2=0
	v_pk_add_f32 v[144:145], v[80:81] /*v[336:337]*/, v[82:83] /*v[338:339]*/
	s_set_vgpr_msb 4                        ;  msbs: dst=0 src0=0 src1=1 src2=0
	s_delay_alu instid0(VALU_DEP_1) | instskip(SKIP_1) | instid1(VALU_DEP_1)
	v_pk_add_f32 v[144:145], v[144:145], v[84:85] /*v[340:341]*/
	s_set_vgpr_msb 0                        ;  msbs: dst=0 src0=0 src1=0 src2=0
	v_pk_add_f32 v[128:129], v[144:145], v[148:149]
	v_dual_mov_b32 v144, v131 :: v_dual_mov_b32 v145, v130
	s_delay_alu instid0(VALU_DEP_1) | instskip(SKIP_1) | instid1(VALU_DEP_1)
	v_pk_mul_f32 v[144:145], v[144:145], v[146:147] op_sel_hi:[1,0]
	s_set_vgpr_msb 4                        ;  msbs: dst=0 src0=0 src1=1 src2=0
	v_pk_fma_f32 v[146:147], v[130:131], v[66:67] /*v[322:323]*/, v[144:145] neg_lo:[0,0,1] neg_hi:[0,0,1]
	v_pk_fma_f32 v[130:131], v[130:131], v[66:67] /*v[322:323]*/, v[144:145] op_sel_hi:[1,0,1]
	s_delay_alu instid0(VALU_DEP_1) | instskip(SKIP_3) | instid1(VALU_DEP_2)
	v_mov_b32_e32 v147, v131
	s_wait_loadcnt_dscnt 0x202
	v_pk_mul_f32 v[130:131], v[132:133], v[68:69] /*v[324:325]*/ op_sel:[1,1] op_sel_hi:[0,1]
	s_set_vgpr_msb 0                        ;  msbs: dst=0 src0=0 src1=0 src2=0
	v_pk_add_f32 v[128:129], v[128:129], v[146:147]
	s_set_vgpr_msb 4                        ;  msbs: dst=0 src0=0 src1=1 src2=0
	s_delay_alu instid0(VALU_DEP_2)
	v_pk_fma_f32 v[144:145], v[132:133], v[68:69] /*v[324:325]*/, v[130:131] neg_lo:[0,0,1] neg_hi:[0,0,1]
	v_pk_fma_f32 v[130:131], v[132:133], v[68:69] /*v[324:325]*/, v[130:131] op_sel_hi:[1,0,1]
	v_mov_b32_e32 v130, v135
	s_set_vgpr_msb 1                        ;  msbs: dst=0 src0=1 src1=0 src2=0
	v_mov_b32_e32 v132, v71 /*v327*/
	s_set_vgpr_msb 0                        ;  msbs: dst=0 src0=0 src1=0 src2=0
	v_dual_mov_b32 v145, v131 :: v_dual_mov_b32 v131, v134
	s_delay_alu instid0(VALU_DEP_1) | instskip(NEXT) | instid1(VALU_DEP_2)
	v_pk_add_f32 v[128:129], v[128:129], v[144:145]
	v_pk_mul_f32 v[130:131], v[130:131], v[132:133] op_sel_hi:[1,0]
	s_set_vgpr_msb 4                        ;  msbs: dst=0 src0=0 src1=1 src2=0
	s_delay_alu instid0(VALU_DEP_1) | instskip(SKIP_1) | instid1(VALU_DEP_1)
	v_pk_fma_f32 v[132:133], v[134:135], v[70:71] /*v[326:327]*/, v[130:131] neg_lo:[0,0,1] neg_hi:[0,0,1]
	v_pk_fma_f32 v[130:131], v[134:135], v[70:71] /*v[326:327]*/, v[130:131] op_sel_hi:[1,0,1]
	v_mov_b32_e32 v133, v131
	s_wait_loadcnt_dscnt 0x101
	v_pk_mul_f32 v[130:131], v[136:137], v[72:73] /*v[328:329]*/ op_sel:[1,1] op_sel_hi:[0,1]
	s_set_vgpr_msb 0                        ;  msbs: dst=0 src0=0 src1=0 src2=0
	s_delay_alu instid0(VALU_DEP_2) | instskip(SKIP_1) | instid1(VALU_DEP_2)
	v_pk_add_f32 v[128:129], v[128:129], v[132:133]
	s_set_vgpr_msb 4                        ;  msbs: dst=0 src0=0 src1=1 src2=0
	v_pk_fma_f32 v[132:133], v[136:137], v[72:73] /*v[328:329]*/, v[130:131] neg_lo:[0,0,1] neg_hi:[0,0,1]
	v_pk_fma_f32 v[130:131], v[136:137], v[72:73] /*v[328:329]*/, v[130:131] op_sel_hi:[1,0,1]
	s_delay_alu instid0(VALU_DEP_1) | instskip(SKIP_2) | instid1(VALU_DEP_2)
	v_dual_mov_b32 v130, v139 :: v_dual_mov_b32 v133, v131
	v_mov_b32_e32 v131, v138
	s_set_vgpr_msb 0                        ;  msbs: dst=0 src0=0 src1=0 src2=0
	v_pk_add_f32 v[128:129], v[128:129], v[132:133]
	s_set_vgpr_msb 1                        ;  msbs: dst=0 src0=1 src1=0 src2=0
	v_mov_b32_e32 v132, v75 /*v331*/
	s_set_vgpr_msb 0                        ;  msbs: dst=0 src0=0 src1=0 src2=0
	s_delay_alu instid0(VALU_DEP_1) | instskip(SKIP_1) | instid1(VALU_DEP_1)
	v_pk_mul_f32 v[130:131], v[130:131], v[132:133] op_sel_hi:[1,0]
	s_set_vgpr_msb 4                        ;  msbs: dst=0 src0=0 src1=1 src2=0
	v_pk_fma_f32 v[132:133], v[138:139], v[74:75] /*v[330:331]*/, v[130:131] neg_lo:[0,0,1] neg_hi:[0,0,1]
	v_pk_fma_f32 v[130:131], v[138:139], v[74:75] /*v[330:331]*/, v[130:131] op_sel_hi:[1,0,1]
	s_delay_alu instid0(VALU_DEP_1) | instskip(SKIP_3) | instid1(VALU_DEP_2)
	v_mov_b32_e32 v133, v131
	s_wait_loadcnt_dscnt 0x0
	v_pk_mul_f32 v[130:131], v[140:141], v[76:77] /*v[332:333]*/ op_sel:[1,1] op_sel_hi:[0,1]
	s_set_vgpr_msb 0                        ;  msbs: dst=0 src0=0 src1=0 src2=0
	v_pk_add_f32 v[128:129], v[128:129], v[132:133]
	s_set_vgpr_msb 4                        ;  msbs: dst=0 src0=0 src1=1 src2=0
	s_delay_alu instid0(VALU_DEP_2) | instskip(SKIP_1) | instid1(VALU_DEP_1)
	v_pk_fma_f32 v[132:133], v[140:141], v[76:77] /*v[332:333]*/, v[130:131] neg_lo:[0,0,1] neg_hi:[0,0,1]
	v_pk_fma_f32 v[130:131], v[140:141], v[76:77] /*v[332:333]*/, v[130:131] op_sel_hi:[1,0,1]
	v_dual_mov_b32 v130, v143 :: v_dual_mov_b32 v133, v131
	v_mov_b32_e32 v131, v142
	s_set_vgpr_msb 0                        ;  msbs: dst=0 src0=0 src1=0 src2=0
	s_delay_alu instid0(VALU_DEP_2) | instskip(SKIP_3) | instid1(VALU_DEP_1)
	v_pk_add_f32 v[128:129], v[128:129], v[132:133]
	s_set_vgpr_msb 1                        ;  msbs: dst=0 src0=1 src1=0 src2=0
	v_mov_b32_e32 v132, v79 /*v335*/
	s_set_vgpr_msb 0                        ;  msbs: dst=0 src0=0 src1=0 src2=0
	v_pk_mul_f32 v[130:131], v[130:131], v[132:133] op_sel_hi:[1,0]
	s_set_vgpr_msb 4                        ;  msbs: dst=0 src0=0 src1=1 src2=0
	s_delay_alu instid0(VALU_DEP_1) | instskip(SKIP_1) | instid1(VALU_DEP_1)
	v_pk_fma_f32 v[132:133], v[142:143], v[78:79] /*v[334:335]*/, v[130:131] neg_lo:[0,0,1] neg_hi:[0,0,1]
	v_pk_fma_f32 v[130:131], v[142:143], v[78:79] /*v[334:335]*/, v[130:131] op_sel_hi:[1,0,1]
	v_mov_b32_e32 v133, v131
	scratch_load_b64 v[130:131], off, off offset:48
	s_set_vgpr_msb 0                        ;  msbs: dst=0 src0=0 src1=0 src2=0
	v_pk_add_f32 v[128:129], v[128:129], v[132:133]
	s_wait_loadcnt 0x0
	s_delay_alu instid0(VALU_DEP_1)
	v_pk_add_f32 v[128:129], v[130:131], v[128:129] neg_lo:[0,1] neg_hi:[0,1]
	scratch_store_b64 off, v[128:129], off offset:48
	s_wait_xcnt 0x0
	v_cmpx_lt_u32_e32 5, v0
	s_cbranch_execz .LBB62_381
; %bb.380:
	scratch_load_b64 v[128:129], off, off offset:40
	v_mov_b64_e32 v[130:131], 0
	scratch_store_b64 off, v[130:131], off offset:40
	s_wait_loadcnt 0x0
	ds_store_b64 v1, v[128:129]
.LBB62_381:
	s_wait_xcnt 0x0
	s_or_b32 exec_lo, exec_lo, s0
	v_mov_b32_e32 v5, 0
	s_wait_storecnt_dscnt 0x0
	s_barrier_signal -1
	s_barrier_wait -1
	ds_load_b128 v[128:131], v5 offset:560
	ds_load_b128 v[132:135], v5 offset:576
	ds_load_b128 v[136:139], v5 offset:592
	ds_load_b128 v[140:143], v5 offset:608
	s_clause 0x19
	scratch_load_b128 v[144:147], off, off offset:48
	scratch_load_b128 v[148:151], off, off offset:64
	;; [unrolled: 1-line block ×16, first 2 shown]
	s_set_vgpr_msb 64                       ;  msbs: dst=1 src0=0 src1=0 src2=0
	scratch_load_b128 v[4:7] /*v[260:263]*/, off, off offset:304
	scratch_load_b128 v[12:15] /*v[268:271]*/, off, off offset:320
	scratch_load_b128 v[20:23] /*v[276:279]*/, off, off offset:336
	scratch_load_b128 v[28:31] /*v[284:287]*/, off, off offset:352
	scratch_load_b128 v[36:39] /*v[292:295]*/, off, off offset:368
	scratch_load_b128 v[44:47] /*v[300:303]*/, off, off offset:384
	scratch_load_b128 v[52:55] /*v[308:311]*/, off, off offset:400
	scratch_load_b128 v[60:63] /*v[316:319]*/, off, off offset:416
	scratch_load_b128 v[68:71] /*v[324:327]*/, off, off offset:432
	s_mov_b32 s0, exec_lo
	s_wait_loadcnt_dscnt 0x1803
	s_set_vgpr_msb 0                        ;  msbs: dst=0 src0=0 src1=0 src2=0
	v_mul_f32_e32 v9, v128, v145
	ds_load_b128 v[160:163], v5 offset:624
	ds_load_b128 v[168:171], v5 offset:640
	;; [unrolled: 1-line block ×4, first 2 shown]
	v_dual_fmac_f32 v9, v129, v144 :: v_dual_mul_f32 v11, v130, v147
	ds_load_b128 v[192:195], v5 offset:688
	ds_load_b128 v[200:203], v5 offset:704
	;; [unrolled: 1-line block ×4, first 2 shown]
	v_dual_add_f32 v9, 0, v9 :: v_dual_fmac_f32 v11, v131, v146
	ds_load_b128 v[224:227], v5 offset:752
	ds_load_b128 v[232:235], v5 offset:768
	;; [unrolled: 1-line block ×4, first 2 shown]
	s_wait_loadcnt_dscnt 0x170e
	v_dual_add_f32 v9, v9, v11 :: v_dual_mul_f32 v11, v132, v149
	s_set_vgpr_msb 64                       ;  msbs: dst=1 src0=0 src1=0 src2=0
	ds_load_b128 v[0:3] /*v[256:259]*/, v5 offset:816
	ds_load_b128 v[8:11] /*v[264:267]*/, v5 offset:832
	;; [unrolled: 1-line block ×4, first 2 shown]
	s_set_vgpr_msb 0                        ;  msbs: dst=0 src0=0 src1=0 src2=0
	v_fmac_f32_e32 v11, v133, v148
	s_set_vgpr_msb 64                       ;  msbs: dst=1 src0=0 src1=0 src2=0
	ds_load_b128 v[64:67] /*v[320:323]*/, v5 offset:944
	ds_load_b128 v[16:19] /*v[272:275]*/, v5 offset:848
	;; [unrolled: 1-line block ×5, first 2 shown]
	s_set_vgpr_msb 0                        ;  msbs: dst=0 src0=0 src1=0 src2=0
	v_add_f32_e32 v9, v9, v11
	v_mul_f32_e32 v11, v134, v151
	s_set_vgpr_msb 64                       ;  msbs: dst=1 src0=0 src1=0 src2=0
	s_clause 0x3
	scratch_load_b128 v[72:75] /*v[328:331]*/, off, off offset:448
	scratch_load_b128 v[76:79] /*v[332:335]*/, off, off offset:464
	;; [unrolled: 1-line block ×3, first 2 shown]
	scratch_load_b64 v[90:91] /*v[346:347]*/, off, off offset:496
	s_set_vgpr_msb 0                        ;  msbs: dst=0 src0=0 src1=0 src2=0
	v_fmac_f32_e32 v11, v135, v150
	s_wait_loadcnt_dscnt 0x1a16
	s_delay_alu instid0(VALU_DEP_1)
	v_dual_add_f32 v9, v9, v11 :: v_dual_mul_f32 v11, v136, v153
	s_wait_loadcnt_dscnt 0x404
	s_set_vgpr_msb 0x45                     ;  msbs: dst=1 src0=1 src1=1 src2=0
	v_dual_mul_f32 v87 /*v343*/, v58 /*v314*/, v63 /*v319*/ :: v_dual_mul_f32 v89 /*v345*/, v64 /*v320*/, v69 /*v325*/
	s_set_vgpr_msb 0                        ;  msbs: dst=0 src0=0 src1=0 src2=0
	v_fmac_f32_e32 v11, v137, v152
	s_set_vgpr_msb 0x45                     ;  msbs: dst=1 src0=1 src1=1 src2=0
	s_delay_alu instid0(VALU_DEP_2) | instskip(SKIP_1) | instid1(VALU_DEP_2)
	v_dual_fmac_f32 v87 /*v343*/, v59 /*v315*/, v62 /*v318*/ :: v_dual_fmac_f32 v89 /*v345*/, v65 /*v321*/, v68 /*v324*/
	s_set_vgpr_msb 0                        ;  msbs: dst=0 src0=0 src1=0 src2=0
	v_add_f32_e32 v9, v9, v11
	v_mul_f32_e32 v11, v138, v155
	s_delay_alu instid0(VALU_DEP_1) | instskip(NEXT) | instid1(VALU_DEP_1)
	v_fmac_f32_e32 v11, v139, v154
	v_dual_add_f32 v9, v9, v11 :: v_dual_mul_f32 v11, v140, v157
	s_delay_alu instid0(VALU_DEP_1) | instskip(NEXT) | instid1(VALU_DEP_1)
	v_fmac_f32_e32 v11, v141, v156
	v_add_f32_e32 v9, v9, v11
	v_mul_f32_e32 v11, v142, v159
	s_delay_alu instid0(VALU_DEP_1) | instskip(NEXT) | instid1(VALU_DEP_1)
	v_fmac_f32_e32 v11, v143, v158
	v_dual_add_f32 v9, v9, v11 :: v_dual_mul_f32 v11, v160, v165
	s_delay_alu instid0(VALU_DEP_1) | instskip(NEXT) | instid1(VALU_DEP_1)
	v_fmac_f32_e32 v11, v161, v164
	;; [unrolled: 7-line block ×13, first 2 shown]
	v_add_f32_e32 v9, v9, v11
	v_mul_f32_e32 v11, v250, v255
	s_delay_alu instid0(VALU_DEP_1) | instskip(NEXT) | instid1(VALU_DEP_1)
	v_fmac_f32_e32 v11, v251, v254
	v_add_f32_e32 v9, v9, v11
	s_set_vgpr_msb 5                        ;  msbs: dst=0 src0=1 src1=1 src2=0
	v_mul_f32_e32 v11, v0 /*v256*/, v5 /*v261*/
	s_delay_alu instid0(VALU_DEP_1) | instskip(SKIP_1) | instid1(VALU_DEP_1)
	v_fmac_f32_e32 v11, v1 /*v257*/, v4 /*v260*/
	s_set_vgpr_msb 0                        ;  msbs: dst=0 src0=0 src1=0 src2=0
	v_add_f32_e32 v9, v9, v11
	s_set_vgpr_msb 5                        ;  msbs: dst=0 src0=1 src1=1 src2=0
	v_mul_f32_e32 v11, v2 /*v258*/, v7 /*v263*/
	s_delay_alu instid0(VALU_DEP_1) | instskip(SKIP_1) | instid1(VALU_DEP_1)
	v_fmac_f32_e32 v11, v3 /*v259*/, v6 /*v262*/
	s_set_vgpr_msb 0                        ;  msbs: dst=0 src0=0 src1=0 src2=0
	;; [unrolled: 6-line block ×4, first 2 shown]
	v_add_f32_e32 v9, v9, v11
	s_wait_dscnt 0x3
	s_set_vgpr_msb 5                        ;  msbs: dst=0 src0=1 src1=1 src2=0
	v_mul_f32_e32 v11, v16 /*v272*/, v21 /*v277*/
	s_delay_alu instid0(VALU_DEP_1) | instskip(SKIP_1) | instid1(VALU_DEP_1)
	v_fmac_f32_e32 v11, v17 /*v273*/, v20 /*v276*/
	s_set_vgpr_msb 0                        ;  msbs: dst=0 src0=0 src1=0 src2=0
	v_add_f32_e32 v9, v9, v11
	s_set_vgpr_msb 5                        ;  msbs: dst=0 src0=1 src1=1 src2=0
	v_mul_f32_e32 v11, v18 /*v274*/, v23 /*v279*/
	s_delay_alu instid0(VALU_DEP_1) | instskip(SKIP_1) | instid1(VALU_DEP_1)
	v_fmac_f32_e32 v11, v19 /*v275*/, v22 /*v278*/
	s_set_vgpr_msb 0                        ;  msbs: dst=0 src0=0 src1=0 src2=0
	v_add_f32_e32 v9, v9, v11
	s_wait_dscnt 0x2
	s_set_vgpr_msb 5                        ;  msbs: dst=0 src0=1 src1=1 src2=0
	v_mul_f32_e32 v11, v24 /*v280*/, v29 /*v285*/
	s_delay_alu instid0(VALU_DEP_1) | instskip(SKIP_1) | instid1(VALU_DEP_1)
	v_fmac_f32_e32 v11, v25 /*v281*/, v28 /*v284*/
	s_set_vgpr_msb 0                        ;  msbs: dst=0 src0=0 src1=0 src2=0
	v_add_f32_e32 v9, v9, v11
	s_set_vgpr_msb 5                        ;  msbs: dst=0 src0=1 src1=1 src2=0
	v_mul_f32_e32 v11, v26 /*v282*/, v31 /*v287*/
	s_delay_alu instid0(VALU_DEP_1) | instskip(SKIP_1) | instid1(VALU_DEP_1)
	v_fmac_f32_e32 v11, v27 /*v283*/, v30 /*v286*/
	s_set_vgpr_msb 0                        ;  msbs: dst=0 src0=0 src1=0 src2=0
	;; [unrolled: 13-line block ×4, first 2 shown]
	v_add_f32_e32 v9, v9, v11
	s_set_vgpr_msb 5                        ;  msbs: dst=0 src0=1 src1=1 src2=0
	v_mul_f32_e32 v11, v48 /*v304*/, v53 /*v309*/
	s_delay_alu instid0(VALU_DEP_1) | instskip(SKIP_1) | instid1(VALU_DEP_1)
	v_fmac_f32_e32 v11, v49 /*v305*/, v52 /*v308*/
	s_set_vgpr_msb 0                        ;  msbs: dst=0 src0=0 src1=0 src2=0
	v_add_f32_e32 v9, v9, v11
	s_set_vgpr_msb 5                        ;  msbs: dst=0 src0=1 src1=1 src2=0
	v_mul_f32_e32 v11, v50 /*v306*/, v55 /*v311*/
	s_delay_alu instid0(VALU_DEP_1) | instskip(SKIP_1) | instid1(VALU_DEP_1)
	v_fmac_f32_e32 v11, v51 /*v307*/, v54 /*v310*/
	s_set_vgpr_msb 0                        ;  msbs: dst=0 src0=0 src1=0 src2=0
	v_add_f32_e32 v9, v9, v11
	s_set_vgpr_msb 5                        ;  msbs: dst=0 src0=1 src1=1 src2=0
	v_mul_f32_e32 v11, v56 /*v312*/, v61 /*v317*/
	s_delay_alu instid0(VALU_DEP_1) | instskip(SKIP_1) | instid1(VALU_DEP_1)
	v_fmac_f32_e32 v11, v57 /*v313*/, v60 /*v316*/
	s_set_vgpr_msb 64                       ;  msbs: dst=1 src0=0 src1=0 src2=0
	v_add_f32_e32 v85 /*v341*/, v9, v11
	s_set_vgpr_msb 0                        ;  msbs: dst=0 src0=0 src1=0 src2=0
	v_dual_mul_f32 v9, v129, v145 :: v_dual_mul_f32 v11, v131, v147
	s_set_vgpr_msb 1                        ;  msbs: dst=0 src0=1 src1=0 src2=0
	v_mov_b32_e32 v145, v66 /*v322*/
	s_set_vgpr_msb 0                        ;  msbs: dst=0 src0=0 src1=0 src2=0
	s_delay_alu instid0(VALU_DEP_2) | instskip(SKIP_2) | instid1(VALU_DEP_2)
	v_dual_fma_f32 v9, v128, v144, -v9 :: v_dual_fma_f32 v11, v130, v146, -v11
	s_set_vgpr_msb 1                        ;  msbs: dst=0 src0=1 src1=0 src2=0
	v_dual_mov_b32 v144, v67 /*v323*/ :: v_dual_mov_b32 v146, v71 /*v327*/
	v_add_f32_e32 v9, 0, v9
	s_set_vgpr_msb 0                        ;  msbs: dst=0 src0=0 src1=0 src2=0
	s_delay_alu instid0(VALU_DEP_2) | instskip(NEXT) | instid1(VALU_DEP_2)
	v_pk_mul_f32 v[144:145], v[144:145], v[146:147] op_sel_hi:[1,0]
	v_add_f32_e32 v9, v9, v11
	v_mul_f32_e32 v11, v133, v149
	s_set_vgpr_msb 5                        ;  msbs: dst=0 src0=1 src1=1 src2=0
	s_delay_alu instid0(VALU_DEP_3) | instskip(SKIP_2) | instid1(VALU_DEP_1)
	v_pk_fma_f32 v[146:147], v[66:67] /*v[322:323]*/, v[70:71] /*v[326:327]*/, v[144:145] neg_lo:[0,0,1] neg_hi:[0,0,1]
	v_pk_fma_f32 v[144:145], v[66:67] /*v[322:323]*/, v[70:71] /*v[326:327]*/, v[144:145] op_sel_hi:[1,0,1]
	s_set_vgpr_msb 0                        ;  msbs: dst=0 src0=0 src1=0 src2=0
	v_dual_fma_f32 v11, v132, v148, -v11 :: v_dual_mov_b32 v147, v145
	s_delay_alu instid0(VALU_DEP_1) | instskip(SKIP_1) | instid1(VALU_DEP_1)
	v_add_f32_e32 v9, v9, v11
	v_mul_f32_e32 v11, v135, v151
	v_fma_f32 v11, v134, v150, -v11
	s_delay_alu instid0(VALU_DEP_1) | instskip(SKIP_1) | instid1(VALU_DEP_1)
	v_add_f32_e32 v9, v9, v11
	v_mul_f32_e32 v11, v137, v153
	v_fma_f32 v11, v136, v152, -v11
	s_delay_alu instid0(VALU_DEP_1) | instskip(SKIP_1) | instid1(VALU_DEP_1)
	v_add_f32_e32 v9, v9, v11
	v_mul_f32_e32 v11, v139, v155
	v_fma_f32 v11, v138, v154, -v11
	s_delay_alu instid0(VALU_DEP_1) | instskip(SKIP_1) | instid1(VALU_DEP_1)
	v_add_f32_e32 v9, v9, v11
	v_mul_f32_e32 v11, v141, v157
	v_fma_f32 v11, v140, v156, -v11
	ds_load_b128 v[128:131], v5 offset:960
	ds_load_b128 v[132:135], v5 offset:976
	;; [unrolled: 1-line block ×3, first 2 shown]
	ds_load_b64 v[140:141], v5 offset:1008
	v_add_f32_e32 v9, v9, v11
	v_mul_f32_e32 v11, v143, v159
	s_delay_alu instid0(VALU_DEP_1) | instskip(NEXT) | instid1(VALU_DEP_1)
	v_fma_f32 v11, v142, v158, -v11
	v_add_f32_e32 v9, v9, v11
	v_mul_f32_e32 v11, v161, v165
	s_wait_loadcnt_dscnt 0x303
	s_set_vgpr_msb 4                        ;  msbs: dst=0 src0=0 src1=1 src2=0
	v_pk_mul_f32 v[144:145], v[128:129], v[72:73] /*v[328:329]*/ op_sel:[1,1] op_sel_hi:[0,1]
	s_set_vgpr_msb 0                        ;  msbs: dst=0 src0=0 src1=0 src2=0
	v_fma_f32 v11, v160, v164, -v11
	s_delay_alu instid0(VALU_DEP_1) | instskip(SKIP_1) | instid1(VALU_DEP_1)
	v_add_f32_e32 v9, v9, v11
	v_mul_f32_e32 v11, v163, v167
	v_fma_f32 v11, v162, v166, -v11
	s_delay_alu instid0(VALU_DEP_1) | instskip(SKIP_1) | instid1(VALU_DEP_1)
	v_add_f32_e32 v9, v9, v11
	v_mul_f32_e32 v11, v169, v173
	;; [unrolled: 4-line block ×23, first 2 shown]
	v_fma_f32 v11, v250, v254, -v11
	s_delay_alu instid0(VALU_DEP_1) | instskip(SKIP_2) | instid1(VALU_DEP_1)
	v_add_f32_e32 v9, v9, v11
	s_set_vgpr_msb 5                        ;  msbs: dst=0 src0=1 src1=1 src2=0
	v_mul_f32_e32 v11, v1 /*v257*/, v5 /*v261*/
	v_fma_f32 v11, v0 /*v256*/, v4 /*v260*/, -v11
	s_set_vgpr_msb 0                        ;  msbs: dst=0 src0=0 src1=0 src2=0
	s_delay_alu instid0(VALU_DEP_1) | instskip(SKIP_2) | instid1(VALU_DEP_1)
	v_add_f32_e32 v9, v9, v11
	s_set_vgpr_msb 5                        ;  msbs: dst=0 src0=1 src1=1 src2=0
	v_mul_f32_e32 v11, v3 /*v259*/, v7 /*v263*/
	v_fma_f32 v11, v2 /*v258*/, v6 /*v262*/, -v11
	s_set_vgpr_msb 0                        ;  msbs: dst=0 src0=0 src1=0 src2=0
	;; [unrolled: 6-line block ×14, first 2 shown]
	s_delay_alu instid0(VALU_DEP_1) | instskip(SKIP_2) | instid1(VALU_DEP_1)
	v_add_f32_e32 v9, v9, v11
	s_set_vgpr_msb 5                        ;  msbs: dst=0 src0=1 src1=1 src2=0
	v_mul_f32_e32 v11, v57 /*v313*/, v61 /*v317*/
	v_fma_f32 v11, v56 /*v312*/, v60 /*v316*/, -v11
	s_set_vgpr_msb 64                       ;  msbs: dst=1 src0=0 src1=0 src2=0
	s_delay_alu instid0(VALU_DEP_1) | instskip(SKIP_3) | instid1(VALU_DEP_1)
	v_add_f32_e32 v84 /*v340*/, v9, v11
	s_set_vgpr_msb 5                        ;  msbs: dst=0 src0=1 src1=1 src2=0
	v_mul_f32_e32 v9, v59 /*v315*/, v63 /*v319*/
	s_set_vgpr_msb 0x45                     ;  msbs: dst=1 src0=1 src1=1 src2=0
	v_fma_f32 v86 /*v342*/, v58 /*v314*/, v62 /*v318*/, -v9
	s_set_vgpr_msb 5                        ;  msbs: dst=0 src0=1 src1=1 src2=0
	v_mul_f32_e32 v9, v65 /*v321*/, v69 /*v325*/
	s_set_vgpr_msb 0x45                     ;  msbs: dst=1 src0=1 src1=1 src2=0
	s_delay_alu instid0(VALU_DEP_1) | instskip(SKIP_3) | instid1(VALU_DEP_1)
	v_fma_f32 v88 /*v344*/, v64 /*v320*/, v68 /*v324*/, -v9
	s_set_vgpr_msb 5                        ;  msbs: dst=0 src0=1 src1=1 src2=0
	v_pk_add_f32 v[142:143], v[84:85] /*v[340:341]*/, v[86:87] /*v[342:343]*/
	s_set_vgpr_msb 4                        ;  msbs: dst=0 src0=0 src1=1 src2=0
	v_pk_add_f32 v[142:143], v[142:143], v[88:89] /*v[344:345]*/
	s_set_vgpr_msb 0                        ;  msbs: dst=0 src0=0 src1=0 src2=0
	s_delay_alu instid0(VALU_DEP_1)
	v_pk_add_f32 v[142:143], v[142:143], v[146:147]
	s_set_vgpr_msb 4                        ;  msbs: dst=0 src0=0 src1=1 src2=0
	v_pk_fma_f32 v[146:147], v[128:129], v[72:73] /*v[328:329]*/, v[144:145] neg_lo:[0,0,1] neg_hi:[0,0,1]
	v_pk_fma_f32 v[128:129], v[128:129], v[72:73] /*v[328:329]*/, v[144:145] op_sel_hi:[1,0,1]
	s_set_vgpr_msb 1                        ;  msbs: dst=0 src0=1 src1=0 src2=0
	v_mov_b32_e32 v144, v75 /*v331*/
	s_set_vgpr_msb 0                        ;  msbs: dst=0 src0=0 src1=0 src2=0
	s_delay_alu instid0(VALU_DEP_2) | instskip(NEXT) | instid1(VALU_DEP_1)
	v_mov_b32_e32 v147, v129
	v_pk_add_f32 v[128:129], v[142:143], v[146:147]
	v_dual_mov_b32 v142, v131 :: v_dual_mov_b32 v143, v130
	s_delay_alu instid0(VALU_DEP_1) | instskip(SKIP_1) | instid1(VALU_DEP_1)
	v_pk_mul_f32 v[142:143], v[142:143], v[144:145] op_sel_hi:[1,0]
	s_set_vgpr_msb 4                        ;  msbs: dst=0 src0=0 src1=1 src2=0
	v_pk_fma_f32 v[144:145], v[130:131], v[74:75] /*v[330:331]*/, v[142:143] neg_lo:[0,0,1] neg_hi:[0,0,1]
	v_pk_fma_f32 v[130:131], v[130:131], v[74:75] /*v[330:331]*/, v[142:143] op_sel_hi:[1,0,1]
	s_delay_alu instid0(VALU_DEP_1) | instskip(SKIP_3) | instid1(VALU_DEP_2)
	v_mov_b32_e32 v145, v131
	s_wait_loadcnt_dscnt 0x202
	v_pk_mul_f32 v[130:131], v[132:133], v[76:77] /*v[332:333]*/ op_sel:[1,1] op_sel_hi:[0,1]
	s_set_vgpr_msb 0                        ;  msbs: dst=0 src0=0 src1=0 src2=0
	v_pk_add_f32 v[128:129], v[128:129], v[144:145]
	s_set_vgpr_msb 4                        ;  msbs: dst=0 src0=0 src1=1 src2=0
	s_delay_alu instid0(VALU_DEP_2)
	v_pk_fma_f32 v[142:143], v[132:133], v[76:77] /*v[332:333]*/, v[130:131] neg_lo:[0,0,1] neg_hi:[0,0,1]
	v_pk_fma_f32 v[130:131], v[132:133], v[76:77] /*v[332:333]*/, v[130:131] op_sel_hi:[1,0,1]
	v_mov_b32_e32 v130, v135
	s_set_vgpr_msb 1                        ;  msbs: dst=0 src0=1 src1=0 src2=0
	v_mov_b32_e32 v132, v79 /*v335*/
	s_set_vgpr_msb 0                        ;  msbs: dst=0 src0=0 src1=0 src2=0
	v_dual_mov_b32 v143, v131 :: v_dual_mov_b32 v131, v134
	s_delay_alu instid0(VALU_DEP_1) | instskip(NEXT) | instid1(VALU_DEP_2)
	v_pk_add_f32 v[128:129], v[128:129], v[142:143]
	v_pk_mul_f32 v[130:131], v[130:131], v[132:133] op_sel_hi:[1,0]
	s_set_vgpr_msb 4                        ;  msbs: dst=0 src0=0 src1=1 src2=0
	s_delay_alu instid0(VALU_DEP_1) | instskip(SKIP_1) | instid1(VALU_DEP_1)
	v_pk_fma_f32 v[132:133], v[134:135], v[78:79] /*v[334:335]*/, v[130:131] neg_lo:[0,0,1] neg_hi:[0,0,1]
	v_pk_fma_f32 v[130:131], v[134:135], v[78:79] /*v[334:335]*/, v[130:131] op_sel_hi:[1,0,1]
	v_mov_b32_e32 v133, v131
	s_wait_loadcnt_dscnt 0x101
	v_pk_mul_f32 v[130:131], v[136:137], v[80:81] /*v[336:337]*/ op_sel:[1,1] op_sel_hi:[0,1]
	s_set_vgpr_msb 0                        ;  msbs: dst=0 src0=0 src1=0 src2=0
	s_delay_alu instid0(VALU_DEP_2) | instskip(SKIP_1) | instid1(VALU_DEP_2)
	v_pk_add_f32 v[128:129], v[128:129], v[132:133]
	s_set_vgpr_msb 4                        ;  msbs: dst=0 src0=0 src1=1 src2=0
	v_pk_fma_f32 v[132:133], v[136:137], v[80:81] /*v[336:337]*/, v[130:131] neg_lo:[0,0,1] neg_hi:[0,0,1]
	v_pk_fma_f32 v[130:131], v[136:137], v[80:81] /*v[336:337]*/, v[130:131] op_sel_hi:[1,0,1]
	s_delay_alu instid0(VALU_DEP_1) | instskip(SKIP_2) | instid1(VALU_DEP_2)
	v_dual_mov_b32 v130, v139 :: v_dual_mov_b32 v133, v131
	v_mov_b32_e32 v131, v138
	s_set_vgpr_msb 0                        ;  msbs: dst=0 src0=0 src1=0 src2=0
	v_pk_add_f32 v[128:129], v[128:129], v[132:133]
	s_set_vgpr_msb 1                        ;  msbs: dst=0 src0=1 src1=0 src2=0
	v_mov_b32_e32 v132, v83 /*v339*/
	s_set_vgpr_msb 0                        ;  msbs: dst=0 src0=0 src1=0 src2=0
	s_delay_alu instid0(VALU_DEP_1) | instskip(SKIP_1) | instid1(VALU_DEP_1)
	v_pk_mul_f32 v[130:131], v[130:131], v[132:133] op_sel_hi:[1,0]
	s_set_vgpr_msb 4                        ;  msbs: dst=0 src0=0 src1=1 src2=0
	v_pk_fma_f32 v[132:133], v[138:139], v[82:83] /*v[338:339]*/, v[130:131] neg_lo:[0,0,1] neg_hi:[0,0,1]
	v_pk_fma_f32 v[130:131], v[138:139], v[82:83] /*v[338:339]*/, v[130:131] op_sel_hi:[1,0,1]
	s_delay_alu instid0(VALU_DEP_1) | instskip(SKIP_3) | instid1(VALU_DEP_2)
	v_mov_b32_e32 v133, v131
	s_wait_loadcnt_dscnt 0x0
	v_pk_mul_f32 v[130:131], v[140:141], v[90:91] /*v[346:347]*/ op_sel:[1,1] op_sel_hi:[0,1]
	s_set_vgpr_msb 0                        ;  msbs: dst=0 src0=0 src1=0 src2=0
	v_pk_add_f32 v[128:129], v[128:129], v[132:133]
	s_set_vgpr_msb 4                        ;  msbs: dst=0 src0=0 src1=1 src2=0
	s_delay_alu instid0(VALU_DEP_2) | instskip(SKIP_1) | instid1(VALU_DEP_1)
	v_pk_fma_f32 v[132:133], v[140:141], v[90:91] /*v[346:347]*/, v[130:131] neg_lo:[0,0,1] neg_hi:[0,0,1]
	v_pk_fma_f32 v[130:131], v[140:141], v[90:91] /*v[346:347]*/, v[130:131] op_sel_hi:[1,0,1]
	v_mov_b32_e32 v133, v131
	scratch_load_b64 v[130:131], off, off offset:40
	s_set_vgpr_msb 0                        ;  msbs: dst=0 src0=0 src1=0 src2=0
	v_pk_add_f32 v[128:129], v[128:129], v[132:133]
	s_wait_loadcnt 0x0
	s_delay_alu instid0(VALU_DEP_1)
	v_pk_add_f32 v[128:129], v[130:131], v[128:129] neg_lo:[0,1] neg_hi:[0,1]
	scratch_store_b64 off, v[128:129], off offset:40
	s_wait_xcnt 0x0
	v_cmpx_lt_u32_e32 4, v0
	s_cbranch_execz .LBB62_383
; %bb.382:
	scratch_load_b64 v[128:129], off, off offset:32
	v_mov_b64_e32 v[130:131], 0
	scratch_store_b64 off, v[130:131], off offset:32
	s_wait_loadcnt 0x0
	ds_store_b64 v1, v[128:129]
.LBB62_383:
	s_wait_xcnt 0x0
	s_or_b32 exec_lo, exec_lo, s0
	s_wait_storecnt_dscnt 0x0
	s_barrier_signal -1
	s_barrier_wait -1
	s_clause 0xf
	scratch_load_b128 v[132:135], off, off offset:40
	scratch_load_b128 v[140:143], off, off offset:56
	;; [unrolled: 1-line block ×16, first 2 shown]
	ds_load_2addr_b64 v[128:131], v5 offset0:69 offset1:70
	ds_load_2addr_b64 v[136:139], v5 offset0:71 offset1:72
	s_set_vgpr_msb 64                       ;  msbs: dst=1 src0=0 src1=0 src2=0
	s_clause 0x1
	scratch_load_b128 v[4:7] /*v[260:263]*/, off, off offset:296
	scratch_load_b128 v[12:15] /*v[268:271]*/, off, off offset:312
	s_set_vgpr_msb 0                        ;  msbs: dst=0 src0=0 src1=0 src2=0
	ds_load_2addr_b64 v[144:147], v5 offset0:73 offset1:74
	ds_load_2addr_b64 v[152:155], v5 offset0:75 offset1:76
	s_set_vgpr_msb 64                       ;  msbs: dst=1 src0=0 src1=0 src2=0
	s_clause 0x1
	scratch_load_b128 v[20:23] /*v[276:279]*/, off, off offset:328
	scratch_load_b128 v[28:31] /*v[284:287]*/, off, off offset:344
	s_set_vgpr_msb 0                        ;  msbs: dst=0 src0=0 src1=0 src2=0
	;; [unrolled: 7-line block ×4, first 2 shown]
	ds_load_2addr_b64 v[192:195], v5 offset0:85 offset1:86
	ds_load_2addr_b64 v[200:203], v5 offset0:87 offset1:88
	;; [unrolled: 1-line block ×8, first 2 shown]
	s_set_vgpr_msb 64                       ;  msbs: dst=1 src0=0 src1=0 src2=0
	ds_load_2addr_b64 v[0:3] /*v[256:259]*/, v5 offset0:101 offset1:102
	ds_load_2addr_b64 v[8:11] /*v[264:267]*/, v5 offset0:103 offset1:104
	;; [unrolled: 1-line block ×3, first 2 shown]
	scratch_load_b128 v[68:71] /*v[324:327]*/, off, off offset:424
	ds_load_2addr_b64 v[16:19] /*v[272:275]*/, v5 offset0:105 offset1:106
	ds_load_2addr_b64 v[24:27] /*v[280:283]*/, v5 offset0:107 offset1:108
	;; [unrolled: 1-line block ×6, first 2 shown]
	s_clause 0x3
	scratch_load_b128 v[72:75] /*v[328:331]*/, off, off offset:440
	scratch_load_b128 v[76:79] /*v[332:335]*/, off, off offset:456
	scratch_load_b128 v[80:83] /*v[336:339]*/, off, off offset:472
	scratch_load_b128 v[84:87] /*v[340:343]*/, off, off offset:488
	s_mov_b32 s0, exec_lo
	s_wait_loadcnt_dscnt 0x1c18
	s_set_vgpr_msb 0                        ;  msbs: dst=0 src0=0 src1=0 src2=0
	v_dual_mul_f32 v9, v128, v133 :: v_dual_mul_f32 v11, v130, v135
	s_delay_alu instid0(VALU_DEP_1) | instskip(NEXT) | instid1(VALU_DEP_1)
	v_dual_fmac_f32 v9, v129, v132 :: v_dual_fmac_f32 v11, v131, v134
	v_add_f32_e32 v9, 0, v9
	s_wait_loadcnt_dscnt 0x1b17
	s_delay_alu instid0(VALU_DEP_1) | instskip(NEXT) | instid1(VALU_DEP_1)
	v_dual_add_f32 v9, v9, v11 :: v_dual_mul_f32 v11, v136, v141
	v_fmac_f32_e32 v11, v137, v140
	s_delay_alu instid0(VALU_DEP_1) | instskip(SKIP_1) | instid1(VALU_DEP_1)
	v_add_f32_e32 v9, v9, v11
	v_mul_f32_e32 v11, v138, v143
	v_fmac_f32_e32 v11, v139, v142
	s_wait_loadcnt_dscnt 0x1a16
	s_delay_alu instid0(VALU_DEP_1) | instskip(NEXT) | instid1(VALU_DEP_1)
	v_dual_add_f32 v9, v9, v11 :: v_dual_mul_f32 v11, v144, v149
	v_fmac_f32_e32 v11, v145, v148
	s_wait_loadcnt_dscnt 0x406
	s_set_vgpr_msb 0x45                     ;  msbs: dst=1 src0=1 src1=1 src2=0
	v_dual_mul_f32 v91 /*v347*/, v64 /*v320*/, v69 /*v325*/ :: v_dual_mul_f32 v93 /*v349*/, v66 /*v322*/, v71 /*v327*/
	s_set_vgpr_msb 0                        ;  msbs: dst=0 src0=0 src1=0 src2=0
	v_add_f32_e32 v9, v9, v11
	v_mul_f32_e32 v11, v146, v151
	s_set_vgpr_msb 0x45                     ;  msbs: dst=1 src0=1 src1=1 src2=0
	v_dual_fmac_f32 v91 /*v347*/, v65 /*v321*/, v68 /*v324*/ :: v_dual_fmac_f32 v93 /*v349*/, v67 /*v323*/, v70 /*v326*/
	s_set_vgpr_msb 0                        ;  msbs: dst=0 src0=0 src1=0 src2=0
	s_delay_alu instid0(VALU_DEP_2) | instskip(NEXT) | instid1(VALU_DEP_1)
	v_fmac_f32_e32 v11, v147, v150
	v_dual_add_f32 v9, v9, v11 :: v_dual_mul_f32 v11, v152, v157
	s_delay_alu instid0(VALU_DEP_1) | instskip(NEXT) | instid1(VALU_DEP_1)
	v_fmac_f32_e32 v11, v153, v156
	v_add_f32_e32 v9, v9, v11
	v_mul_f32_e32 v11, v154, v159
	s_delay_alu instid0(VALU_DEP_1) | instskip(NEXT) | instid1(VALU_DEP_1)
	v_fmac_f32_e32 v11, v155, v158
	v_dual_add_f32 v9, v9, v11 :: v_dual_mul_f32 v11, v160, v165
	s_delay_alu instid0(VALU_DEP_1) | instskip(NEXT) | instid1(VALU_DEP_1)
	v_fmac_f32_e32 v11, v161, v164
	v_add_f32_e32 v9, v9, v11
	v_mul_f32_e32 v11, v162, v167
	s_delay_alu instid0(VALU_DEP_1) | instskip(NEXT) | instid1(VALU_DEP_1)
	;; [unrolled: 7-line block ×13, first 2 shown]
	v_fmac_f32_e32 v11, v251, v254
	v_add_f32_e32 v9, v9, v11
	s_set_vgpr_msb 5                        ;  msbs: dst=0 src0=1 src1=1 src2=0
	v_mul_f32_e32 v11, v0 /*v256*/, v5 /*v261*/
	s_delay_alu instid0(VALU_DEP_1) | instskip(SKIP_1) | instid1(VALU_DEP_1)
	v_fmac_f32_e32 v11, v1 /*v257*/, v4 /*v260*/
	s_set_vgpr_msb 0                        ;  msbs: dst=0 src0=0 src1=0 src2=0
	v_add_f32_e32 v9, v9, v11
	s_set_vgpr_msb 5                        ;  msbs: dst=0 src0=1 src1=1 src2=0
	v_mul_f32_e32 v11, v2 /*v258*/, v7 /*v263*/
	s_delay_alu instid0(VALU_DEP_1) | instskip(SKIP_1) | instid1(VALU_DEP_1)
	v_fmac_f32_e32 v11, v3 /*v259*/, v6 /*v262*/
	s_set_vgpr_msb 0                        ;  msbs: dst=0 src0=0 src1=0 src2=0
	;; [unrolled: 6-line block ×4, first 2 shown]
	v_add_f32_e32 v9, v9, v11
	s_wait_dscnt 0x5
	s_set_vgpr_msb 5                        ;  msbs: dst=0 src0=1 src1=1 src2=0
	v_mul_f32_e32 v11, v16 /*v272*/, v21 /*v277*/
	s_delay_alu instid0(VALU_DEP_1) | instskip(SKIP_1) | instid1(VALU_DEP_1)
	v_fmac_f32_e32 v11, v17 /*v273*/, v20 /*v276*/
	s_set_vgpr_msb 0                        ;  msbs: dst=0 src0=0 src1=0 src2=0
	v_add_f32_e32 v9, v9, v11
	s_set_vgpr_msb 5                        ;  msbs: dst=0 src0=1 src1=1 src2=0
	v_mul_f32_e32 v11, v18 /*v274*/, v23 /*v279*/
	s_delay_alu instid0(VALU_DEP_1) | instskip(SKIP_1) | instid1(VALU_DEP_1)
	v_fmac_f32_e32 v11, v19 /*v275*/, v22 /*v278*/
	s_set_vgpr_msb 0                        ;  msbs: dst=0 src0=0 src1=0 src2=0
	v_add_f32_e32 v9, v9, v11
	s_wait_dscnt 0x4
	s_set_vgpr_msb 5                        ;  msbs: dst=0 src0=1 src1=1 src2=0
	v_mul_f32_e32 v11, v24 /*v280*/, v29 /*v285*/
	s_delay_alu instid0(VALU_DEP_1) | instskip(SKIP_1) | instid1(VALU_DEP_1)
	v_fmac_f32_e32 v11, v25 /*v281*/, v28 /*v284*/
	s_set_vgpr_msb 0                        ;  msbs: dst=0 src0=0 src1=0 src2=0
	v_add_f32_e32 v9, v9, v11
	s_set_vgpr_msb 5                        ;  msbs: dst=0 src0=1 src1=1 src2=0
	v_mul_f32_e32 v11, v26 /*v282*/, v31 /*v287*/
	s_delay_alu instid0(VALU_DEP_1) | instskip(SKIP_1) | instid1(VALU_DEP_1)
	v_fmac_f32_e32 v11, v27 /*v283*/, v30 /*v286*/
	s_set_vgpr_msb 0                        ;  msbs: dst=0 src0=0 src1=0 src2=0
	;; [unrolled: 13-line block ×5, first 2 shown]
	v_add_f32_e32 v9, v9, v11
	s_wait_dscnt 0x0
	s_set_vgpr_msb 5                        ;  msbs: dst=0 src0=1 src1=1 src2=0
	v_mul_f32_e32 v11, v56 /*v312*/, v61 /*v317*/
	s_delay_alu instid0(VALU_DEP_1) | instskip(SKIP_1) | instid1(VALU_DEP_1)
	v_fmac_f32_e32 v11, v57 /*v313*/, v60 /*v316*/
	s_set_vgpr_msb 0                        ;  msbs: dst=0 src0=0 src1=0 src2=0
	v_add_f32_e32 v9, v9, v11
	s_set_vgpr_msb 5                        ;  msbs: dst=0 src0=1 src1=1 src2=0
	v_mul_f32_e32 v11, v58 /*v314*/, v63 /*v319*/
	s_delay_alu instid0(VALU_DEP_1) | instskip(SKIP_1) | instid1(VALU_DEP_1)
	v_fmac_f32_e32 v11, v59 /*v315*/, v62 /*v318*/
	s_set_vgpr_msb 64                       ;  msbs: dst=1 src0=0 src1=0 src2=0
	v_add_f32_e32 v89 /*v345*/, v9, v11
	s_set_vgpr_msb 0                        ;  msbs: dst=0 src0=0 src1=0 src2=0
	v_dual_mul_f32 v9, v129, v133 :: v_dual_mul_f32 v11, v131, v135
	s_delay_alu instid0(VALU_DEP_1) | instskip(NEXT) | instid1(VALU_DEP_1)
	v_dual_fma_f32 v9, v128, v132, -v9 :: v_dual_fma_f32 v11, v130, v134, -v11
	v_add_f32_e32 v9, 0, v9
	s_delay_alu instid0(VALU_DEP_1) | instskip(SKIP_1) | instid1(VALU_DEP_1)
	v_add_f32_e32 v9, v9, v11
	v_mul_f32_e32 v11, v137, v141
	v_fma_f32 v11, v136, v140, -v11
	s_delay_alu instid0(VALU_DEP_1) | instskip(SKIP_1) | instid1(VALU_DEP_1)
	v_add_f32_e32 v9, v9, v11
	v_mul_f32_e32 v11, v139, v143
	v_fma_f32 v11, v138, v142, -v11
	ds_load_2addr_b64 v[128:131], v5 offset0:119 offset1:120
	ds_load_2addr_b64 v[132:135], v5 offset0:121 offset1:122
	;; [unrolled: 1-line block ×4, first 2 shown]
	v_add_f32_e32 v9, v9, v11
	v_mul_f32_e32 v11, v145, v149
	s_delay_alu instid0(VALU_DEP_1) | instskip(NEXT) | instid1(VALU_DEP_1)
	v_fma_f32 v11, v144, v148, -v11
	v_add_f32_e32 v9, v9, v11
	v_mul_f32_e32 v11, v147, v151
	s_delay_alu instid0(VALU_DEP_1)
	v_fma_f32 v11, v146, v150, -v11
	s_wait_loadcnt_dscnt 0x303
	s_set_vgpr_msb 4                        ;  msbs: dst=0 src0=0 src1=1 src2=0
	v_pk_mul_f32 v[146:147], v[128:129], v[72:73] /*v[328:329]*/ op_sel:[1,1] op_sel_hi:[0,1]
	s_set_vgpr_msb 0                        ;  msbs: dst=0 src0=0 src1=0 src2=0
	v_add_f32_e32 v9, v9, v11
	v_mul_f32_e32 v11, v153, v157
	s_set_vgpr_msb 4                        ;  msbs: dst=0 src0=0 src1=1 src2=0
	v_pk_fma_f32 v[148:149], v[128:129], v[72:73] /*v[328:329]*/, v[146:147] neg_lo:[0,0,1] neg_hi:[0,0,1]
	v_pk_fma_f32 v[128:129], v[128:129], v[72:73] /*v[328:329]*/, v[146:147] op_sel_hi:[1,0,1]
	s_set_vgpr_msb 1                        ;  msbs: dst=0 src0=1 src1=0 src2=0
	v_mov_b32_e32 v146, v75 /*v331*/
	s_set_vgpr_msb 0                        ;  msbs: dst=0 src0=0 src1=0 src2=0
	s_delay_alu instid0(VALU_DEP_2) | instskip(NEXT) | instid1(VALU_DEP_1)
	v_dual_fma_f32 v11, v152, v156, -v11 :: v_dual_mov_b32 v149, v129
	v_add_f32_e32 v9, v9, v11
	v_mul_f32_e32 v11, v155, v159
	s_delay_alu instid0(VALU_DEP_1) | instskip(NEXT) | instid1(VALU_DEP_1)
	v_fma_f32 v11, v154, v158, -v11
	v_add_f32_e32 v9, v9, v11
	v_mul_f32_e32 v11, v161, v165
	s_delay_alu instid0(VALU_DEP_1) | instskip(NEXT) | instid1(VALU_DEP_1)
	v_fma_f32 v11, v160, v164, -v11
	;; [unrolled: 4-line block ×25, first 2 shown]
	v_add_f32_e32 v9, v9, v11
	s_set_vgpr_msb 5                        ;  msbs: dst=0 src0=1 src1=1 src2=0
	v_mul_f32_e32 v11, v1 /*v257*/, v5 /*v261*/
	s_delay_alu instid0(VALU_DEP_1) | instskip(SKIP_1) | instid1(VALU_DEP_1)
	v_fma_f32 v11, v0 /*v256*/, v4 /*v260*/, -v11
	s_set_vgpr_msb 0                        ;  msbs: dst=0 src0=0 src1=0 src2=0
	v_add_f32_e32 v9, v9, v11
	s_set_vgpr_msb 5                        ;  msbs: dst=0 src0=1 src1=1 src2=0
	v_mul_f32_e32 v11, v3 /*v259*/, v7 /*v263*/
	s_delay_alu instid0(VALU_DEP_1) | instskip(SKIP_1) | instid1(VALU_DEP_1)
	v_fma_f32 v11, v2 /*v258*/, v6 /*v262*/, -v11
	s_set_vgpr_msb 0                        ;  msbs: dst=0 src0=0 src1=0 src2=0
	;; [unrolled: 6-line block ×15, first 2 shown]
	v_add_f32_e32 v9, v9, v11
	s_set_vgpr_msb 5                        ;  msbs: dst=0 src0=1 src1=1 src2=0
	v_mul_f32_e32 v11, v59 /*v315*/, v63 /*v319*/
	s_delay_alu instid0(VALU_DEP_1) | instskip(SKIP_1) | instid1(VALU_DEP_1)
	v_fma_f32 v11, v58 /*v314*/, v62 /*v318*/, -v11
	s_set_vgpr_msb 64                       ;  msbs: dst=1 src0=0 src1=0 src2=0
	v_add_f32_e32 v88 /*v344*/, v9, v11
	s_set_vgpr_msb 5                        ;  msbs: dst=0 src0=1 src1=1 src2=0
	v_mul_f32_e32 v9, v65 /*v321*/, v69 /*v325*/
	s_set_vgpr_msb 0x45                     ;  msbs: dst=1 src0=1 src1=1 src2=0
	s_delay_alu instid0(VALU_DEP_1) | instskip(SKIP_3) | instid1(VALU_DEP_1)
	v_fma_f32 v90 /*v346*/, v64 /*v320*/, v68 /*v324*/, -v9
	s_set_vgpr_msb 5                        ;  msbs: dst=0 src0=1 src1=1 src2=0
	v_mul_f32_e32 v9, v67 /*v323*/, v71 /*v327*/
	s_set_vgpr_msb 0x45                     ;  msbs: dst=1 src0=1 src1=1 src2=0
	v_fma_f32 v92 /*v348*/, v66 /*v322*/, v70 /*v326*/, -v9
	s_set_vgpr_msb 5                        ;  msbs: dst=0 src0=1 src1=1 src2=0
	v_pk_add_f32 v[144:145], v[88:89] /*v[344:345]*/, v[90:91] /*v[346:347]*/
	s_set_vgpr_msb 4                        ;  msbs: dst=0 src0=0 src1=1 src2=0
	s_delay_alu instid0(VALU_DEP_1) | instskip(SKIP_1) | instid1(VALU_DEP_1)
	v_pk_add_f32 v[144:145], v[144:145], v[92:93] /*v[348:349]*/
	s_set_vgpr_msb 0                        ;  msbs: dst=0 src0=0 src1=0 src2=0
	v_pk_add_f32 v[128:129], v[144:145], v[148:149]
	v_dual_mov_b32 v144, v131 :: v_dual_mov_b32 v145, v130
	s_delay_alu instid0(VALU_DEP_1) | instskip(SKIP_1) | instid1(VALU_DEP_1)
	v_pk_mul_f32 v[144:145], v[144:145], v[146:147] op_sel_hi:[1,0]
	s_set_vgpr_msb 4                        ;  msbs: dst=0 src0=0 src1=1 src2=0
	v_pk_fma_f32 v[146:147], v[130:131], v[74:75] /*v[330:331]*/, v[144:145] neg_lo:[0,0,1] neg_hi:[0,0,1]
	v_pk_fma_f32 v[130:131], v[130:131], v[74:75] /*v[330:331]*/, v[144:145] op_sel_hi:[1,0,1]
	s_delay_alu instid0(VALU_DEP_1) | instskip(SKIP_3) | instid1(VALU_DEP_2)
	v_mov_b32_e32 v147, v131
	s_wait_loadcnt_dscnt 0x202
	v_pk_mul_f32 v[130:131], v[132:133], v[76:77] /*v[332:333]*/ op_sel:[1,1] op_sel_hi:[0,1]
	s_set_vgpr_msb 0                        ;  msbs: dst=0 src0=0 src1=0 src2=0
	v_pk_add_f32 v[128:129], v[128:129], v[146:147]
	s_set_vgpr_msb 4                        ;  msbs: dst=0 src0=0 src1=1 src2=0
	s_delay_alu instid0(VALU_DEP_2)
	v_pk_fma_f32 v[144:145], v[132:133], v[76:77] /*v[332:333]*/, v[130:131] neg_lo:[0,0,1] neg_hi:[0,0,1]
	v_pk_fma_f32 v[130:131], v[132:133], v[76:77] /*v[332:333]*/, v[130:131] op_sel_hi:[1,0,1]
	v_mov_b32_e32 v130, v135
	s_set_vgpr_msb 1                        ;  msbs: dst=0 src0=1 src1=0 src2=0
	v_mov_b32_e32 v132, v79 /*v335*/
	s_set_vgpr_msb 0                        ;  msbs: dst=0 src0=0 src1=0 src2=0
	v_dual_mov_b32 v145, v131 :: v_dual_mov_b32 v131, v134
	s_delay_alu instid0(VALU_DEP_1) | instskip(NEXT) | instid1(VALU_DEP_2)
	v_pk_add_f32 v[128:129], v[128:129], v[144:145]
	v_pk_mul_f32 v[130:131], v[130:131], v[132:133] op_sel_hi:[1,0]
	s_set_vgpr_msb 4                        ;  msbs: dst=0 src0=0 src1=1 src2=0
	s_delay_alu instid0(VALU_DEP_1) | instskip(SKIP_1) | instid1(VALU_DEP_1)
	v_pk_fma_f32 v[132:133], v[134:135], v[78:79] /*v[334:335]*/, v[130:131] neg_lo:[0,0,1] neg_hi:[0,0,1]
	v_pk_fma_f32 v[130:131], v[134:135], v[78:79] /*v[334:335]*/, v[130:131] op_sel_hi:[1,0,1]
	v_mov_b32_e32 v133, v131
	s_wait_loadcnt_dscnt 0x101
	v_pk_mul_f32 v[130:131], v[136:137], v[80:81] /*v[336:337]*/ op_sel:[1,1] op_sel_hi:[0,1]
	s_set_vgpr_msb 0                        ;  msbs: dst=0 src0=0 src1=0 src2=0
	s_delay_alu instid0(VALU_DEP_2) | instskip(SKIP_1) | instid1(VALU_DEP_2)
	v_pk_add_f32 v[128:129], v[128:129], v[132:133]
	s_set_vgpr_msb 4                        ;  msbs: dst=0 src0=0 src1=1 src2=0
	v_pk_fma_f32 v[132:133], v[136:137], v[80:81] /*v[336:337]*/, v[130:131] neg_lo:[0,0,1] neg_hi:[0,0,1]
	v_pk_fma_f32 v[130:131], v[136:137], v[80:81] /*v[336:337]*/, v[130:131] op_sel_hi:[1,0,1]
	s_delay_alu instid0(VALU_DEP_1) | instskip(SKIP_2) | instid1(VALU_DEP_2)
	v_dual_mov_b32 v130, v139 :: v_dual_mov_b32 v133, v131
	v_mov_b32_e32 v131, v138
	s_set_vgpr_msb 0                        ;  msbs: dst=0 src0=0 src1=0 src2=0
	v_pk_add_f32 v[128:129], v[128:129], v[132:133]
	s_set_vgpr_msb 1                        ;  msbs: dst=0 src0=1 src1=0 src2=0
	v_mov_b32_e32 v132, v83 /*v339*/
	s_set_vgpr_msb 0                        ;  msbs: dst=0 src0=0 src1=0 src2=0
	s_delay_alu instid0(VALU_DEP_1) | instskip(SKIP_1) | instid1(VALU_DEP_1)
	v_pk_mul_f32 v[130:131], v[130:131], v[132:133] op_sel_hi:[1,0]
	s_set_vgpr_msb 4                        ;  msbs: dst=0 src0=0 src1=1 src2=0
	v_pk_fma_f32 v[132:133], v[138:139], v[82:83] /*v[338:339]*/, v[130:131] neg_lo:[0,0,1] neg_hi:[0,0,1]
	v_pk_fma_f32 v[130:131], v[138:139], v[82:83] /*v[338:339]*/, v[130:131] op_sel_hi:[1,0,1]
	s_delay_alu instid0(VALU_DEP_1) | instskip(SKIP_3) | instid1(VALU_DEP_2)
	v_mov_b32_e32 v133, v131
	s_wait_loadcnt_dscnt 0x0
	v_pk_mul_f32 v[130:131], v[140:141], v[84:85] /*v[340:341]*/ op_sel:[1,1] op_sel_hi:[0,1]
	s_set_vgpr_msb 0                        ;  msbs: dst=0 src0=0 src1=0 src2=0
	v_pk_add_f32 v[128:129], v[128:129], v[132:133]
	s_set_vgpr_msb 4                        ;  msbs: dst=0 src0=0 src1=1 src2=0
	s_delay_alu instid0(VALU_DEP_2) | instskip(SKIP_1) | instid1(VALU_DEP_1)
	v_pk_fma_f32 v[132:133], v[140:141], v[84:85] /*v[340:341]*/, v[130:131] neg_lo:[0,0,1] neg_hi:[0,0,1]
	v_pk_fma_f32 v[130:131], v[140:141], v[84:85] /*v[340:341]*/, v[130:131] op_sel_hi:[1,0,1]
	v_dual_mov_b32 v130, v143 :: v_dual_mov_b32 v133, v131
	v_mov_b32_e32 v131, v142
	s_set_vgpr_msb 0                        ;  msbs: dst=0 src0=0 src1=0 src2=0
	s_delay_alu instid0(VALU_DEP_2) | instskip(SKIP_3) | instid1(VALU_DEP_1)
	v_pk_add_f32 v[128:129], v[128:129], v[132:133]
	s_set_vgpr_msb 1                        ;  msbs: dst=0 src0=1 src1=0 src2=0
	v_mov_b32_e32 v132, v87 /*v343*/
	s_set_vgpr_msb 0                        ;  msbs: dst=0 src0=0 src1=0 src2=0
	v_pk_mul_f32 v[130:131], v[130:131], v[132:133] op_sel_hi:[1,0]
	s_set_vgpr_msb 4                        ;  msbs: dst=0 src0=0 src1=1 src2=0
	s_delay_alu instid0(VALU_DEP_1) | instskip(SKIP_1) | instid1(VALU_DEP_1)
	v_pk_fma_f32 v[132:133], v[142:143], v[86:87] /*v[342:343]*/, v[130:131] neg_lo:[0,0,1] neg_hi:[0,0,1]
	v_pk_fma_f32 v[130:131], v[142:143], v[86:87] /*v[342:343]*/, v[130:131] op_sel_hi:[1,0,1]
	v_mov_b32_e32 v133, v131
	scratch_load_b64 v[130:131], off, off offset:32
	s_set_vgpr_msb 0                        ;  msbs: dst=0 src0=0 src1=0 src2=0
	v_pk_add_f32 v[128:129], v[128:129], v[132:133]
	s_wait_loadcnt 0x0
	s_delay_alu instid0(VALU_DEP_1)
	v_pk_add_f32 v[128:129], v[130:131], v[128:129] neg_lo:[0,1] neg_hi:[0,1]
	scratch_store_b64 off, v[128:129], off offset:32
	s_wait_xcnt 0x0
	v_cmpx_lt_u32_e32 3, v0
	s_cbranch_execz .LBB62_385
; %bb.384:
	scratch_load_b64 v[128:129], off, off offset:24
	v_mov_b64_e32 v[130:131], 0
	scratch_store_b64 off, v[130:131], off offset:24
	s_wait_loadcnt 0x0
	ds_store_b64 v1, v[128:129]
.LBB62_385:
	s_wait_xcnt 0x0
	s_or_b32 exec_lo, exec_lo, s0
	v_mov_b32_e32 v5, 0
	s_wait_storecnt_dscnt 0x0
	s_barrier_signal -1
	s_barrier_wait -1
	ds_load_b128 v[128:131], v5 offset:544
	ds_load_b128 v[132:135], v5 offset:560
	;; [unrolled: 1-line block ×4, first 2 shown]
	s_clause 0x1a
	scratch_load_b128 v[144:147], off, off offset:32
	scratch_load_b128 v[148:151], off, off offset:48
	;; [unrolled: 1-line block ×16, first 2 shown]
	s_set_vgpr_msb 64                       ;  msbs: dst=1 src0=0 src1=0 src2=0
	scratch_load_b128 v[4:7] /*v[260:263]*/, off, off offset:288
	scratch_load_b128 v[12:15] /*v[268:271]*/, off, off offset:304
	;; [unrolled: 1-line block ×10, first 2 shown]
	s_mov_b32 s0, exec_lo
	s_wait_loadcnt_dscnt 0x1903
	s_set_vgpr_msb 0                        ;  msbs: dst=0 src0=0 src1=0 src2=0
	v_mul_f32_e32 v9, v128, v145
	ds_load_b128 v[160:163], v5 offset:608
	ds_load_b128 v[168:171], v5 offset:624
	;; [unrolled: 1-line block ×4, first 2 shown]
	v_dual_fmac_f32 v9, v129, v144 :: v_dual_mul_f32 v11, v130, v147
	ds_load_b128 v[192:195], v5 offset:672
	ds_load_b128 v[200:203], v5 offset:688
	;; [unrolled: 1-line block ×4, first 2 shown]
	v_dual_add_f32 v9, 0, v9 :: v_dual_fmac_f32 v11, v131, v146
	ds_load_b128 v[224:227], v5 offset:736
	ds_load_b128 v[232:235], v5 offset:752
	;; [unrolled: 1-line block ×4, first 2 shown]
	s_wait_loadcnt_dscnt 0x180e
	v_dual_add_f32 v9, v9, v11 :: v_dual_mul_f32 v11, v132, v149
	s_set_vgpr_msb 64                       ;  msbs: dst=1 src0=0 src1=0 src2=0
	ds_load_b128 v[0:3] /*v[256:259]*/, v5 offset:800
	ds_load_b128 v[8:11] /*v[264:267]*/, v5 offset:816
	;; [unrolled: 1-line block ×4, first 2 shown]
	s_set_vgpr_msb 0                        ;  msbs: dst=0 src0=0 src1=0 src2=0
	v_fmac_f32_e32 v11, v133, v148
	s_set_vgpr_msb 64                       ;  msbs: dst=1 src0=0 src1=0 src2=0
	ds_load_b128 v[16:19] /*v[272:275]*/, v5 offset:832
	ds_load_b128 v[24:27] /*v[280:283]*/, v5 offset:848
	;; [unrolled: 1-line block ×4, first 2 shown]
	s_set_vgpr_msb 0                        ;  msbs: dst=0 src0=0 src1=0 src2=0
	v_add_f32_e32 v9, v9, v11
	v_mul_f32_e32 v11, v134, v151
	s_set_vgpr_msb 64                       ;  msbs: dst=1 src0=0 src1=0 src2=0
	ds_load_b128 v[48:51] /*v[304:307]*/, v5 offset:896
	ds_load_b128 v[56:59] /*v[312:315]*/, v5 offset:912
	s_clause 0x3
	scratch_load_b128 v[80:83] /*v[336:339]*/, off, off offset:448
	scratch_load_b128 v[84:87] /*v[340:343]*/, off, off offset:464
	;; [unrolled: 1-line block ×3, first 2 shown]
	scratch_load_b64 v[98:99] /*v[354:355]*/, off, off offset:496
	s_set_vgpr_msb 0                        ;  msbs: dst=0 src0=0 src1=0 src2=0
	v_fmac_f32_e32 v11, v135, v150
	s_wait_loadcnt_dscnt 0x1b17
	s_delay_alu instid0(VALU_DEP_1)
	v_dual_add_f32 v9, v9, v11 :: v_dual_mul_f32 v11, v136, v153
	s_wait_loadcnt_dscnt 0x406
	s_set_vgpr_msb 0x45                     ;  msbs: dst=1 src0=1 src1=1 src2=0
	v_dual_mul_f32 v95 /*v351*/, v66 /*v322*/, v71 /*v327*/ :: v_dual_mul_f32 v97 /*v353*/, v72 /*v328*/, v77 /*v333*/
	s_set_vgpr_msb 0                        ;  msbs: dst=0 src0=0 src1=0 src2=0
	v_fmac_f32_e32 v11, v137, v152
	s_set_vgpr_msb 0x45                     ;  msbs: dst=1 src0=1 src1=1 src2=0
	s_delay_alu instid0(VALU_DEP_2) | instskip(SKIP_1) | instid1(VALU_DEP_2)
	v_dual_fmac_f32 v95 /*v351*/, v67 /*v323*/, v70 /*v326*/ :: v_dual_fmac_f32 v97 /*v353*/, v73 /*v329*/, v76 /*v332*/
	s_set_vgpr_msb 0                        ;  msbs: dst=0 src0=0 src1=0 src2=0
	v_add_f32_e32 v9, v9, v11
	v_mul_f32_e32 v11, v138, v155
	s_delay_alu instid0(VALU_DEP_1) | instskip(NEXT) | instid1(VALU_DEP_1)
	v_fmac_f32_e32 v11, v139, v154
	v_dual_add_f32 v9, v9, v11 :: v_dual_mul_f32 v11, v140, v157
	s_delay_alu instid0(VALU_DEP_1) | instskip(NEXT) | instid1(VALU_DEP_1)
	v_fmac_f32_e32 v11, v141, v156
	v_add_f32_e32 v9, v9, v11
	v_mul_f32_e32 v11, v142, v159
	s_delay_alu instid0(VALU_DEP_1) | instskip(NEXT) | instid1(VALU_DEP_1)
	v_fmac_f32_e32 v11, v143, v158
	v_dual_add_f32 v9, v9, v11 :: v_dual_mul_f32 v11, v160, v165
	s_delay_alu instid0(VALU_DEP_1) | instskip(NEXT) | instid1(VALU_DEP_1)
	v_fmac_f32_e32 v11, v161, v164
	;; [unrolled: 7-line block ×13, first 2 shown]
	v_add_f32_e32 v9, v9, v11
	v_mul_f32_e32 v11, v250, v255
	s_delay_alu instid0(VALU_DEP_1) | instskip(NEXT) | instid1(VALU_DEP_1)
	v_fmac_f32_e32 v11, v251, v254
	v_add_f32_e32 v9, v9, v11
	s_set_vgpr_msb 5                        ;  msbs: dst=0 src0=1 src1=1 src2=0
	v_mul_f32_e32 v11, v0 /*v256*/, v5 /*v261*/
	s_delay_alu instid0(VALU_DEP_1) | instskip(SKIP_1) | instid1(VALU_DEP_1)
	v_fmac_f32_e32 v11, v1 /*v257*/, v4 /*v260*/
	s_set_vgpr_msb 0                        ;  msbs: dst=0 src0=0 src1=0 src2=0
	v_add_f32_e32 v9, v9, v11
	s_set_vgpr_msb 5                        ;  msbs: dst=0 src0=1 src1=1 src2=0
	v_mul_f32_e32 v11, v2 /*v258*/, v7 /*v263*/
	s_delay_alu instid0(VALU_DEP_1) | instskip(SKIP_1) | instid1(VALU_DEP_1)
	v_fmac_f32_e32 v11, v3 /*v259*/, v6 /*v262*/
	s_set_vgpr_msb 0                        ;  msbs: dst=0 src0=0 src1=0 src2=0
	;; [unrolled: 6-line block ×4, first 2 shown]
	v_add_f32_e32 v9, v9, v11
	s_wait_dscnt 0x5
	s_set_vgpr_msb 5                        ;  msbs: dst=0 src0=1 src1=1 src2=0
	v_mul_f32_e32 v11, v16 /*v272*/, v21 /*v277*/
	s_delay_alu instid0(VALU_DEP_1) | instskip(SKIP_1) | instid1(VALU_DEP_1)
	v_fmac_f32_e32 v11, v17 /*v273*/, v20 /*v276*/
	s_set_vgpr_msb 0                        ;  msbs: dst=0 src0=0 src1=0 src2=0
	v_add_f32_e32 v9, v9, v11
	s_set_vgpr_msb 5                        ;  msbs: dst=0 src0=1 src1=1 src2=0
	v_mul_f32_e32 v11, v18 /*v274*/, v23 /*v279*/
	s_delay_alu instid0(VALU_DEP_1) | instskip(SKIP_1) | instid1(VALU_DEP_1)
	v_fmac_f32_e32 v11, v19 /*v275*/, v22 /*v278*/
	s_set_vgpr_msb 0                        ;  msbs: dst=0 src0=0 src1=0 src2=0
	v_add_f32_e32 v9, v9, v11
	s_wait_dscnt 0x4
	s_set_vgpr_msb 5                        ;  msbs: dst=0 src0=1 src1=1 src2=0
	v_mul_f32_e32 v11, v24 /*v280*/, v29 /*v285*/
	s_delay_alu instid0(VALU_DEP_1) | instskip(SKIP_1) | instid1(VALU_DEP_1)
	v_fmac_f32_e32 v11, v25 /*v281*/, v28 /*v284*/
	s_set_vgpr_msb 0                        ;  msbs: dst=0 src0=0 src1=0 src2=0
	v_add_f32_e32 v9, v9, v11
	s_set_vgpr_msb 5                        ;  msbs: dst=0 src0=1 src1=1 src2=0
	v_mul_f32_e32 v11, v26 /*v282*/, v31 /*v287*/
	s_delay_alu instid0(VALU_DEP_1) | instskip(SKIP_1) | instid1(VALU_DEP_1)
	v_fmac_f32_e32 v11, v27 /*v283*/, v30 /*v286*/
	s_set_vgpr_msb 0                        ;  msbs: dst=0 src0=0 src1=0 src2=0
	;; [unrolled: 13-line block ×6, first 2 shown]
	v_add_f32_e32 v9, v9, v11
	s_set_vgpr_msb 5                        ;  msbs: dst=0 src0=1 src1=1 src2=0
	v_mul_f32_e32 v11, v64 /*v320*/, v69 /*v325*/
	s_delay_alu instid0(VALU_DEP_1) | instskip(SKIP_1) | instid1(VALU_DEP_1)
	v_fmac_f32_e32 v11, v65 /*v321*/, v68 /*v324*/
	s_set_vgpr_msb 64                       ;  msbs: dst=1 src0=0 src1=0 src2=0
	v_add_f32_e32 v93 /*v349*/, v9, v11
	s_set_vgpr_msb 0                        ;  msbs: dst=0 src0=0 src1=0 src2=0
	v_dual_mul_f32 v9, v129, v145 :: v_dual_mul_f32 v11, v131, v147
	s_set_vgpr_msb 1                        ;  msbs: dst=0 src0=1 src1=0 src2=0
	v_mov_b32_e32 v145, v74 /*v330*/
	s_set_vgpr_msb 0                        ;  msbs: dst=0 src0=0 src1=0 src2=0
	s_delay_alu instid0(VALU_DEP_2) | instskip(SKIP_2) | instid1(VALU_DEP_2)
	v_dual_fma_f32 v9, v128, v144, -v9 :: v_dual_fma_f32 v11, v130, v146, -v11
	s_set_vgpr_msb 1                        ;  msbs: dst=0 src0=1 src1=0 src2=0
	v_dual_mov_b32 v144, v75 /*v331*/ :: v_dual_mov_b32 v146, v79 /*v335*/
	v_add_f32_e32 v9, 0, v9
	s_set_vgpr_msb 0                        ;  msbs: dst=0 src0=0 src1=0 src2=0
	s_delay_alu instid0(VALU_DEP_2) | instskip(NEXT) | instid1(VALU_DEP_2)
	v_pk_mul_f32 v[144:145], v[144:145], v[146:147] op_sel_hi:[1,0]
	v_add_f32_e32 v9, v9, v11
	v_mul_f32_e32 v11, v133, v149
	s_set_vgpr_msb 5                        ;  msbs: dst=0 src0=1 src1=1 src2=0
	s_delay_alu instid0(VALU_DEP_3) | instskip(SKIP_2) | instid1(VALU_DEP_1)
	v_pk_fma_f32 v[146:147], v[74:75] /*v[330:331]*/, v[78:79] /*v[334:335]*/, v[144:145] neg_lo:[0,0,1] neg_hi:[0,0,1]
	v_pk_fma_f32 v[144:145], v[74:75] /*v[330:331]*/, v[78:79] /*v[334:335]*/, v[144:145] op_sel_hi:[1,0,1]
	s_set_vgpr_msb 0                        ;  msbs: dst=0 src0=0 src1=0 src2=0
	v_dual_fma_f32 v11, v132, v148, -v11 :: v_dual_mov_b32 v147, v145
	s_delay_alu instid0(VALU_DEP_1) | instskip(SKIP_1) | instid1(VALU_DEP_1)
	v_add_f32_e32 v9, v9, v11
	v_mul_f32_e32 v11, v135, v151
	v_fma_f32 v11, v134, v150, -v11
	s_delay_alu instid0(VALU_DEP_1) | instskip(SKIP_1) | instid1(VALU_DEP_1)
	v_add_f32_e32 v9, v9, v11
	v_mul_f32_e32 v11, v137, v153
	v_fma_f32 v11, v136, v152, -v11
	;; [unrolled: 4-line block ×4, first 2 shown]
	ds_load_b128 v[128:131], v5 offset:960
	ds_load_b128 v[132:135], v5 offset:976
	;; [unrolled: 1-line block ×3, first 2 shown]
	ds_load_b64 v[140:141], v5 offset:1008
	v_add_f32_e32 v9, v9, v11
	v_mul_f32_e32 v11, v143, v159
	s_delay_alu instid0(VALU_DEP_1) | instskip(NEXT) | instid1(VALU_DEP_1)
	v_fma_f32 v11, v142, v158, -v11
	v_add_f32_e32 v9, v9, v11
	v_mul_f32_e32 v11, v161, v165
	s_wait_loadcnt_dscnt 0x303
	s_set_vgpr_msb 4                        ;  msbs: dst=0 src0=0 src1=1 src2=0
	v_pk_mul_f32 v[144:145], v[128:129], v[80:81] /*v[336:337]*/ op_sel:[1,1] op_sel_hi:[0,1]
	s_set_vgpr_msb 0                        ;  msbs: dst=0 src0=0 src1=0 src2=0
	v_fma_f32 v11, v160, v164, -v11
	s_delay_alu instid0(VALU_DEP_1) | instskip(SKIP_1) | instid1(VALU_DEP_1)
	v_add_f32_e32 v9, v9, v11
	v_mul_f32_e32 v11, v163, v167
	v_fma_f32 v11, v162, v166, -v11
	s_delay_alu instid0(VALU_DEP_1) | instskip(SKIP_1) | instid1(VALU_DEP_1)
	v_add_f32_e32 v9, v9, v11
	v_mul_f32_e32 v11, v169, v173
	;; [unrolled: 4-line block ×23, first 2 shown]
	v_fma_f32 v11, v250, v254, -v11
	s_delay_alu instid0(VALU_DEP_1) | instskip(SKIP_2) | instid1(VALU_DEP_1)
	v_add_f32_e32 v9, v9, v11
	s_set_vgpr_msb 5                        ;  msbs: dst=0 src0=1 src1=1 src2=0
	v_mul_f32_e32 v11, v1 /*v257*/, v5 /*v261*/
	v_fma_f32 v11, v0 /*v256*/, v4 /*v260*/, -v11
	s_set_vgpr_msb 0                        ;  msbs: dst=0 src0=0 src1=0 src2=0
	s_delay_alu instid0(VALU_DEP_1) | instskip(SKIP_2) | instid1(VALU_DEP_1)
	v_add_f32_e32 v9, v9, v11
	s_set_vgpr_msb 5                        ;  msbs: dst=0 src0=1 src1=1 src2=0
	v_mul_f32_e32 v11, v3 /*v259*/, v7 /*v263*/
	v_fma_f32 v11, v2 /*v258*/, v6 /*v262*/, -v11
	s_set_vgpr_msb 0                        ;  msbs: dst=0 src0=0 src1=0 src2=0
	;; [unrolled: 6-line block ×16, first 2 shown]
	s_delay_alu instid0(VALU_DEP_1) | instskip(SKIP_2) | instid1(VALU_DEP_1)
	v_add_f32_e32 v9, v9, v11
	s_set_vgpr_msb 5                        ;  msbs: dst=0 src0=1 src1=1 src2=0
	v_mul_f32_e32 v11, v65 /*v321*/, v69 /*v325*/
	v_fma_f32 v11, v64 /*v320*/, v68 /*v324*/, -v11
	s_set_vgpr_msb 64                       ;  msbs: dst=1 src0=0 src1=0 src2=0
	s_delay_alu instid0(VALU_DEP_1) | instskip(SKIP_3) | instid1(VALU_DEP_1)
	v_add_f32_e32 v92 /*v348*/, v9, v11
	s_set_vgpr_msb 5                        ;  msbs: dst=0 src0=1 src1=1 src2=0
	v_mul_f32_e32 v9, v67 /*v323*/, v71 /*v327*/
	s_set_vgpr_msb 0x45                     ;  msbs: dst=1 src0=1 src1=1 src2=0
	v_fma_f32 v94 /*v350*/, v66 /*v322*/, v70 /*v326*/, -v9
	s_set_vgpr_msb 5                        ;  msbs: dst=0 src0=1 src1=1 src2=0
	v_mul_f32_e32 v9, v73 /*v329*/, v77 /*v333*/
	s_set_vgpr_msb 0x45                     ;  msbs: dst=1 src0=1 src1=1 src2=0
	s_delay_alu instid0(VALU_DEP_1) | instskip(SKIP_3) | instid1(VALU_DEP_1)
	v_fma_f32 v96 /*v352*/, v72 /*v328*/, v76 /*v332*/, -v9
	s_set_vgpr_msb 5                        ;  msbs: dst=0 src0=1 src1=1 src2=0
	v_pk_add_f32 v[142:143], v[92:93] /*v[348:349]*/, v[94:95] /*v[350:351]*/
	s_set_vgpr_msb 4                        ;  msbs: dst=0 src0=0 src1=1 src2=0
	v_pk_add_f32 v[142:143], v[142:143], v[96:97] /*v[352:353]*/
	s_set_vgpr_msb 0                        ;  msbs: dst=0 src0=0 src1=0 src2=0
	s_delay_alu instid0(VALU_DEP_1)
	v_pk_add_f32 v[142:143], v[142:143], v[146:147]
	s_set_vgpr_msb 4                        ;  msbs: dst=0 src0=0 src1=1 src2=0
	v_pk_fma_f32 v[146:147], v[128:129], v[80:81] /*v[336:337]*/, v[144:145] neg_lo:[0,0,1] neg_hi:[0,0,1]
	v_pk_fma_f32 v[128:129], v[128:129], v[80:81] /*v[336:337]*/, v[144:145] op_sel_hi:[1,0,1]
	s_set_vgpr_msb 1                        ;  msbs: dst=0 src0=1 src1=0 src2=0
	v_mov_b32_e32 v144, v83 /*v339*/
	s_set_vgpr_msb 0                        ;  msbs: dst=0 src0=0 src1=0 src2=0
	s_delay_alu instid0(VALU_DEP_2) | instskip(NEXT) | instid1(VALU_DEP_1)
	v_mov_b32_e32 v147, v129
	v_pk_add_f32 v[128:129], v[142:143], v[146:147]
	v_dual_mov_b32 v142, v131 :: v_dual_mov_b32 v143, v130
	s_delay_alu instid0(VALU_DEP_1) | instskip(SKIP_1) | instid1(VALU_DEP_1)
	v_pk_mul_f32 v[142:143], v[142:143], v[144:145] op_sel_hi:[1,0]
	s_set_vgpr_msb 4                        ;  msbs: dst=0 src0=0 src1=1 src2=0
	v_pk_fma_f32 v[144:145], v[130:131], v[82:83] /*v[338:339]*/, v[142:143] neg_lo:[0,0,1] neg_hi:[0,0,1]
	v_pk_fma_f32 v[130:131], v[130:131], v[82:83] /*v[338:339]*/, v[142:143] op_sel_hi:[1,0,1]
	s_delay_alu instid0(VALU_DEP_1) | instskip(SKIP_3) | instid1(VALU_DEP_2)
	v_mov_b32_e32 v145, v131
	s_wait_loadcnt_dscnt 0x202
	v_pk_mul_f32 v[130:131], v[132:133], v[84:85] /*v[340:341]*/ op_sel:[1,1] op_sel_hi:[0,1]
	s_set_vgpr_msb 0                        ;  msbs: dst=0 src0=0 src1=0 src2=0
	v_pk_add_f32 v[128:129], v[128:129], v[144:145]
	s_set_vgpr_msb 4                        ;  msbs: dst=0 src0=0 src1=1 src2=0
	s_delay_alu instid0(VALU_DEP_2)
	v_pk_fma_f32 v[142:143], v[132:133], v[84:85] /*v[340:341]*/, v[130:131] neg_lo:[0,0,1] neg_hi:[0,0,1]
	v_pk_fma_f32 v[130:131], v[132:133], v[84:85] /*v[340:341]*/, v[130:131] op_sel_hi:[1,0,1]
	v_mov_b32_e32 v130, v135
	s_set_vgpr_msb 1                        ;  msbs: dst=0 src0=1 src1=0 src2=0
	v_mov_b32_e32 v132, v87 /*v343*/
	s_set_vgpr_msb 0                        ;  msbs: dst=0 src0=0 src1=0 src2=0
	v_dual_mov_b32 v143, v131 :: v_dual_mov_b32 v131, v134
	s_delay_alu instid0(VALU_DEP_1) | instskip(NEXT) | instid1(VALU_DEP_2)
	v_pk_add_f32 v[128:129], v[128:129], v[142:143]
	v_pk_mul_f32 v[130:131], v[130:131], v[132:133] op_sel_hi:[1,0]
	s_set_vgpr_msb 4                        ;  msbs: dst=0 src0=0 src1=1 src2=0
	s_delay_alu instid0(VALU_DEP_1) | instskip(SKIP_1) | instid1(VALU_DEP_1)
	v_pk_fma_f32 v[132:133], v[134:135], v[86:87] /*v[342:343]*/, v[130:131] neg_lo:[0,0,1] neg_hi:[0,0,1]
	v_pk_fma_f32 v[130:131], v[134:135], v[86:87] /*v[342:343]*/, v[130:131] op_sel_hi:[1,0,1]
	v_mov_b32_e32 v133, v131
	s_wait_loadcnt_dscnt 0x101
	v_pk_mul_f32 v[130:131], v[136:137], v[88:89] /*v[344:345]*/ op_sel:[1,1] op_sel_hi:[0,1]
	s_set_vgpr_msb 0                        ;  msbs: dst=0 src0=0 src1=0 src2=0
	s_delay_alu instid0(VALU_DEP_2) | instskip(SKIP_1) | instid1(VALU_DEP_2)
	v_pk_add_f32 v[128:129], v[128:129], v[132:133]
	s_set_vgpr_msb 4                        ;  msbs: dst=0 src0=0 src1=1 src2=0
	v_pk_fma_f32 v[132:133], v[136:137], v[88:89] /*v[344:345]*/, v[130:131] neg_lo:[0,0,1] neg_hi:[0,0,1]
	v_pk_fma_f32 v[130:131], v[136:137], v[88:89] /*v[344:345]*/, v[130:131] op_sel_hi:[1,0,1]
	s_delay_alu instid0(VALU_DEP_1) | instskip(SKIP_2) | instid1(VALU_DEP_2)
	v_dual_mov_b32 v130, v139 :: v_dual_mov_b32 v133, v131
	v_mov_b32_e32 v131, v138
	s_set_vgpr_msb 0                        ;  msbs: dst=0 src0=0 src1=0 src2=0
	v_pk_add_f32 v[128:129], v[128:129], v[132:133]
	s_set_vgpr_msb 1                        ;  msbs: dst=0 src0=1 src1=0 src2=0
	v_mov_b32_e32 v132, v91 /*v347*/
	s_set_vgpr_msb 0                        ;  msbs: dst=0 src0=0 src1=0 src2=0
	s_delay_alu instid0(VALU_DEP_1) | instskip(SKIP_1) | instid1(VALU_DEP_1)
	v_pk_mul_f32 v[130:131], v[130:131], v[132:133] op_sel_hi:[1,0]
	s_set_vgpr_msb 4                        ;  msbs: dst=0 src0=0 src1=1 src2=0
	v_pk_fma_f32 v[132:133], v[138:139], v[90:91] /*v[346:347]*/, v[130:131] neg_lo:[0,0,1] neg_hi:[0,0,1]
	v_pk_fma_f32 v[130:131], v[138:139], v[90:91] /*v[346:347]*/, v[130:131] op_sel_hi:[1,0,1]
	s_delay_alu instid0(VALU_DEP_1) | instskip(SKIP_3) | instid1(VALU_DEP_2)
	v_mov_b32_e32 v133, v131
	s_wait_loadcnt_dscnt 0x0
	v_pk_mul_f32 v[130:131], v[140:141], v[98:99] /*v[354:355]*/ op_sel:[1,1] op_sel_hi:[0,1]
	s_set_vgpr_msb 0                        ;  msbs: dst=0 src0=0 src1=0 src2=0
	v_pk_add_f32 v[128:129], v[128:129], v[132:133]
	s_set_vgpr_msb 4                        ;  msbs: dst=0 src0=0 src1=1 src2=0
	s_delay_alu instid0(VALU_DEP_2) | instskip(SKIP_1) | instid1(VALU_DEP_1)
	v_pk_fma_f32 v[132:133], v[140:141], v[98:99] /*v[354:355]*/, v[130:131] neg_lo:[0,0,1] neg_hi:[0,0,1]
	v_pk_fma_f32 v[130:131], v[140:141], v[98:99] /*v[354:355]*/, v[130:131] op_sel_hi:[1,0,1]
	v_mov_b32_e32 v133, v131
	scratch_load_b64 v[130:131], off, off offset:24
	s_set_vgpr_msb 0                        ;  msbs: dst=0 src0=0 src1=0 src2=0
	v_pk_add_f32 v[128:129], v[128:129], v[132:133]
	s_wait_loadcnt 0x0
	s_delay_alu instid0(VALU_DEP_1)
	v_pk_add_f32 v[128:129], v[130:131], v[128:129] neg_lo:[0,1] neg_hi:[0,1]
	scratch_store_b64 off, v[128:129], off offset:24
	s_wait_xcnt 0x0
	v_cmpx_lt_u32_e32 2, v0
	s_cbranch_execz .LBB62_387
; %bb.386:
	scratch_load_b64 v[128:129], off, off offset:16
	v_mov_b64_e32 v[130:131], 0
	scratch_store_b64 off, v[130:131], off offset:16
	s_wait_loadcnt 0x0
	ds_store_b64 v1, v[128:129]
.LBB62_387:
	s_wait_xcnt 0x0
	s_or_b32 exec_lo, exec_lo, s0
	s_wait_storecnt_dscnt 0x0
	s_barrier_signal -1
	s_barrier_wait -1
	s_clause 0xf
	scratch_load_b128 v[132:135], off, off offset:24
	scratch_load_b128 v[140:143], off, off offset:40
	;; [unrolled: 1-line block ×16, first 2 shown]
	ds_load_2addr_b64 v[128:131], v5 offset0:67 offset1:68
	ds_load_2addr_b64 v[136:139], v5 offset0:69 offset1:70
	s_set_vgpr_msb 64                       ;  msbs: dst=1 src0=0 src1=0 src2=0
	s_clause 0x1
	scratch_load_b128 v[4:7] /*v[260:263]*/, off, off offset:280
	scratch_load_b128 v[12:15] /*v[268:271]*/, off, off offset:296
	s_set_vgpr_msb 0                        ;  msbs: dst=0 src0=0 src1=0 src2=0
	ds_load_2addr_b64 v[144:147], v5 offset0:71 offset1:72
	ds_load_2addr_b64 v[152:155], v5 offset0:73 offset1:74
	s_set_vgpr_msb 64                       ;  msbs: dst=1 src0=0 src1=0 src2=0
	s_clause 0x1
	scratch_load_b128 v[20:23] /*v[276:279]*/, off, off offset:312
	scratch_load_b128 v[28:31] /*v[284:287]*/, off, off offset:328
	s_set_vgpr_msb 0                        ;  msbs: dst=0 src0=0 src1=0 src2=0
	;; [unrolled: 7-line block ×5, first 2 shown]
	ds_load_2addr_b64 v[208:211], v5 offset0:87 offset1:88
	ds_load_2addr_b64 v[216:219], v5 offset0:89 offset1:90
	;; [unrolled: 1-line block ×6, first 2 shown]
	s_set_vgpr_msb 64                       ;  msbs: dst=1 src0=0 src1=0 src2=0
	ds_load_2addr_b64 v[0:3] /*v[256:259]*/, v5 offset0:99 offset1:100
	ds_load_2addr_b64 v[8:11] /*v[264:267]*/, v5 offset0:101 offset1:102
	;; [unrolled: 1-line block ×10, first 2 shown]
	s_clause 0x3
	scratch_load_b128 v[80:83] /*v[336:339]*/, off, off offset:440
	scratch_load_b128 v[84:87] /*v[340:343]*/, off, off offset:456
	;; [unrolled: 1-line block ×4, first 2 shown]
	s_mov_b32 s0, exec_lo
	s_wait_loadcnt_dscnt 0x1d19
	s_set_vgpr_msb 0                        ;  msbs: dst=0 src0=0 src1=0 src2=0
	v_dual_mul_f32 v9, v128, v133 :: v_dual_mul_f32 v11, v130, v135
	s_delay_alu instid0(VALU_DEP_1) | instskip(NEXT) | instid1(VALU_DEP_1)
	v_dual_fmac_f32 v9, v129, v132 :: v_dual_fmac_f32 v11, v131, v134
	v_add_f32_e32 v9, 0, v9
	s_wait_loadcnt_dscnt 0x1c18
	s_delay_alu instid0(VALU_DEP_1) | instskip(NEXT) | instid1(VALU_DEP_1)
	v_dual_add_f32 v9, v9, v11 :: v_dual_mul_f32 v11, v136, v141
	v_fmac_f32_e32 v11, v137, v140
	s_delay_alu instid0(VALU_DEP_1) | instskip(SKIP_1) | instid1(VALU_DEP_1)
	v_add_f32_e32 v9, v9, v11
	v_mul_f32_e32 v11, v138, v143
	v_fmac_f32_e32 v11, v139, v142
	s_wait_loadcnt_dscnt 0x406
	s_set_vgpr_msb 0x45                     ;  msbs: dst=1 src0=1 src1=1 src2=0
	v_dual_mul_f32 v99 /*v355*/, v72 /*v328*/, v77 /*v333*/ :: v_dual_mul_f32 v101 /*v357*/, v74 /*v330*/, v79 /*v335*/
	s_set_vgpr_msb 0                        ;  msbs: dst=0 src0=0 src1=0 src2=0
	v_dual_add_f32 v9, v9, v11 :: v_dual_mul_f32 v11, v144, v149
	s_set_vgpr_msb 0x45                     ;  msbs: dst=1 src0=1 src1=1 src2=0
	s_delay_alu instid0(VALU_DEP_2) | instskip(SKIP_1) | instid1(VALU_DEP_2)
	v_dual_fmac_f32 v99 /*v355*/, v73 /*v329*/, v76 /*v332*/ :: v_dual_fmac_f32 v101 /*v357*/, v75 /*v331*/, v78 /*v334*/
	s_set_vgpr_msb 0                        ;  msbs: dst=0 src0=0 src1=0 src2=0
	v_fmac_f32_e32 v11, v145, v148
	s_delay_alu instid0(VALU_DEP_1) | instskip(SKIP_1) | instid1(VALU_DEP_1)
	v_add_f32_e32 v9, v9, v11
	v_mul_f32_e32 v11, v146, v151
	v_fmac_f32_e32 v11, v147, v150
	s_delay_alu instid0(VALU_DEP_1) | instskip(NEXT) | instid1(VALU_DEP_1)
	v_dual_add_f32 v9, v9, v11 :: v_dual_mul_f32 v11, v152, v157
	v_fmac_f32_e32 v11, v153, v156
	s_delay_alu instid0(VALU_DEP_1) | instskip(SKIP_1) | instid1(VALU_DEP_1)
	v_add_f32_e32 v9, v9, v11
	v_mul_f32_e32 v11, v154, v159
	v_fmac_f32_e32 v11, v155, v158
	s_delay_alu instid0(VALU_DEP_1) | instskip(NEXT) | instid1(VALU_DEP_1)
	v_dual_add_f32 v9, v9, v11 :: v_dual_mul_f32 v11, v160, v165
	v_fmac_f32_e32 v11, v161, v164
	s_delay_alu instid0(VALU_DEP_1) | instskip(SKIP_1) | instid1(VALU_DEP_1)
	v_add_f32_e32 v9, v9, v11
	v_mul_f32_e32 v11, v162, v167
	v_fmac_f32_e32 v11, v163, v166
	s_delay_alu instid0(VALU_DEP_1) | instskip(NEXT) | instid1(VALU_DEP_1)
	v_dual_add_f32 v9, v9, v11 :: v_dual_mul_f32 v11, v168, v173
	v_fmac_f32_e32 v11, v169, v172
	s_delay_alu instid0(VALU_DEP_1) | instskip(SKIP_1) | instid1(VALU_DEP_1)
	v_add_f32_e32 v9, v9, v11
	v_mul_f32_e32 v11, v170, v175
	v_fmac_f32_e32 v11, v171, v174
	s_delay_alu instid0(VALU_DEP_1) | instskip(NEXT) | instid1(VALU_DEP_1)
	v_dual_add_f32 v9, v9, v11 :: v_dual_mul_f32 v11, v176, v181
	v_fmac_f32_e32 v11, v177, v180
	s_delay_alu instid0(VALU_DEP_1) | instskip(SKIP_1) | instid1(VALU_DEP_1)
	v_add_f32_e32 v9, v9, v11
	v_mul_f32_e32 v11, v178, v183
	v_fmac_f32_e32 v11, v179, v182
	s_delay_alu instid0(VALU_DEP_1) | instskip(NEXT) | instid1(VALU_DEP_1)
	v_dual_add_f32 v9, v9, v11 :: v_dual_mul_f32 v11, v184, v189
	v_fmac_f32_e32 v11, v185, v188
	s_delay_alu instid0(VALU_DEP_1) | instskip(SKIP_1) | instid1(VALU_DEP_1)
	v_add_f32_e32 v9, v9, v11
	v_mul_f32_e32 v11, v186, v191
	v_fmac_f32_e32 v11, v187, v190
	s_delay_alu instid0(VALU_DEP_1) | instskip(NEXT) | instid1(VALU_DEP_1)
	v_dual_add_f32 v9, v9, v11 :: v_dual_mul_f32 v11, v192, v197
	v_fmac_f32_e32 v11, v193, v196
	s_delay_alu instid0(VALU_DEP_1) | instskip(SKIP_1) | instid1(VALU_DEP_1)
	v_add_f32_e32 v9, v9, v11
	v_mul_f32_e32 v11, v194, v199
	v_fmac_f32_e32 v11, v195, v198
	s_delay_alu instid0(VALU_DEP_1) | instskip(NEXT) | instid1(VALU_DEP_1)
	v_dual_add_f32 v9, v9, v11 :: v_dual_mul_f32 v11, v200, v205
	v_fmac_f32_e32 v11, v201, v204
	s_delay_alu instid0(VALU_DEP_1) | instskip(SKIP_1) | instid1(VALU_DEP_1)
	v_add_f32_e32 v9, v9, v11
	v_mul_f32_e32 v11, v202, v207
	v_fmac_f32_e32 v11, v203, v206
	s_delay_alu instid0(VALU_DEP_1) | instskip(NEXT) | instid1(VALU_DEP_1)
	v_dual_add_f32 v9, v9, v11 :: v_dual_mul_f32 v11, v208, v213
	v_fmac_f32_e32 v11, v209, v212
	s_delay_alu instid0(VALU_DEP_1) | instskip(SKIP_1) | instid1(VALU_DEP_1)
	v_add_f32_e32 v9, v9, v11
	v_mul_f32_e32 v11, v210, v215
	v_fmac_f32_e32 v11, v211, v214
	s_delay_alu instid0(VALU_DEP_1) | instskip(NEXT) | instid1(VALU_DEP_1)
	v_dual_add_f32 v9, v9, v11 :: v_dual_mul_f32 v11, v216, v221
	v_fmac_f32_e32 v11, v217, v220
	s_delay_alu instid0(VALU_DEP_1) | instskip(SKIP_1) | instid1(VALU_DEP_1)
	v_add_f32_e32 v9, v9, v11
	v_mul_f32_e32 v11, v218, v223
	v_fmac_f32_e32 v11, v219, v222
	s_delay_alu instid0(VALU_DEP_1) | instskip(NEXT) | instid1(VALU_DEP_1)
	v_dual_add_f32 v9, v9, v11 :: v_dual_mul_f32 v11, v224, v229
	v_fmac_f32_e32 v11, v225, v228
	s_delay_alu instid0(VALU_DEP_1) | instskip(SKIP_1) | instid1(VALU_DEP_1)
	v_add_f32_e32 v9, v9, v11
	v_mul_f32_e32 v11, v226, v231
	v_fmac_f32_e32 v11, v227, v230
	s_delay_alu instid0(VALU_DEP_1) | instskip(NEXT) | instid1(VALU_DEP_1)
	v_dual_add_f32 v9, v9, v11 :: v_dual_mul_f32 v11, v232, v237
	v_fmac_f32_e32 v11, v233, v236
	s_delay_alu instid0(VALU_DEP_1) | instskip(SKIP_1) | instid1(VALU_DEP_1)
	v_add_f32_e32 v9, v9, v11
	v_mul_f32_e32 v11, v234, v239
	v_fmac_f32_e32 v11, v235, v238
	s_delay_alu instid0(VALU_DEP_1) | instskip(NEXT) | instid1(VALU_DEP_1)
	v_dual_add_f32 v9, v9, v11 :: v_dual_mul_f32 v11, v240, v245
	v_fmac_f32_e32 v11, v241, v244
	s_delay_alu instid0(VALU_DEP_1) | instskip(SKIP_1) | instid1(VALU_DEP_1)
	v_add_f32_e32 v9, v9, v11
	v_mul_f32_e32 v11, v242, v247
	v_fmac_f32_e32 v11, v243, v246
	s_delay_alu instid0(VALU_DEP_1) | instskip(NEXT) | instid1(VALU_DEP_1)
	v_dual_add_f32 v9, v9, v11 :: v_dual_mul_f32 v11, v248, v253
	v_fmac_f32_e32 v11, v249, v252
	s_delay_alu instid0(VALU_DEP_1) | instskip(SKIP_1) | instid1(VALU_DEP_1)
	v_add_f32_e32 v9, v9, v11
	v_mul_f32_e32 v11, v250, v255
	v_fmac_f32_e32 v11, v251, v254
	s_delay_alu instid0(VALU_DEP_1) | instskip(SKIP_2) | instid1(VALU_DEP_1)
	v_add_f32_e32 v9, v9, v11
	s_set_vgpr_msb 5                        ;  msbs: dst=0 src0=1 src1=1 src2=0
	v_mul_f32_e32 v11, v0 /*v256*/, v5 /*v261*/
	v_fmac_f32_e32 v11, v1 /*v257*/, v4 /*v260*/
	s_set_vgpr_msb 0                        ;  msbs: dst=0 src0=0 src1=0 src2=0
	s_delay_alu instid0(VALU_DEP_1) | instskip(SKIP_2) | instid1(VALU_DEP_1)
	v_add_f32_e32 v9, v9, v11
	s_set_vgpr_msb 5                        ;  msbs: dst=0 src0=1 src1=1 src2=0
	v_mul_f32_e32 v11, v2 /*v258*/, v7 /*v263*/
	v_fmac_f32_e32 v11, v3 /*v259*/, v6 /*v262*/
	s_set_vgpr_msb 0                        ;  msbs: dst=0 src0=0 src1=0 src2=0
	;; [unrolled: 6-line block ×4, first 2 shown]
	s_delay_alu instid0(VALU_DEP_1) | instskip(SKIP_3) | instid1(VALU_DEP_1)
	v_add_f32_e32 v9, v9, v11
	s_wait_dscnt 0x5
	s_set_vgpr_msb 5                        ;  msbs: dst=0 src0=1 src1=1 src2=0
	v_mul_f32_e32 v11, v16 /*v272*/, v21 /*v277*/
	v_fmac_f32_e32 v11, v17 /*v273*/, v20 /*v276*/
	s_set_vgpr_msb 0                        ;  msbs: dst=0 src0=0 src1=0 src2=0
	s_delay_alu instid0(VALU_DEP_1) | instskip(SKIP_2) | instid1(VALU_DEP_1)
	v_add_f32_e32 v9, v9, v11
	s_set_vgpr_msb 5                        ;  msbs: dst=0 src0=1 src1=1 src2=0
	v_mul_f32_e32 v11, v18 /*v274*/, v23 /*v279*/
	v_fmac_f32_e32 v11, v19 /*v275*/, v22 /*v278*/
	s_set_vgpr_msb 0                        ;  msbs: dst=0 src0=0 src1=0 src2=0
	s_delay_alu instid0(VALU_DEP_1) | instskip(SKIP_3) | instid1(VALU_DEP_1)
	v_add_f32_e32 v9, v9, v11
	s_wait_dscnt 0x4
	s_set_vgpr_msb 5                        ;  msbs: dst=0 src0=1 src1=1 src2=0
	v_mul_f32_e32 v11, v24 /*v280*/, v29 /*v285*/
	v_fmac_f32_e32 v11, v25 /*v281*/, v28 /*v284*/
	s_set_vgpr_msb 0                        ;  msbs: dst=0 src0=0 src1=0 src2=0
	s_delay_alu instid0(VALU_DEP_1) | instskip(SKIP_2) | instid1(VALU_DEP_1)
	v_add_f32_e32 v9, v9, v11
	s_set_vgpr_msb 5                        ;  msbs: dst=0 src0=1 src1=1 src2=0
	v_mul_f32_e32 v11, v26 /*v282*/, v31 /*v287*/
	v_fmac_f32_e32 v11, v27 /*v283*/, v30 /*v286*/
	s_set_vgpr_msb 0                        ;  msbs: dst=0 src0=0 src1=0 src2=0
	;; [unrolled: 13-line block ×6, first 2 shown]
	s_delay_alu instid0(VALU_DEP_1) | instskip(SKIP_2) | instid1(VALU_DEP_1)
	v_add_f32_e32 v9, v9, v11
	s_set_vgpr_msb 5                        ;  msbs: dst=0 src0=1 src1=1 src2=0
	v_mul_f32_e32 v11, v64 /*v320*/, v69 /*v325*/
	v_fmac_f32_e32 v11, v65 /*v321*/, v68 /*v324*/
	s_set_vgpr_msb 0                        ;  msbs: dst=0 src0=0 src1=0 src2=0
	s_delay_alu instid0(VALU_DEP_1) | instskip(SKIP_2) | instid1(VALU_DEP_1)
	v_add_f32_e32 v9, v9, v11
	s_set_vgpr_msb 5                        ;  msbs: dst=0 src0=1 src1=1 src2=0
	v_mul_f32_e32 v11, v66 /*v322*/, v71 /*v327*/
	v_fmac_f32_e32 v11, v67 /*v323*/, v70 /*v326*/
	s_set_vgpr_msb 64                       ;  msbs: dst=1 src0=0 src1=0 src2=0
	s_delay_alu instid0(VALU_DEP_1) | instskip(SKIP_2) | instid1(VALU_DEP_1)
	v_add_f32_e32 v97 /*v353*/, v9, v11
	s_set_vgpr_msb 0                        ;  msbs: dst=0 src0=0 src1=0 src2=0
	v_dual_mul_f32 v9, v129, v133 :: v_dual_mul_f32 v11, v131, v135
	v_dual_fma_f32 v9, v128, v132, -v9 :: v_dual_fma_f32 v11, v130, v134, -v11
	s_delay_alu instid0(VALU_DEP_1) | instskip(NEXT) | instid1(VALU_DEP_1)
	v_add_f32_e32 v9, 0, v9
	v_add_f32_e32 v9, v9, v11
	v_mul_f32_e32 v11, v137, v141
	s_delay_alu instid0(VALU_DEP_1) | instskip(NEXT) | instid1(VALU_DEP_1)
	v_fma_f32 v11, v136, v140, -v11
	v_add_f32_e32 v9, v9, v11
	v_mul_f32_e32 v11, v139, v143
	s_delay_alu instid0(VALU_DEP_1)
	v_fma_f32 v11, v138, v142, -v11
	ds_load_2addr_b64 v[128:131], v5 offset0:119 offset1:120
	ds_load_2addr_b64 v[132:135], v5 offset0:121 offset1:122
	;; [unrolled: 1-line block ×4, first 2 shown]
	v_add_f32_e32 v9, v9, v11
	v_mul_f32_e32 v11, v145, v149
	s_delay_alu instid0(VALU_DEP_1) | instskip(NEXT) | instid1(VALU_DEP_1)
	v_fma_f32 v11, v144, v148, -v11
	v_add_f32_e32 v9, v9, v11
	v_mul_f32_e32 v11, v147, v151
	s_delay_alu instid0(VALU_DEP_1)
	v_fma_f32 v11, v146, v150, -v11
	s_wait_loadcnt_dscnt 0x303
	s_set_vgpr_msb 4                        ;  msbs: dst=0 src0=0 src1=1 src2=0
	v_pk_mul_f32 v[146:147], v[128:129], v[80:81] /*v[336:337]*/ op_sel:[1,1] op_sel_hi:[0,1]
	s_set_vgpr_msb 0                        ;  msbs: dst=0 src0=0 src1=0 src2=0
	v_add_f32_e32 v9, v9, v11
	v_mul_f32_e32 v11, v153, v157
	s_set_vgpr_msb 4                        ;  msbs: dst=0 src0=0 src1=1 src2=0
	v_pk_fma_f32 v[148:149], v[128:129], v[80:81] /*v[336:337]*/, v[146:147] neg_lo:[0,0,1] neg_hi:[0,0,1]
	v_pk_fma_f32 v[128:129], v[128:129], v[80:81] /*v[336:337]*/, v[146:147] op_sel_hi:[1,0,1]
	s_set_vgpr_msb 1                        ;  msbs: dst=0 src0=1 src1=0 src2=0
	v_mov_b32_e32 v146, v83 /*v339*/
	s_set_vgpr_msb 0                        ;  msbs: dst=0 src0=0 src1=0 src2=0
	s_delay_alu instid0(VALU_DEP_2) | instskip(NEXT) | instid1(VALU_DEP_1)
	v_dual_fma_f32 v11, v152, v156, -v11 :: v_dual_mov_b32 v149, v129
	v_add_f32_e32 v9, v9, v11
	v_mul_f32_e32 v11, v155, v159
	s_delay_alu instid0(VALU_DEP_1) | instskip(NEXT) | instid1(VALU_DEP_1)
	v_fma_f32 v11, v154, v158, -v11
	v_add_f32_e32 v9, v9, v11
	v_mul_f32_e32 v11, v161, v165
	s_delay_alu instid0(VALU_DEP_1) | instskip(NEXT) | instid1(VALU_DEP_1)
	v_fma_f32 v11, v160, v164, -v11
	;; [unrolled: 4-line block ×25, first 2 shown]
	v_add_f32_e32 v9, v9, v11
	s_set_vgpr_msb 5                        ;  msbs: dst=0 src0=1 src1=1 src2=0
	v_mul_f32_e32 v11, v1 /*v257*/, v5 /*v261*/
	s_delay_alu instid0(VALU_DEP_1) | instskip(SKIP_1) | instid1(VALU_DEP_1)
	v_fma_f32 v11, v0 /*v256*/, v4 /*v260*/, -v11
	s_set_vgpr_msb 0                        ;  msbs: dst=0 src0=0 src1=0 src2=0
	v_add_f32_e32 v9, v9, v11
	s_set_vgpr_msb 5                        ;  msbs: dst=0 src0=1 src1=1 src2=0
	v_mul_f32_e32 v11, v3 /*v259*/, v7 /*v263*/
	s_delay_alu instid0(VALU_DEP_1) | instskip(SKIP_1) | instid1(VALU_DEP_1)
	v_fma_f32 v11, v2 /*v258*/, v6 /*v262*/, -v11
	s_set_vgpr_msb 0                        ;  msbs: dst=0 src0=0 src1=0 src2=0
	;; [unrolled: 6-line block ×17, first 2 shown]
	v_add_f32_e32 v9, v9, v11
	s_set_vgpr_msb 5                        ;  msbs: dst=0 src0=1 src1=1 src2=0
	v_mul_f32_e32 v11, v67 /*v323*/, v71 /*v327*/
	s_delay_alu instid0(VALU_DEP_1) | instskip(SKIP_1) | instid1(VALU_DEP_1)
	v_fma_f32 v11, v66 /*v322*/, v70 /*v326*/, -v11
	s_set_vgpr_msb 64                       ;  msbs: dst=1 src0=0 src1=0 src2=0
	v_add_f32_e32 v96 /*v352*/, v9, v11
	s_set_vgpr_msb 5                        ;  msbs: dst=0 src0=1 src1=1 src2=0
	v_mul_f32_e32 v9, v73 /*v329*/, v77 /*v333*/
	s_set_vgpr_msb 0x45                     ;  msbs: dst=1 src0=1 src1=1 src2=0
	s_delay_alu instid0(VALU_DEP_1) | instskip(SKIP_3) | instid1(VALU_DEP_1)
	v_fma_f32 v98 /*v354*/, v72 /*v328*/, v76 /*v332*/, -v9
	s_set_vgpr_msb 5                        ;  msbs: dst=0 src0=1 src1=1 src2=0
	v_mul_f32_e32 v9, v75 /*v331*/, v79 /*v335*/
	s_set_vgpr_msb 0x45                     ;  msbs: dst=1 src0=1 src1=1 src2=0
	v_fma_f32 v100 /*v356*/, v74 /*v330*/, v78 /*v334*/, -v9
	s_set_vgpr_msb 5                        ;  msbs: dst=0 src0=1 src1=1 src2=0
	v_pk_add_f32 v[144:145], v[96:97] /*v[352:353]*/, v[98:99] /*v[354:355]*/
	s_set_vgpr_msb 4                        ;  msbs: dst=0 src0=0 src1=1 src2=0
	s_delay_alu instid0(VALU_DEP_1) | instskip(SKIP_1) | instid1(VALU_DEP_1)
	v_pk_add_f32 v[144:145], v[144:145], v[100:101] /*v[356:357]*/
	s_set_vgpr_msb 0                        ;  msbs: dst=0 src0=0 src1=0 src2=0
	v_pk_add_f32 v[128:129], v[144:145], v[148:149]
	v_dual_mov_b32 v144, v131 :: v_dual_mov_b32 v145, v130
	s_delay_alu instid0(VALU_DEP_1) | instskip(SKIP_1) | instid1(VALU_DEP_1)
	v_pk_mul_f32 v[144:145], v[144:145], v[146:147] op_sel_hi:[1,0]
	s_set_vgpr_msb 4                        ;  msbs: dst=0 src0=0 src1=1 src2=0
	v_pk_fma_f32 v[146:147], v[130:131], v[82:83] /*v[338:339]*/, v[144:145] neg_lo:[0,0,1] neg_hi:[0,0,1]
	v_pk_fma_f32 v[130:131], v[130:131], v[82:83] /*v[338:339]*/, v[144:145] op_sel_hi:[1,0,1]
	s_delay_alu instid0(VALU_DEP_1) | instskip(SKIP_3) | instid1(VALU_DEP_2)
	v_mov_b32_e32 v147, v131
	s_wait_loadcnt_dscnt 0x202
	v_pk_mul_f32 v[130:131], v[132:133], v[84:85] /*v[340:341]*/ op_sel:[1,1] op_sel_hi:[0,1]
	s_set_vgpr_msb 0                        ;  msbs: dst=0 src0=0 src1=0 src2=0
	v_pk_add_f32 v[128:129], v[128:129], v[146:147]
	s_set_vgpr_msb 4                        ;  msbs: dst=0 src0=0 src1=1 src2=0
	s_delay_alu instid0(VALU_DEP_2)
	v_pk_fma_f32 v[144:145], v[132:133], v[84:85] /*v[340:341]*/, v[130:131] neg_lo:[0,0,1] neg_hi:[0,0,1]
	v_pk_fma_f32 v[130:131], v[132:133], v[84:85] /*v[340:341]*/, v[130:131] op_sel_hi:[1,0,1]
	v_mov_b32_e32 v130, v135
	s_set_vgpr_msb 1                        ;  msbs: dst=0 src0=1 src1=0 src2=0
	v_mov_b32_e32 v132, v87 /*v343*/
	s_set_vgpr_msb 0                        ;  msbs: dst=0 src0=0 src1=0 src2=0
	v_dual_mov_b32 v145, v131 :: v_dual_mov_b32 v131, v134
	s_delay_alu instid0(VALU_DEP_1) | instskip(NEXT) | instid1(VALU_DEP_2)
	v_pk_add_f32 v[128:129], v[128:129], v[144:145]
	v_pk_mul_f32 v[130:131], v[130:131], v[132:133] op_sel_hi:[1,0]
	s_set_vgpr_msb 4                        ;  msbs: dst=0 src0=0 src1=1 src2=0
	s_delay_alu instid0(VALU_DEP_1) | instskip(SKIP_1) | instid1(VALU_DEP_1)
	v_pk_fma_f32 v[132:133], v[134:135], v[86:87] /*v[342:343]*/, v[130:131] neg_lo:[0,0,1] neg_hi:[0,0,1]
	v_pk_fma_f32 v[130:131], v[134:135], v[86:87] /*v[342:343]*/, v[130:131] op_sel_hi:[1,0,1]
	v_mov_b32_e32 v133, v131
	s_wait_loadcnt_dscnt 0x101
	v_pk_mul_f32 v[130:131], v[136:137], v[88:89] /*v[344:345]*/ op_sel:[1,1] op_sel_hi:[0,1]
	s_set_vgpr_msb 0                        ;  msbs: dst=0 src0=0 src1=0 src2=0
	s_delay_alu instid0(VALU_DEP_2) | instskip(SKIP_1) | instid1(VALU_DEP_2)
	v_pk_add_f32 v[128:129], v[128:129], v[132:133]
	s_set_vgpr_msb 4                        ;  msbs: dst=0 src0=0 src1=1 src2=0
	v_pk_fma_f32 v[132:133], v[136:137], v[88:89] /*v[344:345]*/, v[130:131] neg_lo:[0,0,1] neg_hi:[0,0,1]
	v_pk_fma_f32 v[130:131], v[136:137], v[88:89] /*v[344:345]*/, v[130:131] op_sel_hi:[1,0,1]
	s_delay_alu instid0(VALU_DEP_1) | instskip(SKIP_2) | instid1(VALU_DEP_2)
	v_dual_mov_b32 v130, v139 :: v_dual_mov_b32 v133, v131
	v_mov_b32_e32 v131, v138
	s_set_vgpr_msb 0                        ;  msbs: dst=0 src0=0 src1=0 src2=0
	v_pk_add_f32 v[128:129], v[128:129], v[132:133]
	s_set_vgpr_msb 1                        ;  msbs: dst=0 src0=1 src1=0 src2=0
	v_mov_b32_e32 v132, v91 /*v347*/
	s_set_vgpr_msb 0                        ;  msbs: dst=0 src0=0 src1=0 src2=0
	s_delay_alu instid0(VALU_DEP_1) | instskip(SKIP_1) | instid1(VALU_DEP_1)
	v_pk_mul_f32 v[130:131], v[130:131], v[132:133] op_sel_hi:[1,0]
	s_set_vgpr_msb 4                        ;  msbs: dst=0 src0=0 src1=1 src2=0
	v_pk_fma_f32 v[132:133], v[138:139], v[90:91] /*v[346:347]*/, v[130:131] neg_lo:[0,0,1] neg_hi:[0,0,1]
	v_pk_fma_f32 v[130:131], v[138:139], v[90:91] /*v[346:347]*/, v[130:131] op_sel_hi:[1,0,1]
	s_delay_alu instid0(VALU_DEP_1) | instskip(SKIP_3) | instid1(VALU_DEP_2)
	v_mov_b32_e32 v133, v131
	s_wait_loadcnt_dscnt 0x0
	v_pk_mul_f32 v[130:131], v[140:141], v[92:93] /*v[348:349]*/ op_sel:[1,1] op_sel_hi:[0,1]
	s_set_vgpr_msb 0                        ;  msbs: dst=0 src0=0 src1=0 src2=0
	v_pk_add_f32 v[128:129], v[128:129], v[132:133]
	s_set_vgpr_msb 4                        ;  msbs: dst=0 src0=0 src1=1 src2=0
	s_delay_alu instid0(VALU_DEP_2) | instskip(SKIP_1) | instid1(VALU_DEP_1)
	v_pk_fma_f32 v[132:133], v[140:141], v[92:93] /*v[348:349]*/, v[130:131] neg_lo:[0,0,1] neg_hi:[0,0,1]
	v_pk_fma_f32 v[130:131], v[140:141], v[92:93] /*v[348:349]*/, v[130:131] op_sel_hi:[1,0,1]
	v_dual_mov_b32 v130, v143 :: v_dual_mov_b32 v133, v131
	v_mov_b32_e32 v131, v142
	s_set_vgpr_msb 0                        ;  msbs: dst=0 src0=0 src1=0 src2=0
	s_delay_alu instid0(VALU_DEP_2) | instskip(SKIP_3) | instid1(VALU_DEP_1)
	v_pk_add_f32 v[128:129], v[128:129], v[132:133]
	s_set_vgpr_msb 1                        ;  msbs: dst=0 src0=1 src1=0 src2=0
	v_mov_b32_e32 v132, v95 /*v351*/
	s_set_vgpr_msb 0                        ;  msbs: dst=0 src0=0 src1=0 src2=0
	v_pk_mul_f32 v[130:131], v[130:131], v[132:133] op_sel_hi:[1,0]
	s_set_vgpr_msb 4                        ;  msbs: dst=0 src0=0 src1=1 src2=0
	s_delay_alu instid0(VALU_DEP_1) | instskip(SKIP_1) | instid1(VALU_DEP_1)
	v_pk_fma_f32 v[132:133], v[142:143], v[94:95] /*v[350:351]*/, v[130:131] neg_lo:[0,0,1] neg_hi:[0,0,1]
	v_pk_fma_f32 v[130:131], v[142:143], v[94:95] /*v[350:351]*/, v[130:131] op_sel_hi:[1,0,1]
	v_mov_b32_e32 v133, v131
	scratch_load_b64 v[130:131], off, off offset:16
	s_set_vgpr_msb 0                        ;  msbs: dst=0 src0=0 src1=0 src2=0
	v_pk_add_f32 v[128:129], v[128:129], v[132:133]
	s_wait_loadcnt 0x0
	s_delay_alu instid0(VALU_DEP_1)
	v_pk_add_f32 v[128:129], v[130:131], v[128:129] neg_lo:[0,1] neg_hi:[0,1]
	scratch_store_b64 off, v[128:129], off offset:16
	s_wait_xcnt 0x0
	v_cmpx_lt_u32_e32 1, v0
	s_cbranch_execz .LBB62_389
; %bb.388:
	scratch_load_b64 v[128:129], off, off offset:8
	v_mov_b64_e32 v[130:131], 0
	scratch_store_b64 off, v[130:131], off offset:8
	s_wait_loadcnt 0x0
	ds_store_b64 v1, v[128:129]
.LBB62_389:
	s_wait_xcnt 0x0
	s_or_b32 exec_lo, exec_lo, s0
	s_wait_storecnt_dscnt 0x0
	s_barrier_signal -1
	s_barrier_wait -1
	s_clause 0x20
	scratch_load_b128 v[130:133], off, off offset:16
	scratch_load_b128 v[134:137], off, off offset:32
	;; [unrolled: 1-line block ×30, first 2 shown]
	s_set_vgpr_msb 64                       ;  msbs: dst=1 src0=0 src1=0 src2=0
	scratch_load_b64 v[114:115] /*v[370:371]*/, off, off offset:496
	scratch_load_b64 v[116:117] /*v[372:373]*/, off, off offset:8
	s_set_vgpr_msb 0                        ;  msbs: dst=0 src0=0 src1=0 src2=0
	v_dual_mov_b32 v128, 0 :: v_dual_ashrrev_i32 v97, 31, v96
	ds_load_b128 v[250:253], v128 offset:528
	ds_load_b128 v[254:257], v128 offset:544
	s_set_vgpr_msb 64                       ;  msbs: dst=1 src0=0 src1=0 src2=0
	ds_load_b128 v[2:5] /*v[258:261]*/, v128 offset:560
	ds_load_b128 v[6:9] /*v[262:265]*/, v128 offset:576
	;; [unrolled: 1-line block ×28, first 2 shown]
	ds_load_b64 v[118:119] /*v[374:375]*/, v128 offset:1008
	s_wait_dscnt 0x14
	s_set_vgpr_msb 0x41                     ;  msbs: dst=1 src0=1 src1=0 src2=0
	v_dual_mov_b32 v120 /*v376*/, v37 /*v293*/ :: v_dual_mov_b32 v121 /*v377*/, v36 /*v292*/
	s_wait_dscnt 0x11
	v_dual_mov_b32 v122 /*v378*/, v49 /*v305*/ :: v_dual_mov_b32 v123 /*v379*/, v48 /*v304*/
	s_wait_dscnt 0x10
	;; [unrolled: 2-line block ×3, first 2 shown]
	v_dual_mov_b32 v126 /*v382*/, v65 /*v321*/ :: v_dual_mov_b32 v127 /*v383*/, v64 /*v320*/
	s_set_vgpr_msb 0                        ;  msbs: dst=0 src0=0 src1=0 src2=0
	v_dual_ashrrev_i32 v5, 31, v4 :: v_dual_ashrrev_i32 v11, 31, v10
	v_dual_ashrrev_i32 v9, 31, v8 :: v_dual_ashrrev_i32 v15, 31, v14
	;; [unrolled: 1-line block ×24, first 2 shown]
	s_mov_b32 s0, exec_lo
	s_wait_loadcnt 0x1f
	v_dual_mul_f32 v105, v250, v131 :: v_dual_mul_f32 v107, v252, v133
	v_dual_mul_f32 v109, v251, v131 :: v_dual_mul_f32 v111, v253, v133
	s_wait_loadcnt 0x1e
	v_dual_mul_f32 v113, v254, v135 :: v_dual_mul_f32 v121, v255, v135
	s_delay_alu instid0(VALU_DEP_3) | instskip(NEXT) | instid1(VALU_DEP_3)
	v_dual_fmac_f32 v105, v251, v130 :: v_dual_fmac_f32 v107, v253, v132
	v_dual_fma_f32 v109, v250, v130, -v109 :: v_dual_fma_f32 v111, v252, v132, -v111
	s_wait_loadcnt 0x1d
	s_set_vgpr_msb 1                        ;  msbs: dst=0 src0=1 src1=0 src2=0
	v_dual_mul_f32 v115, v0 /*v256*/, v137 :: v_dual_mul_f32 v117, v2 /*v258*/, v139
	s_wait_loadcnt 0x15
	v_dual_add_f32 v105, 0, v105 :: v_dual_mul_f32 v132, v39 /*v295*/, v171
	s_set_vgpr_msb 0                        ;  msbs: dst=0 src0=0 src1=0 src2=0
	v_dual_add_f32 v109, 0, v109 :: v_dual_fmac_f32 v113, v255, v134
	s_set_vgpr_msb 1                        ;  msbs: dst=0 src0=1 src1=0 src2=0
	v_dual_mul_f32 v123, v1 /*v257*/, v137 :: v_dual_mul_f32 v129, v6 /*v262*/, v143
	s_set_vgpr_msb 0                        ;  msbs: dst=0 src0=0 src1=0 src2=0
	v_dual_fma_f32 v121, v254, v134, -v121 :: v_dual_add_f32 v105, v105, v107
	v_add_f32_e32 v107, v109, v111
	s_set_vgpr_msb 1                        ;  msbs: dst=0 src0=1 src1=0 src2=0
	v_dual_mul_f32 v119, v4 /*v260*/, v141 :: v_dual_mul_f32 v125, v3 /*v259*/, v139
	v_dual_mul_f32 v109, v41 /*v297*/, v173 :: v_dual_fma_f32 v111, v0 /*v256*/, v136, -v123
	v_fmac_f32_e32 v115, v1 /*v257*/, v136
	s_set_vgpr_msb 0                        ;  msbs: dst=0 src0=0 src1=0 src2=0
	v_add_f32_e32 v107, v107, v121
	v_add_f32_e32 v105, v105, v113
	s_set_vgpr_msb 1                        ;  msbs: dst=0 src0=1 src1=0 src2=0
	v_dual_mul_f32 v127, v5 /*v261*/, v141 :: v_dual_mul_f32 v133, v10 /*v266*/, v147
	s_wait_loadcnt_dscnt 0xb06
	v_dual_mul_f32 v113, v92 /*v348*/, v213 :: v_dual_fmac_f32 v117, v3 /*v259*/, v138
	v_dual_fma_f32 v121, v2 /*v258*/, v138, -v125 :: v_dual_fmac_f32 v119, v5 /*v261*/, v140
	s_set_vgpr_msb 0                        ;  msbs: dst=0 src0=0 src1=0 src2=0
	v_add_f32_e32 v107, v107, v111
	v_add_f32_e32 v105, v105, v115
	s_set_vgpr_msb 1                        ;  msbs: dst=0 src0=1 src1=0 src2=0
	v_dual_mul_f32 v131, v8 /*v264*/, v145 :: v_dual_mul_f32 v137, v7 /*v263*/, v143
	s_wait_loadcnt_dscnt 0xa05
	v_dual_mul_f32 v111, v94 /*v350*/, v215 :: v_dual_fma_f32 v115, v4 /*v260*/, v140, -v127
	v_fmac_f32_e32 v129, v7 /*v263*/, v142
	s_set_vgpr_msb 0                        ;  msbs: dst=0 src0=0 src1=0 src2=0
	v_add_f32_e32 v107, v107, v121
	v_add_f32_e32 v105, v105, v117
	s_set_vgpr_msb 1                        ;  msbs: dst=0 src0=1 src1=0 src2=0
	v_dual_mul_f32 v139, v9 /*v265*/, v145 :: v_dual_mul_f32 v145, v14 /*v270*/, v151
	v_dual_mul_f32 v117, v96 /*v352*/, v217 :: v_dual_fma_f32 v121, v6 /*v262*/, v142, -v137
	s_set_vgpr_msb 0                        ;  msbs: dst=0 src0=0 src1=0 src2=0
	v_add_f32_e32 v107, v107, v115
	v_add_f32_e32 v105, v105, v119
	s_wait_loadcnt_dscnt 0x904
	s_set_vgpr_msb 1                        ;  msbs: dst=0 src0=1 src1=0 src2=0
	v_dual_mul_f32 v115, v98 /*v354*/, v219 :: v_dual_fmac_f32 v131, v9 /*v265*/, v144
	v_dual_fma_f32 v119, v8 /*v264*/, v144, -v139 :: v_dual_fmac_f32 v133, v11 /*v267*/, v146
	s_set_vgpr_msb 0                        ;  msbs: dst=0 src0=0 src1=0 src2=0
	v_add_f32_e32 v107, v107, v121
	v_add_f32_e32 v105, v105, v129
	s_set_vgpr_msb 1                        ;  msbs: dst=0 src0=1 src1=0 src2=0
	v_dual_mul_f32 v135, v12 /*v268*/, v149 :: v_dual_mul_f32 v141, v11 /*v267*/, v147
	v_dual_mul_f32 v143, v13 /*v269*/, v149 :: v_dual_mul_f32 v149, v18 /*v274*/, v155
	s_set_vgpr_msb 0                        ;  msbs: dst=0 src0=0 src1=0 src2=0
	v_add_f32_e32 v107, v107, v119
	v_add_f32_e32 v105, v105, v131
	s_set_vgpr_msb 1                        ;  msbs: dst=0 src0=1 src1=0 src2=0
	v_dual_mul_f32 v121, v100 /*v356*/, v221 :: v_dual_fma_f32 v123, v10 /*v266*/, v146, -v141
	s_wait_loadcnt_dscnt 0x803
	v_dual_mul_f32 v119, v102 /*v358*/, v223 :: v_dual_fmac_f32 v135, v13 /*v269*/, v148
	s_set_vgpr_msb 0                        ;  msbs: dst=0 src0=0 src1=0 src2=0
	v_add_f32_e32 v105, v105, v133
	s_set_vgpr_msb 1                        ;  msbs: dst=0 src0=1 src1=0 src2=0
	v_dual_mul_f32 v147, v16 /*v272*/, v153 :: v_dual_mul_f32 v151, v15 /*v271*/, v151
	v_dual_fma_f32 v125, v12 /*v268*/, v148, -v143 :: v_dual_fmac_f32 v145, v15 /*v271*/, v150
	s_set_vgpr_msb 0                        ;  msbs: dst=0 src0=0 src1=0 src2=0
	v_add_f32_e32 v107, v107, v123
	v_add_f32_e32 v105, v105, v135
	s_set_vgpr_msb 1                        ;  msbs: dst=0 src0=1 src1=0 src2=0
	v_dual_mul_f32 v153, v17 /*v273*/, v153 :: v_dual_mul_f32 v155, v19 /*v275*/, v155
	v_dual_mul_f32 v123, v104 /*v360*/, v225 :: v_dual_fma_f32 v127, v14 /*v270*/, v150, -v151
	s_set_vgpr_msb 0                        ;  msbs: dst=0 src0=0 src1=0 src2=0
	v_add_f32_e32 v107, v107, v125
	s_wait_loadcnt_dscnt 0x702
	s_set_vgpr_msb 1                        ;  msbs: dst=0 src0=1 src1=0 src2=0
	v_dual_mul_f32 v125, v106 /*v362*/, v227 :: v_dual_fmac_f32 v147, v17 /*v273*/, v152
	s_set_vgpr_msb 0                        ;  msbs: dst=0 src0=0 src1=0 src2=0
	v_add_f32_e32 v105, v105, v145
	s_set_vgpr_msb 0x41                     ;  msbs: dst=1 src0=1 src1=0 src2=0
	v_dual_mul_f32 v128 /*v384*/, v20 /*v276*/, v157 :: v_dual_mul_f32 v129 /*v385*/, v22 /*v278*/, v159
	s_set_vgpr_msb 1                        ;  msbs: dst=0 src0=1 src1=0 src2=0
	v_dual_fma_f32 v129, v16 /*v272*/, v152, -v153 :: v_dual_fma_f32 v131, v18 /*v274*/, v154, -v155
	s_set_vgpr_msb 0                        ;  msbs: dst=0 src0=0 src1=0 src2=0
	v_add_f32_e32 v107, v107, v127
	s_set_vgpr_msb 1                        ;  msbs: dst=0 src0=1 src1=0 src2=0
	v_dual_mul_f32 v127, v108 /*v364*/, v229 :: v_dual_fmac_f32 v149, v19 /*v275*/, v154
	s_set_vgpr_msb 0                        ;  msbs: dst=0 src0=0 src1=0 src2=0
	v_add_f32_e32 v105, v105, v147
	s_set_vgpr_msb 0x41                     ;  msbs: dst=1 src0=1 src1=0 src2=0
	v_dual_mul_f32 v154 /*v410*/, v88 /*v344*/, v209 :: v_dual_fmac_f32 v128 /*v384*/, v21 /*v277*/, v156
	s_set_vgpr_msb 0                        ;  msbs: dst=0 src0=0 src1=0 src2=0
	v_add_f32_e32 v107, v107, v129
	s_set_vgpr_msb 0x41                     ;  msbs: dst=1 src0=1 src1=0 src2=0
	v_dual_mul_f32 v130 /*v386*/, v24 /*v280*/, v161 :: v_dual_mul_f32 v131 /*v387*/, v26 /*v282*/, v163
	s_set_vgpr_msb 0                        ;  msbs: dst=0 src0=0 src1=0 src2=0
	v_add_f32_e32 v105, v105, v149
	s_set_vgpr_msb 0x41                     ;  msbs: dst=1 src0=1 src1=0 src2=0
	v_fmac_f32_e32 v129 /*v385*/, v23 /*v279*/, v158
	s_set_vgpr_msb 0                        ;  msbs: dst=0 src0=0 src1=0 src2=0
	v_add_f32_e32 v107, v107, v131
	s_set_vgpr_msb 0x41                     ;  msbs: dst=1 src0=1 src1=0 src2=0
	v_dual_fmac_f32 v130 /*v386*/, v25 /*v281*/, v160 :: v_dual_mul_f32 v132 /*v388*/, v28 /*v284*/, v165
	v_mul_f32_e32 v133 /*v389*/, v30 /*v286*/, v167
	s_set_vgpr_msb 4                        ;  msbs: dst=0 src0=0 src1=1 src2=0
	v_add_f32_e32 v105, v105, v128 /*v384*/
	s_set_vgpr_msb 0x41                     ;  msbs: dst=1 src0=1 src1=0 src2=0
	v_dual_fmac_f32 v131 /*v387*/, v27 /*v283*/, v162 :: v_dual_mul_f32 v134 /*v390*/, v32 /*v288*/, v169
	v_dual_mul_f32 v135 /*v391*/, v38 /*v294*/, v171 :: v_dual_fmac_f32 v132 /*v388*/, v29 /*v285*/, v164
	s_set_vgpr_msb 4                        ;  msbs: dst=0 src0=0 src1=1 src2=0
	v_add_f32_e32 v105, v105, v129 /*v385*/
	s_set_vgpr_msb 0x41                     ;  msbs: dst=1 src0=1 src1=0 src2=0
	v_dual_fmac_f32 v133 /*v389*/, v31 /*v287*/, v166 :: v_dual_fmac_f32 v134 /*v390*/, v33 /*v289*/, v168
	v_dual_mul_f32 v136 /*v392*/, v40 /*v296*/, v173 :: v_dual_mul_f32 v137 /*v393*/, v42 /*v298*/, v175
	s_set_vgpr_msb 4                        ;  msbs: dst=0 src0=0 src1=1 src2=0
	v_add_f32_e32 v105, v105, v130 /*v386*/
	s_set_vgpr_msb 0x41                     ;  msbs: dst=1 src0=1 src1=0 src2=0
	v_dual_fmac_f32 v135 /*v391*/, v39 /*v295*/, v170 :: v_dual_mul_f32 v138 /*v394*/, v44 /*v300*/, v177
	v_dual_mul_f32 v139 /*v395*/, v54 /*v310*/, v179 :: v_dual_fmac_f32 v136 /*v392*/, v41 /*v297*/, v172
	s_set_vgpr_msb 4                        ;  msbs: dst=0 src0=0 src1=1 src2=0
	v_add_f32_e32 v105, v105, v131 /*v387*/
	s_set_vgpr_msb 0x41                     ;  msbs: dst=1 src0=1 src1=0 src2=0
	v_dual_fmac_f32 v137 /*v393*/, v43 /*v299*/, v174 :: v_dual_fmac_f32 v138 /*v394*/, v45 /*v301*/, v176
	v_dual_mul_f32 v140 /*v396*/, v56 /*v312*/, v181 :: v_dual_mul_f32 v141 /*v397*/, v58 /*v314*/, v183
	;; [unrolled: 10-line block ×5, first 2 shown]
	s_set_vgpr_msb 4                        ;  msbs: dst=0 src0=0 src1=1 src2=0
	v_add_f32_e32 v105, v105, v138 /*v394*/
	s_set_vgpr_msb 0x41                     ;  msbs: dst=1 src0=1 src1=0 src2=0
	v_fmac_f32_e32 v151 /*v407*/, v83 /*v339*/, v202
	s_set_vgpr_msb 1                        ;  msbs: dst=0 src0=1 src1=0 src2=0
	v_dual_mul_f32 v157, v21 /*v277*/, v157 :: v_dual_mul_f32 v159, v23 /*v279*/, v159
	s_set_vgpr_msb 0x41                     ;  msbs: dst=1 src0=1 src1=0 src2=0
	v_fmac_f32_e32 v152 /*v408*/, v85 /*v341*/, v204
	s_set_vgpr_msb 4                        ;  msbs: dst=0 src0=0 src1=1 src2=0
	v_add_f32_e32 v105, v105, v139 /*v395*/
	s_set_vgpr_msb 0x41                     ;  msbs: dst=1 src0=1 src1=0 src2=0
	v_dual_fmac_f32 v153 /*v409*/, v87 /*v343*/, v206 :: v_dual_fmac_f32 v154 /*v410*/, v89 /*v345*/, v208
	s_set_vgpr_msb 1                        ;  msbs: dst=0 src0=1 src1=0 src2=0
	v_dual_mul_f32 v169, v33 /*v289*/, v169 :: v_dual_mul_f32 v130, v90 /*v346*/, v211
	s_set_vgpr_msb 4                        ;  msbs: dst=0 src0=0 src1=1 src2=0
	v_add_f32_e32 v105, v105, v140 /*v396*/
	s_wait_loadcnt_dscnt 0x601
	s_set_vgpr_msb 1                        ;  msbs: dst=0 src0=1 src1=0 src2=0
	v_dual_mul_f32 v129, v110 /*v366*/, v231 :: v_dual_fma_f32 v133, v20 /*v276*/, v156, -v157
	v_dual_mul_f32 v161, v25 /*v281*/, v161 :: v_dual_mul_f32 v163, v27 /*v283*/, v163
	s_set_vgpr_msb 4                        ;  msbs: dst=0 src0=0 src1=1 src2=0
	v_add_f32_e32 v105, v105, v141 /*v397*/
	s_set_vgpr_msb 1                        ;  msbs: dst=0 src0=1 src1=0 src2=0
	v_dual_fmac_f32 v130, v91 /*v347*/, v210 :: v_dual_mul_f32 v131, v112 /*v368*/, v233
	v_dual_fma_f32 v134, v22 /*v278*/, v158, -v159 :: v_dual_fmac_f32 v113, v93 /*v349*/, v212
	s_set_vgpr_msb 4                        ;  msbs: dst=0 src0=0 src1=1 src2=0
	v_add_f32_e32 v105, v105, v142 /*v398*/
	s_set_vgpr_msb 1                        ;  msbs: dst=0 src0=1 src1=0 src2=0
	v_dual_fmac_f32 v111, v95 /*v351*/, v214 :: v_dual_mul_f32 v165, v29 /*v285*/, v165
	v_dual_mul_f32 v167, v31 /*v287*/, v167 :: v_dual_fmac_f32 v117, v97 /*v353*/, v216
	s_set_vgpr_msb 4                        ;  msbs: dst=0 src0=0 src1=1 src2=0
	v_add_f32_e32 v105, v105, v143 /*v399*/
	s_set_vgpr_msb 1                        ;  msbs: dst=0 src0=1 src1=0 src2=0
	v_dual_fmac_f32 v115, v99 /*v355*/, v218 :: v_dual_fmac_f32 v121, v101 /*v357*/, v220
	v_dual_fmac_f32 v123, v105 /*v361*/, v224 :: v_dual_fmac_f32 v125, v107 /*v363*/, v226
	s_set_vgpr_msb 4                        ;  msbs: dst=0 src0=0 src1=1 src2=0
	v_add_f32_e32 v105, v105, v144 /*v400*/
	s_set_vgpr_msb 1                        ;  msbs: dst=0 src0=1 src1=0 src2=0
	v_fmac_f32_e32 v129, v111 /*v367*/, v230
	v_dual_fma_f32 v135, v24 /*v280*/, v160, -v161 :: v_dual_fma_f32 v136, v26 /*v282*/, v162, -v163
	v_fma_f32 v137, v28 /*v284*/, v164, -v165
	s_set_vgpr_msb 4                        ;  msbs: dst=0 src0=0 src1=1 src2=0
	v_add_f32_e32 v105, v105, v145 /*v401*/
	s_set_vgpr_msb 1                        ;  msbs: dst=0 src0=1 src1=0 src2=0
	v_dual_fma_f32 v138, v30 /*v286*/, v166, -v167 :: v_dual_fma_f32 v139, v32 /*v288*/, v168, -v169
	v_dual_fma_f32 v132, v38 /*v294*/, v170, -v132 :: v_dual_fma_f32 v109, v40 /*v296*/, v172, -v109
	s_set_vgpr_msb 4                        ;  msbs: dst=0 src0=0 src1=1 src2=0
	v_add_f32_e32 v105, v105, v146 /*v402*/
	s_set_vgpr_msb 1                        ;  msbs: dst=0 src0=1 src1=0 src2=0
	v_fmac_f32_e32 v127, v109 /*v365*/, v228
	s_wait_loadcnt 0x3
	s_set_vgpr_msb 4                        ;  msbs: dst=0 src0=0 src1=1 src2=0
	v_mov_b32_e32 v144, v245
	v_add_f32_e32 v105, v105, v147 /*v403*/
	s_set_vgpr_msb 1                        ;  msbs: dst=0 src0=1 src1=0 src2=0
	s_delay_alu instid0(VALU_DEP_2) | instskip(SKIP_1) | instid1(VALU_DEP_2)
	v_pk_mul_f32 v[144:145], v[124:125] /*v[380:381]*/, v[144:145] op_sel_hi:[1,0]
	s_set_vgpr_msb 4                        ;  msbs: dst=0 src0=0 src1=1 src2=0
	v_add_f32_e32 v105, v105, v148 /*v404*/
	s_delay_alu instid0(VALU_DEP_1) | instskip(NEXT) | instid1(VALU_DEP_1)
	v_add_f32_e32 v105, v105, v149 /*v405*/
	v_add_f32_e32 v105, v105, v150 /*v406*/
	s_delay_alu instid0(VALU_DEP_1) | instskip(NEXT) | instid1(VALU_DEP_1)
	v_add_f32_e32 v105, v105, v151 /*v407*/
	;; [unrolled: 3-line block ×3, first 2 shown]
	v_add_f32_e32 v105, v105, v154 /*v410*/
	s_set_vgpr_msb 0                        ;  msbs: dst=0 src0=0 src1=0 src2=0
	v_add_f32_e32 v107, v107, v133
	s_set_vgpr_msb 1                        ;  msbs: dst=0 src0=1 src1=0 src2=0
	v_mul_f32_e32 v133, v34 /*v290*/, v235
	s_set_vgpr_msb 0                        ;  msbs: dst=0 src0=0 src1=0 src2=0
	v_add_f32_e32 v105, v105, v130
	s_set_vgpr_msb 1                        ;  msbs: dst=0 src0=1 src1=0 src2=0
	v_mul_f32_e32 v130, v107 /*v363*/, v227
	;; [unrolled: 4-line block ×3, first 2 shown]
	s_set_vgpr_msb 0                        ;  msbs: dst=0 src0=0 src1=0 src2=0
	v_add_f32_e32 v105, v105, v113
	s_set_vgpr_msb 1                        ;  msbs: dst=0 src0=1 src1=0 src2=0
	v_dual_mul_f32 v113, v109 /*v365*/, v229 :: v_dual_fmac_f32 v119, v103 /*v359*/, v222
	v_fma_f32 v134, v42 /*v298*/, v174, -v134
	s_set_vgpr_msb 0                        ;  msbs: dst=0 src0=0 src1=0 src2=0
	v_add_f32_e32 v105, v105, v111
	v_add_f32_e32 v107, v107, v135
	s_set_vgpr_msb 1                        ;  msbs: dst=0 src0=1 src1=0 src2=0
	v_mul_f32_e32 v135, v45 /*v301*/, v177
	s_set_vgpr_msb 0                        ;  msbs: dst=0 src0=0 src1=0 src2=0
	v_add_f32_e32 v105, v105, v117
	s_set_vgpr_msb 1                        ;  msbs: dst=0 src0=1 src1=0 src2=0
	v_mul_f32_e32 v117, v113 /*v369*/, v233
	s_set_vgpr_msb 0                        ;  msbs: dst=0 src0=0 src1=0 src2=0
	v_add_f32_e32 v107, v107, v136
	s_set_vgpr_msb 1                        ;  msbs: dst=0 src0=1 src1=0 src2=0
	v_dual_mul_f32 v136, v55 /*v311*/, v179 :: v_dual_fma_f32 v135, v44 /*v300*/, v176, -v135
	s_set_vgpr_msb 0                        ;  msbs: dst=0 src0=0 src1=0 src2=0
	v_add_f32_e32 v105, v105, v115
	s_set_vgpr_msb 1                        ;  msbs: dst=0 src0=1 src1=0 src2=0
	v_mul_f32_e32 v115, v35 /*v291*/, v235
	s_set_vgpr_msb 0                        ;  msbs: dst=0 src0=0 src1=0 src2=0
	v_add_f32_e32 v107, v107, v137
	s_set_vgpr_msb 1                        ;  msbs: dst=0 src0=1 src1=0 src2=0
	v_dual_mul_f32 v137, v57 /*v313*/, v181 :: v_dual_fma_f32 v136, v54 /*v310*/, v178, -v136
	s_set_vgpr_msb 0                        ;  msbs: dst=0 src0=0 src1=0 src2=0
	v_add_f32_e32 v105, v105, v121
	s_set_vgpr_msb 1                        ;  msbs: dst=0 src0=1 src1=0 src2=0
	v_fmac_f32_e32 v131, v113 /*v369*/, v232
	s_set_vgpr_msb 0                        ;  msbs: dst=0 src0=0 src1=0 src2=0
	v_add_f32_e32 v107, v107, v138
	s_set_vgpr_msb 1                        ;  msbs: dst=0 src0=1 src1=0 src2=0
	v_dual_mul_f32 v138, v59 /*v315*/, v183 :: v_dual_fma_f32 v137, v56 /*v312*/, v180, -v137
	s_set_vgpr_msb 0                        ;  msbs: dst=0 src0=0 src1=0 src2=0
	v_add_f32_e32 v105, v105, v119
	s_set_vgpr_msb 1                        ;  msbs: dst=0 src0=1 src1=0 src2=0
	v_fma_f32 v119, v106 /*v362*/, v226, -v130
	s_set_vgpr_msb 0                        ;  msbs: dst=0 src0=0 src1=0 src2=0
	v_add_f32_e32 v107, v107, v139
	s_set_vgpr_msb 1                        ;  msbs: dst=0 src0=1 src1=0 src2=0
	v_dual_mul_f32 v139, v61 /*v317*/, v185 :: v_dual_fma_f32 v138, v58 /*v314*/, v182, -v138
	s_set_vgpr_msb 0                        ;  msbs: dst=0 src0=0 src1=0 src2=0
	v_add_f32_e32 v105, v105, v123
	s_set_vgpr_msb 1                        ;  msbs: dst=0 src0=1 src1=0 src2=0
	v_fma_f32 v130, v112 /*v368*/, v232, -v117
	s_set_vgpr_msb 0                        ;  msbs: dst=0 src0=0 src1=0 src2=0
	v_add_f32_e32 v107, v107, v132
	s_set_vgpr_msb 1                        ;  msbs: dst=0 src0=1 src1=0 src2=0
	v_dual_mul_f32 v132, v67 /*v323*/, v187 :: v_dual_fma_f32 v139, v60 /*v316*/, v184, -v139
	s_set_vgpr_msb 0                        ;  msbs: dst=0 src0=0 src1=0 src2=0
	v_dual_add_f32 v105, v105, v125 :: v_dual_ashrrev_i32 v117, 31, v116
	v_add_f32_e32 v107, v107, v109
	s_set_vgpr_msb 1                        ;  msbs: dst=0 src0=1 src1=0 src2=0
	v_dual_mul_f32 v109, v69 /*v325*/, v189 :: v_dual_fma_f32 v132, v66 /*v322*/, v186, -v132
	s_set_vgpr_msb 0                        ;  msbs: dst=0 src0=0 src1=0 src2=0
	v_dual_add_f32 v105, v105, v127 :: v_dual_ashrrev_i32 v121, 31, v120
	;; [unrolled: 5-line block ×3, first 2 shown]
	v_add_f32_e32 v107, v107, v135
	s_set_vgpr_msb 1                        ;  msbs: dst=0 src0=1 src1=0 src2=0
	v_dual_mul_f32 v135, v73 /*v329*/, v193 :: v_dual_fma_f32 v134, v70 /*v326*/, v190, -v134
	v_ashrrev_i32_e32 v123, 31, v122
	s_set_vgpr_msb 0                        ;  msbs: dst=0 src0=0 src1=0 src2=0
	v_dual_ashrrev_i32 v127, 31, v126 :: v_dual_add_f32 v107, v107, v136
	s_set_vgpr_msb 1                        ;  msbs: dst=0 src0=1 src1=0 src2=0
	v_dual_mul_f32 v136, v75 /*v331*/, v195 :: v_dual_fma_f32 v135, v72 /*v328*/, v192, -v135
	s_set_vgpr_msb 0                        ;  msbs: dst=0 src0=0 src1=0 src2=0
	s_delay_alu instid0(VALU_DEP_2) | instskip(SKIP_1) | instid1(VALU_DEP_2)
	v_dual_ashrrev_i32 v125, 31, v124 :: v_dual_add_f32 v107, v107, v137
	s_set_vgpr_msb 1                        ;  msbs: dst=0 src0=1 src1=0 src2=0
	v_dual_mul_f32 v137, v77 /*v333*/, v197 :: v_dual_fma_f32 v136, v74 /*v330*/, v194, -v136
	s_set_vgpr_msb 0                        ;  msbs: dst=0 src0=0 src1=0 src2=0
	s_delay_alu instid0(VALU_DEP_2) | instskip(SKIP_1) | instid1(VALU_DEP_2)
	v_add_f32_e32 v107, v107, v138
	s_set_vgpr_msb 1                        ;  msbs: dst=0 src0=1 src1=0 src2=0
	v_dual_mul_f32 v138, v79 /*v335*/, v199 :: v_dual_fma_f32 v137, v76 /*v332*/, v196, -v137
	s_set_vgpr_msb 0                        ;  msbs: dst=0 src0=0 src1=0 src2=0
	s_delay_alu instid0(VALU_DEP_2) | instskip(SKIP_1) | instid1(VALU_DEP_2)
	v_add_f32_e32 v107, v107, v139
	;; [unrolled: 5-line block ×9, first 2 shown]
	s_set_vgpr_msb 1                        ;  msbs: dst=0 src0=1 src1=0 src2=0
	v_dual_mul_f32 v138, v95 /*v351*/, v215 :: v_dual_fma_f32 v137, v92 /*v348*/, v212, -v137
	s_set_vgpr_msb 0                        ;  msbs: dst=0 src0=0 src1=0 src2=0
	s_delay_alu instid0(VALU_DEP_2) | instskip(SKIP_3) | instid1(VALU_DEP_2)
	v_add_f32_e32 v107, v107, v139
	s_set_vgpr_msb 1                        ;  msbs: dst=0 src0=1 src1=0 src2=0
	v_mul_f32_e32 v139, v97 /*v353*/, v217
	s_set_vgpr_msb 0                        ;  msbs: dst=0 src0=0 src1=0 src2=0
	v_add_f32_e32 v107, v107, v132
	s_set_vgpr_msb 1                        ;  msbs: dst=0 src0=1 src1=0 src2=0
	v_mul_f32_e32 v132, v99 /*v355*/, v219
	v_mul_f32_e32 v111, v111 /*v367*/, v231
	s_set_vgpr_msb 0                        ;  msbs: dst=0 src0=0 src1=0 src2=0
	v_add_f32_e32 v107, v107, v109
	s_set_vgpr_msb 1                        ;  msbs: dst=0 src0=1 src1=0 src2=0
	v_dual_mul_f32 v109, v101 /*v357*/, v221 :: v_dual_fma_f32 v132, v98 /*v354*/, v218, -v132
	v_fma_f32 v111, v110 /*v366*/, v230, -v111
	s_set_vgpr_msb 0                        ;  msbs: dst=0 src0=0 src1=0 src2=0
	v_add_f32_e32 v107, v107, v134
	s_set_vgpr_msb 1                        ;  msbs: dst=0 src0=1 src1=0 src2=0
	v_dual_mul_f32 v134, v103 /*v359*/, v223 :: v_dual_fma_f32 v109, v100 /*v356*/, v220, -v109
	s_set_vgpr_msb 0                        ;  msbs: dst=0 src0=0 src1=0 src2=0
	s_delay_alu instid0(VALU_DEP_2) | instskip(SKIP_1) | instid1(VALU_DEP_2)
	v_add_f32_e32 v107, v107, v135
	s_set_vgpr_msb 1                        ;  msbs: dst=0 src0=1 src1=0 src2=0
	v_dual_mul_f32 v135, v105 /*v361*/, v225 :: v_dual_fma_f32 v134, v102 /*v358*/, v222, -v134
	s_set_vgpr_msb 0                        ;  msbs: dst=0 src0=0 src1=0 src2=0
	s_delay_alu instid0(VALU_DEP_2) | instskip(SKIP_3) | instid1(VALU_DEP_2)
	v_add_f32_e32 v107, v107, v136
	s_set_vgpr_msb 1                        ;  msbs: dst=0 src0=1 src1=0 src2=0
	v_fma_f32 v136, v94 /*v350*/, v214, -v138
	s_set_vgpr_msb 0                        ;  msbs: dst=0 src0=0 src1=0 src2=0
	v_add_f32_e32 v107, v107, v137
	s_set_vgpr_msb 1                        ;  msbs: dst=0 src0=1 src1=0 src2=0
	v_fma_f32 v137, v96 /*v352*/, v216, -v139
	v_pk_mul_f32 v[138:139], v[50:51] /*v[306:307]*/, v[242:243] op_sel:[1,1] op_sel_hi:[0,1]
	s_set_vgpr_msb 0                        ;  msbs: dst=0 src0=0 src1=0 src2=0
	v_dual_add_f32 v107, v107, v136 :: v_dual_mov_b32 v136, v241
	s_delay_alu instid0(VALU_DEP_1) | instskip(SKIP_1) | instid1(VALU_DEP_2)
	v_add_f32_e32 v107, v107, v137
	s_set_vgpr_msb 1                        ;  msbs: dst=0 src0=1 src1=0 src2=0
	v_pk_mul_f32 v[136:137], v[122:123] /*v[378:379]*/, v[136:137] op_sel_hi:[1,0]
	s_set_vgpr_msb 0                        ;  msbs: dst=0 src0=0 src1=0 src2=0
	s_delay_alu instid0(VALU_DEP_2) | instskip(NEXT) | instid1(VALU_DEP_1)
	v_dual_add_f32 v107, v107, v132 :: v_dual_mov_b32 v132, v237
	v_add_f32_e32 v107, v107, v109
	s_set_vgpr_msb 1                        ;  msbs: dst=0 src0=1 src1=0 src2=0
	v_fma_f32 v109, v104 /*v360*/, v224, -v135
	s_delay_alu instid0(VALU_DEP_3)
	v_pk_mul_f32 v[140:141], v[120:121] /*v[376:377]*/, v[132:133] op_sel_hi:[1,0]
	v_dual_fmac_f32 v133, v35 /*v291*/, v234 :: v_dual_fma_f32 v132, v34 /*v290*/, v234, -v115
	s_set_vgpr_msb 0                        ;  msbs: dst=0 src0=0 src1=0 src2=0
	v_add_f32_e32 v107, v107, v134
	s_set_vgpr_msb 1                        ;  msbs: dst=0 src0=1 src1=0 src2=0
	v_pk_mul_f32 v[134:135], v[46:47] /*v[302:303]*/, v[238:239] op_sel:[1,1] op_sel_hi:[0,1]
	v_pk_fma_f32 v[146:147], v[36:37] /*v[292:293]*/, v[236:237], v[140:141] op_sel_hi:[1,0,1]
	v_pk_fma_f32 v[140:141], v[36:37] /*v[292:293]*/, v[236:237], v[140:141] neg_lo:[0,0,1] neg_hi:[0,0,1]
	s_set_vgpr_msb 0                        ;  msbs: dst=0 src0=0 src1=0 src2=0
	v_dual_ashrrev_i32 v115, 31, v114 :: v_dual_add_f32 v107, v107, v109
	s_set_vgpr_msb 1                        ;  msbs: dst=0 src0=1 src1=0 src2=0
	v_fma_f32 v109, v108 /*v364*/, v228, -v113
	s_set_vgpr_msb 0                        ;  msbs: dst=0 src0=0 src1=0 src2=0
	v_dual_mov_b32 v141, v147 :: v_dual_ashrrev_i32 v113, 31, v112
	v_dual_add_f32 v107, v107, v119 :: v_dual_ashrrev_i32 v119, 31, v118
	s_delay_alu instid0(VALU_DEP_1) | instskip(NEXT) | instid1(VALU_DEP_1)
	v_dual_add_f32 v107, v107, v109 :: v_dual_ashrrev_i32 v109, 31, v108
	v_dual_add_f32 v142, v107, v111 :: v_dual_ashrrev_i32 v107, 31, v106
	v_ashrrev_i32_e32 v111, 31, v110
	s_delay_alu instid0(VALU_DEP_2)
	v_pk_add_f32 v[130:131], v[142:143], v[130:131]
	s_set_vgpr_msb 1                        ;  msbs: dst=0 src0=1 src1=0 src2=0
	v_pk_fma_f32 v[142:143], v[46:47] /*v[302:303]*/, v[238:239], v[134:135] op_sel_hi:[1,0,1]
	v_pk_fma_f32 v[134:135], v[46:47] /*v[302:303]*/, v[238:239], v[134:135] neg_lo:[0,0,1] neg_hi:[0,0,1]
	s_set_vgpr_msb 0                        ;  msbs: dst=0 src0=0 src1=0 src2=0
	v_pk_add_f32 v[130:131], v[130:131], v[132:133]
	s_delay_alu instid0(VALU_DEP_3)
	v_mov_b32_e32 v135, v143
	s_set_vgpr_msb 1                        ;  msbs: dst=0 src0=1 src1=0 src2=0
	v_pk_fma_f32 v[142:143], v[48:49] /*v[304:305]*/, v[240:241], v[136:137] op_sel_hi:[1,0,1]
	v_pk_fma_f32 v[136:137], v[48:49] /*v[304:305]*/, v[240:241], v[136:137] neg_lo:[0,0,1] neg_hi:[0,0,1]
	s_wait_loadcnt 0x2
	v_pk_mul_f32 v[132:133], v[62:63] /*v[318:319]*/, v[246:247] op_sel:[1,1] op_sel_hi:[0,1]
	s_set_vgpr_msb 0                        ;  msbs: dst=0 src0=0 src1=0 src2=0
	v_pk_add_f32 v[130:131], v[130:131], v[140:141]
	s_set_vgpr_msb 1                        ;  msbs: dst=0 src0=1 src1=0 src2=0
	v_pk_fma_f32 v[140:141], v[50:51] /*v[306:307]*/, v[242:243], v[138:139] op_sel_hi:[1,0,1]
	s_set_vgpr_msb 0                        ;  msbs: dst=0 src0=0 src1=0 src2=0
	v_mov_b32_e32 v137, v143
	s_set_vgpr_msb 1                        ;  msbs: dst=0 src0=1 src1=0 src2=0
	v_pk_fma_f32 v[138:139], v[50:51] /*v[306:307]*/, v[242:243], v[138:139] neg_lo:[0,0,1] neg_hi:[0,0,1]
	v_pk_fma_f32 v[142:143], v[52:53] /*v[308:309]*/, v[244:245], v[144:145] neg_lo:[0,0,1] neg_hi:[0,0,1]
	s_set_vgpr_msb 0                        ;  msbs: dst=0 src0=0 src1=0 src2=0
	v_pk_add_f32 v[130:131], v[130:131], v[134:135]
	v_dual_mov_b32 v134, v249 :: v_dual_mov_b32 v139, v141
	s_set_vgpr_msb 1                        ;  msbs: dst=0 src0=1 src1=0 src2=0
	v_pk_fma_f32 v[140:141], v[52:53] /*v[308:309]*/, v[244:245], v[144:145] op_sel_hi:[1,0,1]
	s_set_vgpr_msb 0                        ;  msbs: dst=0 src0=0 src1=0 src2=0
	v_pk_add_f32 v[130:131], v[130:131], v[136:137]
	s_set_vgpr_msb 1                        ;  msbs: dst=0 src0=1 src1=0 src2=0
	v_pk_fma_f32 v[136:137], v[62:63] /*v[318:319]*/, v[246:247], v[132:133] op_sel_hi:[1,0,1]
	v_pk_mul_f32 v[134:135], v[126:127] /*v[382:383]*/, v[134:135] op_sel_hi:[1,0]
	s_set_vgpr_msb 0                        ;  msbs: dst=0 src0=0 src1=0 src2=0
	v_mov_b32_e32 v143, v141
	s_set_vgpr_msb 1                        ;  msbs: dst=0 src0=1 src1=0 src2=0
	v_pk_fma_f32 v[132:133], v[62:63] /*v[318:319]*/, v[246:247], v[132:133] neg_lo:[0,0,1] neg_hi:[0,0,1]
	s_set_vgpr_msb 0                        ;  msbs: dst=0 src0=0 src1=0 src2=0
	v_pk_add_f32 v[130:131], v[130:131], v[138:139]
	v_mov_b32_e32 v133, v137
	s_set_vgpr_msb 1                        ;  msbs: dst=0 src0=1 src1=0 src2=0
	v_pk_fma_f32 v[136:137], v[64:65] /*v[320:321]*/, v[248:249], v[134:135] op_sel_hi:[1,0,1]
	s_wait_loadcnt_dscnt 0x100
	s_set_vgpr_msb 5                        ;  msbs: dst=0 src0=1 src1=1 src2=0
	v_pk_mul_f32 v[138:139], v[118:119] /*v[374:375]*/, v[114:115] /*v[370:371]*/ op_sel:[1,1] op_sel_hi:[0,1]
	s_set_vgpr_msb 1                        ;  msbs: dst=0 src0=1 src1=0 src2=0
	v_pk_fma_f32 v[134:135], v[64:65] /*v[320:321]*/, v[248:249], v[134:135] neg_lo:[0,0,1] neg_hi:[0,0,1]
	s_set_vgpr_msb 0                        ;  msbs: dst=0 src0=0 src1=0 src2=0
	v_pk_add_f32 v[130:131], v[130:131], v[142:143]
	v_mov_b32_e32 v135, v137
	s_set_vgpr_msb 5                        ;  msbs: dst=0 src0=1 src1=1 src2=0
	v_pk_fma_f32 v[136:137], v[118:119] /*v[374:375]*/, v[114:115] /*v[370:371]*/, v[138:139] neg_lo:[0,0,1] neg_hi:[0,0,1]
	s_set_vgpr_msb 0                        ;  msbs: dst=0 src0=0 src1=0 src2=0
	v_pk_add_f32 v[130:131], v[130:131], v[132:133]
	s_set_vgpr_msb 5                        ;  msbs: dst=0 src0=1 src1=1 src2=0
	v_pk_fma_f32 v[132:133], v[118:119] /*v[374:375]*/, v[114:115] /*v[370:371]*/, v[138:139] op_sel_hi:[1,0,1]
	s_set_vgpr_msb 0                        ;  msbs: dst=0 src0=0 src1=0 src2=0
	s_delay_alu instid0(VALU_DEP_2) | instskip(NEXT) | instid1(VALU_DEP_2)
	v_pk_add_f32 v[130:131], v[130:131], v[134:135]
	v_mov_b32_e32 v137, v133
	s_delay_alu instid0(VALU_DEP_1) | instskip(SKIP_2) | instid1(VALU_DEP_1)
	v_pk_add_f32 v[130:131], v[130:131], v[136:137]
	s_wait_loadcnt 0x0
	s_set_vgpr_msb 1                        ;  msbs: dst=0 src0=1 src1=0 src2=0
	v_pk_add_f32 v[130:131], v[116:117] /*v[372:373]*/, v[130:131] neg_lo:[0,1] neg_hi:[0,1]
	scratch_store_b64 off, v[130:131], off offset:8
	s_wait_xcnt 0x0
	v_cmpx_ne_u32_e32 0, v0
	s_set_vgpr_msb 0                        ;  msbs: dst=0 src0=0 src1=0 src2=0
	s_cbranch_execz .LBB62_391
; %bb.390:
	scratch_load_b64 v[130:131], off, off
	v_mov_b64_e32 v[132:133], 0
	scratch_store_b64 off, v[132:133], off
	s_wait_loadcnt 0x0
	ds_store_b64 v1, v[130:131]
.LBB62_391:
	s_wait_xcnt 0x0
	s_or_b32 exec_lo, exec_lo, s0
	s_wait_storecnt_dscnt 0x0
	s_barrier_signal -1
	s_barrier_wait -1
	s_clause 0x1a
	scratch_load_b128 v[130:133], off, off offset:8
	scratch_load_b128 v[134:137], off, off offset:24
	;; [unrolled: 1-line block ×27, first 2 shown]
	ds_load_2addr_b64 v[238:241], v128 offset0:65 offset1:66
	ds_load_2addr_b64 v[242:245], v128 offset0:67 offset1:68
	;; [unrolled: 1-line block ×5, first 2 shown]
	s_set_vgpr_msb 64                       ;  msbs: dst=1 src0=0 src1=0 src2=0
	ds_load_2addr_b64 v[2:5] /*v[258:261]*/, v128 offset0:75 offset1:76
	ds_load_2addr_b64 v[6:9] /*v[262:265]*/, v128 offset0:77 offset1:78
	ds_load_2addr_b64 v[10:13] /*v[266:269]*/, v128 offset0:79 offset1:80
	ds_load_2addr_b64 v[14:17] /*v[270:273]*/, v128 offset0:81 offset1:82
	ds_load_2addr_b64 v[18:21] /*v[274:277]*/, v128 offset0:83 offset1:84
	ds_load_2addr_b64 v[22:25] /*v[278:281]*/, v128 offset0:85 offset1:86
	ds_load_2addr_b64 v[26:29] /*v[282:285]*/, v128 offset0:87 offset1:88
	ds_load_2addr_b64 v[30:33] /*v[286:289]*/, v128 offset0:89 offset1:90
	ds_load_2addr_b64 v[34:37] /*v[290:293]*/, v128 offset0:91 offset1:92
	ds_load_2addr_b64 v[38:41] /*v[294:297]*/, v128 offset0:117 offset1:118
	ds_load_2addr_b64 v[42:45] /*v[298:301]*/, v128 offset0:119 offset1:120
	ds_load_2addr_b64 v[46:49] /*v[302:305]*/, v128 offset0:93 offset1:94
	ds_load_2addr_b64 v[50:53] /*v[306:309]*/, v128 offset0:95 offset1:96
	ds_load_2addr_b64 v[54:57] /*v[310:313]*/, v128 offset0:121 offset1:122
	scratch_load_b128 v[58:61] /*v[314:317]*/, off, off offset:440
	ds_load_2addr_b64 v[62:65] /*v[318:321]*/, v128 offset0:123 offset1:124
	ds_load_2addr_b64 v[66:69] /*v[322:325]*/, v128 offset0:125 offset1:126
	;; [unrolled: 1-line block ×12, first 2 shown]
	s_clause 0x4
	scratch_load_b128 v[110:113] /*v[366:369]*/, off, off offset:456
	scratch_load_b128 v[114:117] /*v[370:373]*/, off, off offset:472
	;; [unrolled: 1-line block ×3, first 2 shown]
	s_set_vgpr_msb 0                        ;  msbs: dst=0 src0=0 src1=0 src2=0
	scratch_load_b64 v[0:1], off, off
	s_and_b32 vcc_lo, exec_lo, s18
	s_wait_dscnt 0xb
	s_set_vgpr_msb 0x41                     ;  msbs: dst=1 src0=1 src1=0 src2=0
	v_dual_mov_b32 v124 /*v380*/, v65 /*v321*/ :: v_dual_mov_b32 v125 /*v381*/, v64 /*v320*/
	s_wait_dscnt 0xa
	v_dual_mov_b32 v126 /*v382*/, v69 /*v325*/ :: v_dual_mov_b32 v127 /*v383*/, v68 /*v324*/
	s_set_vgpr_msb 1                        ;  msbs: dst=0 src0=1 src1=0 src2=0
	v_dual_mov_b32 v128, v45 /*v301*/ :: v_dual_mov_b32 v129, v44 /*v300*/
	s_set_vgpr_msb 0x41                     ;  msbs: dst=1 src0=1 src1=0 src2=0
	v_dual_mov_b32 v122 /*v378*/, v57 /*v313*/ :: v_dual_mov_b32 v123 /*v379*/, v56 /*v312*/
	s_wait_loadcnt 0x1f
	s_set_vgpr_msb 64                       ;  msbs: dst=1 src0=0 src1=0 src2=0
	v_dual_mul_f32 v128 /*v384*/, v238, v131 :: v_dual_mul_f32 v130 /*v386*/, v240, v133
	s_set_vgpr_msb 0                        ;  msbs: dst=0 src0=0 src1=0 src2=0
	v_dual_mul_f32 v131, v239, v131 :: v_dual_mul_f32 v133, v241, v133
	s_wait_loadcnt 0x1c
	s_set_vgpr_msb 64                       ;  msbs: dst=1 src0=0 src1=0 src2=0
	v_dual_mul_f32 v136 /*v392*/, v250, v143 :: v_dual_mul_f32 v137 /*v393*/, v252, v145
	s_wait_loadcnt 0x1b
	v_dual_mul_f32 v138 /*v394*/, v254, v147 :: v_dual_fmac_f32 v128 /*v384*/, v239, v130
	s_set_vgpr_msb 0                        ;  msbs: dst=0 src0=0 src1=0 src2=0
	v_dual_mul_f32 v143, v251, v143 :: v_dual_fma_f32 v130, v238, v130, -v131
	s_set_vgpr_msb 64                       ;  msbs: dst=1 src0=0 src1=0 src2=0
	v_dual_mul_f32 v132 /*v388*/, v242, v135 :: v_dual_mul_f32 v133 /*v389*/, v244, v137
	s_set_vgpr_msb 0                        ;  msbs: dst=0 src0=0 src1=0 src2=0
	v_dual_mul_f32 v135, v243, v135 :: v_dual_mul_f32 v137, v245, v137
	v_mul_f32_e32 v131, v253, v145
	s_set_vgpr_msb 64                       ;  msbs: dst=1 src0=0 src1=0 src2=0
	v_dual_fmac_f32 v130 /*v386*/, v241, v132 :: v_dual_fmac_f32 v132 /*v388*/, v243, v134
	s_set_vgpr_msb 0                        ;  msbs: dst=0 src0=0 src1=0 src2=0
	v_dual_fma_f32 v132, v240, v132, -v133 :: v_dual_add_f32 v130, 0, v130
	v_dual_mul_f32 v145, v255, v147 :: v_dual_fma_f32 v134, v242, v134, -v135
	v_fma_f32 v135, v244, v136, -v137
	s_set_vgpr_msb 64                       ;  msbs: dst=1 src0=0 src1=0 src2=0
	v_dual_mul_f32 v134 /*v390*/, v246, v139 :: v_dual_mul_f32 v135 /*v391*/, v248, v141
	s_set_vgpr_msb 0                        ;  msbs: dst=0 src0=0 src1=0 src2=0
	v_dual_add_f32 v130, v130, v132 :: v_dual_mul_f32 v139, v247, v139
	v_mul_f32_e32 v141, v249, v141
	s_set_vgpr_msb 64                       ;  msbs: dst=1 src0=0 src1=0 src2=0
	v_dual_fmac_f32 v133 /*v389*/, v245, v136 :: v_dual_fmac_f32 v134 /*v390*/, v247, v138
	s_set_vgpr_msb 0                        ;  msbs: dst=0 src0=0 src1=0 src2=0
	v_add_f32_e32 v130, v130, v134
	v_dual_fma_f32 v136, v246, v138, -v139 :: v_dual_fma_f32 v137, v248, v140, -v141
	v_fma_f32 v131, v252, v144, -v131
	v_fma_f32 v138, v250, v142, -v143
	s_delay_alu instid0(VALU_DEP_4)
	v_add_f32_e32 v130, v130, v135
	s_wait_loadcnt 0x1a
	s_set_vgpr_msb 1                        ;  msbs: dst=0 src0=1 src1=0 src2=0
	v_dual_mul_f32 v132, v1 /*v257*/, v149 :: v_dual_mul_f32 v134, v3 /*v259*/, v151
	s_set_vgpr_msb 0                        ;  msbs: dst=0 src0=0 src1=0 src2=0
	v_fma_f32 v139, v254, v146, -v145
	s_set_vgpr_msb 1                        ;  msbs: dst=0 src0=1 src1=0 src2=0
	v_mul_f32_e32 v135, v5 /*v261*/, v153
	s_set_vgpr_msb 0                        ;  msbs: dst=0 src0=0 src1=0 src2=0
	v_add_f32_e32 v130, v130, v136
	s_wait_loadcnt 0x19
	s_set_vgpr_msb 1                        ;  msbs: dst=0 src0=1 src1=0 src2=0
	v_dual_mul_f32 v136, v7 /*v263*/, v155 :: v_dual_fma_f32 v132, v0 /*v256*/, v148, -v132
	s_set_vgpr_msb 64                       ;  msbs: dst=1 src0=0 src1=0 src2=0
	v_dual_fmac_f32 v135 /*v391*/, v249, v140 :: v_dual_fmac_f32 v136 /*v392*/, v251, v142
	s_set_vgpr_msb 0                        ;  msbs: dst=0 src0=0 src1=0 src2=0
	v_add_f32_e32 v130, v130, v137
	s_set_vgpr_msb 1                        ;  msbs: dst=0 src0=1 src1=0 src2=0
	v_dual_mul_f32 v137, v9 /*v265*/, v157 :: v_dual_fma_f32 v134, v2 /*v258*/, v150, -v134
	s_set_vgpr_msb 4                        ;  msbs: dst=0 src0=0 src1=1 src2=0
	v_add_f32_e32 v133, 0, v128 /*v384*/
	s_set_vgpr_msb 64                       ;  msbs: dst=1 src0=0 src1=0 src2=0
	v_dual_fmac_f32 v137 /*v393*/, v253, v144 :: v_dual_fmac_f32 v138 /*v394*/, v255, v146
	s_set_vgpr_msb 0                        ;  msbs: dst=0 src0=0 src1=0 src2=0
	v_add_f32_e32 v130, v130, v138
	s_wait_loadcnt 0x18
	s_set_vgpr_msb 1                        ;  msbs: dst=0 src0=1 src1=0 src2=0
	v_dual_fma_f32 v135, v4 /*v260*/, v152, -v135 :: v_dual_mul_f32 v138, v11 /*v267*/, v159
	s_set_vgpr_msb 0x41                     ;  msbs: dst=1 src0=1 src1=0 src2=0
	v_dual_mul_f32 v139 /*v395*/, v0 /*v256*/, v149 :: v_dual_mul_f32 v140 /*v396*/, v2 /*v258*/, v151
	s_set_vgpr_msb 0                        ;  msbs: dst=0 src0=0 src1=0 src2=0
	v_add_f32_e32 v130, v130, v131
	s_set_vgpr_msb 1                        ;  msbs: dst=0 src0=1 src1=0 src2=0
	v_dual_mul_f32 v131, v13 /*v269*/, v161 :: v_dual_fma_f32 v136, v6 /*v262*/, v154, -v136
	s_wait_loadcnt 0x5
	s_set_vgpr_msb 0x41                     ;  msbs: dst=1 src0=1 src1=0 src2=0
	v_dual_mul_f32 v131 /*v387*/, v40 /*v296*/, v237 :: v_dual_fmac_f32 v139 /*v395*/, v1 /*v257*/, v148
	s_set_vgpr_msb 0                        ;  msbs: dst=0 src0=0 src1=0 src2=0
	v_add_f32_e32 v130, v130, v139
	s_set_vgpr_msb 1                        ;  msbs: dst=0 src0=1 src1=0 src2=0
	v_dual_mul_f32 v139, v15 /*v271*/, v163 :: v_dual_fma_f32 v137, v8 /*v264*/, v156, -v137
	s_set_vgpr_msb 0x41                     ;  msbs: dst=1 src0=1 src1=0 src2=0
	v_dual_mul_f32 v141 /*v397*/, v4 /*v260*/, v153 :: v_dual_mul_f32 v142 /*v398*/, v6 /*v262*/, v155
	s_set_vgpr_msb 0                        ;  msbs: dst=0 src0=0 src1=0 src2=0
	v_add_f32_e32 v130, v130, v132
	s_set_vgpr_msb 1                        ;  msbs: dst=0 src0=1 src1=0 src2=0
	v_dual_mul_f32 v132, v17 /*v273*/, v165 :: v_dual_fma_f32 v138, v10 /*v266*/, v158, -v138
	s_set_vgpr_msb 0x41                     ;  msbs: dst=1 src0=1 src1=0 src2=0
	v_dual_fmac_f32 v140 /*v396*/, v3 /*v259*/, v150 :: v_dual_fmac_f32 v141 /*v397*/, v5 /*v261*/, v152
	s_set_vgpr_msb 0                        ;  msbs: dst=0 src0=0 src1=0 src2=0
	v_add_f32_e32 v130, v130, v134
	s_set_vgpr_msb 1                        ;  msbs: dst=0 src0=1 src1=0 src2=0
	v_dual_mul_f32 v134, v19 /*v275*/, v167 :: v_dual_fma_f32 v131, v12 /*v268*/, v160, -v131
	s_set_vgpr_msb 0x41                     ;  msbs: dst=1 src0=1 src1=0 src2=0
	v_dual_mul_f32 v143 /*v399*/, v8 /*v264*/, v157 :: v_dual_mul_f32 v144 /*v400*/, v10 /*v266*/, v159
	s_set_vgpr_msb 0                        ;  msbs: dst=0 src0=0 src1=0 src2=0
	v_add_f32_e32 v130, v130, v135
	s_set_vgpr_msb 1                        ;  msbs: dst=0 src0=1 src1=0 src2=0
	v_dual_mul_f32 v135, v21 /*v277*/, v169 :: v_dual_fma_f32 v139, v14 /*v270*/, v162, -v139
	s_set_vgpr_msb 0x41                     ;  msbs: dst=1 src0=1 src1=0 src2=0
	v_dual_fmac_f32 v142 /*v398*/, v7 /*v263*/, v154 :: v_dual_fmac_f32 v143 /*v399*/, v9 /*v265*/, v156
	;; [unrolled: 12-line block ×8, first 2 shown]
	s_set_vgpr_msb 0                        ;  msbs: dst=0 src0=0 src1=0 src2=0
	v_add_f32_e32 v130, v130, v139
	s_wait_dscnt 0x9
	s_set_vgpr_msb 1                        ;  msbs: dst=0 src0=1 src1=0 src2=0
	v_dual_mul_f32 v139, v71 /*v327*/, v195 :: v_dual_fma_f32 v137, v48 /*v304*/, v188, -v137
	s_set_vgpr_msb 0x41                     ;  msbs: dst=1 src0=1 src1=0 src2=0
	v_dual_mul_f32 v157 /*v413*/, v36 /*v292*/, v185 :: v_dual_mul_f32 v158 /*v414*/, v46 /*v302*/, v187
	s_set_vgpr_msb 0                        ;  msbs: dst=0 src0=0 src1=0 src2=0
	v_add_f32_e32 v130, v130, v132
	s_set_vgpr_msb 1                        ;  msbs: dst=0 src0=1 src1=0 src2=0
	v_dual_mul_f32 v132, v73 /*v329*/, v197 :: v_dual_fma_f32 v138, v50 /*v306*/, v190, -v138
	s_set_vgpr_msb 0x41                     ;  msbs: dst=1 src0=1 src1=0 src2=0
	v_dual_fmac_f32 v156 /*v412*/, v35 /*v291*/, v182 :: v_dual_fmac_f32 v157 /*v413*/, v37 /*v293*/, v184
	s_set_vgpr_msb 0                        ;  msbs: dst=0 src0=0 src1=0 src2=0
	v_add_f32_e32 v130, v130, v134
	s_wait_dscnt 0x8
	s_set_vgpr_msb 1                        ;  msbs: dst=0 src0=1 src1=0 src2=0
	v_dual_mul_f32 v134, v75 /*v331*/, v199 :: v_dual_fma_f32 v131, v52 /*v308*/, v192, -v131
	s_set_vgpr_msb 0x41                     ;  msbs: dst=1 src0=1 src1=0 src2=0
	v_dual_mul_f32 v159 /*v415*/, v48 /*v304*/, v189 :: v_dual_mul_f32 v160 /*v416*/, v50 /*v306*/, v191
	s_set_vgpr_msb 0                        ;  msbs: dst=0 src0=0 src1=0 src2=0
	v_add_f32_e32 v130, v130, v135
	s_set_vgpr_msb 1                        ;  msbs: dst=0 src0=1 src1=0 src2=0
	v_dual_mul_f32 v135, v77 /*v333*/, v201 :: v_dual_fma_f32 v139, v70 /*v326*/, v194, -v139
	s_set_vgpr_msb 0x41                     ;  msbs: dst=1 src0=1 src1=0 src2=0
	v_dual_fmac_f32 v158 /*v414*/, v47 /*v303*/, v186 :: v_dual_fmac_f32 v159 /*v415*/, v49 /*v305*/, v188
	;; [unrolled: 13-line block ×5, first 2 shown]
	s_set_vgpr_msb 0                        ;  msbs: dst=0 src0=0 src1=0 src2=0
	v_add_f32_e32 v130, v130, v134
	s_wait_dscnt 0x4
	s_set_vgpr_msb 1                        ;  msbs: dst=0 src0=1 src1=0 src2=0
	v_dual_mul_f32 v134, v91 /*v347*/, v215 :: v_dual_fma_f32 v131, v84 /*v340*/, v208, -v131
	s_set_vgpr_msb 0x41                     ;  msbs: dst=1 src0=1 src1=0 src2=0
	v_dual_mul_f32 v167 /*v423*/, v80 /*v336*/, v205 :: v_dual_mul_f32 v168 /*v424*/, v82 /*v338*/, v207
	s_set_vgpr_msb 0                        ;  msbs: dst=0 src0=0 src1=0 src2=0
	v_add_f32_e32 v130, v130, v135
	s_set_vgpr_msb 1                        ;  msbs: dst=0 src0=1 src1=0 src2=0
	v_dual_mul_f32 v135, v93 /*v349*/, v217 :: v_dual_fma_f32 v139, v86 /*v342*/, v210, -v139
	s_wait_dscnt 0x1
	v_mul_f32_e32 v140, v105 /*v361*/, v229
	s_set_vgpr_msb 0x41                     ;  msbs: dst=1 src0=1 src1=0 src2=0
	v_dual_fmac_f32 v166 /*v422*/, v79 /*v335*/, v202 :: v_dual_fmac_f32 v167 /*v423*/, v81 /*v337*/, v204
	s_set_vgpr_msb 0                        ;  msbs: dst=0 src0=0 src1=0 src2=0
	v_add_f32_e32 v130, v130, v136
	s_set_vgpr_msb 1                        ;  msbs: dst=0 src0=1 src1=0 src2=0
	v_dual_mul_f32 v136, v95 /*v351*/, v219 :: v_dual_fma_f32 v132, v88 /*v344*/, v212, -v132
	s_wait_dscnt 0x0
	v_mul_f32_e32 v141, v107 /*v363*/, v231
	s_set_vgpr_msb 0x41                     ;  msbs: dst=1 src0=1 src1=0 src2=0
	v_dual_mul_f32 v169 /*v425*/, v84 /*v340*/, v209 :: v_dual_mul_f32 v170 /*v426*/, v86 /*v342*/, v211
	s_set_vgpr_msb 0                        ;  msbs: dst=0 src0=0 src1=0 src2=0
	v_add_f32_e32 v130, v130, v137
	s_set_vgpr_msb 1                        ;  msbs: dst=0 src0=1 src1=0 src2=0
	v_dual_mul_f32 v137, v97 /*v353*/, v221 :: v_dual_fma_f32 v134, v90 /*v346*/, v214, -v134
	v_mul_f32_e32 v142, v109 /*v365*/, v233
	s_set_vgpr_msb 0x41                     ;  msbs: dst=1 src0=1 src1=0 src2=0
	v_dual_fmac_f32 v168 /*v424*/, v83 /*v339*/, v206 :: v_dual_fmac_f32 v169 /*v425*/, v85 /*v341*/, v208
	s_set_vgpr_msb 0                        ;  msbs: dst=0 src0=0 src1=0 src2=0
	v_add_f32_e32 v130, v130, v138
	s_set_vgpr_msb 1                        ;  msbs: dst=0 src0=1 src1=0 src2=0
	v_mul_f32_e32 v138, v99 /*v355*/, v223
	s_set_vgpr_msb 0x41                     ;  msbs: dst=1 src0=1 src1=0 src2=0
	v_dual_mul_f32 v171 /*v427*/, v88 /*v344*/, v213 :: v_dual_mul_f32 v172 /*v428*/, v90 /*v346*/, v215
	v_fmac_f32_e32 v170 /*v426*/, v87 /*v343*/, v210
	s_set_vgpr_msb 0                        ;  msbs: dst=0 src0=0 src1=0 src2=0
	v_add_f32_e32 v130, v130, v131
	s_set_vgpr_msb 1                        ;  msbs: dst=0 src0=1 src1=0 src2=0
	v_mul_f32_e32 v131, v101 /*v357*/, v225
	v_mul_f32_e32 v143, v41 /*v297*/, v237
	s_set_vgpr_msb 0x41                     ;  msbs: dst=1 src0=1 src1=0 src2=0
	v_dual_fmac_f32 v171 /*v427*/, v89 /*v345*/, v212 :: v_dual_mul_f32 v173 /*v429*/, v92 /*v348*/, v217
	v_mul_f32_e32 v174 /*v430*/, v94 /*v350*/, v219
	s_set_vgpr_msb 0                        ;  msbs: dst=0 src0=0 src1=0 src2=0
	v_add_f32_e32 v130, v130, v139
	s_set_vgpr_msb 1                        ;  msbs: dst=0 src0=1 src1=0 src2=0
	v_mul_f32_e32 v139, v103 /*v359*/, v227
	s_set_vgpr_msb 0x41                     ;  msbs: dst=1 src0=1 src1=0 src2=0
	v_dual_fmac_f32 v172 /*v428*/, v91 /*v347*/, v214 :: v_dual_fmac_f32 v173 /*v429*/, v93 /*v349*/, v216
	v_dual_mul_f32 v175 /*v431*/, v96 /*v352*/, v221 :: v_dual_mul_f32 v176 /*v432*/, v98 /*v354*/, v223
	s_set_vgpr_msb 0                        ;  msbs: dst=0 src0=0 src1=0 src2=0
	v_add_f32_e32 v130, v130, v132
	s_set_vgpr_msb 1                        ;  msbs: dst=0 src0=1 src1=0 src2=0
	v_fma_f32 v132, v92 /*v348*/, v216, -v135
	v_fma_f32 v135, v102 /*v358*/, v226, -v139
	s_set_vgpr_msb 0x41                     ;  msbs: dst=1 src0=1 src1=0 src2=0
	v_dual_fmac_f32 v174 /*v430*/, v95 /*v351*/, v218 :: v_dual_fmac_f32 v175 /*v431*/, v97 /*v353*/, v220
	s_set_vgpr_msb 0                        ;  msbs: dst=0 src0=0 src1=0 src2=0
	v_add_f32_e32 v130, v130, v134
	s_set_vgpr_msb 1                        ;  msbs: dst=0 src0=1 src1=0 src2=0
	v_fma_f32 v134, v94 /*v350*/, v218, -v136
	v_dual_fma_f32 v136, v104 /*v360*/, v228, -v140 :: v_dual_fma_f32 v139, v106 /*v362*/, v230, -v141
	s_set_vgpr_msb 0x41                     ;  msbs: dst=1 src0=1 src1=0 src2=0
	v_dual_mul_f32 v177 /*v433*/, v100 /*v356*/, v225 :: v_dual_mul_f32 v178 /*v434*/, v102 /*v358*/, v227
	s_set_vgpr_msb 0                        ;  msbs: dst=0 src0=0 src1=0 src2=0
	v_add_f32_e32 v130, v130, v132
	s_set_vgpr_msb 1                        ;  msbs: dst=0 src0=1 src1=0 src2=0
	v_dual_fma_f32 v132, v96 /*v352*/, v220, -v137 :: v_dual_mul_f32 v137, v39 /*v295*/, v235
	v_fma_f32 v140, v108 /*v364*/, v232, -v142
	s_set_vgpr_msb 0x41                     ;  msbs: dst=1 src0=1 src1=0 src2=0
	v_dual_fmac_f32 v176 /*v432*/, v99 /*v355*/, v222 :: v_dual_fmac_f32 v177 /*v433*/, v101 /*v357*/, v224
	s_set_vgpr_msb 0                        ;  msbs: dst=0 src0=0 src1=0 src2=0
	v_add_f32_e32 v130, v130, v134
	s_set_vgpr_msb 1                        ;  msbs: dst=0 src0=1 src1=0 src2=0
	v_fma_f32 v134, v98 /*v354*/, v222, -v138
	s_set_vgpr_msb 0x41                     ;  msbs: dst=1 src0=1 src1=0 src2=0
	v_dual_mul_f32 v179 /*v435*/, v104 /*v360*/, v229 :: v_dual_mul_f32 v180 /*v436*/, v106 /*v362*/, v231
	v_fmac_f32_e32 v178 /*v434*/, v103 /*v359*/, v226
	s_set_vgpr_msb 0                        ;  msbs: dst=0 src0=0 src1=0 src2=0
	v_add_f32_e32 v130, v130, v132
	s_set_vgpr_msb 1                        ;  msbs: dst=0 src0=1 src1=0 src2=0
	v_fma_f32 v132, v100 /*v356*/, v224, -v131
	s_set_vgpr_msb 0x41                     ;  msbs: dst=1 src0=1 src1=0 src2=0
	v_fma_f32 v128 /*v384*/, v38 /*v294*/, v234, -v137
	v_dual_fmac_f32 v179 /*v435*/, v105 /*v361*/, v228 :: v_dual_mul_f32 v181 /*v437*/, v108 /*v364*/, v233
	v_mul_f32_e32 v129 /*v385*/, v38 /*v294*/, v235
	s_set_vgpr_msb 0                        ;  msbs: dst=0 src0=0 src1=0 src2=0
	v_add_f32_e32 v134, v130, v134
	s_wait_loadcnt 0x4
	s_set_vgpr_msb 5                        ;  msbs: dst=0 src0=1 src1=1 src2=0
	v_pk_mul_f32 v[130:131], v[42:43] /*v[298:299]*/, v[58:59] /*v[314:315]*/ op_sel:[1,1] op_sel_hi:[0,1]
	s_set_vgpr_msb 0x41                     ;  msbs: dst=1 src0=1 src1=0 src2=0
	v_dual_fmac_f32 v180 /*v436*/, v107 /*v363*/, v230 :: v_dual_fmac_f32 v181 /*v437*/, v109 /*v365*/, v232
	v_dual_fmac_f32 v129 /*v385*/, v39 /*v295*/, v234 :: v_dual_fmac_f32 v131 /*v387*/, v41 /*v297*/, v236
	s_set_vgpr_msb 0                        ;  msbs: dst=0 src0=0 src1=0 src2=0
	v_add_f32_e32 v134, v134, v132
	s_set_vgpr_msb 1                        ;  msbs: dst=0 src0=1 src1=0 src2=0
	v_mov_b32_e32 v132, v61 /*v317*/
	s_set_vgpr_msb 4                        ;  msbs: dst=0 src0=0 src1=1 src2=0
	v_add_f32_e32 v133, v133, v130 /*v386*/
	s_set_vgpr_msb 0x41                     ;  msbs: dst=1 src0=1 src1=0 src2=0
	v_fma_f32 v130 /*v386*/, v40 /*v296*/, v236, -v143
	s_set_vgpr_msb 0                        ;  msbs: dst=0 src0=0 src1=0 src2=0
	v_add_f32_e32 v138, v134, v135
	s_wait_loadcnt 0x3
	s_set_vgpr_msb 5                        ;  msbs: dst=0 src0=1 src1=1 src2=0
	v_pk_mul_f32 v[134:135], v[54:55] /*v[310:311]*/, v[110:111] /*v[366:367]*/ op_sel:[1,1] op_sel_hi:[0,1]
	s_set_vgpr_msb 0                        ;  msbs: dst=0 src0=0 src1=0 src2=0
	v_add_f32_e32 v138, v138, v136
	s_set_vgpr_msb 5                        ;  msbs: dst=0 src0=1 src1=1 src2=0
	v_mov_b32_e32 v136, v113 /*v369*/
	v_pk_fma_f32 v[144:145], v[54:55] /*v[310:311]*/, v[110:111] /*v[366:367]*/, v[134:135] op_sel_hi:[1,0,1]
	v_pk_fma_f32 v[134:135], v[54:55] /*v[310:311]*/, v[110:111] /*v[366:367]*/, v[134:135] neg_lo:[0,0,1] neg_hi:[0,0,1]
	s_set_vgpr_msb 0                        ;  msbs: dst=0 src0=0 src1=0 src2=0
	v_add_f32_e32 v142, v138, v139
	s_set_vgpr_msb 1                        ;  msbs: dst=0 src0=1 src1=0 src2=0
	v_pk_mul_f32 v[136:137], v[122:123] /*v[378:379]*/, v[136:137] op_sel_hi:[1,0]
	s_wait_loadcnt 0x2
	s_set_vgpr_msb 5                        ;  msbs: dst=0 src0=1 src1=1 src2=0
	v_pk_mul_f32 v[138:139], v[62:63] /*v[318:319]*/, v[114:115] /*v[370:371]*/ op_sel:[1,1] op_sel_hi:[0,1]
	s_set_vgpr_msb 0                        ;  msbs: dst=0 src0=0 src1=0 src2=0
	v_dual_mov_b32 v135, v145 :: v_dual_add_f32 v140, v142, v140
	s_set_vgpr_msb 5                        ;  msbs: dst=0 src0=1 src1=1 src2=0
	v_pk_fma_f32 v[142:143], v[42:43] /*v[298:299]*/, v[58:59] /*v[314:315]*/, v[130:131] op_sel_hi:[1,0,1]
	v_pk_fma_f32 v[130:131], v[42:43] /*v[298:299]*/, v[58:59] /*v[314:315]*/, v[130:131] neg_lo:[0,0,1] neg_hi:[0,0,1]
	s_set_vgpr_msb 4                        ;  msbs: dst=0 src0=0 src1=1 src2=0
	s_delay_alu instid0(VALU_DEP_2) | instskip(NEXT) | instid1(VALU_DEP_1)
	v_dual_mov_b32 v131, v143 :: v_dual_add_f32 v133, v133, v132 /*v388*/
	v_add_f32_e32 v133, v133, v133 /*v389*/
	s_delay_alu instid0(VALU_DEP_1) | instskip(NEXT) | instid1(VALU_DEP_1)
	v_add_f32_e32 v133, v133, v134 /*v390*/
	v_add_f32_e32 v133, v133, v135 /*v391*/
	s_delay_alu instid0(VALU_DEP_1) | instskip(NEXT) | instid1(VALU_DEP_1)
	v_add_f32_e32 v133, v133, v136 /*v392*/
	;; [unrolled: 3-line block ×24, first 2 shown]
	v_add_f32_e32 v141, v133, v181 /*v437*/
	s_set_vgpr_msb 0                        ;  msbs: dst=0 src0=0 src1=0 src2=0
	v_pk_mul_f32 v[128:129], v[128:129], v[132:133] op_sel_hi:[1,0]
	s_set_vgpr_msb 4                        ;  msbs: dst=0 src0=0 src1=1 src2=0
	s_delay_alu instid0(VALU_DEP_2) | instskip(SKIP_1) | instid1(VALU_DEP_2)
	v_pk_add_f32 v[132:133], v[140:141], v[128:129] /*v[384:385]*/
	s_set_vgpr_msb 5                        ;  msbs: dst=0 src0=1 src1=1 src2=0
	v_pk_fma_f32 v[142:143], v[44:45] /*v[300:301]*/, v[60:61] /*v[316:317]*/, v[128:129] op_sel_hi:[1,0,1]
	v_pk_fma_f32 v[128:129], v[44:45] /*v[300:301]*/, v[60:61] /*v[316:317]*/, v[128:129] neg_lo:[0,0,1] neg_hi:[0,0,1]
	v_mov_b32_e32 v140, v117 /*v373*/
	s_set_vgpr_msb 4                        ;  msbs: dst=0 src0=0 src1=1 src2=0
	v_pk_add_f32 v[132:133], v[132:133], v[130:131] /*v[386:387]*/
	v_mov_b32_e32 v129, v143
	s_set_vgpr_msb 5                        ;  msbs: dst=0 src0=1 src1=1 src2=0
	v_pk_fma_f32 v[142:143], v[56:57] /*v[312:313]*/, v[112:113] /*v[368:369]*/, v[136:137] op_sel_hi:[1,0,1]
	v_pk_fma_f32 v[136:137], v[56:57] /*v[312:313]*/, v[112:113] /*v[368:369]*/, v[136:137] neg_lo:[0,0,1] neg_hi:[0,0,1]
	s_set_vgpr_msb 1                        ;  msbs: dst=0 src0=1 src1=0 src2=0
	v_pk_mul_f32 v[140:141], v[124:125] /*v[380:381]*/, v[140:141] op_sel_hi:[1,0]
	s_set_vgpr_msb 0                        ;  msbs: dst=0 src0=0 src1=0 src2=0
	v_pk_add_f32 v[130:131], v[132:133], v[130:131]
	s_wait_loadcnt 0x1
	s_set_vgpr_msb 5                        ;  msbs: dst=0 src0=1 src1=1 src2=0
	v_pk_mul_f32 v[132:133], v[66:67] /*v[322:323]*/, v[118:119] /*v[374:375]*/ op_sel:[1,1] op_sel_hi:[0,1]
	s_set_vgpr_msb 0                        ;  msbs: dst=0 src0=0 src1=0 src2=0
	v_mov_b32_e32 v137, v143
	v_pk_add_f32 v[128:129], v[130:131], v[128:129]
	s_set_vgpr_msb 5                        ;  msbs: dst=0 src0=1 src1=1 src2=0
	v_pk_fma_f32 v[130:131], v[62:63] /*v[318:319]*/, v[114:115] /*v[370:371]*/, v[138:139] op_sel_hi:[1,0,1]
	v_mov_b32_e32 v130, v121 /*v377*/
	s_set_vgpr_msb 0                        ;  msbs: dst=0 src0=0 src1=0 src2=0
	v_pk_add_f32 v[128:129], v[128:129], v[134:135]
	s_set_vgpr_msb 5                        ;  msbs: dst=0 src0=1 src1=1 src2=0
	v_pk_fma_f32 v[134:135], v[62:63] /*v[318:319]*/, v[114:115] /*v[370:371]*/, v[138:139] neg_lo:[0,0,1] neg_hi:[0,0,1]
	s_set_vgpr_msb 0                        ;  msbs: dst=0 src0=0 src1=0 src2=0
	v_mov_b32_e32 v135, v131
	s_set_vgpr_msb 5                        ;  msbs: dst=0 src0=1 src1=1 src2=0
	v_pk_fma_f32 v[138:139], v[64:65] /*v[320:321]*/, v[116:117] /*v[372:373]*/, v[140:141] op_sel_hi:[1,0,1]
	v_pk_fma_f32 v[140:141], v[64:65] /*v[320:321]*/, v[116:117] /*v[372:373]*/, v[140:141] neg_lo:[0,0,1] neg_hi:[0,0,1]
	s_set_vgpr_msb 0                        ;  msbs: dst=0 src0=0 src1=0 src2=0
	v_pk_add_f32 v[128:129], v[128:129], v[136:137]
	s_set_vgpr_msb 5                        ;  msbs: dst=0 src0=1 src1=1 src2=0
	v_pk_fma_f32 v[136:137], v[66:67] /*v[322:323]*/, v[118:119] /*v[374:375]*/, v[132:133] op_sel_hi:[1,0,1]
	s_set_vgpr_msb 1                        ;  msbs: dst=0 src0=1 src1=0 src2=0
	v_pk_mul_f32 v[130:131], v[126:127] /*v[382:383]*/, v[130:131] op_sel_hi:[1,0]
	s_set_vgpr_msb 0                        ;  msbs: dst=0 src0=0 src1=0 src2=0
	v_mov_b32_e32 v141, v139
	s_set_vgpr_msb 5                        ;  msbs: dst=0 src0=1 src1=1 src2=0
	v_pk_fma_f32 v[132:133], v[66:67] /*v[322:323]*/, v[118:119] /*v[374:375]*/, v[132:133] neg_lo:[0,0,1] neg_hi:[0,0,1]
	s_set_vgpr_msb 0                        ;  msbs: dst=0 src0=0 src1=0 src2=0
	v_pk_add_f32 v[128:129], v[128:129], v[134:135]
	v_mov_b32_e32 v133, v137
	s_set_vgpr_msb 5                        ;  msbs: dst=0 src0=1 src1=1 src2=0
	v_pk_fma_f32 v[134:135], v[68:69] /*v[324:325]*/, v[120:121] /*v[376:377]*/, v[130:131] op_sel_hi:[1,0,1]
	v_pk_fma_f32 v[130:131], v[68:69] /*v[324:325]*/, v[120:121] /*v[376:377]*/, v[130:131] neg_lo:[0,0,1] neg_hi:[0,0,1]
	s_set_vgpr_msb 0                        ;  msbs: dst=0 src0=0 src1=0 src2=0
	v_pk_add_f32 v[128:129], v[128:129], v[140:141]
	s_delay_alu instid0(VALU_DEP_3) | instskip(NEXT) | instid1(VALU_DEP_2)
	v_mov_b32_e32 v131, v135
	v_pk_add_f32 v[128:129], v[128:129], v[132:133]
	s_delay_alu instid0(VALU_DEP_1) | instskip(SKIP_1) | instid1(VALU_DEP_1)
	v_pk_add_f32 v[128:129], v[128:129], v[130:131]
	s_wait_loadcnt 0x0
	v_pk_add_f32 v[0:1], v[0:1], v[128:129] neg_lo:[0,1] neg_hi:[0,1]
	scratch_store_b64 off, v[0:1], off
	s_cbranch_vccz .LBB62_516
; %bb.392:
	s_wait_xcnt 0x0
	v_mov_b32_e32 v0, 0
	global_load_b32 v1, v0, s[2:3] offset:244
	s_wait_loadcnt 0x0
	v_cmp_ne_u32_e32 vcc_lo, 62, v1
	s_cbranch_vccz .LBB62_394
; %bb.393:
	v_lshlrev_b32_e32 v1, 3, v1
	scratch_load_b64 v[128:129], v1, off offset:-8
	scratch_load_b64 v[130:131], off, off offset:488
	s_wait_loadcnt 0x1
	scratch_store_b64 off, v[128:129], off offset:488
	s_wait_loadcnt 0x0
	scratch_store_b64 v1, v[130:131], off offset:-8
.LBB62_394:
	global_load_b32 v0, v0, s[2:3] offset:240
	s_wait_loadcnt 0x0
	v_cmp_eq_u32_e32 vcc_lo, 61, v0
	s_cbranch_vccnz .LBB62_396
; %bb.395:
	s_wait_xcnt 0x0
	v_lshlrev_b32_e32 v0, 3, v0
	s_delay_alu instid0(VALU_DEP_1)
	v_mov_b32_e32 v130, v0
	scratch_load_b64 v[0:1], v130, off offset:-8
	scratch_load_b64 v[128:129], off, off offset:480
	s_wait_loadcnt 0x1
	scratch_store_b64 off, v[0:1], off offset:480
	s_wait_loadcnt 0x0
	scratch_store_b64 v130, v[128:129], off offset:-8
.LBB62_396:
	s_wait_xcnt 0x0
	v_mov_b32_e32 v0, 0
	global_load_b32 v1, v0, s[2:3] offset:236
	s_wait_loadcnt 0x0
	v_cmp_eq_u32_e32 vcc_lo, 60, v1
	s_cbranch_vccnz .LBB62_398
; %bb.397:
	v_lshlrev_b32_e32 v1, 3, v1
	scratch_load_b64 v[128:129], v1, off offset:-8
	scratch_load_b64 v[130:131], off, off offset:472
	s_wait_loadcnt 0x1
	scratch_store_b64 off, v[128:129], off offset:472
	s_wait_loadcnt 0x0
	scratch_store_b64 v1, v[130:131], off offset:-8
.LBB62_398:
	global_load_b32 v0, v0, s[2:3] offset:232
	s_wait_loadcnt 0x0
	v_cmp_eq_u32_e32 vcc_lo, 59, v0
	s_cbranch_vccnz .LBB62_400
; %bb.399:
	s_wait_xcnt 0x0
	v_lshlrev_b32_e32 v0, 3, v0
	s_delay_alu instid0(VALU_DEP_1)
	v_mov_b32_e32 v130, v0
	scratch_load_b64 v[0:1], v130, off offset:-8
	scratch_load_b64 v[128:129], off, off offset:464
	s_wait_loadcnt 0x1
	scratch_store_b64 off, v[0:1], off offset:464
	s_wait_loadcnt 0x0
	scratch_store_b64 v130, v[128:129], off offset:-8
.LBB62_400:
	s_wait_xcnt 0x0
	v_mov_b32_e32 v0, 0
	global_load_b32 v1, v0, s[2:3] offset:228
	s_wait_loadcnt 0x0
	v_cmp_eq_u32_e32 vcc_lo, 58, v1
	s_cbranch_vccnz .LBB62_402
; %bb.401:
	v_lshlrev_b32_e32 v1, 3, v1
	scratch_load_b64 v[128:129], v1, off offset:-8
	scratch_load_b64 v[130:131], off, off offset:456
	s_wait_loadcnt 0x1
	scratch_store_b64 off, v[128:129], off offset:456
	s_wait_loadcnt 0x0
	scratch_store_b64 v1, v[130:131], off offset:-8
.LBB62_402:
	;; [unrolled: 31-line block ×30, first 2 shown]
	global_load_b32 v128, v0, s[2:3]
	scratch_load_b64 v[0:1], off, off
	s_wait_loadcnt 0x1
	v_cmp_eq_u32_e32 vcc_lo, 1, v128
	s_cbranch_vccnz .LBB62_516
; %bb.515:
	v_lshlrev_b32_e32 v128, 3, v128
	s_delay_alu instid0(VALU_DEP_1)
	v_mov_b32_e32 v130, v128
	scratch_load_b64 v[128:129], v130, off offset:-8
	s_wait_loadcnt 0x0
	scratch_store_b64 off, v[128:129], off
	scratch_store_b64 v130, v[0:1], off offset:-8
	scratch_load_b64 v[0:1], off, off
.LBB62_516:
	v_lshl_add_u64 v[128:129], v[4:5], 3, s[4:5]
	v_lshl_add_u64 v[130:131], v[8:9], 3, s[4:5]
	;; [unrolled: 1-line block ×4, first 2 shown]
	s_clause 0x1e
	scratch_load_b128 v[124:127], off, off offset:8
	scratch_load_b128 v[132:135], off, off offset:24
	;; [unrolled: 1-line block ×31, first 2 shown]
	v_lshl_add_u64 v[10:11], v[10:11], 3, s[4:5]
	v_lshl_add_u64 v[12:13], v[12:13], 3, s[4:5]
	v_lshl_add_u64 v[14:15], v[14:15], 3, s[4:5]
	v_lshl_add_u64 v[16:17], v[16:17], 3, s[4:5]
	v_lshl_add_u64 v[18:19], v[18:19], 3, s[4:5]
	v_lshl_add_u64 v[20:21], v[20:21], 3, s[4:5]
	v_lshl_add_u64 v[22:23], v[22:23], 3, s[4:5]
	v_lshl_add_u64 v[24:25], v[24:25], 3, s[4:5]
	v_lshl_add_u64 v[26:27], v[26:27], 3, s[4:5]
	v_lshl_add_u64 v[28:29], v[28:29], 3, s[4:5]
	v_lshl_add_u64 v[30:31], v[30:31], 3, s[4:5]
	v_lshl_add_u64 v[32:33], v[32:33], 3, s[4:5]
	v_lshl_add_u64 v[34:35], v[34:35], 3, s[4:5]
	v_lshl_add_u64 v[36:37], v[36:37], 3, s[4:5]
	v_lshl_add_u64 v[38:39], v[38:39], 3, s[4:5]
	v_lshl_add_u64 v[40:41], v[40:41], 3, s[4:5]
	v_lshl_add_u64 v[42:43], v[42:43], 3, s[4:5]
	v_lshl_add_u64 v[44:45], v[44:45], 3, s[4:5]
	v_lshl_add_u64 v[46:47], v[46:47], 3, s[4:5]
	v_lshl_add_u64 v[48:49], v[48:49], 3, s[4:5]
	v_lshl_add_u64 v[50:51], v[50:51], 3, s[4:5]
	v_lshl_add_u64 v[52:53], v[52:53], 3, s[4:5]
	v_lshl_add_u64 v[54:55], v[54:55], 3, s[4:5]
	v_lshl_add_u64 v[56:57], v[56:57], 3, s[4:5]
	v_lshl_add_u64 v[58:59], v[58:59], 3, s[4:5]
	v_lshl_add_u64 v[60:61], v[60:61], 3, s[4:5]
	v_lshl_add_u64 v[62:63], v[62:63], 3, s[4:5]
	v_lshl_add_u64 v[64:65], v[64:65], 3, s[4:5]
	v_lshl_add_u64 v[66:67], v[66:67], 3, s[4:5]
	v_lshl_add_u64 v[68:69], v[68:69], 3, s[4:5]
	v_lshl_add_u64 v[70:71], v[70:71], 3, s[4:5]
	v_lshl_add_u64 v[72:73], v[72:73], 3, s[4:5]
	v_lshl_add_u64 v[74:75], v[74:75], 3, s[4:5]
	v_lshl_add_u64 v[76:77], v[76:77], 3, s[4:5]
	v_lshl_add_u64 v[78:79], v[78:79], 3, s[4:5]
	v_lshl_add_u64 v[80:81], v[80:81], 3, s[4:5]
	v_lshl_add_u64 v[82:83], v[82:83], 3, s[4:5]
	v_lshl_add_u64 v[84:85], v[84:85], 3, s[4:5]
	v_lshl_add_u64 v[86:87], v[86:87], 3, s[4:5]
	v_lshl_add_u64 v[88:89], v[88:89], 3, s[4:5]
	v_lshl_add_u64 v[90:91], v[90:91], 3, s[4:5]
	v_lshl_add_u64 v[92:93], v[92:93], 3, s[4:5]
	v_lshl_add_u64 v[94:95], v[94:95], 3, s[4:5]
	v_lshl_add_u64 v[96:97], v[96:97], 3, s[4:5]
	v_lshl_add_u64 v[98:99], v[98:99], 3, s[4:5]
	v_lshl_add_u64 v[100:101], v[100:101], 3, s[4:5]
	v_lshl_add_u64 v[102:103], v[102:103], 3, s[4:5]
	v_lshl_add_u64 v[104:105], v[104:105], 3, s[4:5]
	v_lshl_add_u64 v[106:107], v[106:107], 3, s[4:5]
	v_lshl_add_u64 v[108:109], v[108:109], 3, s[4:5]
	v_lshl_add_u64 v[110:111], v[110:111], 3, s[4:5]
	v_lshl_add_u64 v[112:113], v[112:113], 3, s[4:5]
	v_lshl_add_u64 v[114:115], v[114:115], 3, s[4:5]
	v_lshl_add_u64 v[116:117], v[116:117], 3, s[4:5]
	v_lshl_add_u64 v[118:119], v[118:119], 3, s[4:5]
	v_lshl_add_u64 v[120:121], v[120:121], 3, s[4:5]
	v_lshl_add_u64 v[122:123], v[122:123], 3, s[4:5]
	s_wait_loadcnt 0x1f
	global_store_b64 v[2:3], v[0:1], off
	s_wait_loadcnt 0x1e
	s_clause 0x1
	global_store_b64 v[6:7], v[124:125], off
	global_store_b64 v[128:129], v[126:127], off
	s_wait_loadcnt 0x1d
	s_clause 0x1
	global_store_b64 v[130:131], v[132:133], off
	;; [unrolled: 4-line block ×31, first 2 shown]
	global_store_b64 v[8:9], v[250:251], off
	s_sendmsg sendmsg(MSG_DEALLOC_VGPRS)
	s_endpgm
	.section	.rodata,"a",@progbits
	.p2align	6, 0x0
	.amdhsa_kernel _ZN9rocsolver6v33100L18getri_kernel_smallILi63E19rocblas_complex_numIfEPS3_EEvT1_iilPiilS6_bb
		.amdhsa_group_segment_fixed_size 1016
		.amdhsa_private_segment_fixed_size 512
		.amdhsa_kernarg_size 60
		.amdhsa_user_sgpr_count 2
		.amdhsa_user_sgpr_dispatch_ptr 0
		.amdhsa_user_sgpr_queue_ptr 0
		.amdhsa_user_sgpr_kernarg_segment_ptr 1
		.amdhsa_user_sgpr_dispatch_id 0
		.amdhsa_user_sgpr_kernarg_preload_length 0
		.amdhsa_user_sgpr_kernarg_preload_offset 0
		.amdhsa_user_sgpr_private_segment_size 0
		.amdhsa_wavefront_size32 1
		.amdhsa_uses_dynamic_stack 0
		.amdhsa_enable_private_segment 1
		.amdhsa_system_sgpr_workgroup_id_x 1
		.amdhsa_system_sgpr_workgroup_id_y 0
		.amdhsa_system_sgpr_workgroup_id_z 0
		.amdhsa_system_sgpr_workgroup_info 0
		.amdhsa_system_vgpr_workitem_id 0
		.amdhsa_next_free_vgpr 438
		.amdhsa_next_free_sgpr 19
		.amdhsa_named_barrier_count 0
		.amdhsa_reserve_vcc 1
		.amdhsa_float_round_mode_32 0
		.amdhsa_float_round_mode_16_64 0
		.amdhsa_float_denorm_mode_32 3
		.amdhsa_float_denorm_mode_16_64 3
		.amdhsa_fp16_overflow 0
		.amdhsa_memory_ordered 1
		.amdhsa_forward_progress 1
		.amdhsa_inst_pref_size 255
		.amdhsa_round_robin_scheduling 0
		.amdhsa_exception_fp_ieee_invalid_op 0
		.amdhsa_exception_fp_denorm_src 0
		.amdhsa_exception_fp_ieee_div_zero 0
		.amdhsa_exception_fp_ieee_overflow 0
		.amdhsa_exception_fp_ieee_underflow 0
		.amdhsa_exception_fp_ieee_inexact 0
		.amdhsa_exception_int_div_zero 0
	.end_amdhsa_kernel
	.section	.text._ZN9rocsolver6v33100L18getri_kernel_smallILi63E19rocblas_complex_numIfEPS3_EEvT1_iilPiilS6_bb,"axG",@progbits,_ZN9rocsolver6v33100L18getri_kernel_smallILi63E19rocblas_complex_numIfEPS3_EEvT1_iilPiilS6_bb,comdat
.Lfunc_end62:
	.size	_ZN9rocsolver6v33100L18getri_kernel_smallILi63E19rocblas_complex_numIfEPS3_EEvT1_iilPiilS6_bb, .Lfunc_end62-_ZN9rocsolver6v33100L18getri_kernel_smallILi63E19rocblas_complex_numIfEPS3_EEvT1_iilPiilS6_bb
                                        ; -- End function
	.set _ZN9rocsolver6v33100L18getri_kernel_smallILi63E19rocblas_complex_numIfEPS3_EEvT1_iilPiilS6_bb.num_vgpr, 438
	.set _ZN9rocsolver6v33100L18getri_kernel_smallILi63E19rocblas_complex_numIfEPS3_EEvT1_iilPiilS6_bb.num_agpr, 0
	.set _ZN9rocsolver6v33100L18getri_kernel_smallILi63E19rocblas_complex_numIfEPS3_EEvT1_iilPiilS6_bb.numbered_sgpr, 19
	.set _ZN9rocsolver6v33100L18getri_kernel_smallILi63E19rocblas_complex_numIfEPS3_EEvT1_iilPiilS6_bb.num_named_barrier, 0
	.set _ZN9rocsolver6v33100L18getri_kernel_smallILi63E19rocblas_complex_numIfEPS3_EEvT1_iilPiilS6_bb.private_seg_size, 512
	.set _ZN9rocsolver6v33100L18getri_kernel_smallILi63E19rocblas_complex_numIfEPS3_EEvT1_iilPiilS6_bb.uses_vcc, 1
	.set _ZN9rocsolver6v33100L18getri_kernel_smallILi63E19rocblas_complex_numIfEPS3_EEvT1_iilPiilS6_bb.uses_flat_scratch, 1
	.set _ZN9rocsolver6v33100L18getri_kernel_smallILi63E19rocblas_complex_numIfEPS3_EEvT1_iilPiilS6_bb.has_dyn_sized_stack, 0
	.set _ZN9rocsolver6v33100L18getri_kernel_smallILi63E19rocblas_complex_numIfEPS3_EEvT1_iilPiilS6_bb.has_recursion, 0
	.set _ZN9rocsolver6v33100L18getri_kernel_smallILi63E19rocblas_complex_numIfEPS3_EEvT1_iilPiilS6_bb.has_indirect_call, 0
	.section	.AMDGPU.csdata,"",@progbits
; Kernel info:
; codeLenInByte = 143152
; TotalNumSgprs: 21
; NumVgprs: 438
; ScratchSize: 512
; MemoryBound: 0
; FloatMode: 240
; IeeeMode: 1
; LDSByteSize: 1016 bytes/workgroup (compile time only)
; SGPRBlocks: 0
; VGPRBlocks: 27
; NumSGPRsForWavesPerEU: 21
; NumVGPRsForWavesPerEU: 438
; NamedBarCnt: 0
; Occupancy: 2
; WaveLimiterHint : 1
; COMPUTE_PGM_RSRC2:SCRATCH_EN: 1
; COMPUTE_PGM_RSRC2:USER_SGPR: 2
; COMPUTE_PGM_RSRC2:TRAP_HANDLER: 0
; COMPUTE_PGM_RSRC2:TGID_X_EN: 1
; COMPUTE_PGM_RSRC2:TGID_Y_EN: 0
; COMPUTE_PGM_RSRC2:TGID_Z_EN: 0
; COMPUTE_PGM_RSRC2:TIDIG_COMP_CNT: 0
	.section	.text._ZN9rocsolver6v33100L18getri_kernel_smallILi64E19rocblas_complex_numIfEPS3_EEvT1_iilPiilS6_bb,"axG",@progbits,_ZN9rocsolver6v33100L18getri_kernel_smallILi64E19rocblas_complex_numIfEPS3_EEvT1_iilPiilS6_bb,comdat
	.globl	_ZN9rocsolver6v33100L18getri_kernel_smallILi64E19rocblas_complex_numIfEPS3_EEvT1_iilPiilS6_bb ; -- Begin function _ZN9rocsolver6v33100L18getri_kernel_smallILi64E19rocblas_complex_numIfEPS3_EEvT1_iilPiilS6_bb
	.p2align	8
	.type	_ZN9rocsolver6v33100L18getri_kernel_smallILi64E19rocblas_complex_numIfEPS3_EEvT1_iilPiilS6_bb,@function
_ZN9rocsolver6v33100L18getri_kernel_smallILi64E19rocblas_complex_numIfEPS3_EEvT1_iilPiilS6_bb: ; @_ZN9rocsolver6v33100L18getri_kernel_smallILi64E19rocblas_complex_numIfEPS3_EEvT1_iilPiilS6_bb
; %bb.0:
	s_mov_b32 s2, exec_lo
	v_cmpx_gt_u32_e32 64, v0
	s_cbranch_execz .LBB63_270
; %bb.1:
	s_clause 0x2
	s_load_b32 s2, s[0:1], 0x38
	s_load_b128 s[12:15], s[0:1], 0x10
	s_load_b128 s[4:7], s[0:1], 0x28
	s_getreg_b32 s9, hwreg(HW_REG_IB_STS2, 6, 4)
	s_wait_kmcnt 0x0
	s_bitcmp1_b32 s2, 8
	s_cselect_b32 s18, -1, 0
	s_bfe_u32 s3, ttmp6, 0x4000c
	s_and_b32 s8, ttmp6, 15
	s_add_co_i32 s3, s3, 1
	s_delay_alu instid0(SALU_CYCLE_1) | instskip(NEXT) | instid1(SALU_CYCLE_1)
	s_mul_i32 s3, ttmp9, s3
	s_add_co_i32 s8, s8, s3
	s_cmp_eq_u32 s9, 0
	s_cselect_b32 s16, ttmp9, s8
	s_bfe_u32 s2, s2, 0x10008
	s_ashr_i32 s17, s16, 31
	s_cmp_eq_u32 s2, 0
                                        ; implicit-def: $sgpr2_sgpr3
	s_cbranch_scc1 .LBB63_3
; %bb.2:
	s_load_b32 s2, s[0:1], 0x20
	s_mul_u64 s[4:5], s[4:5], s[16:17]
	s_delay_alu instid0(SALU_CYCLE_1) | instskip(NEXT) | instid1(SALU_CYCLE_1)
	s_lshl_b64 s[4:5], s[4:5], 2
	s_add_nc_u64 s[4:5], s[14:15], s[4:5]
	s_wait_kmcnt 0x0
	s_ashr_i32 s3, s2, 31
	s_delay_alu instid0(SALU_CYCLE_1) | instskip(NEXT) | instid1(SALU_CYCLE_1)
	s_lshl_b64 s[2:3], s[2:3], 2
	s_add_nc_u64 s[2:3], s[4:5], s[2:3]
.LBB63_3:
	s_clause 0x1
	s_load_b128 s[8:11], s[0:1], 0x0
	s_load_b32 s14, s[0:1], 0x38
	s_wait_xcnt 0x0
	s_mul_u64 s[0:1], s[12:13], s[16:17]
	v_lshlrev_b32_e32 v130, 3, v0
	s_lshl_b64 s[0:1], s[0:1], 3
	v_mov_b32_e32 v131, 0
	s_wait_kmcnt 0x0
	v_add3_u32 v6, s11, s11, v0
	s_ashr_i32 s5, s10, 31
	s_mov_b32 s4, s10
	s_add_nc_u64 s[0:1], s[8:9], s[0:1]
	s_lshl_b64 s[4:5], s[4:5], 3
	v_add_nc_u32_e32 v8, s11, v6
	s_add_nc_u64 s[4:5], s[0:1], s[4:5]
	s_ashr_i32 s1, s11, 31
	s_mov_b32 s0, s11
	s_bitcmp0_b32 s14, 0
	v_add_nc_u32_e32 v10, s11, v8
	v_add_nc_u64_e32 v[2:3], s[4:5], v[130:131]
	s_delay_alu instid0(VALU_DEP_2) | instskip(NEXT) | instid1(VALU_DEP_2)
	v_add_nc_u32_e32 v12, s11, v10
	v_lshl_add_u64 v[4:5], s[0:1], 3, v[2:3]
	s_mov_b32 s1, -1
	s_delay_alu instid0(VALU_DEP_2) | instskip(SKIP_4) | instid1(VALU_DEP_1)
	v_add_nc_u32_e32 v14, s11, v12
	s_clause 0x1
	global_load_b64 v[132:133], v0, s[4:5] scale_offset
	global_load_b64 v[134:135], v[4:5], off
	v_add_nc_u32_e32 v16, s11, v14
	v_add_nc_u32_e32 v18, s11, v16
	s_clause 0x3
	global_load_b64 v[136:137], v6, s[4:5] scale_offset
	global_load_b64 v[138:139], v8, s[4:5] scale_offset
	;; [unrolled: 1-line block ×4, first 2 shown]
	v_add_nc_u32_e32 v20, s11, v18
	s_delay_alu instid0(VALU_DEP_1) | instskip(NEXT) | instid1(VALU_DEP_1)
	v_add_nc_u32_e32 v22, s11, v20
	v_add_nc_u32_e32 v24, s11, v22
	s_delay_alu instid0(VALU_DEP_1)
	v_add_nc_u32_e32 v26, s11, v24
	s_clause 0x3
	global_load_b64 v[144:145], v14, s[4:5] scale_offset
	global_load_b64 v[146:147], v16, s[4:5] scale_offset
	;; [unrolled: 1-line block ×4, first 2 shown]
	v_add_nc_u32_e32 v28, s11, v26
	s_delay_alu instid0(VALU_DEP_1)
	v_add_nc_u32_e32 v30, s11, v28
	s_clause 0x3
	global_load_b64 v[152:153], v22, s[4:5] scale_offset
	global_load_b64 v[154:155], v24, s[4:5] scale_offset
	;; [unrolled: 1-line block ×4, first 2 shown]
	v_add_nc_u32_e32 v32, s11, v30
	s_delay_alu instid0(VALU_DEP_1) | instskip(NEXT) | instid1(VALU_DEP_1)
	v_add_nc_u32_e32 v34, s11, v32
	v_add_nc_u32_e32 v36, s11, v34
	s_delay_alu instid0(VALU_DEP_1) | instskip(NEXT) | instid1(VALU_DEP_1)
	v_add_nc_u32_e32 v38, s11, v36
	v_add_nc_u32_e32 v40, s11, v38
	s_delay_alu instid0(VALU_DEP_1)
	v_add_nc_u32_e32 v42, s11, v40
	s_clause 0x3
	global_load_b64 v[160:161], v30, s[4:5] scale_offset
	global_load_b64 v[162:163], v32, s[4:5] scale_offset
	;; [unrolled: 1-line block ×4, first 2 shown]
	v_add_nc_u32_e32 v44, s11, v42
	s_delay_alu instid0(VALU_DEP_1) | instskip(NEXT) | instid1(VALU_DEP_1)
	v_add_nc_u32_e32 v46, s11, v44
	v_add_nc_u32_e32 v48, s11, v46
	s_delay_alu instid0(VALU_DEP_1)
	v_add_nc_u32_e32 v50, s11, v48
	s_clause 0x3
	global_load_b64 v[168:169], v38, s[4:5] scale_offset
	global_load_b64 v[170:171], v40, s[4:5] scale_offset
	;; [unrolled: 1-line block ×4, first 2 shown]
	v_add_nc_u32_e32 v52, s11, v50
	s_delay_alu instid0(VALU_DEP_1)
	v_add_nc_u32_e32 v54, s11, v52
	s_clause 0x3
	global_load_b64 v[176:177], v46, s[4:5] scale_offset
	global_load_b64 v[178:179], v48, s[4:5] scale_offset
	;; [unrolled: 1-line block ×4, first 2 shown]
	v_add_nc_u32_e32 v56, s11, v54
	s_delay_alu instid0(VALU_DEP_1) | instskip(NEXT) | instid1(VALU_DEP_1)
	v_add_nc_u32_e32 v58, s11, v56
	v_add_nc_u32_e32 v60, s11, v58
	s_delay_alu instid0(VALU_DEP_1) | instskip(NEXT) | instid1(VALU_DEP_1)
	v_add_nc_u32_e32 v62, s11, v60
	v_add_nc_u32_e32 v64, s11, v62
	s_delay_alu instid0(VALU_DEP_1)
	v_add_nc_u32_e32 v66, s11, v64
	s_clause 0x3
	global_load_b64 v[184:185], v54, s[4:5] scale_offset
	global_load_b64 v[186:187], v56, s[4:5] scale_offset
	global_load_b64 v[188:189], v58, s[4:5] scale_offset
	global_load_b64 v[190:191], v60, s[4:5] scale_offset
	v_add_nc_u32_e32 v68, s11, v66
	s_delay_alu instid0(VALU_DEP_1) | instskip(NEXT) | instid1(VALU_DEP_1)
	v_add_nc_u32_e32 v70, s11, v68
	v_add_nc_u32_e32 v72, s11, v70
	s_delay_alu instid0(VALU_DEP_1)
	v_add_nc_u32_e32 v74, s11, v72
	s_clause 0x3
	global_load_b64 v[192:193], v62, s[4:5] scale_offset
	global_load_b64 v[194:195], v64, s[4:5] scale_offset
	;; [unrolled: 1-line block ×4, first 2 shown]
	v_add_nc_u32_e32 v76, s11, v74
	s_delay_alu instid0(VALU_DEP_1)
	v_add_nc_u32_e32 v78, s11, v76
	s_clause 0x3
	global_load_b64 v[200:201], v70, s[4:5] scale_offset
	global_load_b64 v[202:203], v72, s[4:5] scale_offset
	;; [unrolled: 1-line block ×4, first 2 shown]
	v_add_nc_u32_e32 v80, s11, v78
	s_delay_alu instid0(VALU_DEP_1) | instskip(NEXT) | instid1(VALU_DEP_1)
	v_add_nc_u32_e32 v82, s11, v80
	v_add_nc_u32_e32 v84, s11, v82
	s_delay_alu instid0(VALU_DEP_1) | instskip(NEXT) | instid1(VALU_DEP_1)
	v_add_nc_u32_e32 v86, s11, v84
	v_add_nc_u32_e32 v88, s11, v86
	s_clause 0x3
	global_load_b64 v[208:209], v78, s[4:5] scale_offset
	global_load_b64 v[210:211], v80, s[4:5] scale_offset
	;; [unrolled: 1-line block ×4, first 2 shown]
	v_add_nc_u32_e32 v90, s11, v88
	s_delay_alu instid0(VALU_DEP_1) | instskip(NEXT) | instid1(VALU_DEP_1)
	v_add_nc_u32_e32 v92, s11, v90
	v_add_nc_u32_e32 v94, s11, v92
	s_delay_alu instid0(VALU_DEP_1) | instskip(NEXT) | instid1(VALU_DEP_1)
	v_add_nc_u32_e32 v96, s11, v94
	v_add_nc_u32_e32 v98, s11, v96
	s_clause 0x3
	global_load_b64 v[216:217], v86, s[4:5] scale_offset
	global_load_b64 v[218:219], v88, s[4:5] scale_offset
	;; [unrolled: 1-line block ×4, first 2 shown]
	v_add_nc_u32_e32 v100, s11, v98
	s_delay_alu instid0(VALU_DEP_1)
	v_add_nc_u32_e32 v102, s11, v100
	s_clause 0x3
	global_load_b64 v[224:225], v94, s[4:5] scale_offset
	global_load_b64 v[226:227], v96, s[4:5] scale_offset
	;; [unrolled: 1-line block ×4, first 2 shown]
	v_add_nc_u32_e32 v104, s11, v102
	s_delay_alu instid0(VALU_DEP_1) | instskip(NEXT) | instid1(VALU_DEP_1)
	v_add_nc_u32_e32 v106, s11, v104
	v_add_nc_u32_e32 v108, s11, v106
	s_delay_alu instid0(VALU_DEP_1) | instskip(NEXT) | instid1(VALU_DEP_1)
	v_add_nc_u32_e32 v110, s11, v108
	v_add_nc_u32_e32 v112, s11, v110
	s_delay_alu instid0(VALU_DEP_1)
	v_add_nc_u32_e32 v114, s11, v112
	s_clause 0x3
	global_load_b64 v[232:233], v102, s[4:5] scale_offset
	global_load_b64 v[234:235], v104, s[4:5] scale_offset
	;; [unrolled: 1-line block ×4, first 2 shown]
	v_add_nc_u32_e32 v116, s11, v114
	s_delay_alu instid0(VALU_DEP_1) | instskip(NEXT) | instid1(VALU_DEP_1)
	v_add_nc_u32_e32 v118, s11, v116
	v_add_nc_u32_e32 v120, s11, v118
	s_delay_alu instid0(VALU_DEP_1)
	v_add_nc_u32_e32 v122, s11, v120
	s_clause 0x3
	global_load_b64 v[240:241], v110, s[4:5] scale_offset
	global_load_b64 v[242:243], v112, s[4:5] scale_offset
	;; [unrolled: 1-line block ×4, first 2 shown]
	v_add_nc_u32_e32 v124, s11, v122
	s_delay_alu instid0(VALU_DEP_1) | instskip(NEXT) | instid1(VALU_DEP_1)
	v_add_nc_u32_e32 v126, s11, v124
	v_add_nc_u32_e32 v128, s11, v126
	s_clause 0x6
	global_load_b64 v[248:249], v118, s[4:5] scale_offset
	global_load_b64 v[250:251], v120, s[4:5] scale_offset
	;; [unrolled: 1-line block ×4, first 2 shown]
	s_set_vgpr_msb 64                       ;  msbs: dst=1 src0=0 src1=0 src2=0
	global_load_b64 v[0:1] /*v[256:257]*/, v126, s[4:5] scale_offset
	global_load_b64 v[2:3] /*v[258:259]*/, v128, s[4:5] scale_offset
	s_wait_loadcnt 0x3e
	scratch_store_b128 off, v[132:135], off
	s_wait_loadcnt 0x3c
	scratch_store_b128 off, v[136:139], off offset:16
	s_wait_loadcnt 0x3a
	scratch_store_b128 off, v[140:143], off offset:32
	;; [unrolled: 2-line block ×30, first 2 shown]
	s_wait_loadcnt 0x0
	s_set_vgpr_msb 4                        ;  msbs: dst=0 src0=0 src1=1 src2=0
	scratch_store_b128 off, v[0:3] /*v[256:259]*/, off offset:496
	s_set_vgpr_msb 0                        ;  msbs: dst=0 src0=0 src1=0 src2=0
	s_cbranch_scc1 .LBB63_268
; %bb.4:
	v_cmp_eq_u32_e64 s0, 0, v0
	s_wait_xcnt 0x0
	s_and_saveexec_b32 s1, s0
; %bb.5:
	v_mov_b32_e32 v1, 0
	ds_store_b32 v1, v1 offset:1024
; %bb.6:
	s_or_b32 exec_lo, exec_lo, s1
	s_wait_storecnt_dscnt 0x0
	s_barrier_signal -1
	s_barrier_wait -1
	scratch_load_b64 v[132:133], v0, off scale_offset
	s_wait_loadcnt 0x0
	v_cmp_eq_f32_e32 vcc_lo, 0, v132
	v_cmp_eq_f32_e64 s1, 0, v133
	s_and_b32 s1, vcc_lo, s1
	s_delay_alu instid0(SALU_CYCLE_1)
	s_and_saveexec_b32 s8, s1
	s_cbranch_execz .LBB63_10
; %bb.7:
	v_mov_b32_e32 v1, 0
	s_mov_b32 s9, 0
	ds_load_b32 v7, v1 offset:1024
	s_wait_dscnt 0x0
	v_readfirstlane_b32 s1, v7
	v_add_nc_u32_e32 v7, 1, v0
	s_cmp_eq_u32 s1, 0
	s_delay_alu instid0(VALU_DEP_1) | instskip(SKIP_1) | instid1(SALU_CYCLE_1)
	v_cmp_gt_i32_e32 vcc_lo, s1, v7
	s_cselect_b32 s10, -1, 0
	s_or_b32 s10, s10, vcc_lo
	s_delay_alu instid0(SALU_CYCLE_1)
	s_and_b32 exec_lo, exec_lo, s10
	s_cbranch_execz .LBB63_10
; %bb.8:
	v_mov_b32_e32 v9, s1
.LBB63_9:                               ; =>This Inner Loop Header: Depth=1
	ds_cmpstore_rtn_b32 v9, v1, v7, v9 offset:1024
	s_wait_dscnt 0x0
	v_cmp_ne_u32_e32 vcc_lo, 0, v9
	v_cmp_le_i32_e64 s1, v9, v7
	s_and_b32 s1, vcc_lo, s1
	s_delay_alu instid0(SALU_CYCLE_1) | instskip(NEXT) | instid1(SALU_CYCLE_1)
	s_and_b32 s1, exec_lo, s1
	s_or_b32 s9, s1, s9
	s_delay_alu instid0(SALU_CYCLE_1)
	s_and_not1_b32 exec_lo, exec_lo, s9
	s_cbranch_execnz .LBB63_9
.LBB63_10:
	s_or_b32 exec_lo, exec_lo, s8
	v_mov_b32_e32 v1, 0
	s_barrier_signal -1
	s_barrier_wait -1
	ds_load_b32 v7, v1 offset:1024
	s_and_saveexec_b32 s1, s0
	s_cbranch_execz .LBB63_12
; %bb.11:
	s_lshl_b64 s[8:9], s[16:17], 2
	s_delay_alu instid0(SALU_CYCLE_1)
	s_add_nc_u64 s[8:9], s[6:7], s[8:9]
	s_wait_dscnt 0x0
	global_store_b32 v1, v7, s[8:9]
.LBB63_12:
	s_wait_xcnt 0x0
	s_or_b32 exec_lo, exec_lo, s1
	s_wait_dscnt 0x0
	v_cmp_ne_u32_e32 vcc_lo, 0, v7
	s_mov_b32 s1, 0
	s_cbranch_vccnz .LBB63_268
; %bb.13:
	v_lshl_add_u32 v7, v0, 3, 0
                                        ; implicit-def: $vgpr135
                                        ; implicit-def: $vgpr136
	scratch_load_b64 v[132:133], v7, off
	s_wait_loadcnt 0x0
	v_cmp_ngt_f32_e64 s1, |v132|, |v133|
	s_wait_xcnt 0x0
	s_and_saveexec_b32 s8, s1
	s_delay_alu instid0(SALU_CYCLE_1)
	s_xor_b32 s1, exec_lo, s8
	s_cbranch_execz .LBB63_15
; %bb.14:
	v_div_scale_f32 v1, null, v133, v133, v132
	v_div_scale_f32 v13, vcc_lo, v132, v133, v132
	s_delay_alu instid0(VALU_DEP_2) | instskip(SKIP_1) | instid1(TRANS32_DEP_1)
	v_rcp_f32_e32 v9, v1
	v_nop
	v_fma_f32 v11, -v1, v9, 1.0
	s_delay_alu instid0(VALU_DEP_1) | instskip(NEXT) | instid1(VALU_DEP_1)
	v_fmac_f32_e32 v9, v11, v9
	v_mul_f32_e32 v11, v13, v9
	s_delay_alu instid0(VALU_DEP_1) | instskip(NEXT) | instid1(VALU_DEP_1)
	v_fma_f32 v15, -v1, v11, v13
	v_fmac_f32_e32 v11, v15, v9
	s_delay_alu instid0(VALU_DEP_1) | instskip(NEXT) | instid1(VALU_DEP_1)
	v_fma_f32 v1, -v1, v11, v13
	v_div_fmas_f32 v1, v1, v9, v11
	s_delay_alu instid0(VALU_DEP_1) | instskip(NEXT) | instid1(VALU_DEP_1)
	v_div_fixup_f32 v1, v1, v133, v132
	v_fmac_f32_e32 v133, v132, v1
	s_delay_alu instid0(VALU_DEP_1) | instskip(NEXT) | instid1(VALU_DEP_1)
	v_div_scale_f32 v9, null, v133, v133, -1.0
	v_rcp_f32_e32 v11, v9
	v_nop
	s_delay_alu instid0(TRANS32_DEP_1) | instskip(NEXT) | instid1(VALU_DEP_1)
	v_fma_f32 v13, -v9, v11, 1.0
	v_fmac_f32_e32 v11, v13, v11
	v_div_scale_f32 v13, vcc_lo, -1.0, v133, -1.0
	s_delay_alu instid0(VALU_DEP_1) | instskip(NEXT) | instid1(VALU_DEP_1)
	v_mul_f32_e32 v15, v13, v11
	v_fma_f32 v17, -v9, v15, v13
	s_delay_alu instid0(VALU_DEP_1) | instskip(NEXT) | instid1(VALU_DEP_1)
	v_fmac_f32_e32 v15, v17, v11
	v_fma_f32 v9, -v9, v15, v13
	s_delay_alu instid0(VALU_DEP_1) | instskip(NEXT) | instid1(VALU_DEP_1)
	v_div_fmas_f32 v9, v9, v11, v15
	v_div_fixup_f32 v135, v9, v133, -1.0
                                        ; implicit-def: $vgpr132_vgpr133
	s_delay_alu instid0(VALU_DEP_1) | instskip(NEXT) | instid1(VALU_DEP_1)
	v_mul_f32_e32 v136, v1, v135
	v_xor_b32_e32 v134, 0x80000000, v136
.LBB63_15:
	s_and_not1_saveexec_b32 s1, s1
	s_cbranch_execz .LBB63_17
; %bb.16:
	v_div_scale_f32 v1, null, v132, v132, v133
	v_div_scale_f32 v13, vcc_lo, v133, v132, v133
	s_delay_alu instid0(VALU_DEP_2) | instskip(SKIP_1) | instid1(TRANS32_DEP_1)
	v_rcp_f32_e32 v9, v1
	v_nop
	v_fma_f32 v11, -v1, v9, 1.0
	s_delay_alu instid0(VALU_DEP_1) | instskip(NEXT) | instid1(VALU_DEP_1)
	v_fmac_f32_e32 v9, v11, v9
	v_mul_f32_e32 v11, v13, v9
	s_delay_alu instid0(VALU_DEP_1) | instskip(NEXT) | instid1(VALU_DEP_1)
	v_fma_f32 v15, -v1, v11, v13
	v_fmac_f32_e32 v11, v15, v9
	s_delay_alu instid0(VALU_DEP_1) | instskip(NEXT) | instid1(VALU_DEP_1)
	v_fma_f32 v1, -v1, v11, v13
	v_div_fmas_f32 v1, v1, v9, v11
	s_delay_alu instid0(VALU_DEP_1) | instskip(NEXT) | instid1(VALU_DEP_1)
	v_div_fixup_f32 v1, v1, v132, v133
	v_fmac_f32_e32 v132, v133, v1
	s_delay_alu instid0(VALU_DEP_1) | instskip(SKIP_1) | instid1(VALU_DEP_2)
	v_div_scale_f32 v9, null, v132, v132, 1.0
	v_div_scale_f32 v15, vcc_lo, 1.0, v132, 1.0
	v_rcp_f32_e32 v11, v9
	v_nop
	s_delay_alu instid0(TRANS32_DEP_1) | instskip(NEXT) | instid1(VALU_DEP_1)
	v_fma_f32 v13, -v9, v11, 1.0
	v_fmac_f32_e32 v11, v13, v11
	s_delay_alu instid0(VALU_DEP_1) | instskip(NEXT) | instid1(VALU_DEP_1)
	v_mul_f32_e32 v13, v15, v11
	v_fma_f32 v17, -v9, v13, v15
	s_delay_alu instid0(VALU_DEP_1) | instskip(NEXT) | instid1(VALU_DEP_1)
	v_fmac_f32_e32 v13, v17, v11
	v_fma_f32 v9, -v9, v13, v15
	s_delay_alu instid0(VALU_DEP_1) | instskip(NEXT) | instid1(VALU_DEP_1)
	v_div_fmas_f32 v9, v9, v11, v13
	v_div_fixup_f32 v134, v9, v132, 1.0
	s_delay_alu instid0(VALU_DEP_1)
	v_xor_b32_e32 v136, 0x80000000, v134
	v_mul_f32_e64 v135, v1, -v134
.LBB63_17:
	s_or_b32 exec_lo, exec_lo, s1
	scratch_store_b64 v7, v[134:135], off
	scratch_load_b64 v[132:133], off, off offset:8
	v_xor_b32_e32 v137, 0x80000000, v135
	v_or_b32_e32 v1, 0x200, v130
	s_wait_loadcnt 0x0
	ds_store_2addr_stride64_b64 v130, v[136:137], v[132:133] offset1:1
	s_wait_storecnt_dscnt 0x0
	s_barrier_signal -1
	s_barrier_wait -1
	s_wait_xcnt 0x0
	s_and_saveexec_b32 s1, s0
	s_cbranch_execz .LBB63_19
; %bb.18:
	scratch_load_b64 v[132:133], v7, off
	ds_load_b64 v[134:135], v1
	s_wait_loadcnt_dscnt 0x0
	v_pk_mul_f32 v[138:139], v[134:135], v[132:133] op_sel:[1,1] op_sel_hi:[0,1]
	s_delay_alu instid0(VALU_DEP_1) | instskip(SKIP_2) | instid1(VALU_DEP_3)
	v_pk_fma_f32 v[140:141], v[134:135], v[132:133], v[138:139] op_sel_hi:[1,0,1]
	v_mov_b32_e32 v9, 0
	v_pk_fma_f32 v[132:133], v[134:135], v[132:133], v[138:139] neg_lo:[0,0,1] neg_hi:[0,0,1]
	v_mov_b32_e32 v133, v141
	ds_load_b64 v[136:137], v9 offset:8
	v_pk_add_f32 v[132:133], v[132:133], 0 op_sel_hi:[1,0]
	s_wait_dscnt 0x0
	s_delay_alu instid0(VALU_DEP_1) | instskip(NEXT) | instid1(VALU_DEP_1)
	v_pk_mul_f32 v[134:135], v[132:133], v[136:137] op_sel:[1,1] op_sel_hi:[0,1]
	v_pk_fma_f32 v[138:139], v[132:133], v[136:137], v[134:135] op_sel_hi:[1,0,1]
	v_pk_fma_f32 v[132:133], v[132:133], v[136:137], v[134:135] neg_lo:[0,0,1] neg_hi:[0,0,1]
	s_delay_alu instid0(VALU_DEP_2)
	v_mov_b32_e32 v133, v139
	scratch_store_b64 off, v[132:133], off offset:8
.LBB63_19:
	s_wait_xcnt 0x0
	s_or_b32 exec_lo, exec_lo, s1
	s_wait_storecnt 0x0
	s_barrier_signal -1
	s_barrier_wait -1
	scratch_load_b64 v[132:133], off, off offset:16
	s_mov_b32 s1, exec_lo
	s_wait_loadcnt 0x0
	ds_store_b64 v1, v[132:133]
	s_wait_dscnt 0x0
	s_barrier_signal -1
	s_barrier_wait -1
	v_cmpx_gt_u32_e32 2, v0
	s_cbranch_execz .LBB63_23
; %bb.20:
	scratch_load_b64 v[132:133], v7, off
	ds_load_b64 v[134:135], v1
	s_wait_loadcnt_dscnt 0x0
	v_pk_mul_f32 v[136:137], v[134:135], v[132:133] op_sel:[1,1] op_sel_hi:[0,1]
	s_delay_alu instid0(VALU_DEP_1) | instskip(SKIP_1) | instid1(VALU_DEP_2)
	v_pk_fma_f32 v[138:139], v[134:135], v[132:133], v[136:137] op_sel_hi:[1,0,1]
	v_pk_fma_f32 v[132:133], v[134:135], v[132:133], v[136:137] neg_lo:[0,0,1] neg_hi:[0,0,1]
	v_mov_b32_e32 v133, v139
	s_delay_alu instid0(VALU_DEP_1)
	v_pk_add_f32 v[132:133], v[132:133], 0 op_sel_hi:[1,0]
	s_and_saveexec_b32 s8, s0
	s_cbranch_execz .LBB63_22
; %bb.21:
	scratch_load_b64 v[134:135], off, off offset:8
	v_mov_b32_e32 v7, 0
	ds_load_b64 v[136:137], v7 offset:520
	s_wait_loadcnt_dscnt 0x0
	v_pk_mul_f32 v[138:139], v[136:137], v[134:135] op_sel:[1,1] op_sel_hi:[0,1]
	s_delay_alu instid0(VALU_DEP_1) | instskip(SKIP_1) | instid1(VALU_DEP_2)
	v_pk_fma_f32 v[140:141], v[136:137], v[134:135], v[138:139] op_sel_hi:[1,0,1]
	v_pk_fma_f32 v[134:135], v[136:137], v[134:135], v[138:139] neg_lo:[0,0,1] neg_hi:[0,0,1]
	v_mov_b32_e32 v135, v141
	s_delay_alu instid0(VALU_DEP_1)
	v_pk_add_f32 v[132:133], v[132:133], v[134:135]
.LBB63_22:
	s_or_b32 exec_lo, exec_lo, s8
	v_mov_b32_e32 v7, 0
	ds_load_b64 v[134:135], v7 offset:16
	s_wait_dscnt 0x0
	v_pk_mul_f32 v[136:137], v[132:133], v[134:135] op_sel:[1,1] op_sel_hi:[0,1]
	s_delay_alu instid0(VALU_DEP_1) | instskip(SKIP_1) | instid1(VALU_DEP_2)
	v_pk_fma_f32 v[138:139], v[132:133], v[134:135], v[136:137] op_sel_hi:[1,0,1]
	v_pk_fma_f32 v[132:133], v[132:133], v[134:135], v[136:137] neg_lo:[0,0,1] neg_hi:[0,0,1]
	v_mov_b32_e32 v133, v139
	scratch_store_b64 off, v[132:133], off offset:16
.LBB63_23:
	s_wait_xcnt 0x0
	s_or_b32 exec_lo, exec_lo, s1
	s_wait_storecnt 0x0
	s_barrier_signal -1
	s_barrier_wait -1
	scratch_load_b64 v[132:133], off, off offset:24
	v_add_nc_u32_e32 v7, -1, v0
	s_mov_b32 s0, exec_lo
	s_wait_loadcnt 0x0
	ds_store_b64 v1, v[132:133]
	s_wait_dscnt 0x0
	s_barrier_signal -1
	s_barrier_wait -1
	v_cmpx_gt_u32_e32 3, v0
	s_cbranch_execz .LBB63_27
; %bb.24:
	v_dual_mov_b32 v132, 0 :: v_dual_add_nc_u32 v9, -1, v0
	v_or_b32_e32 v11, 0x200, v130
	v_mov_b32_e32 v13, v130
	s_mov_b32 s1, 0
	s_delay_alu instid0(VALU_DEP_3)
	v_mov_b32_e32 v133, v132
.LBB63_25:                              ; =>This Inner Loop Header: Depth=1
	scratch_load_b64 v[134:135], v13, off
	ds_load_b64 v[136:137], v11
	s_wait_xcnt 0x0
	v_dual_add_nc_u32 v11, 8, v11 :: v_dual_add_nc_u32 v13, 8, v13
	s_wait_loadcnt_dscnt 0x0
	v_pk_mul_f32 v[138:139], v[136:137], v[134:135] op_sel:[1,1] op_sel_hi:[0,1]
	s_delay_alu instid0(VALU_DEP_1) | instskip(SKIP_2) | instid1(VALU_DEP_3)
	v_pk_fma_f32 v[140:141], v[136:137], v[134:135], v[138:139] op_sel_hi:[1,0,1]
	v_add_nc_u32_e32 v9, 1, v9
	v_pk_fma_f32 v[134:135], v[136:137], v[134:135], v[138:139] neg_lo:[0,0,1] neg_hi:[0,0,1]
	v_mov_b32_e32 v135, v141
	s_delay_alu instid0(VALU_DEP_3) | instskip(NEXT) | instid1(VALU_DEP_2)
	v_cmp_lt_u32_e32 vcc_lo, 1, v9
	v_pk_add_f32 v[132:133], v[132:133], v[134:135]
	s_or_b32 s1, vcc_lo, s1
	s_delay_alu instid0(SALU_CYCLE_1)
	s_and_not1_b32 exec_lo, exec_lo, s1
	s_cbranch_execnz .LBB63_25
; %bb.26:
	s_or_b32 exec_lo, exec_lo, s1
	v_mov_b32_e32 v9, 0
	ds_load_b64 v[134:135], v9 offset:24
	s_wait_dscnt 0x0
	v_pk_mul_f32 v[136:137], v[132:133], v[134:135] op_sel:[1,1] op_sel_hi:[0,1]
	s_delay_alu instid0(VALU_DEP_1) | instskip(SKIP_1) | instid1(VALU_DEP_2)
	v_pk_fma_f32 v[138:139], v[132:133], v[134:135], v[136:137] op_sel_hi:[1,0,1]
	v_pk_fma_f32 v[132:133], v[132:133], v[134:135], v[136:137] neg_lo:[0,0,1] neg_hi:[0,0,1]
	v_mov_b32_e32 v133, v139
	scratch_store_b64 off, v[132:133], off offset:24
.LBB63_27:
	s_wait_xcnt 0x0
	s_or_b32 exec_lo, exec_lo, s0
	s_wait_storecnt 0x0
	s_barrier_signal -1
	s_barrier_wait -1
	scratch_load_b64 v[132:133], off, off offset:32
	s_mov_b32 s0, exec_lo
	s_wait_loadcnt 0x0
	ds_store_b64 v1, v[132:133]
	s_wait_dscnt 0x0
	s_barrier_signal -1
	s_barrier_wait -1
	v_cmpx_gt_u32_e32 4, v0
	s_cbranch_execz .LBB63_31
; %bb.28:
	v_dual_mov_b32 v132, 0 :: v_dual_add_nc_u32 v9, -1, v0
	v_or_b32_e32 v11, 0x200, v130
	v_mov_b32_e32 v13, v130
	s_mov_b32 s1, 0
	s_delay_alu instid0(VALU_DEP_3)
	v_mov_b32_e32 v133, v132
.LBB63_29:                              ; =>This Inner Loop Header: Depth=1
	scratch_load_b64 v[134:135], v13, off
	ds_load_b64 v[136:137], v11
	s_wait_xcnt 0x0
	v_dual_add_nc_u32 v11, 8, v11 :: v_dual_add_nc_u32 v13, 8, v13
	s_wait_loadcnt_dscnt 0x0
	v_pk_mul_f32 v[138:139], v[136:137], v[134:135] op_sel:[1,1] op_sel_hi:[0,1]
	s_delay_alu instid0(VALU_DEP_1) | instskip(SKIP_2) | instid1(VALU_DEP_3)
	v_pk_fma_f32 v[140:141], v[136:137], v[134:135], v[138:139] op_sel_hi:[1,0,1]
	v_add_nc_u32_e32 v9, 1, v9
	v_pk_fma_f32 v[134:135], v[136:137], v[134:135], v[138:139] neg_lo:[0,0,1] neg_hi:[0,0,1]
	v_mov_b32_e32 v135, v141
	s_delay_alu instid0(VALU_DEP_3) | instskip(NEXT) | instid1(VALU_DEP_2)
	v_cmp_lt_u32_e32 vcc_lo, 2, v9
	v_pk_add_f32 v[132:133], v[132:133], v[134:135]
	s_or_b32 s1, vcc_lo, s1
	s_delay_alu instid0(SALU_CYCLE_1)
	s_and_not1_b32 exec_lo, exec_lo, s1
	s_cbranch_execnz .LBB63_29
; %bb.30:
	s_or_b32 exec_lo, exec_lo, s1
	v_mov_b32_e32 v9, 0
	ds_load_b64 v[134:135], v9 offset:32
	s_wait_dscnt 0x0
	v_pk_mul_f32 v[136:137], v[132:133], v[134:135] op_sel:[1,1] op_sel_hi:[0,1]
	s_delay_alu instid0(VALU_DEP_1) | instskip(SKIP_1) | instid1(VALU_DEP_2)
	v_pk_fma_f32 v[138:139], v[132:133], v[134:135], v[136:137] op_sel_hi:[1,0,1]
	v_pk_fma_f32 v[132:133], v[132:133], v[134:135], v[136:137] neg_lo:[0,0,1] neg_hi:[0,0,1]
	v_mov_b32_e32 v133, v139
	scratch_store_b64 off, v[132:133], off offset:32
.LBB63_31:
	s_wait_xcnt 0x0
	s_or_b32 exec_lo, exec_lo, s0
	s_wait_storecnt 0x0
	s_barrier_signal -1
	s_barrier_wait -1
	scratch_load_b64 v[132:133], off, off offset:40
	s_mov_b32 s0, exec_lo
	s_wait_loadcnt 0x0
	ds_store_b64 v1, v[132:133]
	s_wait_dscnt 0x0
	s_barrier_signal -1
	s_barrier_wait -1
	v_cmpx_gt_u32_e32 5, v0
	s_cbranch_execz .LBB63_35
; %bb.32:
	v_dual_mov_b32 v132, 0 :: v_dual_add_nc_u32 v9, -1, v0
	v_or_b32_e32 v11, 0x200, v130
	v_mov_b32_e32 v13, v130
	s_mov_b32 s1, 0
	s_delay_alu instid0(VALU_DEP_3)
	v_mov_b32_e32 v133, v132
.LBB63_33:                              ; =>This Inner Loop Header: Depth=1
	scratch_load_b64 v[134:135], v13, off
	ds_load_b64 v[136:137], v11
	s_wait_xcnt 0x0
	v_dual_add_nc_u32 v11, 8, v11 :: v_dual_add_nc_u32 v13, 8, v13
	s_wait_loadcnt_dscnt 0x0
	v_pk_mul_f32 v[138:139], v[136:137], v[134:135] op_sel:[1,1] op_sel_hi:[0,1]
	s_delay_alu instid0(VALU_DEP_1) | instskip(SKIP_2) | instid1(VALU_DEP_3)
	v_pk_fma_f32 v[140:141], v[136:137], v[134:135], v[138:139] op_sel_hi:[1,0,1]
	v_add_nc_u32_e32 v9, 1, v9
	v_pk_fma_f32 v[134:135], v[136:137], v[134:135], v[138:139] neg_lo:[0,0,1] neg_hi:[0,0,1]
	v_mov_b32_e32 v135, v141
	s_delay_alu instid0(VALU_DEP_3) | instskip(NEXT) | instid1(VALU_DEP_2)
	v_cmp_lt_u32_e32 vcc_lo, 3, v9
	v_pk_add_f32 v[132:133], v[132:133], v[134:135]
	s_or_b32 s1, vcc_lo, s1
	s_delay_alu instid0(SALU_CYCLE_1)
	s_and_not1_b32 exec_lo, exec_lo, s1
	s_cbranch_execnz .LBB63_33
; %bb.34:
	s_or_b32 exec_lo, exec_lo, s1
	v_mov_b32_e32 v9, 0
	ds_load_b64 v[134:135], v9 offset:40
	s_wait_dscnt 0x0
	v_pk_mul_f32 v[136:137], v[132:133], v[134:135] op_sel:[1,1] op_sel_hi:[0,1]
	s_delay_alu instid0(VALU_DEP_1) | instskip(SKIP_1) | instid1(VALU_DEP_2)
	v_pk_fma_f32 v[138:139], v[132:133], v[134:135], v[136:137] op_sel_hi:[1,0,1]
	v_pk_fma_f32 v[132:133], v[132:133], v[134:135], v[136:137] neg_lo:[0,0,1] neg_hi:[0,0,1]
	v_mov_b32_e32 v133, v139
	scratch_store_b64 off, v[132:133], off offset:40
.LBB63_35:
	s_wait_xcnt 0x0
	s_or_b32 exec_lo, exec_lo, s0
	s_wait_storecnt 0x0
	s_barrier_signal -1
	s_barrier_wait -1
	scratch_load_b64 v[132:133], off, off offset:48
	s_mov_b32 s0, exec_lo
	s_wait_loadcnt 0x0
	ds_store_b64 v1, v[132:133]
	s_wait_dscnt 0x0
	s_barrier_signal -1
	s_barrier_wait -1
	v_cmpx_gt_u32_e32 6, v0
	s_cbranch_execz .LBB63_39
; %bb.36:
	v_dual_mov_b32 v132, 0 :: v_dual_add_nc_u32 v9, -1, v0
	v_or_b32_e32 v11, 0x200, v130
	v_mov_b32_e32 v13, v130
	s_mov_b32 s1, 0
	s_delay_alu instid0(VALU_DEP_3)
	v_mov_b32_e32 v133, v132
.LBB63_37:                              ; =>This Inner Loop Header: Depth=1
	scratch_load_b64 v[134:135], v13, off
	ds_load_b64 v[136:137], v11
	s_wait_xcnt 0x0
	v_dual_add_nc_u32 v11, 8, v11 :: v_dual_add_nc_u32 v13, 8, v13
	s_wait_loadcnt_dscnt 0x0
	v_pk_mul_f32 v[138:139], v[136:137], v[134:135] op_sel:[1,1] op_sel_hi:[0,1]
	s_delay_alu instid0(VALU_DEP_1) | instskip(SKIP_2) | instid1(VALU_DEP_3)
	v_pk_fma_f32 v[140:141], v[136:137], v[134:135], v[138:139] op_sel_hi:[1,0,1]
	v_add_nc_u32_e32 v9, 1, v9
	v_pk_fma_f32 v[134:135], v[136:137], v[134:135], v[138:139] neg_lo:[0,0,1] neg_hi:[0,0,1]
	v_mov_b32_e32 v135, v141
	s_delay_alu instid0(VALU_DEP_3) | instskip(NEXT) | instid1(VALU_DEP_2)
	v_cmp_lt_u32_e32 vcc_lo, 4, v9
	v_pk_add_f32 v[132:133], v[132:133], v[134:135]
	s_or_b32 s1, vcc_lo, s1
	s_delay_alu instid0(SALU_CYCLE_1)
	s_and_not1_b32 exec_lo, exec_lo, s1
	s_cbranch_execnz .LBB63_37
; %bb.38:
	s_or_b32 exec_lo, exec_lo, s1
	v_mov_b32_e32 v9, 0
	ds_load_b64 v[134:135], v9 offset:48
	s_wait_dscnt 0x0
	v_pk_mul_f32 v[136:137], v[132:133], v[134:135] op_sel:[1,1] op_sel_hi:[0,1]
	s_delay_alu instid0(VALU_DEP_1) | instskip(SKIP_1) | instid1(VALU_DEP_2)
	v_pk_fma_f32 v[138:139], v[132:133], v[134:135], v[136:137] op_sel_hi:[1,0,1]
	v_pk_fma_f32 v[132:133], v[132:133], v[134:135], v[136:137] neg_lo:[0,0,1] neg_hi:[0,0,1]
	v_mov_b32_e32 v133, v139
	scratch_store_b64 off, v[132:133], off offset:48
.LBB63_39:
	s_wait_xcnt 0x0
	s_or_b32 exec_lo, exec_lo, s0
	s_wait_storecnt 0x0
	s_barrier_signal -1
	s_barrier_wait -1
	scratch_load_b64 v[132:133], off, off offset:56
	s_mov_b32 s0, exec_lo
	s_wait_loadcnt 0x0
	ds_store_b64 v1, v[132:133]
	s_wait_dscnt 0x0
	s_barrier_signal -1
	s_barrier_wait -1
	v_cmpx_gt_u32_e32 7, v0
	s_cbranch_execz .LBB63_43
; %bb.40:
	v_dual_mov_b32 v132, 0 :: v_dual_add_nc_u32 v9, -1, v0
	v_or_b32_e32 v11, 0x200, v130
	v_mov_b32_e32 v13, v130
	s_mov_b32 s1, 0
	s_delay_alu instid0(VALU_DEP_3)
	v_mov_b32_e32 v133, v132
.LBB63_41:                              ; =>This Inner Loop Header: Depth=1
	scratch_load_b64 v[134:135], v13, off
	ds_load_b64 v[136:137], v11
	s_wait_xcnt 0x0
	v_dual_add_nc_u32 v11, 8, v11 :: v_dual_add_nc_u32 v13, 8, v13
	s_wait_loadcnt_dscnt 0x0
	v_pk_mul_f32 v[138:139], v[136:137], v[134:135] op_sel:[1,1] op_sel_hi:[0,1]
	s_delay_alu instid0(VALU_DEP_1) | instskip(SKIP_2) | instid1(VALU_DEP_3)
	v_pk_fma_f32 v[140:141], v[136:137], v[134:135], v[138:139] op_sel_hi:[1,0,1]
	v_add_nc_u32_e32 v9, 1, v9
	v_pk_fma_f32 v[134:135], v[136:137], v[134:135], v[138:139] neg_lo:[0,0,1] neg_hi:[0,0,1]
	v_mov_b32_e32 v135, v141
	s_delay_alu instid0(VALU_DEP_3) | instskip(NEXT) | instid1(VALU_DEP_2)
	v_cmp_lt_u32_e32 vcc_lo, 5, v9
	v_pk_add_f32 v[132:133], v[132:133], v[134:135]
	s_or_b32 s1, vcc_lo, s1
	s_delay_alu instid0(SALU_CYCLE_1)
	s_and_not1_b32 exec_lo, exec_lo, s1
	s_cbranch_execnz .LBB63_41
; %bb.42:
	s_or_b32 exec_lo, exec_lo, s1
	v_mov_b32_e32 v9, 0
	ds_load_b64 v[134:135], v9 offset:56
	s_wait_dscnt 0x0
	v_pk_mul_f32 v[136:137], v[132:133], v[134:135] op_sel:[1,1] op_sel_hi:[0,1]
	s_delay_alu instid0(VALU_DEP_1) | instskip(SKIP_1) | instid1(VALU_DEP_2)
	v_pk_fma_f32 v[138:139], v[132:133], v[134:135], v[136:137] op_sel_hi:[1,0,1]
	v_pk_fma_f32 v[132:133], v[132:133], v[134:135], v[136:137] neg_lo:[0,0,1] neg_hi:[0,0,1]
	v_mov_b32_e32 v133, v139
	scratch_store_b64 off, v[132:133], off offset:56
.LBB63_43:
	s_wait_xcnt 0x0
	s_or_b32 exec_lo, exec_lo, s0
	s_wait_storecnt 0x0
	s_barrier_signal -1
	s_barrier_wait -1
	scratch_load_b64 v[132:133], off, off offset:64
	s_mov_b32 s0, exec_lo
	s_wait_loadcnt 0x0
	ds_store_b64 v1, v[132:133]
	s_wait_dscnt 0x0
	s_barrier_signal -1
	s_barrier_wait -1
	v_cmpx_gt_u32_e32 8, v0
	s_cbranch_execz .LBB63_47
; %bb.44:
	v_dual_mov_b32 v132, 0 :: v_dual_add_nc_u32 v9, -1, v0
	v_or_b32_e32 v11, 0x200, v130
	v_mov_b32_e32 v13, v130
	s_mov_b32 s1, 0
	s_delay_alu instid0(VALU_DEP_3)
	v_mov_b32_e32 v133, v132
.LBB63_45:                              ; =>This Inner Loop Header: Depth=1
	scratch_load_b64 v[134:135], v13, off
	ds_load_b64 v[136:137], v11
	s_wait_xcnt 0x0
	v_dual_add_nc_u32 v11, 8, v11 :: v_dual_add_nc_u32 v13, 8, v13
	s_wait_loadcnt_dscnt 0x0
	v_pk_mul_f32 v[138:139], v[136:137], v[134:135] op_sel:[1,1] op_sel_hi:[0,1]
	s_delay_alu instid0(VALU_DEP_1) | instskip(SKIP_2) | instid1(VALU_DEP_3)
	v_pk_fma_f32 v[140:141], v[136:137], v[134:135], v[138:139] op_sel_hi:[1,0,1]
	v_add_nc_u32_e32 v9, 1, v9
	v_pk_fma_f32 v[134:135], v[136:137], v[134:135], v[138:139] neg_lo:[0,0,1] neg_hi:[0,0,1]
	v_mov_b32_e32 v135, v141
	s_delay_alu instid0(VALU_DEP_3) | instskip(NEXT) | instid1(VALU_DEP_2)
	v_cmp_lt_u32_e32 vcc_lo, 6, v9
	v_pk_add_f32 v[132:133], v[132:133], v[134:135]
	s_or_b32 s1, vcc_lo, s1
	s_delay_alu instid0(SALU_CYCLE_1)
	s_and_not1_b32 exec_lo, exec_lo, s1
	s_cbranch_execnz .LBB63_45
; %bb.46:
	s_or_b32 exec_lo, exec_lo, s1
	v_mov_b32_e32 v9, 0
	ds_load_b64 v[134:135], v9 offset:64
	s_wait_dscnt 0x0
	v_pk_mul_f32 v[136:137], v[132:133], v[134:135] op_sel:[1,1] op_sel_hi:[0,1]
	s_delay_alu instid0(VALU_DEP_1) | instskip(SKIP_1) | instid1(VALU_DEP_2)
	v_pk_fma_f32 v[138:139], v[132:133], v[134:135], v[136:137] op_sel_hi:[1,0,1]
	v_pk_fma_f32 v[132:133], v[132:133], v[134:135], v[136:137] neg_lo:[0,0,1] neg_hi:[0,0,1]
	v_mov_b32_e32 v133, v139
	scratch_store_b64 off, v[132:133], off offset:64
.LBB63_47:
	s_wait_xcnt 0x0
	s_or_b32 exec_lo, exec_lo, s0
	s_wait_storecnt 0x0
	s_barrier_signal -1
	s_barrier_wait -1
	scratch_load_b64 v[132:133], off, off offset:72
	s_mov_b32 s0, exec_lo
	s_wait_loadcnt 0x0
	ds_store_b64 v1, v[132:133]
	s_wait_dscnt 0x0
	s_barrier_signal -1
	s_barrier_wait -1
	v_cmpx_gt_u32_e32 9, v0
	s_cbranch_execz .LBB63_51
; %bb.48:
	v_dual_mov_b32 v132, 0 :: v_dual_add_nc_u32 v9, -1, v0
	v_or_b32_e32 v11, 0x200, v130
	v_mov_b32_e32 v13, v130
	s_mov_b32 s1, 0
	s_delay_alu instid0(VALU_DEP_3)
	v_mov_b32_e32 v133, v132
.LBB63_49:                              ; =>This Inner Loop Header: Depth=1
	scratch_load_b64 v[134:135], v13, off
	ds_load_b64 v[136:137], v11
	s_wait_xcnt 0x0
	v_dual_add_nc_u32 v11, 8, v11 :: v_dual_add_nc_u32 v13, 8, v13
	s_wait_loadcnt_dscnt 0x0
	v_pk_mul_f32 v[138:139], v[136:137], v[134:135] op_sel:[1,1] op_sel_hi:[0,1]
	s_delay_alu instid0(VALU_DEP_1) | instskip(SKIP_2) | instid1(VALU_DEP_3)
	v_pk_fma_f32 v[140:141], v[136:137], v[134:135], v[138:139] op_sel_hi:[1,0,1]
	v_add_nc_u32_e32 v9, 1, v9
	v_pk_fma_f32 v[134:135], v[136:137], v[134:135], v[138:139] neg_lo:[0,0,1] neg_hi:[0,0,1]
	v_mov_b32_e32 v135, v141
	s_delay_alu instid0(VALU_DEP_3) | instskip(NEXT) | instid1(VALU_DEP_2)
	v_cmp_lt_u32_e32 vcc_lo, 7, v9
	v_pk_add_f32 v[132:133], v[132:133], v[134:135]
	s_or_b32 s1, vcc_lo, s1
	s_delay_alu instid0(SALU_CYCLE_1)
	s_and_not1_b32 exec_lo, exec_lo, s1
	s_cbranch_execnz .LBB63_49
; %bb.50:
	s_or_b32 exec_lo, exec_lo, s1
	v_mov_b32_e32 v9, 0
	ds_load_b64 v[134:135], v9 offset:72
	s_wait_dscnt 0x0
	v_pk_mul_f32 v[136:137], v[132:133], v[134:135] op_sel:[1,1] op_sel_hi:[0,1]
	s_delay_alu instid0(VALU_DEP_1) | instskip(SKIP_1) | instid1(VALU_DEP_2)
	v_pk_fma_f32 v[138:139], v[132:133], v[134:135], v[136:137] op_sel_hi:[1,0,1]
	v_pk_fma_f32 v[132:133], v[132:133], v[134:135], v[136:137] neg_lo:[0,0,1] neg_hi:[0,0,1]
	v_mov_b32_e32 v133, v139
	scratch_store_b64 off, v[132:133], off offset:72
.LBB63_51:
	s_wait_xcnt 0x0
	s_or_b32 exec_lo, exec_lo, s0
	s_wait_storecnt 0x0
	s_barrier_signal -1
	s_barrier_wait -1
	scratch_load_b64 v[132:133], off, off offset:80
	s_mov_b32 s0, exec_lo
	s_wait_loadcnt 0x0
	ds_store_b64 v1, v[132:133]
	s_wait_dscnt 0x0
	s_barrier_signal -1
	s_barrier_wait -1
	v_cmpx_gt_u32_e32 10, v0
	s_cbranch_execz .LBB63_55
; %bb.52:
	v_dual_mov_b32 v132, 0 :: v_dual_add_nc_u32 v9, -1, v0
	v_or_b32_e32 v11, 0x200, v130
	v_mov_b32_e32 v13, v130
	s_mov_b32 s1, 0
	s_delay_alu instid0(VALU_DEP_3)
	v_mov_b32_e32 v133, v132
.LBB63_53:                              ; =>This Inner Loop Header: Depth=1
	scratch_load_b64 v[134:135], v13, off
	ds_load_b64 v[136:137], v11
	s_wait_xcnt 0x0
	v_dual_add_nc_u32 v11, 8, v11 :: v_dual_add_nc_u32 v13, 8, v13
	s_wait_loadcnt_dscnt 0x0
	v_pk_mul_f32 v[138:139], v[136:137], v[134:135] op_sel:[1,1] op_sel_hi:[0,1]
	s_delay_alu instid0(VALU_DEP_1) | instskip(SKIP_2) | instid1(VALU_DEP_3)
	v_pk_fma_f32 v[140:141], v[136:137], v[134:135], v[138:139] op_sel_hi:[1,0,1]
	v_add_nc_u32_e32 v9, 1, v9
	v_pk_fma_f32 v[134:135], v[136:137], v[134:135], v[138:139] neg_lo:[0,0,1] neg_hi:[0,0,1]
	v_mov_b32_e32 v135, v141
	s_delay_alu instid0(VALU_DEP_3) | instskip(NEXT) | instid1(VALU_DEP_2)
	v_cmp_lt_u32_e32 vcc_lo, 8, v9
	v_pk_add_f32 v[132:133], v[132:133], v[134:135]
	s_or_b32 s1, vcc_lo, s1
	s_delay_alu instid0(SALU_CYCLE_1)
	s_and_not1_b32 exec_lo, exec_lo, s1
	s_cbranch_execnz .LBB63_53
; %bb.54:
	s_or_b32 exec_lo, exec_lo, s1
	v_mov_b32_e32 v9, 0
	ds_load_b64 v[134:135], v9 offset:80
	s_wait_dscnt 0x0
	v_pk_mul_f32 v[136:137], v[132:133], v[134:135] op_sel:[1,1] op_sel_hi:[0,1]
	s_delay_alu instid0(VALU_DEP_1) | instskip(SKIP_1) | instid1(VALU_DEP_2)
	v_pk_fma_f32 v[138:139], v[132:133], v[134:135], v[136:137] op_sel_hi:[1,0,1]
	v_pk_fma_f32 v[132:133], v[132:133], v[134:135], v[136:137] neg_lo:[0,0,1] neg_hi:[0,0,1]
	v_mov_b32_e32 v133, v139
	scratch_store_b64 off, v[132:133], off offset:80
.LBB63_55:
	s_wait_xcnt 0x0
	s_or_b32 exec_lo, exec_lo, s0
	s_wait_storecnt 0x0
	s_barrier_signal -1
	s_barrier_wait -1
	scratch_load_b64 v[132:133], off, off offset:88
	s_mov_b32 s0, exec_lo
	s_wait_loadcnt 0x0
	ds_store_b64 v1, v[132:133]
	s_wait_dscnt 0x0
	s_barrier_signal -1
	s_barrier_wait -1
	v_cmpx_gt_u32_e32 11, v0
	s_cbranch_execz .LBB63_59
; %bb.56:
	v_dual_mov_b32 v132, 0 :: v_dual_add_nc_u32 v9, -1, v0
	v_or_b32_e32 v11, 0x200, v130
	v_mov_b32_e32 v13, v130
	s_mov_b32 s1, 0
	s_delay_alu instid0(VALU_DEP_3)
	v_mov_b32_e32 v133, v132
.LBB63_57:                              ; =>This Inner Loop Header: Depth=1
	scratch_load_b64 v[134:135], v13, off
	ds_load_b64 v[136:137], v11
	s_wait_xcnt 0x0
	v_dual_add_nc_u32 v11, 8, v11 :: v_dual_add_nc_u32 v13, 8, v13
	s_wait_loadcnt_dscnt 0x0
	v_pk_mul_f32 v[138:139], v[136:137], v[134:135] op_sel:[1,1] op_sel_hi:[0,1]
	s_delay_alu instid0(VALU_DEP_1) | instskip(SKIP_2) | instid1(VALU_DEP_3)
	v_pk_fma_f32 v[140:141], v[136:137], v[134:135], v[138:139] op_sel_hi:[1,0,1]
	v_add_nc_u32_e32 v9, 1, v9
	v_pk_fma_f32 v[134:135], v[136:137], v[134:135], v[138:139] neg_lo:[0,0,1] neg_hi:[0,0,1]
	v_mov_b32_e32 v135, v141
	s_delay_alu instid0(VALU_DEP_3) | instskip(NEXT) | instid1(VALU_DEP_2)
	v_cmp_lt_u32_e32 vcc_lo, 9, v9
	v_pk_add_f32 v[132:133], v[132:133], v[134:135]
	s_or_b32 s1, vcc_lo, s1
	s_delay_alu instid0(SALU_CYCLE_1)
	s_and_not1_b32 exec_lo, exec_lo, s1
	s_cbranch_execnz .LBB63_57
; %bb.58:
	s_or_b32 exec_lo, exec_lo, s1
	v_mov_b32_e32 v9, 0
	ds_load_b64 v[134:135], v9 offset:88
	s_wait_dscnt 0x0
	v_pk_mul_f32 v[136:137], v[132:133], v[134:135] op_sel:[1,1] op_sel_hi:[0,1]
	s_delay_alu instid0(VALU_DEP_1) | instskip(SKIP_1) | instid1(VALU_DEP_2)
	v_pk_fma_f32 v[138:139], v[132:133], v[134:135], v[136:137] op_sel_hi:[1,0,1]
	v_pk_fma_f32 v[132:133], v[132:133], v[134:135], v[136:137] neg_lo:[0,0,1] neg_hi:[0,0,1]
	v_mov_b32_e32 v133, v139
	scratch_store_b64 off, v[132:133], off offset:88
.LBB63_59:
	s_wait_xcnt 0x0
	s_or_b32 exec_lo, exec_lo, s0
	s_wait_storecnt 0x0
	s_barrier_signal -1
	s_barrier_wait -1
	scratch_load_b64 v[132:133], off, off offset:96
	s_mov_b32 s0, exec_lo
	s_wait_loadcnt 0x0
	ds_store_b64 v1, v[132:133]
	s_wait_dscnt 0x0
	s_barrier_signal -1
	s_barrier_wait -1
	v_cmpx_gt_u32_e32 12, v0
	s_cbranch_execz .LBB63_63
; %bb.60:
	v_dual_mov_b32 v132, 0 :: v_dual_add_nc_u32 v9, -1, v0
	v_or_b32_e32 v11, 0x200, v130
	v_mov_b32_e32 v13, v130
	s_mov_b32 s1, 0
	s_delay_alu instid0(VALU_DEP_3)
	v_mov_b32_e32 v133, v132
.LBB63_61:                              ; =>This Inner Loop Header: Depth=1
	scratch_load_b64 v[134:135], v13, off
	ds_load_b64 v[136:137], v11
	s_wait_xcnt 0x0
	v_dual_add_nc_u32 v11, 8, v11 :: v_dual_add_nc_u32 v13, 8, v13
	s_wait_loadcnt_dscnt 0x0
	v_pk_mul_f32 v[138:139], v[136:137], v[134:135] op_sel:[1,1] op_sel_hi:[0,1]
	s_delay_alu instid0(VALU_DEP_1) | instskip(SKIP_2) | instid1(VALU_DEP_3)
	v_pk_fma_f32 v[140:141], v[136:137], v[134:135], v[138:139] op_sel_hi:[1,0,1]
	v_add_nc_u32_e32 v9, 1, v9
	v_pk_fma_f32 v[134:135], v[136:137], v[134:135], v[138:139] neg_lo:[0,0,1] neg_hi:[0,0,1]
	v_mov_b32_e32 v135, v141
	s_delay_alu instid0(VALU_DEP_3) | instskip(NEXT) | instid1(VALU_DEP_2)
	v_cmp_lt_u32_e32 vcc_lo, 10, v9
	v_pk_add_f32 v[132:133], v[132:133], v[134:135]
	s_or_b32 s1, vcc_lo, s1
	s_delay_alu instid0(SALU_CYCLE_1)
	s_and_not1_b32 exec_lo, exec_lo, s1
	s_cbranch_execnz .LBB63_61
; %bb.62:
	s_or_b32 exec_lo, exec_lo, s1
	v_mov_b32_e32 v9, 0
	ds_load_b64 v[134:135], v9 offset:96
	s_wait_dscnt 0x0
	v_pk_mul_f32 v[136:137], v[132:133], v[134:135] op_sel:[1,1] op_sel_hi:[0,1]
	s_delay_alu instid0(VALU_DEP_1) | instskip(SKIP_1) | instid1(VALU_DEP_2)
	v_pk_fma_f32 v[138:139], v[132:133], v[134:135], v[136:137] op_sel_hi:[1,0,1]
	v_pk_fma_f32 v[132:133], v[132:133], v[134:135], v[136:137] neg_lo:[0,0,1] neg_hi:[0,0,1]
	v_mov_b32_e32 v133, v139
	scratch_store_b64 off, v[132:133], off offset:96
.LBB63_63:
	s_wait_xcnt 0x0
	s_or_b32 exec_lo, exec_lo, s0
	s_wait_storecnt 0x0
	s_barrier_signal -1
	s_barrier_wait -1
	scratch_load_b64 v[132:133], off, off offset:104
	s_mov_b32 s0, exec_lo
	s_wait_loadcnt 0x0
	ds_store_b64 v1, v[132:133]
	s_wait_dscnt 0x0
	s_barrier_signal -1
	s_barrier_wait -1
	v_cmpx_gt_u32_e32 13, v0
	s_cbranch_execz .LBB63_67
; %bb.64:
	v_dual_mov_b32 v132, 0 :: v_dual_add_nc_u32 v9, -1, v0
	v_or_b32_e32 v11, 0x200, v130
	v_mov_b32_e32 v13, v130
	s_mov_b32 s1, 0
	s_delay_alu instid0(VALU_DEP_3)
	v_mov_b32_e32 v133, v132
.LBB63_65:                              ; =>This Inner Loop Header: Depth=1
	scratch_load_b64 v[134:135], v13, off
	ds_load_b64 v[136:137], v11
	s_wait_xcnt 0x0
	v_dual_add_nc_u32 v11, 8, v11 :: v_dual_add_nc_u32 v13, 8, v13
	s_wait_loadcnt_dscnt 0x0
	v_pk_mul_f32 v[138:139], v[136:137], v[134:135] op_sel:[1,1] op_sel_hi:[0,1]
	s_delay_alu instid0(VALU_DEP_1) | instskip(SKIP_2) | instid1(VALU_DEP_3)
	v_pk_fma_f32 v[140:141], v[136:137], v[134:135], v[138:139] op_sel_hi:[1,0,1]
	v_add_nc_u32_e32 v9, 1, v9
	v_pk_fma_f32 v[134:135], v[136:137], v[134:135], v[138:139] neg_lo:[0,0,1] neg_hi:[0,0,1]
	v_mov_b32_e32 v135, v141
	s_delay_alu instid0(VALU_DEP_3) | instskip(NEXT) | instid1(VALU_DEP_2)
	v_cmp_lt_u32_e32 vcc_lo, 11, v9
	v_pk_add_f32 v[132:133], v[132:133], v[134:135]
	s_or_b32 s1, vcc_lo, s1
	s_delay_alu instid0(SALU_CYCLE_1)
	s_and_not1_b32 exec_lo, exec_lo, s1
	s_cbranch_execnz .LBB63_65
; %bb.66:
	s_or_b32 exec_lo, exec_lo, s1
	v_mov_b32_e32 v9, 0
	ds_load_b64 v[134:135], v9 offset:104
	s_wait_dscnt 0x0
	v_pk_mul_f32 v[136:137], v[132:133], v[134:135] op_sel:[1,1] op_sel_hi:[0,1]
	s_delay_alu instid0(VALU_DEP_1) | instskip(SKIP_1) | instid1(VALU_DEP_2)
	v_pk_fma_f32 v[138:139], v[132:133], v[134:135], v[136:137] op_sel_hi:[1,0,1]
	v_pk_fma_f32 v[132:133], v[132:133], v[134:135], v[136:137] neg_lo:[0,0,1] neg_hi:[0,0,1]
	v_mov_b32_e32 v133, v139
	scratch_store_b64 off, v[132:133], off offset:104
.LBB63_67:
	s_wait_xcnt 0x0
	s_or_b32 exec_lo, exec_lo, s0
	s_wait_storecnt 0x0
	s_barrier_signal -1
	s_barrier_wait -1
	scratch_load_b64 v[132:133], off, off offset:112
	s_mov_b32 s0, exec_lo
	s_wait_loadcnt 0x0
	ds_store_b64 v1, v[132:133]
	s_wait_dscnt 0x0
	s_barrier_signal -1
	s_barrier_wait -1
	v_cmpx_gt_u32_e32 14, v0
	s_cbranch_execz .LBB63_71
; %bb.68:
	v_dual_mov_b32 v132, 0 :: v_dual_add_nc_u32 v9, -1, v0
	v_or_b32_e32 v11, 0x200, v130
	v_mov_b32_e32 v13, v130
	s_mov_b32 s1, 0
	s_delay_alu instid0(VALU_DEP_3)
	v_mov_b32_e32 v133, v132
.LBB63_69:                              ; =>This Inner Loop Header: Depth=1
	scratch_load_b64 v[134:135], v13, off
	ds_load_b64 v[136:137], v11
	s_wait_xcnt 0x0
	v_dual_add_nc_u32 v11, 8, v11 :: v_dual_add_nc_u32 v13, 8, v13
	s_wait_loadcnt_dscnt 0x0
	v_pk_mul_f32 v[138:139], v[136:137], v[134:135] op_sel:[1,1] op_sel_hi:[0,1]
	s_delay_alu instid0(VALU_DEP_1) | instskip(SKIP_2) | instid1(VALU_DEP_3)
	v_pk_fma_f32 v[140:141], v[136:137], v[134:135], v[138:139] op_sel_hi:[1,0,1]
	v_add_nc_u32_e32 v9, 1, v9
	v_pk_fma_f32 v[134:135], v[136:137], v[134:135], v[138:139] neg_lo:[0,0,1] neg_hi:[0,0,1]
	v_mov_b32_e32 v135, v141
	s_delay_alu instid0(VALU_DEP_3) | instskip(NEXT) | instid1(VALU_DEP_2)
	v_cmp_lt_u32_e32 vcc_lo, 12, v9
	v_pk_add_f32 v[132:133], v[132:133], v[134:135]
	s_or_b32 s1, vcc_lo, s1
	s_delay_alu instid0(SALU_CYCLE_1)
	s_and_not1_b32 exec_lo, exec_lo, s1
	s_cbranch_execnz .LBB63_69
; %bb.70:
	s_or_b32 exec_lo, exec_lo, s1
	v_mov_b32_e32 v9, 0
	ds_load_b64 v[134:135], v9 offset:112
	s_wait_dscnt 0x0
	v_pk_mul_f32 v[136:137], v[132:133], v[134:135] op_sel:[1,1] op_sel_hi:[0,1]
	s_delay_alu instid0(VALU_DEP_1) | instskip(SKIP_1) | instid1(VALU_DEP_2)
	v_pk_fma_f32 v[138:139], v[132:133], v[134:135], v[136:137] op_sel_hi:[1,0,1]
	v_pk_fma_f32 v[132:133], v[132:133], v[134:135], v[136:137] neg_lo:[0,0,1] neg_hi:[0,0,1]
	v_mov_b32_e32 v133, v139
	scratch_store_b64 off, v[132:133], off offset:112
.LBB63_71:
	s_wait_xcnt 0x0
	s_or_b32 exec_lo, exec_lo, s0
	s_wait_storecnt 0x0
	s_barrier_signal -1
	s_barrier_wait -1
	scratch_load_b64 v[132:133], off, off offset:120
	s_mov_b32 s0, exec_lo
	s_wait_loadcnt 0x0
	ds_store_b64 v1, v[132:133]
	s_wait_dscnt 0x0
	s_barrier_signal -1
	s_barrier_wait -1
	v_cmpx_gt_u32_e32 15, v0
	s_cbranch_execz .LBB63_75
; %bb.72:
	v_dual_mov_b32 v132, 0 :: v_dual_add_nc_u32 v9, -1, v0
	v_or_b32_e32 v11, 0x200, v130
	v_mov_b32_e32 v13, v130
	s_mov_b32 s1, 0
	s_delay_alu instid0(VALU_DEP_3)
	v_mov_b32_e32 v133, v132
.LBB63_73:                              ; =>This Inner Loop Header: Depth=1
	scratch_load_b64 v[134:135], v13, off
	ds_load_b64 v[136:137], v11
	s_wait_xcnt 0x0
	v_dual_add_nc_u32 v11, 8, v11 :: v_dual_add_nc_u32 v13, 8, v13
	s_wait_loadcnt_dscnt 0x0
	v_pk_mul_f32 v[138:139], v[136:137], v[134:135] op_sel:[1,1] op_sel_hi:[0,1]
	s_delay_alu instid0(VALU_DEP_1) | instskip(SKIP_2) | instid1(VALU_DEP_3)
	v_pk_fma_f32 v[140:141], v[136:137], v[134:135], v[138:139] op_sel_hi:[1,0,1]
	v_add_nc_u32_e32 v9, 1, v9
	v_pk_fma_f32 v[134:135], v[136:137], v[134:135], v[138:139] neg_lo:[0,0,1] neg_hi:[0,0,1]
	v_mov_b32_e32 v135, v141
	s_delay_alu instid0(VALU_DEP_3) | instskip(NEXT) | instid1(VALU_DEP_2)
	v_cmp_lt_u32_e32 vcc_lo, 13, v9
	v_pk_add_f32 v[132:133], v[132:133], v[134:135]
	s_or_b32 s1, vcc_lo, s1
	s_delay_alu instid0(SALU_CYCLE_1)
	s_and_not1_b32 exec_lo, exec_lo, s1
	s_cbranch_execnz .LBB63_73
; %bb.74:
	s_or_b32 exec_lo, exec_lo, s1
	v_mov_b32_e32 v9, 0
	ds_load_b64 v[134:135], v9 offset:120
	s_wait_dscnt 0x0
	v_pk_mul_f32 v[136:137], v[132:133], v[134:135] op_sel:[1,1] op_sel_hi:[0,1]
	s_delay_alu instid0(VALU_DEP_1) | instskip(SKIP_1) | instid1(VALU_DEP_2)
	v_pk_fma_f32 v[138:139], v[132:133], v[134:135], v[136:137] op_sel_hi:[1,0,1]
	v_pk_fma_f32 v[132:133], v[132:133], v[134:135], v[136:137] neg_lo:[0,0,1] neg_hi:[0,0,1]
	v_mov_b32_e32 v133, v139
	scratch_store_b64 off, v[132:133], off offset:120
.LBB63_75:
	s_wait_xcnt 0x0
	s_or_b32 exec_lo, exec_lo, s0
	s_wait_storecnt 0x0
	s_barrier_signal -1
	s_barrier_wait -1
	scratch_load_b64 v[132:133], off, off offset:128
	s_mov_b32 s0, exec_lo
	s_wait_loadcnt 0x0
	ds_store_b64 v1, v[132:133]
	s_wait_dscnt 0x0
	s_barrier_signal -1
	s_barrier_wait -1
	v_cmpx_gt_u32_e32 16, v0
	s_cbranch_execz .LBB63_79
; %bb.76:
	v_dual_mov_b32 v132, 0 :: v_dual_add_nc_u32 v9, -1, v0
	v_or_b32_e32 v11, 0x200, v130
	v_mov_b32_e32 v13, v130
	s_mov_b32 s1, 0
	s_delay_alu instid0(VALU_DEP_3)
	v_mov_b32_e32 v133, v132
.LBB63_77:                              ; =>This Inner Loop Header: Depth=1
	scratch_load_b64 v[134:135], v13, off
	ds_load_b64 v[136:137], v11
	s_wait_xcnt 0x0
	v_dual_add_nc_u32 v11, 8, v11 :: v_dual_add_nc_u32 v13, 8, v13
	s_wait_loadcnt_dscnt 0x0
	v_pk_mul_f32 v[138:139], v[136:137], v[134:135] op_sel:[1,1] op_sel_hi:[0,1]
	s_delay_alu instid0(VALU_DEP_1) | instskip(SKIP_2) | instid1(VALU_DEP_3)
	v_pk_fma_f32 v[140:141], v[136:137], v[134:135], v[138:139] op_sel_hi:[1,0,1]
	v_add_nc_u32_e32 v9, 1, v9
	v_pk_fma_f32 v[134:135], v[136:137], v[134:135], v[138:139] neg_lo:[0,0,1] neg_hi:[0,0,1]
	v_mov_b32_e32 v135, v141
	s_delay_alu instid0(VALU_DEP_3) | instskip(NEXT) | instid1(VALU_DEP_2)
	v_cmp_lt_u32_e32 vcc_lo, 14, v9
	v_pk_add_f32 v[132:133], v[132:133], v[134:135]
	s_or_b32 s1, vcc_lo, s1
	s_delay_alu instid0(SALU_CYCLE_1)
	s_and_not1_b32 exec_lo, exec_lo, s1
	s_cbranch_execnz .LBB63_77
; %bb.78:
	s_or_b32 exec_lo, exec_lo, s1
	v_mov_b32_e32 v9, 0
	ds_load_b64 v[134:135], v9 offset:128
	s_wait_dscnt 0x0
	v_pk_mul_f32 v[136:137], v[132:133], v[134:135] op_sel:[1,1] op_sel_hi:[0,1]
	s_delay_alu instid0(VALU_DEP_1) | instskip(SKIP_1) | instid1(VALU_DEP_2)
	v_pk_fma_f32 v[138:139], v[132:133], v[134:135], v[136:137] op_sel_hi:[1,0,1]
	v_pk_fma_f32 v[132:133], v[132:133], v[134:135], v[136:137] neg_lo:[0,0,1] neg_hi:[0,0,1]
	v_mov_b32_e32 v133, v139
	scratch_store_b64 off, v[132:133], off offset:128
.LBB63_79:
	s_wait_xcnt 0x0
	s_or_b32 exec_lo, exec_lo, s0
	s_wait_storecnt 0x0
	s_barrier_signal -1
	s_barrier_wait -1
	scratch_load_b64 v[132:133], off, off offset:136
	s_mov_b32 s0, exec_lo
	s_wait_loadcnt 0x0
	ds_store_b64 v1, v[132:133]
	s_wait_dscnt 0x0
	s_barrier_signal -1
	s_barrier_wait -1
	v_cmpx_gt_u32_e32 17, v0
	s_cbranch_execz .LBB63_83
; %bb.80:
	v_dual_mov_b32 v132, 0 :: v_dual_add_nc_u32 v9, -1, v0
	v_or_b32_e32 v11, 0x200, v130
	v_mov_b32_e32 v13, v130
	s_mov_b32 s1, 0
	s_delay_alu instid0(VALU_DEP_3)
	v_mov_b32_e32 v133, v132
.LBB63_81:                              ; =>This Inner Loop Header: Depth=1
	scratch_load_b64 v[134:135], v13, off
	ds_load_b64 v[136:137], v11
	s_wait_xcnt 0x0
	v_dual_add_nc_u32 v11, 8, v11 :: v_dual_add_nc_u32 v13, 8, v13
	s_wait_loadcnt_dscnt 0x0
	v_pk_mul_f32 v[138:139], v[136:137], v[134:135] op_sel:[1,1] op_sel_hi:[0,1]
	s_delay_alu instid0(VALU_DEP_1) | instskip(SKIP_2) | instid1(VALU_DEP_3)
	v_pk_fma_f32 v[140:141], v[136:137], v[134:135], v[138:139] op_sel_hi:[1,0,1]
	v_add_nc_u32_e32 v9, 1, v9
	v_pk_fma_f32 v[134:135], v[136:137], v[134:135], v[138:139] neg_lo:[0,0,1] neg_hi:[0,0,1]
	v_mov_b32_e32 v135, v141
	s_delay_alu instid0(VALU_DEP_3) | instskip(NEXT) | instid1(VALU_DEP_2)
	v_cmp_lt_u32_e32 vcc_lo, 15, v9
	v_pk_add_f32 v[132:133], v[132:133], v[134:135]
	s_or_b32 s1, vcc_lo, s1
	s_delay_alu instid0(SALU_CYCLE_1)
	s_and_not1_b32 exec_lo, exec_lo, s1
	s_cbranch_execnz .LBB63_81
; %bb.82:
	s_or_b32 exec_lo, exec_lo, s1
	v_mov_b32_e32 v9, 0
	ds_load_b64 v[134:135], v9 offset:136
	s_wait_dscnt 0x0
	v_pk_mul_f32 v[136:137], v[132:133], v[134:135] op_sel:[1,1] op_sel_hi:[0,1]
	s_delay_alu instid0(VALU_DEP_1) | instskip(SKIP_1) | instid1(VALU_DEP_2)
	v_pk_fma_f32 v[138:139], v[132:133], v[134:135], v[136:137] op_sel_hi:[1,0,1]
	v_pk_fma_f32 v[132:133], v[132:133], v[134:135], v[136:137] neg_lo:[0,0,1] neg_hi:[0,0,1]
	v_mov_b32_e32 v133, v139
	scratch_store_b64 off, v[132:133], off offset:136
.LBB63_83:
	s_wait_xcnt 0x0
	s_or_b32 exec_lo, exec_lo, s0
	s_wait_storecnt 0x0
	s_barrier_signal -1
	s_barrier_wait -1
	scratch_load_b64 v[132:133], off, off offset:144
	s_mov_b32 s0, exec_lo
	s_wait_loadcnt 0x0
	ds_store_b64 v1, v[132:133]
	s_wait_dscnt 0x0
	s_barrier_signal -1
	s_barrier_wait -1
	v_cmpx_gt_u32_e32 18, v0
	s_cbranch_execz .LBB63_87
; %bb.84:
	v_dual_mov_b32 v132, 0 :: v_dual_add_nc_u32 v9, -1, v0
	v_or_b32_e32 v11, 0x200, v130
	v_mov_b32_e32 v13, v130
	s_mov_b32 s1, 0
	s_delay_alu instid0(VALU_DEP_3)
	v_mov_b32_e32 v133, v132
.LBB63_85:                              ; =>This Inner Loop Header: Depth=1
	scratch_load_b64 v[134:135], v13, off
	ds_load_b64 v[136:137], v11
	s_wait_xcnt 0x0
	v_dual_add_nc_u32 v11, 8, v11 :: v_dual_add_nc_u32 v13, 8, v13
	s_wait_loadcnt_dscnt 0x0
	v_pk_mul_f32 v[138:139], v[136:137], v[134:135] op_sel:[1,1] op_sel_hi:[0,1]
	s_delay_alu instid0(VALU_DEP_1) | instskip(SKIP_2) | instid1(VALU_DEP_3)
	v_pk_fma_f32 v[140:141], v[136:137], v[134:135], v[138:139] op_sel_hi:[1,0,1]
	v_add_nc_u32_e32 v9, 1, v9
	v_pk_fma_f32 v[134:135], v[136:137], v[134:135], v[138:139] neg_lo:[0,0,1] neg_hi:[0,0,1]
	v_mov_b32_e32 v135, v141
	s_delay_alu instid0(VALU_DEP_3) | instskip(NEXT) | instid1(VALU_DEP_2)
	v_cmp_lt_u32_e32 vcc_lo, 16, v9
	v_pk_add_f32 v[132:133], v[132:133], v[134:135]
	s_or_b32 s1, vcc_lo, s1
	s_delay_alu instid0(SALU_CYCLE_1)
	s_and_not1_b32 exec_lo, exec_lo, s1
	s_cbranch_execnz .LBB63_85
; %bb.86:
	s_or_b32 exec_lo, exec_lo, s1
	v_mov_b32_e32 v9, 0
	ds_load_b64 v[134:135], v9 offset:144
	s_wait_dscnt 0x0
	v_pk_mul_f32 v[136:137], v[132:133], v[134:135] op_sel:[1,1] op_sel_hi:[0,1]
	s_delay_alu instid0(VALU_DEP_1) | instskip(SKIP_1) | instid1(VALU_DEP_2)
	v_pk_fma_f32 v[138:139], v[132:133], v[134:135], v[136:137] op_sel_hi:[1,0,1]
	v_pk_fma_f32 v[132:133], v[132:133], v[134:135], v[136:137] neg_lo:[0,0,1] neg_hi:[0,0,1]
	v_mov_b32_e32 v133, v139
	scratch_store_b64 off, v[132:133], off offset:144
.LBB63_87:
	s_wait_xcnt 0x0
	s_or_b32 exec_lo, exec_lo, s0
	s_wait_storecnt 0x0
	s_barrier_signal -1
	s_barrier_wait -1
	scratch_load_b64 v[132:133], off, off offset:152
	s_mov_b32 s0, exec_lo
	s_wait_loadcnt 0x0
	ds_store_b64 v1, v[132:133]
	s_wait_dscnt 0x0
	s_barrier_signal -1
	s_barrier_wait -1
	v_cmpx_gt_u32_e32 19, v0
	s_cbranch_execz .LBB63_91
; %bb.88:
	v_dual_mov_b32 v132, 0 :: v_dual_add_nc_u32 v9, -1, v0
	v_or_b32_e32 v11, 0x200, v130
	v_mov_b32_e32 v13, v130
	s_mov_b32 s1, 0
	s_delay_alu instid0(VALU_DEP_3)
	v_mov_b32_e32 v133, v132
.LBB63_89:                              ; =>This Inner Loop Header: Depth=1
	scratch_load_b64 v[134:135], v13, off
	ds_load_b64 v[136:137], v11
	s_wait_xcnt 0x0
	v_dual_add_nc_u32 v11, 8, v11 :: v_dual_add_nc_u32 v13, 8, v13
	s_wait_loadcnt_dscnt 0x0
	v_pk_mul_f32 v[138:139], v[136:137], v[134:135] op_sel:[1,1] op_sel_hi:[0,1]
	s_delay_alu instid0(VALU_DEP_1) | instskip(SKIP_2) | instid1(VALU_DEP_3)
	v_pk_fma_f32 v[140:141], v[136:137], v[134:135], v[138:139] op_sel_hi:[1,0,1]
	v_add_nc_u32_e32 v9, 1, v9
	v_pk_fma_f32 v[134:135], v[136:137], v[134:135], v[138:139] neg_lo:[0,0,1] neg_hi:[0,0,1]
	v_mov_b32_e32 v135, v141
	s_delay_alu instid0(VALU_DEP_3) | instskip(NEXT) | instid1(VALU_DEP_2)
	v_cmp_lt_u32_e32 vcc_lo, 17, v9
	v_pk_add_f32 v[132:133], v[132:133], v[134:135]
	s_or_b32 s1, vcc_lo, s1
	s_delay_alu instid0(SALU_CYCLE_1)
	s_and_not1_b32 exec_lo, exec_lo, s1
	s_cbranch_execnz .LBB63_89
; %bb.90:
	s_or_b32 exec_lo, exec_lo, s1
	v_mov_b32_e32 v9, 0
	ds_load_b64 v[134:135], v9 offset:152
	s_wait_dscnt 0x0
	v_pk_mul_f32 v[136:137], v[132:133], v[134:135] op_sel:[1,1] op_sel_hi:[0,1]
	s_delay_alu instid0(VALU_DEP_1) | instskip(SKIP_1) | instid1(VALU_DEP_2)
	v_pk_fma_f32 v[138:139], v[132:133], v[134:135], v[136:137] op_sel_hi:[1,0,1]
	v_pk_fma_f32 v[132:133], v[132:133], v[134:135], v[136:137] neg_lo:[0,0,1] neg_hi:[0,0,1]
	v_mov_b32_e32 v133, v139
	scratch_store_b64 off, v[132:133], off offset:152
.LBB63_91:
	s_wait_xcnt 0x0
	s_or_b32 exec_lo, exec_lo, s0
	s_wait_storecnt 0x0
	s_barrier_signal -1
	s_barrier_wait -1
	scratch_load_b64 v[132:133], off, off offset:160
	s_mov_b32 s0, exec_lo
	s_wait_loadcnt 0x0
	ds_store_b64 v1, v[132:133]
	s_wait_dscnt 0x0
	s_barrier_signal -1
	s_barrier_wait -1
	v_cmpx_gt_u32_e32 20, v0
	s_cbranch_execz .LBB63_95
; %bb.92:
	v_dual_mov_b32 v132, 0 :: v_dual_add_nc_u32 v9, -1, v0
	v_or_b32_e32 v11, 0x200, v130
	v_mov_b32_e32 v13, v130
	s_mov_b32 s1, 0
	s_delay_alu instid0(VALU_DEP_3)
	v_mov_b32_e32 v133, v132
.LBB63_93:                              ; =>This Inner Loop Header: Depth=1
	scratch_load_b64 v[134:135], v13, off
	ds_load_b64 v[136:137], v11
	s_wait_xcnt 0x0
	v_dual_add_nc_u32 v11, 8, v11 :: v_dual_add_nc_u32 v13, 8, v13
	s_wait_loadcnt_dscnt 0x0
	v_pk_mul_f32 v[138:139], v[136:137], v[134:135] op_sel:[1,1] op_sel_hi:[0,1]
	s_delay_alu instid0(VALU_DEP_1) | instskip(SKIP_2) | instid1(VALU_DEP_3)
	v_pk_fma_f32 v[140:141], v[136:137], v[134:135], v[138:139] op_sel_hi:[1,0,1]
	v_add_nc_u32_e32 v9, 1, v9
	v_pk_fma_f32 v[134:135], v[136:137], v[134:135], v[138:139] neg_lo:[0,0,1] neg_hi:[0,0,1]
	v_mov_b32_e32 v135, v141
	s_delay_alu instid0(VALU_DEP_3) | instskip(NEXT) | instid1(VALU_DEP_2)
	v_cmp_lt_u32_e32 vcc_lo, 18, v9
	v_pk_add_f32 v[132:133], v[132:133], v[134:135]
	s_or_b32 s1, vcc_lo, s1
	s_delay_alu instid0(SALU_CYCLE_1)
	s_and_not1_b32 exec_lo, exec_lo, s1
	s_cbranch_execnz .LBB63_93
; %bb.94:
	s_or_b32 exec_lo, exec_lo, s1
	v_mov_b32_e32 v9, 0
	ds_load_b64 v[134:135], v9 offset:160
	s_wait_dscnt 0x0
	v_pk_mul_f32 v[136:137], v[132:133], v[134:135] op_sel:[1,1] op_sel_hi:[0,1]
	s_delay_alu instid0(VALU_DEP_1) | instskip(SKIP_1) | instid1(VALU_DEP_2)
	v_pk_fma_f32 v[138:139], v[132:133], v[134:135], v[136:137] op_sel_hi:[1,0,1]
	v_pk_fma_f32 v[132:133], v[132:133], v[134:135], v[136:137] neg_lo:[0,0,1] neg_hi:[0,0,1]
	v_mov_b32_e32 v133, v139
	scratch_store_b64 off, v[132:133], off offset:160
.LBB63_95:
	s_wait_xcnt 0x0
	s_or_b32 exec_lo, exec_lo, s0
	s_wait_storecnt 0x0
	s_barrier_signal -1
	s_barrier_wait -1
	scratch_load_b64 v[132:133], off, off offset:168
	s_mov_b32 s0, exec_lo
	s_wait_loadcnt 0x0
	ds_store_b64 v1, v[132:133]
	s_wait_dscnt 0x0
	s_barrier_signal -1
	s_barrier_wait -1
	v_cmpx_gt_u32_e32 21, v0
	s_cbranch_execz .LBB63_99
; %bb.96:
	v_dual_mov_b32 v132, 0 :: v_dual_add_nc_u32 v9, -1, v0
	v_or_b32_e32 v11, 0x200, v130
	v_mov_b32_e32 v13, v130
	s_mov_b32 s1, 0
	s_delay_alu instid0(VALU_DEP_3)
	v_mov_b32_e32 v133, v132
.LBB63_97:                              ; =>This Inner Loop Header: Depth=1
	scratch_load_b64 v[134:135], v13, off
	ds_load_b64 v[136:137], v11
	s_wait_xcnt 0x0
	v_dual_add_nc_u32 v11, 8, v11 :: v_dual_add_nc_u32 v13, 8, v13
	s_wait_loadcnt_dscnt 0x0
	v_pk_mul_f32 v[138:139], v[136:137], v[134:135] op_sel:[1,1] op_sel_hi:[0,1]
	s_delay_alu instid0(VALU_DEP_1) | instskip(SKIP_2) | instid1(VALU_DEP_3)
	v_pk_fma_f32 v[140:141], v[136:137], v[134:135], v[138:139] op_sel_hi:[1,0,1]
	v_add_nc_u32_e32 v9, 1, v9
	v_pk_fma_f32 v[134:135], v[136:137], v[134:135], v[138:139] neg_lo:[0,0,1] neg_hi:[0,0,1]
	v_mov_b32_e32 v135, v141
	s_delay_alu instid0(VALU_DEP_3) | instskip(NEXT) | instid1(VALU_DEP_2)
	v_cmp_lt_u32_e32 vcc_lo, 19, v9
	v_pk_add_f32 v[132:133], v[132:133], v[134:135]
	s_or_b32 s1, vcc_lo, s1
	s_delay_alu instid0(SALU_CYCLE_1)
	s_and_not1_b32 exec_lo, exec_lo, s1
	s_cbranch_execnz .LBB63_97
; %bb.98:
	s_or_b32 exec_lo, exec_lo, s1
	v_mov_b32_e32 v9, 0
	ds_load_b64 v[134:135], v9 offset:168
	s_wait_dscnt 0x0
	v_pk_mul_f32 v[136:137], v[132:133], v[134:135] op_sel:[1,1] op_sel_hi:[0,1]
	s_delay_alu instid0(VALU_DEP_1) | instskip(SKIP_1) | instid1(VALU_DEP_2)
	v_pk_fma_f32 v[138:139], v[132:133], v[134:135], v[136:137] op_sel_hi:[1,0,1]
	v_pk_fma_f32 v[132:133], v[132:133], v[134:135], v[136:137] neg_lo:[0,0,1] neg_hi:[0,0,1]
	v_mov_b32_e32 v133, v139
	scratch_store_b64 off, v[132:133], off offset:168
.LBB63_99:
	s_wait_xcnt 0x0
	s_or_b32 exec_lo, exec_lo, s0
	s_wait_storecnt 0x0
	s_barrier_signal -1
	s_barrier_wait -1
	scratch_load_b64 v[132:133], off, off offset:176
	s_mov_b32 s0, exec_lo
	s_wait_loadcnt 0x0
	ds_store_b64 v1, v[132:133]
	s_wait_dscnt 0x0
	s_barrier_signal -1
	s_barrier_wait -1
	v_cmpx_gt_u32_e32 22, v0
	s_cbranch_execz .LBB63_103
; %bb.100:
	v_dual_mov_b32 v132, 0 :: v_dual_add_nc_u32 v9, -1, v0
	v_or_b32_e32 v11, 0x200, v130
	v_mov_b32_e32 v13, v130
	s_mov_b32 s1, 0
	s_delay_alu instid0(VALU_DEP_3)
	v_mov_b32_e32 v133, v132
.LBB63_101:                             ; =>This Inner Loop Header: Depth=1
	scratch_load_b64 v[134:135], v13, off
	ds_load_b64 v[136:137], v11
	s_wait_xcnt 0x0
	v_dual_add_nc_u32 v11, 8, v11 :: v_dual_add_nc_u32 v13, 8, v13
	s_wait_loadcnt_dscnt 0x0
	v_pk_mul_f32 v[138:139], v[136:137], v[134:135] op_sel:[1,1] op_sel_hi:[0,1]
	s_delay_alu instid0(VALU_DEP_1) | instskip(SKIP_2) | instid1(VALU_DEP_3)
	v_pk_fma_f32 v[140:141], v[136:137], v[134:135], v[138:139] op_sel_hi:[1,0,1]
	v_add_nc_u32_e32 v9, 1, v9
	v_pk_fma_f32 v[134:135], v[136:137], v[134:135], v[138:139] neg_lo:[0,0,1] neg_hi:[0,0,1]
	v_mov_b32_e32 v135, v141
	s_delay_alu instid0(VALU_DEP_3) | instskip(NEXT) | instid1(VALU_DEP_2)
	v_cmp_lt_u32_e32 vcc_lo, 20, v9
	v_pk_add_f32 v[132:133], v[132:133], v[134:135]
	s_or_b32 s1, vcc_lo, s1
	s_delay_alu instid0(SALU_CYCLE_1)
	s_and_not1_b32 exec_lo, exec_lo, s1
	s_cbranch_execnz .LBB63_101
; %bb.102:
	s_or_b32 exec_lo, exec_lo, s1
	v_mov_b32_e32 v9, 0
	ds_load_b64 v[134:135], v9 offset:176
	s_wait_dscnt 0x0
	v_pk_mul_f32 v[136:137], v[132:133], v[134:135] op_sel:[1,1] op_sel_hi:[0,1]
	s_delay_alu instid0(VALU_DEP_1) | instskip(SKIP_1) | instid1(VALU_DEP_2)
	v_pk_fma_f32 v[138:139], v[132:133], v[134:135], v[136:137] op_sel_hi:[1,0,1]
	v_pk_fma_f32 v[132:133], v[132:133], v[134:135], v[136:137] neg_lo:[0,0,1] neg_hi:[0,0,1]
	v_mov_b32_e32 v133, v139
	scratch_store_b64 off, v[132:133], off offset:176
.LBB63_103:
	s_wait_xcnt 0x0
	s_or_b32 exec_lo, exec_lo, s0
	s_wait_storecnt 0x0
	s_barrier_signal -1
	s_barrier_wait -1
	scratch_load_b64 v[132:133], off, off offset:184
	s_mov_b32 s0, exec_lo
	s_wait_loadcnt 0x0
	ds_store_b64 v1, v[132:133]
	s_wait_dscnt 0x0
	s_barrier_signal -1
	s_barrier_wait -1
	v_cmpx_gt_u32_e32 23, v0
	s_cbranch_execz .LBB63_107
; %bb.104:
	v_dual_mov_b32 v132, 0 :: v_dual_add_nc_u32 v9, -1, v0
	v_or_b32_e32 v11, 0x200, v130
	v_mov_b32_e32 v13, v130
	s_mov_b32 s1, 0
	s_delay_alu instid0(VALU_DEP_3)
	v_mov_b32_e32 v133, v132
.LBB63_105:                             ; =>This Inner Loop Header: Depth=1
	scratch_load_b64 v[134:135], v13, off
	ds_load_b64 v[136:137], v11
	s_wait_xcnt 0x0
	v_dual_add_nc_u32 v11, 8, v11 :: v_dual_add_nc_u32 v13, 8, v13
	s_wait_loadcnt_dscnt 0x0
	v_pk_mul_f32 v[138:139], v[136:137], v[134:135] op_sel:[1,1] op_sel_hi:[0,1]
	s_delay_alu instid0(VALU_DEP_1) | instskip(SKIP_2) | instid1(VALU_DEP_3)
	v_pk_fma_f32 v[140:141], v[136:137], v[134:135], v[138:139] op_sel_hi:[1,0,1]
	v_add_nc_u32_e32 v9, 1, v9
	v_pk_fma_f32 v[134:135], v[136:137], v[134:135], v[138:139] neg_lo:[0,0,1] neg_hi:[0,0,1]
	v_mov_b32_e32 v135, v141
	s_delay_alu instid0(VALU_DEP_3) | instskip(NEXT) | instid1(VALU_DEP_2)
	v_cmp_lt_u32_e32 vcc_lo, 21, v9
	v_pk_add_f32 v[132:133], v[132:133], v[134:135]
	s_or_b32 s1, vcc_lo, s1
	s_delay_alu instid0(SALU_CYCLE_1)
	s_and_not1_b32 exec_lo, exec_lo, s1
	s_cbranch_execnz .LBB63_105
; %bb.106:
	s_or_b32 exec_lo, exec_lo, s1
	v_mov_b32_e32 v9, 0
	ds_load_b64 v[134:135], v9 offset:184
	s_wait_dscnt 0x0
	v_pk_mul_f32 v[136:137], v[132:133], v[134:135] op_sel:[1,1] op_sel_hi:[0,1]
	s_delay_alu instid0(VALU_DEP_1) | instskip(SKIP_1) | instid1(VALU_DEP_2)
	v_pk_fma_f32 v[138:139], v[132:133], v[134:135], v[136:137] op_sel_hi:[1,0,1]
	v_pk_fma_f32 v[132:133], v[132:133], v[134:135], v[136:137] neg_lo:[0,0,1] neg_hi:[0,0,1]
	v_mov_b32_e32 v133, v139
	scratch_store_b64 off, v[132:133], off offset:184
.LBB63_107:
	s_wait_xcnt 0x0
	s_or_b32 exec_lo, exec_lo, s0
	s_wait_storecnt 0x0
	s_barrier_signal -1
	s_barrier_wait -1
	scratch_load_b64 v[132:133], off, off offset:192
	;; [unrolled: 52-line block ×41, first 2 shown]
	s_mov_b32 s0, exec_lo
	s_wait_loadcnt 0x0
	ds_store_b64 v1, v[132:133]
	s_wait_dscnt 0x0
	s_barrier_signal -1
	s_barrier_wait -1
	v_cmpx_ne_u32_e32 63, v0
	s_cbranch_execz .LBB63_267
; %bb.264:
	v_dual_mov_b32 v132, 0 :: v_dual_mov_b32 v9, v130
	s_mov_b32 s1, 0
	s_delay_alu instid0(VALU_DEP_1)
	v_mov_b32_e32 v133, v132
.LBB63_265:                             ; =>This Inner Loop Header: Depth=1
	scratch_load_b64 v[130:131], v9, off
	ds_load_b64 v[134:135], v1
	v_add_nc_u32_e32 v1, 8, v1
	s_wait_xcnt 0x0
	v_add_nc_u32_e32 v9, 8, v9
	s_wait_loadcnt_dscnt 0x0
	v_pk_mul_f32 v[136:137], v[134:135], v[130:131] op_sel:[1,1] op_sel_hi:[0,1]
	s_delay_alu instid0(VALU_DEP_1) | instskip(SKIP_2) | instid1(VALU_DEP_3)
	v_pk_fma_f32 v[138:139], v[134:135], v[130:131], v[136:137] op_sel_hi:[1,0,1]
	v_add_nc_u32_e32 v7, 1, v7
	v_pk_fma_f32 v[130:131], v[134:135], v[130:131], v[136:137] neg_lo:[0,0,1] neg_hi:[0,0,1]
	v_mov_b32_e32 v131, v139
	s_delay_alu instid0(VALU_DEP_3) | instskip(NEXT) | instid1(VALU_DEP_2)
	v_cmp_lt_u32_e32 vcc_lo, 61, v7
	v_pk_add_f32 v[132:133], v[132:133], v[130:131]
	s_or_b32 s1, vcc_lo, s1
	s_delay_alu instid0(SALU_CYCLE_1)
	s_and_not1_b32 exec_lo, exec_lo, s1
	s_cbranch_execnz .LBB63_265
; %bb.266:
	s_or_b32 exec_lo, exec_lo, s1
	v_mov_b32_e32 v1, 0
	ds_load_b64 v[130:131], v1 offset:504
	s_wait_dscnt 0x0
	v_pk_mul_f32 v[134:135], v[132:133], v[130:131] op_sel:[1,1] op_sel_hi:[0,1]
	s_delay_alu instid0(VALU_DEP_1) | instskip(SKIP_1) | instid1(VALU_DEP_2)
	v_pk_fma_f32 v[136:137], v[132:133], v[130:131], v[134:135] op_sel_hi:[1,0,1]
	v_pk_fma_f32 v[130:131], v[132:133], v[130:131], v[134:135] neg_lo:[0,0,1] neg_hi:[0,0,1]
	v_mov_b32_e32 v131, v137
	scratch_store_b64 off, v[130:131], off offset:504
.LBB63_267:
	s_wait_xcnt 0x0
	s_or_b32 exec_lo, exec_lo, s0
	s_mov_b32 s1, -1
	s_wait_storecnt 0x0
	s_barrier_signal -1
	s_barrier_wait -1
.LBB63_268:
	s_and_b32 vcc_lo, exec_lo, s1
	s_cbranch_vccz .LBB63_270
; %bb.269:
	v_mov_b32_e32 v1, 0
	s_lshl_b64 s[0:1], s[16:17], 2
	s_delay_alu instid0(SALU_CYCLE_1)
	s_add_nc_u64 s[0:1], s[6:7], s[0:1]
	global_load_b32 v1, v1, s[0:1]
	s_wait_loadcnt 0x0
	v_cmp_ne_u32_e32 vcc_lo, 0, v1
	s_cbranch_vccz .LBB63_271
.LBB63_270:
	s_sendmsg sendmsg(MSG_DEALLOC_VGPRS)
	s_endpgm
.LBB63_271:
	s_wait_xcnt 0x0
	v_lshl_or_b32 v1, v0, 3, 0x200
	s_mov_b32 s0, exec_lo
	v_cmpx_eq_u32_e32 63, v0
	s_cbranch_execz .LBB63_273
; %bb.272:
	scratch_load_b64 v[130:131], off, off offset:496
	v_mov_b64_e32 v[132:133], 0
	scratch_store_b64 off, v[132:133], off offset:496
	s_wait_loadcnt 0x0
	ds_store_b64 v1, v[130:131]
.LBB63_273:
	s_wait_xcnt 0x0
	s_or_b32 exec_lo, exec_lo, s0
	s_wait_storecnt_dscnt 0x0
	s_barrier_signal -1
	s_barrier_wait -1
	s_clause 0x1
	scratch_load_b64 v[130:131], off, off offset:504
	scratch_load_b64 v[132:133], off, off offset:496
	v_mov_b32_e32 v7, 0
	s_mov_b32 s0, exec_lo
	ds_load_b64 v[134:135], v7 offset:1016
	s_wait_loadcnt_dscnt 0x100
	v_pk_mul_f32 v[136:137], v[134:135], v[130:131] op_sel:[1,1] op_sel_hi:[0,1]
	s_delay_alu instid0(VALU_DEP_1) | instskip(SKIP_1) | instid1(VALU_DEP_2)
	v_pk_fma_f32 v[138:139], v[134:135], v[130:131], v[136:137] op_sel_hi:[1,0,1]
	v_pk_fma_f32 v[130:131], v[134:135], v[130:131], v[136:137] neg_lo:[0,0,1] neg_hi:[0,0,1]
	v_mov_b32_e32 v131, v139
	s_delay_alu instid0(VALU_DEP_1) | instskip(SKIP_1) | instid1(VALU_DEP_1)
	v_pk_add_f32 v[130:131], v[130:131], 0 op_sel_hi:[1,0]
	s_wait_loadcnt 0x0
	v_pk_add_f32 v[130:131], v[132:133], v[130:131] neg_lo:[0,1] neg_hi:[0,1]
	scratch_store_b64 off, v[130:131], off offset:496
	s_wait_xcnt 0x0
	v_cmpx_lt_u32_e32 61, v0
	s_cbranch_execz .LBB63_275
; %bb.274:
	scratch_load_b64 v[130:131], off, off offset:488
	v_mov_b64_e32 v[132:133], 0
	scratch_store_b64 off, v[132:133], off offset:488
	s_wait_loadcnt 0x0
	ds_store_b64 v1, v[130:131]
.LBB63_275:
	s_wait_xcnt 0x0
	s_or_b32 exec_lo, exec_lo, s0
	s_wait_storecnt_dscnt 0x0
	s_barrier_signal -1
	s_barrier_wait -1
	s_clause 0x1
	scratch_load_b128 v[130:133], off, off offset:496
	scratch_load_b64 v[138:139], off, off offset:488
	ds_load_b128 v[134:137], v7 offset:1008
	s_mov_b32 s0, exec_lo
	s_wait_dscnt 0x0
	v_dual_mov_b32 v140, v137 :: v_dual_mov_b32 v141, v136
	s_wait_loadcnt 0x1
	v_pk_mul_f32 v[142:143], v[134:135], v[130:131] op_sel:[1,1] op_sel_hi:[0,1]
	s_delay_alu instid0(VALU_DEP_1) | instskip(SKIP_2) | instid1(VALU_DEP_3)
	v_pk_fma_f32 v[146:147], v[134:135], v[130:131], v[142:143] op_sel_hi:[1,0,1]
	v_mov_b32_e32 v144, v133
	v_pk_fma_f32 v[130:131], v[134:135], v[130:131], v[142:143] neg_lo:[0,0,1] neg_hi:[0,0,1]
	v_mov_b32_e32 v131, v147
	s_delay_alu instid0(VALU_DEP_3) | instskip(NEXT) | instid1(VALU_DEP_2)
	v_pk_mul_f32 v[140:141], v[140:141], v[144:145] op_sel_hi:[1,0]
	v_pk_add_f32 v[130:131], v[130:131], 0 op_sel_hi:[1,0]
	s_delay_alu instid0(VALU_DEP_2) | instskip(SKIP_1) | instid1(VALU_DEP_2)
	v_pk_fma_f32 v[134:135], v[136:137], v[132:133], v[140:141] op_sel_hi:[1,0,1]
	v_pk_fma_f32 v[132:133], v[136:137], v[132:133], v[140:141] neg_lo:[0,0,1] neg_hi:[0,0,1]
	v_mov_b32_e32 v133, v135
	s_delay_alu instid0(VALU_DEP_1) | instskip(SKIP_1) | instid1(VALU_DEP_1)
	v_pk_add_f32 v[130:131], v[130:131], v[132:133]
	s_wait_loadcnt 0x0
	v_pk_add_f32 v[130:131], v[138:139], v[130:131] neg_lo:[0,1] neg_hi:[0,1]
	scratch_store_b64 off, v[130:131], off offset:488
	s_wait_xcnt 0x0
	v_cmpx_lt_u32_e32 60, v0
	s_cbranch_execz .LBB63_277
; %bb.276:
	scratch_load_b64 v[130:131], off, off offset:480
	v_mov_b64_e32 v[132:133], 0
	scratch_store_b64 off, v[132:133], off offset:480
	s_wait_loadcnt 0x0
	ds_store_b64 v1, v[130:131]
.LBB63_277:
	s_wait_xcnt 0x0
	s_or_b32 exec_lo, exec_lo, s0
	s_wait_storecnt_dscnt 0x0
	s_barrier_signal -1
	s_barrier_wait -1
	s_clause 0x2
	scratch_load_b128 v[130:133], off, off offset:488
	scratch_load_b64 v[138:139], off, off offset:504
	scratch_load_b64 v[140:141], off, off offset:480
	v_mov_b32_e32 v7, 0
	ds_load_2addr_b64 v[134:137], v7 offset0:125 offset1:126
	ds_load_b64 v[142:143], v7 offset:1016
	s_mov_b32 s0, exec_lo
	s_wait_dscnt 0x1
	v_dual_mov_b32 v144, v137 :: v_dual_mov_b32 v145, v136
	s_wait_loadcnt 0x2
	v_mov_b32_e32 v148, v133
	v_pk_mul_f32 v[146:147], v[134:135], v[130:131] op_sel:[1,1] op_sel_hi:[0,1]
	s_delay_alu instid0(VALU_DEP_2) | instskip(NEXT) | instid1(VALU_DEP_2)
	v_pk_mul_f32 v[144:145], v[144:145], v[148:149] op_sel_hi:[1,0]
	v_pk_fma_f32 v[150:151], v[134:135], v[130:131], v[146:147] op_sel_hi:[1,0,1]
	v_pk_fma_f32 v[130:131], v[134:135], v[130:131], v[146:147] neg_lo:[0,0,1] neg_hi:[0,0,1]
	s_wait_loadcnt_dscnt 0x100
	v_pk_mul_f32 v[146:147], v[142:143], v[138:139] op_sel:[1,1] op_sel_hi:[0,1]
	v_pk_fma_f32 v[134:135], v[136:137], v[132:133], v[144:145] op_sel_hi:[1,0,1]
	v_mov_b32_e32 v131, v151
	v_pk_fma_f32 v[132:133], v[136:137], v[132:133], v[144:145] neg_lo:[0,0,1] neg_hi:[0,0,1]
	s_delay_alu instid0(VALU_DEP_4) | instskip(NEXT) | instid1(VALU_DEP_4)
	v_pk_fma_f32 v[136:137], v[142:143], v[138:139], v[146:147] neg_lo:[0,0,1] neg_hi:[0,0,1]
	v_mov_b32_e32 v133, v135
	s_delay_alu instid0(VALU_DEP_4) | instskip(SKIP_1) | instid1(VALU_DEP_2)
	v_pk_add_f32 v[130:131], v[130:131], 0 op_sel_hi:[1,0]
	v_pk_fma_f32 v[134:135], v[142:143], v[138:139], v[146:147] op_sel_hi:[1,0,1]
	v_pk_add_f32 v[130:131], v[130:131], v[132:133]
	s_delay_alu instid0(VALU_DEP_2) | instskip(NEXT) | instid1(VALU_DEP_1)
	v_mov_b32_e32 v137, v135
	v_pk_add_f32 v[130:131], v[130:131], v[136:137]
	s_wait_loadcnt 0x0
	s_delay_alu instid0(VALU_DEP_1)
	v_pk_add_f32 v[130:131], v[140:141], v[130:131] neg_lo:[0,1] neg_hi:[0,1]
	scratch_store_b64 off, v[130:131], off offset:480
	s_wait_xcnt 0x0
	v_cmpx_lt_u32_e32 59, v0
	s_cbranch_execz .LBB63_279
; %bb.278:
	scratch_load_b64 v[130:131], off, off offset:472
	v_mov_b64_e32 v[132:133], 0
	scratch_store_b64 off, v[132:133], off offset:472
	s_wait_loadcnt 0x0
	ds_store_b64 v1, v[130:131]
.LBB63_279:
	s_wait_xcnt 0x0
	s_or_b32 exec_lo, exec_lo, s0
	s_wait_storecnt_dscnt 0x0
	s_barrier_signal -1
	s_barrier_wait -1
	s_clause 0x2
	scratch_load_b128 v[130:133], off, off offset:480
	scratch_load_b128 v[134:137], off, off offset:496
	scratch_load_b64 v[146:147], off, off offset:472
	ds_load_b128 v[138:141], v7 offset:992
	ds_load_b128 v[142:145], v7 offset:1008
	s_mov_b32 s0, exec_lo
	s_wait_dscnt 0x1
	v_dual_mov_b32 v148, v141 :: v_dual_mov_b32 v149, v140
	s_wait_loadcnt_dscnt 0x200
	v_dual_mov_b32 v154, v145 :: v_dual_mov_b32 v152, v133
	v_pk_mul_f32 v[150:151], v[138:139], v[130:131] op_sel:[1,1] op_sel_hi:[0,1]
	s_delay_alu instid0(VALU_DEP_2) | instskip(NEXT) | instid1(VALU_DEP_2)
	v_pk_mul_f32 v[148:149], v[148:149], v[152:153] op_sel_hi:[1,0]
	v_pk_fma_f32 v[156:157], v[138:139], v[130:131], v[150:151] op_sel_hi:[1,0,1]
	v_pk_fma_f32 v[130:131], v[138:139], v[130:131], v[150:151] neg_lo:[0,0,1] neg_hi:[0,0,1]
	v_mov_b32_e32 v155, v144
	s_wait_loadcnt 0x1
	v_pk_mul_f32 v[152:153], v[142:143], v[134:135] op_sel:[1,1] op_sel_hi:[0,1]
	v_pk_fma_f32 v[138:139], v[140:141], v[132:133], v[148:149] op_sel_hi:[1,0,1]
	v_dual_mov_b32 v131, v157 :: v_dual_mov_b32 v138, v137
	v_pk_fma_f32 v[132:133], v[140:141], v[132:133], v[148:149] neg_lo:[0,0,1] neg_hi:[0,0,1]
	s_delay_alu instid0(VALU_DEP_4) | instskip(NEXT) | instid1(VALU_DEP_4)
	v_pk_fma_f32 v[150:151], v[142:143], v[134:135], v[152:153] op_sel_hi:[1,0,1]
	v_mov_b32_e32 v133, v139
	s_delay_alu instid0(VALU_DEP_4) | instskip(SKIP_2) | instid1(VALU_DEP_3)
	v_pk_add_f32 v[130:131], v[130:131], 0 op_sel_hi:[1,0]
	v_pk_mul_f32 v[138:139], v[154:155], v[138:139] op_sel_hi:[1,0]
	v_pk_fma_f32 v[134:135], v[142:143], v[134:135], v[152:153] neg_lo:[0,0,1] neg_hi:[0,0,1]
	v_pk_add_f32 v[130:131], v[130:131], v[132:133]
	s_delay_alu instid0(VALU_DEP_3) | instskip(SKIP_2) | instid1(VALU_DEP_3)
	v_pk_fma_f32 v[132:133], v[144:145], v[136:137], v[138:139] op_sel_hi:[1,0,1]
	v_mov_b32_e32 v135, v151
	v_pk_fma_f32 v[136:137], v[144:145], v[136:137], v[138:139] neg_lo:[0,0,1] neg_hi:[0,0,1]
	v_mov_b32_e32 v137, v133
	s_delay_alu instid0(VALU_DEP_3) | instskip(NEXT) | instid1(VALU_DEP_1)
	v_pk_add_f32 v[130:131], v[130:131], v[134:135]
	v_pk_add_f32 v[130:131], v[130:131], v[136:137]
	s_wait_loadcnt 0x0
	s_delay_alu instid0(VALU_DEP_1)
	v_pk_add_f32 v[130:131], v[146:147], v[130:131] neg_lo:[0,1] neg_hi:[0,1]
	scratch_store_b64 off, v[130:131], off offset:472
	s_wait_xcnt 0x0
	v_cmpx_lt_u32_e32 58, v0
	s_cbranch_execz .LBB63_281
; %bb.280:
	scratch_load_b64 v[130:131], off, off offset:464
	v_mov_b64_e32 v[132:133], 0
	scratch_store_b64 off, v[132:133], off offset:464
	s_wait_loadcnt 0x0
	ds_store_b64 v1, v[130:131]
.LBB63_281:
	s_wait_xcnt 0x0
	s_or_b32 exec_lo, exec_lo, s0
	s_wait_storecnt_dscnt 0x0
	s_barrier_signal -1
	s_barrier_wait -1
	s_clause 0x3
	scratch_load_b128 v[130:133], off, off offset:472
	scratch_load_b128 v[134:137], off, off offset:488
	scratch_load_b64 v[146:147], off, off offset:504
	scratch_load_b64 v[148:149], off, off offset:464
	v_mov_b32_e32 v7, 0
	ds_load_2addr_b64 v[138:141], v7 offset0:123 offset1:124
	ds_load_2addr_b64 v[142:145], v7 offset0:125 offset1:126
	s_mov_b32 s0, exec_lo
	s_wait_dscnt 0x1
	v_dual_mov_b32 v150, v141 :: v_dual_mov_b32 v151, v140
	ds_load_b64 v[156:157], v7 offset:1016
	s_wait_dscnt 0x1
	v_dual_mov_b32 v158, v145 :: v_dual_mov_b32 v159, v144
	s_wait_loadcnt 0x3
	v_pk_mul_f32 v[152:153], v[138:139], v[130:131] op_sel:[1,1] op_sel_hi:[0,1]
	v_mov_b32_e32 v154, v133
	s_delay_alu instid0(VALU_DEP_2) | instskip(NEXT) | instid1(VALU_DEP_2)
	v_pk_fma_f32 v[160:161], v[138:139], v[130:131], v[152:153] op_sel_hi:[1,0,1]
	v_pk_mul_f32 v[150:151], v[150:151], v[154:155] op_sel_hi:[1,0]
	v_pk_fma_f32 v[130:131], v[138:139], v[130:131], v[152:153] neg_lo:[0,0,1] neg_hi:[0,0,1]
	s_wait_loadcnt 0x2
	v_pk_mul_f32 v[154:155], v[142:143], v[134:135] op_sel:[1,1] op_sel_hi:[0,1]
	v_dual_mov_b32 v160, v137 :: v_dual_mov_b32 v131, v161
	v_pk_fma_f32 v[138:139], v[140:141], v[132:133], v[150:151] op_sel_hi:[1,0,1]
	v_pk_fma_f32 v[132:133], v[140:141], v[132:133], v[150:151] neg_lo:[0,0,1] neg_hi:[0,0,1]
	s_delay_alu instid0(VALU_DEP_4) | instskip(NEXT) | instid1(VALU_DEP_4)
	v_pk_fma_f32 v[152:153], v[142:143], v[134:135], v[154:155] op_sel_hi:[1,0,1]
	v_pk_mul_f32 v[158:159], v[158:159], v[160:161] op_sel_hi:[1,0]
	v_pk_add_f32 v[130:131], v[130:131], 0 op_sel_hi:[1,0]
	v_mov_b32_e32 v133, v139
	v_pk_fma_f32 v[134:135], v[142:143], v[134:135], v[154:155] neg_lo:[0,0,1] neg_hi:[0,0,1]
	v_mov_b32_e32 v135, v153
	v_pk_fma_f32 v[138:139], v[144:145], v[136:137], v[158:159] op_sel_hi:[1,0,1]
	v_pk_fma_f32 v[136:137], v[144:145], v[136:137], v[158:159] neg_lo:[0,0,1] neg_hi:[0,0,1]
	v_pk_add_f32 v[130:131], v[130:131], v[132:133]
	s_wait_loadcnt_dscnt 0x100
	v_pk_mul_f32 v[132:133], v[156:157], v[146:147] op_sel:[1,1] op_sel_hi:[0,1]
	s_delay_alu instid0(VALU_DEP_2) | instskip(NEXT) | instid1(VALU_DEP_2)
	v_pk_add_f32 v[130:131], v[130:131], v[134:135]
	v_pk_fma_f32 v[134:135], v[156:157], v[146:147], v[132:133] op_sel_hi:[1,0,1]
	v_mov_b32_e32 v137, v139
	v_pk_fma_f32 v[132:133], v[156:157], v[146:147], v[132:133] neg_lo:[0,0,1] neg_hi:[0,0,1]
	s_delay_alu instid0(VALU_DEP_3) | instskip(NEXT) | instid1(VALU_DEP_3)
	v_mov_b32_e32 v133, v135
	v_pk_add_f32 v[130:131], v[130:131], v[136:137]
	s_delay_alu instid0(VALU_DEP_1) | instskip(SKIP_1) | instid1(VALU_DEP_1)
	v_pk_add_f32 v[130:131], v[130:131], v[132:133]
	s_wait_loadcnt 0x0
	v_pk_add_f32 v[130:131], v[148:149], v[130:131] neg_lo:[0,1] neg_hi:[0,1]
	scratch_store_b64 off, v[130:131], off offset:464
	s_wait_xcnt 0x0
	v_cmpx_lt_u32_e32 57, v0
	s_cbranch_execz .LBB63_283
; %bb.282:
	scratch_load_b64 v[130:131], off, off offset:456
	v_mov_b64_e32 v[132:133], 0
	scratch_store_b64 off, v[132:133], off offset:456
	s_wait_loadcnt 0x0
	ds_store_b64 v1, v[130:131]
.LBB63_283:
	s_wait_xcnt 0x0
	s_or_b32 exec_lo, exec_lo, s0
	s_wait_storecnt_dscnt 0x0
	s_barrier_signal -1
	s_barrier_wait -1
	s_clause 0x3
	scratch_load_b128 v[130:133], off, off offset:464
	scratch_load_b128 v[134:137], off, off offset:480
	;; [unrolled: 1-line block ×3, first 2 shown]
	scratch_load_b64 v[154:155], off, off offset:456
	ds_load_b128 v[142:145], v7 offset:976
	ds_load_b128 v[146:149], v7 offset:992
	;; [unrolled: 1-line block ×3, first 2 shown]
	s_mov_b32 s0, exec_lo
	s_wait_dscnt 0x2
	v_dual_mov_b32 v156, v145 :: v_dual_mov_b32 v157, v144
	s_wait_dscnt 0x1
	v_dual_mov_b32 v158, v149 :: v_dual_mov_b32 v159, v148
	;; [unrolled: 2-line block ×3, first 2 shown]
	s_wait_loadcnt 0x3
	v_pk_mul_f32 v[160:161], v[142:143], v[130:131] op_sel:[1,1] op_sel_hi:[0,1]
	v_mov_b32_e32 v162, v133
	s_delay_alu instid0(VALU_DEP_2) | instskip(NEXT) | instid1(VALU_DEP_2)
	v_pk_fma_f32 v[166:167], v[142:143], v[130:131], v[160:161] op_sel_hi:[1,0,1]
	v_pk_mul_f32 v[156:157], v[156:157], v[162:163] op_sel_hi:[1,0]
	v_pk_fma_f32 v[130:131], v[142:143], v[130:131], v[160:161] neg_lo:[0,0,1] neg_hi:[0,0,1]
	s_wait_loadcnt 0x2
	v_pk_mul_f32 v[162:163], v[146:147], v[134:135] op_sel:[1,1] op_sel_hi:[0,1]
	v_mov_b32_e32 v166, v137
	v_pk_fma_f32 v[142:143], v[144:145], v[132:133], v[156:157] op_sel_hi:[1,0,1]
	v_mov_b32_e32 v131, v167
	v_pk_fma_f32 v[132:133], v[144:145], v[132:133], v[156:157] neg_lo:[0,0,1] neg_hi:[0,0,1]
	v_pk_fma_f32 v[160:161], v[146:147], v[134:135], v[162:163] op_sel_hi:[1,0,1]
	v_pk_mul_f32 v[158:159], v[158:159], v[166:167] op_sel_hi:[1,0]
	v_mov_b32_e32 v133, v143
	v_pk_add_f32 v[130:131], v[130:131], 0 op_sel_hi:[1,0]
	v_pk_fma_f32 v[134:135], v[146:147], v[134:135], v[162:163] neg_lo:[0,0,1] neg_hi:[0,0,1]
	s_wait_loadcnt 0x1
	v_pk_mul_f32 v[142:143], v[150:151], v[138:139] op_sel:[1,1] op_sel_hi:[0,1]
	v_mov_b32_e32 v135, v161
	v_pk_fma_f32 v[144:145], v[148:149], v[136:137], v[158:159] op_sel_hi:[1,0,1]
	v_pk_add_f32 v[130:131], v[130:131], v[132:133]
	v_mov_b32_e32 v132, v141
	v_pk_fma_f32 v[136:137], v[148:149], v[136:137], v[158:159] neg_lo:[0,0,1] neg_hi:[0,0,1]
	v_pk_fma_f32 v[146:147], v[150:151], v[138:139], v[142:143] op_sel_hi:[1,0,1]
	v_mov_b32_e32 v137, v145
	v_pk_add_f32 v[130:131], v[130:131], v[134:135]
	v_pk_mul_f32 v[132:133], v[164:165], v[132:133] op_sel_hi:[1,0]
	v_pk_fma_f32 v[134:135], v[150:151], v[138:139], v[142:143] neg_lo:[0,0,1] neg_hi:[0,0,1]
	v_mov_b32_e32 v135, v147
	s_delay_alu instid0(VALU_DEP_4) | instskip(NEXT) | instid1(VALU_DEP_4)
	v_pk_add_f32 v[130:131], v[130:131], v[136:137]
	v_pk_fma_f32 v[136:137], v[152:153], v[140:141], v[132:133] op_sel_hi:[1,0,1]
	v_pk_fma_f32 v[132:133], v[152:153], v[140:141], v[132:133] neg_lo:[0,0,1] neg_hi:[0,0,1]
	s_delay_alu instid0(VALU_DEP_3) | instskip(NEXT) | instid1(VALU_DEP_3)
	v_pk_add_f32 v[130:131], v[130:131], v[134:135]
	v_mov_b32_e32 v133, v137
	s_delay_alu instid0(VALU_DEP_1) | instskip(SKIP_1) | instid1(VALU_DEP_1)
	v_pk_add_f32 v[130:131], v[130:131], v[132:133]
	s_wait_loadcnt 0x0
	v_pk_add_f32 v[130:131], v[154:155], v[130:131] neg_lo:[0,1] neg_hi:[0,1]
	scratch_store_b64 off, v[130:131], off offset:456
	s_wait_xcnt 0x0
	v_cmpx_lt_u32_e32 56, v0
	s_cbranch_execz .LBB63_285
; %bb.284:
	scratch_load_b64 v[130:131], off, off offset:448
	v_mov_b64_e32 v[132:133], 0
	scratch_store_b64 off, v[132:133], off offset:448
	s_wait_loadcnt 0x0
	ds_store_b64 v1, v[130:131]
.LBB63_285:
	s_wait_xcnt 0x0
	s_or_b32 exec_lo, exec_lo, s0
	s_wait_storecnt_dscnt 0x0
	s_barrier_signal -1
	s_barrier_wait -1
	s_clause 0x4
	scratch_load_b128 v[130:133], off, off offset:456
	scratch_load_b128 v[134:137], off, off offset:472
	scratch_load_b128 v[138:141], off, off offset:488
	scratch_load_b64 v[154:155], off, off offset:504
	scratch_load_b64 v[156:157], off, off offset:448
	v_mov_b32_e32 v7, 0
	ds_load_2addr_b64 v[142:145], v7 offset0:121 offset1:122
	ds_load_2addr_b64 v[146:149], v7 offset0:123 offset1:124
	ds_load_2addr_b64 v[150:153], v7 offset0:125 offset1:126
	ds_load_b64 v[158:159], v7 offset:1016
	s_mov_b32 s0, exec_lo
	s_wait_dscnt 0x3
	v_dual_mov_b32 v160, v145 :: v_dual_mov_b32 v161, v144
	s_wait_dscnt 0x2
	v_dual_mov_b32 v162, v149 :: v_dual_mov_b32 v163, v148
	;; [unrolled: 2-line block ×3, first 2 shown]
	s_wait_loadcnt 0x4
	v_pk_mul_f32 v[164:165], v[142:143], v[130:131] op_sel:[1,1] op_sel_hi:[0,1]
	v_mov_b32_e32 v166, v133
	s_wait_loadcnt 0x3
	v_pk_mul_f32 v[170:171], v[146:147], v[134:135] op_sel:[1,1] op_sel_hi:[0,1]
	s_wait_loadcnt 0x2
	v_pk_mul_f32 v[174:175], v[150:151], v[138:139] op_sel:[1,1] op_sel_hi:[0,1]
	v_pk_fma_f32 v[172:173], v[142:143], v[130:131], v[164:165] op_sel_hi:[1,0,1]
	v_pk_mul_f32 v[160:161], v[160:161], v[166:167] op_sel_hi:[1,0]
	v_pk_fma_f32 v[130:131], v[142:143], v[130:131], v[164:165] neg_lo:[0,0,1] neg_hi:[0,0,1]
	v_mov_b32_e32 v166, v137
	v_pk_fma_f32 v[164:165], v[146:147], v[134:135], v[170:171] op_sel_hi:[1,0,1]
	v_mov_b32_e32 v131, v173
	v_pk_fma_f32 v[142:143], v[144:145], v[132:133], v[160:161] op_sel_hi:[1,0,1]
	v_pk_fma_f32 v[132:133], v[144:145], v[132:133], v[160:161] neg_lo:[0,0,1] neg_hi:[0,0,1]
	v_pk_mul_f32 v[162:163], v[162:163], v[166:167] op_sel_hi:[1,0]
	v_pk_fma_f32 v[134:135], v[146:147], v[134:135], v[170:171] neg_lo:[0,0,1] neg_hi:[0,0,1]
	v_pk_add_f32 v[130:131], v[130:131], 0 op_sel_hi:[1,0]
	v_dual_mov_b32 v133, v143 :: v_dual_mov_b32 v142, v141
	s_delay_alu instid0(VALU_DEP_4) | instskip(SKIP_2) | instid1(VALU_DEP_4)
	v_pk_fma_f32 v[144:145], v[148:149], v[136:137], v[162:163] op_sel_hi:[1,0,1]
	v_mov_b32_e32 v135, v165
	v_pk_fma_f32 v[136:137], v[148:149], v[136:137], v[162:163] neg_lo:[0,0,1] neg_hi:[0,0,1]
	v_pk_add_f32 v[130:131], v[130:131], v[132:133]
	v_pk_fma_f32 v[132:133], v[150:151], v[138:139], v[174:175] op_sel_hi:[1,0,1]
	v_pk_mul_f32 v[142:143], v[168:169], v[142:143] op_sel_hi:[1,0]
	v_mov_b32_e32 v137, v145
	s_delay_alu instid0(VALU_DEP_4)
	v_pk_add_f32 v[130:131], v[130:131], v[134:135]
	v_pk_fma_f32 v[134:135], v[150:151], v[138:139], v[174:175] neg_lo:[0,0,1] neg_hi:[0,0,1]
	v_mov_b32_e32 v135, v133
	v_pk_fma_f32 v[132:133], v[152:153], v[140:141], v[142:143] op_sel_hi:[1,0,1]
	v_pk_fma_f32 v[138:139], v[152:153], v[140:141], v[142:143] neg_lo:[0,0,1] neg_hi:[0,0,1]
	v_pk_add_f32 v[130:131], v[130:131], v[136:137]
	s_wait_loadcnt_dscnt 0x100
	v_pk_mul_f32 v[136:137], v[158:159], v[154:155] op_sel:[1,1] op_sel_hi:[0,1]
	v_mov_b32_e32 v139, v133
	s_delay_alu instid0(VALU_DEP_3) | instskip(NEXT) | instid1(VALU_DEP_3)
	v_pk_add_f32 v[130:131], v[130:131], v[134:135]
	v_pk_fma_f32 v[132:133], v[158:159], v[154:155], v[136:137] op_sel_hi:[1,0,1]
	v_pk_fma_f32 v[134:135], v[158:159], v[154:155], v[136:137] neg_lo:[0,0,1] neg_hi:[0,0,1]
	s_delay_alu instid0(VALU_DEP_3) | instskip(NEXT) | instid1(VALU_DEP_3)
	v_pk_add_f32 v[130:131], v[130:131], v[138:139]
	v_mov_b32_e32 v135, v133
	s_delay_alu instid0(VALU_DEP_1) | instskip(SKIP_1) | instid1(VALU_DEP_1)
	v_pk_add_f32 v[130:131], v[130:131], v[134:135]
	s_wait_loadcnt 0x0
	v_pk_add_f32 v[130:131], v[156:157], v[130:131] neg_lo:[0,1] neg_hi:[0,1]
	scratch_store_b64 off, v[130:131], off offset:448
	s_wait_xcnt 0x0
	v_cmpx_lt_u32_e32 55, v0
	s_cbranch_execz .LBB63_287
; %bb.286:
	scratch_load_b64 v[130:131], off, off offset:440
	v_mov_b64_e32 v[132:133], 0
	scratch_store_b64 off, v[132:133], off offset:440
	s_wait_loadcnt 0x0
	ds_store_b64 v1, v[130:131]
.LBB63_287:
	s_wait_xcnt 0x0
	s_or_b32 exec_lo, exec_lo, s0
	s_wait_storecnt_dscnt 0x0
	s_barrier_signal -1
	s_barrier_wait -1
	s_clause 0x4
	scratch_load_b128 v[130:133], off, off offset:448
	scratch_load_b128 v[134:137], off, off offset:464
	scratch_load_b128 v[138:141], off, off offset:480
	scratch_load_b128 v[142:145], off, off offset:496
	scratch_load_b64 v[162:163], off, off offset:440
	ds_load_b128 v[146:149], v7 offset:960
	ds_load_b128 v[150:153], v7 offset:976
	;; [unrolled: 1-line block ×4, first 2 shown]
	s_mov_b32 s0, exec_lo
	s_wait_dscnt 0x3
	v_dual_mov_b32 v164, v149 :: v_dual_mov_b32 v165, v148
	s_wait_dscnt 0x2
	v_dual_mov_b32 v166, v153 :: v_dual_mov_b32 v167, v152
	;; [unrolled: 2-line block ×3, first 2 shown]
	v_dual_mov_b32 v169, v156 :: v_dual_mov_b32 v174, v161
	s_wait_loadcnt 0x4
	v_mov_b32_e32 v172, v133
	v_pk_mul_f32 v[170:171], v[146:147], v[130:131] op_sel:[1,1] op_sel_hi:[0,1]
	s_wait_loadcnt 0x3
	v_pk_mul_f32 v[176:177], v[150:151], v[134:135] op_sel:[1,1] op_sel_hi:[0,1]
	s_wait_loadcnt 0x2
	v_pk_mul_f32 v[180:181], v[154:155], v[138:139] op_sel:[1,1] op_sel_hi:[0,1]
	v_pk_mul_f32 v[164:165], v[164:165], v[172:173] op_sel_hi:[1,0]
	v_pk_fma_f32 v[178:179], v[146:147], v[130:131], v[170:171] op_sel_hi:[1,0,1]
	v_pk_fma_f32 v[130:131], v[146:147], v[130:131], v[170:171] neg_lo:[0,0,1] neg_hi:[0,0,1]
	v_mov_b32_e32 v172, v137
	v_pk_fma_f32 v[170:171], v[150:151], v[134:135], v[176:177] op_sel_hi:[1,0,1]
	v_pk_fma_f32 v[146:147], v[148:149], v[132:133], v[164:165] op_sel_hi:[1,0,1]
	v_mov_b32_e32 v131, v179
	v_pk_fma_f32 v[132:133], v[148:149], v[132:133], v[164:165] neg_lo:[0,0,1] neg_hi:[0,0,1]
	v_pk_mul_f32 v[166:167], v[166:167], v[172:173] op_sel_hi:[1,0]
	s_delay_alu instid0(VALU_DEP_4) | instskip(NEXT) | instid1(VALU_DEP_4)
	v_dual_mov_b32 v146, v141 :: v_dual_mov_b32 v133, v147
	v_pk_add_f32 v[130:131], v[130:131], 0 op_sel_hi:[1,0]
	v_pk_fma_f32 v[134:135], v[150:151], v[134:135], v[176:177] neg_lo:[0,0,1] neg_hi:[0,0,1]
	v_mov_b32_e32 v135, v171
	v_pk_fma_f32 v[148:149], v[152:153], v[136:137], v[166:167] op_sel_hi:[1,0,1]
	v_pk_mul_f32 v[146:147], v[168:169], v[146:147] op_sel_hi:[1,0]
	v_pk_add_f32 v[130:131], v[130:131], v[132:133]
	v_pk_fma_f32 v[132:133], v[154:155], v[138:139], v[180:181] op_sel_hi:[1,0,1]
	v_pk_fma_f32 v[136:137], v[152:153], v[136:137], v[166:167] neg_lo:[0,0,1] neg_hi:[0,0,1]
	v_mov_b32_e32 v137, v149
	v_pk_fma_f32 v[138:139], v[154:155], v[138:139], v[180:181] neg_lo:[0,0,1] neg_hi:[0,0,1]
	v_pk_add_f32 v[130:131], v[130:131], v[134:135]
	v_mov_b32_e32 v139, v133
	v_pk_fma_f32 v[132:133], v[156:157], v[140:141], v[146:147] op_sel_hi:[1,0,1]
	s_wait_loadcnt 0x1
	v_pk_mul_f32 v[134:135], v[158:159], v[142:143] op_sel:[1,1] op_sel_hi:[0,1]
	v_mov_b32_e32 v132, v145
	v_pk_add_f32 v[130:131], v[130:131], v[136:137]
	v_pk_fma_f32 v[140:141], v[156:157], v[140:141], v[146:147] neg_lo:[0,0,1] neg_hi:[0,0,1]
	v_mov_b32_e32 v141, v133
	v_pk_fma_f32 v[136:137], v[158:159], v[142:143], v[134:135] op_sel_hi:[1,0,1]
	v_pk_mul_f32 v[132:133], v[174:175], v[132:133] op_sel_hi:[1,0]
	v_pk_add_f32 v[130:131], v[130:131], v[138:139]
	v_pk_fma_f32 v[134:135], v[158:159], v[142:143], v[134:135] neg_lo:[0,0,1] neg_hi:[0,0,1]
	s_delay_alu instid0(VALU_DEP_4) | instskip(NEXT) | instid1(VALU_DEP_4)
	v_mov_b32_e32 v135, v137
	v_pk_fma_f32 v[136:137], v[160:161], v[144:145], v[132:133] op_sel_hi:[1,0,1]
	s_delay_alu instid0(VALU_DEP_4) | instskip(SKIP_1) | instid1(VALU_DEP_3)
	v_pk_add_f32 v[130:131], v[130:131], v[140:141]
	v_pk_fma_f32 v[132:133], v[160:161], v[144:145], v[132:133] neg_lo:[0,0,1] neg_hi:[0,0,1]
	v_mov_b32_e32 v133, v137
	s_delay_alu instid0(VALU_DEP_3) | instskip(NEXT) | instid1(VALU_DEP_1)
	v_pk_add_f32 v[130:131], v[130:131], v[134:135]
	v_pk_add_f32 v[130:131], v[130:131], v[132:133]
	s_wait_loadcnt 0x0
	s_delay_alu instid0(VALU_DEP_1)
	v_pk_add_f32 v[130:131], v[162:163], v[130:131] neg_lo:[0,1] neg_hi:[0,1]
	scratch_store_b64 off, v[130:131], off offset:440
	s_wait_xcnt 0x0
	v_cmpx_lt_u32_e32 54, v0
	s_cbranch_execz .LBB63_289
; %bb.288:
	scratch_load_b64 v[130:131], off, off offset:432
	v_mov_b64_e32 v[132:133], 0
	scratch_store_b64 off, v[132:133], off offset:432
	s_wait_loadcnt 0x0
	ds_store_b64 v1, v[130:131]
.LBB63_289:
	s_wait_xcnt 0x0
	s_or_b32 exec_lo, exec_lo, s0
	s_wait_storecnt_dscnt 0x0
	s_barrier_signal -1
	s_barrier_wait -1
	s_clause 0x5
	scratch_load_b128 v[130:133], off, off offset:440
	scratch_load_b128 v[134:137], off, off offset:456
	;; [unrolled: 1-line block ×4, first 2 shown]
	scratch_load_b64 v[162:163], off, off offset:504
	scratch_load_b64 v[164:165], off, off offset:432
	v_mov_b32_e32 v7, 0
	ds_load_2addr_b64 v[146:149], v7 offset0:119 offset1:120
	ds_load_2addr_b64 v[150:153], v7 offset0:121 offset1:122
	;; [unrolled: 1-line block ×4, first 2 shown]
	ds_load_b64 v[166:167], v7 offset:1016
	s_mov_b32 s0, exec_lo
	s_wait_dscnt 0x4
	v_dual_mov_b32 v168, v149 :: v_dual_mov_b32 v169, v148
	s_wait_dscnt 0x1
	v_dual_mov_b32 v170, v153 :: v_dual_mov_b32 v175, v160
	v_dual_mov_b32 v171, v152 :: v_dual_mov_b32 v172, v157
	;; [unrolled: 1-line block ×3, first 2 shown]
	s_wait_loadcnt 0x5
	v_dual_mov_b32 v176, v133 :: v_dual_mul_f32 v177, v146, v131
	v_mul_f32_e32 v9, v147, v131
	s_wait_loadcnt 0x4
	v_pk_mul_f32 v[178:179], v[150:151], v[134:135] op_sel:[1,1] op_sel_hi:[0,1]
	v_mov_b32_e32 v180, v137
	s_wait_loadcnt 0x3
	v_pk_mul_f32 v[182:183], v[154:155], v[138:139] op_sel:[1,1] op_sel_hi:[0,1]
	v_pk_mul_f32 v[168:169], v[168:169], v[176:177] op_sel_hi:[1,0]
	v_fmac_f32_e32 v177, v147, v130
	v_dual_fma_f32 v176, v146, v130, -v9 :: v_dual_mov_b32 v130, v141
	v_pk_fma_f32 v[184:185], v[150:151], v[134:135], v[178:179] op_sel_hi:[1,0,1]
	s_delay_alu instid0(VALU_DEP_4)
	v_pk_fma_f32 v[146:147], v[148:149], v[132:133], v[168:169] op_sel_hi:[1,0,1]
	v_pk_fma_f32 v[132:133], v[148:149], v[132:133], v[168:169] neg_lo:[0,0,1] neg_hi:[0,0,1]
	v_pk_mul_f32 v[170:171], v[170:171], v[180:181] op_sel_hi:[1,0]
	v_pk_add_f32 v[176:177], v[176:177], 0 op_sel_hi:[1,0]
	v_pk_fma_f32 v[134:135], v[150:151], v[134:135], v[178:179] neg_lo:[0,0,1] neg_hi:[0,0,1]
	v_dual_mov_b32 v133, v147 :: v_dual_mov_b32 v135, v185
	s_delay_alu instid0(VALU_DEP_4) | instskip(SKIP_2) | instid1(VALU_DEP_4)
	v_pk_fma_f32 v[148:149], v[152:153], v[136:137], v[170:171] op_sel_hi:[1,0,1]
	v_pk_fma_f32 v[136:137], v[152:153], v[136:137], v[170:171] neg_lo:[0,0,1] neg_hi:[0,0,1]
	v_pk_fma_f32 v[150:151], v[154:155], v[138:139], v[182:183] op_sel_hi:[1,0,1]
	v_pk_add_f32 v[132:133], v[176:177], v[132:133]
	v_pk_mul_f32 v[130:131], v[172:173], v[130:131] op_sel_hi:[1,0]
	v_mov_b32_e32 v137, v149
	v_pk_fma_f32 v[138:139], v[154:155], v[138:139], v[182:183] neg_lo:[0,0,1] neg_hi:[0,0,1]
	s_wait_loadcnt 0x2
	v_pk_mul_f32 v[146:147], v[158:159], v[142:143] op_sel:[1,1] op_sel_hi:[0,1]
	v_pk_add_f32 v[132:133], v[132:133], v[134:135]
	v_mov_b32_e32 v134, v145
	v_pk_fma_f32 v[148:149], v[156:157], v[140:141], v[130:131] op_sel_hi:[1,0,1]
	v_mov_b32_e32 v139, v151
	v_pk_fma_f32 v[130:131], v[156:157], v[140:141], v[130:131] neg_lo:[0,0,1] neg_hi:[0,0,1]
	v_pk_add_f32 v[132:133], v[132:133], v[136:137]
	v_pk_fma_f32 v[136:137], v[158:159], v[142:143], v[146:147] op_sel_hi:[1,0,1]
	v_pk_mul_f32 v[134:135], v[174:175], v[134:135] op_sel_hi:[1,0]
	v_mov_b32_e32 v131, v149
	s_delay_alu instid0(VALU_DEP_4)
	v_pk_add_f32 v[132:133], v[132:133], v[138:139]
	v_pk_fma_f32 v[138:139], v[158:159], v[142:143], v[146:147] neg_lo:[0,0,1] neg_hi:[0,0,1]
	v_mov_b32_e32 v139, v137
	v_pk_fma_f32 v[136:137], v[160:161], v[144:145], v[134:135] op_sel_hi:[1,0,1]
	v_pk_fma_f32 v[134:135], v[160:161], v[144:145], v[134:135] neg_lo:[0,0,1] neg_hi:[0,0,1]
	v_pk_add_f32 v[130:131], v[132:133], v[130:131]
	s_wait_loadcnt_dscnt 0x100
	v_pk_mul_f32 v[132:133], v[166:167], v[162:163] op_sel:[1,1] op_sel_hi:[0,1]
	v_mov_b32_e32 v135, v137
	s_delay_alu instid0(VALU_DEP_3) | instskip(NEXT) | instid1(VALU_DEP_3)
	v_pk_add_f32 v[130:131], v[130:131], v[138:139]
	v_pk_fma_f32 v[136:137], v[166:167], v[162:163], v[132:133] op_sel_hi:[1,0,1]
	v_pk_fma_f32 v[132:133], v[166:167], v[162:163], v[132:133] neg_lo:[0,0,1] neg_hi:[0,0,1]
	s_delay_alu instid0(VALU_DEP_3) | instskip(NEXT) | instid1(VALU_DEP_3)
	v_pk_add_f32 v[130:131], v[130:131], v[134:135]
	v_mov_b32_e32 v133, v137
	s_delay_alu instid0(VALU_DEP_1) | instskip(SKIP_1) | instid1(VALU_DEP_1)
	v_pk_add_f32 v[130:131], v[130:131], v[132:133]
	s_wait_loadcnt 0x0
	v_pk_add_f32 v[130:131], v[164:165], v[130:131] neg_lo:[0,1] neg_hi:[0,1]
	scratch_store_b64 off, v[130:131], off offset:432
	s_wait_xcnt 0x0
	v_cmpx_lt_u32_e32 53, v0
	s_cbranch_execz .LBB63_291
; %bb.290:
	scratch_load_b64 v[130:131], off, off offset:424
	v_mov_b64_e32 v[132:133], 0
	scratch_store_b64 off, v[132:133], off offset:424
	s_wait_loadcnt 0x0
	ds_store_b64 v1, v[130:131]
.LBB63_291:
	s_wait_xcnt 0x0
	s_or_b32 exec_lo, exec_lo, s0
	s_wait_storecnt_dscnt 0x0
	s_barrier_signal -1
	s_barrier_wait -1
	s_clause 0x5
	scratch_load_b128 v[130:133], off, off offset:432
	scratch_load_b128 v[134:137], off, off offset:448
	;; [unrolled: 1-line block ×5, first 2 shown]
	scratch_load_b64 v[170:171], off, off offset:424
	ds_load_b128 v[150:153], v7 offset:960
	ds_load_b128 v[154:157], v7 offset:976
	;; [unrolled: 1-line block ×5, first 2 shown]
	s_mov_b32 s0, exec_lo
	s_wait_dscnt 0x4
	v_dual_mov_b32 v172, v153 :: v_dual_mov_b32 v173, v152
	s_wait_dscnt 0x3
	v_dual_mov_b32 v174, v157 :: v_dual_mov_b32 v175, v156
	;; [unrolled: 2-line block ×4, first 2 shown]
	s_wait_loadcnt_dscnt 0x500
	v_dual_mul_f32 v181, v166, v131 :: v_dual_mul_f32 v183, v168, v133
	v_dual_mul_f32 v7, v167, v131 :: v_dual_mul_f32 v9, v169, v133
	s_wait_loadcnt 0x4
	v_pk_mul_f32 v[184:185], v[150:151], v[134:135] op_sel:[1,1] op_sel_hi:[0,1]
	s_wait_loadcnt 0x3
	v_dual_mov_b32 v186, v137 :: v_dual_mov_b32 v190, v141
	v_dual_fmac_f32 v181, v167, v130 :: v_dual_fma_f32 v180, v166, v130, -v7
	v_dual_fmac_f32 v183, v169, v132 :: v_dual_fma_f32 v182, v168, v132, -v9
	v_pk_fma_f32 v[130:131], v[150:151], v[134:135], v[184:185] op_sel_hi:[1,0,1]
	s_delay_alu instid0(VALU_DEP_4) | instskip(NEXT) | instid1(VALU_DEP_4)
	v_pk_mul_f32 v[132:133], v[172:173], v[186:187] op_sel_hi:[1,0]
	v_pk_add_f32 v[166:167], v[180:181], 0 op_sel_hi:[1,0]
	v_pk_fma_f32 v[134:135], v[150:151], v[134:135], v[184:185] neg_lo:[0,0,1] neg_hi:[0,0,1]
	v_pk_mul_f32 v[188:189], v[154:155], v[138:139] op_sel:[1,1] op_sel_hi:[0,1]
	v_mov_b32_e32 v135, v131
	v_pk_fma_f32 v[130:131], v[152:153], v[136:137], v[132:133] op_sel_hi:[1,0,1]
	v_pk_add_f32 v[150:151], v[166:167], v[182:183]
	v_pk_fma_f32 v[132:133], v[152:153], v[136:137], v[132:133] neg_lo:[0,0,1] neg_hi:[0,0,1]
	v_pk_fma_f32 v[166:167], v[154:155], v[138:139], v[188:189] op_sel_hi:[1,0,1]
	v_pk_mul_f32 v[172:173], v[174:175], v[190:191] op_sel_hi:[1,0]
	v_mov_b32_e32 v133, v131
	v_pk_add_f32 v[130:131], v[150:151], v[134:135]
	s_wait_loadcnt 0x2
	v_pk_mul_f32 v[168:169], v[158:159], v[142:143] op_sel:[1,1] op_sel_hi:[0,1]
	v_mov_b32_e32 v134, v145
	v_pk_fma_f32 v[136:137], v[154:155], v[138:139], v[188:189] neg_lo:[0,0,1] neg_hi:[0,0,1]
	v_mov_b32_e32 v137, v167
	v_pk_fma_f32 v[138:139], v[156:157], v[140:141], v[172:173] op_sel_hi:[1,0,1]
	v_pk_add_f32 v[130:131], v[130:131], v[132:133]
	v_pk_fma_f32 v[132:133], v[158:159], v[142:143], v[168:169] op_sel_hi:[1,0,1]
	v_pk_mul_f32 v[134:135], v[176:177], v[134:135] op_sel_hi:[1,0]
	v_pk_fma_f32 v[140:141], v[156:157], v[140:141], v[172:173] neg_lo:[0,0,1] neg_hi:[0,0,1]
	v_mov_b32_e32 v141, v139
	v_pk_add_f32 v[130:131], v[130:131], v[136:137]
	v_pk_fma_f32 v[138:139], v[158:159], v[142:143], v[168:169] neg_lo:[0,0,1] neg_hi:[0,0,1]
	v_mov_b32_e32 v139, v133
	v_pk_fma_f32 v[132:133], v[160:161], v[144:145], v[134:135] op_sel_hi:[1,0,1]
	s_wait_loadcnt 0x1
	v_pk_mul_f32 v[136:137], v[162:163], v[146:147] op_sel:[1,1] op_sel_hi:[0,1]
	v_pk_add_f32 v[130:131], v[130:131], v[140:141]
	v_mov_b32_e32 v132, v149
	v_pk_fma_f32 v[134:135], v[160:161], v[144:145], v[134:135] neg_lo:[0,0,1] neg_hi:[0,0,1]
	v_mov_b32_e32 v135, v133
	v_pk_fma_f32 v[140:141], v[162:163], v[146:147], v[136:137] op_sel_hi:[1,0,1]
	v_pk_add_f32 v[130:131], v[130:131], v[138:139]
	v_pk_mul_f32 v[132:133], v[178:179], v[132:133] op_sel_hi:[1,0]
	v_pk_fma_f32 v[136:137], v[162:163], v[146:147], v[136:137] neg_lo:[0,0,1] neg_hi:[0,0,1]
	s_delay_alu instid0(VALU_DEP_3) | instskip(NEXT) | instid1(VALU_DEP_3)
	v_pk_add_f32 v[130:131], v[130:131], v[134:135]
	v_pk_fma_f32 v[134:135], v[164:165], v[148:149], v[132:133] op_sel_hi:[1,0,1]
	v_mov_b32_e32 v137, v141
	v_pk_fma_f32 v[132:133], v[164:165], v[148:149], v[132:133] neg_lo:[0,0,1] neg_hi:[0,0,1]
	s_delay_alu instid0(VALU_DEP_3) | instskip(NEXT) | instid1(VALU_DEP_3)
	v_mov_b32_e32 v133, v135
	v_pk_add_f32 v[130:131], v[130:131], v[136:137]
	s_delay_alu instid0(VALU_DEP_1) | instskip(SKIP_1) | instid1(VALU_DEP_1)
	v_pk_add_f32 v[130:131], v[130:131], v[132:133]
	s_wait_loadcnt 0x0
	v_pk_add_f32 v[130:131], v[170:171], v[130:131] neg_lo:[0,1] neg_hi:[0,1]
	scratch_store_b64 off, v[130:131], off offset:424
	s_wait_xcnt 0x0
	v_cmpx_lt_u32_e32 52, v0
	s_cbranch_execz .LBB63_293
; %bb.292:
	scratch_load_b64 v[130:131], off, off offset:416
	v_mov_b64_e32 v[132:133], 0
	scratch_store_b64 off, v[132:133], off offset:416
	s_wait_loadcnt 0x0
	ds_store_b64 v1, v[130:131]
.LBB63_293:
	s_wait_xcnt 0x0
	s_or_b32 exec_lo, exec_lo, s0
	s_wait_storecnt_dscnt 0x0
	s_barrier_signal -1
	s_barrier_wait -1
	s_clause 0x6
	scratch_load_b128 v[130:133], off, off offset:424
	scratch_load_b128 v[134:137], off, off offset:440
	scratch_load_b128 v[138:141], off, off offset:456
	scratch_load_b128 v[142:145], off, off offset:472
	scratch_load_b128 v[146:149], off, off offset:488
	scratch_load_b64 v[170:171], off, off offset:504
	scratch_load_b64 v[172:173], off, off offset:416
	v_mov_b32_e32 v7, 0
	ds_load_2addr_b64 v[150:153], v7 offset0:119 offset1:120
	ds_load_2addr_b64 v[154:157], v7 offset0:121 offset1:122
	;; [unrolled: 1-line block ×5, first 2 shown]
	ds_load_b64 v[174:175], v7 offset:1016
	s_mov_b32 s0, exec_lo
	s_wait_dscnt 0x5
	v_dual_mov_b32 v176, v153 :: v_dual_mov_b32 v177, v152
	s_wait_dscnt 0x2
	v_dual_mov_b32 v178, v157 :: v_dual_mov_b32 v183, v164
	v_dual_mov_b32 v179, v156 :: v_dual_mov_b32 v180, v161
	;; [unrolled: 1-line block ×3, first 2 shown]
	s_wait_loadcnt_dscnt 0x601
	v_dual_mul_f32 v9, v166, v131 :: v_dual_mul_f32 v11, v167, v131
	v_dual_mul_f32 v13, v169, v133 :: v_dual_mul_f32 v185, v168, v133
	s_wait_loadcnt 0x5
	v_dual_mul_f32 v187, v150, v135 :: v_dual_mul_f32 v15, v151, v135
	s_wait_loadcnt 0x4
	v_dual_mov_b32 v186, v137 :: v_dual_mov_b32 v190, v141
	v_dual_fmac_f32 v9, v167, v130 :: v_dual_fma_f32 v11, v166, v130, -v11
	v_fmac_f32_e32 v185, v169, v132
	v_pk_mul_f32 v[188:189], v[154:155], v[138:139] op_sel:[1,1] op_sel_hi:[0,1]
	s_delay_alu instid0(VALU_DEP_3)
	v_dual_fma_f32 v184, v168, v132, -v13 :: v_dual_add_f32 v133, 0, v9
	v_pk_mul_f32 v[130:131], v[176:177], v[186:187] op_sel_hi:[1,0]
	s_wait_loadcnt 0x3
	v_dual_add_f32 v132, 0, v11 :: v_dual_mov_b32 v166, v145
	v_fmac_f32_e32 v187, v151, v134
	v_fma_f32 v186, v150, v134, -v15
	v_pk_fma_f32 v[134:135], v[152:153], v[136:137], v[130:131] op_sel_hi:[1,0,1]
	s_delay_alu instid0(VALU_DEP_4) | instskip(SKIP_4) | instid1(VALU_DEP_4)
	v_pk_add_f32 v[132:133], v[132:133], v[184:185]
	v_pk_fma_f32 v[150:151], v[154:155], v[138:139], v[188:189] op_sel_hi:[1,0,1]
	v_pk_fma_f32 v[130:131], v[152:153], v[136:137], v[130:131] neg_lo:[0,0,1] neg_hi:[0,0,1]
	v_pk_fma_f32 v[136:137], v[154:155], v[138:139], v[188:189] neg_lo:[0,0,1] neg_hi:[0,0,1]
	v_pk_mul_f32 v[168:169], v[178:179], v[190:191] op_sel_hi:[1,0]
	v_dual_mov_b32 v131, v135 :: v_dual_mov_b32 v137, v151
	v_pk_add_f32 v[132:133], v[132:133], v[186:187]
	v_pk_mul_f32 v[192:193], v[158:159], v[142:143] op_sel:[1,1] op_sel_hi:[0,1]
	s_delay_alu instid0(VALU_DEP_4)
	v_pk_fma_f32 v[138:139], v[156:157], v[140:141], v[168:169] op_sel_hi:[1,0,1]
	v_pk_fma_f32 v[140:141], v[156:157], v[140:141], v[168:169] neg_lo:[0,0,1] neg_hi:[0,0,1]
	v_pk_mul_f32 v[150:151], v[180:181], v[166:167] op_sel_hi:[1,0]
	v_pk_add_f32 v[130:131], v[132:133], v[130:131]
	v_pk_fma_f32 v[132:133], v[158:159], v[142:143], v[192:193] op_sel_hi:[1,0,1]
	s_wait_loadcnt 0x2
	v_dual_mov_b32 v141, v139 :: v_dual_mov_b32 v132, v149
	v_pk_mul_f32 v[134:135], v[162:163], v[146:147] op_sel:[1,1] op_sel_hi:[0,1]
	v_pk_add_f32 v[130:131], v[130:131], v[136:137]
	v_pk_fma_f32 v[136:137], v[158:159], v[142:143], v[192:193] neg_lo:[0,0,1] neg_hi:[0,0,1]
	v_pk_fma_f32 v[138:139], v[160:161], v[144:145], v[150:151] op_sel_hi:[1,0,1]
	v_mov_b32_e32 v137, v133
	v_pk_fma_f32 v[142:143], v[160:161], v[144:145], v[150:151] neg_lo:[0,0,1] neg_hi:[0,0,1]
	v_pk_add_f32 v[130:131], v[130:131], v[140:141]
	v_pk_fma_f32 v[140:141], v[162:163], v[146:147], v[134:135] op_sel_hi:[1,0,1]
	v_pk_mul_f32 v[132:133], v[182:183], v[132:133] op_sel_hi:[1,0]
	v_mov_b32_e32 v143, v139
	v_pk_fma_f32 v[134:135], v[162:163], v[146:147], v[134:135] neg_lo:[0,0,1] neg_hi:[0,0,1]
	v_pk_add_f32 v[130:131], v[130:131], v[136:137]
	s_wait_loadcnt_dscnt 0x100
	v_pk_mul_f32 v[138:139], v[174:175], v[170:171] op_sel:[1,1] op_sel_hi:[0,1]
	v_pk_fma_f32 v[136:137], v[164:165], v[148:149], v[132:133] op_sel_hi:[1,0,1]
	v_mov_b32_e32 v135, v141
	v_pk_fma_f32 v[132:133], v[164:165], v[148:149], v[132:133] neg_lo:[0,0,1] neg_hi:[0,0,1]
	v_pk_add_f32 v[130:131], v[130:131], v[142:143]
	s_delay_alu instid0(VALU_DEP_4) | instskip(SKIP_1) | instid1(VALU_DEP_3)
	v_mov_b32_e32 v133, v137
	v_pk_fma_f32 v[136:137], v[174:175], v[170:171], v[138:139] neg_lo:[0,0,1] neg_hi:[0,0,1]
	v_pk_add_f32 v[130:131], v[130:131], v[134:135]
	v_pk_fma_f32 v[134:135], v[174:175], v[170:171], v[138:139] op_sel_hi:[1,0,1]
	s_delay_alu instid0(VALU_DEP_2) | instskip(NEXT) | instid1(VALU_DEP_2)
	v_pk_add_f32 v[130:131], v[130:131], v[132:133]
	v_mov_b32_e32 v137, v135
	s_delay_alu instid0(VALU_DEP_1) | instskip(SKIP_1) | instid1(VALU_DEP_1)
	v_pk_add_f32 v[130:131], v[130:131], v[136:137]
	s_wait_loadcnt 0x0
	v_pk_add_f32 v[130:131], v[172:173], v[130:131] neg_lo:[0,1] neg_hi:[0,1]
	scratch_store_b64 off, v[130:131], off offset:416
	s_wait_xcnt 0x0
	v_cmpx_lt_u32_e32 51, v0
	s_cbranch_execz .LBB63_295
; %bb.294:
	scratch_load_b64 v[130:131], off, off offset:408
	v_mov_b64_e32 v[132:133], 0
	scratch_store_b64 off, v[132:133], off offset:408
	s_wait_loadcnt 0x0
	ds_store_b64 v1, v[130:131]
.LBB63_295:
	s_wait_xcnt 0x0
	s_or_b32 exec_lo, exec_lo, s0
	s_wait_storecnt_dscnt 0x0
	s_barrier_signal -1
	s_barrier_wait -1
	s_clause 0x6
	scratch_load_b128 v[130:133], off, off offset:416
	scratch_load_b128 v[134:137], off, off offset:432
	;; [unrolled: 1-line block ×6, first 2 shown]
	scratch_load_b64 v[178:179], off, off offset:408
	ds_load_b128 v[154:157], v7 offset:960
	ds_load_b128 v[158:161], v7 offset:976
	;; [unrolled: 1-line block ×6, first 2 shown]
	s_mov_b32 s0, exec_lo
	s_wait_dscnt 0x5
	v_dual_mov_b32 v180, v157 :: v_dual_mov_b32 v181, v156
	s_wait_dscnt 0x4
	v_dual_mov_b32 v182, v161 :: v_dual_mov_b32 v183, v160
	;; [unrolled: 2-line block ×4, first 2 shown]
	s_wait_loadcnt_dscnt 0x601
	v_dual_mul_f32 v7, v170, v131 :: v_dual_mul_f32 v9, v172, v133
	v_dual_mul_f32 v11, v171, v131 :: v_dual_mul_f32 v13, v173, v133
	s_wait_loadcnt 0x4
	s_delay_alu instid0(VALU_DEP_2)
	v_dual_mov_b32 v194, v141 :: v_dual_fmac_f32 v7, v171, v130
	s_wait_dscnt 0x0
	v_dual_mul_f32 v189, v174, v135 :: v_dual_mul_f32 v191, v176, v137
	v_dual_fma_f32 v11, v170, v130, -v11 :: v_dual_fmac_f32 v9, v173, v132
	v_dual_mul_f32 v15, v175, v135 :: v_dual_mul_f32 v17, v177, v137
	v_dual_fma_f32 v13, v172, v132, -v13 :: v_dual_add_f32 v7, 0, v7
	s_wait_loadcnt 0x3
	s_delay_alu instid0(VALU_DEP_3) | instskip(SKIP_3) | instid1(VALU_DEP_4)
	v_dual_add_f32 v11, 0, v11 :: v_dual_mov_b32 v132, v145
	v_pk_mul_f32 v[192:193], v[154:155], v[138:139] op_sel:[1,1] op_sel_hi:[0,1]
	v_dual_fmac_f32 v189, v175, v134 :: v_dual_fma_f32 v188, v174, v134, -v15
	v_dual_add_f32 v135, v7, v9 :: v_dual_fmac_f32 v191, v177, v136
	v_dual_add_f32 v134, v11, v13 :: v_dual_fma_f32 v190, v176, v136, -v17
	s_delay_alu instid0(VALU_DEP_4) | instskip(SKIP_2) | instid1(VALU_DEP_4)
	v_pk_fma_f32 v[136:137], v[154:155], v[138:139], v[192:193] op_sel_hi:[1,0,1]
	v_pk_mul_f32 v[170:171], v[180:181], v[194:195] op_sel_hi:[1,0]
	v_pk_fma_f32 v[138:139], v[154:155], v[138:139], v[192:193] neg_lo:[0,0,1] neg_hi:[0,0,1]
	v_pk_add_f32 v[134:135], v[134:135], v[188:189]
	v_pk_mul_f32 v[130:131], v[158:159], v[142:143] op_sel:[1,1] op_sel_hi:[0,1]
	v_mov_b32_e32 v139, v137
	v_pk_fma_f32 v[136:137], v[156:157], v[140:141], v[170:171] op_sel_hi:[1,0,1]
	v_pk_fma_f32 v[140:141], v[156:157], v[140:141], v[170:171] neg_lo:[0,0,1] neg_hi:[0,0,1]
	v_pk_add_f32 v[134:135], v[134:135], v[190:191]
	v_pk_fma_f32 v[154:155], v[158:159], v[142:143], v[130:131] op_sel_hi:[1,0,1]
	v_pk_mul_f32 v[132:133], v[182:183], v[132:133] op_sel_hi:[1,0]
	v_mov_b32_e32 v141, v137
	v_pk_fma_f32 v[130:131], v[158:159], v[142:143], v[130:131] neg_lo:[0,0,1] neg_hi:[0,0,1]
	v_pk_add_f32 v[134:135], v[134:135], v[138:139]
	s_wait_loadcnt 0x2
	v_pk_mul_f32 v[172:173], v[162:163], v[146:147] op_sel:[1,1] op_sel_hi:[0,1]
	v_dual_mov_b32 v136, v149 :: v_dual_mov_b32 v131, v155
	v_pk_fma_f32 v[138:139], v[160:161], v[144:145], v[132:133] op_sel_hi:[1,0,1]
	v_pk_add_f32 v[134:135], v[134:135], v[140:141]
	v_pk_fma_f32 v[132:133], v[160:161], v[144:145], v[132:133] neg_lo:[0,0,1] neg_hi:[0,0,1]
	v_pk_fma_f32 v[140:141], v[162:163], v[146:147], v[172:173] op_sel_hi:[1,0,1]
	v_pk_mul_f32 v[136:137], v[184:185], v[136:137] op_sel_hi:[1,0]
	v_mov_b32_e32 v133, v139
	v_pk_add_f32 v[130:131], v[134:135], v[130:131]
	v_pk_fma_f32 v[138:139], v[162:163], v[146:147], v[172:173] neg_lo:[0,0,1] neg_hi:[0,0,1]
	s_wait_loadcnt 0x1
	v_pk_mul_f32 v[134:135], v[166:167], v[150:151] op_sel:[1,1] op_sel_hi:[0,1]
	v_mov_b32_e32 v139, v141
	v_pk_fma_f32 v[140:141], v[164:165], v[148:149], v[136:137] op_sel_hi:[1,0,1]
	v_pk_add_f32 v[130:131], v[130:131], v[132:133]
	v_mov_b32_e32 v132, v153
	v_pk_fma_f32 v[136:137], v[164:165], v[148:149], v[136:137] neg_lo:[0,0,1] neg_hi:[0,0,1]
	v_pk_fma_f32 v[142:143], v[166:167], v[150:151], v[134:135] op_sel_hi:[1,0,1]
	v_mov_b32_e32 v137, v141
	v_pk_add_f32 v[130:131], v[130:131], v[138:139]
	v_pk_mul_f32 v[132:133], v[186:187], v[132:133] op_sel_hi:[1,0]
	v_pk_fma_f32 v[134:135], v[166:167], v[150:151], v[134:135] neg_lo:[0,0,1] neg_hi:[0,0,1]
	s_delay_alu instid0(VALU_DEP_3) | instskip(NEXT) | instid1(VALU_DEP_3)
	v_pk_add_f32 v[130:131], v[130:131], v[136:137]
	v_pk_fma_f32 v[136:137], v[168:169], v[152:153], v[132:133] op_sel_hi:[1,0,1]
	v_mov_b32_e32 v135, v143
	v_pk_fma_f32 v[132:133], v[168:169], v[152:153], v[132:133] neg_lo:[0,0,1] neg_hi:[0,0,1]
	s_delay_alu instid0(VALU_DEP_3) | instskip(NEXT) | instid1(VALU_DEP_3)
	v_mov_b32_e32 v133, v137
	v_pk_add_f32 v[130:131], v[130:131], v[134:135]
	s_delay_alu instid0(VALU_DEP_1) | instskip(SKIP_1) | instid1(VALU_DEP_1)
	v_pk_add_f32 v[130:131], v[130:131], v[132:133]
	s_wait_loadcnt 0x0
	v_pk_add_f32 v[130:131], v[178:179], v[130:131] neg_lo:[0,1] neg_hi:[0,1]
	scratch_store_b64 off, v[130:131], off offset:408
	s_wait_xcnt 0x0
	v_cmpx_lt_u32_e32 50, v0
	s_cbranch_execz .LBB63_297
; %bb.296:
	scratch_load_b64 v[130:131], off, off offset:400
	v_mov_b64_e32 v[132:133], 0
	scratch_store_b64 off, v[132:133], off offset:400
	s_wait_loadcnt 0x0
	ds_store_b64 v1, v[130:131]
.LBB63_297:
	s_wait_xcnt 0x0
	s_or_b32 exec_lo, exec_lo, s0
	s_wait_storecnt_dscnt 0x0
	s_barrier_signal -1
	s_barrier_wait -1
	s_clause 0x7
	scratch_load_b128 v[130:133], off, off offset:408
	scratch_load_b128 v[134:137], off, off offset:424
	;; [unrolled: 1-line block ×6, first 2 shown]
	scratch_load_b64 v[178:179], off, off offset:504
	scratch_load_b64 v[180:181], off, off offset:400
	v_mov_b32_e32 v7, 0
	ds_load_2addr_b64 v[154:157], v7 offset0:119 offset1:120
	ds_load_2addr_b64 v[158:161], v7 offset0:121 offset1:122
	;; [unrolled: 1-line block ×6, first 2 shown]
	ds_load_b64 v[182:183], v7 offset:1016
	s_mov_b32 s0, exec_lo
	s_wait_dscnt 0x6
	v_dual_mov_b32 v184, v157 :: v_dual_mov_b32 v185, v156
	s_wait_dscnt 0x3
	v_dual_mov_b32 v186, v161 :: v_dual_mov_b32 v191, v168
	v_dual_mov_b32 v187, v160 :: v_dual_mov_b32 v188, v165
	;; [unrolled: 1-line block ×3, first 2 shown]
	s_wait_loadcnt_dscnt 0x702
	v_dual_mul_f32 v9, v170, v131 :: v_dual_mul_f32 v15, v171, v131
	v_dual_mul_f32 v17, v173, v133 :: v_dual_mul_f32 v11, v172, v133
	s_wait_loadcnt_dscnt 0x601
	s_delay_alu instid0(VALU_DEP_2) | instskip(NEXT) | instid1(VALU_DEP_3)
	v_dual_mul_f32 v13, v174, v135 :: v_dual_fmac_f32 v9, v171, v130
	v_dual_fma_f32 v15, v170, v130, -v15 :: v_dual_mul_f32 v19, v175, v135
	v_mul_f32_e32 v21, v177, v137
	s_wait_loadcnt 0x4
	v_dual_mov_b32 v130, v145 :: v_dual_fma_f32 v17, v172, v132, -v17
	v_dual_fmac_f32 v11, v173, v132 :: v_dual_add_f32 v9, 0, v9
	v_dual_add_f32 v15, 0, v15 :: v_dual_fmac_f32 v13, v175, v134
	v_dual_mul_f32 v193, v176, v137 :: v_dual_mul_f32 v195, v154, v139
	v_dual_mul_f32 v23, v155, v139 :: v_dual_mov_b32 v194, v141
	s_delay_alu instid0(VALU_DEP_4) | instskip(NEXT) | instid1(VALU_DEP_3)
	v_dual_fma_f32 v19, v174, v134, -v19 :: v_dual_add_f32 v9, v9, v11
	v_dual_add_f32 v11, v15, v17 :: v_dual_fmac_f32 v193, v177, v136
	v_pk_mul_f32 v[196:197], v[158:159], v[142:143] op_sel:[1,1] op_sel_hi:[0,1]
	s_delay_alu instid0(VALU_DEP_3)
	v_dual_fma_f32 v192, v176, v136, -v21 :: v_dual_add_f32 v137, v9, v13
	v_pk_mul_f32 v[134:135], v[184:185], v[194:195] op_sel_hi:[1,0]
	s_wait_loadcnt 0x3
	v_dual_add_f32 v136, v11, v19 :: v_dual_mov_b32 v170, v149
	v_fmac_f32_e32 v195, v155, v138
	v_fma_f32 v194, v154, v138, -v23
	v_pk_fma_f32 v[138:139], v[156:157], v[140:141], v[134:135] op_sel_hi:[1,0,1]
	s_delay_alu instid0(VALU_DEP_4) | instskip(SKIP_4) | instid1(VALU_DEP_4)
	v_pk_add_f32 v[136:137], v[136:137], v[192:193]
	v_pk_fma_f32 v[154:155], v[158:159], v[142:143], v[196:197] op_sel_hi:[1,0,1]
	v_pk_fma_f32 v[134:135], v[156:157], v[140:141], v[134:135] neg_lo:[0,0,1] neg_hi:[0,0,1]
	v_pk_fma_f32 v[140:141], v[158:159], v[142:143], v[196:197] neg_lo:[0,0,1] neg_hi:[0,0,1]
	v_pk_mul_f32 v[130:131], v[186:187], v[130:131] op_sel_hi:[1,0]
	v_dual_mov_b32 v135, v139 :: v_dual_mov_b32 v141, v155
	v_pk_add_f32 v[136:137], v[136:137], v[194:195]
	v_pk_mul_f32 v[132:133], v[162:163], v[146:147] op_sel:[1,1] op_sel_hi:[0,1]
	s_delay_alu instid0(VALU_DEP_4)
	v_pk_fma_f32 v[142:143], v[160:161], v[144:145], v[130:131] op_sel_hi:[1,0,1]
	v_pk_fma_f32 v[130:131], v[160:161], v[144:145], v[130:131] neg_lo:[0,0,1] neg_hi:[0,0,1]
	v_pk_mul_f32 v[154:155], v[188:189], v[170:171] op_sel_hi:[1,0]
	v_pk_add_f32 v[134:135], v[136:137], v[134:135]
	v_pk_fma_f32 v[136:137], v[162:163], v[146:147], v[132:133] op_sel_hi:[1,0,1]
	s_wait_loadcnt 0x2
	v_dual_mov_b32 v131, v143 :: v_dual_mov_b32 v136, v153
	v_pk_fma_f32 v[132:133], v[162:163], v[146:147], v[132:133] neg_lo:[0,0,1] neg_hi:[0,0,1]
	v_pk_add_f32 v[134:135], v[134:135], v[140:141]
	v_pk_mul_f32 v[138:139], v[166:167], v[150:151] op_sel:[1,1] op_sel_hi:[0,1]
	v_pk_fma_f32 v[140:141], v[164:165], v[148:149], v[154:155] op_sel_hi:[1,0,1]
	v_mov_b32_e32 v133, v137
	v_pk_fma_f32 v[142:143], v[164:165], v[148:149], v[154:155] neg_lo:[0,0,1] neg_hi:[0,0,1]
	v_pk_add_f32 v[130:131], v[134:135], v[130:131]
	v_pk_fma_f32 v[134:135], v[166:167], v[150:151], v[138:139] op_sel_hi:[1,0,1]
	v_pk_mul_f32 v[136:137], v[190:191], v[136:137] op_sel_hi:[1,0]
	v_mov_b32_e32 v143, v141
	s_delay_alu instid0(VALU_DEP_4)
	v_pk_add_f32 v[130:131], v[130:131], v[132:133]
	v_pk_fma_f32 v[132:133], v[166:167], v[150:151], v[138:139] neg_lo:[0,0,1] neg_hi:[0,0,1]
	v_mov_b32_e32 v133, v135
	v_pk_fma_f32 v[134:135], v[168:169], v[152:153], v[136:137] op_sel_hi:[1,0,1]
	s_wait_loadcnt_dscnt 0x100
	v_pk_mul_f32 v[138:139], v[182:183], v[178:179] op_sel:[1,1] op_sel_hi:[0,1]
	v_pk_add_f32 v[130:131], v[130:131], v[142:143]
	v_pk_fma_f32 v[136:137], v[168:169], v[152:153], v[136:137] neg_lo:[0,0,1] neg_hi:[0,0,1]
	v_mov_b32_e32 v137, v135
	s_delay_alu instid0(VALU_DEP_4) | instskip(NEXT) | instid1(VALU_DEP_4)
	v_pk_fma_f32 v[134:135], v[182:183], v[178:179], v[138:139] neg_lo:[0,0,1] neg_hi:[0,0,1]
	v_pk_add_f32 v[130:131], v[130:131], v[132:133]
	v_pk_fma_f32 v[132:133], v[182:183], v[178:179], v[138:139] op_sel_hi:[1,0,1]
	s_delay_alu instid0(VALU_DEP_2) | instskip(NEXT) | instid1(VALU_DEP_2)
	v_pk_add_f32 v[130:131], v[130:131], v[136:137]
	v_mov_b32_e32 v135, v133
	s_delay_alu instid0(VALU_DEP_1) | instskip(SKIP_1) | instid1(VALU_DEP_1)
	v_pk_add_f32 v[130:131], v[130:131], v[134:135]
	s_wait_loadcnt 0x0
	v_pk_add_f32 v[130:131], v[180:181], v[130:131] neg_lo:[0,1] neg_hi:[0,1]
	scratch_store_b64 off, v[130:131], off offset:400
	s_wait_xcnt 0x0
	v_cmpx_lt_u32_e32 49, v0
	s_cbranch_execz .LBB63_299
; %bb.298:
	scratch_load_b64 v[130:131], off, off offset:392
	v_mov_b64_e32 v[132:133], 0
	scratch_store_b64 off, v[132:133], off offset:392
	s_wait_loadcnt 0x0
	ds_store_b64 v1, v[130:131]
.LBB63_299:
	s_wait_xcnt 0x0
	s_or_b32 exec_lo, exec_lo, s0
	s_wait_storecnt_dscnt 0x0
	s_barrier_signal -1
	s_barrier_wait -1
	s_clause 0x7
	scratch_load_b128 v[130:133], off, off offset:400
	scratch_load_b128 v[134:137], off, off offset:416
	;; [unrolled: 1-line block ×7, first 2 shown]
	scratch_load_b64 v[186:187], off, off offset:392
	ds_load_b128 v[158:161], v7 offset:960
	ds_load_b128 v[162:165], v7 offset:976
	;; [unrolled: 1-line block ×7, first 2 shown]
	s_mov_b32 s0, exec_lo
	s_wait_dscnt 0x6
	v_dual_mov_b32 v188, v161 :: v_dual_mov_b32 v189, v160
	s_wait_dscnt 0x5
	v_dual_mov_b32 v190, v165 :: v_dual_mov_b32 v191, v164
	;; [unrolled: 2-line block ×4, first 2 shown]
	s_wait_loadcnt_dscnt 0x702
	v_dual_mul_f32 v7, v174, v131 :: v_dual_mul_f32 v9, v176, v133
	v_dual_mul_f32 v15, v175, v131 :: v_dual_mul_f32 v17, v177, v133
	s_wait_loadcnt_dscnt 0x601
	v_dual_mul_f32 v11, v178, v135 :: v_dual_mul_f32 v13, v180, v137
	s_delay_alu instid0(VALU_DEP_3) | instskip(NEXT) | instid1(VALU_DEP_3)
	v_dual_fmac_f32 v7, v175, v130 :: v_dual_fmac_f32 v9, v177, v132
	v_dual_fma_f32 v15, v174, v130, -v15 :: v_dual_fma_f32 v17, v176, v132, -v17
	v_dual_mul_f32 v19, v179, v135 :: v_dual_mul_f32 v21, v181, v137
	s_wait_loadcnt 0x4
	s_delay_alu instid0(VALU_DEP_3) | instskip(NEXT) | instid1(VALU_DEP_3)
	v_dual_add_f32 v7, 0, v7 :: v_dual_mov_b32 v132, v145
	v_dual_add_f32 v15, 0, v15 :: v_dual_fmac_f32 v11, v179, v134
	s_delay_alu instid0(VALU_DEP_2) | instskip(SKIP_2) | instid1(VALU_DEP_3)
	v_dual_fma_f32 v19, v178, v134, -v19 :: v_dual_add_f32 v7, v7, v9
	s_wait_dscnt 0x0
	v_dual_mul_f32 v197, v182, v139 :: v_dual_mul_f32 v199, v184, v141
	v_dual_add_f32 v9, v15, v17 :: v_dual_fmac_f32 v13, v181, v136
	v_dual_mul_f32 v23, v183, v139 :: v_dual_mul_f32 v25, v185, v141
	v_dual_fma_f32 v15, v180, v136, -v21 :: v_dual_add_f32 v7, v7, v11
	s_delay_alu instid0(VALU_DEP_3) | instskip(SKIP_3) | instid1(VALU_DEP_3)
	v_dual_add_f32 v9, v9, v19 :: v_dual_fmac_f32 v197, v183, v138
	v_pk_mul_f32 v[130:131], v[158:159], v[142:143] op_sel:[1,1] op_sel_hi:[0,1]
	s_wait_loadcnt 0x3
	v_dual_mov_b32 v136, v149 :: v_dual_fma_f32 v196, v182, v138, -v23
	v_dual_add_f32 v139, v7, v13 :: v_dual_add_f32 v138, v9, v15
	v_dual_fmac_f32 v199, v185, v140 :: v_dual_fma_f32 v198, v184, v140, -v25
	v_pk_fma_f32 v[140:141], v[158:159], v[142:143], v[130:131] op_sel_hi:[1,0,1]
	v_pk_mul_f32 v[132:133], v[188:189], v[132:133] op_sel_hi:[1,0]
	s_delay_alu instid0(VALU_DEP_4)
	v_pk_add_f32 v[138:139], v[138:139], v[196:197]
	v_pk_fma_f32 v[130:131], v[158:159], v[142:143], v[130:131] neg_lo:[0,0,1] neg_hi:[0,0,1]
	v_pk_mul_f32 v[134:135], v[162:163], v[146:147] op_sel:[1,1] op_sel_hi:[0,1]
	v_mov_b32_e32 v131, v141
	v_pk_fma_f32 v[140:141], v[160:161], v[144:145], v[132:133] op_sel_hi:[1,0,1]
	v_pk_add_f32 v[138:139], v[138:139], v[198:199]
	v_pk_fma_f32 v[132:133], v[160:161], v[144:145], v[132:133] neg_lo:[0,0,1] neg_hi:[0,0,1]
	v_pk_fma_f32 v[142:143], v[162:163], v[146:147], v[134:135] op_sel_hi:[1,0,1]
	v_pk_mul_f32 v[136:137], v[190:191], v[136:137] op_sel_hi:[1,0]
	v_mov_b32_e32 v133, v141
	v_pk_add_f32 v[130:131], v[138:139], v[130:131]
	s_wait_loadcnt 0x2
	v_pk_mul_f32 v[174:175], v[166:167], v[150:151] op_sel:[1,1] op_sel_hi:[0,1]
	v_mov_b32_e32 v138, v153
	v_pk_fma_f32 v[134:135], v[162:163], v[146:147], v[134:135] neg_lo:[0,0,1] neg_hi:[0,0,1]
	v_mov_b32_e32 v135, v143
	v_pk_fma_f32 v[140:141], v[164:165], v[148:149], v[136:137] op_sel_hi:[1,0,1]
	v_pk_add_f32 v[130:131], v[130:131], v[132:133]
	v_pk_fma_f32 v[132:133], v[166:167], v[150:151], v[174:175] op_sel_hi:[1,0,1]
	v_pk_mul_f32 v[138:139], v[192:193], v[138:139] op_sel_hi:[1,0]
	v_pk_fma_f32 v[136:137], v[164:165], v[148:149], v[136:137] neg_lo:[0,0,1] neg_hi:[0,0,1]
	v_mov_b32_e32 v137, v141
	v_pk_add_f32 v[130:131], v[130:131], v[134:135]
	v_pk_fma_f32 v[140:141], v[166:167], v[150:151], v[174:175] neg_lo:[0,0,1] neg_hi:[0,0,1]
	v_mov_b32_e32 v141, v133
	v_pk_fma_f32 v[132:133], v[168:169], v[152:153], v[138:139] op_sel_hi:[1,0,1]
	s_wait_loadcnt 0x1
	v_pk_mul_f32 v[134:135], v[170:171], v[154:155] op_sel:[1,1] op_sel_hi:[0,1]
	v_pk_add_f32 v[130:131], v[130:131], v[136:137]
	v_mov_b32_e32 v132, v157
	v_pk_fma_f32 v[138:139], v[168:169], v[152:153], v[138:139] neg_lo:[0,0,1] neg_hi:[0,0,1]
	v_mov_b32_e32 v139, v133
	v_pk_fma_f32 v[136:137], v[170:171], v[154:155], v[134:135] op_sel_hi:[1,0,1]
	v_pk_add_f32 v[130:131], v[130:131], v[140:141]
	v_pk_mul_f32 v[132:133], v[194:195], v[132:133] op_sel_hi:[1,0]
	v_pk_fma_f32 v[134:135], v[170:171], v[154:155], v[134:135] neg_lo:[0,0,1] neg_hi:[0,0,1]
	s_delay_alu instid0(VALU_DEP_4) | instskip(NEXT) | instid1(VALU_DEP_4)
	v_mov_b32_e32 v135, v137
	v_pk_add_f32 v[130:131], v[130:131], v[138:139]
	s_delay_alu instid0(VALU_DEP_4) | instskip(SKIP_1) | instid1(VALU_DEP_2)
	v_pk_fma_f32 v[136:137], v[172:173], v[156:157], v[132:133] op_sel_hi:[1,0,1]
	v_pk_fma_f32 v[132:133], v[172:173], v[156:157], v[132:133] neg_lo:[0,0,1] neg_hi:[0,0,1]
	v_mov_b32_e32 v133, v137
	s_delay_alu instid0(VALU_DEP_4) | instskip(NEXT) | instid1(VALU_DEP_1)
	v_pk_add_f32 v[130:131], v[130:131], v[134:135]
	v_pk_add_f32 v[130:131], v[130:131], v[132:133]
	s_wait_loadcnt 0x0
	s_delay_alu instid0(VALU_DEP_1)
	v_pk_add_f32 v[130:131], v[186:187], v[130:131] neg_lo:[0,1] neg_hi:[0,1]
	scratch_store_b64 off, v[130:131], off offset:392
	s_wait_xcnt 0x0
	v_cmpx_lt_u32_e32 48, v0
	s_cbranch_execz .LBB63_301
; %bb.300:
	scratch_load_b64 v[130:131], off, off offset:384
	v_mov_b64_e32 v[132:133], 0
	scratch_store_b64 off, v[132:133], off offset:384
	s_wait_loadcnt 0x0
	ds_store_b64 v1, v[130:131]
.LBB63_301:
	s_wait_xcnt 0x0
	s_or_b32 exec_lo, exec_lo, s0
	s_wait_storecnt_dscnt 0x0
	s_barrier_signal -1
	s_barrier_wait -1
	s_clause 0x8
	scratch_load_b128 v[130:133], off, off offset:392
	scratch_load_b128 v[134:137], off, off offset:408
	;; [unrolled: 1-line block ×7, first 2 shown]
	scratch_load_b64 v[186:187], off, off offset:504
	scratch_load_b64 v[188:189], off, off offset:384
	v_mov_b32_e32 v7, 0
	ds_load_2addr_b64 v[158:161], v7 offset0:119 offset1:120
	ds_load_2addr_b64 v[162:165], v7 offset0:121 offset1:122
	;; [unrolled: 1-line block ×7, first 2 shown]
	ds_load_b64 v[190:191], v7 offset:1016
	s_mov_b32 s0, exec_lo
	s_wait_dscnt 0x7
	v_dual_mov_b32 v192, v161 :: v_dual_mov_b32 v193, v160
	s_wait_dscnt 0x4
	v_dual_mov_b32 v194, v165 :: v_dual_mov_b32 v199, v172
	v_dual_mov_b32 v195, v164 :: v_dual_mov_b32 v196, v169
	;; [unrolled: 1-line block ×3, first 2 shown]
	s_wait_loadcnt_dscnt 0x803
	v_dual_mul_f32 v9, v174, v131 :: v_dual_mul_f32 v19, v175, v131
	v_dual_mul_f32 v21, v177, v133 :: v_dual_mul_f32 v11, v176, v133
	s_wait_loadcnt_dscnt 0x702
	v_mul_f32_e32 v13, v178, v135
	s_wait_loadcnt 0x5
	v_dual_mul_f32 v31, v159, v143 :: v_dual_fma_f32 v19, v174, v130, -v19
	v_dual_fmac_f32 v9, v175, v130 :: v_dual_mov_b32 v130, v145
	v_dual_mul_f32 v23, v179, v135 :: v_dual_mul_f32 v25, v181, v137
	v_dual_fmac_f32 v11, v177, v132 :: v_dual_fma_f32 v21, v176, v132, -v21
	s_delay_alu instid0(VALU_DEP_3) | instskip(SKIP_3) | instid1(VALU_DEP_3)
	v_dual_add_f32 v9, 0, v9 :: v_dual_add_f32 v19, 0, v19
	s_wait_dscnt 0x1
	v_dual_mul_f32 v15, v180, v137 :: v_dual_mul_f32 v17, v182, v139
	v_dual_fmac_f32 v13, v179, v134 :: v_dual_fma_f32 v23, v178, v134, -v23
	v_dual_add_f32 v9, v9, v11 :: v_dual_add_f32 v11, v19, v21
	v_dual_mul_f32 v27, v183, v139 :: v_dual_mul_f32 v29, v185, v141
	s_wait_loadcnt 0x4
	v_dual_mov_b32 v134, v149 :: v_dual_fma_f32 v19, v180, v136, -v25
	s_delay_alu instid0(VALU_DEP_3) | instskip(SKIP_2) | instid1(VALU_DEP_2)
	v_dual_fmac_f32 v15, v181, v136 :: v_dual_add_f32 v11, v11, v23
	v_dual_add_f32 v9, v9, v13 :: v_dual_fmac_f32 v17, v183, v138
	v_dual_mul_f32 v201, v184, v141 :: v_dual_mul_f32 v203, v158, v143
	v_dual_fma_f32 v13, v182, v138, -v27 :: v_dual_add_f32 v9, v9, v15
	s_delay_alu instid0(VALU_DEP_2) | instskip(SKIP_1) | instid1(VALU_DEP_3)
	v_dual_add_f32 v11, v11, v19 :: v_dual_fmac_f32 v201, v185, v140
	v_pk_mul_f32 v[132:133], v[162:163], v[146:147] op_sel:[1,1] op_sel_hi:[0,1]
	v_dual_fma_f32 v200, v184, v140, -v29 :: v_dual_add_f32 v139, v9, v17
	v_pk_mul_f32 v[130:131], v[192:193], v[130:131] op_sel_hi:[1,0]
	s_wait_loadcnt 0x3
	v_dual_add_f32 v138, v11, v13 :: v_dual_mov_b32 v140, v153
	v_fmac_f32_e32 v203, v159, v142
	v_fma_f32 v202, v158, v142, -v31
	v_pk_fma_f32 v[142:143], v[160:161], v[144:145], v[130:131] op_sel_hi:[1,0,1]
	s_delay_alu instid0(VALU_DEP_4) | instskip(SKIP_4) | instid1(VALU_DEP_4)
	v_pk_add_f32 v[138:139], v[138:139], v[200:201]
	v_pk_fma_f32 v[158:159], v[162:163], v[146:147], v[132:133] op_sel_hi:[1,0,1]
	v_pk_fma_f32 v[130:131], v[160:161], v[144:145], v[130:131] neg_lo:[0,0,1] neg_hi:[0,0,1]
	v_pk_fma_f32 v[132:133], v[162:163], v[146:147], v[132:133] neg_lo:[0,0,1] neg_hi:[0,0,1]
	v_pk_mul_f32 v[134:135], v[194:195], v[134:135] op_sel_hi:[1,0]
	v_dual_mov_b32 v131, v143 :: v_dual_mov_b32 v133, v159
	v_pk_add_f32 v[138:139], v[138:139], v[202:203]
	v_pk_mul_f32 v[136:137], v[166:167], v[150:151] op_sel:[1,1] op_sel_hi:[0,1]
	s_delay_alu instid0(VALU_DEP_4)
	v_pk_fma_f32 v[144:145], v[164:165], v[148:149], v[134:135] op_sel_hi:[1,0,1]
	v_pk_fma_f32 v[134:135], v[164:165], v[148:149], v[134:135] neg_lo:[0,0,1] neg_hi:[0,0,1]
	v_pk_mul_f32 v[140:141], v[196:197], v[140:141] op_sel_hi:[1,0]
	v_pk_add_f32 v[130:131], v[138:139], v[130:131]
	v_pk_fma_f32 v[138:139], v[166:167], v[150:151], v[136:137] op_sel_hi:[1,0,1]
	v_mov_b32_e32 v135, v145
	v_pk_fma_f32 v[136:137], v[166:167], v[150:151], v[136:137] neg_lo:[0,0,1] neg_hi:[0,0,1]
	s_wait_loadcnt 0x2
	v_pk_mul_f32 v[142:143], v[170:171], v[154:155] op_sel:[1,1] op_sel_hi:[0,1]
	v_pk_add_f32 v[130:131], v[130:131], v[132:133]
	v_dual_mov_b32 v132, v157 :: v_dual_mov_b32 v137, v139
	v_pk_fma_f32 v[138:139], v[168:169], v[152:153], v[140:141] op_sel_hi:[1,0,1]
	v_pk_fma_f32 v[140:141], v[168:169], v[152:153], v[140:141] neg_lo:[0,0,1] neg_hi:[0,0,1]
	s_delay_alu instid0(VALU_DEP_4)
	v_pk_add_f32 v[130:131], v[130:131], v[134:135]
	v_pk_fma_f32 v[134:135], v[170:171], v[154:155], v[142:143] op_sel_hi:[1,0,1]
	v_pk_mul_f32 v[132:133], v[198:199], v[132:133] op_sel_hi:[1,0]
	v_mov_b32_e32 v141, v139
	s_wait_loadcnt_dscnt 0x100
	v_pk_mul_f32 v[138:139], v[190:191], v[186:187] op_sel:[1,1] op_sel_hi:[0,1]
	v_pk_add_f32 v[130:131], v[130:131], v[136:137]
	v_pk_fma_f32 v[136:137], v[170:171], v[154:155], v[142:143] neg_lo:[0,0,1] neg_hi:[0,0,1]
	v_mov_b32_e32 v137, v135
	v_pk_fma_f32 v[134:135], v[172:173], v[156:157], v[132:133] op_sel_hi:[1,0,1]
	v_pk_fma_f32 v[132:133], v[172:173], v[156:157], v[132:133] neg_lo:[0,0,1] neg_hi:[0,0,1]
	v_pk_add_f32 v[130:131], v[130:131], v[140:141]
	s_delay_alu instid0(VALU_DEP_3) | instskip(SKIP_1) | instid1(VALU_DEP_3)
	v_mov_b32_e32 v133, v135
	v_pk_fma_f32 v[134:135], v[190:191], v[186:187], v[138:139] op_sel_hi:[1,0,1]
	v_pk_add_f32 v[130:131], v[130:131], v[136:137]
	v_pk_fma_f32 v[136:137], v[190:191], v[186:187], v[138:139] neg_lo:[0,0,1] neg_hi:[0,0,1]
	s_delay_alu instid0(VALU_DEP_3) | instskip(NEXT) | instid1(VALU_DEP_3)
	v_mov_b32_e32 v137, v135
	v_pk_add_f32 v[130:131], v[130:131], v[132:133]
	s_delay_alu instid0(VALU_DEP_1) | instskip(SKIP_1) | instid1(VALU_DEP_1)
	v_pk_add_f32 v[130:131], v[130:131], v[136:137]
	s_wait_loadcnt 0x0
	v_pk_add_f32 v[130:131], v[188:189], v[130:131] neg_lo:[0,1] neg_hi:[0,1]
	scratch_store_b64 off, v[130:131], off offset:384
	s_wait_xcnt 0x0
	v_cmpx_lt_u32_e32 47, v0
	s_cbranch_execz .LBB63_303
; %bb.302:
	scratch_load_b64 v[130:131], off, off offset:376
	v_mov_b64_e32 v[132:133], 0
	scratch_store_b64 off, v[132:133], off offset:376
	s_wait_loadcnt 0x0
	ds_store_b64 v1, v[130:131]
.LBB63_303:
	s_wait_xcnt 0x0
	s_or_b32 exec_lo, exec_lo, s0
	s_wait_storecnt_dscnt 0x0
	s_barrier_signal -1
	s_barrier_wait -1
	s_clause 0x8
	scratch_load_b128 v[130:133], off, off offset:384
	scratch_load_b128 v[134:137], off, off offset:400
	;; [unrolled: 1-line block ×8, first 2 shown]
	scratch_load_b64 v[194:195], off, off offset:376
	ds_load_b128 v[162:165], v7 offset:960
	ds_load_b128 v[166:169], v7 offset:976
	;; [unrolled: 1-line block ×8, first 2 shown]
	s_mov_b32 s0, exec_lo
	s_wait_dscnt 0x7
	v_dual_mov_b32 v196, v165 :: v_dual_mov_b32 v197, v164
	s_wait_dscnt 0x6
	v_dual_mov_b32 v198, v169 :: v_dual_mov_b32 v199, v168
	;; [unrolled: 2-line block ×4, first 2 shown]
	s_wait_loadcnt_dscnt 0x803
	v_dual_mul_f32 v7, v178, v131 :: v_dual_mul_f32 v9, v180, v133
	v_dual_mul_f32 v19, v179, v131 :: v_dual_mul_f32 v21, v181, v133
	s_wait_loadcnt_dscnt 0x702
	v_dual_mul_f32 v11, v182, v135 :: v_dual_mul_f32 v13, v184, v137
	s_delay_alu instid0(VALU_DEP_3) | instskip(SKIP_3) | instid1(VALU_DEP_3)
	v_dual_fmac_f32 v7, v179, v130 :: v_dual_fmac_f32 v9, v181, v132
	s_wait_loadcnt_dscnt 0x500
	v_dual_fma_f32 v19, v178, v130, -v19 :: v_dual_mul_f32 v31, v191, v143
	v_dual_mul_f32 v23, v183, v135 :: v_dual_mul_f32 v25, v185, v137
	v_dual_fma_f32 v21, v180, v132, -v21 :: v_dual_add_f32 v7, 0, v7
	s_delay_alu instid0(VALU_DEP_3) | instskip(SKIP_1) | instid1(VALU_DEP_3)
	v_dual_add_f32 v19, 0, v19 :: v_dual_mul_f32 v33, v193, v145
	v_dual_fmac_f32 v11, v183, v134 :: v_dual_fmac_f32 v13, v185, v136
	v_dual_fma_f32 v23, v182, v134, -v23 :: v_dual_add_f32 v7, v7, v9
	s_delay_alu instid0(VALU_DEP_3) | instskip(SKIP_4) | instid1(VALU_DEP_3)
	v_dual_add_f32 v9, v19, v21 :: v_dual_fma_f32 v19, v184, v136, -v25
	v_dual_mul_f32 v15, v186, v139 :: v_dual_mul_f32 v17, v188, v141
	v_dual_mul_f32 v27, v187, v139 :: v_dual_mul_f32 v29, v189, v141
	s_wait_loadcnt 0x4
	v_dual_add_f32 v7, v7, v11 :: v_dual_mov_b32 v132, v149
	v_dual_add_f32 v9, v9, v23 :: v_dual_fmac_f32 v15, v187, v138
	s_delay_alu instid0(VALU_DEP_2) | instskip(SKIP_1) | instid1(VALU_DEP_3)
	v_dual_fma_f32 v11, v186, v138, -v27 :: v_dual_add_f32 v7, v7, v13
	v_dual_mul_f32 v205, v190, v143 :: v_dual_mul_f32 v207, v192, v145
	v_dual_add_f32 v9, v9, v19 :: v_dual_fma_f32 v13, v188, v140, -v29
	s_delay_alu instid0(VALU_DEP_3) | instskip(SKIP_1) | instid1(VALU_DEP_3)
	v_dual_fmac_f32 v17, v189, v140 :: v_dual_add_f32 v7, v7, v15
	v_pk_mul_f32 v[130:131], v[162:163], v[146:147] op_sel:[1,1] op_sel_hi:[0,1]
	v_dual_add_f32 v9, v9, v11 :: v_dual_fmac_f32 v205, v191, v142
	s_wait_loadcnt 0x3
	v_dual_mov_b32 v136, v153 :: v_dual_fma_f32 v204, v190, v142, -v31
	v_dual_add_f32 v139, v7, v17 :: v_dual_fmac_f32 v207, v193, v144
	s_delay_alu instid0(VALU_DEP_3) | instskip(SKIP_3) | instid1(VALU_DEP_4)
	v_dual_add_f32 v138, v9, v13 :: v_dual_fma_f32 v206, v192, v144, -v33
	v_pk_fma_f32 v[140:141], v[162:163], v[146:147], v[130:131] op_sel_hi:[1,0,1]
	v_pk_mul_f32 v[132:133], v[196:197], v[132:133] op_sel_hi:[1,0]
	v_pk_fma_f32 v[130:131], v[162:163], v[146:147], v[130:131] neg_lo:[0,0,1] neg_hi:[0,0,1]
	v_pk_add_f32 v[138:139], v[138:139], v[204:205]
	v_pk_mul_f32 v[134:135], v[166:167], v[150:151] op_sel:[1,1] op_sel_hi:[0,1]
	v_mov_b32_e32 v131, v141
	v_pk_fma_f32 v[140:141], v[164:165], v[148:149], v[132:133] op_sel_hi:[1,0,1]
	v_pk_fma_f32 v[132:133], v[164:165], v[148:149], v[132:133] neg_lo:[0,0,1] neg_hi:[0,0,1]
	v_pk_add_f32 v[138:139], v[138:139], v[206:207]
	v_pk_fma_f32 v[144:145], v[166:167], v[150:151], v[134:135] op_sel_hi:[1,0,1]
	v_pk_mul_f32 v[136:137], v[198:199], v[136:137] op_sel_hi:[1,0]
	v_mov_b32_e32 v133, v141
	s_wait_loadcnt 0x2
	v_pk_mul_f32 v[142:143], v[170:171], v[154:155] op_sel:[1,1] op_sel_hi:[0,1]
	v_pk_add_f32 v[130:131], v[138:139], v[130:131]
	v_mov_b32_e32 v138, v157
	v_pk_fma_f32 v[134:135], v[166:167], v[150:151], v[134:135] neg_lo:[0,0,1] neg_hi:[0,0,1]
	v_mov_b32_e32 v135, v145
	v_pk_fma_f32 v[140:141], v[168:169], v[152:153], v[136:137] op_sel_hi:[1,0,1]
	v_pk_add_f32 v[130:131], v[130:131], v[132:133]
	v_pk_fma_f32 v[132:133], v[170:171], v[154:155], v[142:143] op_sel_hi:[1,0,1]
	v_pk_mul_f32 v[138:139], v[200:201], v[138:139] op_sel_hi:[1,0]
	v_pk_fma_f32 v[136:137], v[168:169], v[152:153], v[136:137] neg_lo:[0,0,1] neg_hi:[0,0,1]
	v_mov_b32_e32 v137, v141
	v_pk_add_f32 v[130:131], v[130:131], v[134:135]
	v_pk_fma_f32 v[140:141], v[170:171], v[154:155], v[142:143] neg_lo:[0,0,1] neg_hi:[0,0,1]
	v_mov_b32_e32 v141, v133
	v_pk_fma_f32 v[132:133], v[172:173], v[156:157], v[138:139] op_sel_hi:[1,0,1]
	s_wait_loadcnt 0x1
	v_pk_mul_f32 v[134:135], v[174:175], v[158:159] op_sel:[1,1] op_sel_hi:[0,1]
	v_pk_add_f32 v[130:131], v[130:131], v[136:137]
	v_mov_b32_e32 v132, v161
	v_pk_fma_f32 v[138:139], v[172:173], v[156:157], v[138:139] neg_lo:[0,0,1] neg_hi:[0,0,1]
	v_mov_b32_e32 v139, v133
	v_pk_fma_f32 v[136:137], v[174:175], v[158:159], v[134:135] op_sel_hi:[1,0,1]
	v_pk_add_f32 v[130:131], v[130:131], v[140:141]
	v_pk_mul_f32 v[132:133], v[202:203], v[132:133] op_sel_hi:[1,0]
	v_pk_fma_f32 v[134:135], v[174:175], v[158:159], v[134:135] neg_lo:[0,0,1] neg_hi:[0,0,1]
	s_delay_alu instid0(VALU_DEP_4) | instskip(NEXT) | instid1(VALU_DEP_4)
	v_mov_b32_e32 v135, v137
	v_pk_add_f32 v[130:131], v[130:131], v[138:139]
	s_delay_alu instid0(VALU_DEP_4) | instskip(SKIP_1) | instid1(VALU_DEP_2)
	v_pk_fma_f32 v[136:137], v[176:177], v[160:161], v[132:133] op_sel_hi:[1,0,1]
	v_pk_fma_f32 v[132:133], v[176:177], v[160:161], v[132:133] neg_lo:[0,0,1] neg_hi:[0,0,1]
	v_mov_b32_e32 v133, v137
	s_delay_alu instid0(VALU_DEP_4) | instskip(NEXT) | instid1(VALU_DEP_1)
	v_pk_add_f32 v[130:131], v[130:131], v[134:135]
	v_pk_add_f32 v[130:131], v[130:131], v[132:133]
	s_wait_loadcnt 0x0
	s_delay_alu instid0(VALU_DEP_1)
	v_pk_add_f32 v[130:131], v[194:195], v[130:131] neg_lo:[0,1] neg_hi:[0,1]
	scratch_store_b64 off, v[130:131], off offset:376
	s_wait_xcnt 0x0
	v_cmpx_lt_u32_e32 46, v0
	s_cbranch_execz .LBB63_305
; %bb.304:
	scratch_load_b64 v[130:131], off, off offset:368
	v_mov_b64_e32 v[132:133], 0
	scratch_store_b64 off, v[132:133], off offset:368
	s_wait_loadcnt 0x0
	ds_store_b64 v1, v[130:131]
.LBB63_305:
	s_wait_xcnt 0x0
	s_or_b32 exec_lo, exec_lo, s0
	s_wait_storecnt_dscnt 0x0
	s_barrier_signal -1
	s_barrier_wait -1
	s_clause 0x9
	scratch_load_b128 v[130:133], off, off offset:376
	scratch_load_b128 v[134:137], off, off offset:392
	;; [unrolled: 1-line block ×8, first 2 shown]
	scratch_load_b64 v[194:195], off, off offset:504
	scratch_load_b64 v[196:197], off, off offset:368
	v_mov_b32_e32 v7, 0
	ds_load_2addr_b64 v[162:165], v7 offset0:119 offset1:120
	ds_load_2addr_b64 v[166:169], v7 offset0:121 offset1:122
	;; [unrolled: 1-line block ×8, first 2 shown]
	ds_load_b64 v[198:199], v7 offset:1016
	s_mov_b32 s0, exec_lo
	s_wait_dscnt 0x8
	v_dual_mov_b32 v200, v165 :: v_dual_mov_b32 v201, v164
	s_wait_dscnt 0x5
	v_dual_mov_b32 v202, v169 :: v_dual_mov_b32 v207, v176
	v_dual_mov_b32 v203, v168 :: v_dual_mov_b32 v204, v173
	v_dual_mov_b32 v205, v172 :: v_dual_mov_b32 v206, v177
	s_wait_loadcnt_dscnt 0x904
	v_dual_mul_f32 v9, v178, v131 :: v_dual_mul_f32 v23, v179, v131
	v_dual_mul_f32 v25, v181, v133 :: v_dual_mul_f32 v11, v180, v133
	s_wait_loadcnt_dscnt 0x803
	v_mul_f32_e32 v13, v182, v135
	s_wait_loadcnt_dscnt 0x601
	v_dual_mul_f32 v35, v191, v143 :: v_dual_fma_f32 v23, v178, v130, -v23
	v_dual_fmac_f32 v9, v179, v130 :: v_dual_mul_f32 v37, v193, v145
	v_dual_mul_f32 v27, v183, v135 :: v_dual_mul_f32 v29, v185, v137
	v_dual_fmac_f32 v11, v181, v132 :: v_dual_fma_f32 v25, v180, v132, -v25
	s_delay_alu instid0(VALU_DEP_3) | instskip(SKIP_3) | instid1(VALU_DEP_3)
	v_dual_add_f32 v9, 0, v9 :: v_dual_add_f32 v23, 0, v23
	v_dual_mul_f32 v15, v184, v137 :: v_dual_mul_f32 v17, v186, v139
	s_wait_loadcnt 0x5
	v_dual_mul_f32 v39, v163, v147 :: v_dual_fma_f32 v27, v182, v134, -v27
	v_dual_fmac_f32 v13, v183, v134 :: v_dual_add_f32 v9, v9, v11
	v_dual_add_f32 v11, v23, v25 :: v_dual_mov_b32 v130, v149
	v_dual_mul_f32 v31, v187, v139 :: v_dual_mul_f32 v33, v189, v141
	v_dual_fmac_f32 v15, v185, v136 :: v_dual_fma_f32 v23, v184, v136, -v29
	s_delay_alu instid0(VALU_DEP_3) | instskip(SKIP_1) | instid1(VALU_DEP_4)
	v_dual_add_f32 v9, v9, v13 :: v_dual_add_f32 v11, v11, v27
	v_dual_mul_f32 v19, v188, v141 :: v_dual_mul_f32 v21, v190, v143
	v_dual_fmac_f32 v17, v187, v138 :: v_dual_fma_f32 v13, v186, v138, -v31
	s_delay_alu instid0(VALU_DEP_3) | instskip(SKIP_3) | instid1(VALU_DEP_3)
	v_dual_add_f32 v9, v9, v15 :: v_dual_fma_f32 v15, v188, v140, -v33
	s_wait_loadcnt 0x4
	v_dual_add_f32 v11, v11, v23 :: v_dual_mov_b32 v134, v153
	v_fmac_f32_e32 v19, v189, v140
	v_dual_add_f32 v9, v9, v17 :: v_dual_fmac_f32 v21, v191, v142
	s_delay_alu instid0(VALU_DEP_3) | instskip(SKIP_1) | instid1(VALU_DEP_3)
	v_add_f32_e32 v11, v11, v13
	v_dual_mul_f32 v209, v192, v145 :: v_dual_mul_f32 v211, v162, v147
	v_dual_fma_f32 v13, v190, v142, -v35 :: v_dual_add_f32 v9, v9, v19
	s_delay_alu instid0(VALU_DEP_2) | instskip(SKIP_1) | instid1(VALU_DEP_3)
	v_dual_add_f32 v11, v11, v15 :: v_dual_fmac_f32 v209, v193, v144
	v_pk_mul_f32 v[132:133], v[166:167], v[150:151] op_sel:[1,1] op_sel_hi:[0,1]
	v_dual_fma_f32 v208, v192, v144, -v37 :: v_dual_add_f32 v139, v9, v21
	v_pk_mul_f32 v[130:131], v[200:201], v[130:131] op_sel_hi:[1,0]
	s_wait_loadcnt 0x3
	v_dual_add_f32 v138, v11, v13 :: v_dual_mov_b32 v140, v157
	v_pk_fma_f32 v[144:145], v[166:167], v[150:151], v[132:133] op_sel_hi:[1,0,1]
	v_fmac_f32_e32 v211, v163, v146
	v_pk_fma_f32 v[142:143], v[164:165], v[148:149], v[130:131] op_sel_hi:[1,0,1]
	v_fma_f32 v210, v162, v146, -v39
	v_pk_add_f32 v[138:139], v[138:139], v[208:209]
	v_pk_fma_f32 v[130:131], v[164:165], v[148:149], v[130:131] neg_lo:[0,0,1] neg_hi:[0,0,1]
	v_pk_fma_f32 v[132:133], v[166:167], v[150:151], v[132:133] neg_lo:[0,0,1] neg_hi:[0,0,1]
	v_pk_mul_f32 v[134:135], v[202:203], v[134:135] op_sel_hi:[1,0]
	v_dual_mov_b32 v131, v143 :: v_dual_mov_b32 v133, v145
	v_pk_add_f32 v[138:139], v[138:139], v[210:211]
	v_pk_mul_f32 v[136:137], v[170:171], v[154:155] op_sel:[1,1] op_sel_hi:[0,1]
	s_delay_alu instid0(VALU_DEP_4)
	v_pk_fma_f32 v[144:145], v[168:169], v[152:153], v[134:135] op_sel_hi:[1,0,1]
	v_pk_fma_f32 v[134:135], v[168:169], v[152:153], v[134:135] neg_lo:[0,0,1] neg_hi:[0,0,1]
	v_pk_mul_f32 v[140:141], v[204:205], v[140:141] op_sel_hi:[1,0]
	v_pk_add_f32 v[130:131], v[138:139], v[130:131]
	v_pk_fma_f32 v[138:139], v[170:171], v[154:155], v[136:137] op_sel_hi:[1,0,1]
	v_mov_b32_e32 v135, v145
	v_pk_fma_f32 v[136:137], v[170:171], v[154:155], v[136:137] neg_lo:[0,0,1] neg_hi:[0,0,1]
	s_wait_loadcnt 0x2
	v_pk_mul_f32 v[142:143], v[174:175], v[158:159] op_sel:[1,1] op_sel_hi:[0,1]
	v_pk_add_f32 v[130:131], v[130:131], v[132:133]
	v_dual_mov_b32 v132, v161 :: v_dual_mov_b32 v137, v139
	v_pk_fma_f32 v[138:139], v[172:173], v[156:157], v[140:141] op_sel_hi:[1,0,1]
	v_pk_fma_f32 v[140:141], v[172:173], v[156:157], v[140:141] neg_lo:[0,0,1] neg_hi:[0,0,1]
	s_delay_alu instid0(VALU_DEP_4)
	v_pk_add_f32 v[130:131], v[130:131], v[134:135]
	v_pk_fma_f32 v[134:135], v[174:175], v[158:159], v[142:143] op_sel_hi:[1,0,1]
	v_pk_mul_f32 v[132:133], v[206:207], v[132:133] op_sel_hi:[1,0]
	v_mov_b32_e32 v141, v139
	s_wait_loadcnt_dscnt 0x100
	v_pk_mul_f32 v[138:139], v[198:199], v[194:195] op_sel:[1,1] op_sel_hi:[0,1]
	v_pk_add_f32 v[130:131], v[130:131], v[136:137]
	v_pk_fma_f32 v[136:137], v[174:175], v[158:159], v[142:143] neg_lo:[0,0,1] neg_hi:[0,0,1]
	v_mov_b32_e32 v137, v135
	v_pk_fma_f32 v[134:135], v[176:177], v[160:161], v[132:133] op_sel_hi:[1,0,1]
	v_pk_fma_f32 v[132:133], v[176:177], v[160:161], v[132:133] neg_lo:[0,0,1] neg_hi:[0,0,1]
	v_pk_add_f32 v[130:131], v[130:131], v[140:141]
	s_delay_alu instid0(VALU_DEP_3) | instskip(SKIP_1) | instid1(VALU_DEP_3)
	v_mov_b32_e32 v133, v135
	v_pk_fma_f32 v[134:135], v[198:199], v[194:195], v[138:139] op_sel_hi:[1,0,1]
	v_pk_add_f32 v[130:131], v[130:131], v[136:137]
	v_pk_fma_f32 v[136:137], v[198:199], v[194:195], v[138:139] neg_lo:[0,0,1] neg_hi:[0,0,1]
	s_delay_alu instid0(VALU_DEP_3) | instskip(NEXT) | instid1(VALU_DEP_3)
	v_mov_b32_e32 v137, v135
	v_pk_add_f32 v[130:131], v[130:131], v[132:133]
	s_delay_alu instid0(VALU_DEP_1) | instskip(SKIP_1) | instid1(VALU_DEP_1)
	v_pk_add_f32 v[130:131], v[130:131], v[136:137]
	s_wait_loadcnt 0x0
	v_pk_add_f32 v[130:131], v[196:197], v[130:131] neg_lo:[0,1] neg_hi:[0,1]
	scratch_store_b64 off, v[130:131], off offset:368
	s_wait_xcnt 0x0
	v_cmpx_lt_u32_e32 45, v0
	s_cbranch_execz .LBB63_307
; %bb.306:
	scratch_load_b64 v[130:131], off, off offset:360
	v_mov_b64_e32 v[132:133], 0
	scratch_store_b64 off, v[132:133], off offset:360
	s_wait_loadcnt 0x0
	ds_store_b64 v1, v[130:131]
.LBB63_307:
	s_wait_xcnt 0x0
	s_or_b32 exec_lo, exec_lo, s0
	s_wait_storecnt_dscnt 0x0
	s_barrier_signal -1
	s_barrier_wait -1
	s_clause 0x9
	scratch_load_b128 v[130:133], off, off offset:368
	scratch_load_b128 v[134:137], off, off offset:384
	;; [unrolled: 1-line block ×9, first 2 shown]
	scratch_load_b64 v[202:203], off, off offset:360
	ds_load_b128 v[166:169], v7 offset:960
	ds_load_b128 v[170:173], v7 offset:976
	ds_load_b128 v[174:177], v7 offset:992
	ds_load_b128 v[178:181], v7 offset:1008
	ds_load_b128 v[182:185], v7 offset:880
	ds_load_b128 v[186:189], v7 offset:896
	ds_load_b128 v[190:193], v7 offset:912
	ds_load_b128 v[194:197], v7 offset:928
	ds_load_b128 v[198:201], v7 offset:944
	s_mov_b32 s0, exec_lo
	s_wait_dscnt 0x8
	v_dual_mov_b32 v204, v169 :: v_dual_mov_b32 v205, v168
	s_wait_dscnt 0x7
	v_dual_mov_b32 v206, v173 :: v_dual_mov_b32 v207, v172
	;; [unrolled: 2-line block ×4, first 2 shown]
	s_wait_loadcnt_dscnt 0x904
	v_dual_mul_f32 v7, v182, v131 :: v_dual_mul_f32 v9, v184, v133
	v_dual_mul_f32 v23, v183, v131 :: v_dual_mul_f32 v25, v185, v133
	s_wait_loadcnt_dscnt 0x803
	v_dual_mul_f32 v11, v186, v135 :: v_dual_mul_f32 v13, v188, v137
	s_delay_alu instid0(VALU_DEP_3) | instskip(SKIP_3) | instid1(VALU_DEP_3)
	v_dual_fmac_f32 v7, v183, v130 :: v_dual_fmac_f32 v9, v185, v132
	s_wait_loadcnt_dscnt 0x601
	v_dual_fma_f32 v23, v182, v130, -v23 :: v_dual_mul_f32 v35, v195, v143
	v_dual_mul_f32 v27, v187, v135 :: v_dual_mul_f32 v29, v189, v137
	v_dual_fma_f32 v25, v184, v132, -v25 :: v_dual_add_f32 v7, 0, v7
	s_delay_alu instid0(VALU_DEP_3) | instskip(SKIP_1) | instid1(VALU_DEP_3)
	v_dual_add_f32 v23, 0, v23 :: v_dual_mul_f32 v37, v197, v145
	v_dual_fmac_f32 v11, v187, v134 :: v_dual_fmac_f32 v13, v189, v136
	v_dual_fma_f32 v27, v186, v134, -v27 :: v_dual_add_f32 v7, v7, v9
	s_delay_alu instid0(VALU_DEP_3) | instskip(SKIP_2) | instid1(VALU_DEP_4)
	v_dual_add_f32 v9, v23, v25 :: v_dual_fma_f32 v25, v188, v136, -v29
	v_dual_mul_f32 v15, v190, v139 :: v_dual_mul_f32 v17, v192, v141
	v_dual_mul_f32 v31, v191, v139 :: v_dual_mul_f32 v33, v193, v141
	v_add_f32_e32 v7, v7, v11
	s_delay_alu instid0(VALU_DEP_3) | instskip(NEXT) | instid1(VALU_DEP_3)
	v_dual_add_f32 v9, v9, v27 :: v_dual_fmac_f32 v15, v191, v138
	v_fma_f32 v27, v190, v138, -v31
	v_dual_mul_f32 v19, v194, v143 :: v_dual_mul_f32 v21, v196, v145
	s_delay_alu instid0(VALU_DEP_4) | instskip(NEXT) | instid1(VALU_DEP_4)
	v_dual_add_f32 v7, v7, v13 :: v_dual_fmac_f32 v17, v193, v140
	v_dual_add_f32 v9, v9, v25 :: v_dual_fma_f32 v13, v192, v140, -v33
	s_wait_loadcnt 0x4
	s_delay_alu instid0(VALU_DEP_2) | instskip(NEXT) | instid1(VALU_DEP_2)
	v_dual_mov_b32 v132, v153 :: v_dual_add_f32 v7, v7, v15
	v_dual_fmac_f32 v19, v195, v142 :: v_dual_add_f32 v9, v9, v27
	v_fma_f32 v15, v194, v142, -v35
	s_wait_dscnt 0x0
	v_dual_mul_f32 v213, v198, v147 :: v_dual_mul_f32 v215, v200, v149
	v_add_f32_e32 v7, v7, v17
	v_dual_add_f32 v9, v9, v13 :: v_dual_fma_f32 v13, v196, v144, -v37
	v_dual_mul_f32 v23, v199, v147 :: v_dual_mul_f32 v11, v201, v149
	s_delay_alu instid0(VALU_DEP_3) | instskip(NEXT) | instid1(VALU_DEP_3)
	v_dual_fmac_f32 v21, v197, v144 :: v_dual_add_f32 v7, v7, v19
	v_dual_add_f32 v9, v9, v15 :: v_dual_fmac_f32 v213, v199, v146
	v_pk_mul_f32 v[130:131], v[166:167], v[150:151] op_sel:[1,1] op_sel_hi:[0,1]
	s_wait_loadcnt 0x3
	v_dual_mov_b32 v136, v157 :: v_dual_fma_f32 v212, v198, v146, -v23
	v_dual_add_f32 v139, v7, v21 :: v_dual_fmac_f32 v215, v201, v148
	v_dual_add_f32 v138, v9, v13 :: v_dual_fma_f32 v214, v200, v148, -v11
	v_pk_fma_f32 v[140:141], v[166:167], v[150:151], v[130:131] op_sel_hi:[1,0,1]
	v_pk_mul_f32 v[132:133], v[204:205], v[132:133] op_sel_hi:[1,0]
	v_pk_fma_f32 v[130:131], v[166:167], v[150:151], v[130:131] neg_lo:[0,0,1] neg_hi:[0,0,1]
	s_delay_alu instid0(VALU_DEP_4)
	v_pk_add_f32 v[138:139], v[138:139], v[212:213]
	v_pk_mul_f32 v[134:135], v[170:171], v[154:155] op_sel:[1,1] op_sel_hi:[0,1]
	v_mov_b32_e32 v131, v141
	v_pk_fma_f32 v[140:141], v[168:169], v[152:153], v[132:133] op_sel_hi:[1,0,1]
	v_pk_fma_f32 v[132:133], v[168:169], v[152:153], v[132:133] neg_lo:[0,0,1] neg_hi:[0,0,1]
	v_pk_add_f32 v[138:139], v[138:139], v[214:215]
	v_pk_fma_f32 v[144:145], v[170:171], v[154:155], v[134:135] op_sel_hi:[1,0,1]
	v_pk_mul_f32 v[136:137], v[206:207], v[136:137] op_sel_hi:[1,0]
	v_mov_b32_e32 v133, v141
	s_wait_loadcnt 0x2
	v_pk_mul_f32 v[142:143], v[174:175], v[158:159] op_sel:[1,1] op_sel_hi:[0,1]
	v_pk_add_f32 v[130:131], v[138:139], v[130:131]
	v_mov_b32_e32 v138, v161
	v_pk_fma_f32 v[134:135], v[170:171], v[154:155], v[134:135] neg_lo:[0,0,1] neg_hi:[0,0,1]
	v_mov_b32_e32 v135, v145
	v_pk_fma_f32 v[140:141], v[172:173], v[156:157], v[136:137] op_sel_hi:[1,0,1]
	v_pk_add_f32 v[130:131], v[130:131], v[132:133]
	v_pk_fma_f32 v[132:133], v[174:175], v[158:159], v[142:143] op_sel_hi:[1,0,1]
	v_pk_mul_f32 v[138:139], v[208:209], v[138:139] op_sel_hi:[1,0]
	v_pk_fma_f32 v[136:137], v[172:173], v[156:157], v[136:137] neg_lo:[0,0,1] neg_hi:[0,0,1]
	v_mov_b32_e32 v137, v141
	v_pk_add_f32 v[130:131], v[130:131], v[134:135]
	v_pk_fma_f32 v[140:141], v[174:175], v[158:159], v[142:143] neg_lo:[0,0,1] neg_hi:[0,0,1]
	v_mov_b32_e32 v141, v133
	v_pk_fma_f32 v[132:133], v[176:177], v[160:161], v[138:139] op_sel_hi:[1,0,1]
	s_wait_loadcnt 0x1
	v_pk_mul_f32 v[134:135], v[178:179], v[162:163] op_sel:[1,1] op_sel_hi:[0,1]
	v_pk_add_f32 v[130:131], v[130:131], v[136:137]
	v_mov_b32_e32 v132, v165
	v_pk_fma_f32 v[138:139], v[176:177], v[160:161], v[138:139] neg_lo:[0,0,1] neg_hi:[0,0,1]
	v_mov_b32_e32 v139, v133
	v_pk_fma_f32 v[136:137], v[178:179], v[162:163], v[134:135] op_sel_hi:[1,0,1]
	v_pk_add_f32 v[130:131], v[130:131], v[140:141]
	v_pk_mul_f32 v[132:133], v[210:211], v[132:133] op_sel_hi:[1,0]
	v_pk_fma_f32 v[134:135], v[178:179], v[162:163], v[134:135] neg_lo:[0,0,1] neg_hi:[0,0,1]
	s_delay_alu instid0(VALU_DEP_4) | instskip(NEXT) | instid1(VALU_DEP_4)
	v_mov_b32_e32 v135, v137
	v_pk_add_f32 v[130:131], v[130:131], v[138:139]
	s_delay_alu instid0(VALU_DEP_4) | instskip(SKIP_1) | instid1(VALU_DEP_2)
	v_pk_fma_f32 v[136:137], v[180:181], v[164:165], v[132:133] op_sel_hi:[1,0,1]
	v_pk_fma_f32 v[132:133], v[180:181], v[164:165], v[132:133] neg_lo:[0,0,1] neg_hi:[0,0,1]
	v_mov_b32_e32 v133, v137
	s_delay_alu instid0(VALU_DEP_4) | instskip(NEXT) | instid1(VALU_DEP_1)
	v_pk_add_f32 v[130:131], v[130:131], v[134:135]
	v_pk_add_f32 v[130:131], v[130:131], v[132:133]
	s_wait_loadcnt 0x0
	s_delay_alu instid0(VALU_DEP_1)
	v_pk_add_f32 v[130:131], v[202:203], v[130:131] neg_lo:[0,1] neg_hi:[0,1]
	scratch_store_b64 off, v[130:131], off offset:360
	s_wait_xcnt 0x0
	v_cmpx_lt_u32_e32 44, v0
	s_cbranch_execz .LBB63_309
; %bb.308:
	scratch_load_b64 v[130:131], off, off offset:352
	v_mov_b64_e32 v[132:133], 0
	scratch_store_b64 off, v[132:133], off offset:352
	s_wait_loadcnt 0x0
	ds_store_b64 v1, v[130:131]
.LBB63_309:
	s_wait_xcnt 0x0
	s_or_b32 exec_lo, exec_lo, s0
	s_wait_storecnt_dscnt 0x0
	s_barrier_signal -1
	s_barrier_wait -1
	s_clause 0xa
	scratch_load_b128 v[130:133], off, off offset:360
	scratch_load_b128 v[134:137], off, off offset:376
	;; [unrolled: 1-line block ×9, first 2 shown]
	scratch_load_b64 v[202:203], off, off offset:504
	scratch_load_b64 v[204:205], off, off offset:352
	v_mov_b32_e32 v7, 0
	ds_load_2addr_b64 v[166:169], v7 offset0:119 offset1:120
	ds_load_2addr_b64 v[170:173], v7 offset0:121 offset1:122
	;; [unrolled: 1-line block ×9, first 2 shown]
	ds_load_b64 v[206:207], v7 offset:1016
	s_mov_b32 s0, exec_lo
	s_wait_dscnt 0x9
	v_dual_mov_b32 v208, v169 :: v_dual_mov_b32 v209, v168
	s_wait_dscnt 0x6
	v_dual_mov_b32 v210, v173 :: v_dual_mov_b32 v215, v180
	v_dual_mov_b32 v211, v172 :: v_dual_mov_b32 v212, v177
	;; [unrolled: 1-line block ×3, first 2 shown]
	s_wait_loadcnt_dscnt 0xa05
	v_dual_mul_f32 v9, v182, v131 :: v_dual_mul_f32 v27, v183, v131
	v_dual_mul_f32 v29, v185, v133 :: v_dual_mul_f32 v11, v184, v133
	s_wait_loadcnt_dscnt 0x904
	v_mul_f32_e32 v13, v186, v135
	s_wait_loadcnt_dscnt 0x702
	v_dual_mul_f32 v39, v195, v143 :: v_dual_fma_f32 v27, v182, v130, -v27
	v_dual_fmac_f32 v9, v183, v130 :: v_dual_mul_f32 v41, v197, v145
	v_dual_mul_f32 v31, v187, v135 :: v_dual_mul_f32 v33, v189, v137
	v_dual_fmac_f32 v11, v185, v132 :: v_dual_fma_f32 v29, v184, v132, -v29
	s_delay_alu instid0(VALU_DEP_3) | instskip(SKIP_3) | instid1(VALU_DEP_3)
	v_dual_add_f32 v9, 0, v9 :: v_dual_add_f32 v27, 0, v27
	v_dual_mul_f32 v15, v188, v137 :: v_dual_mul_f32 v17, v190, v139
	s_wait_loadcnt_dscnt 0x601
	v_dual_mul_f32 v43, v199, v147 :: v_dual_fma_f32 v31, v186, v134, -v31
	v_dual_fmac_f32 v13, v187, v134 :: v_dual_add_f32 v9, v9, v11
	s_delay_alu instid0(VALU_DEP_3) | instskip(SKIP_2) | instid1(VALU_DEP_3)
	v_dual_add_f32 v11, v27, v29 :: v_dual_fmac_f32 v15, v189, v136
	v_dual_mul_f32 v35, v191, v139 :: v_dual_mul_f32 v37, v193, v141
	v_dual_mul_f32 v27, v201, v149 :: v_dual_fma_f32 v29, v188, v136, -v33
	v_dual_add_f32 v9, v9, v13 :: v_dual_add_f32 v11, v11, v31
	v_dual_mul_f32 v19, v192, v141 :: v_dual_mul_f32 v21, v194, v143
	s_wait_loadcnt 0x5
	v_dual_mul_f32 v13, v167, v151 :: v_dual_fma_f32 v31, v190, v138, -v35
	s_delay_alu instid0(VALU_DEP_3) | instskip(SKIP_2) | instid1(VALU_DEP_2)
	v_dual_fmac_f32 v17, v191, v138 :: v_dual_add_f32 v9, v9, v15
	v_dual_add_f32 v11, v11, v29 :: v_dual_mov_b32 v130, v153
	v_dual_fmac_f32 v19, v193, v140 :: v_dual_fma_f32 v15, v192, v140, -v37
	v_dual_add_f32 v9, v9, v17 :: v_dual_add_f32 v11, v11, v31
	v_dual_mul_f32 v23, v196, v145 :: v_dual_mul_f32 v25, v198, v147
	v_dual_fmac_f32 v21, v195, v142 :: v_dual_fma_f32 v17, v194, v142, -v39
	s_delay_alu instid0(VALU_DEP_3) | instskip(SKIP_3) | instid1(VALU_DEP_3)
	v_add_f32_e32 v9, v9, v19
	s_wait_loadcnt 0x4
	v_dual_add_f32 v11, v11, v15 :: v_dual_mov_b32 v134, v157
	v_dual_fmac_f32 v23, v197, v144 :: v_dual_fma_f32 v15, v196, v144, -v41
	v_dual_add_f32 v9, v9, v21 :: v_dual_fmac_f32 v25, v199, v146
	s_delay_alu instid0(VALU_DEP_3) | instskip(SKIP_1) | instid1(VALU_DEP_3)
	v_add_f32_e32 v11, v11, v17
	v_dual_mul_f32 v217, v200, v149 :: v_dual_mul_f32 v219, v166, v151
	v_dual_fma_f32 v17, v198, v146, -v43 :: v_dual_add_f32 v9, v9, v23
	s_delay_alu instid0(VALU_DEP_2) | instskip(SKIP_2) | instid1(VALU_DEP_4)
	v_dual_add_f32 v11, v11, v15 :: v_dual_fmac_f32 v217, v201, v148
	v_fma_f32 v216, v200, v148, -v27
	v_pk_mul_f32 v[130:131], v[208:209], v[130:131] op_sel_hi:[1,0]
	v_add_f32_e32 v139, v9, v25
	s_wait_loadcnt 0x3
	v_dual_add_f32 v138, v11, v17 :: v_dual_mov_b32 v140, v161
	v_pk_mul_f32 v[132:133], v[170:171], v[154:155] op_sel:[1,1] op_sel_hi:[0,1]
	v_dual_fmac_f32 v219, v167, v150 :: v_dual_fma_f32 v218, v166, v150, -v13
	v_pk_fma_f32 v[142:143], v[168:169], v[152:153], v[130:131] op_sel_hi:[1,0,1]
	s_delay_alu instid0(VALU_DEP_4)
	v_pk_add_f32 v[138:139], v[138:139], v[216:217]
	v_pk_fma_f32 v[130:131], v[168:169], v[152:153], v[130:131] neg_lo:[0,0,1] neg_hi:[0,0,1]
	v_pk_fma_f32 v[144:145], v[170:171], v[154:155], v[132:133] op_sel_hi:[1,0,1]
	v_pk_mul_f32 v[134:135], v[210:211], v[134:135] op_sel_hi:[1,0]
	v_mov_b32_e32 v131, v143
	v_pk_add_f32 v[138:139], v[138:139], v[218:219]
	v_pk_fma_f32 v[132:133], v[170:171], v[154:155], v[132:133] neg_lo:[0,0,1] neg_hi:[0,0,1]
	v_pk_mul_f32 v[136:137], v[174:175], v[158:159] op_sel:[1,1] op_sel_hi:[0,1]
	v_mov_b32_e32 v133, v145
	v_pk_fma_f32 v[144:145], v[172:173], v[156:157], v[134:135] op_sel_hi:[1,0,1]
	v_pk_add_f32 v[130:131], v[138:139], v[130:131]
	v_pk_fma_f32 v[134:135], v[172:173], v[156:157], v[134:135] neg_lo:[0,0,1] neg_hi:[0,0,1]
	v_pk_fma_f32 v[138:139], v[174:175], v[158:159], v[136:137] op_sel_hi:[1,0,1]
	v_pk_mul_f32 v[140:141], v[212:213], v[140:141] op_sel_hi:[1,0]
	v_mov_b32_e32 v135, v145
	v_pk_add_f32 v[130:131], v[130:131], v[132:133]
	v_pk_fma_f32 v[136:137], v[174:175], v[158:159], v[136:137] neg_lo:[0,0,1] neg_hi:[0,0,1]
	s_wait_loadcnt 0x2
	v_pk_mul_f32 v[142:143], v[178:179], v[162:163] op_sel:[1,1] op_sel_hi:[0,1]
	v_dual_mov_b32 v132, v165 :: v_dual_mov_b32 v137, v139
	v_pk_fma_f32 v[138:139], v[176:177], v[160:161], v[140:141] op_sel_hi:[1,0,1]
	v_pk_add_f32 v[130:131], v[130:131], v[134:135]
	v_pk_fma_f32 v[140:141], v[176:177], v[160:161], v[140:141] neg_lo:[0,0,1] neg_hi:[0,0,1]
	v_pk_fma_f32 v[134:135], v[178:179], v[162:163], v[142:143] op_sel_hi:[1,0,1]
	v_pk_mul_f32 v[132:133], v[214:215], v[132:133] op_sel_hi:[1,0]
	v_mov_b32_e32 v141, v139
	v_pk_add_f32 v[130:131], v[130:131], v[136:137]
	v_pk_fma_f32 v[136:137], v[178:179], v[162:163], v[142:143] neg_lo:[0,0,1] neg_hi:[0,0,1]
	v_mov_b32_e32 v137, v135
	v_pk_fma_f32 v[134:135], v[180:181], v[164:165], v[132:133] op_sel_hi:[1,0,1]
	s_wait_loadcnt_dscnt 0x100
	v_pk_mul_f32 v[138:139], v[206:207], v[202:203] op_sel:[1,1] op_sel_hi:[0,1]
	v_pk_add_f32 v[130:131], v[130:131], v[140:141]
	v_pk_fma_f32 v[132:133], v[180:181], v[164:165], v[132:133] neg_lo:[0,0,1] neg_hi:[0,0,1]
	v_mov_b32_e32 v133, v135
	s_delay_alu instid0(VALU_DEP_4) | instskip(NEXT) | instid1(VALU_DEP_4)
	v_pk_fma_f32 v[134:135], v[206:207], v[202:203], v[138:139] op_sel_hi:[1,0,1]
	v_pk_add_f32 v[130:131], v[130:131], v[136:137]
	v_pk_fma_f32 v[136:137], v[206:207], v[202:203], v[138:139] neg_lo:[0,0,1] neg_hi:[0,0,1]
	s_delay_alu instid0(VALU_DEP_3) | instskip(NEXT) | instid1(VALU_DEP_3)
	v_mov_b32_e32 v137, v135
	v_pk_add_f32 v[130:131], v[130:131], v[132:133]
	s_delay_alu instid0(VALU_DEP_1) | instskip(SKIP_1) | instid1(VALU_DEP_1)
	v_pk_add_f32 v[130:131], v[130:131], v[136:137]
	s_wait_loadcnt 0x0
	v_pk_add_f32 v[130:131], v[204:205], v[130:131] neg_lo:[0,1] neg_hi:[0,1]
	scratch_store_b64 off, v[130:131], off offset:352
	s_wait_xcnt 0x0
	v_cmpx_lt_u32_e32 43, v0
	s_cbranch_execz .LBB63_311
; %bb.310:
	scratch_load_b64 v[130:131], off, off offset:344
	v_mov_b64_e32 v[132:133], 0
	scratch_store_b64 off, v[132:133], off offset:344
	s_wait_loadcnt 0x0
	ds_store_b64 v1, v[130:131]
.LBB63_311:
	s_wait_xcnt 0x0
	s_or_b32 exec_lo, exec_lo, s0
	s_wait_storecnt_dscnt 0x0
	s_barrier_signal -1
	s_barrier_wait -1
	s_clause 0xa
	scratch_load_b128 v[130:133], off, off offset:352
	scratch_load_b128 v[134:137], off, off offset:368
	;; [unrolled: 1-line block ×10, first 2 shown]
	scratch_load_b64 v[210:211], off, off offset:344
	ds_load_b128 v[170:173], v7 offset:960
	ds_load_b128 v[174:177], v7 offset:976
	;; [unrolled: 1-line block ×10, first 2 shown]
	s_mov_b32 s0, exec_lo
	s_wait_dscnt 0x9
	v_dual_mov_b32 v212, v173 :: v_dual_mov_b32 v213, v172
	s_wait_dscnt 0x8
	v_dual_mov_b32 v214, v177 :: v_dual_mov_b32 v215, v176
	;; [unrolled: 2-line block ×4, first 2 shown]
	s_wait_loadcnt_dscnt 0xa05
	v_dual_mul_f32 v7, v186, v131 :: v_dual_mul_f32 v9, v188, v133
	v_dual_mul_f32 v27, v187, v131 :: v_dual_mul_f32 v29, v189, v133
	s_wait_loadcnt_dscnt 0x904
	v_dual_mul_f32 v11, v190, v135 :: v_dual_mul_f32 v13, v192, v137
	s_delay_alu instid0(VALU_DEP_3) | instskip(SKIP_3) | instid1(VALU_DEP_3)
	v_dual_fmac_f32 v7, v187, v130 :: v_dual_fmac_f32 v9, v189, v132
	s_wait_loadcnt_dscnt 0x702
	v_dual_fma_f32 v27, v186, v130, -v27 :: v_dual_mul_f32 v39, v199, v143
	v_dual_mul_f32 v31, v191, v135 :: v_dual_mul_f32 v33, v193, v137
	v_dual_fma_f32 v29, v188, v132, -v29 :: v_dual_add_f32 v7, 0, v7
	s_delay_alu instid0(VALU_DEP_3) | instskip(SKIP_1) | instid1(VALU_DEP_3)
	v_dual_add_f32 v27, 0, v27 :: v_dual_mul_f32 v41, v201, v145
	v_dual_fmac_f32 v11, v191, v134 :: v_dual_fmac_f32 v13, v193, v136
	v_dual_fma_f32 v31, v190, v134, -v31 :: v_dual_add_f32 v7, v7, v9
	s_delay_alu instid0(VALU_DEP_3) | instskip(SKIP_2) | instid1(VALU_DEP_4)
	v_dual_add_f32 v9, v27, v29 :: v_dual_fma_f32 v29, v192, v136, -v33
	v_dual_mul_f32 v15, v194, v139 :: v_dual_mul_f32 v17, v196, v141
	v_dual_mul_f32 v35, v195, v139 :: v_dual_mul_f32 v37, v197, v141
	v_add_f32_e32 v7, v7, v11
	s_delay_alu instid0(VALU_DEP_3) | instskip(NEXT) | instid1(VALU_DEP_3)
	v_dual_add_f32 v9, v9, v31 :: v_dual_fmac_f32 v15, v195, v138
	v_fma_f32 v31, v194, v138, -v35
	v_dual_mul_f32 v19, v198, v143 :: v_dual_mul_f32 v21, v200, v145
	s_delay_alu instid0(VALU_DEP_4) | instskip(SKIP_2) | instid1(VALU_DEP_2)
	v_dual_add_f32 v7, v7, v13 :: v_dual_fmac_f32 v17, v197, v140
	s_wait_loadcnt_dscnt 0x500
	v_dual_add_f32 v9, v9, v29 :: v_dual_mul_f32 v13, v207, v151
	v_dual_fma_f32 v29, v196, v140, -v37 :: v_dual_add_f32 v7, v7, v15
	v_mul_f32_e32 v15, v209, v153
	s_delay_alu instid0(VALU_DEP_3) | instskip(NEXT) | instid1(VALU_DEP_3)
	v_dual_add_f32 v9, v9, v31 :: v_dual_fmac_f32 v19, v199, v142
	v_dual_fma_f32 v31, v198, v142, -v39 :: v_dual_add_f32 v7, v7, v17
	v_fmac_f32_e32 v21, v201, v144
	s_delay_alu instid0(VALU_DEP_3) | instskip(SKIP_4) | instid1(VALU_DEP_3)
	v_dual_add_f32 v9, v9, v29 :: v_dual_fma_f32 v17, v200, v144, -v41
	v_dual_mul_f32 v23, v202, v147 :: v_dual_mul_f32 v25, v204, v149
	v_dual_mul_f32 v27, v203, v147 :: v_dual_mul_f32 v11, v205, v149
	s_wait_loadcnt 0x4
	v_dual_add_f32 v7, v7, v19 :: v_dual_mov_b32 v132, v157
	v_dual_add_f32 v9, v9, v31 :: v_dual_fmac_f32 v23, v203, v146
	s_delay_alu instid0(VALU_DEP_2) | instskip(SKIP_1) | instid1(VALU_DEP_3)
	v_dual_fma_f32 v19, v202, v146, -v27 :: v_dual_add_f32 v7, v7, v21
	v_dual_mul_f32 v221, v206, v151 :: v_dual_mul_f32 v223, v208, v153
	v_dual_add_f32 v9, v9, v17 :: v_dual_fma_f32 v11, v204, v148, -v11
	s_delay_alu instid0(VALU_DEP_3) | instskip(SKIP_1) | instid1(VALU_DEP_3)
	v_dual_fmac_f32 v25, v205, v148 :: v_dual_add_f32 v7, v7, v23
	v_pk_mul_f32 v[130:131], v[170:171], v[154:155] op_sel:[1,1] op_sel_hi:[0,1]
	v_dual_add_f32 v9, v9, v19 :: v_dual_fmac_f32 v221, v207, v150
	s_wait_loadcnt 0x3
	v_dual_mov_b32 v136, v161 :: v_dual_fma_f32 v220, v206, v150, -v13
	s_delay_alu instid0(VALU_DEP_2)
	v_dual_add_f32 v139, v7, v25 :: v_dual_add_f32 v138, v9, v11
	v_fmac_f32_e32 v223, v209, v152
	v_pk_fma_f32 v[140:141], v[170:171], v[154:155], v[130:131] op_sel_hi:[1,0,1]
	v_fma_f32 v222, v208, v152, -v15
	v_pk_mul_f32 v[132:133], v[212:213], v[132:133] op_sel_hi:[1,0]
	v_pk_add_f32 v[138:139], v[138:139], v[220:221]
	v_pk_fma_f32 v[130:131], v[170:171], v[154:155], v[130:131] neg_lo:[0,0,1] neg_hi:[0,0,1]
	v_pk_mul_f32 v[134:135], v[174:175], v[158:159] op_sel:[1,1] op_sel_hi:[0,1]
	v_mov_b32_e32 v131, v141
	v_pk_fma_f32 v[140:141], v[172:173], v[156:157], v[132:133] op_sel_hi:[1,0,1]
	v_pk_add_f32 v[138:139], v[138:139], v[222:223]
	v_pk_fma_f32 v[132:133], v[172:173], v[156:157], v[132:133] neg_lo:[0,0,1] neg_hi:[0,0,1]
	v_pk_fma_f32 v[144:145], v[174:175], v[158:159], v[134:135] op_sel_hi:[1,0,1]
	v_pk_mul_f32 v[136:137], v[214:215], v[136:137] op_sel_hi:[1,0]
	v_mov_b32_e32 v133, v141
	v_pk_add_f32 v[130:131], v[138:139], v[130:131]
	s_wait_loadcnt 0x2
	v_pk_mul_f32 v[142:143], v[178:179], v[162:163] op_sel:[1,1] op_sel_hi:[0,1]
	v_mov_b32_e32 v138, v165
	v_pk_fma_f32 v[134:135], v[174:175], v[158:159], v[134:135] neg_lo:[0,0,1] neg_hi:[0,0,1]
	v_pk_fma_f32 v[140:141], v[176:177], v[160:161], v[136:137] op_sel_hi:[1,0,1]
	v_mov_b32_e32 v135, v145
	v_pk_add_f32 v[130:131], v[130:131], v[132:133]
	v_pk_fma_f32 v[132:133], v[178:179], v[162:163], v[142:143] op_sel_hi:[1,0,1]
	v_pk_mul_f32 v[138:139], v[216:217], v[138:139] op_sel_hi:[1,0]
	v_pk_fma_f32 v[136:137], v[176:177], v[160:161], v[136:137] neg_lo:[0,0,1] neg_hi:[0,0,1]
	v_mov_b32_e32 v137, v141
	v_pk_add_f32 v[130:131], v[130:131], v[134:135]
	v_pk_fma_f32 v[140:141], v[178:179], v[162:163], v[142:143] neg_lo:[0,0,1] neg_hi:[0,0,1]
	v_mov_b32_e32 v141, v133
	v_pk_fma_f32 v[132:133], v[180:181], v[164:165], v[138:139] op_sel_hi:[1,0,1]
	s_wait_loadcnt 0x1
	v_pk_mul_f32 v[134:135], v[182:183], v[166:167] op_sel:[1,1] op_sel_hi:[0,1]
	v_pk_add_f32 v[130:131], v[130:131], v[136:137]
	v_mov_b32_e32 v132, v169
	v_pk_fma_f32 v[138:139], v[180:181], v[164:165], v[138:139] neg_lo:[0,0,1] neg_hi:[0,0,1]
	s_delay_alu instid0(VALU_DEP_4)
	v_pk_fma_f32 v[136:137], v[182:183], v[166:167], v[134:135] op_sel_hi:[1,0,1]
	v_mov_b32_e32 v139, v133
	v_pk_add_f32 v[130:131], v[130:131], v[140:141]
	v_pk_mul_f32 v[132:133], v[218:219], v[132:133] op_sel_hi:[1,0]
	v_pk_fma_f32 v[134:135], v[182:183], v[166:167], v[134:135] neg_lo:[0,0,1] neg_hi:[0,0,1]
	v_mov_b32_e32 v135, v137
	s_delay_alu instid0(VALU_DEP_4) | instskip(NEXT) | instid1(VALU_DEP_4)
	v_pk_add_f32 v[130:131], v[130:131], v[138:139]
	v_pk_fma_f32 v[136:137], v[184:185], v[168:169], v[132:133] op_sel_hi:[1,0,1]
	v_pk_fma_f32 v[132:133], v[184:185], v[168:169], v[132:133] neg_lo:[0,0,1] neg_hi:[0,0,1]
	s_delay_alu instid0(VALU_DEP_3) | instskip(NEXT) | instid1(VALU_DEP_3)
	v_pk_add_f32 v[130:131], v[130:131], v[134:135]
	v_mov_b32_e32 v133, v137
	s_delay_alu instid0(VALU_DEP_1) | instskip(SKIP_1) | instid1(VALU_DEP_1)
	v_pk_add_f32 v[130:131], v[130:131], v[132:133]
	s_wait_loadcnt 0x0
	v_pk_add_f32 v[130:131], v[210:211], v[130:131] neg_lo:[0,1] neg_hi:[0,1]
	scratch_store_b64 off, v[130:131], off offset:344
	s_wait_xcnt 0x0
	v_cmpx_lt_u32_e32 42, v0
	s_cbranch_execz .LBB63_313
; %bb.312:
	scratch_load_b64 v[130:131], off, off offset:336
	v_mov_b64_e32 v[132:133], 0
	scratch_store_b64 off, v[132:133], off offset:336
	s_wait_loadcnt 0x0
	ds_store_b64 v1, v[130:131]
.LBB63_313:
	s_wait_xcnt 0x0
	s_or_b32 exec_lo, exec_lo, s0
	s_wait_storecnt_dscnt 0x0
	s_barrier_signal -1
	s_barrier_wait -1
	s_clause 0xb
	scratch_load_b128 v[130:133], off, off offset:344
	scratch_load_b128 v[134:137], off, off offset:360
	;; [unrolled: 1-line block ×10, first 2 shown]
	scratch_load_b64 v[210:211], off, off offset:504
	scratch_load_b64 v[212:213], off, off offset:336
	v_mov_b32_e32 v7, 0
	ds_load_2addr_b64 v[170:173], v7 offset0:119 offset1:120
	ds_load_2addr_b64 v[174:177], v7 offset0:121 offset1:122
	;; [unrolled: 1-line block ×10, first 2 shown]
	ds_load_b64 v[214:215], v7 offset:1016
	s_mov_b32 s0, exec_lo
	s_wait_dscnt 0xa
	v_dual_mov_b32 v216, v173 :: v_dual_mov_b32 v217, v172
	s_wait_dscnt 0x7
	v_dual_mov_b32 v218, v177 :: v_dual_mov_b32 v223, v184
	v_dual_mov_b32 v219, v176 :: v_dual_mov_b32 v220, v181
	;; [unrolled: 1-line block ×3, first 2 shown]
	s_wait_loadcnt_dscnt 0xb06
	v_dual_mul_f32 v9, v186, v131 :: v_dual_mul_f32 v31, v187, v131
	v_dual_mul_f32 v33, v189, v133 :: v_dual_mul_f32 v11, v188, v133
	s_wait_loadcnt_dscnt 0xa05
	v_mul_f32_e32 v13, v190, v135
	s_wait_loadcnt_dscnt 0x803
	v_dual_mul_f32 v43, v199, v143 :: v_dual_fma_f32 v31, v186, v130, -v31
	v_dual_fmac_f32 v9, v187, v130 :: v_dual_mul_f32 v45, v201, v145
	v_dual_mul_f32 v35, v191, v135 :: v_dual_mul_f32 v37, v193, v137
	v_dual_fmac_f32 v11, v189, v132 :: v_dual_fma_f32 v33, v188, v132, -v33
	s_delay_alu instid0(VALU_DEP_3) | instskip(SKIP_3) | instid1(VALU_DEP_3)
	v_dual_add_f32 v9, 0, v9 :: v_dual_add_f32 v31, 0, v31
	v_dual_mul_f32 v15, v192, v137 :: v_dual_mul_f32 v17, v194, v139
	s_wait_loadcnt_dscnt 0x702
	v_dual_mul_f32 v47, v203, v147 :: v_dual_fma_f32 v35, v190, v134, -v35
	v_dual_fmac_f32 v13, v191, v134 :: v_dual_add_f32 v9, v9, v11
	s_delay_alu instid0(VALU_DEP_3) | instskip(SKIP_2) | instid1(VALU_DEP_3)
	v_dual_add_f32 v11, v31, v33 :: v_dual_fmac_f32 v15, v193, v136
	v_dual_mul_f32 v39, v195, v139 :: v_dual_mul_f32 v41, v197, v141
	v_dual_mul_f32 v31, v205, v149 :: v_dual_fma_f32 v33, v192, v136, -v37
	v_dual_add_f32 v9, v9, v13 :: v_dual_add_f32 v11, v11, v35
	v_dual_mul_f32 v19, v196, v141 :: v_dual_mul_f32 v21, v198, v143
	s_wait_loadcnt_dscnt 0x601
	v_dual_mul_f32 v13, v207, v151 :: v_dual_fma_f32 v35, v194, v138, -v39
	s_delay_alu instid0(VALU_DEP_3) | instskip(NEXT) | instid1(VALU_DEP_3)
	v_dual_fmac_f32 v17, v195, v138 :: v_dual_add_f32 v9, v9, v15
	v_dual_add_f32 v11, v11, v33 :: v_dual_fmac_f32 v19, v197, v140
	v_dual_mul_f32 v15, v209, v153 :: v_dual_fma_f32 v33, v196, v140, -v41
	s_delay_alu instid0(VALU_DEP_2) | instskip(SKIP_3) | instid1(VALU_DEP_3)
	v_dual_add_f32 v9, v9, v17 :: v_dual_add_f32 v11, v11, v35
	v_dual_mul_f32 v23, v200, v145 :: v_dual_mul_f32 v25, v202, v147
	s_wait_loadcnt 0x5
	v_dual_mul_f32 v17, v171, v155 :: v_dual_fma_f32 v35, v198, v142, -v43
	v_dual_fmac_f32 v21, v199, v142 :: v_dual_add_f32 v9, v9, v19
	v_dual_add_f32 v11, v11, v33 :: v_dual_mov_b32 v130, v157
	v_dual_fmac_f32 v23, v201, v144 :: v_dual_fma_f32 v19, v200, v144, -v45
	s_delay_alu instid0(VALU_DEP_2) | instskip(SKIP_2) | instid1(VALU_DEP_3)
	v_dual_add_f32 v9, v9, v21 :: v_dual_add_f32 v11, v11, v35
	v_dual_mul_f32 v27, v204, v149 :: v_dual_mul_f32 v29, v206, v151
	v_dual_fmac_f32 v25, v203, v146 :: v_dual_fma_f32 v21, v202, v146, -v47
	v_add_f32_e32 v9, v9, v23
	s_wait_loadcnt 0x4
	v_dual_add_f32 v11, v11, v19 :: v_dual_mov_b32 v134, v161
	v_fmac_f32_e32 v27, v205, v148
	s_delay_alu instid0(VALU_DEP_3) | instskip(SKIP_1) | instid1(VALU_DEP_4)
	v_dual_fma_f32 v19, v204, v148, -v31 :: v_dual_add_f32 v9, v9, v25
	v_fmac_f32_e32 v29, v207, v150
	v_add_f32_e32 v11, v11, v21
	v_dual_mul_f32 v225, v208, v153 :: v_dual_mul_f32 v227, v170, v155
	s_delay_alu instid0(VALU_DEP_4) | instskip(NEXT) | instid1(VALU_DEP_2)
	v_dual_fma_f32 v13, v206, v150, -v13 :: v_dual_add_f32 v9, v9, v27
	v_dual_add_f32 v11, v11, v19 :: v_dual_fmac_f32 v225, v209, v152
	v_fma_f32 v224, v208, v152, -v15
	v_pk_mul_f32 v[130:131], v[216:217], v[130:131] op_sel_hi:[1,0]
	s_delay_alu instid0(VALU_DEP_4)
	v_add_f32_e32 v139, v9, v29
	s_wait_loadcnt 0x3
	v_dual_add_f32 v138, v11, v13 :: v_dual_mov_b32 v140, v165
	v_pk_mul_f32 v[132:133], v[174:175], v[158:159] op_sel:[1,1] op_sel_hi:[0,1]
	v_dual_fmac_f32 v227, v171, v154 :: v_dual_fma_f32 v226, v170, v154, -v17
	v_pk_fma_f32 v[142:143], v[172:173], v[156:157], v[130:131] op_sel_hi:[1,0,1]
	s_delay_alu instid0(VALU_DEP_4)
	v_pk_add_f32 v[138:139], v[138:139], v[224:225]
	v_pk_fma_f32 v[130:131], v[172:173], v[156:157], v[130:131] neg_lo:[0,0,1] neg_hi:[0,0,1]
	v_pk_fma_f32 v[144:145], v[174:175], v[158:159], v[132:133] op_sel_hi:[1,0,1]
	v_pk_mul_f32 v[134:135], v[218:219], v[134:135] op_sel_hi:[1,0]
	v_mov_b32_e32 v131, v143
	v_pk_add_f32 v[138:139], v[138:139], v[226:227]
	v_pk_fma_f32 v[132:133], v[174:175], v[158:159], v[132:133] neg_lo:[0,0,1] neg_hi:[0,0,1]
	v_pk_mul_f32 v[136:137], v[178:179], v[162:163] op_sel:[1,1] op_sel_hi:[0,1]
	v_mov_b32_e32 v133, v145
	v_pk_fma_f32 v[144:145], v[176:177], v[160:161], v[134:135] op_sel_hi:[1,0,1]
	v_pk_add_f32 v[130:131], v[138:139], v[130:131]
	v_pk_fma_f32 v[134:135], v[176:177], v[160:161], v[134:135] neg_lo:[0,0,1] neg_hi:[0,0,1]
	v_pk_fma_f32 v[138:139], v[178:179], v[162:163], v[136:137] op_sel_hi:[1,0,1]
	v_pk_mul_f32 v[140:141], v[220:221], v[140:141] op_sel_hi:[1,0]
	v_mov_b32_e32 v135, v145
	v_pk_add_f32 v[130:131], v[130:131], v[132:133]
	v_pk_fma_f32 v[136:137], v[178:179], v[162:163], v[136:137] neg_lo:[0,0,1] neg_hi:[0,0,1]
	s_wait_loadcnt 0x2
	v_pk_mul_f32 v[142:143], v[182:183], v[166:167] op_sel:[1,1] op_sel_hi:[0,1]
	v_dual_mov_b32 v132, v169 :: v_dual_mov_b32 v137, v139
	v_pk_fma_f32 v[138:139], v[180:181], v[164:165], v[140:141] op_sel_hi:[1,0,1]
	v_pk_add_f32 v[130:131], v[130:131], v[134:135]
	v_pk_fma_f32 v[140:141], v[180:181], v[164:165], v[140:141] neg_lo:[0,0,1] neg_hi:[0,0,1]
	v_pk_fma_f32 v[134:135], v[182:183], v[166:167], v[142:143] op_sel_hi:[1,0,1]
	v_pk_mul_f32 v[132:133], v[222:223], v[132:133] op_sel_hi:[1,0]
	v_mov_b32_e32 v141, v139
	v_pk_add_f32 v[130:131], v[130:131], v[136:137]
	v_pk_fma_f32 v[136:137], v[182:183], v[166:167], v[142:143] neg_lo:[0,0,1] neg_hi:[0,0,1]
	v_mov_b32_e32 v137, v135
	v_pk_fma_f32 v[134:135], v[184:185], v[168:169], v[132:133] op_sel_hi:[1,0,1]
	s_wait_loadcnt_dscnt 0x100
	v_pk_mul_f32 v[138:139], v[214:215], v[210:211] op_sel:[1,1] op_sel_hi:[0,1]
	v_pk_add_f32 v[130:131], v[130:131], v[140:141]
	v_pk_fma_f32 v[132:133], v[184:185], v[168:169], v[132:133] neg_lo:[0,0,1] neg_hi:[0,0,1]
	v_mov_b32_e32 v133, v135
	s_delay_alu instid0(VALU_DEP_4) | instskip(NEXT) | instid1(VALU_DEP_4)
	v_pk_fma_f32 v[134:135], v[214:215], v[210:211], v[138:139] op_sel_hi:[1,0,1]
	v_pk_add_f32 v[130:131], v[130:131], v[136:137]
	v_pk_fma_f32 v[136:137], v[214:215], v[210:211], v[138:139] neg_lo:[0,0,1] neg_hi:[0,0,1]
	s_delay_alu instid0(VALU_DEP_3) | instskip(NEXT) | instid1(VALU_DEP_3)
	v_mov_b32_e32 v137, v135
	v_pk_add_f32 v[130:131], v[130:131], v[132:133]
	s_delay_alu instid0(VALU_DEP_1) | instskip(SKIP_1) | instid1(VALU_DEP_1)
	v_pk_add_f32 v[130:131], v[130:131], v[136:137]
	s_wait_loadcnt 0x0
	v_pk_add_f32 v[130:131], v[212:213], v[130:131] neg_lo:[0,1] neg_hi:[0,1]
	scratch_store_b64 off, v[130:131], off offset:336
	s_wait_xcnt 0x0
	v_cmpx_lt_u32_e32 41, v0
	s_cbranch_execz .LBB63_315
; %bb.314:
	scratch_load_b64 v[130:131], off, off offset:328
	v_mov_b64_e32 v[132:133], 0
	scratch_store_b64 off, v[132:133], off offset:328
	s_wait_loadcnt 0x0
	ds_store_b64 v1, v[130:131]
.LBB63_315:
	s_wait_xcnt 0x0
	s_or_b32 exec_lo, exec_lo, s0
	s_wait_storecnt_dscnt 0x0
	s_barrier_signal -1
	s_barrier_wait -1
	s_clause 0xb
	scratch_load_b128 v[130:133], off, off offset:336
	scratch_load_b128 v[134:137], off, off offset:352
	;; [unrolled: 1-line block ×11, first 2 shown]
	scratch_load_b64 v[218:219], off, off offset:328
	ds_load_b128 v[174:177], v7 offset:960
	ds_load_b128 v[178:181], v7 offset:976
	;; [unrolled: 1-line block ×11, first 2 shown]
	s_mov_b32 s0, exec_lo
	s_wait_dscnt 0xa
	v_dual_mov_b32 v220, v177 :: v_dual_mov_b32 v221, v176
	s_wait_dscnt 0x9
	v_dual_mov_b32 v222, v181 :: v_dual_mov_b32 v223, v180
	;; [unrolled: 2-line block ×4, first 2 shown]
	s_wait_loadcnt_dscnt 0xb06
	v_dual_mul_f32 v7, v190, v131 :: v_dual_mul_f32 v9, v192, v133
	v_dual_mul_f32 v31, v191, v131 :: v_dual_mul_f32 v33, v193, v133
	s_wait_loadcnt_dscnt 0xa05
	v_dual_mul_f32 v11, v194, v135 :: v_dual_mul_f32 v13, v196, v137
	s_delay_alu instid0(VALU_DEP_3) | instskip(SKIP_3) | instid1(VALU_DEP_3)
	v_dual_fmac_f32 v7, v191, v130 :: v_dual_fmac_f32 v9, v193, v132
	s_wait_loadcnt_dscnt 0x803
	v_dual_fma_f32 v31, v190, v130, -v31 :: v_dual_mul_f32 v43, v203, v143
	v_dual_mul_f32 v35, v195, v135 :: v_dual_mul_f32 v37, v197, v137
	v_dual_fma_f32 v33, v192, v132, -v33 :: v_dual_add_f32 v7, 0, v7
	s_delay_alu instid0(VALU_DEP_3) | instskip(SKIP_1) | instid1(VALU_DEP_3)
	v_dual_add_f32 v31, 0, v31 :: v_dual_mul_f32 v45, v205, v145
	v_dual_fmac_f32 v11, v195, v134 :: v_dual_fmac_f32 v13, v197, v136
	v_dual_fma_f32 v35, v194, v134, -v35 :: v_dual_add_f32 v7, v7, v9
	s_delay_alu instid0(VALU_DEP_3) | instskip(SKIP_2) | instid1(VALU_DEP_4)
	v_dual_add_f32 v9, v31, v33 :: v_dual_fma_f32 v33, v196, v136, -v37
	v_dual_mul_f32 v15, v198, v139 :: v_dual_mul_f32 v17, v200, v141
	v_dual_mul_f32 v39, v199, v139 :: v_dual_mul_f32 v41, v201, v141
	v_add_f32_e32 v7, v7, v11
	s_delay_alu instid0(VALU_DEP_3) | instskip(NEXT) | instid1(VALU_DEP_3)
	v_dual_add_f32 v9, v9, v35 :: v_dual_fmac_f32 v15, v199, v138
	v_fma_f32 v35, v198, v138, -v39
	v_dual_mul_f32 v19, v202, v143 :: v_dual_mul_f32 v21, v204, v145
	s_delay_alu instid0(VALU_DEP_4) | instskip(SKIP_2) | instid1(VALU_DEP_2)
	v_dual_add_f32 v7, v7, v13 :: v_dual_fmac_f32 v17, v201, v140
	s_wait_loadcnt_dscnt 0x601
	v_dual_add_f32 v9, v9, v33 :: v_dual_mul_f32 v13, v211, v151
	v_dual_fma_f32 v33, v200, v140, -v41 :: v_dual_add_f32 v7, v7, v15
	v_mul_f32_e32 v15, v213, v153
	s_delay_alu instid0(VALU_DEP_3) | instskip(NEXT) | instid1(VALU_DEP_3)
	v_dual_add_f32 v9, v9, v35 :: v_dual_fmac_f32 v19, v203, v142
	v_dual_fma_f32 v35, v202, v142, -v43 :: v_dual_add_f32 v7, v7, v17
	v_fmac_f32_e32 v21, v205, v144
	s_wait_loadcnt_dscnt 0x500
	s_delay_alu instid0(VALU_DEP_3) | instskip(SKIP_3) | instid1(VALU_DEP_3)
	v_dual_add_f32 v9, v9, v33 :: v_dual_mul_f32 v17, v215, v155
	v_dual_mul_f32 v23, v206, v147 :: v_dual_mul_f32 v25, v208, v149
	v_dual_mul_f32 v31, v207, v147 :: v_dual_mul_f32 v11, v209, v149
	v_dual_fma_f32 v33, v204, v144, -v45 :: v_dual_add_f32 v7, v7, v19
	v_dual_add_f32 v9, v9, v35 :: v_dual_fmac_f32 v23, v207, v146
	s_delay_alu instid0(VALU_DEP_3) | instskip(NEXT) | instid1(VALU_DEP_3)
	v_dual_mul_f32 v19, v217, v157 :: v_dual_fma_f32 v31, v206, v146, -v31
	v_dual_add_f32 v7, v7, v21 :: v_dual_fmac_f32 v25, v209, v148
	s_delay_alu instid0(VALU_DEP_3) | instskip(SKIP_2) | instid1(VALU_DEP_3)
	v_dual_add_f32 v9, v9, v33 :: v_dual_fma_f32 v11, v208, v148, -v11
	v_dual_mul_f32 v27, v210, v151 :: v_dual_mul_f32 v29, v212, v153
	s_wait_loadcnt 0x4
	v_dual_add_f32 v7, v7, v23 :: v_dual_mov_b32 v132, v161
	s_delay_alu instid0(VALU_DEP_2) | instskip(NEXT) | instid1(VALU_DEP_2)
	v_dual_add_f32 v9, v9, v31 :: v_dual_fmac_f32 v27, v211, v150
	v_dual_fma_f32 v13, v210, v150, -v13 :: v_dual_add_f32 v7, v7, v25
	v_dual_mul_f32 v229, v214, v155 :: v_dual_mul_f32 v231, v216, v157
	s_delay_alu instid0(VALU_DEP_3) | instskip(NEXT) | instid1(VALU_DEP_3)
	v_dual_add_f32 v9, v9, v11 :: v_dual_fma_f32 v11, v212, v152, -v15
	v_dual_fmac_f32 v29, v213, v152 :: v_dual_add_f32 v7, v7, v27
	v_pk_mul_f32 v[130:131], v[174:175], v[158:159] op_sel:[1,1] op_sel_hi:[0,1]
	s_delay_alu instid0(VALU_DEP_3) | instskip(SKIP_2) | instid1(VALU_DEP_2)
	v_dual_add_f32 v9, v9, v13 :: v_dual_fmac_f32 v229, v215, v154
	s_wait_loadcnt 0x3
	v_dual_mov_b32 v136, v165 :: v_dual_fma_f32 v228, v214, v154, -v17
	v_dual_add_f32 v139, v7, v29 :: v_dual_add_f32 v138, v9, v11
	v_fmac_f32_e32 v231, v217, v156
	v_pk_fma_f32 v[140:141], v[174:175], v[158:159], v[130:131] op_sel_hi:[1,0,1]
	v_fma_f32 v230, v216, v156, -v19
	v_pk_mul_f32 v[132:133], v[220:221], v[132:133] op_sel_hi:[1,0]
	v_pk_add_f32 v[138:139], v[138:139], v[228:229]
	v_pk_fma_f32 v[130:131], v[174:175], v[158:159], v[130:131] neg_lo:[0,0,1] neg_hi:[0,0,1]
	v_pk_mul_f32 v[134:135], v[178:179], v[162:163] op_sel:[1,1] op_sel_hi:[0,1]
	v_mov_b32_e32 v131, v141
	v_pk_fma_f32 v[140:141], v[176:177], v[160:161], v[132:133] op_sel_hi:[1,0,1]
	v_pk_add_f32 v[138:139], v[138:139], v[230:231]
	v_pk_fma_f32 v[132:133], v[176:177], v[160:161], v[132:133] neg_lo:[0,0,1] neg_hi:[0,0,1]
	v_pk_fma_f32 v[144:145], v[178:179], v[162:163], v[134:135] op_sel_hi:[1,0,1]
	v_pk_mul_f32 v[136:137], v[222:223], v[136:137] op_sel_hi:[1,0]
	v_mov_b32_e32 v133, v141
	v_pk_add_f32 v[130:131], v[138:139], v[130:131]
	s_wait_loadcnt 0x2
	v_pk_mul_f32 v[142:143], v[182:183], v[166:167] op_sel:[1,1] op_sel_hi:[0,1]
	v_mov_b32_e32 v138, v169
	v_pk_fma_f32 v[134:135], v[178:179], v[162:163], v[134:135] neg_lo:[0,0,1] neg_hi:[0,0,1]
	v_pk_fma_f32 v[140:141], v[180:181], v[164:165], v[136:137] op_sel_hi:[1,0,1]
	v_mov_b32_e32 v135, v145
	v_pk_add_f32 v[130:131], v[130:131], v[132:133]
	v_pk_fma_f32 v[132:133], v[182:183], v[166:167], v[142:143] op_sel_hi:[1,0,1]
	v_pk_mul_f32 v[138:139], v[224:225], v[138:139] op_sel_hi:[1,0]
	v_pk_fma_f32 v[136:137], v[180:181], v[164:165], v[136:137] neg_lo:[0,0,1] neg_hi:[0,0,1]
	v_mov_b32_e32 v137, v141
	v_pk_add_f32 v[130:131], v[130:131], v[134:135]
	v_pk_fma_f32 v[140:141], v[182:183], v[166:167], v[142:143] neg_lo:[0,0,1] neg_hi:[0,0,1]
	v_mov_b32_e32 v141, v133
	v_pk_fma_f32 v[132:133], v[184:185], v[168:169], v[138:139] op_sel_hi:[1,0,1]
	s_wait_loadcnt 0x1
	v_pk_mul_f32 v[134:135], v[186:187], v[170:171] op_sel:[1,1] op_sel_hi:[0,1]
	v_pk_add_f32 v[130:131], v[130:131], v[136:137]
	v_mov_b32_e32 v132, v173
	v_pk_fma_f32 v[138:139], v[184:185], v[168:169], v[138:139] neg_lo:[0,0,1] neg_hi:[0,0,1]
	s_delay_alu instid0(VALU_DEP_4)
	v_pk_fma_f32 v[136:137], v[186:187], v[170:171], v[134:135] op_sel_hi:[1,0,1]
	v_mov_b32_e32 v139, v133
	v_pk_add_f32 v[130:131], v[130:131], v[140:141]
	v_pk_mul_f32 v[132:133], v[226:227], v[132:133] op_sel_hi:[1,0]
	v_pk_fma_f32 v[134:135], v[186:187], v[170:171], v[134:135] neg_lo:[0,0,1] neg_hi:[0,0,1]
	v_mov_b32_e32 v135, v137
	s_delay_alu instid0(VALU_DEP_4) | instskip(NEXT) | instid1(VALU_DEP_4)
	v_pk_add_f32 v[130:131], v[130:131], v[138:139]
	v_pk_fma_f32 v[136:137], v[188:189], v[172:173], v[132:133] op_sel_hi:[1,0,1]
	v_pk_fma_f32 v[132:133], v[188:189], v[172:173], v[132:133] neg_lo:[0,0,1] neg_hi:[0,0,1]
	s_delay_alu instid0(VALU_DEP_3) | instskip(NEXT) | instid1(VALU_DEP_3)
	v_pk_add_f32 v[130:131], v[130:131], v[134:135]
	v_mov_b32_e32 v133, v137
	s_delay_alu instid0(VALU_DEP_1) | instskip(SKIP_1) | instid1(VALU_DEP_1)
	v_pk_add_f32 v[130:131], v[130:131], v[132:133]
	s_wait_loadcnt 0x0
	v_pk_add_f32 v[130:131], v[218:219], v[130:131] neg_lo:[0,1] neg_hi:[0,1]
	scratch_store_b64 off, v[130:131], off offset:328
	s_wait_xcnt 0x0
	v_cmpx_lt_u32_e32 40, v0
	s_cbranch_execz .LBB63_317
; %bb.316:
	scratch_load_b64 v[130:131], off, off offset:320
	v_mov_b64_e32 v[132:133], 0
	scratch_store_b64 off, v[132:133], off offset:320
	s_wait_loadcnt 0x0
	ds_store_b64 v1, v[130:131]
.LBB63_317:
	s_wait_xcnt 0x0
	s_or_b32 exec_lo, exec_lo, s0
	s_wait_storecnt_dscnt 0x0
	s_barrier_signal -1
	s_barrier_wait -1
	s_clause 0xc
	scratch_load_b128 v[130:133], off, off offset:328
	scratch_load_b128 v[134:137], off, off offset:344
	;; [unrolled: 1-line block ×11, first 2 shown]
	scratch_load_b64 v[218:219], off, off offset:504
	scratch_load_b64 v[220:221], off, off offset:320
	v_mov_b32_e32 v7, 0
	ds_load_2addr_b64 v[174:177], v7 offset0:119 offset1:120
	ds_load_2addr_b64 v[178:181], v7 offset0:121 offset1:122
	ds_load_2addr_b64 v[182:185], v7 offset0:123 offset1:124
	ds_load_2addr_b64 v[186:189], v7 offset0:125 offset1:126
	ds_load_2addr_b64 v[190:193], v7 offset0:105 offset1:106
	ds_load_2addr_b64 v[194:197], v7 offset0:107 offset1:108
	ds_load_2addr_b64 v[198:201], v7 offset0:109 offset1:110
	ds_load_2addr_b64 v[202:205], v7 offset0:111 offset1:112
	ds_load_2addr_b64 v[206:209], v7 offset0:113 offset1:114
	ds_load_2addr_b64 v[210:213], v7 offset0:117 offset1:118
	ds_load_2addr_b64 v[214:217], v7 offset0:115 offset1:116
	ds_load_b64 v[222:223], v7 offset:1016
	s_mov_b32 s0, exec_lo
	s_wait_dscnt 0xb
	v_dual_mov_b32 v224, v177 :: v_dual_mov_b32 v225, v176
	s_wait_dscnt 0x8
	v_dual_mov_b32 v226, v181 :: v_dual_mov_b32 v231, v188
	v_dual_mov_b32 v227, v180 :: v_dual_mov_b32 v228, v185
	v_dual_mov_b32 v229, v184 :: v_dual_mov_b32 v230, v189
	s_wait_loadcnt_dscnt 0xc07
	v_dual_mul_f32 v9, v190, v131 :: v_dual_mul_f32 v35, v191, v131
	v_dual_mul_f32 v37, v193, v133 :: v_dual_mul_f32 v11, v192, v133
	s_wait_loadcnt_dscnt 0xb06
	v_mul_f32_e32 v13, v194, v135
	s_wait_loadcnt_dscnt 0x904
	v_dual_mul_f32 v47, v203, v143 :: v_dual_fma_f32 v35, v190, v130, -v35
	v_dual_fmac_f32 v9, v191, v130 :: v_dual_mul_f32 v49, v205, v145
	v_dual_mul_f32 v39, v195, v135 :: v_dual_mul_f32 v41, v197, v137
	v_dual_fmac_f32 v11, v193, v132 :: v_dual_fma_f32 v37, v192, v132, -v37
	s_delay_alu instid0(VALU_DEP_3) | instskip(SKIP_3) | instid1(VALU_DEP_3)
	v_dual_add_f32 v9, 0, v9 :: v_dual_add_f32 v35, 0, v35
	v_dual_mul_f32 v15, v196, v137 :: v_dual_mul_f32 v17, v198, v139
	s_wait_loadcnt_dscnt 0x803
	v_dual_mul_f32 v51, v207, v147 :: v_dual_fma_f32 v39, v194, v134, -v39
	v_dual_fmac_f32 v13, v195, v134 :: v_dual_add_f32 v9, v9, v11
	s_delay_alu instid0(VALU_DEP_3) | instskip(SKIP_2) | instid1(VALU_DEP_3)
	v_dual_add_f32 v11, v35, v37 :: v_dual_fmac_f32 v15, v197, v136
	v_dual_mul_f32 v43, v199, v139 :: v_dual_mul_f32 v45, v201, v141
	v_dual_mul_f32 v35, v209, v149 :: v_dual_fma_f32 v37, v196, v136, -v41
	v_dual_add_f32 v9, v9, v13 :: v_dual_add_f32 v11, v11, v39
	v_dual_mul_f32 v19, v200, v141 :: v_dual_mul_f32 v21, v202, v143
	s_wait_loadcnt_dscnt 0x701
	v_dual_mul_f32 v13, v215, v151 :: v_dual_fma_f32 v39, v198, v138, -v43
	s_delay_alu instid0(VALU_DEP_3) | instskip(NEXT) | instid1(VALU_DEP_3)
	v_dual_fmac_f32 v17, v199, v138 :: v_dual_add_f32 v9, v9, v15
	v_dual_add_f32 v11, v11, v37 :: v_dual_fmac_f32 v19, v201, v140
	v_dual_mul_f32 v15, v217, v153 :: v_dual_fma_f32 v37, v200, v140, -v45
	s_delay_alu instid0(VALU_DEP_2) | instskip(SKIP_3) | instid1(VALU_DEP_3)
	v_dual_add_f32 v9, v9, v17 :: v_dual_add_f32 v11, v11, v39
	v_dual_mul_f32 v23, v204, v145 :: v_dual_mul_f32 v25, v206, v147
	s_wait_loadcnt 0x6
	v_dual_mul_f32 v17, v211, v155 :: v_dual_fma_f32 v39, v202, v142, -v47
	v_dual_fmac_f32 v21, v203, v142 :: v_dual_add_f32 v9, v9, v19
	s_delay_alu instid0(VALU_DEP_3) | instskip(SKIP_1) | instid1(VALU_DEP_2)
	v_dual_add_f32 v11, v11, v37 :: v_dual_fmac_f32 v23, v205, v144
	v_dual_mul_f32 v19, v213, v157 :: v_dual_fma_f32 v37, v204, v144, -v49
	v_dual_add_f32 v9, v9, v21 :: v_dual_add_f32 v11, v11, v39
	v_dual_mul_f32 v27, v208, v149 :: v_dual_mul_f32 v29, v214, v151
	s_wait_loadcnt 0x5
	v_dual_mul_f32 v21, v175, v159 :: v_dual_fma_f32 v39, v206, v146, -v51
	s_delay_alu instid0(VALU_DEP_3) | instskip(SKIP_2) | instid1(VALU_DEP_3)
	v_dual_fmac_f32 v25, v207, v146 :: v_dual_add_f32 v9, v9, v23
	v_dual_add_f32 v11, v11, v37 :: v_dual_mov_b32 v130, v161
	v_fmac_f32_e32 v27, v209, v148
	v_dual_fma_f32 v23, v208, v148, -v35 :: v_dual_add_f32 v9, v9, v25
	s_delay_alu instid0(VALU_DEP_3) | instskip(SKIP_1) | instid1(VALU_DEP_3)
	v_dual_add_f32 v11, v11, v39 :: v_dual_mul_f32 v31, v216, v153
	v_dual_mul_f32 v33, v210, v155 :: v_dual_fmac_f32 v29, v215, v150
	v_dual_add_f32 v9, v9, v27 :: v_dual_fma_f32 v13, v214, v150, -v13
	s_wait_loadcnt 0x4
	s_delay_alu instid0(VALU_DEP_3) | instskip(SKIP_3) | instid1(VALU_DEP_4)
	v_dual_add_f32 v11, v11, v23 :: v_dual_mov_b32 v134, v165
	v_fma_f32 v15, v216, v152, -v15
	v_fmac_f32_e32 v31, v217, v152
	v_dual_add_f32 v9, v9, v29 :: v_dual_fmac_f32 v33, v211, v154
	v_add_f32_e32 v11, v11, v13
	v_dual_mul_f32 v233, v212, v157 :: v_dual_mul_f32 v235, v174, v159
	s_delay_alu instid0(VALU_DEP_3) | instskip(NEXT) | instid1(VALU_DEP_2)
	v_dual_fma_f32 v13, v210, v154, -v17 :: v_dual_add_f32 v9, v9, v31
	v_dual_add_f32 v11, v11, v15 :: v_dual_fmac_f32 v233, v213, v156
	v_fma_f32 v232, v212, v156, -v19
	v_pk_mul_f32 v[130:131], v[224:225], v[130:131] op_sel_hi:[1,0]
	s_delay_alu instid0(VALU_DEP_4)
	v_add_f32_e32 v139, v9, v33
	s_wait_loadcnt 0x3
	v_dual_add_f32 v138, v11, v13 :: v_dual_mov_b32 v140, v169
	v_pk_mul_f32 v[132:133], v[178:179], v[162:163] op_sel:[1,1] op_sel_hi:[0,1]
	v_dual_fmac_f32 v235, v175, v158 :: v_dual_fma_f32 v234, v174, v158, -v21
	v_pk_fma_f32 v[142:143], v[176:177], v[160:161], v[130:131] op_sel_hi:[1,0,1]
	s_delay_alu instid0(VALU_DEP_4)
	v_pk_add_f32 v[138:139], v[138:139], v[232:233]
	v_pk_fma_f32 v[130:131], v[176:177], v[160:161], v[130:131] neg_lo:[0,0,1] neg_hi:[0,0,1]
	v_pk_fma_f32 v[144:145], v[178:179], v[162:163], v[132:133] op_sel_hi:[1,0,1]
	v_pk_mul_f32 v[134:135], v[226:227], v[134:135] op_sel_hi:[1,0]
	v_mov_b32_e32 v131, v143
	v_pk_add_f32 v[138:139], v[138:139], v[234:235]
	v_pk_fma_f32 v[132:133], v[178:179], v[162:163], v[132:133] neg_lo:[0,0,1] neg_hi:[0,0,1]
	v_pk_mul_f32 v[136:137], v[182:183], v[166:167] op_sel:[1,1] op_sel_hi:[0,1]
	v_mov_b32_e32 v133, v145
	v_pk_fma_f32 v[144:145], v[180:181], v[164:165], v[134:135] op_sel_hi:[1,0,1]
	v_pk_add_f32 v[130:131], v[138:139], v[130:131]
	v_pk_fma_f32 v[134:135], v[180:181], v[164:165], v[134:135] neg_lo:[0,0,1] neg_hi:[0,0,1]
	v_pk_fma_f32 v[138:139], v[182:183], v[166:167], v[136:137] op_sel_hi:[1,0,1]
	v_pk_mul_f32 v[140:141], v[228:229], v[140:141] op_sel_hi:[1,0]
	v_mov_b32_e32 v135, v145
	v_pk_add_f32 v[130:131], v[130:131], v[132:133]
	v_pk_fma_f32 v[136:137], v[182:183], v[166:167], v[136:137] neg_lo:[0,0,1] neg_hi:[0,0,1]
	s_wait_loadcnt 0x2
	v_pk_mul_f32 v[142:143], v[186:187], v[170:171] op_sel:[1,1] op_sel_hi:[0,1]
	v_dual_mov_b32 v132, v173 :: v_dual_mov_b32 v137, v139
	v_pk_fma_f32 v[138:139], v[184:185], v[168:169], v[140:141] op_sel_hi:[1,0,1]
	v_pk_add_f32 v[130:131], v[130:131], v[134:135]
	v_pk_fma_f32 v[140:141], v[184:185], v[168:169], v[140:141] neg_lo:[0,0,1] neg_hi:[0,0,1]
	v_pk_fma_f32 v[134:135], v[186:187], v[170:171], v[142:143] op_sel_hi:[1,0,1]
	v_pk_mul_f32 v[132:133], v[230:231], v[132:133] op_sel_hi:[1,0]
	v_mov_b32_e32 v141, v139
	v_pk_add_f32 v[130:131], v[130:131], v[136:137]
	v_pk_fma_f32 v[136:137], v[186:187], v[170:171], v[142:143] neg_lo:[0,0,1] neg_hi:[0,0,1]
	v_mov_b32_e32 v137, v135
	v_pk_fma_f32 v[134:135], v[188:189], v[172:173], v[132:133] op_sel_hi:[1,0,1]
	s_wait_loadcnt_dscnt 0x100
	v_pk_mul_f32 v[138:139], v[222:223], v[218:219] op_sel:[1,1] op_sel_hi:[0,1]
	v_pk_add_f32 v[130:131], v[130:131], v[140:141]
	v_pk_fma_f32 v[132:133], v[188:189], v[172:173], v[132:133] neg_lo:[0,0,1] neg_hi:[0,0,1]
	v_mov_b32_e32 v133, v135
	s_delay_alu instid0(VALU_DEP_4) | instskip(NEXT) | instid1(VALU_DEP_4)
	v_pk_fma_f32 v[134:135], v[222:223], v[218:219], v[138:139] op_sel_hi:[1,0,1]
	v_pk_add_f32 v[130:131], v[130:131], v[136:137]
	v_pk_fma_f32 v[136:137], v[222:223], v[218:219], v[138:139] neg_lo:[0,0,1] neg_hi:[0,0,1]
	s_delay_alu instid0(VALU_DEP_3) | instskip(NEXT) | instid1(VALU_DEP_3)
	v_mov_b32_e32 v137, v135
	v_pk_add_f32 v[130:131], v[130:131], v[132:133]
	s_delay_alu instid0(VALU_DEP_1) | instskip(SKIP_1) | instid1(VALU_DEP_1)
	v_pk_add_f32 v[130:131], v[130:131], v[136:137]
	s_wait_loadcnt 0x0
	v_pk_add_f32 v[130:131], v[220:221], v[130:131] neg_lo:[0,1] neg_hi:[0,1]
	scratch_store_b64 off, v[130:131], off offset:320
	s_wait_xcnt 0x0
	v_cmpx_lt_u32_e32 39, v0
	s_cbranch_execz .LBB63_319
; %bb.318:
	scratch_load_b64 v[130:131], off, off offset:312
	v_mov_b64_e32 v[132:133], 0
	scratch_store_b64 off, v[132:133], off offset:312
	s_wait_loadcnt 0x0
	ds_store_b64 v1, v[130:131]
.LBB63_319:
	s_wait_xcnt 0x0
	s_or_b32 exec_lo, exec_lo, s0
	s_wait_storecnt_dscnt 0x0
	s_barrier_signal -1
	s_barrier_wait -1
	s_clause 0xc
	scratch_load_b128 v[130:133], off, off offset:320
	scratch_load_b128 v[134:137], off, off offset:336
	;; [unrolled: 1-line block ×12, first 2 shown]
	scratch_load_b64 v[226:227], off, off offset:312
	ds_load_b128 v[178:181], v7 offset:960
	ds_load_b128 v[182:185], v7 offset:976
	;; [unrolled: 1-line block ×12, first 2 shown]
	s_mov_b32 s0, exec_lo
	s_wait_dscnt 0xb
	v_dual_mov_b32 v228, v181 :: v_dual_mov_b32 v229, v180
	s_wait_dscnt 0xa
	v_dual_mov_b32 v230, v185 :: v_dual_mov_b32 v231, v184
	;; [unrolled: 2-line block ×4, first 2 shown]
	s_wait_loadcnt_dscnt 0xc07
	v_dual_mul_f32 v7, v194, v131 :: v_dual_mul_f32 v9, v196, v133
	v_dual_mul_f32 v35, v195, v131 :: v_dual_mul_f32 v37, v197, v133
	s_wait_loadcnt_dscnt 0xb06
	v_dual_mul_f32 v11, v198, v135 :: v_dual_mul_f32 v13, v200, v137
	s_delay_alu instid0(VALU_DEP_3) | instskip(SKIP_3) | instid1(VALU_DEP_3)
	v_dual_fmac_f32 v7, v195, v130 :: v_dual_fmac_f32 v9, v197, v132
	s_wait_loadcnt_dscnt 0x904
	v_dual_fma_f32 v35, v194, v130, -v35 :: v_dual_mul_f32 v47, v207, v143
	v_dual_mul_f32 v39, v199, v135 :: v_dual_mul_f32 v41, v201, v137
	v_dual_fma_f32 v37, v196, v132, -v37 :: v_dual_add_f32 v7, 0, v7
	s_delay_alu instid0(VALU_DEP_3) | instskip(SKIP_1) | instid1(VALU_DEP_3)
	v_dual_add_f32 v35, 0, v35 :: v_dual_mul_f32 v49, v209, v145
	v_dual_fmac_f32 v11, v199, v134 :: v_dual_fmac_f32 v13, v201, v136
	v_dual_fma_f32 v39, v198, v134, -v39 :: v_dual_add_f32 v7, v7, v9
	s_delay_alu instid0(VALU_DEP_3) | instskip(SKIP_2) | instid1(VALU_DEP_4)
	v_dual_add_f32 v9, v35, v37 :: v_dual_fma_f32 v37, v200, v136, -v41
	v_dual_mul_f32 v15, v202, v139 :: v_dual_mul_f32 v17, v204, v141
	v_dual_mul_f32 v43, v203, v139 :: v_dual_mul_f32 v45, v205, v141
	v_add_f32_e32 v7, v7, v11
	s_delay_alu instid0(VALU_DEP_3) | instskip(NEXT) | instid1(VALU_DEP_3)
	v_dual_add_f32 v9, v9, v39 :: v_dual_fmac_f32 v15, v203, v138
	v_fma_f32 v39, v202, v138, -v43
	v_dual_mul_f32 v19, v206, v143 :: v_dual_mul_f32 v21, v208, v145
	s_delay_alu instid0(VALU_DEP_4) | instskip(SKIP_2) | instid1(VALU_DEP_2)
	v_dual_add_f32 v7, v7, v13 :: v_dual_fmac_f32 v17, v205, v140
	s_wait_loadcnt_dscnt 0x702
	v_dual_add_f32 v9, v9, v37 :: v_dual_mul_f32 v13, v215, v151
	v_dual_fma_f32 v37, v204, v140, -v45 :: v_dual_add_f32 v7, v7, v15
	v_mul_f32_e32 v15, v217, v153
	s_delay_alu instid0(VALU_DEP_3) | instskip(NEXT) | instid1(VALU_DEP_3)
	v_dual_add_f32 v9, v9, v39 :: v_dual_fmac_f32 v19, v207, v142
	v_dual_fma_f32 v39, v206, v142, -v47 :: v_dual_add_f32 v7, v7, v17
	v_fmac_f32_e32 v21, v209, v144
	s_wait_loadcnt_dscnt 0x601
	s_delay_alu instid0(VALU_DEP_3) | instskip(SKIP_3) | instid1(VALU_DEP_3)
	v_dual_add_f32 v9, v9, v37 :: v_dual_mul_f32 v17, v219, v155
	v_dual_mul_f32 v23, v210, v147 :: v_dual_mul_f32 v25, v212, v149
	v_dual_mul_f32 v35, v211, v147 :: v_dual_mul_f32 v11, v213, v149
	v_dual_fma_f32 v37, v208, v144, -v49 :: v_dual_add_f32 v7, v7, v19
	v_dual_add_f32 v9, v9, v39 :: v_dual_fmac_f32 v23, v211, v146
	s_delay_alu instid0(VALU_DEP_3) | instskip(NEXT) | instid1(VALU_DEP_3)
	v_dual_mul_f32 v19, v221, v157 :: v_dual_fma_f32 v35, v210, v146, -v35
	v_dual_add_f32 v7, v7, v21 :: v_dual_fmac_f32 v25, v213, v148
	s_wait_loadcnt_dscnt 0x500
	s_delay_alu instid0(VALU_DEP_3) | instskip(SKIP_1) | instid1(VALU_DEP_3)
	v_dual_add_f32 v9, v9, v37 :: v_dual_mul_f32 v21, v223, v159
	v_dual_mul_f32 v27, v214, v151 :: v_dual_mul_f32 v29, v216, v153
	v_dual_fma_f32 v11, v212, v148, -v11 :: v_dual_add_f32 v7, v7, v23
	s_delay_alu instid0(VALU_DEP_2) | instskip(SKIP_1) | instid1(VALU_DEP_2)
	v_dual_add_f32 v9, v9, v35 :: v_dual_fmac_f32 v27, v215, v150
	v_dual_mul_f32 v23, v225, v161 :: v_dual_fma_f32 v13, v214, v150, -v13
	v_dual_add_f32 v7, v7, v25 :: v_dual_add_f32 v9, v9, v11
	v_dual_mul_f32 v31, v218, v155 :: v_dual_mul_f32 v33, v220, v157
	v_dual_fmac_f32 v29, v217, v152 :: v_dual_fma_f32 v11, v216, v152, -v15
	s_delay_alu instid0(VALU_DEP_3) | instskip(SKIP_1) | instid1(VALU_DEP_3)
	v_dual_add_f32 v7, v7, v27 :: v_dual_add_f32 v9, v9, v13
	s_wait_loadcnt 0x4
	v_dual_mov_b32 v132, v165 :: v_dual_fmac_f32 v31, v219, v154
	s_delay_alu instid0(VALU_DEP_2) | instskip(NEXT) | instid1(VALU_DEP_3)
	v_dual_fma_f32 v13, v218, v154, -v17 :: v_dual_add_f32 v7, v7, v29
	v_dual_add_f32 v9, v9, v11 :: v_dual_fma_f32 v11, v220, v156, -v19
	v_dual_mul_f32 v237, v222, v159 :: v_dual_mul_f32 v239, v224, v161
	s_delay_alu instid0(VALU_DEP_3) | instskip(NEXT) | instid1(VALU_DEP_2)
	v_dual_fmac_f32 v33, v221, v156 :: v_dual_add_f32 v7, v7, v31
	v_dual_add_f32 v9, v9, v13 :: v_dual_fmac_f32 v237, v223, v158
	v_pk_mul_f32 v[130:131], v[178:179], v[162:163] op_sel:[1,1] op_sel_hi:[0,1]
	s_wait_loadcnt 0x3
	v_dual_mov_b32 v136, v169 :: v_dual_fma_f32 v236, v222, v158, -v21
	s_delay_alu instid0(VALU_DEP_3)
	v_dual_add_f32 v139, v7, v33 :: v_dual_add_f32 v138, v9, v11
	v_fmac_f32_e32 v239, v225, v160
	v_pk_fma_f32 v[140:141], v[178:179], v[162:163], v[130:131] op_sel_hi:[1,0,1]
	v_fma_f32 v238, v224, v160, -v23
	v_pk_mul_f32 v[132:133], v[228:229], v[132:133] op_sel_hi:[1,0]
	v_pk_add_f32 v[138:139], v[138:139], v[236:237]
	v_pk_fma_f32 v[130:131], v[178:179], v[162:163], v[130:131] neg_lo:[0,0,1] neg_hi:[0,0,1]
	v_pk_mul_f32 v[134:135], v[182:183], v[166:167] op_sel:[1,1] op_sel_hi:[0,1]
	v_mov_b32_e32 v131, v141
	v_pk_fma_f32 v[140:141], v[180:181], v[164:165], v[132:133] op_sel_hi:[1,0,1]
	v_pk_add_f32 v[138:139], v[138:139], v[238:239]
	v_pk_fma_f32 v[132:133], v[180:181], v[164:165], v[132:133] neg_lo:[0,0,1] neg_hi:[0,0,1]
	v_pk_fma_f32 v[144:145], v[182:183], v[166:167], v[134:135] op_sel_hi:[1,0,1]
	v_pk_mul_f32 v[136:137], v[230:231], v[136:137] op_sel_hi:[1,0]
	v_mov_b32_e32 v133, v141
	v_pk_add_f32 v[130:131], v[138:139], v[130:131]
	s_wait_loadcnt 0x2
	v_pk_mul_f32 v[142:143], v[186:187], v[170:171] op_sel:[1,1] op_sel_hi:[0,1]
	v_mov_b32_e32 v138, v173
	v_pk_fma_f32 v[134:135], v[182:183], v[166:167], v[134:135] neg_lo:[0,0,1] neg_hi:[0,0,1]
	v_pk_fma_f32 v[140:141], v[184:185], v[168:169], v[136:137] op_sel_hi:[1,0,1]
	v_mov_b32_e32 v135, v145
	v_pk_add_f32 v[130:131], v[130:131], v[132:133]
	v_pk_fma_f32 v[132:133], v[186:187], v[170:171], v[142:143] op_sel_hi:[1,0,1]
	v_pk_mul_f32 v[138:139], v[232:233], v[138:139] op_sel_hi:[1,0]
	v_pk_fma_f32 v[136:137], v[184:185], v[168:169], v[136:137] neg_lo:[0,0,1] neg_hi:[0,0,1]
	v_mov_b32_e32 v137, v141
	v_pk_add_f32 v[130:131], v[130:131], v[134:135]
	v_pk_fma_f32 v[140:141], v[186:187], v[170:171], v[142:143] neg_lo:[0,0,1] neg_hi:[0,0,1]
	v_mov_b32_e32 v141, v133
	v_pk_fma_f32 v[132:133], v[188:189], v[172:173], v[138:139] op_sel_hi:[1,0,1]
	s_wait_loadcnt 0x1
	v_pk_mul_f32 v[134:135], v[190:191], v[174:175] op_sel:[1,1] op_sel_hi:[0,1]
	v_pk_add_f32 v[130:131], v[130:131], v[136:137]
	v_mov_b32_e32 v132, v177
	v_pk_fma_f32 v[138:139], v[188:189], v[172:173], v[138:139] neg_lo:[0,0,1] neg_hi:[0,0,1]
	s_delay_alu instid0(VALU_DEP_4)
	v_pk_fma_f32 v[136:137], v[190:191], v[174:175], v[134:135] op_sel_hi:[1,0,1]
	v_mov_b32_e32 v139, v133
	v_pk_add_f32 v[130:131], v[130:131], v[140:141]
	v_pk_mul_f32 v[132:133], v[234:235], v[132:133] op_sel_hi:[1,0]
	v_pk_fma_f32 v[134:135], v[190:191], v[174:175], v[134:135] neg_lo:[0,0,1] neg_hi:[0,0,1]
	v_mov_b32_e32 v135, v137
	s_delay_alu instid0(VALU_DEP_4) | instskip(NEXT) | instid1(VALU_DEP_4)
	v_pk_add_f32 v[130:131], v[130:131], v[138:139]
	v_pk_fma_f32 v[136:137], v[192:193], v[176:177], v[132:133] op_sel_hi:[1,0,1]
	v_pk_fma_f32 v[132:133], v[192:193], v[176:177], v[132:133] neg_lo:[0,0,1] neg_hi:[0,0,1]
	s_delay_alu instid0(VALU_DEP_3) | instskip(NEXT) | instid1(VALU_DEP_3)
	v_pk_add_f32 v[130:131], v[130:131], v[134:135]
	v_mov_b32_e32 v133, v137
	s_delay_alu instid0(VALU_DEP_1) | instskip(SKIP_1) | instid1(VALU_DEP_1)
	v_pk_add_f32 v[130:131], v[130:131], v[132:133]
	s_wait_loadcnt 0x0
	v_pk_add_f32 v[130:131], v[226:227], v[130:131] neg_lo:[0,1] neg_hi:[0,1]
	scratch_store_b64 off, v[130:131], off offset:312
	s_wait_xcnt 0x0
	v_cmpx_lt_u32_e32 38, v0
	s_cbranch_execz .LBB63_321
; %bb.320:
	scratch_load_b64 v[130:131], off, off offset:304
	v_mov_b64_e32 v[132:133], 0
	scratch_store_b64 off, v[132:133], off offset:304
	s_wait_loadcnt 0x0
	ds_store_b64 v1, v[130:131]
.LBB63_321:
	s_wait_xcnt 0x0
	s_or_b32 exec_lo, exec_lo, s0
	s_wait_storecnt_dscnt 0x0
	s_barrier_signal -1
	s_barrier_wait -1
	s_clause 0xd
	scratch_load_b128 v[130:133], off, off offset:312
	scratch_load_b128 v[134:137], off, off offset:328
	;; [unrolled: 1-line block ×12, first 2 shown]
	scratch_load_b64 v[226:227], off, off offset:504
	scratch_load_b64 v[228:229], off, off offset:304
	v_mov_b32_e32 v7, 0
	ds_load_2addr_b64 v[178:181], v7 offset0:119 offset1:120
	ds_load_2addr_b64 v[182:185], v7 offset0:121 offset1:122
	;; [unrolled: 1-line block ×12, first 2 shown]
	ds_load_b64 v[230:231], v7 offset:1016
	s_mov_b32 s0, exec_lo
	s_wait_dscnt 0xc
	v_dual_mov_b32 v232, v181 :: v_dual_mov_b32 v233, v180
	s_wait_dscnt 0x9
	v_dual_mov_b32 v234, v185 :: v_dual_mov_b32 v239, v192
	v_dual_mov_b32 v235, v184 :: v_dual_mov_b32 v236, v189
	;; [unrolled: 1-line block ×3, first 2 shown]
	s_wait_loadcnt_dscnt 0xd08
	v_dual_mul_f32 v9, v194, v131 :: v_dual_mul_f32 v39, v195, v131
	v_dual_mul_f32 v41, v197, v133 :: v_dual_mul_f32 v11, v196, v133
	s_wait_loadcnt_dscnt 0xc07
	v_mul_f32_e32 v13, v198, v135
	s_wait_loadcnt_dscnt 0xa05
	v_dual_mul_f32 v51, v207, v143 :: v_dual_fma_f32 v39, v194, v130, -v39
	v_dual_fmac_f32 v9, v195, v130 :: v_dual_mul_f32 v53, v209, v145
	v_dual_mul_f32 v43, v199, v135 :: v_dual_mul_f32 v45, v201, v137
	v_dual_fmac_f32 v11, v197, v132 :: v_dual_fma_f32 v41, v196, v132, -v41
	s_delay_alu instid0(VALU_DEP_3) | instskip(SKIP_3) | instid1(VALU_DEP_3)
	v_dual_add_f32 v9, 0, v9 :: v_dual_add_f32 v39, 0, v39
	v_dual_mul_f32 v15, v200, v137 :: v_dual_mul_f32 v17, v202, v139
	s_wait_loadcnt_dscnt 0x904
	v_dual_mul_f32 v55, v211, v147 :: v_dual_fma_f32 v43, v198, v134, -v43
	v_dual_fmac_f32 v13, v199, v134 :: v_dual_add_f32 v9, v9, v11
	s_delay_alu instid0(VALU_DEP_3) | instskip(SKIP_2) | instid1(VALU_DEP_3)
	v_dual_add_f32 v11, v39, v41 :: v_dual_fmac_f32 v15, v201, v136
	v_dual_mul_f32 v47, v203, v139 :: v_dual_mul_f32 v49, v205, v141
	v_dual_mul_f32 v39, v213, v149 :: v_dual_fma_f32 v41, v200, v136, -v45
	v_dual_add_f32 v9, v9, v13 :: v_dual_add_f32 v11, v11, v43
	v_dual_mul_f32 v19, v204, v141 :: v_dual_mul_f32 v21, v206, v143
	s_wait_loadcnt_dscnt 0x803
	v_dual_mul_f32 v13, v215, v151 :: v_dual_fma_f32 v43, v202, v138, -v47
	s_delay_alu instid0(VALU_DEP_3) | instskip(NEXT) | instid1(VALU_DEP_3)
	v_dual_fmac_f32 v17, v203, v138 :: v_dual_add_f32 v9, v9, v15
	v_dual_add_f32 v11, v11, v41 :: v_dual_fmac_f32 v19, v205, v140
	v_dual_mul_f32 v15, v217, v153 :: v_dual_fma_f32 v41, v204, v140, -v49
	s_delay_alu instid0(VALU_DEP_2) | instskip(SKIP_3) | instid1(VALU_DEP_3)
	v_dual_add_f32 v9, v9, v17 :: v_dual_add_f32 v11, v11, v43
	v_dual_mul_f32 v23, v208, v145 :: v_dual_mul_f32 v25, v210, v147
	s_wait_loadcnt_dscnt 0x702
	v_dual_mul_f32 v17, v219, v155 :: v_dual_fma_f32 v43, v206, v142, -v51
	v_dual_fmac_f32 v21, v207, v142 :: v_dual_add_f32 v9, v9, v19
	s_delay_alu instid0(VALU_DEP_3) | instskip(SKIP_1) | instid1(VALU_DEP_2)
	v_dual_add_f32 v11, v11, v41 :: v_dual_fmac_f32 v23, v209, v144
	v_dual_mul_f32 v19, v221, v157 :: v_dual_fma_f32 v41, v208, v144, -v53
	v_dual_add_f32 v9, v9, v21 :: v_dual_add_f32 v11, v11, v43
	v_dual_mul_f32 v27, v212, v149 :: v_dual_mul_f32 v29, v214, v151
	s_wait_loadcnt_dscnt 0x601
	v_dual_mul_f32 v21, v223, v159 :: v_dual_fma_f32 v43, v210, v146, -v55
	s_delay_alu instid0(VALU_DEP_3) | instskip(NEXT) | instid1(VALU_DEP_3)
	v_dual_fmac_f32 v25, v211, v146 :: v_dual_add_f32 v9, v9, v23
	v_dual_add_f32 v11, v11, v41 :: v_dual_fmac_f32 v27, v213, v148
	v_dual_mul_f32 v23, v225, v161 :: v_dual_fma_f32 v39, v212, v148, -v39
	s_delay_alu instid0(VALU_DEP_2) | instskip(SKIP_3) | instid1(VALU_DEP_3)
	v_dual_add_f32 v9, v9, v25 :: v_dual_add_f32 v11, v11, v43
	v_dual_mul_f32 v31, v216, v153 :: v_dual_mul_f32 v33, v218, v155
	s_wait_loadcnt 0x5
	v_dual_mul_f32 v25, v179, v163 :: v_dual_fma_f32 v13, v214, v150, -v13
	v_dual_fmac_f32 v29, v215, v150 :: v_dual_add_f32 v9, v9, v27
	v_dual_add_f32 v11, v11, v39 :: v_dual_mov_b32 v130, v165
	v_fmac_f32_e32 v31, v217, v152
	s_delay_alu instid0(VALU_DEP_3) | instskip(NEXT) | instid1(VALU_DEP_3)
	v_dual_fma_f32 v15, v216, v152, -v15 :: v_dual_add_f32 v9, v9, v29
	v_add_f32_e32 v11, v11, v13
	v_dual_mul_f32 v35, v220, v157 :: v_dual_mul_f32 v37, v222, v159
	s_delay_alu instid0(VALU_DEP_3) | instskip(NEXT) | instid1(VALU_DEP_3)
	v_dual_fmac_f32 v33, v219, v154 :: v_dual_add_f32 v9, v9, v31
	v_dual_fma_f32 v13, v218, v154, -v17 :: v_dual_add_f32 v11, v11, v15
	s_wait_loadcnt 0x4
	v_dual_mov_b32 v134, v169 :: v_dual_fma_f32 v15, v220, v156, -v19
	v_fmac_f32_e32 v35, v221, v156
	v_dual_add_f32 v9, v9, v33 :: v_dual_fmac_f32 v37, v223, v158
	v_add_f32_e32 v11, v11, v13
	v_dual_mul_f32 v241, v224, v161 :: v_dual_mul_f32 v243, v178, v163
	s_delay_alu instid0(VALU_DEP_3) | instskip(NEXT) | instid1(VALU_DEP_2)
	v_dual_fma_f32 v13, v222, v158, -v21 :: v_dual_add_f32 v9, v9, v35
	v_dual_add_f32 v11, v11, v15 :: v_dual_fmac_f32 v241, v225, v160
	v_fma_f32 v240, v224, v160, -v23
	v_pk_mul_f32 v[130:131], v[232:233], v[130:131] op_sel_hi:[1,0]
	s_delay_alu instid0(VALU_DEP_4)
	v_add_f32_e32 v139, v9, v37
	s_wait_loadcnt 0x3
	v_dual_add_f32 v138, v11, v13 :: v_dual_mov_b32 v140, v173
	v_pk_mul_f32 v[132:133], v[182:183], v[166:167] op_sel:[1,1] op_sel_hi:[0,1]
	v_dual_fmac_f32 v243, v179, v162 :: v_dual_fma_f32 v242, v178, v162, -v25
	v_pk_fma_f32 v[142:143], v[180:181], v[164:165], v[130:131] op_sel_hi:[1,0,1]
	s_delay_alu instid0(VALU_DEP_4)
	v_pk_add_f32 v[138:139], v[138:139], v[240:241]
	v_pk_fma_f32 v[130:131], v[180:181], v[164:165], v[130:131] neg_lo:[0,0,1] neg_hi:[0,0,1]
	v_pk_fma_f32 v[144:145], v[182:183], v[166:167], v[132:133] op_sel_hi:[1,0,1]
	v_pk_mul_f32 v[134:135], v[234:235], v[134:135] op_sel_hi:[1,0]
	v_mov_b32_e32 v131, v143
	v_pk_add_f32 v[138:139], v[138:139], v[242:243]
	v_pk_fma_f32 v[132:133], v[182:183], v[166:167], v[132:133] neg_lo:[0,0,1] neg_hi:[0,0,1]
	v_pk_mul_f32 v[136:137], v[186:187], v[170:171] op_sel:[1,1] op_sel_hi:[0,1]
	v_mov_b32_e32 v133, v145
	v_pk_fma_f32 v[144:145], v[184:185], v[168:169], v[134:135] op_sel_hi:[1,0,1]
	v_pk_add_f32 v[130:131], v[138:139], v[130:131]
	v_pk_fma_f32 v[134:135], v[184:185], v[168:169], v[134:135] neg_lo:[0,0,1] neg_hi:[0,0,1]
	v_pk_fma_f32 v[138:139], v[186:187], v[170:171], v[136:137] op_sel_hi:[1,0,1]
	v_pk_mul_f32 v[140:141], v[236:237], v[140:141] op_sel_hi:[1,0]
	v_mov_b32_e32 v135, v145
	v_pk_add_f32 v[130:131], v[130:131], v[132:133]
	v_pk_fma_f32 v[136:137], v[186:187], v[170:171], v[136:137] neg_lo:[0,0,1] neg_hi:[0,0,1]
	s_wait_loadcnt 0x2
	v_pk_mul_f32 v[142:143], v[190:191], v[174:175] op_sel:[1,1] op_sel_hi:[0,1]
	v_dual_mov_b32 v132, v177 :: v_dual_mov_b32 v137, v139
	v_pk_fma_f32 v[138:139], v[188:189], v[172:173], v[140:141] op_sel_hi:[1,0,1]
	v_pk_add_f32 v[130:131], v[130:131], v[134:135]
	v_pk_fma_f32 v[140:141], v[188:189], v[172:173], v[140:141] neg_lo:[0,0,1] neg_hi:[0,0,1]
	v_pk_fma_f32 v[134:135], v[190:191], v[174:175], v[142:143] op_sel_hi:[1,0,1]
	v_pk_mul_f32 v[132:133], v[238:239], v[132:133] op_sel_hi:[1,0]
	v_mov_b32_e32 v141, v139
	v_pk_add_f32 v[130:131], v[130:131], v[136:137]
	v_pk_fma_f32 v[136:137], v[190:191], v[174:175], v[142:143] neg_lo:[0,0,1] neg_hi:[0,0,1]
	v_mov_b32_e32 v137, v135
	v_pk_fma_f32 v[134:135], v[192:193], v[176:177], v[132:133] op_sel_hi:[1,0,1]
	s_wait_loadcnt_dscnt 0x100
	v_pk_mul_f32 v[138:139], v[230:231], v[226:227] op_sel:[1,1] op_sel_hi:[0,1]
	v_pk_add_f32 v[130:131], v[130:131], v[140:141]
	v_pk_fma_f32 v[132:133], v[192:193], v[176:177], v[132:133] neg_lo:[0,0,1] neg_hi:[0,0,1]
	v_mov_b32_e32 v133, v135
	s_delay_alu instid0(VALU_DEP_4) | instskip(NEXT) | instid1(VALU_DEP_4)
	v_pk_fma_f32 v[134:135], v[230:231], v[226:227], v[138:139] op_sel_hi:[1,0,1]
	v_pk_add_f32 v[130:131], v[130:131], v[136:137]
	v_pk_fma_f32 v[136:137], v[230:231], v[226:227], v[138:139] neg_lo:[0,0,1] neg_hi:[0,0,1]
	s_delay_alu instid0(VALU_DEP_3) | instskip(NEXT) | instid1(VALU_DEP_3)
	v_mov_b32_e32 v137, v135
	v_pk_add_f32 v[130:131], v[130:131], v[132:133]
	s_delay_alu instid0(VALU_DEP_1) | instskip(SKIP_1) | instid1(VALU_DEP_1)
	v_pk_add_f32 v[130:131], v[130:131], v[136:137]
	s_wait_loadcnt 0x0
	v_pk_add_f32 v[130:131], v[228:229], v[130:131] neg_lo:[0,1] neg_hi:[0,1]
	scratch_store_b64 off, v[130:131], off offset:304
	s_wait_xcnt 0x0
	v_cmpx_lt_u32_e32 37, v0
	s_cbranch_execz .LBB63_323
; %bb.322:
	scratch_load_b64 v[130:131], off, off offset:296
	v_mov_b64_e32 v[132:133], 0
	scratch_store_b64 off, v[132:133], off offset:296
	s_wait_loadcnt 0x0
	ds_store_b64 v1, v[130:131]
.LBB63_323:
	s_wait_xcnt 0x0
	s_or_b32 exec_lo, exec_lo, s0
	s_wait_storecnt_dscnt 0x0
	s_barrier_signal -1
	s_barrier_wait -1
	s_clause 0xd
	scratch_load_b128 v[130:133], off, off offset:304
	scratch_load_b128 v[134:137], off, off offset:320
	;; [unrolled: 1-line block ×13, first 2 shown]
	scratch_load_b64 v[234:235], off, off offset:296
	ds_load_b128 v[182:185], v7 offset:960
	ds_load_b128 v[186:189], v7 offset:976
	;; [unrolled: 1-line block ×13, first 2 shown]
	s_mov_b32 s0, exec_lo
	s_wait_dscnt 0xc
	v_dual_mov_b32 v236, v185 :: v_dual_mov_b32 v237, v184
	s_wait_dscnt 0xb
	v_dual_mov_b32 v238, v189 :: v_dual_mov_b32 v239, v188
	;; [unrolled: 2-line block ×4, first 2 shown]
	s_wait_loadcnt_dscnt 0xd08
	v_dual_mul_f32 v7, v198, v131 :: v_dual_mul_f32 v9, v200, v133
	v_dual_mul_f32 v39, v199, v131 :: v_dual_mul_f32 v41, v201, v133
	s_wait_loadcnt_dscnt 0xc07
	v_dual_mul_f32 v11, v202, v135 :: v_dual_mul_f32 v13, v204, v137
	s_delay_alu instid0(VALU_DEP_3) | instskip(SKIP_3) | instid1(VALU_DEP_3)
	v_dual_fmac_f32 v7, v199, v130 :: v_dual_fmac_f32 v9, v201, v132
	s_wait_loadcnt_dscnt 0xa05
	v_dual_fma_f32 v39, v198, v130, -v39 :: v_dual_mul_f32 v51, v211, v143
	v_dual_mul_f32 v43, v203, v135 :: v_dual_mul_f32 v45, v205, v137
	v_dual_fma_f32 v41, v200, v132, -v41 :: v_dual_add_f32 v7, 0, v7
	s_delay_alu instid0(VALU_DEP_3) | instskip(SKIP_1) | instid1(VALU_DEP_3)
	v_dual_add_f32 v39, 0, v39 :: v_dual_mul_f32 v53, v213, v145
	v_dual_fmac_f32 v11, v203, v134 :: v_dual_fmac_f32 v13, v205, v136
	v_dual_fma_f32 v43, v202, v134, -v43 :: v_dual_add_f32 v7, v7, v9
	s_delay_alu instid0(VALU_DEP_3) | instskip(SKIP_2) | instid1(VALU_DEP_4)
	v_dual_add_f32 v9, v39, v41 :: v_dual_fma_f32 v41, v204, v136, -v45
	v_dual_mul_f32 v15, v206, v139 :: v_dual_mul_f32 v17, v208, v141
	v_dual_mul_f32 v47, v207, v139 :: v_dual_mul_f32 v49, v209, v141
	v_add_f32_e32 v7, v7, v11
	s_delay_alu instid0(VALU_DEP_3) | instskip(NEXT) | instid1(VALU_DEP_3)
	v_dual_add_f32 v9, v9, v43 :: v_dual_fmac_f32 v15, v207, v138
	v_fma_f32 v43, v206, v138, -v47
	v_dual_mul_f32 v19, v210, v143 :: v_dual_mul_f32 v21, v212, v145
	s_delay_alu instid0(VALU_DEP_4) | instskip(SKIP_2) | instid1(VALU_DEP_2)
	v_dual_add_f32 v7, v7, v13 :: v_dual_fmac_f32 v17, v209, v140
	s_wait_loadcnt_dscnt 0x802
	v_dual_add_f32 v9, v9, v41 :: v_dual_mul_f32 v13, v223, v151
	v_dual_fma_f32 v41, v208, v140, -v49 :: v_dual_add_f32 v7, v7, v15
	v_mul_f32_e32 v15, v225, v153
	s_delay_alu instid0(VALU_DEP_3) | instskip(NEXT) | instid1(VALU_DEP_3)
	v_dual_add_f32 v9, v9, v43 :: v_dual_fmac_f32 v19, v211, v142
	v_dual_fma_f32 v43, v210, v142, -v51 :: v_dual_add_f32 v7, v7, v17
	v_fmac_f32_e32 v21, v213, v144
	s_wait_loadcnt_dscnt 0x701
	s_delay_alu instid0(VALU_DEP_3) | instskip(SKIP_3) | instid1(VALU_DEP_3)
	v_dual_add_f32 v9, v9, v41 :: v_dual_mul_f32 v17, v227, v155
	v_dual_mul_f32 v23, v218, v147 :: v_dual_mul_f32 v25, v220, v149
	v_dual_mul_f32 v39, v219, v147 :: v_dual_mul_f32 v11, v221, v149
	v_dual_fma_f32 v41, v212, v144, -v53 :: v_dual_add_f32 v7, v7, v19
	v_dual_add_f32 v9, v9, v43 :: v_dual_fmac_f32 v23, v219, v146
	s_delay_alu instid0(VALU_DEP_3) | instskip(NEXT) | instid1(VALU_DEP_3)
	v_dual_mul_f32 v19, v229, v157 :: v_dual_fma_f32 v39, v218, v146, -v39
	v_dual_add_f32 v7, v7, v21 :: v_dual_fmac_f32 v25, v221, v148
	s_wait_loadcnt_dscnt 0x600
	s_delay_alu instid0(VALU_DEP_3) | instskip(SKIP_1) | instid1(VALU_DEP_3)
	v_dual_add_f32 v9, v9, v41 :: v_dual_mul_f32 v21, v231, v159
	v_dual_mul_f32 v27, v222, v151 :: v_dual_mul_f32 v29, v224, v153
	v_dual_fma_f32 v11, v220, v148, -v11 :: v_dual_add_f32 v7, v7, v23
	s_delay_alu instid0(VALU_DEP_2) | instskip(SKIP_1) | instid1(VALU_DEP_2)
	v_dual_add_f32 v9, v9, v39 :: v_dual_fmac_f32 v27, v223, v150
	v_dual_mul_f32 v23, v233, v161 :: v_dual_fma_f32 v13, v222, v150, -v13
	v_dual_add_f32 v7, v7, v25 :: v_dual_add_f32 v9, v9, v11
	v_dual_mul_f32 v31, v226, v155 :: v_dual_mul_f32 v33, v228, v157
	s_wait_loadcnt 0x5
	v_dual_mul_f32 v11, v215, v163 :: v_dual_fmac_f32 v29, v225, v152
	s_delay_alu instid0(VALU_DEP_3) | instskip(NEXT) | instid1(VALU_DEP_3)
	v_dual_fma_f32 v15, v224, v152, -v15 :: v_dual_add_f32 v7, v7, v27
	v_dual_add_f32 v9, v9, v13 :: v_dual_fmac_f32 v31, v227, v154
	v_dual_mul_f32 v13, v217, v165 :: v_dual_fma_f32 v17, v226, v154, -v17
	s_delay_alu instid0(VALU_DEP_2) | instskip(SKIP_2) | instid1(VALU_DEP_3)
	v_dual_add_f32 v7, v7, v29 :: v_dual_add_f32 v9, v9, v15
	v_dual_mul_f32 v35, v230, v159 :: v_dual_mul_f32 v37, v232, v161
	v_dual_fmac_f32 v33, v229, v156 :: v_dual_fma_f32 v15, v228, v156, -v19
	v_dual_add_f32 v7, v7, v31 :: v_dual_add_f32 v9, v9, v17
	s_wait_loadcnt 0x4
	s_delay_alu instid0(VALU_DEP_3) | instskip(NEXT) | instid1(VALU_DEP_2)
	v_dual_mov_b32 v132, v169 :: v_dual_fmac_f32 v35, v231, v158
	v_dual_fma_f32 v17, v230, v158, -v21 :: v_dual_add_f32 v7, v7, v33
	s_delay_alu instid0(VALU_DEP_3) | instskip(SKIP_1) | instid1(VALU_DEP_3)
	v_dual_add_f32 v9, v9, v15 :: v_dual_fma_f32 v15, v232, v160, -v23
	v_dual_mul_f32 v245, v214, v163 :: v_dual_mul_f32 v247, v216, v165
	v_dual_fmac_f32 v37, v233, v160 :: v_dual_add_f32 v7, v7, v35
	s_delay_alu instid0(VALU_DEP_2) | instskip(SKIP_3) | instid1(VALU_DEP_3)
	v_dual_add_f32 v9, v9, v17 :: v_dual_fmac_f32 v245, v215, v162
	v_pk_mul_f32 v[130:131], v[182:183], v[166:167] op_sel:[1,1] op_sel_hi:[0,1]
	s_wait_loadcnt 0x3
	v_dual_mov_b32 v136, v173 :: v_dual_fma_f32 v244, v214, v162, -v11
	v_dual_add_f32 v139, v7, v37 :: v_dual_add_f32 v138, v9, v15
	v_dual_fmac_f32 v247, v217, v164 :: v_dual_fma_f32 v246, v216, v164, -v13
	v_pk_fma_f32 v[140:141], v[182:183], v[166:167], v[130:131] op_sel_hi:[1,0,1]
	v_pk_mul_f32 v[132:133], v[236:237], v[132:133] op_sel_hi:[1,0]
	s_delay_alu instid0(VALU_DEP_4)
	v_pk_add_f32 v[138:139], v[138:139], v[244:245]
	v_pk_fma_f32 v[130:131], v[182:183], v[166:167], v[130:131] neg_lo:[0,0,1] neg_hi:[0,0,1]
	v_pk_mul_f32 v[134:135], v[186:187], v[170:171] op_sel:[1,1] op_sel_hi:[0,1]
	v_mov_b32_e32 v131, v141
	v_pk_fma_f32 v[140:141], v[184:185], v[168:169], v[132:133] op_sel_hi:[1,0,1]
	v_pk_add_f32 v[138:139], v[138:139], v[246:247]
	v_pk_fma_f32 v[132:133], v[184:185], v[168:169], v[132:133] neg_lo:[0,0,1] neg_hi:[0,0,1]
	v_pk_fma_f32 v[144:145], v[186:187], v[170:171], v[134:135] op_sel_hi:[1,0,1]
	v_pk_mul_f32 v[136:137], v[238:239], v[136:137] op_sel_hi:[1,0]
	v_mov_b32_e32 v133, v141
	v_pk_add_f32 v[130:131], v[138:139], v[130:131]
	s_wait_loadcnt 0x2
	v_pk_mul_f32 v[142:143], v[190:191], v[174:175] op_sel:[1,1] op_sel_hi:[0,1]
	v_mov_b32_e32 v138, v177
	v_pk_fma_f32 v[134:135], v[186:187], v[170:171], v[134:135] neg_lo:[0,0,1] neg_hi:[0,0,1]
	v_mov_b32_e32 v135, v145
	v_pk_fma_f32 v[140:141], v[188:189], v[172:173], v[136:137] op_sel_hi:[1,0,1]
	v_pk_add_f32 v[130:131], v[130:131], v[132:133]
	v_pk_fma_f32 v[132:133], v[190:191], v[174:175], v[142:143] op_sel_hi:[1,0,1]
	v_pk_mul_f32 v[138:139], v[240:241], v[138:139] op_sel_hi:[1,0]
	v_pk_fma_f32 v[136:137], v[188:189], v[172:173], v[136:137] neg_lo:[0,0,1] neg_hi:[0,0,1]
	v_mov_b32_e32 v137, v141
	v_pk_add_f32 v[130:131], v[130:131], v[134:135]
	v_pk_fma_f32 v[140:141], v[190:191], v[174:175], v[142:143] neg_lo:[0,0,1] neg_hi:[0,0,1]
	v_mov_b32_e32 v141, v133
	v_pk_fma_f32 v[132:133], v[192:193], v[176:177], v[138:139] op_sel_hi:[1,0,1]
	s_wait_loadcnt 0x1
	v_pk_mul_f32 v[134:135], v[194:195], v[178:179] op_sel:[1,1] op_sel_hi:[0,1]
	v_pk_add_f32 v[130:131], v[130:131], v[136:137]
	v_mov_b32_e32 v132, v181
	v_pk_fma_f32 v[138:139], v[192:193], v[176:177], v[138:139] neg_lo:[0,0,1] neg_hi:[0,0,1]
	v_mov_b32_e32 v139, v133
	v_pk_fma_f32 v[136:137], v[194:195], v[178:179], v[134:135] op_sel_hi:[1,0,1]
	v_pk_add_f32 v[130:131], v[130:131], v[140:141]
	v_pk_mul_f32 v[132:133], v[242:243], v[132:133] op_sel_hi:[1,0]
	v_pk_fma_f32 v[134:135], v[194:195], v[178:179], v[134:135] neg_lo:[0,0,1] neg_hi:[0,0,1]
	s_delay_alu instid0(VALU_DEP_4) | instskip(NEXT) | instid1(VALU_DEP_4)
	v_mov_b32_e32 v135, v137
	v_pk_add_f32 v[130:131], v[130:131], v[138:139]
	s_delay_alu instid0(VALU_DEP_4) | instskip(SKIP_1) | instid1(VALU_DEP_2)
	v_pk_fma_f32 v[136:137], v[196:197], v[180:181], v[132:133] op_sel_hi:[1,0,1]
	v_pk_fma_f32 v[132:133], v[196:197], v[180:181], v[132:133] neg_lo:[0,0,1] neg_hi:[0,0,1]
	v_mov_b32_e32 v133, v137
	s_delay_alu instid0(VALU_DEP_4) | instskip(NEXT) | instid1(VALU_DEP_1)
	v_pk_add_f32 v[130:131], v[130:131], v[134:135]
	v_pk_add_f32 v[130:131], v[130:131], v[132:133]
	s_wait_loadcnt 0x0
	s_delay_alu instid0(VALU_DEP_1)
	v_pk_add_f32 v[130:131], v[234:235], v[130:131] neg_lo:[0,1] neg_hi:[0,1]
	scratch_store_b64 off, v[130:131], off offset:296
	s_wait_xcnt 0x0
	v_cmpx_lt_u32_e32 36, v0
	s_cbranch_execz .LBB63_325
; %bb.324:
	scratch_load_b64 v[130:131], off, off offset:288
	v_mov_b64_e32 v[132:133], 0
	scratch_store_b64 off, v[132:133], off offset:288
	s_wait_loadcnt 0x0
	ds_store_b64 v1, v[130:131]
.LBB63_325:
	s_wait_xcnt 0x0
	s_or_b32 exec_lo, exec_lo, s0
	s_wait_storecnt_dscnt 0x0
	s_barrier_signal -1
	s_barrier_wait -1
	s_clause 0xe
	scratch_load_b128 v[130:133], off, off offset:296
	scratch_load_b128 v[134:137], off, off offset:312
	;; [unrolled: 1-line block ×13, first 2 shown]
	scratch_load_b64 v[234:235], off, off offset:504
	scratch_load_b64 v[236:237], off, off offset:288
	v_mov_b32_e32 v7, 0
	ds_load_2addr_b64 v[182:185], v7 offset0:119 offset1:120
	ds_load_2addr_b64 v[186:189], v7 offset0:121 offset1:122
	;; [unrolled: 1-line block ×13, first 2 shown]
	ds_load_b64 v[238:239], v7 offset:1016
	s_mov_b32 s0, exec_lo
	s_wait_dscnt 0xd
	v_dual_mov_b32 v240, v185 :: v_dual_mov_b32 v241, v184
	s_wait_dscnt 0xa
	v_dual_mov_b32 v242, v189 :: v_dual_mov_b32 v247, v196
	v_dual_mov_b32 v243, v188 :: v_dual_mov_b32 v244, v193
	;; [unrolled: 1-line block ×3, first 2 shown]
	s_wait_loadcnt_dscnt 0xe09
	v_dual_mul_f32 v9, v198, v131 :: v_dual_mul_f32 v43, v199, v131
	v_dual_mul_f32 v45, v201, v133 :: v_dual_mul_f32 v11, v200, v133
	s_wait_loadcnt_dscnt 0xd08
	v_mul_f32_e32 v13, v202, v135
	s_wait_loadcnt_dscnt 0xb05
	v_dual_mul_f32 v55, v215, v143 :: v_dual_fma_f32 v43, v198, v130, -v43
	v_dual_fmac_f32 v9, v199, v130 :: v_dual_mul_f32 v57, v217, v145
	v_dual_mul_f32 v47, v203, v135 :: v_dual_mul_f32 v49, v205, v137
	v_dual_fmac_f32 v11, v201, v132 :: v_dual_fma_f32 v45, v200, v132, -v45
	s_delay_alu instid0(VALU_DEP_3) | instskip(SKIP_3) | instid1(VALU_DEP_3)
	v_dual_add_f32 v9, 0, v9 :: v_dual_add_f32 v43, 0, v43
	v_dual_mul_f32 v15, v204, v137 :: v_dual_mul_f32 v17, v206, v139
	s_wait_loadcnt_dscnt 0xa04
	v_dual_mul_f32 v59, v219, v147 :: v_dual_fma_f32 v47, v202, v134, -v47
	v_dual_fmac_f32 v13, v203, v134 :: v_dual_add_f32 v9, v9, v11
	s_delay_alu instid0(VALU_DEP_3) | instskip(SKIP_2) | instid1(VALU_DEP_3)
	v_dual_add_f32 v11, v43, v45 :: v_dual_fmac_f32 v15, v205, v136
	v_dual_mul_f32 v51, v207, v139 :: v_dual_mul_f32 v53, v209, v141
	v_dual_mul_f32 v43, v221, v149 :: v_dual_fma_f32 v45, v204, v136, -v49
	v_dual_add_f32 v9, v9, v13 :: v_dual_add_f32 v11, v11, v47
	v_dual_mul_f32 v19, v208, v141 :: v_dual_mul_f32 v21, v214, v143
	s_wait_loadcnt_dscnt 0x903
	v_dual_mul_f32 v13, v223, v151 :: v_dual_fma_f32 v47, v206, v138, -v51
	s_delay_alu instid0(VALU_DEP_3) | instskip(NEXT) | instid1(VALU_DEP_3)
	v_dual_fmac_f32 v17, v207, v138 :: v_dual_add_f32 v9, v9, v15
	v_dual_add_f32 v11, v11, v45 :: v_dual_fmac_f32 v19, v209, v140
	v_dual_mul_f32 v15, v225, v153 :: v_dual_fma_f32 v45, v208, v140, -v53
	s_delay_alu instid0(VALU_DEP_2) | instskip(SKIP_3) | instid1(VALU_DEP_3)
	v_dual_add_f32 v9, v9, v17 :: v_dual_add_f32 v11, v11, v47
	v_dual_mul_f32 v23, v216, v145 :: v_dual_mul_f32 v25, v218, v147
	s_wait_loadcnt_dscnt 0x802
	v_dual_mul_f32 v17, v227, v155 :: v_dual_fma_f32 v47, v214, v142, -v55
	v_dual_fmac_f32 v21, v215, v142 :: v_dual_add_f32 v9, v9, v19
	s_delay_alu instid0(VALU_DEP_3) | instskip(SKIP_1) | instid1(VALU_DEP_2)
	v_dual_add_f32 v11, v11, v45 :: v_dual_fmac_f32 v23, v217, v144
	v_dual_mul_f32 v19, v229, v157 :: v_dual_fma_f32 v45, v216, v144, -v57
	v_dual_add_f32 v9, v9, v21 :: v_dual_add_f32 v11, v11, v47
	v_dual_mul_f32 v27, v220, v149 :: v_dual_mul_f32 v29, v222, v151
	s_wait_loadcnt_dscnt 0x701
	v_dual_mul_f32 v21, v231, v159 :: v_dual_fma_f32 v47, v218, v146, -v59
	s_delay_alu instid0(VALU_DEP_3) | instskip(NEXT) | instid1(VALU_DEP_3)
	v_dual_fmac_f32 v25, v219, v146 :: v_dual_add_f32 v9, v9, v23
	v_dual_add_f32 v11, v11, v45 :: v_dual_fmac_f32 v27, v221, v148
	v_dual_mul_f32 v23, v233, v161 :: v_dual_fma_f32 v43, v220, v148, -v43
	s_delay_alu instid0(VALU_DEP_2) | instskip(SKIP_3) | instid1(VALU_DEP_3)
	v_dual_add_f32 v9, v9, v25 :: v_dual_add_f32 v11, v11, v47
	v_dual_mul_f32 v31, v224, v153 :: v_dual_mul_f32 v33, v226, v155
	s_wait_loadcnt 0x6
	v_dual_mul_f32 v25, v211, v163 :: v_dual_fma_f32 v13, v222, v150, -v13
	v_dual_fmac_f32 v29, v223, v150 :: v_dual_add_f32 v9, v9, v27
	v_dual_add_f32 v11, v11, v43 :: v_dual_mul_f32 v27, v213, v165
	v_fmac_f32_e32 v31, v225, v152
	s_delay_alu instid0(VALU_DEP_3) | instskip(NEXT) | instid1(VALU_DEP_3)
	v_dual_fma_f32 v15, v224, v152, -v15 :: v_dual_add_f32 v9, v9, v29
	v_add_f32_e32 v11, v11, v13
	v_dual_mul_f32 v35, v228, v157 :: v_dual_mul_f32 v37, v230, v159
	s_wait_loadcnt 0x5
	v_dual_mul_f32 v13, v183, v167 :: v_dual_fma_f32 v17, v226, v154, -v17
	v_dual_fmac_f32 v33, v227, v154 :: v_dual_add_f32 v9, v9, v31
	v_dual_add_f32 v11, v11, v15 :: v_dual_mov_b32 v130, v169
	v_fmac_f32_e32 v35, v229, v156
	s_delay_alu instid0(VALU_DEP_3) | instskip(NEXT) | instid1(VALU_DEP_3)
	v_dual_fma_f32 v15, v228, v156, -v19 :: v_dual_add_f32 v9, v9, v33
	v_add_f32_e32 v11, v11, v17
	v_dual_mul_f32 v39, v232, v161 :: v_dual_mul_f32 v41, v210, v163
	s_delay_alu instid0(VALU_DEP_3) | instskip(NEXT) | instid1(VALU_DEP_3)
	v_dual_fmac_f32 v37, v231, v158 :: v_dual_add_f32 v9, v9, v35
	v_dual_fma_f32 v17, v230, v158, -v21 :: v_dual_add_f32 v11, v11, v15
	s_wait_loadcnt 0x4
	v_dual_mov_b32 v134, v173 :: v_dual_fma_f32 v15, v232, v160, -v23
	v_fmac_f32_e32 v39, v233, v160
	v_dual_add_f32 v9, v9, v37 :: v_dual_fmac_f32 v41, v211, v162
	v_add_f32_e32 v11, v11, v17
	v_dual_mul_f32 v249, v212, v165 :: v_dual_mul_f32 v251, v182, v167
	s_delay_alu instid0(VALU_DEP_3) | instskip(NEXT) | instid1(VALU_DEP_2)
	v_dual_fma_f32 v17, v210, v162, -v25 :: v_dual_add_f32 v9, v9, v39
	v_dual_add_f32 v11, v11, v15 :: v_dual_fmac_f32 v249, v213, v164
	v_fma_f32 v248, v212, v164, -v27
	v_pk_mul_f32 v[130:131], v[240:241], v[130:131] op_sel_hi:[1,0]
	s_delay_alu instid0(VALU_DEP_4)
	v_add_f32_e32 v139, v9, v41
	s_wait_loadcnt 0x3
	v_dual_add_f32 v138, v11, v17 :: v_dual_mov_b32 v140, v177
	v_pk_mul_f32 v[132:133], v[186:187], v[170:171] op_sel:[1,1] op_sel_hi:[0,1]
	v_dual_fmac_f32 v251, v183, v166 :: v_dual_fma_f32 v250, v182, v166, -v13
	v_pk_fma_f32 v[142:143], v[184:185], v[168:169], v[130:131] op_sel_hi:[1,0,1]
	s_delay_alu instid0(VALU_DEP_4)
	v_pk_add_f32 v[138:139], v[138:139], v[248:249]
	v_pk_fma_f32 v[130:131], v[184:185], v[168:169], v[130:131] neg_lo:[0,0,1] neg_hi:[0,0,1]
	v_pk_fma_f32 v[144:145], v[186:187], v[170:171], v[132:133] op_sel_hi:[1,0,1]
	v_pk_mul_f32 v[134:135], v[242:243], v[134:135] op_sel_hi:[1,0]
	v_mov_b32_e32 v131, v143
	v_pk_add_f32 v[138:139], v[138:139], v[250:251]
	v_pk_fma_f32 v[132:133], v[186:187], v[170:171], v[132:133] neg_lo:[0,0,1] neg_hi:[0,0,1]
	v_pk_mul_f32 v[136:137], v[190:191], v[174:175] op_sel:[1,1] op_sel_hi:[0,1]
	v_mov_b32_e32 v133, v145
	v_pk_fma_f32 v[144:145], v[188:189], v[172:173], v[134:135] op_sel_hi:[1,0,1]
	v_pk_add_f32 v[130:131], v[138:139], v[130:131]
	v_pk_fma_f32 v[134:135], v[188:189], v[172:173], v[134:135] neg_lo:[0,0,1] neg_hi:[0,0,1]
	v_pk_fma_f32 v[138:139], v[190:191], v[174:175], v[136:137] op_sel_hi:[1,0,1]
	v_pk_mul_f32 v[140:141], v[244:245], v[140:141] op_sel_hi:[1,0]
	v_mov_b32_e32 v135, v145
	v_pk_add_f32 v[130:131], v[130:131], v[132:133]
	v_pk_fma_f32 v[136:137], v[190:191], v[174:175], v[136:137] neg_lo:[0,0,1] neg_hi:[0,0,1]
	s_wait_loadcnt 0x2
	v_pk_mul_f32 v[142:143], v[194:195], v[178:179] op_sel:[1,1] op_sel_hi:[0,1]
	v_dual_mov_b32 v132, v181 :: v_dual_mov_b32 v137, v139
	v_pk_fma_f32 v[138:139], v[192:193], v[176:177], v[140:141] op_sel_hi:[1,0,1]
	v_pk_add_f32 v[130:131], v[130:131], v[134:135]
	v_pk_fma_f32 v[140:141], v[192:193], v[176:177], v[140:141] neg_lo:[0,0,1] neg_hi:[0,0,1]
	v_pk_fma_f32 v[134:135], v[194:195], v[178:179], v[142:143] op_sel_hi:[1,0,1]
	v_pk_mul_f32 v[132:133], v[246:247], v[132:133] op_sel_hi:[1,0]
	v_mov_b32_e32 v141, v139
	v_pk_add_f32 v[130:131], v[130:131], v[136:137]
	v_pk_fma_f32 v[136:137], v[194:195], v[178:179], v[142:143] neg_lo:[0,0,1] neg_hi:[0,0,1]
	v_mov_b32_e32 v137, v135
	v_pk_fma_f32 v[134:135], v[196:197], v[180:181], v[132:133] op_sel_hi:[1,0,1]
	s_wait_loadcnt_dscnt 0x100
	v_pk_mul_f32 v[138:139], v[238:239], v[234:235] op_sel:[1,1] op_sel_hi:[0,1]
	v_pk_add_f32 v[130:131], v[130:131], v[140:141]
	v_pk_fma_f32 v[132:133], v[196:197], v[180:181], v[132:133] neg_lo:[0,0,1] neg_hi:[0,0,1]
	v_mov_b32_e32 v133, v135
	s_delay_alu instid0(VALU_DEP_4) | instskip(NEXT) | instid1(VALU_DEP_4)
	v_pk_fma_f32 v[134:135], v[238:239], v[234:235], v[138:139] op_sel_hi:[1,0,1]
	v_pk_add_f32 v[130:131], v[130:131], v[136:137]
	v_pk_fma_f32 v[136:137], v[238:239], v[234:235], v[138:139] neg_lo:[0,0,1] neg_hi:[0,0,1]
	s_delay_alu instid0(VALU_DEP_3) | instskip(NEXT) | instid1(VALU_DEP_3)
	v_mov_b32_e32 v137, v135
	v_pk_add_f32 v[130:131], v[130:131], v[132:133]
	s_delay_alu instid0(VALU_DEP_1) | instskip(SKIP_1) | instid1(VALU_DEP_1)
	v_pk_add_f32 v[130:131], v[130:131], v[136:137]
	s_wait_loadcnt 0x0
	v_pk_add_f32 v[130:131], v[236:237], v[130:131] neg_lo:[0,1] neg_hi:[0,1]
	scratch_store_b64 off, v[130:131], off offset:288
	s_wait_xcnt 0x0
	v_cmpx_lt_u32_e32 35, v0
	s_cbranch_execz .LBB63_327
; %bb.326:
	scratch_load_b64 v[130:131], off, off offset:280
	v_mov_b64_e32 v[132:133], 0
	scratch_store_b64 off, v[132:133], off offset:280
	s_wait_loadcnt 0x0
	ds_store_b64 v1, v[130:131]
.LBB63_327:
	s_wait_xcnt 0x0
	s_or_b32 exec_lo, exec_lo, s0
	s_wait_storecnt_dscnt 0x0
	s_barrier_signal -1
	s_barrier_wait -1
	s_clause 0xe
	scratch_load_b128 v[130:133], off, off offset:288
	scratch_load_b128 v[134:137], off, off offset:304
	;; [unrolled: 1-line block ×14, first 2 shown]
	scratch_load_b64 v[242:243], off, off offset:280
	ds_load_b128 v[186:189], v7 offset:960
	ds_load_b128 v[190:193], v7 offset:976
	;; [unrolled: 1-line block ×14, first 2 shown]
	s_mov_b32 s0, exec_lo
	s_wait_dscnt 0xd
	v_dual_mov_b32 v244, v189 :: v_dual_mov_b32 v245, v188
	s_wait_dscnt 0xc
	v_dual_mov_b32 v246, v193 :: v_dual_mov_b32 v247, v192
	;; [unrolled: 2-line block ×4, first 2 shown]
	s_wait_loadcnt_dscnt 0xe09
	v_dual_mul_f32 v7, v202, v131 :: v_dual_mul_f32 v9, v204, v133
	v_dual_mul_f32 v43, v203, v131 :: v_dual_mul_f32 v45, v205, v133
	s_wait_loadcnt_dscnt 0xd08
	v_dual_mul_f32 v11, v206, v135 :: v_dual_mul_f32 v13, v208, v137
	s_delay_alu instid0(VALU_DEP_3) | instskip(SKIP_3) | instid1(VALU_DEP_3)
	v_dual_fmac_f32 v7, v203, v130 :: v_dual_fmac_f32 v9, v205, v132
	s_wait_loadcnt_dscnt 0xb06
	v_dual_fma_f32 v43, v202, v130, -v43 :: v_dual_mul_f32 v55, v215, v143
	v_dual_mul_f32 v47, v207, v135 :: v_dual_mul_f32 v49, v209, v137
	v_dual_fma_f32 v45, v204, v132, -v45 :: v_dual_add_f32 v7, 0, v7
	s_delay_alu instid0(VALU_DEP_3) | instskip(SKIP_1) | instid1(VALU_DEP_3)
	v_dual_add_f32 v43, 0, v43 :: v_dual_mul_f32 v57, v217, v145
	v_dual_fmac_f32 v11, v207, v134 :: v_dual_fmac_f32 v13, v209, v136
	v_dual_fma_f32 v47, v206, v134, -v47 :: v_dual_add_f32 v7, v7, v9
	s_delay_alu instid0(VALU_DEP_3) | instskip(SKIP_2) | instid1(VALU_DEP_4)
	v_dual_add_f32 v9, v43, v45 :: v_dual_fma_f32 v45, v208, v136, -v49
	v_dual_mul_f32 v15, v210, v139 :: v_dual_mul_f32 v17, v212, v141
	v_dual_mul_f32 v51, v211, v139 :: v_dual_mul_f32 v53, v213, v141
	v_add_f32_e32 v7, v7, v11
	s_delay_alu instid0(VALU_DEP_3) | instskip(NEXT) | instid1(VALU_DEP_3)
	v_dual_add_f32 v9, v9, v47 :: v_dual_fmac_f32 v15, v211, v138
	v_fma_f32 v47, v210, v138, -v51
	v_dual_mul_f32 v19, v214, v143 :: v_dual_mul_f32 v21, v216, v145
	s_delay_alu instid0(VALU_DEP_4) | instskip(SKIP_2) | instid1(VALU_DEP_2)
	v_dual_add_f32 v7, v7, v13 :: v_dual_fmac_f32 v17, v213, v140
	s_wait_loadcnt_dscnt 0x904
	v_dual_add_f32 v9, v9, v45 :: v_dual_mul_f32 v13, v223, v151
	v_dual_fma_f32 v45, v212, v140, -v53 :: v_dual_add_f32 v7, v7, v15
	v_mul_f32_e32 v15, v225, v153
	s_delay_alu instid0(VALU_DEP_3) | instskip(NEXT) | instid1(VALU_DEP_3)
	v_dual_add_f32 v9, v9, v47 :: v_dual_fmac_f32 v19, v215, v142
	v_dual_fma_f32 v47, v214, v142, -v55 :: v_dual_add_f32 v7, v7, v17
	v_fmac_f32_e32 v21, v217, v144
	s_wait_loadcnt_dscnt 0x803
	s_delay_alu instid0(VALU_DEP_3) | instskip(SKIP_3) | instid1(VALU_DEP_3)
	v_dual_add_f32 v9, v9, v45 :: v_dual_mul_f32 v17, v227, v155
	v_dual_mul_f32 v23, v218, v147 :: v_dual_mul_f32 v25, v220, v149
	v_dual_mul_f32 v43, v219, v147 :: v_dual_mul_f32 v11, v221, v149
	v_dual_fma_f32 v45, v216, v144, -v57 :: v_dual_add_f32 v7, v7, v19
	v_dual_add_f32 v9, v9, v47 :: v_dual_fmac_f32 v23, v219, v146
	s_delay_alu instid0(VALU_DEP_3) | instskip(NEXT) | instid1(VALU_DEP_3)
	v_dual_mul_f32 v19, v229, v157 :: v_dual_fma_f32 v43, v218, v146, -v43
	v_dual_add_f32 v7, v7, v21 :: v_dual_fmac_f32 v25, v221, v148
	s_wait_loadcnt_dscnt 0x702
	s_delay_alu instid0(VALU_DEP_3) | instskip(SKIP_1) | instid1(VALU_DEP_3)
	v_dual_add_f32 v9, v9, v45 :: v_dual_mul_f32 v21, v231, v159
	v_dual_mul_f32 v27, v222, v151 :: v_dual_mul_f32 v29, v224, v153
	v_dual_fma_f32 v11, v220, v148, -v11 :: v_dual_add_f32 v7, v7, v23
	s_delay_alu instid0(VALU_DEP_2) | instskip(SKIP_1) | instid1(VALU_DEP_2)
	v_dual_add_f32 v9, v9, v43 :: v_dual_fmac_f32 v27, v223, v150
	v_dual_mul_f32 v23, v233, v161 :: v_dual_fma_f32 v13, v222, v150, -v13
	v_dual_add_f32 v7, v7, v25 :: v_dual_add_f32 v9, v9, v11
	v_dual_mul_f32 v31, v226, v155 :: v_dual_mul_f32 v33, v228, v157
	s_wait_loadcnt_dscnt 0x601
	v_dual_mul_f32 v11, v235, v163 :: v_dual_fmac_f32 v29, v225, v152
	s_delay_alu instid0(VALU_DEP_3) | instskip(NEXT) | instid1(VALU_DEP_3)
	v_dual_fma_f32 v15, v224, v152, -v15 :: v_dual_add_f32 v7, v7, v27
	v_dual_add_f32 v9, v9, v13 :: v_dual_fmac_f32 v31, v227, v154
	v_dual_mul_f32 v13, v237, v165 :: v_dual_fma_f32 v17, v226, v154, -v17
	s_delay_alu instid0(VALU_DEP_2) | instskip(SKIP_3) | instid1(VALU_DEP_3)
	v_dual_add_f32 v7, v7, v29 :: v_dual_add_f32 v9, v9, v15
	v_dual_mul_f32 v35, v230, v159 :: v_dual_mul_f32 v37, v232, v161
	s_wait_loadcnt_dscnt 0x500
	v_dual_mul_f32 v15, v239, v167 :: v_dual_fmac_f32 v33, v229, v156
	v_dual_fma_f32 v19, v228, v156, -v19 :: v_dual_add_f32 v7, v7, v31
	s_delay_alu instid0(VALU_DEP_3) | instskip(SKIP_1) | instid1(VALU_DEP_2)
	v_dual_add_f32 v9, v9, v17 :: v_dual_fmac_f32 v35, v231, v158
	v_dual_mul_f32 v17, v241, v169 :: v_dual_fma_f32 v21, v230, v158, -v21
	v_dual_add_f32 v7, v7, v33 :: v_dual_add_f32 v9, v9, v19
	v_dual_mul_f32 v39, v234, v163 :: v_dual_mul_f32 v41, v236, v165
	v_dual_fmac_f32 v37, v233, v160 :: v_dual_fma_f32 v19, v232, v160, -v23
	s_delay_alu instid0(VALU_DEP_3) | instskip(SKIP_1) | instid1(VALU_DEP_3)
	v_dual_add_f32 v7, v7, v35 :: v_dual_add_f32 v9, v9, v21
	s_wait_loadcnt 0x4
	v_dual_mov_b32 v132, v173 :: v_dual_fmac_f32 v39, v235, v162
	s_delay_alu instid0(VALU_DEP_2) | instskip(NEXT) | instid1(VALU_DEP_3)
	v_dual_fma_f32 v11, v234, v162, -v11 :: v_dual_add_f32 v7, v7, v37
	v_dual_add_f32 v9, v9, v19 :: v_dual_fma_f32 v13, v236, v164, -v13
	v_dual_mul_f32 v253, v238, v167 :: v_dual_mul_f32 v255, v240, v169
	s_delay_alu instid0(VALU_DEP_3) | instskip(NEXT) | instid1(VALU_DEP_2)
	v_dual_fmac_f32 v41, v237, v164 :: v_dual_add_f32 v7, v7, v39
	v_dual_add_f32 v9, v9, v11 :: v_dual_fmac_f32 v253, v239, v166
	v_pk_mul_f32 v[130:131], v[186:187], v[170:171] op_sel:[1,1] op_sel_hi:[0,1]
	s_wait_loadcnt 0x3
	v_dual_mov_b32 v136, v177 :: v_dual_fma_f32 v252, v238, v166, -v15
	v_dual_add_f32 v139, v7, v41 :: v_dual_fmac_f32 v255, v241, v168
	v_dual_add_f32 v138, v9, v13 :: v_dual_fma_f32 v254, v240, v168, -v17
	v_pk_fma_f32 v[140:141], v[186:187], v[170:171], v[130:131] op_sel_hi:[1,0,1]
	v_pk_mul_f32 v[132:133], v[244:245], v[132:133] op_sel_hi:[1,0]
	v_pk_fma_f32 v[130:131], v[186:187], v[170:171], v[130:131] neg_lo:[0,0,1] neg_hi:[0,0,1]
	s_delay_alu instid0(VALU_DEP_4)
	v_pk_add_f32 v[138:139], v[138:139], v[252:253]
	v_pk_mul_f32 v[134:135], v[190:191], v[174:175] op_sel:[1,1] op_sel_hi:[0,1]
	v_mov_b32_e32 v131, v141
	v_pk_fma_f32 v[140:141], v[188:189], v[172:173], v[132:133] op_sel_hi:[1,0,1]
	v_pk_fma_f32 v[132:133], v[188:189], v[172:173], v[132:133] neg_lo:[0,0,1] neg_hi:[0,0,1]
	v_pk_add_f32 v[138:139], v[138:139], v[254:255]
	v_pk_fma_f32 v[144:145], v[190:191], v[174:175], v[134:135] op_sel_hi:[1,0,1]
	v_pk_mul_f32 v[136:137], v[246:247], v[136:137] op_sel_hi:[1,0]
	v_mov_b32_e32 v133, v141
	s_wait_loadcnt 0x2
	v_pk_mul_f32 v[142:143], v[194:195], v[178:179] op_sel:[1,1] op_sel_hi:[0,1]
	v_pk_add_f32 v[130:131], v[138:139], v[130:131]
	v_mov_b32_e32 v138, v181
	v_pk_fma_f32 v[134:135], v[190:191], v[174:175], v[134:135] neg_lo:[0,0,1] neg_hi:[0,0,1]
	v_mov_b32_e32 v135, v145
	v_pk_fma_f32 v[140:141], v[192:193], v[176:177], v[136:137] op_sel_hi:[1,0,1]
	v_pk_add_f32 v[130:131], v[130:131], v[132:133]
	v_pk_fma_f32 v[132:133], v[194:195], v[178:179], v[142:143] op_sel_hi:[1,0,1]
	v_pk_mul_f32 v[138:139], v[248:249], v[138:139] op_sel_hi:[1,0]
	v_pk_fma_f32 v[136:137], v[192:193], v[176:177], v[136:137] neg_lo:[0,0,1] neg_hi:[0,0,1]
	v_mov_b32_e32 v137, v141
	v_pk_add_f32 v[130:131], v[130:131], v[134:135]
	v_pk_fma_f32 v[140:141], v[194:195], v[178:179], v[142:143] neg_lo:[0,0,1] neg_hi:[0,0,1]
	v_mov_b32_e32 v141, v133
	v_pk_fma_f32 v[132:133], v[196:197], v[180:181], v[138:139] op_sel_hi:[1,0,1]
	s_wait_loadcnt 0x1
	v_pk_mul_f32 v[134:135], v[198:199], v[182:183] op_sel:[1,1] op_sel_hi:[0,1]
	v_pk_add_f32 v[130:131], v[130:131], v[136:137]
	v_mov_b32_e32 v132, v185
	v_pk_fma_f32 v[138:139], v[196:197], v[180:181], v[138:139] neg_lo:[0,0,1] neg_hi:[0,0,1]
	v_mov_b32_e32 v139, v133
	v_pk_fma_f32 v[136:137], v[198:199], v[182:183], v[134:135] op_sel_hi:[1,0,1]
	v_pk_add_f32 v[130:131], v[130:131], v[140:141]
	v_pk_mul_f32 v[132:133], v[250:251], v[132:133] op_sel_hi:[1,0]
	v_pk_fma_f32 v[134:135], v[198:199], v[182:183], v[134:135] neg_lo:[0,0,1] neg_hi:[0,0,1]
	s_delay_alu instid0(VALU_DEP_4) | instskip(NEXT) | instid1(VALU_DEP_4)
	v_mov_b32_e32 v135, v137
	v_pk_add_f32 v[130:131], v[130:131], v[138:139]
	s_delay_alu instid0(VALU_DEP_4) | instskip(SKIP_1) | instid1(VALU_DEP_2)
	v_pk_fma_f32 v[136:137], v[200:201], v[184:185], v[132:133] op_sel_hi:[1,0,1]
	v_pk_fma_f32 v[132:133], v[200:201], v[184:185], v[132:133] neg_lo:[0,0,1] neg_hi:[0,0,1]
	v_mov_b32_e32 v133, v137
	s_delay_alu instid0(VALU_DEP_4) | instskip(NEXT) | instid1(VALU_DEP_1)
	v_pk_add_f32 v[130:131], v[130:131], v[134:135]
	v_pk_add_f32 v[130:131], v[130:131], v[132:133]
	s_wait_loadcnt 0x0
	s_delay_alu instid0(VALU_DEP_1)
	v_pk_add_f32 v[130:131], v[242:243], v[130:131] neg_lo:[0,1] neg_hi:[0,1]
	scratch_store_b64 off, v[130:131], off offset:280
	s_wait_xcnt 0x0
	v_cmpx_lt_u32_e32 34, v0
	s_cbranch_execz .LBB63_329
; %bb.328:
	scratch_load_b64 v[130:131], off, off offset:272
	v_mov_b64_e32 v[132:133], 0
	scratch_store_b64 off, v[132:133], off offset:272
	s_wait_loadcnt 0x0
	ds_store_b64 v1, v[130:131]
.LBB63_329:
	s_wait_xcnt 0x0
	s_or_b32 exec_lo, exec_lo, s0
	s_wait_storecnt_dscnt 0x0
	s_barrier_signal -1
	s_barrier_wait -1
	s_clause 0xf
	scratch_load_b128 v[130:133], off, off offset:280
	scratch_load_b128 v[134:137], off, off offset:296
	;; [unrolled: 1-line block ×14, first 2 shown]
	scratch_load_b64 v[242:243], off, off offset:504
	scratch_load_b64 v[244:245], off, off offset:272
	v_mov_b32_e32 v7, 0
	ds_load_2addr_b64 v[186:189], v7 offset0:119 offset1:120
	ds_load_2addr_b64 v[190:193], v7 offset0:121 offset1:122
	;; [unrolled: 1-line block ×14, first 2 shown]
	ds_load_b64 v[246:247], v7 offset:1016
	s_mov_b32 s0, exec_lo
	s_wait_dscnt 0xe
	v_dual_mov_b32 v248, v189 :: v_dual_mov_b32 v249, v188
	s_wait_dscnt 0xb
	v_dual_mov_b32 v250, v193 :: v_dual_mov_b32 v255, v200
	v_dual_mov_b32 v251, v192 :: v_dual_mov_b32 v252, v197
	;; [unrolled: 1-line block ×3, first 2 shown]
	s_wait_loadcnt_dscnt 0xf0a
	v_dual_mul_f32 v9, v202, v131 :: v_dual_mul_f32 v47, v203, v131
	v_dual_mul_f32 v49, v205, v133 :: v_dual_mul_f32 v11, v204, v133
	s_wait_loadcnt_dscnt 0xe09
	v_mul_f32_e32 v13, v206, v135
	s_wait_loadcnt_dscnt 0xc07
	v_dual_mul_f32 v59, v215, v143 :: v_dual_fma_f32 v47, v202, v130, -v47
	v_dual_fmac_f32 v9, v203, v130 :: v_dual_mul_f32 v61, v217, v145
	v_dual_mul_f32 v51, v207, v135 :: v_dual_mul_f32 v53, v209, v137
	v_dual_fmac_f32 v11, v205, v132 :: v_dual_fma_f32 v49, v204, v132, -v49
	s_delay_alu instid0(VALU_DEP_3) | instskip(SKIP_3) | instid1(VALU_DEP_3)
	v_dual_add_f32 v9, 0, v9 :: v_dual_add_f32 v47, 0, v47
	v_dual_mul_f32 v15, v208, v137 :: v_dual_mul_f32 v17, v210, v139
	s_wait_loadcnt_dscnt 0xb06
	v_dual_mul_f32 v63, v219, v147 :: v_dual_fma_f32 v51, v206, v134, -v51
	v_dual_fmac_f32 v13, v207, v134 :: v_dual_add_f32 v9, v9, v11
	s_delay_alu instid0(VALU_DEP_3) | instskip(SKIP_2) | instid1(VALU_DEP_3)
	v_dual_add_f32 v11, v47, v49 :: v_dual_fmac_f32 v15, v209, v136
	v_dual_mul_f32 v55, v211, v139 :: v_dual_mul_f32 v57, v213, v141
	v_dual_mul_f32 v47, v221, v149 :: v_dual_fma_f32 v49, v208, v136, -v53
	v_dual_add_f32 v9, v9, v13 :: v_dual_add_f32 v11, v11, v51
	v_dual_mul_f32 v19, v212, v141 :: v_dual_mul_f32 v21, v214, v143
	s_wait_loadcnt_dscnt 0xa05
	v_dual_mul_f32 v13, v223, v151 :: v_dual_fma_f32 v51, v210, v138, -v55
	s_delay_alu instid0(VALU_DEP_3) | instskip(NEXT) | instid1(VALU_DEP_3)
	v_dual_fmac_f32 v17, v211, v138 :: v_dual_add_f32 v9, v9, v15
	v_dual_add_f32 v11, v11, v49 :: v_dual_fmac_f32 v19, v213, v140
	v_dual_mul_f32 v15, v225, v153 :: v_dual_fma_f32 v49, v212, v140, -v57
	s_delay_alu instid0(VALU_DEP_2) | instskip(SKIP_3) | instid1(VALU_DEP_3)
	v_dual_add_f32 v9, v9, v17 :: v_dual_add_f32 v11, v11, v51
	v_dual_mul_f32 v23, v216, v145 :: v_dual_mul_f32 v25, v218, v147
	s_wait_loadcnt_dscnt 0x904
	v_dual_mul_f32 v17, v227, v155 :: v_dual_fma_f32 v51, v214, v142, -v59
	v_dual_fmac_f32 v21, v215, v142 :: v_dual_add_f32 v9, v9, v19
	s_delay_alu instid0(VALU_DEP_3) | instskip(SKIP_1) | instid1(VALU_DEP_2)
	v_dual_add_f32 v11, v11, v49 :: v_dual_fmac_f32 v23, v217, v144
	v_dual_mul_f32 v19, v229, v157 :: v_dual_fma_f32 v49, v216, v144, -v61
	v_dual_add_f32 v9, v9, v21 :: v_dual_add_f32 v11, v11, v51
	v_dual_mul_f32 v27, v220, v149 :: v_dual_mul_f32 v29, v222, v151
	s_wait_loadcnt_dscnt 0x803
	v_dual_mul_f32 v21, v231, v159 :: v_dual_fma_f32 v51, v218, v146, -v63
	s_delay_alu instid0(VALU_DEP_3) | instskip(NEXT) | instid1(VALU_DEP_3)
	v_dual_fmac_f32 v25, v219, v146 :: v_dual_add_f32 v9, v9, v23
	v_dual_add_f32 v11, v11, v49 :: v_dual_fmac_f32 v27, v221, v148
	v_dual_mul_f32 v23, v233, v161 :: v_dual_fma_f32 v47, v220, v148, -v47
	s_delay_alu instid0(VALU_DEP_2) | instskip(SKIP_3) | instid1(VALU_DEP_3)
	v_dual_add_f32 v9, v9, v25 :: v_dual_add_f32 v11, v11, v51
	v_dual_mul_f32 v31, v224, v153 :: v_dual_mul_f32 v33, v226, v155
	s_wait_loadcnt_dscnt 0x702
	v_dual_mul_f32 v25, v235, v163 :: v_dual_fma_f32 v13, v222, v150, -v13
	v_dual_fmac_f32 v29, v223, v150 :: v_dual_add_f32 v9, v9, v27
	v_dual_add_f32 v11, v11, v47 :: v_dual_mul_f32 v27, v237, v165
	v_fmac_f32_e32 v31, v225, v152
	s_delay_alu instid0(VALU_DEP_3) | instskip(NEXT) | instid1(VALU_DEP_3)
	v_dual_fma_f32 v15, v224, v152, -v15 :: v_dual_add_f32 v9, v9, v29
	v_add_f32_e32 v11, v11, v13
	v_dual_mul_f32 v35, v228, v157 :: v_dual_mul_f32 v37, v230, v159
	s_wait_loadcnt_dscnt 0x601
	v_dual_mul_f32 v13, v239, v167 :: v_dual_fma_f32 v17, v226, v154, -v17
	v_dual_fmac_f32 v33, v227, v154 :: v_dual_add_f32 v9, v9, v31
	v_dual_add_f32 v11, v11, v15 :: v_dual_mul_f32 v15, v241, v169
	v_fmac_f32_e32 v35, v229, v156
	s_delay_alu instid0(VALU_DEP_3) | instskip(NEXT) | instid1(VALU_DEP_3)
	v_dual_fma_f32 v19, v228, v156, -v19 :: v_dual_add_f32 v9, v9, v33
	v_add_f32_e32 v11, v11, v17
	v_dual_mul_f32 v39, v232, v161 :: v_dual_mul_f32 v41, v234, v163
	s_wait_loadcnt 0x5
	v_dual_mul_f32 v17, v187, v171 :: v_dual_fma_f32 v21, v230, v158, -v21
	v_dual_fmac_f32 v37, v231, v158 :: v_dual_add_f32 v9, v9, v35
	v_dual_add_f32 v11, v11, v19 :: v_dual_mov_b32 v130, v173
	v_fmac_f32_e32 v39, v233, v160
	s_delay_alu instid0(VALU_DEP_3) | instskip(NEXT) | instid1(VALU_DEP_3)
	v_dual_fma_f32 v19, v232, v160, -v23 :: v_dual_add_f32 v9, v9, v37
	v_add_f32_e32 v11, v11, v21
	v_dual_mul_f32 v43, v236, v165 :: v_dual_mul_f32 v45, v238, v167
	s_delay_alu instid0(VALU_DEP_3) | instskip(NEXT) | instid1(VALU_DEP_3)
	v_dual_fmac_f32 v41, v235, v162 :: v_dual_add_f32 v9, v9, v39
	v_dual_fma_f32 v21, v234, v162, -v25 :: v_dual_add_f32 v11, v11, v19
	s_wait_loadcnt 0x4
	v_dual_mov_b32 v134, v177 :: v_dual_fma_f32 v19, v236, v164, -v27
	v_fmac_f32_e32 v43, v237, v164
	v_dual_add_f32 v9, v9, v41 :: v_dual_fmac_f32 v45, v239, v166
	v_add_f32_e32 v11, v11, v21
	s_set_vgpr_msb 64                       ;  msbs: dst=1 src0=0 src1=0 src2=0
	v_dual_mul_f32 v1 /*v257*/, v240, v169 :: v_dual_mul_f32 v3 /*v259*/, v186, v171
	s_set_vgpr_msb 0                        ;  msbs: dst=0 src0=0 src1=0 src2=0
	v_dual_fma_f32 v13, v238, v166, -v13 :: v_dual_add_f32 v9, v9, v43
	v_add_f32_e32 v11, v11, v19
	s_set_vgpr_msb 64                       ;  msbs: dst=1 src0=0 src1=0 src2=0
	v_dual_fmac_f32 v1 /*v257*/, v241, v168 :: v_dual_fmac_f32 v3 /*v259*/, v187, v170
	v_dual_fma_f32 v0 /*v256*/, v240, v168, -v15 :: v_dual_fma_f32 v2 /*v258*/, v186, v170, -v17
	s_set_vgpr_msb 0                        ;  msbs: dst=0 src0=0 src1=0 src2=0
	v_pk_mul_f32 v[130:131], v[248:249], v[130:131] op_sel_hi:[1,0]
	v_add_f32_e32 v139, v9, v45
	s_wait_loadcnt 0x3
	v_dual_add_f32 v138, v11, v13 :: v_dual_mov_b32 v140, v181
	v_pk_mul_f32 v[132:133], v[190:191], v[174:175] op_sel:[1,1] op_sel_hi:[0,1]
	v_pk_fma_f32 v[142:143], v[188:189], v[172:173], v[130:131] op_sel_hi:[1,0,1]
	v_pk_fma_f32 v[130:131], v[188:189], v[172:173], v[130:131] neg_lo:[0,0,1] neg_hi:[0,0,1]
	s_set_vgpr_msb 4                        ;  msbs: dst=0 src0=0 src1=1 src2=0
	v_pk_add_f32 v[138:139], v[138:139], v[0:1] /*v[256:257]*/
	s_set_vgpr_msb 0                        ;  msbs: dst=0 src0=0 src1=0 src2=0
	v_pk_mul_f32 v[134:135], v[250:251], v[134:135] op_sel_hi:[1,0]
	v_pk_fma_f32 v[144:145], v[190:191], v[174:175], v[132:133] op_sel_hi:[1,0,1]
	v_mov_b32_e32 v131, v143
	v_pk_fma_f32 v[132:133], v[190:191], v[174:175], v[132:133] neg_lo:[0,0,1] neg_hi:[0,0,1]
	s_set_vgpr_msb 4                        ;  msbs: dst=0 src0=0 src1=1 src2=0
	v_pk_add_f32 v[138:139], v[138:139], v[2:3] /*v[258:259]*/
	s_set_vgpr_msb 0                        ;  msbs: dst=0 src0=0 src1=0 src2=0
	v_pk_mul_f32 v[136:137], v[194:195], v[178:179] op_sel:[1,1] op_sel_hi:[0,1]
	v_mov_b32_e32 v133, v145
	v_pk_fma_f32 v[144:145], v[192:193], v[176:177], v[134:135] op_sel_hi:[1,0,1]
	v_pk_fma_f32 v[134:135], v[192:193], v[176:177], v[134:135] neg_lo:[0,0,1] neg_hi:[0,0,1]
	v_pk_add_f32 v[130:131], v[138:139], v[130:131]
	v_pk_fma_f32 v[138:139], v[194:195], v[178:179], v[136:137] op_sel_hi:[1,0,1]
	v_pk_mul_f32 v[140:141], v[252:253], v[140:141] op_sel_hi:[1,0]
	v_mov_b32_e32 v135, v145
	v_pk_fma_f32 v[136:137], v[194:195], v[178:179], v[136:137] neg_lo:[0,0,1] neg_hi:[0,0,1]
	v_pk_add_f32 v[130:131], v[130:131], v[132:133]
	s_wait_loadcnt 0x2
	v_pk_mul_f32 v[142:143], v[198:199], v[182:183] op_sel:[1,1] op_sel_hi:[0,1]
	v_dual_mov_b32 v132, v185 :: v_dual_mov_b32 v137, v139
	v_pk_fma_f32 v[138:139], v[196:197], v[180:181], v[140:141] op_sel_hi:[1,0,1]
	v_pk_add_f32 v[130:131], v[130:131], v[134:135]
	v_pk_fma_f32 v[140:141], v[196:197], v[180:181], v[140:141] neg_lo:[0,0,1] neg_hi:[0,0,1]
	v_pk_fma_f32 v[134:135], v[198:199], v[182:183], v[142:143] op_sel_hi:[1,0,1]
	v_pk_mul_f32 v[132:133], v[254:255], v[132:133] op_sel_hi:[1,0]
	v_mov_b32_e32 v141, v139
	v_pk_add_f32 v[130:131], v[130:131], v[136:137]
	v_pk_fma_f32 v[136:137], v[198:199], v[182:183], v[142:143] neg_lo:[0,0,1] neg_hi:[0,0,1]
	v_mov_b32_e32 v137, v135
	v_pk_fma_f32 v[134:135], v[200:201], v[184:185], v[132:133] op_sel_hi:[1,0,1]
	s_wait_loadcnt_dscnt 0x100
	v_pk_mul_f32 v[138:139], v[246:247], v[242:243] op_sel:[1,1] op_sel_hi:[0,1]
	v_pk_add_f32 v[130:131], v[130:131], v[140:141]
	v_pk_fma_f32 v[132:133], v[200:201], v[184:185], v[132:133] neg_lo:[0,0,1] neg_hi:[0,0,1]
	v_mov_b32_e32 v133, v135
	s_delay_alu instid0(VALU_DEP_4) | instskip(NEXT) | instid1(VALU_DEP_4)
	v_pk_fma_f32 v[134:135], v[246:247], v[242:243], v[138:139] op_sel_hi:[1,0,1]
	v_pk_add_f32 v[130:131], v[130:131], v[136:137]
	v_pk_fma_f32 v[136:137], v[246:247], v[242:243], v[138:139] neg_lo:[0,0,1] neg_hi:[0,0,1]
	s_delay_alu instid0(VALU_DEP_3) | instskip(NEXT) | instid1(VALU_DEP_3)
	v_mov_b32_e32 v137, v135
	v_pk_add_f32 v[130:131], v[130:131], v[132:133]
	s_delay_alu instid0(VALU_DEP_1) | instskip(SKIP_1) | instid1(VALU_DEP_1)
	v_pk_add_f32 v[130:131], v[130:131], v[136:137]
	s_wait_loadcnt 0x0
	v_pk_add_f32 v[130:131], v[244:245], v[130:131] neg_lo:[0,1] neg_hi:[0,1]
	scratch_store_b64 off, v[130:131], off offset:272
	s_wait_xcnt 0x0
	v_cmpx_lt_u32_e32 33, v0
	s_cbranch_execz .LBB63_331
; %bb.330:
	scratch_load_b64 v[130:131], off, off offset:264
	v_mov_b64_e32 v[132:133], 0
	scratch_store_b64 off, v[132:133], off offset:264
	s_wait_loadcnt 0x0
	ds_store_b64 v1, v[130:131]
.LBB63_331:
	s_wait_xcnt 0x0
	s_or_b32 exec_lo, exec_lo, s0
	s_wait_storecnt_dscnt 0x0
	s_barrier_signal -1
	s_barrier_wait -1
	s_clause 0xf
	scratch_load_b128 v[130:133], off, off offset:272
	scratch_load_b128 v[134:137], off, off offset:288
	scratch_load_b128 v[138:141], off, off offset:304
	scratch_load_b128 v[142:145], off, off offset:320
	scratch_load_b128 v[146:149], off, off offset:336
	scratch_load_b128 v[150:153], off, off offset:352
	scratch_load_b128 v[154:157], off, off offset:368
	scratch_load_b128 v[158:161], off, off offset:384
	scratch_load_b128 v[162:165], off, off offset:400
	scratch_load_b128 v[166:169], off, off offset:416
	scratch_load_b128 v[170:173], off, off offset:432
	scratch_load_b128 v[174:177], off, off offset:448
	scratch_load_b128 v[178:181], off, off offset:464
	scratch_load_b128 v[182:185], off, off offset:480
	scratch_load_b128 v[186:189], off, off offset:496
	scratch_load_b64 v[250:251], off, off offset:264
	ds_load_b128 v[190:193], v7 offset:960
	ds_load_b128 v[194:197], v7 offset:976
	ds_load_b128 v[198:201], v7 offset:992
	ds_load_b128 v[202:205], v7 offset:1008
	ds_load_b128 v[206:209], v7 offset:784
	ds_load_b128 v[210:213], v7 offset:800
	ds_load_b128 v[214:217], v7 offset:944
	ds_load_b128 v[218:221], v7 offset:816
	ds_load_b128 v[222:225], v7 offset:832
	ds_load_b128 v[226:229], v7 offset:848
	ds_load_b128 v[230:233], v7 offset:864
	ds_load_b128 v[234:237], v7 offset:880
	ds_load_b128 v[238:241], v7 offset:896
	ds_load_b128 v[242:245], v7 offset:912
	ds_load_b128 v[246:249], v7 offset:928
	s_mov_b32 s0, exec_lo
	s_wait_dscnt 0xe
	v_dual_mov_b32 v252, v193 :: v_dual_mov_b32 v253, v192
	s_wait_dscnt 0xd
	v_dual_mov_b32 v254, v197 :: v_dual_mov_b32 v255, v196
	s_wait_dscnt 0xc
	s_set_vgpr_msb 64                       ;  msbs: dst=1 src0=0 src1=0 src2=0
	v_dual_mov_b32 v0 /*v256*/, v201 :: v_dual_mov_b32 v1 /*v257*/, v200
	s_wait_dscnt 0xb
	v_dual_mov_b32 v2 /*v258*/, v205 :: v_dual_mov_b32 v3 /*v259*/, v204
	s_wait_loadcnt_dscnt 0xf0a
	s_set_vgpr_msb 0                        ;  msbs: dst=0 src0=0 src1=0 src2=0
	v_dual_mul_f32 v7, v206, v131 :: v_dual_mul_f32 v9, v208, v133
	v_dual_mul_f32 v47, v207, v131 :: v_dual_mul_f32 v49, v209, v133
	s_wait_loadcnt_dscnt 0xe09
	v_dual_mul_f32 v11, v210, v135 :: v_dual_mul_f32 v13, v212, v137
	s_delay_alu instid0(VALU_DEP_3) | instskip(SKIP_3) | instid1(VALU_DEP_3)
	v_dual_fmac_f32 v7, v207, v130 :: v_dual_fmac_f32 v9, v209, v132
	s_wait_loadcnt_dscnt 0xc06
	v_dual_fma_f32 v47, v206, v130, -v47 :: v_dual_mul_f32 v59, v223, v143
	v_dual_mul_f32 v51, v211, v135 :: v_dual_mul_f32 v53, v213, v137
	v_dual_fma_f32 v49, v208, v132, -v49 :: v_dual_add_f32 v7, 0, v7
	s_delay_alu instid0(VALU_DEP_3) | instskip(SKIP_1) | instid1(VALU_DEP_3)
	v_dual_add_f32 v47, 0, v47 :: v_dual_mul_f32 v61, v225, v145
	v_dual_fmac_f32 v11, v211, v134 :: v_dual_fmac_f32 v13, v213, v136
	v_dual_fma_f32 v51, v210, v134, -v51 :: v_dual_add_f32 v7, v7, v9
	s_delay_alu instid0(VALU_DEP_3) | instskip(SKIP_2) | instid1(VALU_DEP_4)
	v_dual_add_f32 v9, v47, v49 :: v_dual_fma_f32 v49, v212, v136, -v53
	v_dual_mul_f32 v15, v218, v139 :: v_dual_mul_f32 v17, v220, v141
	v_dual_mul_f32 v55, v219, v139 :: v_dual_mul_f32 v57, v221, v141
	v_add_f32_e32 v7, v7, v11
	s_delay_alu instid0(VALU_DEP_3) | instskip(NEXT) | instid1(VALU_DEP_3)
	v_dual_add_f32 v9, v9, v51 :: v_dual_fmac_f32 v15, v219, v138
	v_fma_f32 v51, v218, v138, -v55
	v_dual_mul_f32 v19, v222, v143 :: v_dual_mul_f32 v21, v224, v145
	s_delay_alu instid0(VALU_DEP_4) | instskip(SKIP_2) | instid1(VALU_DEP_2)
	v_dual_add_f32 v7, v7, v13 :: v_dual_fmac_f32 v17, v221, v140
	s_wait_loadcnt_dscnt 0xa04
	v_dual_add_f32 v9, v9, v49 :: v_dual_mul_f32 v13, v231, v151
	v_dual_fma_f32 v49, v220, v140, -v57 :: v_dual_add_f32 v7, v7, v15
	v_mul_f32_e32 v15, v233, v153
	s_delay_alu instid0(VALU_DEP_3) | instskip(NEXT) | instid1(VALU_DEP_3)
	v_dual_add_f32 v9, v9, v51 :: v_dual_fmac_f32 v19, v223, v142
	v_dual_fma_f32 v51, v222, v142, -v59 :: v_dual_add_f32 v7, v7, v17
	v_fmac_f32_e32 v21, v225, v144
	s_wait_loadcnt_dscnt 0x903
	s_delay_alu instid0(VALU_DEP_3) | instskip(SKIP_3) | instid1(VALU_DEP_3)
	v_dual_add_f32 v9, v9, v49 :: v_dual_mul_f32 v17, v235, v155
	v_dual_mul_f32 v23, v226, v147 :: v_dual_mul_f32 v25, v228, v149
	v_dual_mul_f32 v47, v227, v147 :: v_dual_mul_f32 v11, v229, v149
	v_dual_fma_f32 v49, v224, v144, -v61 :: v_dual_add_f32 v7, v7, v19
	v_dual_add_f32 v9, v9, v51 :: v_dual_fmac_f32 v23, v227, v146
	s_delay_alu instid0(VALU_DEP_3) | instskip(NEXT) | instid1(VALU_DEP_3)
	v_dual_mul_f32 v19, v237, v157 :: v_dual_fma_f32 v47, v226, v146, -v47
	v_dual_add_f32 v7, v7, v21 :: v_dual_fmac_f32 v25, v229, v148
	s_wait_loadcnt_dscnt 0x802
	s_delay_alu instid0(VALU_DEP_3) | instskip(SKIP_1) | instid1(VALU_DEP_3)
	v_dual_add_f32 v9, v9, v49 :: v_dual_mul_f32 v21, v239, v159
	v_dual_mul_f32 v27, v230, v151 :: v_dual_mul_f32 v29, v232, v153
	v_dual_fma_f32 v11, v228, v148, -v11 :: v_dual_add_f32 v7, v7, v23
	s_delay_alu instid0(VALU_DEP_2) | instskip(SKIP_1) | instid1(VALU_DEP_2)
	v_dual_add_f32 v9, v9, v47 :: v_dual_fmac_f32 v27, v231, v150
	v_dual_mul_f32 v23, v241, v161 :: v_dual_fma_f32 v13, v230, v150, -v13
	v_dual_add_f32 v7, v7, v25 :: v_dual_add_f32 v9, v9, v11
	v_dual_mul_f32 v31, v234, v155 :: v_dual_mul_f32 v33, v236, v157
	s_wait_loadcnt_dscnt 0x701
	v_dual_mul_f32 v11, v243, v163 :: v_dual_fmac_f32 v29, v233, v152
	s_delay_alu instid0(VALU_DEP_3) | instskip(NEXT) | instid1(VALU_DEP_3)
	v_dual_fma_f32 v15, v232, v152, -v15 :: v_dual_add_f32 v7, v7, v27
	v_dual_add_f32 v9, v9, v13 :: v_dual_fmac_f32 v31, v235, v154
	v_dual_mul_f32 v13, v245, v165 :: v_dual_fma_f32 v17, v234, v154, -v17
	s_delay_alu instid0(VALU_DEP_2) | instskip(SKIP_3) | instid1(VALU_DEP_3)
	v_dual_add_f32 v7, v7, v29 :: v_dual_add_f32 v9, v9, v15
	v_dual_mul_f32 v35, v238, v159 :: v_dual_mul_f32 v37, v240, v161
	s_wait_loadcnt_dscnt 0x600
	v_dual_mul_f32 v15, v247, v167 :: v_dual_fmac_f32 v33, v237, v156
	v_dual_fma_f32 v19, v236, v156, -v19 :: v_dual_add_f32 v7, v7, v31
	s_delay_alu instid0(VALU_DEP_3) | instskip(SKIP_1) | instid1(VALU_DEP_2)
	v_dual_add_f32 v9, v9, v17 :: v_dual_fmac_f32 v35, v239, v158
	v_dual_mul_f32 v17, v249, v169 :: v_dual_fma_f32 v21, v238, v158, -v21
	v_dual_add_f32 v7, v7, v33 :: v_dual_add_f32 v9, v9, v19
	v_dual_mul_f32 v39, v242, v163 :: v_dual_mul_f32 v41, v244, v165
	s_wait_loadcnt 0x5
	v_dual_mul_f32 v19, v215, v171 :: v_dual_fmac_f32 v37, v241, v160
	s_delay_alu instid0(VALU_DEP_3) | instskip(NEXT) | instid1(VALU_DEP_3)
	v_dual_fma_f32 v23, v240, v160, -v23 :: v_dual_add_f32 v7, v7, v35
	v_dual_add_f32 v9, v9, v21 :: v_dual_fmac_f32 v39, v243, v162
	v_dual_mul_f32 v21, v217, v173 :: v_dual_fma_f32 v11, v242, v162, -v11
	s_delay_alu instid0(VALU_DEP_2) | instskip(SKIP_1) | instid1(VALU_DEP_2)
	v_dual_add_f32 v7, v7, v37 :: v_dual_add_f32 v9, v9, v23
	v_dual_mul_f32 v43, v246, v167 :: v_dual_mul_f32 v45, v248, v169
	v_dual_fmac_f32 v41, v245, v164 :: v_dual_add_f32 v7, v7, v39
	s_delay_alu instid0(VALU_DEP_3) | instskip(SKIP_1) | instid1(VALU_DEP_3)
	v_dual_fma_f32 v13, v244, v164, -v13 :: v_dual_add_f32 v9, v9, v11
	s_wait_loadcnt 0x4
	v_dual_mov_b32 v132, v177 :: v_dual_fmac_f32 v43, v247, v166
	s_delay_alu instid0(VALU_DEP_3) | instskip(NEXT) | instid1(VALU_DEP_3)
	v_dual_fma_f32 v11, v246, v166, -v15 :: v_dual_add_f32 v7, v7, v41
	v_dual_add_f32 v9, v9, v13 :: v_dual_fma_f32 v13, v248, v168, -v17
	s_set_vgpr_msb 64                       ;  msbs: dst=1 src0=0 src1=0 src2=0
	v_dual_mul_f32 v5 /*v261*/, v214, v171 :: v_dual_mul_f32 v7 /*v263*/, v216, v173
	s_set_vgpr_msb 0                        ;  msbs: dst=0 src0=0 src1=0 src2=0
	v_dual_fmac_f32 v45, v249, v168 :: v_dual_add_f32 v7, v7, v43
	v_add_f32_e32 v9, v9, v11
	v_pk_mul_f32 v[130:131], v[190:191], v[174:175] op_sel:[1,1] op_sel_hi:[0,1]
	s_set_vgpr_msb 64                       ;  msbs: dst=1 src0=0 src1=0 src2=0
	v_dual_fmac_f32 v5 /*v261*/, v215, v170 :: v_dual_fmac_f32 v7 /*v263*/, v217, v172
	v_dual_fma_f32 v4 /*v260*/, v214, v170, -v19 :: v_dual_fma_f32 v6 /*v262*/, v216, v172, -v21
	s_set_vgpr_msb 0                        ;  msbs: dst=0 src0=0 src1=0 src2=0
	v_add_f32_e32 v139, v7, v45
	v_add_f32_e32 v138, v9, v13
	v_pk_fma_f32 v[140:141], v[190:191], v[174:175], v[130:131] op_sel_hi:[1,0,1]
	v_pk_mul_f32 v[132:133], v[252:253], v[132:133] op_sel_hi:[1,0]
	v_pk_fma_f32 v[130:131], v[190:191], v[174:175], v[130:131] neg_lo:[0,0,1] neg_hi:[0,0,1]
	s_wait_loadcnt 0x3
	v_pk_mul_f32 v[134:135], v[194:195], v[178:179] op_sel:[1,1] op_sel_hi:[0,1]
	s_set_vgpr_msb 4                        ;  msbs: dst=0 src0=0 src1=1 src2=0
	v_pk_add_f32 v[138:139], v[138:139], v[4:5] /*v[260:261]*/
	v_dual_mov_b32 v136, v181 :: v_dual_mov_b32 v131, v141
	s_set_vgpr_msb 0                        ;  msbs: dst=0 src0=0 src1=0 src2=0
	v_pk_fma_f32 v[140:141], v[192:193], v[176:177], v[132:133] op_sel_hi:[1,0,1]
	v_pk_fma_f32 v[132:133], v[192:193], v[176:177], v[132:133] neg_lo:[0,0,1] neg_hi:[0,0,1]
	s_set_vgpr_msb 4                        ;  msbs: dst=0 src0=0 src1=1 src2=0
	v_pk_add_f32 v[138:139], v[138:139], v[6:7] /*v[262:263]*/
	s_set_vgpr_msb 0                        ;  msbs: dst=0 src0=0 src1=0 src2=0
	v_pk_fma_f32 v[144:145], v[194:195], v[178:179], v[134:135] op_sel_hi:[1,0,1]
	v_pk_mul_f32 v[136:137], v[254:255], v[136:137] op_sel_hi:[1,0]
	v_mov_b32_e32 v133, v141
	s_wait_loadcnt 0x2
	v_pk_mul_f32 v[142:143], v[198:199], v[182:183] op_sel:[1,1] op_sel_hi:[0,1]
	v_pk_add_f32 v[130:131], v[138:139], v[130:131]
	v_mov_b32_e32 v138, v185
	v_pk_fma_f32 v[134:135], v[194:195], v[178:179], v[134:135] neg_lo:[0,0,1] neg_hi:[0,0,1]
	v_pk_fma_f32 v[140:141], v[196:197], v[180:181], v[136:137] op_sel_hi:[1,0,1]
	v_mov_b32_e32 v135, v145
	v_pk_add_f32 v[130:131], v[130:131], v[132:133]
	v_pk_fma_f32 v[132:133], v[198:199], v[182:183], v[142:143] op_sel_hi:[1,0,1]
	s_set_vgpr_msb 1                        ;  msbs: dst=0 src0=1 src1=0 src2=0
	v_pk_mul_f32 v[138:139], v[0:1] /*v[256:257]*/, v[138:139] op_sel_hi:[1,0]
	s_set_vgpr_msb 0                        ;  msbs: dst=0 src0=0 src1=0 src2=0
	v_pk_fma_f32 v[136:137], v[196:197], v[180:181], v[136:137] neg_lo:[0,0,1] neg_hi:[0,0,1]
	v_mov_b32_e32 v137, v141
	v_pk_add_f32 v[130:131], v[130:131], v[134:135]
	v_pk_fma_f32 v[140:141], v[198:199], v[182:183], v[142:143] neg_lo:[0,0,1] neg_hi:[0,0,1]
	v_mov_b32_e32 v141, v133
	v_pk_fma_f32 v[132:133], v[200:201], v[184:185], v[138:139] op_sel_hi:[1,0,1]
	s_wait_loadcnt 0x1
	v_pk_mul_f32 v[134:135], v[202:203], v[186:187] op_sel:[1,1] op_sel_hi:[0,1]
	v_pk_add_f32 v[130:131], v[130:131], v[136:137]
	v_mov_b32_e32 v132, v189
	v_pk_fma_f32 v[138:139], v[200:201], v[184:185], v[138:139] neg_lo:[0,0,1] neg_hi:[0,0,1]
	s_delay_alu instid0(VALU_DEP_4)
	v_pk_fma_f32 v[136:137], v[202:203], v[186:187], v[134:135] op_sel_hi:[1,0,1]
	v_mov_b32_e32 v139, v133
	v_pk_add_f32 v[130:131], v[130:131], v[140:141]
	s_set_vgpr_msb 1                        ;  msbs: dst=0 src0=1 src1=0 src2=0
	v_pk_mul_f32 v[132:133], v[2:3] /*v[258:259]*/, v[132:133] op_sel_hi:[1,0]
	s_set_vgpr_msb 0                        ;  msbs: dst=0 src0=0 src1=0 src2=0
	v_pk_fma_f32 v[134:135], v[202:203], v[186:187], v[134:135] neg_lo:[0,0,1] neg_hi:[0,0,1]
	v_mov_b32_e32 v135, v137
	v_pk_add_f32 v[130:131], v[130:131], v[138:139]
	v_pk_fma_f32 v[136:137], v[204:205], v[188:189], v[132:133] op_sel_hi:[1,0,1]
	v_pk_fma_f32 v[132:133], v[204:205], v[188:189], v[132:133] neg_lo:[0,0,1] neg_hi:[0,0,1]
	s_delay_alu instid0(VALU_DEP_3) | instskip(NEXT) | instid1(VALU_DEP_3)
	v_pk_add_f32 v[130:131], v[130:131], v[134:135]
	v_mov_b32_e32 v133, v137
	s_delay_alu instid0(VALU_DEP_1) | instskip(SKIP_1) | instid1(VALU_DEP_1)
	v_pk_add_f32 v[130:131], v[130:131], v[132:133]
	s_wait_loadcnt 0x0
	v_pk_add_f32 v[130:131], v[250:251], v[130:131] neg_lo:[0,1] neg_hi:[0,1]
	scratch_store_b64 off, v[130:131], off offset:264
	s_wait_xcnt 0x0
	v_cmpx_lt_u32_e32 32, v0
	s_cbranch_execz .LBB63_333
; %bb.332:
	scratch_load_b64 v[130:131], off, off offset:256
	v_mov_b64_e32 v[132:133], 0
	scratch_store_b64 off, v[132:133], off offset:256
	s_wait_loadcnt 0x0
	ds_store_b64 v1, v[130:131]
.LBB63_333:
	s_wait_xcnt 0x0
	s_or_b32 exec_lo, exec_lo, s0
	s_wait_storecnt_dscnt 0x0
	s_barrier_signal -1
	s_barrier_wait -1
	s_clause 0x10
	scratch_load_b128 v[130:133], off, off offset:264
	scratch_load_b128 v[134:137], off, off offset:280
	scratch_load_b128 v[138:141], off, off offset:296
	scratch_load_b128 v[142:145], off, off offset:312
	scratch_load_b128 v[146:149], off, off offset:328
	scratch_load_b128 v[150:153], off, off offset:344
	scratch_load_b128 v[154:157], off, off offset:360
	scratch_load_b128 v[158:161], off, off offset:376
	scratch_load_b128 v[162:165], off, off offset:392
	scratch_load_b128 v[166:169], off, off offset:408
	scratch_load_b128 v[170:173], off, off offset:424
	scratch_load_b128 v[174:177], off, off offset:440
	scratch_load_b128 v[178:181], off, off offset:456
	scratch_load_b128 v[182:185], off, off offset:472
	scratch_load_b128 v[186:189], off, off offset:488
	scratch_load_b64 v[250:251], off, off offset:504
	scratch_load_b64 v[252:253], off, off offset:256
	v_mov_b32_e32 v7, 0
	ds_load_2addr_b64 v[190:193], v7 offset0:119 offset1:120
	ds_load_2addr_b64 v[194:197], v7 offset0:121 offset1:122
	;; [unrolled: 1-line block ×15, first 2 shown]
	ds_load_b64 v[254:255], v7 offset:1016
	s_mov_b32 s0, exec_lo
	s_wait_dscnt 0xf
	s_set_vgpr_msb 64                       ;  msbs: dst=1 src0=0 src1=0 src2=0
	v_dual_mov_b32 v0 /*v256*/, v193 :: v_dual_mov_b32 v1 /*v257*/, v192
	s_wait_dscnt 0xe
	v_dual_mov_b32 v2 /*v258*/, v197 :: v_dual_mov_b32 v3 /*v259*/, v196
	s_wait_dscnt 0xd
	;; [unrolled: 2-line block ×3, first 2 shown]
	v_dual_mov_b32 v6 /*v262*/, v205 :: v_dual_mov_b32 v7 /*v263*/, v204
	s_wait_loadcnt_dscnt 0x100b
	s_set_vgpr_msb 0                        ;  msbs: dst=0 src0=0 src1=0 src2=0
	v_dual_mul_f32 v9, v206, v131 :: v_dual_mul_f32 v51, v207, v131
	v_dual_mul_f32 v53, v209, v133 :: v_dual_mul_f32 v11, v208, v133
	s_wait_loadcnt_dscnt 0xf09
	v_mul_f32_e32 v13, v214, v135
	s_wait_loadcnt_dscnt 0xd07
	v_dual_mul_f32 v63, v223, v143 :: v_dual_fma_f32 v51, v206, v130, -v51
	v_dual_fmac_f32 v9, v207, v130 :: v_dual_mul_f32 v65, v225, v145
	v_dual_mul_f32 v55, v215, v135 :: v_dual_mul_f32 v57, v217, v137
	v_dual_fmac_f32 v11, v209, v132 :: v_dual_fma_f32 v53, v208, v132, -v53
	s_delay_alu instid0(VALU_DEP_3) | instskip(SKIP_3) | instid1(VALU_DEP_3)
	v_dual_add_f32 v9, 0, v9 :: v_dual_add_f32 v51, 0, v51
	v_dual_mul_f32 v15, v216, v137 :: v_dual_mul_f32 v17, v218, v139
	s_wait_loadcnt_dscnt 0xc06
	v_dual_mul_f32 v67, v227, v147 :: v_dual_fma_f32 v55, v214, v134, -v55
	v_dual_fmac_f32 v13, v215, v134 :: v_dual_add_f32 v9, v9, v11
	s_delay_alu instid0(VALU_DEP_3) | instskip(SKIP_2) | instid1(VALU_DEP_3)
	v_dual_add_f32 v11, v51, v53 :: v_dual_fmac_f32 v15, v217, v136
	v_dual_mul_f32 v59, v219, v139 :: v_dual_mul_f32 v61, v221, v141
	v_dual_mul_f32 v51, v229, v149 :: v_dual_fma_f32 v53, v216, v136, -v57
	v_dual_add_f32 v9, v9, v13 :: v_dual_add_f32 v11, v11, v55
	v_dual_mul_f32 v19, v220, v141 :: v_dual_mul_f32 v21, v222, v143
	s_wait_loadcnt_dscnt 0xb05
	v_dual_mul_f32 v13, v231, v151 :: v_dual_fma_f32 v55, v218, v138, -v59
	s_delay_alu instid0(VALU_DEP_3) | instskip(NEXT) | instid1(VALU_DEP_3)
	v_dual_fmac_f32 v17, v219, v138 :: v_dual_add_f32 v9, v9, v15
	v_dual_add_f32 v11, v11, v53 :: v_dual_fmac_f32 v19, v221, v140
	v_dual_mul_f32 v15, v233, v153 :: v_dual_fma_f32 v53, v220, v140, -v61
	s_delay_alu instid0(VALU_DEP_2) | instskip(SKIP_3) | instid1(VALU_DEP_3)
	v_dual_add_f32 v9, v9, v17 :: v_dual_add_f32 v11, v11, v55
	v_dual_mul_f32 v23, v224, v145 :: v_dual_mul_f32 v25, v226, v147
	s_wait_loadcnt_dscnt 0xa04
	v_dual_mul_f32 v17, v235, v155 :: v_dual_fma_f32 v55, v222, v142, -v63
	v_dual_fmac_f32 v21, v223, v142 :: v_dual_add_f32 v9, v9, v19
	s_delay_alu instid0(VALU_DEP_3) | instskip(SKIP_1) | instid1(VALU_DEP_2)
	v_dual_add_f32 v11, v11, v53 :: v_dual_fmac_f32 v23, v225, v144
	v_dual_mul_f32 v19, v237, v157 :: v_dual_fma_f32 v53, v224, v144, -v65
	v_dual_add_f32 v9, v9, v21 :: v_dual_add_f32 v11, v11, v55
	v_dual_mul_f32 v27, v228, v149 :: v_dual_mul_f32 v29, v230, v151
	s_wait_loadcnt_dscnt 0x903
	v_dual_mul_f32 v21, v239, v159 :: v_dual_fma_f32 v55, v226, v146, -v67
	s_delay_alu instid0(VALU_DEP_3) | instskip(NEXT) | instid1(VALU_DEP_3)
	v_dual_fmac_f32 v25, v227, v146 :: v_dual_add_f32 v9, v9, v23
	v_dual_add_f32 v11, v11, v53 :: v_dual_fmac_f32 v27, v229, v148
	v_dual_mul_f32 v23, v241, v161 :: v_dual_fma_f32 v51, v228, v148, -v51
	s_delay_alu instid0(VALU_DEP_2) | instskip(SKIP_3) | instid1(VALU_DEP_3)
	v_dual_add_f32 v9, v9, v25 :: v_dual_add_f32 v11, v11, v55
	v_dual_mul_f32 v31, v232, v153 :: v_dual_mul_f32 v33, v234, v155
	s_wait_loadcnt_dscnt 0x802
	v_dual_mul_f32 v25, v243, v163 :: v_dual_fma_f32 v13, v230, v150, -v13
	v_dual_fmac_f32 v29, v231, v150 :: v_dual_add_f32 v9, v9, v27
	v_dual_add_f32 v11, v11, v51 :: v_dual_mul_f32 v27, v245, v165
	v_fmac_f32_e32 v31, v233, v152
	s_delay_alu instid0(VALU_DEP_3) | instskip(NEXT) | instid1(VALU_DEP_3)
	v_dual_fma_f32 v15, v232, v152, -v15 :: v_dual_add_f32 v9, v9, v29
	v_add_f32_e32 v11, v11, v13
	v_dual_mul_f32 v35, v236, v157 :: v_dual_mul_f32 v37, v238, v159
	s_wait_loadcnt_dscnt 0x701
	v_dual_mul_f32 v13, v247, v167 :: v_dual_fma_f32 v17, v234, v154, -v17
	v_dual_fmac_f32 v33, v235, v154 :: v_dual_add_f32 v9, v9, v31
	v_dual_add_f32 v11, v11, v15 :: v_dual_mul_f32 v15, v249, v169
	v_fmac_f32_e32 v35, v237, v156
	s_delay_alu instid0(VALU_DEP_3) | instskip(NEXT) | instid1(VALU_DEP_3)
	v_dual_fma_f32 v19, v236, v156, -v19 :: v_dual_add_f32 v9, v9, v33
	v_add_f32_e32 v11, v11, v17
	v_dual_mul_f32 v39, v240, v161 :: v_dual_mul_f32 v41, v242, v163
	s_wait_loadcnt 0x6
	v_dual_mul_f32 v17, v211, v171 :: v_dual_fma_f32 v21, v238, v158, -v21
	v_dual_fmac_f32 v37, v239, v158 :: v_dual_add_f32 v9, v9, v35
	v_dual_add_f32 v11, v11, v19 :: v_dual_mul_f32 v19, v213, v173
	v_fmac_f32_e32 v39, v241, v160
	s_delay_alu instid0(VALU_DEP_3) | instskip(NEXT) | instid1(VALU_DEP_3)
	v_dual_fma_f32 v23, v240, v160, -v23 :: v_dual_add_f32 v9, v9, v37
	v_add_f32_e32 v11, v11, v21
	v_dual_mul_f32 v43, v244, v165 :: v_dual_mul_f32 v45, v246, v167
	s_wait_loadcnt 0x5
	v_dual_mul_f32 v21, v191, v175 :: v_dual_fma_f32 v25, v242, v162, -v25
	v_dual_fmac_f32 v41, v243, v162 :: v_dual_add_f32 v9, v9, v39
	v_dual_add_f32 v11, v11, v23 :: v_dual_mov_b32 v130, v177
	v_fmac_f32_e32 v43, v245, v164
	s_delay_alu instid0(VALU_DEP_3) | instskip(NEXT) | instid1(VALU_DEP_3)
	v_dual_fma_f32 v23, v244, v164, -v27 :: v_dual_add_f32 v9, v9, v41
	v_add_f32_e32 v11, v11, v25
	v_dual_mul_f32 v47, v248, v169 :: v_dual_mul_f32 v49, v210, v171
	s_delay_alu instid0(VALU_DEP_3) | instskip(NEXT) | instid1(VALU_DEP_3)
	v_dual_fmac_f32 v45, v247, v166 :: v_dual_add_f32 v9, v9, v43
	v_dual_fma_f32 v13, v246, v166, -v13 :: v_dual_add_f32 v11, v11, v23
	s_wait_loadcnt 0x4
	v_dual_mov_b32 v134, v181 :: v_dual_fma_f32 v15, v248, v168, -v15
	v_fmac_f32_e32 v47, v249, v168
	v_dual_add_f32 v9, v9, v45 :: v_dual_fmac_f32 v49, v211, v170
	v_add_f32_e32 v11, v11, v13
	s_set_vgpr_msb 64                       ;  msbs: dst=1 src0=0 src1=0 src2=0
	v_dual_mul_f32 v9 /*v265*/, v212, v173 :: v_dual_mul_f32 v11 /*v267*/, v190, v175
	s_set_vgpr_msb 0                        ;  msbs: dst=0 src0=0 src1=0 src2=0
	v_dual_fma_f32 v13, v210, v170, -v17 :: v_dual_add_f32 v9, v9, v47
	v_add_f32_e32 v11, v11, v15
	s_set_vgpr_msb 64                       ;  msbs: dst=1 src0=0 src1=0 src2=0
	v_dual_fmac_f32 v9 /*v265*/, v213, v172 :: v_dual_fmac_f32 v11 /*v267*/, v191, v174
	v_dual_fma_f32 v8 /*v264*/, v212, v172, -v19 :: v_dual_fma_f32 v10 /*v266*/, v190, v174, -v21
	s_set_vgpr_msb 1                        ;  msbs: dst=0 src0=1 src1=0 src2=0
	v_pk_mul_f32 v[130:131], v[0:1] /*v[256:257]*/, v[130:131] op_sel_hi:[1,0]
	s_set_vgpr_msb 0                        ;  msbs: dst=0 src0=0 src1=0 src2=0
	v_add_f32_e32 v139, v9, v49
	s_wait_loadcnt 0x3
	v_dual_add_f32 v138, v11, v13 :: v_dual_mov_b32 v140, v185
	v_pk_mul_f32 v[132:133], v[194:195], v[178:179] op_sel:[1,1] op_sel_hi:[0,1]
	v_pk_fma_f32 v[142:143], v[192:193], v[176:177], v[130:131] op_sel_hi:[1,0,1]
	v_pk_fma_f32 v[130:131], v[192:193], v[176:177], v[130:131] neg_lo:[0,0,1] neg_hi:[0,0,1]
	s_set_vgpr_msb 4                        ;  msbs: dst=0 src0=0 src1=1 src2=0
	v_pk_add_f32 v[138:139], v[138:139], v[8:9] /*v[264:265]*/
	s_set_vgpr_msb 1                        ;  msbs: dst=0 src0=1 src1=0 src2=0
	v_pk_mul_f32 v[134:135], v[2:3] /*v[258:259]*/, v[134:135] op_sel_hi:[1,0]
	s_set_vgpr_msb 0                        ;  msbs: dst=0 src0=0 src1=0 src2=0
	v_pk_fma_f32 v[144:145], v[194:195], v[178:179], v[132:133] op_sel_hi:[1,0,1]
	v_mov_b32_e32 v131, v143
	v_pk_fma_f32 v[132:133], v[194:195], v[178:179], v[132:133] neg_lo:[0,0,1] neg_hi:[0,0,1]
	s_set_vgpr_msb 4                        ;  msbs: dst=0 src0=0 src1=1 src2=0
	v_pk_add_f32 v[138:139], v[138:139], v[10:11] /*v[266:267]*/
	s_set_vgpr_msb 0                        ;  msbs: dst=0 src0=0 src1=0 src2=0
	v_pk_mul_f32 v[136:137], v[198:199], v[182:183] op_sel:[1,1] op_sel_hi:[0,1]
	v_mov_b32_e32 v133, v145
	v_pk_fma_f32 v[144:145], v[196:197], v[180:181], v[134:135] op_sel_hi:[1,0,1]
	v_pk_fma_f32 v[134:135], v[196:197], v[180:181], v[134:135] neg_lo:[0,0,1] neg_hi:[0,0,1]
	v_pk_add_f32 v[130:131], v[138:139], v[130:131]
	v_pk_fma_f32 v[138:139], v[198:199], v[182:183], v[136:137] op_sel_hi:[1,0,1]
	s_set_vgpr_msb 1                        ;  msbs: dst=0 src0=1 src1=0 src2=0
	v_pk_mul_f32 v[140:141], v[4:5] /*v[260:261]*/, v[140:141] op_sel_hi:[1,0]
	s_set_vgpr_msb 0                        ;  msbs: dst=0 src0=0 src1=0 src2=0
	v_mov_b32_e32 v135, v145
	v_pk_fma_f32 v[136:137], v[198:199], v[182:183], v[136:137] neg_lo:[0,0,1] neg_hi:[0,0,1]
	v_pk_add_f32 v[130:131], v[130:131], v[132:133]
	s_wait_loadcnt 0x2
	v_pk_mul_f32 v[142:143], v[202:203], v[186:187] op_sel:[1,1] op_sel_hi:[0,1]
	v_dual_mov_b32 v132, v189 :: v_dual_mov_b32 v137, v139
	v_pk_fma_f32 v[138:139], v[200:201], v[184:185], v[140:141] op_sel_hi:[1,0,1]
	v_pk_add_f32 v[130:131], v[130:131], v[134:135]
	v_pk_fma_f32 v[140:141], v[200:201], v[184:185], v[140:141] neg_lo:[0,0,1] neg_hi:[0,0,1]
	v_pk_fma_f32 v[134:135], v[202:203], v[186:187], v[142:143] op_sel_hi:[1,0,1]
	s_set_vgpr_msb 1                        ;  msbs: dst=0 src0=1 src1=0 src2=0
	v_pk_mul_f32 v[132:133], v[6:7] /*v[262:263]*/, v[132:133] op_sel_hi:[1,0]
	s_set_vgpr_msb 0                        ;  msbs: dst=0 src0=0 src1=0 src2=0
	v_mov_b32_e32 v141, v139
	v_pk_add_f32 v[130:131], v[130:131], v[136:137]
	v_pk_fma_f32 v[136:137], v[202:203], v[186:187], v[142:143] neg_lo:[0,0,1] neg_hi:[0,0,1]
	v_mov_b32_e32 v137, v135
	v_pk_fma_f32 v[134:135], v[204:205], v[188:189], v[132:133] op_sel_hi:[1,0,1]
	s_wait_loadcnt_dscnt 0x100
	v_pk_mul_f32 v[138:139], v[254:255], v[250:251] op_sel:[1,1] op_sel_hi:[0,1]
	v_pk_add_f32 v[130:131], v[130:131], v[140:141]
	v_pk_fma_f32 v[132:133], v[204:205], v[188:189], v[132:133] neg_lo:[0,0,1] neg_hi:[0,0,1]
	v_mov_b32_e32 v133, v135
	s_delay_alu instid0(VALU_DEP_4) | instskip(NEXT) | instid1(VALU_DEP_4)
	v_pk_fma_f32 v[134:135], v[254:255], v[250:251], v[138:139] op_sel_hi:[1,0,1]
	v_pk_add_f32 v[130:131], v[130:131], v[136:137]
	v_pk_fma_f32 v[136:137], v[254:255], v[250:251], v[138:139] neg_lo:[0,0,1] neg_hi:[0,0,1]
	s_delay_alu instid0(VALU_DEP_3) | instskip(NEXT) | instid1(VALU_DEP_3)
	v_mov_b32_e32 v137, v135
	v_pk_add_f32 v[130:131], v[130:131], v[132:133]
	s_delay_alu instid0(VALU_DEP_1) | instskip(SKIP_1) | instid1(VALU_DEP_1)
	v_pk_add_f32 v[130:131], v[130:131], v[136:137]
	s_wait_loadcnt 0x0
	v_pk_add_f32 v[130:131], v[252:253], v[130:131] neg_lo:[0,1] neg_hi:[0,1]
	scratch_store_b64 off, v[130:131], off offset:256
	s_wait_xcnt 0x0
	v_cmpx_lt_u32_e32 31, v0
	s_cbranch_execz .LBB63_335
; %bb.334:
	scratch_load_b64 v[130:131], off, off offset:248
	v_mov_b64_e32 v[132:133], 0
	scratch_store_b64 off, v[132:133], off offset:248
	s_wait_loadcnt 0x0
	ds_store_b64 v1, v[130:131]
.LBB63_335:
	s_wait_xcnt 0x0
	s_or_b32 exec_lo, exec_lo, s0
	s_wait_storecnt_dscnt 0x0
	s_barrier_signal -1
	s_barrier_wait -1
	s_clause 0x11
	scratch_load_b128 v[130:133], off, off offset:256
	scratch_load_b128 v[134:137], off, off offset:272
	;; [unrolled: 1-line block ×16, first 2 shown]
	s_set_vgpr_msb 64                       ;  msbs: dst=1 src0=0 src1=0 src2=0
	scratch_load_b64 v[2:3] /*v[258:259]*/, off, off offset:248
	s_set_vgpr_msb 0                        ;  msbs: dst=0 src0=0 src1=0 src2=0
	ds_load_b128 v[194:197], v7 offset:960
	ds_load_b128 v[198:201], v7 offset:976
	;; [unrolled: 1-line block ×16, first 2 shown]
	s_mov_b32 s0, exec_lo
	s_wait_dscnt 0xf
	s_set_vgpr_msb 64                       ;  msbs: dst=1 src0=0 src1=0 src2=0
	v_dual_mov_b32 v4 /*v260*/, v197 :: v_dual_mov_b32 v5 /*v261*/, v196
	s_wait_dscnt 0xe
	v_dual_mov_b32 v6 /*v262*/, v201 :: v_dual_mov_b32 v7 /*v263*/, v200
	s_wait_dscnt 0xd
	;; [unrolled: 2-line block ×3, first 2 shown]
	v_dual_mov_b32 v10 /*v266*/, v209 :: v_dual_mov_b32 v11 /*v267*/, v208
	s_wait_loadcnt_dscnt 0x100b
	s_set_vgpr_msb 0                        ;  msbs: dst=0 src0=0 src1=0 src2=0
	v_dual_mul_f32 v7, v210, v131 :: v_dual_mul_f32 v9, v212, v133
	v_dual_mul_f32 v51, v211, v131 :: v_dual_mul_f32 v53, v213, v133
	s_wait_loadcnt_dscnt 0xf0a
	v_dual_mul_f32 v11, v214, v135 :: v_dual_mul_f32 v13, v216, v137
	s_delay_alu instid0(VALU_DEP_3) | instskip(SKIP_3) | instid1(VALU_DEP_3)
	v_dual_fmac_f32 v7, v211, v130 :: v_dual_fmac_f32 v9, v213, v132
	s_wait_loadcnt_dscnt 0xd08
	v_dual_fma_f32 v51, v210, v130, -v51 :: v_dual_mul_f32 v63, v223, v143
	v_dual_mul_f32 v55, v215, v135 :: v_dual_mul_f32 v57, v217, v137
	v_dual_fma_f32 v53, v212, v132, -v53 :: v_dual_add_f32 v7, 0, v7
	s_delay_alu instid0(VALU_DEP_3) | instskip(SKIP_1) | instid1(VALU_DEP_3)
	v_dual_add_f32 v51, 0, v51 :: v_dual_mul_f32 v65, v225, v145
	v_dual_fmac_f32 v11, v215, v134 :: v_dual_fmac_f32 v13, v217, v136
	v_dual_fma_f32 v55, v214, v134, -v55 :: v_dual_add_f32 v7, v7, v9
	s_delay_alu instid0(VALU_DEP_3) | instskip(SKIP_2) | instid1(VALU_DEP_4)
	v_dual_add_f32 v9, v51, v53 :: v_dual_fma_f32 v53, v216, v136, -v57
	v_dual_mul_f32 v15, v218, v139 :: v_dual_mul_f32 v17, v220, v141
	v_dual_mul_f32 v59, v219, v139 :: v_dual_mul_f32 v61, v221, v141
	v_add_f32_e32 v7, v7, v11
	s_delay_alu instid0(VALU_DEP_3) | instskip(NEXT) | instid1(VALU_DEP_3)
	v_dual_add_f32 v9, v9, v55 :: v_dual_fmac_f32 v15, v219, v138
	v_fma_f32 v55, v218, v138, -v59
	v_dual_mul_f32 v19, v222, v143 :: v_dual_mul_f32 v21, v224, v145
	s_delay_alu instid0(VALU_DEP_4) | instskip(SKIP_2) | instid1(VALU_DEP_2)
	v_dual_add_f32 v7, v7, v13 :: v_dual_fmac_f32 v17, v221, v140
	s_wait_loadcnt_dscnt 0xb06
	v_dual_add_f32 v9, v9, v53 :: v_dual_mul_f32 v13, v231, v151
	v_dual_fma_f32 v53, v220, v140, -v61 :: v_dual_add_f32 v7, v7, v15
	v_mul_f32_e32 v15, v233, v153
	s_delay_alu instid0(VALU_DEP_3) | instskip(NEXT) | instid1(VALU_DEP_3)
	v_dual_add_f32 v9, v9, v55 :: v_dual_fmac_f32 v19, v223, v142
	v_dual_fma_f32 v55, v222, v142, -v63 :: v_dual_add_f32 v7, v7, v17
	v_fmac_f32_e32 v21, v225, v144
	s_wait_loadcnt_dscnt 0xa05
	s_delay_alu instid0(VALU_DEP_3) | instskip(SKIP_3) | instid1(VALU_DEP_3)
	v_dual_add_f32 v9, v9, v53 :: v_dual_mul_f32 v17, v235, v155
	v_dual_mul_f32 v23, v226, v147 :: v_dual_mul_f32 v25, v228, v149
	v_dual_mul_f32 v51, v227, v147 :: v_dual_mul_f32 v11, v229, v149
	v_dual_fma_f32 v53, v224, v144, -v65 :: v_dual_add_f32 v7, v7, v19
	v_dual_add_f32 v9, v9, v55 :: v_dual_fmac_f32 v23, v227, v146
	s_delay_alu instid0(VALU_DEP_3) | instskip(NEXT) | instid1(VALU_DEP_3)
	v_dual_mul_f32 v19, v237, v157 :: v_dual_fma_f32 v51, v226, v146, -v51
	v_dual_add_f32 v7, v7, v21 :: v_dual_fmac_f32 v25, v229, v148
	s_wait_loadcnt_dscnt 0x904
	s_delay_alu instid0(VALU_DEP_3) | instskip(SKIP_1) | instid1(VALU_DEP_3)
	v_dual_add_f32 v9, v9, v53 :: v_dual_mul_f32 v21, v239, v159
	v_dual_mul_f32 v27, v230, v151 :: v_dual_mul_f32 v29, v232, v153
	v_dual_fma_f32 v11, v228, v148, -v11 :: v_dual_add_f32 v7, v7, v23
	s_delay_alu instid0(VALU_DEP_2) | instskip(SKIP_1) | instid1(VALU_DEP_2)
	v_dual_add_f32 v9, v9, v51 :: v_dual_fmac_f32 v27, v231, v150
	v_dual_mul_f32 v23, v241, v161 :: v_dual_fma_f32 v13, v230, v150, -v13
	v_dual_add_f32 v7, v7, v25 :: v_dual_add_f32 v9, v9, v11
	v_dual_mul_f32 v31, v234, v155 :: v_dual_mul_f32 v33, v236, v157
	s_wait_loadcnt_dscnt 0x803
	v_dual_mul_f32 v11, v243, v163 :: v_dual_fmac_f32 v29, v233, v152
	s_delay_alu instid0(VALU_DEP_3) | instskip(NEXT) | instid1(VALU_DEP_3)
	v_dual_fma_f32 v15, v232, v152, -v15 :: v_dual_add_f32 v7, v7, v27
	v_dual_add_f32 v9, v9, v13 :: v_dual_fmac_f32 v31, v235, v154
	v_dual_mul_f32 v13, v245, v165 :: v_dual_fma_f32 v17, v234, v154, -v17
	s_delay_alu instid0(VALU_DEP_2) | instskip(SKIP_3) | instid1(VALU_DEP_3)
	v_dual_add_f32 v7, v7, v29 :: v_dual_add_f32 v9, v9, v15
	v_dual_mul_f32 v35, v238, v159 :: v_dual_mul_f32 v37, v240, v161
	s_wait_loadcnt_dscnt 0x702
	v_dual_mul_f32 v15, v247, v167 :: v_dual_fmac_f32 v33, v237, v156
	v_dual_fma_f32 v19, v236, v156, -v19 :: v_dual_add_f32 v7, v7, v31
	s_delay_alu instid0(VALU_DEP_3) | instskip(SKIP_1) | instid1(VALU_DEP_2)
	v_dual_add_f32 v9, v9, v17 :: v_dual_fmac_f32 v35, v239, v158
	v_dual_mul_f32 v17, v249, v169 :: v_dual_fma_f32 v21, v238, v158, -v21
	v_dual_add_f32 v7, v7, v33 :: v_dual_add_f32 v9, v9, v19
	v_dual_mul_f32 v39, v242, v163 :: v_dual_mul_f32 v41, v244, v165
	s_wait_loadcnt_dscnt 0x601
	v_dual_mul_f32 v19, v251, v171 :: v_dual_fmac_f32 v37, v241, v160
	s_delay_alu instid0(VALU_DEP_3) | instskip(NEXT) | instid1(VALU_DEP_3)
	v_dual_fma_f32 v23, v240, v160, -v23 :: v_dual_add_f32 v7, v7, v35
	v_dual_add_f32 v9, v9, v21 :: v_dual_fmac_f32 v39, v243, v162
	v_dual_mul_f32 v21, v253, v173 :: v_dual_fma_f32 v11, v242, v162, -v11
	s_delay_alu instid0(VALU_DEP_2) | instskip(SKIP_3) | instid1(VALU_DEP_3)
	v_dual_add_f32 v7, v7, v37 :: v_dual_add_f32 v9, v9, v23
	v_dual_mul_f32 v43, v246, v167 :: v_dual_mul_f32 v45, v248, v169
	s_wait_loadcnt_dscnt 0x500
	v_dual_mul_f32 v23, v255, v175 :: v_dual_fmac_f32 v41, v245, v164
	v_dual_fma_f32 v13, v244, v164, -v13 :: v_dual_add_f32 v7, v7, v39
	s_delay_alu instid0(VALU_DEP_3) | instskip(SKIP_2) | instid1(VALU_DEP_4)
	v_dual_add_f32 v9, v9, v11 :: v_dual_fmac_f32 v43, v247, v166
	v_fma_f32 v15, v246, v166, -v15
	v_dual_mul_f32 v47, v250, v171 :: v_dual_mul_f32 v49, v252, v173
	v_add_f32_e32 v7, v7, v41
	s_delay_alu instid0(VALU_DEP_4) | instskip(SKIP_2) | instid1(VALU_DEP_3)
	v_dual_add_f32 v9, v9, v13 :: v_dual_fma_f32 v13, v248, v168, -v17
	v_fmac_f32_e32 v45, v249, v168
	s_wait_loadcnt 0x4
	v_dual_mov_b32 v132, v181 :: v_dual_add_f32 v7, v7, v43
	s_delay_alu instid0(VALU_DEP_3)
	v_dual_add_f32 v9, v9, v15 :: v_dual_fmac_f32 v47, v251, v170
	v_fma_f32 v15, v250, v170, -v19
	s_set_vgpr_msb 64                       ;  msbs: dst=1 src0=0 src1=0 src2=0
	v_dual_mul_f32 v13 /*v269*/, v254, v175 :: v_dual_fma_f32 v12 /*v268*/, v254, v174, -v23
	s_set_vgpr_msb 0                        ;  msbs: dst=0 src0=0 src1=0 src2=0
	v_dual_add_f32 v7, v7, v45 :: v_dual_fmac_f32 v49, v253, v172
	v_dual_add_f32 v9, v9, v13 :: v_dual_fma_f32 v13, v252, v172, -v21
	s_wait_loadcnt 0x3
	s_delay_alu instid0(VALU_DEP_2)
	v_dual_mov_b32 v136, v185 :: v_dual_add_f32 v7, v7, v47
	s_set_vgpr_msb 1                        ;  msbs: dst=0 src0=1 src1=0 src2=0
	v_mul_f32_e32 v11, v1 /*v257*/, v177
	s_set_vgpr_msb 0                        ;  msbs: dst=0 src0=0 src1=0 src2=0
	v_add_f32_e32 v9, v9, v15
	s_set_vgpr_msb 0x41                     ;  msbs: dst=1 src0=1 src1=0 src2=0
	v_mul_f32_e32 v15 /*v271*/, v0 /*v256*/, v177
	s_set_vgpr_msb 0                        ;  msbs: dst=0 src0=0 src1=0 src2=0
	v_pk_mul_f32 v[130:131], v[194:195], v[178:179] op_sel:[1,1] op_sel_hi:[0,1]
	s_set_vgpr_msb 64                       ;  msbs: dst=1 src0=0 src1=0 src2=0
	v_fmac_f32_e32 v13 /*v269*/, v255, v174
	s_set_vgpr_msb 0                        ;  msbs: dst=0 src0=0 src1=0 src2=0
	v_add_f32_e32 v139, v7, v49
	v_add_f32_e32 v138, v9, v13
	s_set_vgpr_msb 0x41                     ;  msbs: dst=1 src0=1 src1=0 src2=0
	v_fma_f32 v14 /*v270*/, v0 /*v256*/, v176, -v11
	v_fmac_f32_e32 v15 /*v271*/, v1 /*v257*/, v176
	s_set_vgpr_msb 0                        ;  msbs: dst=0 src0=0 src1=0 src2=0
	v_pk_fma_f32 v[140:141], v[194:195], v[178:179], v[130:131] op_sel_hi:[1,0,1]
	s_set_vgpr_msb 1                        ;  msbs: dst=0 src0=1 src1=0 src2=0
	v_pk_mul_f32 v[132:133], v[4:5] /*v[260:261]*/, v[132:133] op_sel_hi:[1,0]
	s_set_vgpr_msb 4                        ;  msbs: dst=0 src0=0 src1=1 src2=0
	v_pk_add_f32 v[138:139], v[138:139], v[12:13] /*v[268:269]*/
	s_set_vgpr_msb 0                        ;  msbs: dst=0 src0=0 src1=0 src2=0
	v_pk_fma_f32 v[130:131], v[194:195], v[178:179], v[130:131] neg_lo:[0,0,1] neg_hi:[0,0,1]
	v_pk_mul_f32 v[134:135], v[198:199], v[182:183] op_sel:[1,1] op_sel_hi:[0,1]
	v_mov_b32_e32 v131, v141
	v_pk_fma_f32 v[140:141], v[196:197], v[180:181], v[132:133] op_sel_hi:[1,0,1]
	s_set_vgpr_msb 4                        ;  msbs: dst=0 src0=0 src1=1 src2=0
	v_pk_add_f32 v[138:139], v[138:139], v[14:15] /*v[270:271]*/
	s_set_vgpr_msb 0                        ;  msbs: dst=0 src0=0 src1=0 src2=0
	v_pk_fma_f32 v[132:133], v[196:197], v[180:181], v[132:133] neg_lo:[0,0,1] neg_hi:[0,0,1]
	v_pk_fma_f32 v[144:145], v[198:199], v[182:183], v[134:135] op_sel_hi:[1,0,1]
	s_set_vgpr_msb 1                        ;  msbs: dst=0 src0=1 src1=0 src2=0
	v_pk_mul_f32 v[136:137], v[6:7] /*v[262:263]*/, v[136:137] op_sel_hi:[1,0]
	s_set_vgpr_msb 0                        ;  msbs: dst=0 src0=0 src1=0 src2=0
	v_mov_b32_e32 v133, v141
	v_pk_add_f32 v[130:131], v[138:139], v[130:131]
	s_wait_loadcnt 0x2
	v_pk_mul_f32 v[142:143], v[202:203], v[186:187] op_sel:[1,1] op_sel_hi:[0,1]
	v_mov_b32_e32 v138, v189
	v_pk_fma_f32 v[134:135], v[198:199], v[182:183], v[134:135] neg_lo:[0,0,1] neg_hi:[0,0,1]
	v_mov_b32_e32 v135, v145
	v_pk_fma_f32 v[140:141], v[200:201], v[184:185], v[136:137] op_sel_hi:[1,0,1]
	v_pk_add_f32 v[130:131], v[130:131], v[132:133]
	v_pk_fma_f32 v[132:133], v[202:203], v[186:187], v[142:143] op_sel_hi:[1,0,1]
	s_set_vgpr_msb 1                        ;  msbs: dst=0 src0=1 src1=0 src2=0
	v_pk_mul_f32 v[138:139], v[8:9] /*v[264:265]*/, v[138:139] op_sel_hi:[1,0]
	s_set_vgpr_msb 0                        ;  msbs: dst=0 src0=0 src1=0 src2=0
	v_pk_fma_f32 v[136:137], v[200:201], v[184:185], v[136:137] neg_lo:[0,0,1] neg_hi:[0,0,1]
	v_mov_b32_e32 v137, v141
	v_pk_add_f32 v[130:131], v[130:131], v[134:135]
	v_pk_fma_f32 v[140:141], v[202:203], v[186:187], v[142:143] neg_lo:[0,0,1] neg_hi:[0,0,1]
	v_mov_b32_e32 v141, v133
	v_pk_fma_f32 v[132:133], v[204:205], v[188:189], v[138:139] op_sel_hi:[1,0,1]
	s_wait_loadcnt 0x1
	v_pk_mul_f32 v[134:135], v[206:207], v[190:191] op_sel:[1,1] op_sel_hi:[0,1]
	v_pk_add_f32 v[130:131], v[130:131], v[136:137]
	v_mov_b32_e32 v132, v193
	v_pk_fma_f32 v[138:139], v[204:205], v[188:189], v[138:139] neg_lo:[0,0,1] neg_hi:[0,0,1]
	v_mov_b32_e32 v139, v133
	v_pk_fma_f32 v[136:137], v[206:207], v[190:191], v[134:135] op_sel_hi:[1,0,1]
	v_pk_add_f32 v[130:131], v[130:131], v[140:141]
	s_set_vgpr_msb 1                        ;  msbs: dst=0 src0=1 src1=0 src2=0
	v_pk_mul_f32 v[132:133], v[10:11] /*v[266:267]*/, v[132:133] op_sel_hi:[1,0]
	s_set_vgpr_msb 0                        ;  msbs: dst=0 src0=0 src1=0 src2=0
	v_pk_fma_f32 v[134:135], v[206:207], v[190:191], v[134:135] neg_lo:[0,0,1] neg_hi:[0,0,1]
	v_mov_b32_e32 v135, v137
	v_pk_add_f32 v[130:131], v[130:131], v[138:139]
	v_pk_fma_f32 v[136:137], v[208:209], v[192:193], v[132:133] op_sel_hi:[1,0,1]
	v_pk_fma_f32 v[132:133], v[208:209], v[192:193], v[132:133] neg_lo:[0,0,1] neg_hi:[0,0,1]
	s_delay_alu instid0(VALU_DEP_2) | instskip(NEXT) | instid1(VALU_DEP_4)
	v_mov_b32_e32 v133, v137
	v_pk_add_f32 v[130:131], v[130:131], v[134:135]
	s_delay_alu instid0(VALU_DEP_1) | instskip(SKIP_2) | instid1(VALU_DEP_1)
	v_pk_add_f32 v[130:131], v[130:131], v[132:133]
	s_wait_loadcnt 0x0
	s_set_vgpr_msb 1                        ;  msbs: dst=0 src0=1 src1=0 src2=0
	v_pk_add_f32 v[130:131], v[2:3] /*v[258:259]*/, v[130:131] neg_lo:[0,1] neg_hi:[0,1]
	scratch_store_b64 off, v[130:131], off offset:248
	s_wait_xcnt 0x0
	v_cmpx_lt_u32_e32 30, v0
	s_set_vgpr_msb 0                        ;  msbs: dst=0 src0=0 src1=0 src2=0
	s_cbranch_execz .LBB63_337
; %bb.336:
	scratch_load_b64 v[130:131], off, off offset:240
	v_mov_b64_e32 v[132:133], 0
	scratch_store_b64 off, v[132:133], off offset:240
	s_wait_loadcnt 0x0
	ds_store_b64 v1, v[130:131]
.LBB63_337:
	s_wait_xcnt 0x0
	s_or_b32 exec_lo, exec_lo, s0
	s_wait_storecnt_dscnt 0x0
	s_barrier_signal -1
	s_barrier_wait -1
	s_clause 0x12
	scratch_load_b128 v[130:133], off, off offset:248
	scratch_load_b128 v[134:137], off, off offset:264
	;; [unrolled: 1-line block ×16, first 2 shown]
	s_set_vgpr_msb 64                       ;  msbs: dst=1 src0=0 src1=0 src2=0
	scratch_load_b64 v[2:3] /*v[258:259]*/, off, off offset:504
	scratch_load_b64 v[4:5] /*v[260:261]*/, off, off offset:240
	s_set_vgpr_msb 0                        ;  msbs: dst=0 src0=0 src1=0 src2=0
	v_mov_b32_e32 v7, 0
	ds_load_2addr_b64 v[194:197], v7 offset0:119 offset1:120
	ds_load_2addr_b64 v[198:201], v7 offset0:121 offset1:122
	;; [unrolled: 1-line block ×16, first 2 shown]
	s_set_vgpr_msb 64                       ;  msbs: dst=1 src0=0 src1=0 src2=0
	ds_load_b64 v[6:7] /*v[262:263]*/, v7 offset:1016
	s_mov_b32 s0, exec_lo
	s_wait_dscnt 0x10
	v_dual_mov_b32 v8 /*v264*/, v197 :: v_dual_mov_b32 v9 /*v265*/, v196
	s_wait_dscnt 0xf
	v_dual_mov_b32 v10 /*v266*/, v201 :: v_dual_mov_b32 v11 /*v267*/, v200
	;; [unrolled: 2-line block ×4, first 2 shown]
	s_wait_loadcnt_dscnt 0x110c
	s_set_vgpr_msb 0                        ;  msbs: dst=0 src0=0 src1=0 src2=0
	v_dual_mul_f32 v9, v210, v131 :: v_dual_mul_f32 v55, v211, v131
	v_dual_mul_f32 v57, v213, v133 :: v_dual_mul_f32 v11, v212, v133
	s_wait_loadcnt_dscnt 0x100b
	v_mul_f32_e32 v13, v214, v135
	s_wait_loadcnt_dscnt 0xe09
	v_dual_mul_f32 v67, v223, v143 :: v_dual_fma_f32 v55, v210, v130, -v55
	v_dual_fmac_f32 v9, v211, v130 :: v_dual_mul_f32 v69, v225, v145
	v_dual_mul_f32 v59, v215, v135 :: v_dual_mul_f32 v61, v217, v137
	v_dual_fmac_f32 v11, v213, v132 :: v_dual_fma_f32 v57, v212, v132, -v57
	s_delay_alu instid0(VALU_DEP_3) | instskip(SKIP_3) | instid1(VALU_DEP_3)
	v_dual_add_f32 v9, 0, v9 :: v_dual_add_f32 v55, 0, v55
	v_dual_mul_f32 v15, v216, v137 :: v_dual_mul_f32 v17, v218, v139
	s_wait_loadcnt_dscnt 0xd08
	v_dual_mul_f32 v71, v227, v147 :: v_dual_fma_f32 v59, v214, v134, -v59
	v_dual_fmac_f32 v13, v215, v134 :: v_dual_add_f32 v9, v9, v11
	s_delay_alu instid0(VALU_DEP_3) | instskip(SKIP_2) | instid1(VALU_DEP_3)
	v_dual_add_f32 v11, v55, v57 :: v_dual_fmac_f32 v15, v217, v136
	v_dual_mul_f32 v63, v219, v139 :: v_dual_mul_f32 v65, v221, v141
	v_dual_mul_f32 v55, v229, v149 :: v_dual_fma_f32 v57, v216, v136, -v61
	v_dual_add_f32 v9, v9, v13 :: v_dual_add_f32 v11, v11, v59
	v_dual_mul_f32 v19, v220, v141 :: v_dual_mul_f32 v21, v222, v143
	s_wait_loadcnt_dscnt 0xc07
	v_dual_mul_f32 v13, v231, v151 :: v_dual_fma_f32 v59, v218, v138, -v63
	s_delay_alu instid0(VALU_DEP_3) | instskip(NEXT) | instid1(VALU_DEP_3)
	v_dual_fmac_f32 v17, v219, v138 :: v_dual_add_f32 v9, v9, v15
	v_dual_add_f32 v11, v11, v57 :: v_dual_fmac_f32 v19, v221, v140
	v_dual_mul_f32 v15, v233, v153 :: v_dual_fma_f32 v57, v220, v140, -v65
	s_delay_alu instid0(VALU_DEP_2) | instskip(SKIP_3) | instid1(VALU_DEP_3)
	v_dual_add_f32 v9, v9, v17 :: v_dual_add_f32 v11, v11, v59
	v_dual_mul_f32 v23, v224, v145 :: v_dual_mul_f32 v25, v226, v147
	s_wait_loadcnt_dscnt 0xb06
	v_dual_mul_f32 v17, v235, v155 :: v_dual_fma_f32 v59, v222, v142, -v67
	v_dual_fmac_f32 v21, v223, v142 :: v_dual_add_f32 v9, v9, v19
	s_delay_alu instid0(VALU_DEP_3) | instskip(SKIP_1) | instid1(VALU_DEP_2)
	v_dual_add_f32 v11, v11, v57 :: v_dual_fmac_f32 v23, v225, v144
	v_dual_mul_f32 v19, v237, v157 :: v_dual_fma_f32 v57, v224, v144, -v69
	v_dual_add_f32 v9, v9, v21 :: v_dual_add_f32 v11, v11, v59
	v_dual_mul_f32 v27, v228, v149 :: v_dual_mul_f32 v29, v230, v151
	s_wait_loadcnt_dscnt 0xa05
	v_dual_mul_f32 v21, v239, v159 :: v_dual_fma_f32 v59, v226, v146, -v71
	s_delay_alu instid0(VALU_DEP_3) | instskip(NEXT) | instid1(VALU_DEP_3)
	v_dual_fmac_f32 v25, v227, v146 :: v_dual_add_f32 v9, v9, v23
	v_dual_add_f32 v11, v11, v57 :: v_dual_fmac_f32 v27, v229, v148
	v_dual_mul_f32 v23, v241, v161 :: v_dual_fma_f32 v55, v228, v148, -v55
	s_delay_alu instid0(VALU_DEP_2) | instskip(SKIP_3) | instid1(VALU_DEP_3)
	v_dual_add_f32 v9, v9, v25 :: v_dual_add_f32 v11, v11, v59
	v_dual_mul_f32 v31, v232, v153 :: v_dual_mul_f32 v33, v234, v155
	s_wait_loadcnt_dscnt 0x904
	v_dual_mul_f32 v25, v243, v163 :: v_dual_fma_f32 v13, v230, v150, -v13
	v_dual_fmac_f32 v29, v231, v150 :: v_dual_add_f32 v9, v9, v27
	v_dual_add_f32 v11, v11, v55 :: v_dual_mul_f32 v27, v245, v165
	v_fmac_f32_e32 v31, v233, v152
	s_delay_alu instid0(VALU_DEP_3) | instskip(NEXT) | instid1(VALU_DEP_3)
	v_dual_fma_f32 v15, v232, v152, -v15 :: v_dual_add_f32 v9, v9, v29
	v_add_f32_e32 v11, v11, v13
	v_dual_mul_f32 v35, v236, v157 :: v_dual_mul_f32 v37, v238, v159
	s_wait_loadcnt_dscnt 0x803
	v_dual_mul_f32 v13, v247, v167 :: v_dual_fma_f32 v17, v234, v154, -v17
	v_dual_fmac_f32 v33, v235, v154 :: v_dual_add_f32 v9, v9, v31
	v_dual_add_f32 v11, v11, v15 :: v_dual_mul_f32 v15, v249, v169
	v_fmac_f32_e32 v35, v237, v156
	s_delay_alu instid0(VALU_DEP_3) | instskip(NEXT) | instid1(VALU_DEP_3)
	v_dual_fma_f32 v19, v236, v156, -v19 :: v_dual_add_f32 v9, v9, v33
	v_add_f32_e32 v11, v11, v17
	;; [unrolled: 9-line block ×3, first 2 shown]
	v_dual_mul_f32 v43, v244, v165 :: v_dual_mul_f32 v45, v246, v167
	s_wait_loadcnt_dscnt 0x601
	v_dual_mul_f32 v21, v255, v175 :: v_dual_fma_f32 v25, v242, v162, -v25
	v_dual_fmac_f32 v41, v243, v162 :: v_dual_add_f32 v9, v9, v39
	s_delay_alu instid0(VALU_DEP_3) | instskip(SKIP_2) | instid1(VALU_DEP_4)
	v_dual_add_f32 v11, v11, v23 :: v_dual_fmac_f32 v43, v245, v164
	v_fma_f32 v27, v244, v164, -v27
	v_dual_mul_f32 v47, v248, v169 :: v_dual_mul_f32 v49, v250, v171
	v_add_f32_e32 v9, v9, v41
	s_delay_alu instid0(VALU_DEP_4) | instskip(NEXT) | instid1(VALU_DEP_3)
	v_dual_add_f32 v11, v11, v25 :: v_dual_fma_f32 v13, v246, v166, -v13
	v_dual_fmac_f32 v45, v247, v166 :: v_dual_fmac_f32 v47, v249, v168
	s_delay_alu instid0(VALU_DEP_3) | instskip(NEXT) | instid1(VALU_DEP_3)
	v_add_f32_e32 v9, v9, v43
	v_dual_add_f32 v11, v11, v27 :: v_dual_fma_f32 v15, v248, v168, -v15
	v_dual_mul_f32 v51, v252, v173 :: v_dual_mul_f32 v53, v254, v175
	s_delay_alu instid0(VALU_DEP_3) | instskip(NEXT) | instid1(VALU_DEP_3)
	v_add_f32_e32 v9, v9, v45
	v_dual_add_f32 v11, v11, v13 :: v_dual_fma_f32 v13, v250, v170, -v17
	v_fmac_f32_e32 v49, v251, v170
	s_wait_loadcnt 0x5
	v_dual_mul_f32 v25, v195, v179 :: v_dual_mov_b32 v130, v181
	v_add_f32_e32 v9, v9, v47
	s_wait_loadcnt 0x4
	v_dual_add_f32 v11, v11, v15 :: v_dual_mov_b32 v134, v185
	v_fmac_f32_e32 v51, v253, v172
	s_delay_alu instid0(VALU_DEP_3) | instskip(NEXT) | instid1(VALU_DEP_3)
	v_dual_fma_f32 v15, v252, v172, -v19 :: v_dual_add_f32 v9, v9, v49
	v_add_f32_e32 v11, v11, v13
	s_set_vgpr_msb 1                        ;  msbs: dst=0 src0=1 src1=0 src2=0
	v_mul_f32_e32 v23, v1 /*v257*/, v177
	s_set_vgpr_msb 0x41                     ;  msbs: dst=1 src0=1 src1=0 src2=0
	v_mul_f32_e32 v17 /*v273*/, v0 /*v256*/, v177
	s_set_vgpr_msb 0                        ;  msbs: dst=0 src0=0 src1=0 src2=0
	v_dual_fmac_f32 v53, v255, v174 :: v_dual_add_f32 v9, v9, v51
	v_dual_fma_f32 v13, v254, v174, -v21 :: v_dual_add_f32 v11, v11, v15
	s_set_vgpr_msb 1                        ;  msbs: dst=0 src0=1 src1=0 src2=0
	v_pk_mul_f32 v[130:131], v[8:9] /*v[264:265]*/, v[130:131] op_sel_hi:[1,0]
	s_set_vgpr_msb 64                       ;  msbs: dst=1 src0=0 src1=0 src2=0
	v_dual_mul_f32 v19 /*v275*/, v194, v179 :: v_dual_fma_f32 v18 /*v274*/, v194, v178, -v25
	s_set_vgpr_msb 0x41                     ;  msbs: dst=1 src0=1 src1=0 src2=0
	v_fma_f32 v16 /*v272*/, v0 /*v256*/, v176, -v23
	v_fmac_f32_e32 v17 /*v273*/, v1 /*v257*/, v176
	s_wait_loadcnt 0x3
	s_set_vgpr_msb 0                        ;  msbs: dst=0 src0=0 src1=0 src2=0
	v_dual_add_f32 v138, v11, v13 :: v_dual_mov_b32 v140, v189
	v_pk_fma_f32 v[142:143], v[196:197], v[180:181], v[130:131] op_sel_hi:[1,0,1]
	v_add_f32_e32 v139, v9, v53
	v_pk_fma_f32 v[130:131], v[196:197], v[180:181], v[130:131] neg_lo:[0,0,1] neg_hi:[0,0,1]
	v_pk_mul_f32 v[132:133], v[198:199], v[182:183] op_sel:[1,1] op_sel_hi:[0,1]
	s_set_vgpr_msb 64                       ;  msbs: dst=1 src0=0 src1=0 src2=0
	v_fmac_f32_e32 v19 /*v275*/, v195, v178
	s_set_vgpr_msb 4                        ;  msbs: dst=0 src0=0 src1=1 src2=0
	v_mov_b32_e32 v131, v143
	v_pk_add_f32 v[138:139], v[138:139], v[16:17] /*v[272:273]*/
	s_set_vgpr_msb 1                        ;  msbs: dst=0 src0=1 src1=0 src2=0
	v_pk_mul_f32 v[134:135], v[10:11] /*v[266:267]*/, v[134:135] op_sel_hi:[1,0]
	s_set_vgpr_msb 0                        ;  msbs: dst=0 src0=0 src1=0 src2=0
	v_pk_fma_f32 v[144:145], v[198:199], v[182:183], v[132:133] op_sel_hi:[1,0,1]
	v_pk_fma_f32 v[132:133], v[198:199], v[182:183], v[132:133] neg_lo:[0,0,1] neg_hi:[0,0,1]
	v_pk_mul_f32 v[136:137], v[202:203], v[186:187] op_sel:[1,1] op_sel_hi:[0,1]
	s_set_vgpr_msb 4                        ;  msbs: dst=0 src0=0 src1=1 src2=0
	v_pk_add_f32 v[138:139], v[138:139], v[18:19] /*v[274:275]*/
	s_set_vgpr_msb 1                        ;  msbs: dst=0 src0=1 src1=0 src2=0
	v_pk_mul_f32 v[140:141], v[12:13] /*v[268:269]*/, v[140:141] op_sel_hi:[1,0]
	s_set_vgpr_msb 0                        ;  msbs: dst=0 src0=0 src1=0 src2=0
	v_mov_b32_e32 v133, v145
	v_pk_fma_f32 v[144:145], v[200:201], v[184:185], v[134:135] op_sel_hi:[1,0,1]
	v_pk_fma_f32 v[134:135], v[200:201], v[184:185], v[134:135] neg_lo:[0,0,1] neg_hi:[0,0,1]
	v_pk_add_f32 v[130:131], v[138:139], v[130:131]
	v_pk_fma_f32 v[138:139], v[202:203], v[186:187], v[136:137] op_sel_hi:[1,0,1]
	v_pk_fma_f32 v[136:137], v[202:203], v[186:187], v[136:137] neg_lo:[0,0,1] neg_hi:[0,0,1]
	v_mov_b32_e32 v135, v145
	s_wait_loadcnt 0x2
	v_pk_mul_f32 v[142:143], v[206:207], v[190:191] op_sel:[1,1] op_sel_hi:[0,1]
	v_pk_add_f32 v[130:131], v[130:131], v[132:133]
	v_dual_mov_b32 v132, v193 :: v_dual_mov_b32 v137, v139
	v_pk_fma_f32 v[138:139], v[204:205], v[188:189], v[140:141] op_sel_hi:[1,0,1]
	v_pk_fma_f32 v[140:141], v[204:205], v[188:189], v[140:141] neg_lo:[0,0,1] neg_hi:[0,0,1]
	s_delay_alu instid0(VALU_DEP_4)
	v_pk_add_f32 v[130:131], v[130:131], v[134:135]
	v_pk_fma_f32 v[134:135], v[206:207], v[190:191], v[142:143] op_sel_hi:[1,0,1]
	s_set_vgpr_msb 1                        ;  msbs: dst=0 src0=1 src1=0 src2=0
	v_pk_mul_f32 v[132:133], v[14:15] /*v[270:271]*/, v[132:133] op_sel_hi:[1,0]
	s_set_vgpr_msb 0                        ;  msbs: dst=0 src0=0 src1=0 src2=0
	v_mov_b32_e32 v141, v139
	s_wait_loadcnt_dscnt 0x100
	s_set_vgpr_msb 5                        ;  msbs: dst=0 src0=1 src1=1 src2=0
	v_pk_mul_f32 v[138:139], v[6:7] /*v[262:263]*/, v[2:3] /*v[258:259]*/ op_sel:[1,1] op_sel_hi:[0,1]
	s_set_vgpr_msb 0                        ;  msbs: dst=0 src0=0 src1=0 src2=0
	v_pk_add_f32 v[130:131], v[130:131], v[136:137]
	v_pk_fma_f32 v[136:137], v[206:207], v[190:191], v[142:143] neg_lo:[0,0,1] neg_hi:[0,0,1]
	v_mov_b32_e32 v137, v135
	v_pk_fma_f32 v[134:135], v[208:209], v[192:193], v[132:133] op_sel_hi:[1,0,1]
	v_pk_fma_f32 v[132:133], v[208:209], v[192:193], v[132:133] neg_lo:[0,0,1] neg_hi:[0,0,1]
	v_pk_add_f32 v[130:131], v[130:131], v[140:141]
	s_delay_alu instid0(VALU_DEP_3)
	v_mov_b32_e32 v133, v135
	s_set_vgpr_msb 5                        ;  msbs: dst=0 src0=1 src1=1 src2=0
	v_pk_fma_f32 v[134:135], v[6:7] /*v[262:263]*/, v[2:3] /*v[258:259]*/, v[138:139] op_sel_hi:[1,0,1]
	s_set_vgpr_msb 0                        ;  msbs: dst=0 src0=0 src1=0 src2=0
	v_pk_add_f32 v[130:131], v[130:131], v[136:137]
	s_set_vgpr_msb 5                        ;  msbs: dst=0 src0=1 src1=1 src2=0
	v_pk_fma_f32 v[136:137], v[6:7] /*v[262:263]*/, v[2:3] /*v[258:259]*/, v[138:139] neg_lo:[0,0,1] neg_hi:[0,0,1]
	s_set_vgpr_msb 0                        ;  msbs: dst=0 src0=0 src1=0 src2=0
	v_mov_b32_e32 v137, v135
	v_pk_add_f32 v[130:131], v[130:131], v[132:133]
	s_delay_alu instid0(VALU_DEP_1) | instskip(SKIP_2) | instid1(VALU_DEP_1)
	v_pk_add_f32 v[130:131], v[130:131], v[136:137]
	s_wait_loadcnt 0x0
	s_set_vgpr_msb 1                        ;  msbs: dst=0 src0=1 src1=0 src2=0
	v_pk_add_f32 v[130:131], v[4:5] /*v[260:261]*/, v[130:131] neg_lo:[0,1] neg_hi:[0,1]
	scratch_store_b64 off, v[130:131], off offset:240
	s_wait_xcnt 0x0
	v_cmpx_lt_u32_e32 29, v0
	s_set_vgpr_msb 0                        ;  msbs: dst=0 src0=0 src1=0 src2=0
	s_cbranch_execz .LBB63_339
; %bb.338:
	scratch_load_b64 v[130:131], off, off offset:232
	v_mov_b64_e32 v[132:133], 0
	scratch_store_b64 off, v[132:133], off offset:232
	s_wait_loadcnt 0x0
	ds_store_b64 v1, v[130:131]
.LBB63_339:
	s_wait_xcnt 0x0
	s_or_b32 exec_lo, exec_lo, s0
	s_wait_storecnt_dscnt 0x0
	s_barrier_signal -1
	s_barrier_wait -1
	s_clause 0x12
	scratch_load_b128 v[130:133], off, off offset:240
	scratch_load_b128 v[134:137], off, off offset:256
	;; [unrolled: 1-line block ×17, first 2 shown]
	s_set_vgpr_msb 64                       ;  msbs: dst=1 src0=0 src1=0 src2=0
	scratch_load_b64 v[10:11] /*v[266:267]*/, off, off offset:232
	s_set_vgpr_msb 0                        ;  msbs: dst=0 src0=0 src1=0 src2=0
	ds_load_b128 v[198:201], v7 offset:960
	ds_load_b128 v[202:205], v7 offset:976
	;; [unrolled: 1-line block ×15, first 2 shown]
	s_set_vgpr_msb 64                       ;  msbs: dst=1 src0=0 src1=0 src2=0
	ds_load_b128 v[2:5] /*v[258:261]*/, v7 offset:912
	ds_load_b128 v[6:9] /*v[262:265]*/, v7 offset:928
	s_mov_b32 s0, exec_lo
	s_wait_dscnt 0x10
	v_dual_mov_b32 v12 /*v268*/, v201 :: v_dual_mov_b32 v13 /*v269*/, v200
	s_wait_dscnt 0xf
	v_dual_mov_b32 v14 /*v270*/, v205 :: v_dual_mov_b32 v15 /*v271*/, v204
	;; [unrolled: 2-line block ×4, first 2 shown]
	s_wait_loadcnt_dscnt 0x110b
	s_set_vgpr_msb 0                        ;  msbs: dst=0 src0=0 src1=0 src2=0
	v_dual_mul_f32 v7, v218, v131 :: v_dual_mul_f32 v9, v220, v133
	s_wait_loadcnt_dscnt 0x100a
	v_dual_mul_f32 v55, v219, v131 :: v_dual_mul_f32 v61, v225, v137
	s_wait_loadcnt_dscnt 0xf09
	v_dual_mul_f32 v63, v227, v139 :: v_dual_mul_f32 v57, v221, v133
	v_dual_fmac_f32 v7, v219, v130 :: v_dual_fmac_f32 v9, v221, v132
	s_delay_alu instid0(VALU_DEP_3)
	v_fma_f32 v55, v218, v130, -v55
	s_wait_loadcnt_dscnt 0x802
	v_mul_f32_e32 v43, v254, v167
	v_dual_mul_f32 v11, v222, v135 :: v_dual_mul_f32 v13, v224, v137
	s_wait_loadcnt_dscnt 0x600
	s_set_vgpr_msb 1                        ;  msbs: dst=0 src0=1 src1=0 src2=0
	v_dual_mul_f32 v53, v8 /*v264*/, v177 :: v_dual_add_f32 v7, 0, v7
	s_set_vgpr_msb 0                        ;  msbs: dst=0 src0=0 src1=0 src2=0
	v_dual_mul_f32 v59, v223, v135 :: v_dual_mul_f32 v65, v229, v141
	v_dual_mul_f32 v67, v231, v143 :: v_dual_fma_f32 v57, v220, v132, -v57
	v_dual_add_f32 v55, 0, v55 :: v_dual_mul_f32 v69, v233, v145
	v_dual_fmac_f32 v11, v223, v134 :: v_dual_fmac_f32 v13, v225, v136
	s_delay_alu instid0(VALU_DEP_4) | instskip(NEXT) | instid1(VALU_DEP_3)
	v_dual_fma_f32 v59, v222, v134, -v59 :: v_dual_add_f32 v7, v7, v9
	v_dual_add_f32 v9, v55, v57 :: v_dual_fma_f32 v57, v224, v136, -v61
	v_dual_mul_f32 v15, v226, v139 :: v_dual_mul_f32 v17, v228, v141
	s_delay_alu instid0(VALU_DEP_3) | instskip(NEXT) | instid1(VALU_DEP_3)
	v_add_f32_e32 v7, v7, v11
	v_dual_add_f32 v9, v9, v59 :: v_dual_fma_f32 v59, v226, v138, -v63
	s_delay_alu instid0(VALU_DEP_3) | instskip(SKIP_1) | instid1(VALU_DEP_4)
	v_dual_fmac_f32 v15, v227, v138 :: v_dual_mul_f32 v19, v230, v143
	v_mul_f32_e32 v21, v232, v145
	v_dual_add_f32 v7, v7, v13 :: v_dual_fmac_f32 v17, v229, v140
	s_delay_alu instid0(VALU_DEP_4) | instskip(NEXT) | instid1(VALU_DEP_2)
	v_dual_add_f32 v9, v9, v57 :: v_dual_mul_f32 v13, v239, v151
	v_dual_fma_f32 v57, v228, v140, -v65 :: v_dual_add_f32 v7, v7, v15
	v_mul_f32_e32 v15, v241, v153
	s_delay_alu instid0(VALU_DEP_3) | instskip(NEXT) | instid1(VALU_DEP_3)
	v_dual_add_f32 v9, v9, v59 :: v_dual_fmac_f32 v19, v231, v142
	v_dual_fma_f32 v59, v230, v142, -v67 :: v_dual_add_f32 v7, v7, v17
	v_fmac_f32_e32 v21, v233, v144
	s_delay_alu instid0(VALU_DEP_3) | instskip(SKIP_3) | instid1(VALU_DEP_3)
	v_dual_add_f32 v9, v9, v57 :: v_dual_mul_f32 v17, v243, v155
	v_dual_mul_f32 v23, v234, v147 :: v_dual_mul_f32 v25, v236, v149
	v_dual_mul_f32 v55, v235, v147 :: v_dual_mul_f32 v11, v237, v149
	v_dual_fma_f32 v57, v232, v144, -v69 :: v_dual_add_f32 v7, v7, v19
	v_dual_add_f32 v9, v9, v59 :: v_dual_fmac_f32 v23, v235, v146
	s_delay_alu instid0(VALU_DEP_3) | instskip(NEXT) | instid1(VALU_DEP_3)
	v_dual_mul_f32 v19, v245, v157 :: v_dual_fma_f32 v55, v234, v146, -v55
	v_dual_add_f32 v7, v7, v21 :: v_dual_fmac_f32 v25, v237, v148
	s_delay_alu instid0(VALU_DEP_3) | instskip(SKIP_1) | instid1(VALU_DEP_3)
	v_dual_add_f32 v9, v9, v57 :: v_dual_mul_f32 v21, v247, v159
	v_dual_mul_f32 v27, v238, v151 :: v_dual_mul_f32 v29, v240, v153
	v_dual_fma_f32 v11, v236, v148, -v11 :: v_dual_add_f32 v7, v7, v23
	s_delay_alu instid0(VALU_DEP_2) | instskip(SKIP_1) | instid1(VALU_DEP_2)
	v_dual_add_f32 v9, v9, v55 :: v_dual_fmac_f32 v27, v239, v150
	v_dual_mul_f32 v23, v249, v161 :: v_dual_fma_f32 v13, v238, v150, -v13
	v_dual_add_f32 v7, v7, v25 :: v_dual_add_f32 v9, v9, v11
	v_dual_mul_f32 v31, v242, v155 :: v_dual_mul_f32 v33, v244, v157
	v_dual_mul_f32 v11, v251, v163 :: v_dual_fmac_f32 v29, v241, v152
	s_delay_alu instid0(VALU_DEP_3) | instskip(NEXT) | instid1(VALU_DEP_3)
	v_dual_fma_f32 v15, v240, v152, -v15 :: v_dual_add_f32 v7, v7, v27
	v_dual_add_f32 v9, v9, v13 :: v_dual_fmac_f32 v31, v243, v154
	v_dual_mul_f32 v13, v253, v165 :: v_dual_fma_f32 v17, v242, v154, -v17
	s_delay_alu instid0(VALU_DEP_2) | instskip(SKIP_2) | instid1(VALU_DEP_3)
	v_dual_add_f32 v7, v7, v29 :: v_dual_add_f32 v9, v9, v15
	v_dual_mul_f32 v35, v246, v159 :: v_dual_mul_f32 v37, v248, v161
	v_dual_mul_f32 v15, v255, v167 :: v_dual_fmac_f32 v33, v245, v156
	v_dual_fma_f32 v19, v244, v156, -v19 :: v_dual_add_f32 v7, v7, v31
	s_delay_alu instid0(VALU_DEP_3) | instskip(SKIP_2) | instid1(VALU_DEP_3)
	v_dual_add_f32 v9, v9, v17 :: v_dual_fmac_f32 v35, v247, v158
	v_fma_f32 v21, v246, v158, -v21
	v_dual_mul_f32 v39, v250, v163 :: v_dual_mul_f32 v41, v252, v165
	v_dual_add_f32 v7, v7, v33 :: v_dual_add_f32 v9, v9, v19
	v_dual_fma_f32 v23, v248, v160, -v23 :: v_dual_fmac_f32 v37, v249, v160
	s_delay_alu instid0(VALU_DEP_3) | instskip(NEXT) | instid1(VALU_DEP_3)
	v_fmac_f32_e32 v39, v251, v162
	v_dual_add_f32 v7, v7, v35 :: v_dual_add_f32 v9, v9, v21
	v_dual_fma_f32 v11, v250, v162, -v11 :: v_dual_fma_f32 v13, v252, v164, -v13
	s_set_vgpr_msb 1                        ;  msbs: dst=0 src0=1 src1=0 src2=0
	v_dual_mul_f32 v45, v0 /*v256*/, v169 :: v_dual_mul_f32 v47, v2 /*v258*/, v171
	s_set_vgpr_msb 0                        ;  msbs: dst=0 src0=0 src1=0 src2=0
	v_dual_add_f32 v7, v7, v37 :: v_dual_add_f32 v9, v9, v23
	v_fmac_f32_e32 v41, v253, v164
	s_set_vgpr_msb 1                        ;  msbs: dst=0 src0=1 src1=0 src2=0
	v_dual_mul_f32 v17, v1 /*v257*/, v169 :: v_dual_mul_f32 v19, v3 /*v259*/, v171
	s_set_vgpr_msb 0                        ;  msbs: dst=0 src0=0 src1=0 src2=0
	v_add_f32_e32 v7, v7, v39
	v_dual_add_f32 v9, v9, v11 :: v_dual_fmac_f32 v43, v255, v166
	v_fma_f32 v15, v254, v166, -v15
	s_set_vgpr_msb 1                        ;  msbs: dst=0 src0=1 src1=0 src2=0
	v_dual_mul_f32 v11, v9 /*v265*/, v177 :: v_dual_fma_f32 v17, v0 /*v256*/, v168, -v17
	s_set_vgpr_msb 0                        ;  msbs: dst=0 src0=0 src1=0 src2=0
	v_add_f32_e32 v7, v7, v41
	s_wait_loadcnt 0x5
	v_dual_add_f32 v9, v9, v13 :: v_dual_mul_f32 v13, v215, v179
	s_set_vgpr_msb 1                        ;  msbs: dst=0 src0=1 src1=0 src2=0
	v_dual_fmac_f32 v45, v1 /*v257*/, v168 :: v_dual_fmac_f32 v47, v3 /*v259*/, v170
	s_set_vgpr_msb 0                        ;  msbs: dst=0 src0=0 src1=0 src2=0
	v_add_f32_e32 v7, v7, v43
	v_add_f32_e32 v9, v9, v15
	s_set_vgpr_msb 1                        ;  msbs: dst=0 src0=1 src1=0 src2=0
	v_dual_mul_f32 v49, v4 /*v260*/, v173 :: v_dual_mul_f32 v51, v6 /*v262*/, v175
	v_dual_mul_f32 v21, v5 /*v261*/, v173 :: v_dual_mul_f32 v23, v7 /*v263*/, v175
	s_set_vgpr_msb 0                        ;  msbs: dst=0 src0=0 src1=0 src2=0
	v_mul_f32_e32 v15, v217, v181
	s_set_vgpr_msb 1                        ;  msbs: dst=0 src0=1 src1=0 src2=0
	v_dual_fma_f32 v19, v2 /*v258*/, v170, -v19 :: v_dual_fmac_f32 v49, v5 /*v261*/, v172
	s_set_vgpr_msb 0                        ;  msbs: dst=0 src0=0 src1=0 src2=0
	v_add_f32_e32 v7, v7, v45
	v_add_f32_e32 v9, v9, v17
	s_set_vgpr_msb 1                        ;  msbs: dst=0 src0=1 src1=0 src2=0
	v_dual_fma_f32 v17, v4 /*v260*/, v172, -v21 :: v_dual_fmac_f32 v51, v7 /*v263*/, v174
	s_set_vgpr_msb 64                       ;  msbs: dst=1 src0=0 src1=0 src2=0
	v_dual_mul_f32 v21 /*v277*/, v214, v179 :: v_dual_mul_f32 v23 /*v279*/, v216, v181
	s_set_vgpr_msb 0                        ;  msbs: dst=0 src0=0 src1=0 src2=0
	v_add_f32_e32 v7, v7, v47
	v_add_f32_e32 v9, v9, v19
	s_set_vgpr_msb 1                        ;  msbs: dst=0 src0=1 src1=0 src2=0
	v_dual_fma_f32 v19, v6 /*v262*/, v174, -v23 :: v_dual_fmac_f32 v53, v9 /*v265*/, v176
	v_fma_f32 v11, v8 /*v264*/, v176, -v11
	s_set_vgpr_msb 0                        ;  msbs: dst=0 src0=0 src1=0 src2=0
	v_add_f32_e32 v7, v7, v49
	v_add_f32_e32 v9, v9, v17
	s_wait_loadcnt 0x4
	v_mov_b32_e32 v132, v185
	v_pk_mul_f32 v[130:131], v[198:199], v[182:183] op_sel:[1,1] op_sel_hi:[0,1]
	s_set_vgpr_msb 64                       ;  msbs: dst=1 src0=0 src1=0 src2=0
	v_dual_fmac_f32 v21 /*v277*/, v215, v178 :: v_dual_fmac_f32 v23 /*v279*/, v217, v180
	s_set_vgpr_msb 0                        ;  msbs: dst=0 src0=0 src1=0 src2=0
	v_add_f32_e32 v7, v7, v51
	v_add_f32_e32 v9, v9, v19
	s_set_vgpr_msb 64                       ;  msbs: dst=1 src0=0 src1=0 src2=0
	v_dual_fma_f32 v20 /*v276*/, v214, v178, -v13 :: v_dual_fma_f32 v22 /*v278*/, v216, v180, -v15
	s_set_vgpr_msb 0                        ;  msbs: dst=0 src0=0 src1=0 src2=0
	v_pk_fma_f32 v[140:141], v[198:199], v[182:183], v[130:131] op_sel_hi:[1,0,1]
	v_dual_add_f32 v139, v7, v53 :: v_dual_add_f32 v138, v9, v11
	s_set_vgpr_msb 1                        ;  msbs: dst=0 src0=1 src1=0 src2=0
	v_pk_mul_f32 v[132:133], v[12:13] /*v[268:269]*/, v[132:133] op_sel_hi:[1,0]
	s_set_vgpr_msb 0                        ;  msbs: dst=0 src0=0 src1=0 src2=0
	v_pk_fma_f32 v[130:131], v[198:199], v[182:183], v[130:131] neg_lo:[0,0,1] neg_hi:[0,0,1]
	s_wait_loadcnt 0x3
	v_pk_mul_f32 v[134:135], v[202:203], v[186:187] op_sel:[1,1] op_sel_hi:[0,1]
	v_dual_mov_b32 v136, v189 :: v_dual_mov_b32 v131, v141
	s_set_vgpr_msb 4                        ;  msbs: dst=0 src0=0 src1=1 src2=0
	v_pk_add_f32 v[138:139], v[138:139], v[20:21] /*v[276:277]*/
	s_set_vgpr_msb 0                        ;  msbs: dst=0 src0=0 src1=0 src2=0
	v_pk_fma_f32 v[140:141], v[200:201], v[184:185], v[132:133] op_sel_hi:[1,0,1]
	v_pk_fma_f32 v[132:133], v[200:201], v[184:185], v[132:133] neg_lo:[0,0,1] neg_hi:[0,0,1]
	v_pk_fma_f32 v[144:145], v[202:203], v[186:187], v[134:135] op_sel_hi:[1,0,1]
	s_set_vgpr_msb 1                        ;  msbs: dst=0 src0=1 src1=0 src2=0
	v_pk_mul_f32 v[136:137], v[14:15] /*v[270:271]*/, v[136:137] op_sel_hi:[1,0]
	s_set_vgpr_msb 4                        ;  msbs: dst=0 src0=0 src1=1 src2=0
	v_pk_add_f32 v[138:139], v[138:139], v[22:23] /*v[278:279]*/
	v_mov_b32_e32 v133, v141
	s_wait_loadcnt 0x2
	s_set_vgpr_msb 0                        ;  msbs: dst=0 src0=0 src1=0 src2=0
	v_pk_mul_f32 v[142:143], v[206:207], v[190:191] op_sel:[1,1] op_sel_hi:[0,1]
	v_pk_fma_f32 v[134:135], v[202:203], v[186:187], v[134:135] neg_lo:[0,0,1] neg_hi:[0,0,1]
	v_pk_fma_f32 v[140:141], v[204:205], v[188:189], v[136:137] op_sel_hi:[1,0,1]
	v_pk_add_f32 v[130:131], v[138:139], v[130:131]
	v_dual_mov_b32 v138, v193 :: v_dual_mov_b32 v135, v145
	v_pk_fma_f32 v[136:137], v[204:205], v[188:189], v[136:137] neg_lo:[0,0,1] neg_hi:[0,0,1]
	s_delay_alu instid0(VALU_DEP_4) | instskip(NEXT) | instid1(VALU_DEP_4)
	v_mov_b32_e32 v137, v141
	v_pk_add_f32 v[130:131], v[130:131], v[132:133]
	v_pk_fma_f32 v[132:133], v[206:207], v[190:191], v[142:143] op_sel_hi:[1,0,1]
	s_set_vgpr_msb 1                        ;  msbs: dst=0 src0=1 src1=0 src2=0
	v_pk_mul_f32 v[138:139], v[16:17] /*v[272:273]*/, v[138:139] op_sel_hi:[1,0]
	s_set_vgpr_msb 0                        ;  msbs: dst=0 src0=0 src1=0 src2=0
	v_pk_fma_f32 v[140:141], v[206:207], v[190:191], v[142:143] neg_lo:[0,0,1] neg_hi:[0,0,1]
	v_pk_add_f32 v[130:131], v[130:131], v[134:135]
	v_mov_b32_e32 v141, v133
	v_pk_fma_f32 v[132:133], v[208:209], v[192:193], v[138:139] op_sel_hi:[1,0,1]
	s_wait_loadcnt 0x1
	v_pk_mul_f32 v[134:135], v[210:211], v[194:195] op_sel:[1,1] op_sel_hi:[0,1]
	v_mov_b32_e32 v132, v197
	v_pk_add_f32 v[130:131], v[130:131], v[136:137]
	v_pk_fma_f32 v[138:139], v[208:209], v[192:193], v[138:139] neg_lo:[0,0,1] neg_hi:[0,0,1]
	s_delay_alu instid0(VALU_DEP_4) | instskip(SKIP_1) | instid1(VALU_DEP_4)
	v_pk_fma_f32 v[136:137], v[210:211], v[194:195], v[134:135] op_sel_hi:[1,0,1]
	v_mov_b32_e32 v139, v133
	v_pk_add_f32 v[130:131], v[130:131], v[140:141]
	s_set_vgpr_msb 1                        ;  msbs: dst=0 src0=1 src1=0 src2=0
	v_pk_mul_f32 v[132:133], v[18:19] /*v[274:275]*/, v[132:133] op_sel_hi:[1,0]
	s_set_vgpr_msb 0                        ;  msbs: dst=0 src0=0 src1=0 src2=0
	v_pk_fma_f32 v[134:135], v[210:211], v[194:195], v[134:135] neg_lo:[0,0,1] neg_hi:[0,0,1]
	v_mov_b32_e32 v135, v137
	v_pk_add_f32 v[130:131], v[130:131], v[138:139]
	v_pk_fma_f32 v[136:137], v[212:213], v[196:197], v[132:133] op_sel_hi:[1,0,1]
	v_pk_fma_f32 v[132:133], v[212:213], v[196:197], v[132:133] neg_lo:[0,0,1] neg_hi:[0,0,1]
	s_delay_alu instid0(VALU_DEP_3) | instskip(NEXT) | instid1(VALU_DEP_3)
	v_pk_add_f32 v[130:131], v[130:131], v[134:135]
	v_mov_b32_e32 v133, v137
	s_delay_alu instid0(VALU_DEP_1) | instskip(SKIP_2) | instid1(VALU_DEP_1)
	v_pk_add_f32 v[130:131], v[130:131], v[132:133]
	s_wait_loadcnt 0x0
	s_set_vgpr_msb 1                        ;  msbs: dst=0 src0=1 src1=0 src2=0
	v_pk_add_f32 v[130:131], v[10:11] /*v[266:267]*/, v[130:131] neg_lo:[0,1] neg_hi:[0,1]
	scratch_store_b64 off, v[130:131], off offset:232
	s_wait_xcnt 0x0
	v_cmpx_lt_u32_e32 28, v0
	s_set_vgpr_msb 0                        ;  msbs: dst=0 src0=0 src1=0 src2=0
	s_cbranch_execz .LBB63_341
; %bb.340:
	scratch_load_b64 v[130:131], off, off offset:224
	v_mov_b64_e32 v[132:133], 0
	scratch_store_b64 off, v[132:133], off offset:224
	s_wait_loadcnt 0x0
	ds_store_b64 v1, v[130:131]
.LBB63_341:
	s_wait_xcnt 0x0
	s_or_b32 exec_lo, exec_lo, s0
	s_wait_storecnt_dscnt 0x0
	s_barrier_signal -1
	s_barrier_wait -1
	s_clause 0x13
	scratch_load_b128 v[130:133], off, off offset:232
	scratch_load_b128 v[134:137], off, off offset:248
	;; [unrolled: 1-line block ×17, first 2 shown]
	s_set_vgpr_msb 64                       ;  msbs: dst=1 src0=0 src1=0 src2=0
	scratch_load_b64 v[10:11] /*v[266:267]*/, off, off offset:504
	scratch_load_b64 v[12:13] /*v[268:269]*/, off, off offset:224
	s_set_vgpr_msb 0                        ;  msbs: dst=0 src0=0 src1=0 src2=0
	v_mov_b32_e32 v7, 0
	ds_load_2addr_b64 v[198:201], v7 offset0:119 offset1:120
	ds_load_2addr_b64 v[202:205], v7 offset0:121 offset1:122
	;; [unrolled: 1-line block ×15, first 2 shown]
	s_set_vgpr_msb 64                       ;  msbs: dst=1 src0=0 src1=0 src2=0
	ds_load_2addr_b64 v[2:5] /*v[258:261]*/, v7 offset0:113 offset1:114
	ds_load_2addr_b64 v[6:9] /*v[262:265]*/, v7 offset0:115 offset1:116
	ds_load_b64 v[14:15] /*v[270:271]*/, v7 offset:1016
	s_mov_b32 s0, exec_lo
	s_wait_dscnt 0x11
	v_dual_mov_b32 v16 /*v272*/, v201 :: v_dual_mov_b32 v17 /*v273*/, v200
	s_wait_dscnt 0x10
	v_dual_mov_b32 v18 /*v274*/, v205 :: v_dual_mov_b32 v19 /*v275*/, v204
	;; [unrolled: 2-line block ×4, first 2 shown]
	s_wait_loadcnt_dscnt 0x120c
	s_set_vgpr_msb 0                        ;  msbs: dst=0 src0=0 src1=0 src2=0
	v_dual_mul_f32 v9, v218, v131 :: v_dual_mul_f32 v59, v219, v131
	s_wait_loadcnt_dscnt 0x110b
	v_mul_f32_e32 v65, v225, v137
	v_dual_mul_f32 v11, v220, v133 :: v_dual_mul_f32 v13, v222, v135
	s_wait_loadcnt_dscnt 0x100a
	v_dual_mul_f32 v67, v227, v139 :: v_dual_fma_f32 v59, v218, v130, -v59
	s_delay_alu instid0(VALU_DEP_2)
	v_dual_fmac_f32 v9, v219, v130 :: v_dual_fmac_f32 v11, v221, v132
	v_dual_mul_f32 v61, v221, v133 :: v_dual_mul_f32 v63, v223, v135
	s_wait_loadcnt 0x6
	v_dual_mul_f32 v69, v229, v141 :: v_dual_mul_f32 v57, v210, v179
	s_wait_dscnt 0x1
	s_set_vgpr_msb 1                        ;  msbs: dst=0 src0=1 src1=0 src2=0
	v_dual_mul_f32 v55, v8 /*v264*/, v177 :: v_dual_add_f32 v59, 0, v59
	s_set_vgpr_msb 0                        ;  msbs: dst=0 src0=0 src1=0 src2=0
	v_dual_fma_f32 v61, v220, v132, -v61 :: v_dual_add_f32 v9, 0, v9
	v_dual_mul_f32 v15, v224, v137 :: v_dual_mul_f32 v17, v226, v139
	v_dual_mul_f32 v75, v235, v147 :: v_dual_fma_f32 v63, v222, v134, -v63
	s_delay_alu instid0(VALU_DEP_3) | instskip(NEXT) | instid1(VALU_DEP_3)
	v_dual_fmac_f32 v13, v223, v134 :: v_dual_add_f32 v9, v9, v11
	v_dual_add_f32 v11, v59, v61 :: v_dual_fmac_f32 v15, v225, v136
	v_dual_mul_f32 v59, v237, v149 :: v_dual_fma_f32 v61, v224, v136, -v65
	s_delay_alu instid0(VALU_DEP_2) | instskip(SKIP_2) | instid1(VALU_DEP_3)
	v_dual_add_f32 v9, v9, v13 :: v_dual_add_f32 v11, v11, v63
	v_dual_mul_f32 v19, v228, v141 :: v_dual_mul_f32 v21, v230, v143
	v_dual_mul_f32 v13, v239, v151 :: v_dual_fma_f32 v63, v226, v138, -v67
	v_dual_fmac_f32 v17, v227, v138 :: v_dual_add_f32 v9, v9, v15
	s_delay_alu instid0(VALU_DEP_3) | instskip(SKIP_2) | instid1(VALU_DEP_3)
	v_dual_add_f32 v11, v11, v61 :: v_dual_fmac_f32 v19, v229, v140
	v_dual_mul_f32 v71, v231, v143 :: v_dual_mul_f32 v73, v233, v145
	v_dual_mul_f32 v15, v241, v153 :: v_dual_fma_f32 v61, v228, v140, -v69
	v_dual_add_f32 v9, v9, v17 :: v_dual_add_f32 v11, v11, v63
	v_dual_mul_f32 v23, v232, v145 :: v_dual_mul_f32 v25, v234, v147
	s_delay_alu instid0(VALU_DEP_4) | instskip(NEXT) | instid1(VALU_DEP_3)
	v_dual_mul_f32 v17, v243, v155 :: v_dual_fma_f32 v63, v230, v142, -v71
	v_dual_fmac_f32 v21, v231, v142 :: v_dual_add_f32 v9, v9, v19
	s_delay_alu instid0(VALU_DEP_3) | instskip(SKIP_1) | instid1(VALU_DEP_2)
	v_dual_add_f32 v11, v11, v61 :: v_dual_fmac_f32 v23, v233, v144
	v_dual_mul_f32 v19, v245, v157 :: v_dual_fma_f32 v61, v232, v144, -v73
	v_dual_add_f32 v9, v9, v21 :: v_dual_add_f32 v11, v11, v63
	v_dual_mul_f32 v27, v236, v149 :: v_dual_mul_f32 v29, v238, v151
	v_dual_mul_f32 v21, v247, v159 :: v_dual_fma_f32 v63, v234, v146, -v75
	s_delay_alu instid0(VALU_DEP_3) | instskip(NEXT) | instid1(VALU_DEP_3)
	v_dual_fmac_f32 v25, v235, v146 :: v_dual_add_f32 v9, v9, v23
	v_dual_add_f32 v11, v11, v61 :: v_dual_fmac_f32 v27, v237, v148
	v_dual_mul_f32 v23, v249, v161 :: v_dual_fma_f32 v59, v236, v148, -v59
	s_delay_alu instid0(VALU_DEP_2) | instskip(SKIP_2) | instid1(VALU_DEP_3)
	v_dual_add_f32 v9, v9, v25 :: v_dual_add_f32 v11, v11, v63
	v_dual_mul_f32 v31, v240, v153 :: v_dual_mul_f32 v33, v242, v155
	v_dual_mul_f32 v25, v251, v163 :: v_dual_fma_f32 v13, v238, v150, -v13
	v_dual_fmac_f32 v29, v239, v150 :: v_dual_add_f32 v9, v9, v27
	s_delay_alu instid0(VALU_DEP_4) | instskip(NEXT) | instid1(VALU_DEP_4)
	v_dual_add_f32 v11, v11, v59 :: v_dual_mul_f32 v27, v253, v165
	v_fmac_f32_e32 v31, v241, v152
	s_delay_alu instid0(VALU_DEP_3) | instskip(NEXT) | instid1(VALU_DEP_3)
	v_dual_fma_f32 v15, v240, v152, -v15 :: v_dual_add_f32 v9, v9, v29
	v_add_f32_e32 v11, v11, v13
	v_dual_mul_f32 v35, v244, v157 :: v_dual_mul_f32 v37, v246, v159
	v_dual_mul_f32 v13, v255, v167 :: v_dual_fma_f32 v17, v242, v154, -v17
	s_delay_alu instid0(VALU_DEP_4) | instskip(NEXT) | instid1(VALU_DEP_3)
	v_dual_fmac_f32 v33, v243, v154 :: v_dual_add_f32 v9, v9, v31
	v_dual_add_f32 v11, v11, v15 :: v_dual_fmac_f32 v35, v245, v156
	v_fma_f32 v19, v244, v156, -v19
	v_dual_mul_f32 v39, v248, v161 :: v_dual_mul_f32 v41, v250, v163
	s_delay_alu instid0(VALU_DEP_4) | instskip(NEXT) | instid1(VALU_DEP_4)
	v_add_f32_e32 v9, v9, v33
	v_dual_add_f32 v11, v11, v17 :: v_dual_fma_f32 v21, v246, v158, -v21
	s_delay_alu instid0(VALU_DEP_3) | instskip(NEXT) | instid1(VALU_DEP_3)
	v_dual_fmac_f32 v37, v247, v158 :: v_dual_fmac_f32 v39, v249, v160
	v_add_f32_e32 v9, v9, v35
	s_delay_alu instid0(VALU_DEP_3) | instskip(SKIP_1) | instid1(VALU_DEP_3)
	v_dual_add_f32 v11, v11, v19 :: v_dual_fma_f32 v23, v248, v160, -v23
	v_dual_mul_f32 v43, v252, v165 :: v_dual_mul_f32 v45, v254, v167
	v_add_f32_e32 v9, v9, v37
	s_delay_alu instid0(VALU_DEP_3) | instskip(NEXT) | instid1(VALU_DEP_3)
	v_dual_add_f32 v11, v11, v21 :: v_dual_fma_f32 v25, v250, v162, -v25
	v_dual_fmac_f32 v41, v251, v162 :: v_dual_fmac_f32 v43, v253, v164
	s_delay_alu instid0(VALU_DEP_3) | instskip(NEXT) | instid1(VALU_DEP_3)
	v_add_f32_e32 v9, v9, v39
	v_dual_add_f32 v11, v11, v23 :: v_dual_fma_f32 v27, v252, v164, -v27
	s_set_vgpr_msb 1                        ;  msbs: dst=0 src0=1 src1=0 src2=0
	v_dual_mul_f32 v47, v0 /*v256*/, v169 :: v_dual_mul_f32 v49, v2 /*v258*/, v171
	s_set_vgpr_msb 0                        ;  msbs: dst=0 src0=0 src1=0 src2=0
	v_add_f32_e32 v9, v9, v41
	v_dual_add_f32 v11, v11, v25 :: v_dual_fma_f32 v13, v254, v166, -v13
	s_set_vgpr_msb 1                        ;  msbs: dst=0 src0=1 src1=0 src2=0
	v_dual_mul_f32 v15, v1 /*v257*/, v169 :: v_dual_mul_f32 v17, v3 /*v259*/, v171
	s_set_vgpr_msb 0                        ;  msbs: dst=0 src0=0 src1=0 src2=0
	v_dual_fmac_f32 v45, v255, v166 :: v_dual_add_f32 v9, v9, v43
	v_add_f32_e32 v11, v11, v27
	s_set_vgpr_msb 1                        ;  msbs: dst=0 src0=1 src1=0 src2=0
	v_dual_mul_f32 v23, v9 /*v265*/, v177 :: v_dual_fma_f32 v15, v0 /*v256*/, v168, -v15
	v_dual_fmac_f32 v47, v1 /*v257*/, v168 :: v_dual_fmac_f32 v49, v3 /*v259*/, v170
	s_set_vgpr_msb 0                        ;  msbs: dst=0 src0=0 src1=0 src2=0
	v_add_f32_e32 v9, v9, v45
	v_add_f32_e32 v11, v11, v13
	s_set_vgpr_msb 1                        ;  msbs: dst=0 src0=1 src1=0 src2=0
	v_dual_mul_f32 v51, v4 /*v260*/, v173 :: v_dual_mul_f32 v53, v6 /*v262*/, v175
	v_dual_mul_f32 v19, v5 /*v261*/, v173 :: v_dual_mul_f32 v21, v7 /*v263*/, v175
	s_delay_alu instid0(VALU_DEP_2)
	v_dual_fma_f32 v17, v2 /*v258*/, v170, -v17 :: v_dual_fmac_f32 v51, v5 /*v261*/, v172
	s_set_vgpr_msb 0                        ;  msbs: dst=0 src0=0 src1=0 src2=0
	v_add_f32_e32 v9, v9, v47
	v_add_f32_e32 v11, v11, v15
	s_set_vgpr_msb 1                        ;  msbs: dst=0 src0=1 src1=0 src2=0
	v_dual_fma_f32 v15, v4 /*v260*/, v172, -v19 :: v_dual_fmac_f32 v53, v7 /*v263*/, v174
	s_set_vgpr_msb 0                        ;  msbs: dst=0 src0=0 src1=0 src2=0
	v_dual_mul_f32 v25, v211, v179 :: v_dual_mul_f32 v27, v213, v181
	v_add_f32_e32 v9, v9, v49
	v_add_f32_e32 v11, v11, v17
	s_set_vgpr_msb 1                        ;  msbs: dst=0 src0=1 src1=0 src2=0
	v_dual_fma_f32 v17, v6 /*v262*/, v174, -v21 :: v_dual_fmac_f32 v55, v9 /*v265*/, v176
	s_wait_loadcnt 0x4
	s_set_vgpr_msb 0                        ;  msbs: dst=0 src0=0 src1=0 src2=0
	v_mov_b32_e32 v134, v189
	v_add_f32_e32 v9, v9, v51
	v_add_f32_e32 v11, v11, v15
	s_set_vgpr_msb 1                        ;  msbs: dst=0 src0=1 src1=0 src2=0
	v_fma_f32 v15, v8 /*v264*/, v176, -v23
	s_set_vgpr_msb 64                       ;  msbs: dst=1 src0=0 src1=0 src2=0
	v_dual_mul_f32 v25 /*v281*/, v212, v181 :: v_dual_mul_f32 v27 /*v283*/, v198, v183
	s_set_vgpr_msb 0                        ;  msbs: dst=0 src0=0 src1=0 src2=0
	v_dual_add_f32 v9, v9, v53 :: v_dual_fmac_f32 v57, v211, v178
	v_dual_add_f32 v11, v11, v17 :: v_dual_fma_f32 v17, v210, v178, -v25
	v_dual_mul_f32 v13, v199, v183 :: v_dual_mov_b32 v130, v185
	s_set_vgpr_msb 64                       ;  msbs: dst=1 src0=0 src1=0 src2=0
	v_dual_fmac_f32 v25 /*v281*/, v213, v180 :: v_dual_fmac_f32 v27 /*v283*/, v199, v182
	s_set_vgpr_msb 0                        ;  msbs: dst=0 src0=0 src1=0 src2=0
	v_add_f32_e32 v11, v11, v15
	v_add_f32_e32 v9, v9, v55
	s_set_vgpr_msb 64                       ;  msbs: dst=1 src0=0 src1=0 src2=0
	v_dual_fma_f32 v24 /*v280*/, v212, v180, -v27 :: v_dual_fma_f32 v26 /*v282*/, v198, v182, -v13
	s_set_vgpr_msb 1                        ;  msbs: dst=0 src0=1 src1=0 src2=0
	v_pk_mul_f32 v[130:131], v[16:17] /*v[272:273]*/, v[130:131] op_sel_hi:[1,0]
	s_set_vgpr_msb 0                        ;  msbs: dst=0 src0=0 src1=0 src2=0
	v_add_f32_e32 v138, v11, v17
	v_add_f32_e32 v139, v9, v57
	v_pk_mul_f32 v[132:133], v[202:203], v[186:187] op_sel:[1,1] op_sel_hi:[0,1]
	s_set_vgpr_msb 1                        ;  msbs: dst=0 src0=1 src1=0 src2=0
	v_pk_mul_f32 v[134:135], v[18:19] /*v[274:275]*/, v[134:135] op_sel_hi:[1,0]
	s_set_vgpr_msb 0                        ;  msbs: dst=0 src0=0 src1=0 src2=0
	v_pk_fma_f32 v[142:143], v[200:201], v[184:185], v[130:131] op_sel_hi:[1,0,1]
	v_pk_fma_f32 v[130:131], v[200:201], v[184:185], v[130:131] neg_lo:[0,0,1] neg_hi:[0,0,1]
	s_set_vgpr_msb 4                        ;  msbs: dst=0 src0=0 src1=1 src2=0
	v_pk_add_f32 v[138:139], v[138:139], v[24:25] /*v[280:281]*/
	s_wait_loadcnt 0x3
	v_mov_b32_e32 v140, v193
	s_set_vgpr_msb 0                        ;  msbs: dst=0 src0=0 src1=0 src2=0
	v_pk_fma_f32 v[144:145], v[202:203], v[186:187], v[132:133] op_sel_hi:[1,0,1]
	v_mov_b32_e32 v131, v143
	v_pk_fma_f32 v[132:133], v[202:203], v[186:187], v[132:133] neg_lo:[0,0,1] neg_hi:[0,0,1]
	s_set_vgpr_msb 4                        ;  msbs: dst=0 src0=0 src1=1 src2=0
	v_pk_add_f32 v[138:139], v[138:139], v[26:27] /*v[282:283]*/
	s_set_vgpr_msb 0                        ;  msbs: dst=0 src0=0 src1=0 src2=0
	v_pk_mul_f32 v[136:137], v[206:207], v[190:191] op_sel:[1,1] op_sel_hi:[0,1]
	v_mov_b32_e32 v133, v145
	v_pk_fma_f32 v[144:145], v[204:205], v[188:189], v[134:135] op_sel_hi:[1,0,1]
	v_pk_fma_f32 v[134:135], v[204:205], v[188:189], v[134:135] neg_lo:[0,0,1] neg_hi:[0,0,1]
	v_pk_add_f32 v[130:131], v[138:139], v[130:131]
	v_pk_fma_f32 v[138:139], v[206:207], v[190:191], v[136:137] op_sel_hi:[1,0,1]
	s_set_vgpr_msb 1                        ;  msbs: dst=0 src0=1 src1=0 src2=0
	v_pk_mul_f32 v[140:141], v[20:21] /*v[276:277]*/, v[140:141] op_sel_hi:[1,0]
	s_set_vgpr_msb 0                        ;  msbs: dst=0 src0=0 src1=0 src2=0
	v_mov_b32_e32 v135, v145
	v_pk_fma_f32 v[136:137], v[206:207], v[190:191], v[136:137] neg_lo:[0,0,1] neg_hi:[0,0,1]
	v_pk_add_f32 v[130:131], v[130:131], v[132:133]
	s_wait_loadcnt 0x2
	v_pk_mul_f32 v[142:143], v[214:215], v[194:195] op_sel:[1,1] op_sel_hi:[0,1]
	v_dual_mov_b32 v132, v197 :: v_dual_mov_b32 v137, v139
	v_pk_fma_f32 v[138:139], v[208:209], v[192:193], v[140:141] op_sel_hi:[1,0,1]
	v_pk_add_f32 v[130:131], v[130:131], v[134:135]
	v_pk_fma_f32 v[140:141], v[208:209], v[192:193], v[140:141] neg_lo:[0,0,1] neg_hi:[0,0,1]
	v_pk_fma_f32 v[134:135], v[214:215], v[194:195], v[142:143] op_sel_hi:[1,0,1]
	s_set_vgpr_msb 1                        ;  msbs: dst=0 src0=1 src1=0 src2=0
	v_pk_mul_f32 v[132:133], v[22:23] /*v[278:279]*/, v[132:133] op_sel_hi:[1,0]
	s_set_vgpr_msb 0                        ;  msbs: dst=0 src0=0 src1=0 src2=0
	v_mov_b32_e32 v141, v139
	v_pk_add_f32 v[130:131], v[130:131], v[136:137]
	v_pk_fma_f32 v[136:137], v[214:215], v[194:195], v[142:143] neg_lo:[0,0,1] neg_hi:[0,0,1]
	v_mov_b32_e32 v137, v135
	v_pk_fma_f32 v[134:135], v[216:217], v[196:197], v[132:133] op_sel_hi:[1,0,1]
	s_wait_loadcnt_dscnt 0x100
	s_set_vgpr_msb 5                        ;  msbs: dst=0 src0=1 src1=1 src2=0
	v_pk_mul_f32 v[138:139], v[14:15] /*v[270:271]*/, v[10:11] /*v[266:267]*/ op_sel:[1,1] op_sel_hi:[0,1]
	s_set_vgpr_msb 0                        ;  msbs: dst=0 src0=0 src1=0 src2=0
	v_pk_add_f32 v[130:131], v[130:131], v[140:141]
	v_pk_fma_f32 v[132:133], v[216:217], v[196:197], v[132:133] neg_lo:[0,0,1] neg_hi:[0,0,1]
	v_mov_b32_e32 v133, v135
	s_set_vgpr_msb 5                        ;  msbs: dst=0 src0=1 src1=1 src2=0
	v_pk_fma_f32 v[134:135], v[14:15] /*v[270:271]*/, v[10:11] /*v[266:267]*/, v[138:139] op_sel_hi:[1,0,1]
	s_set_vgpr_msb 0                        ;  msbs: dst=0 src0=0 src1=0 src2=0
	v_pk_add_f32 v[130:131], v[130:131], v[136:137]
	s_set_vgpr_msb 5                        ;  msbs: dst=0 src0=1 src1=1 src2=0
	v_pk_fma_f32 v[136:137], v[14:15] /*v[270:271]*/, v[10:11] /*v[266:267]*/, v[138:139] neg_lo:[0,0,1] neg_hi:[0,0,1]
	s_set_vgpr_msb 0                        ;  msbs: dst=0 src0=0 src1=0 src2=0
	v_mov_b32_e32 v137, v135
	v_pk_add_f32 v[130:131], v[130:131], v[132:133]
	s_delay_alu instid0(VALU_DEP_1) | instskip(SKIP_2) | instid1(VALU_DEP_1)
	v_pk_add_f32 v[130:131], v[130:131], v[136:137]
	s_wait_loadcnt 0x0
	s_set_vgpr_msb 1                        ;  msbs: dst=0 src0=1 src1=0 src2=0
	v_pk_add_f32 v[130:131], v[12:13] /*v[268:269]*/, v[130:131] neg_lo:[0,1] neg_hi:[0,1]
	scratch_store_b64 off, v[130:131], off offset:224
	s_wait_xcnt 0x0
	v_cmpx_lt_u32_e32 27, v0
	s_set_vgpr_msb 0                        ;  msbs: dst=0 src0=0 src1=0 src2=0
	s_cbranch_execz .LBB63_343
; %bb.342:
	scratch_load_b64 v[130:131], off, off offset:216
	v_mov_b64_e32 v[132:133], 0
	scratch_store_b64 off, v[132:133], off offset:216
	s_wait_loadcnt 0x0
	ds_store_b64 v1, v[130:131]
.LBB63_343:
	s_wait_xcnt 0x0
	s_or_b32 exec_lo, exec_lo, s0
	s_wait_storecnt_dscnt 0x0
	s_barrier_signal -1
	s_barrier_wait -1
	s_clause 0x13
	scratch_load_b128 v[130:133], off, off offset:224
	scratch_load_b128 v[134:137], off, off offset:240
	;; [unrolled: 1-line block ×18, first 2 shown]
	s_set_vgpr_msb 64                       ;  msbs: dst=1 src0=0 src1=0 src2=0
	scratch_load_b64 v[18:19] /*v[274:275]*/, off, off offset:216
	s_set_vgpr_msb 0                        ;  msbs: dst=0 src0=0 src1=0 src2=0
	ds_load_b128 v[202:205], v7 offset:960
	ds_load_b128 v[206:209], v7 offset:976
	;; [unrolled: 1-line block ×14, first 2 shown]
	s_set_vgpr_msb 64                       ;  msbs: dst=1 src0=0 src1=0 src2=0
	ds_load_b128 v[2:5] /*v[258:261]*/, v7 offset:896
	ds_load_b128 v[6:9] /*v[262:265]*/, v7 offset:912
	;; [unrolled: 1-line block ×4, first 2 shown]
	s_mov_b32 s0, exec_lo
	s_wait_dscnt 0x11
	v_dual_mov_b32 v20 /*v276*/, v205 :: v_dual_mov_b32 v21 /*v277*/, v204
	s_wait_dscnt 0x10
	v_dual_mov_b32 v22 /*v278*/, v209 :: v_dual_mov_b32 v23 /*v279*/, v208
	;; [unrolled: 2-line block ×4, first 2 shown]
	s_wait_loadcnt_dscnt 0x120d
	s_set_vgpr_msb 0                        ;  msbs: dst=0 src0=0 src1=0 src2=0
	v_dual_mul_f32 v7, v218, v131 :: v_dual_mul_f32 v9, v220, v133
	s_wait_loadcnt_dscnt 0x110c
	v_dual_mul_f32 v59, v219, v131 :: v_dual_mul_f32 v65, v225, v137
	v_dual_mul_f32 v11, v222, v135 :: v_dual_mul_f32 v13, v224, v137
	s_delay_alu instid0(VALU_DEP_3)
	v_dual_fmac_f32 v7, v219, v130 :: v_dual_fmac_f32 v9, v221, v132
	s_wait_loadcnt_dscnt 0x904
	v_dual_mul_f32 v61, v221, v133 :: v_dual_mul_f32 v43, v254, v167
	v_dual_mul_f32 v63, v223, v135 :: v_dual_mul_f32 v69, v229, v141
	s_wait_loadcnt_dscnt 0x601
	s_set_vgpr_msb 1                        ;  msbs: dst=0 src0=1 src1=0 src2=0
	v_dual_mul_f32 v57, v12 /*v268*/, v181 :: v_dual_add_f32 v7, 0, v7
	s_set_vgpr_msb 0                        ;  msbs: dst=0 src0=0 src1=0 src2=0
	v_dual_mul_f32 v67, v227, v139 :: v_dual_fma_f32 v59, v218, v130, -v59
	v_dual_mul_f32 v71, v231, v143 :: v_dual_fma_f32 v61, v220, v132, -v61
	v_dual_fmac_f32 v11, v223, v134 :: v_dual_fmac_f32 v13, v225, v136
	s_delay_alu instid0(VALU_DEP_3) | instskip(SKIP_2) | instid1(VALU_DEP_3)
	v_dual_add_f32 v59, 0, v59 :: v_dual_mul_f32 v73, v233, v145
	v_dual_fma_f32 v63, v222, v134, -v63 :: v_dual_add_f32 v7, v7, v9
	v_dual_mul_f32 v15, v226, v139 :: v_dual_mul_f32 v17, v228, v141
	v_dual_add_f32 v9, v59, v61 :: v_dual_fma_f32 v61, v224, v136, -v65
	s_delay_alu instid0(VALU_DEP_3) | instskip(NEXT) | instid1(VALU_DEP_3)
	v_add_f32_e32 v7, v7, v11
	v_dual_fmac_f32 v15, v227, v138 :: v_dual_mul_f32 v19, v230, v143
	s_delay_alu instid0(VALU_DEP_3) | instskip(NEXT) | instid1(VALU_DEP_3)
	v_dual_mul_f32 v21, v232, v145 :: v_dual_add_f32 v9, v9, v63
	v_dual_fma_f32 v63, v226, v138, -v67 :: v_dual_add_f32 v7, v7, v13
	v_dual_fmac_f32 v17, v229, v140 :: v_dual_mul_f32 v13, v239, v151
	s_delay_alu instid0(VALU_DEP_3) | instskip(NEXT) | instid1(VALU_DEP_3)
	v_dual_add_f32 v9, v9, v61 :: v_dual_fma_f32 v61, v228, v140, -v69
	v_add_f32_e32 v7, v7, v15
	v_dual_fmac_f32 v19, v231, v142 :: v_dual_mul_f32 v23, v234, v147
	s_delay_alu instid0(VALU_DEP_3) | instskip(NEXT) | instid1(VALU_DEP_3)
	v_dual_mul_f32 v25, v236, v149 :: v_dual_add_f32 v9, v9, v63
	v_dual_add_f32 v7, v7, v17 :: v_dual_fmac_f32 v21, v233, v144
	v_dual_mul_f32 v15, v241, v153 :: v_dual_fma_f32 v63, v230, v142, -v71
	s_delay_alu instid0(VALU_DEP_3) | instskip(NEXT) | instid1(VALU_DEP_3)
	v_dual_add_f32 v9, v9, v61 :: v_dual_mul_f32 v17, v243, v155
	v_dual_fma_f32 v61, v232, v144, -v73 :: v_dual_add_f32 v7, v7, v19
	v_dual_mul_f32 v59, v235, v147 :: v_dual_mul_f32 v11, v237, v149
	s_delay_alu instid0(VALU_DEP_3) | instskip(NEXT) | instid1(VALU_DEP_3)
	v_dual_add_f32 v9, v9, v63 :: v_dual_fmac_f32 v23, v235, v146
	v_dual_add_f32 v7, v7, v21 :: v_dual_fmac_f32 v25, v237, v148
	v_dual_mul_f32 v27, v238, v151 :: v_dual_mul_f32 v29, v240, v153
	s_delay_alu instid0(VALU_DEP_4) | instskip(NEXT) | instid1(VALU_DEP_4)
	v_dual_mul_f32 v19, v245, v157 :: v_dual_fma_f32 v59, v234, v146, -v59
	v_dual_add_f32 v9, v9, v61 :: v_dual_mul_f32 v21, v247, v159
	s_delay_alu instid0(VALU_DEP_4) | instskip(NEXT) | instid1(VALU_DEP_2)
	v_dual_fma_f32 v11, v236, v148, -v11 :: v_dual_add_f32 v7, v7, v23
	v_dual_fmac_f32 v27, v239, v150 :: v_dual_add_f32 v9, v9, v59
	v_dual_mul_f32 v31, v242, v155 :: v_dual_mul_f32 v33, v244, v157
	s_delay_alu instid0(VALU_DEP_3) | instskip(SKIP_1) | instid1(VALU_DEP_4)
	v_add_f32_e32 v7, v7, v25
	v_dual_mul_f32 v23, v249, v161 :: v_dual_fma_f32 v13, v238, v150, -v13
	v_add_f32_e32 v9, v9, v11
	v_dual_mul_f32 v11, v251, v163 :: v_dual_fmac_f32 v29, v241, v152
	s_delay_alu instid0(VALU_DEP_4) | instskip(NEXT) | instid1(VALU_DEP_3)
	v_dual_fma_f32 v15, v240, v152, -v15 :: v_dual_add_f32 v7, v7, v27
	v_dual_add_f32 v9, v9, v13 :: v_dual_fmac_f32 v31, v243, v154
	v_dual_mul_f32 v35, v246, v159 :: v_dual_mul_f32 v37, v248, v161
	s_delay_alu instid0(VALU_DEP_2) | instskip(SKIP_2) | instid1(VALU_DEP_3)
	v_dual_add_f32 v7, v7, v29 :: v_dual_add_f32 v9, v9, v15
	v_dual_mul_f32 v13, v253, v165 :: v_dual_fma_f32 v17, v242, v154, -v17
	v_dual_mul_f32 v15, v255, v167 :: v_dual_fmac_f32 v33, v245, v156
	v_dual_fma_f32 v19, v244, v156, -v19 :: v_dual_add_f32 v7, v7, v31
	s_delay_alu instid0(VALU_DEP_3) | instskip(SKIP_2) | instid1(VALU_DEP_3)
	v_dual_add_f32 v9, v9, v17 :: v_dual_fmac_f32 v35, v247, v158
	v_fma_f32 v21, v246, v158, -v21
	v_dual_mul_f32 v39, v250, v163 :: v_dual_mul_f32 v41, v252, v165
	v_dual_add_f32 v7, v7, v33 :: v_dual_add_f32 v9, v9, v19
	v_dual_fma_f32 v23, v248, v160, -v23 :: v_dual_fmac_f32 v37, v249, v160
	s_delay_alu instid0(VALU_DEP_3) | instskip(NEXT) | instid1(VALU_DEP_3)
	v_fmac_f32_e32 v39, v251, v162
	v_dual_add_f32 v7, v7, v35 :: v_dual_add_f32 v9, v9, v21
	v_fma_f32 v11, v250, v162, -v11
	s_set_vgpr_msb 1                        ;  msbs: dst=0 src0=1 src1=0 src2=0
	v_dual_mul_f32 v45, v0 /*v256*/, v169 :: v_dual_mul_f32 v47, v2 /*v258*/, v171
	s_set_vgpr_msb 0                        ;  msbs: dst=0 src0=0 src1=0 src2=0
	v_dual_add_f32 v7, v7, v37 :: v_dual_add_f32 v9, v9, v23
	v_fma_f32 v13, v252, v164, -v13
	v_dual_fmac_f32 v41, v253, v164 :: v_dual_fmac_f32 v43, v255, v166
	s_delay_alu instid0(VALU_DEP_3) | instskip(NEXT) | instid1(VALU_DEP_4)
	v_add_f32_e32 v7, v7, v39
	v_dual_add_f32 v9, v9, v11 :: v_dual_fma_f32 v15, v254, v166, -v15
	s_set_vgpr_msb 1                        ;  msbs: dst=0 src0=1 src1=0 src2=0
	v_dual_mul_f32 v17, v1 /*v257*/, v169 :: v_dual_mul_f32 v19, v3 /*v259*/, v171
	s_set_vgpr_msb 0                        ;  msbs: dst=0 src0=0 src1=0 src2=0
	v_add_f32_e32 v7, v7, v41
	v_add_f32_e32 v9, v9, v13
	s_set_vgpr_msb 1                        ;  msbs: dst=0 src0=1 src1=0 src2=0
	v_dual_fmac_f32 v45, v1 /*v257*/, v168 :: v_dual_fmac_f32 v47, v3 /*v259*/, v170
	v_dual_mul_f32 v49, v4 /*v260*/, v173 :: v_dual_mul_f32 v51, v6 /*v262*/, v175
	s_set_vgpr_msb 0                        ;  msbs: dst=0 src0=0 src1=0 src2=0
	v_add_f32_e32 v7, v7, v43
	s_set_vgpr_msb 1                        ;  msbs: dst=0 src0=1 src1=0 src2=0
	v_fma_f32 v17, v0 /*v256*/, v168, -v17
	s_set_vgpr_msb 0                        ;  msbs: dst=0 src0=0 src1=0 src2=0
	v_add_f32_e32 v9, v9, v15
	s_set_vgpr_msb 1                        ;  msbs: dst=0 src0=1 src1=0 src2=0
	v_dual_mul_f32 v21, v5 /*v261*/, v173 :: v_dual_mul_f32 v23, v7 /*v263*/, v175
	s_set_vgpr_msb 0                        ;  msbs: dst=0 src0=0 src1=0 src2=0
	v_add_f32_e32 v7, v7, v45
	s_set_vgpr_msb 1                        ;  msbs: dst=0 src0=1 src1=0 src2=0
	v_dual_mul_f32 v15, v13 /*v269*/, v181 :: v_dual_fma_f32 v19, v2 /*v258*/, v170, -v19
	s_set_vgpr_msb 0                        ;  msbs: dst=0 src0=0 src1=0 src2=0
	v_add_f32_e32 v9, v9, v17
	s_set_vgpr_msb 1                        ;  msbs: dst=0 src0=1 src1=0 src2=0
	v_dual_fmac_f32 v49, v5 /*v261*/, v172 :: v_dual_fmac_f32 v51, v7 /*v263*/, v174
	s_set_vgpr_msb 0                        ;  msbs: dst=0 src0=0 src1=0 src2=0
	v_add_f32_e32 v7, v7, v47
	s_set_vgpr_msb 1                        ;  msbs: dst=0 src0=1 src1=0 src2=0
	v_dual_mul_f32 v53, v8 /*v264*/, v177 :: v_dual_mul_f32 v55, v10 /*v266*/, v179
	s_wait_loadcnt_dscnt 0x500
	v_dual_mul_f32 v17, v15 /*v271*/, v183 :: v_dual_fma_f32 v21, v4 /*v260*/, v172, -v21
	s_set_vgpr_msb 0                        ;  msbs: dst=0 src0=0 src1=0 src2=0
	v_dual_add_f32 v9, v9, v19 :: v_dual_add_f32 v7, v7, v49
	s_set_vgpr_msb 1                        ;  msbs: dst=0 src0=1 src1=0 src2=0
	v_dual_mul_f32 v11, v9 /*v265*/, v177 :: v_dual_mul_f32 v13, v11 /*v267*/, v179
	v_dual_mul_f32 v19, v17 /*v273*/, v185 :: v_dual_fma_f32 v23, v6 /*v262*/, v174, -v23
	v_fmac_f32_e32 v53, v9 /*v265*/, v176
	s_set_vgpr_msb 0                        ;  msbs: dst=0 src0=0 src1=0 src2=0
	v_dual_add_f32 v9, v9, v21 :: v_dual_add_f32 v7, v7, v51
	s_set_vgpr_msb 1                        ;  msbs: dst=0 src0=1 src1=0 src2=0
	v_dual_fma_f32 v11, v8 /*v264*/, v176, -v11 :: v_dual_fma_f32 v13, v10 /*v266*/, v178, -v13
	v_dual_fmac_f32 v55, v11 /*v267*/, v178 :: v_dual_fmac_f32 v57, v13 /*v269*/, v180
	s_set_vgpr_msb 0                        ;  msbs: dst=0 src0=0 src1=0 src2=0
	v_dual_add_f32 v9, v9, v23 :: v_dual_add_f32 v7, v7, v53
	s_wait_loadcnt 0x4
	v_mov_b32_e32 v132, v189
	s_set_vgpr_msb 0x41                     ;  msbs: dst=1 src0=1 src1=0 src2=0
	v_dual_mul_f32 v29 /*v285*/, v14 /*v270*/, v183 :: v_dual_mul_f32 v31 /*v287*/, v16 /*v272*/, v185
	s_set_vgpr_msb 0                        ;  msbs: dst=0 src0=0 src1=0 src2=0
	v_pk_mul_f32 v[130:131], v[202:203], v[186:187] op_sel:[1,1] op_sel_hi:[0,1]
	v_add_f32_e32 v7, v7, v55
	v_add_f32_e32 v9, v9, v11
	s_set_vgpr_msb 1                        ;  msbs: dst=0 src0=1 src1=0 src2=0
	v_fma_f32 v11, v12 /*v268*/, v180, -v15
	s_set_vgpr_msb 0x41                     ;  msbs: dst=1 src0=1 src1=0 src2=0
	v_dual_fmac_f32 v29 /*v285*/, v15 /*v271*/, v182 :: v_dual_fmac_f32 v31 /*v287*/, v17 /*v273*/, v184
	s_set_vgpr_msb 0                        ;  msbs: dst=0 src0=0 src1=0 src2=0
	v_add_f32_e32 v139, v7, v57
	v_add_f32_e32 v9, v9, v13
	s_set_vgpr_msb 0x41                     ;  msbs: dst=1 src0=1 src1=0 src2=0
	v_dual_fma_f32 v28 /*v284*/, v14 /*v270*/, v182, -v17 :: v_dual_fma_f32 v30 /*v286*/, v16 /*v272*/, v184, -v19
	s_set_vgpr_msb 0                        ;  msbs: dst=0 src0=0 src1=0 src2=0
	v_pk_fma_f32 v[140:141], v[202:203], v[186:187], v[130:131] op_sel_hi:[1,0,1]
	s_set_vgpr_msb 1                        ;  msbs: dst=0 src0=1 src1=0 src2=0
	v_pk_mul_f32 v[132:133], v[20:21] /*v[276:277]*/, v[132:133] op_sel_hi:[1,0]
	s_set_vgpr_msb 0                        ;  msbs: dst=0 src0=0 src1=0 src2=0
	v_add_f32_e32 v138, v9, v11
	v_pk_fma_f32 v[130:131], v[202:203], v[186:187], v[130:131] neg_lo:[0,0,1] neg_hi:[0,0,1]
	s_wait_loadcnt 0x3
	v_pk_mul_f32 v[134:135], v[206:207], v[190:191] op_sel:[1,1] op_sel_hi:[0,1]
	v_dual_mov_b32 v136, v193 :: v_dual_mov_b32 v131, v141
	s_set_vgpr_msb 4                        ;  msbs: dst=0 src0=0 src1=1 src2=0
	v_pk_add_f32 v[138:139], v[138:139], v[28:29] /*v[284:285]*/
	s_set_vgpr_msb 0                        ;  msbs: dst=0 src0=0 src1=0 src2=0
	v_pk_fma_f32 v[140:141], v[204:205], v[188:189], v[132:133] op_sel_hi:[1,0,1]
	v_pk_fma_f32 v[132:133], v[204:205], v[188:189], v[132:133] neg_lo:[0,0,1] neg_hi:[0,0,1]
	v_pk_fma_f32 v[144:145], v[206:207], v[190:191], v[134:135] op_sel_hi:[1,0,1]
	s_set_vgpr_msb 1                        ;  msbs: dst=0 src0=1 src1=0 src2=0
	v_pk_mul_f32 v[136:137], v[22:23] /*v[278:279]*/, v[136:137] op_sel_hi:[1,0]
	s_set_vgpr_msb 4                        ;  msbs: dst=0 src0=0 src1=1 src2=0
	v_pk_add_f32 v[138:139], v[138:139], v[30:31] /*v[286:287]*/
	v_mov_b32_e32 v133, v141
	s_wait_loadcnt 0x2
	s_set_vgpr_msb 0                        ;  msbs: dst=0 src0=0 src1=0 src2=0
	v_pk_mul_f32 v[142:143], v[210:211], v[194:195] op_sel:[1,1] op_sel_hi:[0,1]
	v_pk_fma_f32 v[134:135], v[206:207], v[190:191], v[134:135] neg_lo:[0,0,1] neg_hi:[0,0,1]
	v_pk_fma_f32 v[140:141], v[208:209], v[192:193], v[136:137] op_sel_hi:[1,0,1]
	v_pk_add_f32 v[130:131], v[138:139], v[130:131]
	v_dual_mov_b32 v138, v197 :: v_dual_mov_b32 v135, v145
	v_pk_fma_f32 v[136:137], v[208:209], v[192:193], v[136:137] neg_lo:[0,0,1] neg_hi:[0,0,1]
	s_delay_alu instid0(VALU_DEP_4) | instskip(NEXT) | instid1(VALU_DEP_4)
	v_mov_b32_e32 v137, v141
	v_pk_add_f32 v[130:131], v[130:131], v[132:133]
	v_pk_fma_f32 v[132:133], v[210:211], v[194:195], v[142:143] op_sel_hi:[1,0,1]
	s_set_vgpr_msb 1                        ;  msbs: dst=0 src0=1 src1=0 src2=0
	v_pk_mul_f32 v[138:139], v[24:25] /*v[280:281]*/, v[138:139] op_sel_hi:[1,0]
	s_set_vgpr_msb 0                        ;  msbs: dst=0 src0=0 src1=0 src2=0
	v_pk_fma_f32 v[140:141], v[210:211], v[194:195], v[142:143] neg_lo:[0,0,1] neg_hi:[0,0,1]
	v_pk_add_f32 v[130:131], v[130:131], v[134:135]
	v_mov_b32_e32 v141, v133
	v_pk_fma_f32 v[132:133], v[212:213], v[196:197], v[138:139] op_sel_hi:[1,0,1]
	s_wait_loadcnt 0x1
	v_pk_mul_f32 v[134:135], v[214:215], v[198:199] op_sel:[1,1] op_sel_hi:[0,1]
	v_mov_b32_e32 v132, v201
	v_pk_add_f32 v[130:131], v[130:131], v[136:137]
	v_pk_fma_f32 v[138:139], v[212:213], v[196:197], v[138:139] neg_lo:[0,0,1] neg_hi:[0,0,1]
	s_delay_alu instid0(VALU_DEP_4) | instskip(SKIP_1) | instid1(VALU_DEP_4)
	v_pk_fma_f32 v[136:137], v[214:215], v[198:199], v[134:135] op_sel_hi:[1,0,1]
	v_mov_b32_e32 v139, v133
	v_pk_add_f32 v[130:131], v[130:131], v[140:141]
	s_set_vgpr_msb 1                        ;  msbs: dst=0 src0=1 src1=0 src2=0
	v_pk_mul_f32 v[132:133], v[26:27] /*v[282:283]*/, v[132:133] op_sel_hi:[1,0]
	s_set_vgpr_msb 0                        ;  msbs: dst=0 src0=0 src1=0 src2=0
	v_pk_fma_f32 v[134:135], v[214:215], v[198:199], v[134:135] neg_lo:[0,0,1] neg_hi:[0,0,1]
	v_mov_b32_e32 v135, v137
	v_pk_add_f32 v[130:131], v[130:131], v[138:139]
	v_pk_fma_f32 v[136:137], v[216:217], v[200:201], v[132:133] op_sel_hi:[1,0,1]
	v_pk_fma_f32 v[132:133], v[216:217], v[200:201], v[132:133] neg_lo:[0,0,1] neg_hi:[0,0,1]
	s_delay_alu instid0(VALU_DEP_3) | instskip(NEXT) | instid1(VALU_DEP_3)
	v_pk_add_f32 v[130:131], v[130:131], v[134:135]
	v_mov_b32_e32 v133, v137
	s_delay_alu instid0(VALU_DEP_1) | instskip(SKIP_2) | instid1(VALU_DEP_1)
	v_pk_add_f32 v[130:131], v[130:131], v[132:133]
	s_wait_loadcnt 0x0
	s_set_vgpr_msb 1                        ;  msbs: dst=0 src0=1 src1=0 src2=0
	v_pk_add_f32 v[130:131], v[18:19] /*v[274:275]*/, v[130:131] neg_lo:[0,1] neg_hi:[0,1]
	scratch_store_b64 off, v[130:131], off offset:216
	s_wait_xcnt 0x0
	v_cmpx_lt_u32_e32 26, v0
	s_set_vgpr_msb 0                        ;  msbs: dst=0 src0=0 src1=0 src2=0
	s_cbranch_execz .LBB63_345
; %bb.344:
	scratch_load_b64 v[130:131], off, off offset:208
	v_mov_b64_e32 v[132:133], 0
	scratch_store_b64 off, v[132:133], off offset:208
	s_wait_loadcnt 0x0
	ds_store_b64 v1, v[130:131]
.LBB63_345:
	s_wait_xcnt 0x0
	s_or_b32 exec_lo, exec_lo, s0
	s_wait_storecnt_dscnt 0x0
	s_barrier_signal -1
	s_barrier_wait -1
	s_clause 0xd
	scratch_load_b128 v[134:137], off, off offset:216
	scratch_load_b128 v[142:145], off, off offset:232
	scratch_load_b128 v[150:153], off, off offset:248
	scratch_load_b128 v[158:161], off, off offset:264
	scratch_load_b128 v[166:169], off, off offset:280
	scratch_load_b128 v[174:177], off, off offset:296
	scratch_load_b128 v[182:185], off, off offset:312
	scratch_load_b128 v[190:193], off, off offset:328
	scratch_load_b128 v[198:201], off, off offset:344
	scratch_load_b128 v[206:209], off, off offset:360
	scratch_load_b128 v[214:217], off, off offset:376
	scratch_load_b128 v[222:225], off, off offset:392
	scratch_load_b128 v[230:233], off, off offset:408
	scratch_load_b128 v[238:241], off, off offset:424
	v_mov_b32_e32 v7, 0
	scratch_load_b128 v[246:249], off, off offset:440
	s_mov_b32 s0, exec_lo
	ds_load_2addr_b64 v[130:133], v7 offset0:91 offset1:92
	ds_load_2addr_b64 v[138:141], v7 offset0:93 offset1:94
	s_wait_loadcnt_dscnt 0xe01
	v_dual_mul_f32 v9, v130, v135 :: v_dual_mul_f32 v11, v132, v137
	ds_load_2addr_b64 v[146:149], v7 offset0:95 offset1:96
	ds_load_2addr_b64 v[154:157], v7 offset0:97 offset1:98
	;; [unrolled: 1-line block ×4, first 2 shown]
	v_dual_fmac_f32 v9, v131, v134 :: v_dual_fmac_f32 v11, v133, v136
	ds_load_2addr_b64 v[162:165], v7 offset0:99 offset1:100
	ds_load_2addr_b64 v[170:173], v7 offset0:101 offset1:102
	;; [unrolled: 1-line block ×3, first 2 shown]
	v_add_f32_e32 v9, 0, v9
	ds_load_2addr_b64 v[178:181], v7 offset0:103 offset1:104
	ds_load_2addr_b64 v[186:189], v7 offset0:105 offset1:106
	;; [unrolled: 1-line block ×4, first 2 shown]
	v_add_f32_e32 v9, v9, v11
	s_wait_loadcnt_dscnt 0xd0b
	v_mul_f32_e32 v11, v138, v143
	ds_load_2addr_b64 v[210:213], v7 offset0:111 offset1:112
	ds_load_2addr_b64 v[218:221], v7 offset0:113 offset1:114
	s_clause 0x4
	scratch_load_b128 v[250:253], off, off offset:456
	scratch_load_b128 v[254:257], off, off offset:472
	s_set_vgpr_msb 64                       ;  msbs: dst=1 src0=0 src1=0 src2=0
	scratch_load_b128 v[2:5] /*v[258:261]*/, off, off offset:488
	scratch_load_b64 v[12:13] /*v[268:269]*/, off, off offset:504
	s_set_vgpr_msb 0                        ;  msbs: dst=0 src0=0 src1=0 src2=0
	v_fmac_f32_e32 v11, v139, v142
	s_wait_loadcnt_dscnt 0x509
	s_set_vgpr_msb 64                       ;  msbs: dst=1 src0=0 src1=0 src2=0
	v_mul_f32_e32 v9 /*v265*/, v236, v241
	s_set_vgpr_msb 0                        ;  msbs: dst=0 src0=0 src1=0 src2=0
	v_dual_add_f32 v9, v9, v11 :: v_dual_mul_f32 v11, v140, v145
	s_wait_loadcnt_dscnt 0x406
	s_set_vgpr_msb 64                       ;  msbs: dst=1 src0=0 src1=0 src2=0
	v_dual_fmac_f32 v9 /*v265*/, v237, v240 :: v_dual_mul_f32 v11 /*v267*/, v242, v247
	s_set_vgpr_msb 0                        ;  msbs: dst=0 src0=0 src1=0 src2=0
	v_fmac_f32_e32 v11, v141, v144
	s_delay_alu instid0(VALU_DEP_1) | instskip(SKIP_1) | instid1(VALU_DEP_1)
	v_add_f32_e32 v9, v9, v11
	v_mul_f32_e32 v11, v146, v151
	v_fmac_f32_e32 v11, v147, v150
	s_delay_alu instid0(VALU_DEP_1) | instskip(NEXT) | instid1(VALU_DEP_1)
	v_dual_add_f32 v9, v9, v11 :: v_dual_mul_f32 v11, v148, v153
	v_fmac_f32_e32 v11, v149, v152
	s_delay_alu instid0(VALU_DEP_1) | instskip(SKIP_1) | instid1(VALU_DEP_1)
	v_add_f32_e32 v9, v9, v11
	v_mul_f32_e32 v11, v154, v159
	v_fmac_f32_e32 v11, v155, v158
	s_delay_alu instid0(VALU_DEP_1) | instskip(NEXT) | instid1(VALU_DEP_1)
	v_dual_add_f32 v9, v9, v11 :: v_dual_mul_f32 v11, v156, v161
	;; [unrolled: 7-line block ×4, first 2 shown]
	v_fmac_f32_e32 v11, v173, v176
	s_delay_alu instid0(VALU_DEP_1) | instskip(SKIP_2) | instid1(VALU_DEP_1)
	v_add_f32_e32 v9, v9, v11
	s_wait_dscnt 0x5
	v_mul_f32_e32 v11, v178, v183
	v_fmac_f32_e32 v11, v179, v182
	s_delay_alu instid0(VALU_DEP_1) | instskip(NEXT) | instid1(VALU_DEP_1)
	v_dual_add_f32 v9, v9, v11 :: v_dual_mul_f32 v11, v180, v185
	v_fmac_f32_e32 v11, v181, v184
	s_delay_alu instid0(VALU_DEP_1) | instskip(SKIP_2) | instid1(VALU_DEP_1)
	v_add_f32_e32 v9, v9, v11
	s_wait_dscnt 0x4
	v_mul_f32_e32 v11, v186, v191
	v_fmac_f32_e32 v11, v187, v190
	s_delay_alu instid0(VALU_DEP_1) | instskip(NEXT) | instid1(VALU_DEP_1)
	v_dual_add_f32 v9, v9, v11 :: v_dual_mul_f32 v11, v188, v193
	;; [unrolled: 8-line block ×6, first 2 shown]
	v_fmac_f32_e32 v11, v221, v224
	s_delay_alu instid0(VALU_DEP_1) | instskip(SKIP_1) | instid1(VALU_DEP_1)
	v_add_f32_e32 v9, v9, v11
	v_mul_f32_e32 v11, v226, v231
	v_fmac_f32_e32 v11, v227, v230
	s_delay_alu instid0(VALU_DEP_1) | instskip(NEXT) | instid1(VALU_DEP_1)
	v_dual_add_f32 v9, v9, v11 :: v_dual_mul_f32 v11, v228, v233
	v_fmac_f32_e32 v11, v229, v232
	s_delay_alu instid0(VALU_DEP_1) | instskip(SKIP_1) | instid1(VALU_DEP_1)
	v_add_f32_e32 v9, v9, v11
	v_mul_f32_e32 v11, v234, v239
	v_fmac_f32_e32 v11, v235, v238
	s_set_vgpr_msb 64                       ;  msbs: dst=1 src0=0 src1=0 src2=0
	s_delay_alu instid0(VALU_DEP_1) | instskip(SKIP_2) | instid1(VALU_DEP_1)
	v_add_f32_e32 v7 /*v263*/, v9, v11
	s_set_vgpr_msb 0                        ;  msbs: dst=0 src0=0 src1=0 src2=0
	v_dual_mul_f32 v9, v131, v135 :: v_dual_mul_f32 v11, v133, v137
	v_dual_fma_f32 v9, v130, v134, -v9 :: v_dual_fma_f32 v11, v132, v136, -v11
	s_delay_alu instid0(VALU_DEP_1) | instskip(NEXT) | instid1(VALU_DEP_1)
	v_add_f32_e32 v9, 0, v9
	v_add_f32_e32 v9, v9, v11
	v_mul_f32_e32 v11, v139, v143
	s_delay_alu instid0(VALU_DEP_1) | instskip(NEXT) | instid1(VALU_DEP_1)
	v_fma_f32 v11, v138, v142, -v11
	v_add_f32_e32 v9, v9, v11
	v_mul_f32_e32 v11, v141, v145
	s_delay_alu instid0(VALU_DEP_1)
	v_fma_f32 v11, v140, v144, -v11
	ds_load_2addr_b64 v[130:133], v7 offset0:121 offset1:122
	ds_load_2addr_b64 v[134:137], v7 offset0:123 offset1:124
	;; [unrolled: 1-line block ×3, first 2 shown]
	ds_load_b64 v[142:143], v7 offset:1016
	v_add_f32_e32 v9, v9, v11
	v_dual_mul_f32 v11, v147, v151 :: v_dual_mov_b32 v147, v244
	s_delay_alu instid0(VALU_DEP_1) | instskip(NEXT) | instid1(VALU_DEP_1)
	v_dual_fma_f32 v11, v146, v150, -v11 :: v_dual_mov_b32 v146, v245
	v_add_f32_e32 v9, v9, v11
	v_mul_f32_e32 v11, v149, v153
	s_delay_alu instid0(VALU_DEP_1) | instskip(NEXT) | instid1(VALU_DEP_1)
	v_dual_fma_f32 v11, v148, v152, -v11 :: v_dual_mov_b32 v148, v249
	v_add_f32_e32 v9, v9, v11
	v_mul_f32_e32 v11, v155, v159
	s_delay_alu instid0(VALU_DEP_3) | instskip(NEXT) | instid1(VALU_DEP_2)
	v_pk_mul_f32 v[146:147], v[146:147], v[148:149] op_sel_hi:[1,0]
	v_fma_f32 v11, v154, v158, -v11
	s_delay_alu instid0(VALU_DEP_2) | instskip(SKIP_1) | instid1(VALU_DEP_3)
	v_pk_fma_f32 v[148:149], v[244:245], v[248:249], v[146:147] neg_lo:[0,0,1] neg_hi:[0,0,1]
	v_pk_fma_f32 v[146:147], v[244:245], v[248:249], v[146:147] op_sel_hi:[1,0,1]
	v_add_f32_e32 v9, v9, v11
	s_delay_alu instid0(VALU_DEP_2) | instskip(SKIP_2) | instid1(VALU_DEP_2)
	v_dual_mul_f32 v11, v157, v161 :: v_dual_mov_b32 v149, v147
	s_wait_loadcnt_dscnt 0x303
	v_pk_mul_f32 v[146:147], v[130:131], v[250:251] op_sel:[1,1] op_sel_hi:[0,1]
	v_fma_f32 v11, v156, v160, -v11
	s_delay_alu instid0(VALU_DEP_1) | instskip(SKIP_1) | instid1(VALU_DEP_1)
	v_add_f32_e32 v9, v9, v11
	v_mul_f32_e32 v11, v163, v167
	v_fma_f32 v11, v162, v166, -v11
	s_delay_alu instid0(VALU_DEP_1) | instskip(SKIP_1) | instid1(VALU_DEP_1)
	v_add_f32_e32 v9, v9, v11
	v_mul_f32_e32 v11, v165, v169
	v_fma_f32 v11, v164, v168, -v11
	s_delay_alu instid0(VALU_DEP_1) | instskip(SKIP_1) | instid1(VALU_DEP_1)
	v_add_f32_e32 v9, v9, v11
	v_mul_f32_e32 v11, v171, v175
	v_fma_f32 v11, v170, v174, -v11
	s_delay_alu instid0(VALU_DEP_1) | instskip(SKIP_1) | instid1(VALU_DEP_1)
	v_add_f32_e32 v9, v9, v11
	v_mul_f32_e32 v11, v173, v177
	v_fma_f32 v11, v172, v176, -v11
	s_delay_alu instid0(VALU_DEP_1) | instskip(SKIP_1) | instid1(VALU_DEP_1)
	v_add_f32_e32 v9, v9, v11
	v_mul_f32_e32 v11, v179, v183
	v_fma_f32 v11, v178, v182, -v11
	s_delay_alu instid0(VALU_DEP_1) | instskip(SKIP_1) | instid1(VALU_DEP_1)
	v_add_f32_e32 v9, v9, v11
	v_mul_f32_e32 v11, v181, v185
	v_fma_f32 v11, v180, v184, -v11
	s_delay_alu instid0(VALU_DEP_1) | instskip(SKIP_1) | instid1(VALU_DEP_1)
	v_add_f32_e32 v9, v9, v11
	v_mul_f32_e32 v11, v187, v191
	v_fma_f32 v11, v186, v190, -v11
	s_delay_alu instid0(VALU_DEP_1) | instskip(SKIP_1) | instid1(VALU_DEP_1)
	v_add_f32_e32 v9, v9, v11
	v_mul_f32_e32 v11, v189, v193
	v_fma_f32 v11, v188, v192, -v11
	s_delay_alu instid0(VALU_DEP_1) | instskip(SKIP_1) | instid1(VALU_DEP_1)
	v_add_f32_e32 v9, v9, v11
	v_mul_f32_e32 v11, v195, v199
	v_fma_f32 v11, v194, v198, -v11
	s_delay_alu instid0(VALU_DEP_1) | instskip(SKIP_1) | instid1(VALU_DEP_1)
	v_add_f32_e32 v9, v9, v11
	v_mul_f32_e32 v11, v197, v201
	v_fma_f32 v11, v196, v200, -v11
	s_delay_alu instid0(VALU_DEP_1) | instskip(SKIP_1) | instid1(VALU_DEP_1)
	v_add_f32_e32 v9, v9, v11
	v_mul_f32_e32 v11, v203, v207
	v_fma_f32 v11, v202, v206, -v11
	s_delay_alu instid0(VALU_DEP_1) | instskip(SKIP_1) | instid1(VALU_DEP_1)
	v_add_f32_e32 v9, v9, v11
	v_mul_f32_e32 v11, v205, v209
	v_fma_f32 v11, v204, v208, -v11
	s_delay_alu instid0(VALU_DEP_1) | instskip(SKIP_1) | instid1(VALU_DEP_1)
	v_add_f32_e32 v9, v9, v11
	v_mul_f32_e32 v11, v211, v215
	v_fma_f32 v11, v210, v214, -v11
	s_delay_alu instid0(VALU_DEP_1) | instskip(SKIP_1) | instid1(VALU_DEP_1)
	v_add_f32_e32 v9, v9, v11
	v_mul_f32_e32 v11, v213, v217
	v_fma_f32 v11, v212, v216, -v11
	s_delay_alu instid0(VALU_DEP_1) | instskip(SKIP_1) | instid1(VALU_DEP_1)
	v_add_f32_e32 v9, v9, v11
	v_mul_f32_e32 v11, v219, v223
	v_fma_f32 v11, v218, v222, -v11
	s_delay_alu instid0(VALU_DEP_1) | instskip(SKIP_1) | instid1(VALU_DEP_1)
	v_add_f32_e32 v9, v9, v11
	v_mul_f32_e32 v11, v221, v225
	v_fma_f32 v11, v220, v224, -v11
	s_delay_alu instid0(VALU_DEP_1) | instskip(SKIP_1) | instid1(VALU_DEP_1)
	v_add_f32_e32 v9, v9, v11
	v_mul_f32_e32 v11, v227, v231
	v_fma_f32 v11, v226, v230, -v11
	s_delay_alu instid0(VALU_DEP_1) | instskip(SKIP_1) | instid1(VALU_DEP_1)
	v_add_f32_e32 v9, v9, v11
	v_mul_f32_e32 v11, v229, v233
	v_fma_f32 v11, v228, v232, -v11
	s_delay_alu instid0(VALU_DEP_1) | instskip(SKIP_1) | instid1(VALU_DEP_1)
	v_add_f32_e32 v9, v9, v11
	v_mul_f32_e32 v11, v235, v239
	v_fma_f32 v11, v234, v238, -v11
	s_set_vgpr_msb 64                       ;  msbs: dst=1 src0=0 src1=0 src2=0
	s_delay_alu instid0(VALU_DEP_1) | instskip(SKIP_3) | instid1(VALU_DEP_1)
	v_dual_fmac_f32 v11 /*v267*/, v243, v246 :: v_dual_add_f32 v6 /*v262*/, v9, v11
	s_set_vgpr_msb 0                        ;  msbs: dst=0 src0=0 src1=0 src2=0
	v_mul_f32_e32 v9, v237, v241
	s_set_vgpr_msb 64                       ;  msbs: dst=1 src0=0 src1=0 src2=0
	v_fma_f32 v8 /*v264*/, v236, v240, -v9
	s_set_vgpr_msb 0                        ;  msbs: dst=0 src0=0 src1=0 src2=0
	v_mul_f32_e32 v9, v243, v247
	s_set_vgpr_msb 64                       ;  msbs: dst=1 src0=0 src1=0 src2=0
	s_delay_alu instid0(VALU_DEP_1) | instskip(SKIP_3) | instid1(VALU_DEP_1)
	v_fma_f32 v10 /*v266*/, v242, v246, -v9
	s_set_vgpr_msb 5                        ;  msbs: dst=0 src0=1 src1=1 src2=0
	v_pk_add_f32 v[144:145], v[6:7] /*v[262:263]*/, v[8:9] /*v[264:265]*/
	s_set_vgpr_msb 4                        ;  msbs: dst=0 src0=0 src1=1 src2=0
	v_pk_add_f32 v[144:145], v[144:145], v[10:11] /*v[266:267]*/
	s_set_vgpr_msb 0                        ;  msbs: dst=0 src0=0 src1=0 src2=0
	s_delay_alu instid0(VALU_DEP_1) | instskip(SKIP_2) | instid1(VALU_DEP_1)
	v_pk_add_f32 v[144:145], v[144:145], v[148:149]
	v_pk_fma_f32 v[148:149], v[130:131], v[250:251], v[146:147] neg_lo:[0,0,1] neg_hi:[0,0,1]
	v_pk_fma_f32 v[130:131], v[130:131], v[250:251], v[146:147] op_sel_hi:[1,0,1]
	v_dual_mov_b32 v146, v253 :: v_dual_mov_b32 v149, v131
	s_delay_alu instid0(VALU_DEP_1) | instskip(SKIP_1) | instid1(VALU_DEP_1)
	v_pk_add_f32 v[130:131], v[144:145], v[148:149]
	v_dual_mov_b32 v144, v133 :: v_dual_mov_b32 v145, v132
	v_pk_mul_f32 v[144:145], v[144:145], v[146:147] op_sel_hi:[1,0]
	s_delay_alu instid0(VALU_DEP_1) | instskip(SKIP_1) | instid1(VALU_DEP_1)
	v_pk_fma_f32 v[146:147], v[132:133], v[252:253], v[144:145] neg_lo:[0,0,1] neg_hi:[0,0,1]
	v_pk_fma_f32 v[132:133], v[132:133], v[252:253], v[144:145] op_sel_hi:[1,0,1]
	v_mov_b32_e32 v147, v133
	s_wait_loadcnt_dscnt 0x202
	v_pk_mul_f32 v[132:133], v[134:135], v[254:255] op_sel:[1,1] op_sel_hi:[0,1]
	s_delay_alu instid0(VALU_DEP_2) | instskip(NEXT) | instid1(VALU_DEP_2)
	v_pk_add_f32 v[130:131], v[130:131], v[146:147]
	v_pk_fma_f32 v[144:145], v[134:135], v[254:255], v[132:133] neg_lo:[0,0,1] neg_hi:[0,0,1]
	v_pk_fma_f32 v[132:133], v[134:135], v[254:255], v[132:133] op_sel_hi:[1,0,1]
	v_mov_b32_e32 v132, v137
	s_set_vgpr_msb 1                        ;  msbs: dst=0 src0=1 src1=0 src2=0
	v_mov_b32_e32 v134, v1 /*v257*/
	s_set_vgpr_msb 0                        ;  msbs: dst=0 src0=0 src1=0 src2=0
	v_dual_mov_b32 v145, v133 :: v_dual_mov_b32 v133, v136
	s_delay_alu instid0(VALU_DEP_1) | instskip(NEXT) | instid1(VALU_DEP_2)
	v_pk_add_f32 v[130:131], v[130:131], v[144:145]
	v_pk_mul_f32 v[132:133], v[132:133], v[134:135] op_sel_hi:[1,0]
	s_set_vgpr_msb 4                        ;  msbs: dst=0 src0=0 src1=1 src2=0
	s_delay_alu instid0(VALU_DEP_1) | instskip(SKIP_1) | instid1(VALU_DEP_1)
	v_pk_fma_f32 v[134:135], v[136:137], v[0:1] /*v[256:257]*/, v[132:133] neg_lo:[0,0,1] neg_hi:[0,0,1]
	v_pk_fma_f32 v[132:133], v[136:137], v[0:1] /*v[256:257]*/, v[132:133] op_sel_hi:[1,0,1]
	v_mov_b32_e32 v135, v133
	s_wait_loadcnt_dscnt 0x101
	v_pk_mul_f32 v[132:133], v[138:139], v[2:3] /*v[258:259]*/ op_sel:[1,1] op_sel_hi:[0,1]
	s_set_vgpr_msb 0                        ;  msbs: dst=0 src0=0 src1=0 src2=0
	s_delay_alu instid0(VALU_DEP_2) | instskip(SKIP_1) | instid1(VALU_DEP_2)
	v_pk_add_f32 v[130:131], v[130:131], v[134:135]
	s_set_vgpr_msb 4                        ;  msbs: dst=0 src0=0 src1=1 src2=0
	v_pk_fma_f32 v[134:135], v[138:139], v[2:3] /*v[258:259]*/, v[132:133] neg_lo:[0,0,1] neg_hi:[0,0,1]
	v_pk_fma_f32 v[132:133], v[138:139], v[2:3] /*v[258:259]*/, v[132:133] op_sel_hi:[1,0,1]
	s_delay_alu instid0(VALU_DEP_1) | instskip(SKIP_2) | instid1(VALU_DEP_2)
	v_dual_mov_b32 v132, v141 :: v_dual_mov_b32 v135, v133
	v_mov_b32_e32 v133, v140
	s_set_vgpr_msb 0                        ;  msbs: dst=0 src0=0 src1=0 src2=0
	v_pk_add_f32 v[130:131], v[130:131], v[134:135]
	s_set_vgpr_msb 1                        ;  msbs: dst=0 src0=1 src1=0 src2=0
	v_mov_b32_e32 v134, v5 /*v261*/
	s_set_vgpr_msb 0                        ;  msbs: dst=0 src0=0 src1=0 src2=0
	s_delay_alu instid0(VALU_DEP_1) | instskip(SKIP_1) | instid1(VALU_DEP_1)
	v_pk_mul_f32 v[132:133], v[132:133], v[134:135] op_sel_hi:[1,0]
	s_set_vgpr_msb 4                        ;  msbs: dst=0 src0=0 src1=1 src2=0
	v_pk_fma_f32 v[134:135], v[140:141], v[4:5] /*v[260:261]*/, v[132:133] neg_lo:[0,0,1] neg_hi:[0,0,1]
	v_pk_fma_f32 v[132:133], v[140:141], v[4:5] /*v[260:261]*/, v[132:133] op_sel_hi:[1,0,1]
	s_delay_alu instid0(VALU_DEP_1) | instskip(SKIP_3) | instid1(VALU_DEP_2)
	v_mov_b32_e32 v135, v133
	s_wait_loadcnt_dscnt 0x0
	v_pk_mul_f32 v[132:133], v[142:143], v[12:13] /*v[268:269]*/ op_sel:[1,1] op_sel_hi:[0,1]
	s_set_vgpr_msb 0                        ;  msbs: dst=0 src0=0 src1=0 src2=0
	v_pk_add_f32 v[130:131], v[130:131], v[134:135]
	s_set_vgpr_msb 4                        ;  msbs: dst=0 src0=0 src1=1 src2=0
	s_delay_alu instid0(VALU_DEP_2) | instskip(SKIP_1) | instid1(VALU_DEP_1)
	v_pk_fma_f32 v[134:135], v[142:143], v[12:13] /*v[268:269]*/, v[132:133] neg_lo:[0,0,1] neg_hi:[0,0,1]
	v_pk_fma_f32 v[132:133], v[142:143], v[12:13] /*v[268:269]*/, v[132:133] op_sel_hi:[1,0,1]
	v_mov_b32_e32 v135, v133
	scratch_load_b64 v[132:133], off, off offset:208
	s_set_vgpr_msb 0                        ;  msbs: dst=0 src0=0 src1=0 src2=0
	v_pk_add_f32 v[130:131], v[130:131], v[134:135]
	s_wait_loadcnt 0x0
	s_delay_alu instid0(VALU_DEP_1)
	v_pk_add_f32 v[130:131], v[132:133], v[130:131] neg_lo:[0,1] neg_hi:[0,1]
	scratch_store_b64 off, v[130:131], off offset:208
	s_wait_xcnt 0x0
	v_cmpx_lt_u32_e32 25, v0
	s_cbranch_execz .LBB63_347
; %bb.346:
	scratch_load_b64 v[130:131], off, off offset:200
	v_mov_b64_e32 v[132:133], 0
	scratch_store_b64 off, v[132:133], off offset:200
	s_wait_loadcnt 0x0
	ds_store_b64 v1, v[130:131]
.LBB63_347:
	s_wait_xcnt 0x0
	s_or_b32 exec_lo, exec_lo, s0
	s_wait_storecnt_dscnt 0x0
	s_barrier_signal -1
	s_barrier_wait -1
	ds_load_b128 v[130:133], v7 offset:720
	ds_load_b128 v[134:137], v7 offset:736
	;; [unrolled: 1-line block ×4, first 2 shown]
	s_clause 0xe
	scratch_load_b128 v[146:149], off, off offset:208
	scratch_load_b128 v[150:153], off, off offset:224
	scratch_load_b128 v[154:157], off, off offset:240
	scratch_load_b128 v[158:161], off, off offset:256
	scratch_load_b128 v[166:169], off, off offset:272
	scratch_load_b128 v[174:177], off, off offset:288
	scratch_load_b128 v[182:185], off, off offset:304
	scratch_load_b128 v[190:193], off, off offset:320
	scratch_load_b128 v[198:201], off, off offset:336
	scratch_load_b128 v[206:209], off, off offset:352
	scratch_load_b128 v[214:217], off, off offset:368
	scratch_load_b128 v[222:225], off, off offset:384
	scratch_load_b128 v[230:233], off, off offset:400
	scratch_load_b128 v[238:241], off, off offset:416
	scratch_load_b128 v[246:249], off, off offset:432
	ds_load_b128 v[162:165], v7 offset:784
	ds_load_b128 v[170:173], v7 offset:800
	;; [unrolled: 1-line block ×11, first 2 shown]
	s_clause 0x4
	scratch_load_b128 v[250:253], off, off offset:448
	scratch_load_b128 v[254:257], off, off offset:464
	s_set_vgpr_msb 64                       ;  msbs: dst=1 src0=0 src1=0 src2=0
	scratch_load_b128 v[2:5] /*v[258:261]*/, off, off offset:480
	scratch_load_b128 v[6:9] /*v[262:265]*/, off, off offset:496
	s_mov_b32 s0, exec_lo
	s_wait_loadcnt_dscnt 0x120e
	s_set_vgpr_msb 0                        ;  msbs: dst=0 src0=0 src1=0 src2=0
	v_dual_mul_f32 v9, v130, v147 :: v_dual_mul_f32 v11, v132, v149
	s_delay_alu instid0(VALU_DEP_1) | instskip(NEXT) | instid1(VALU_DEP_1)
	v_dual_fmac_f32 v9, v131, v146 :: v_dual_fmac_f32 v11, v133, v148
	v_add_f32_e32 v9, 0, v9
	s_wait_loadcnt_dscnt 0x408
	s_set_vgpr_msb 64                       ;  msbs: dst=1 src0=0 src1=0 src2=0
	v_dual_mul_f32 v13 /*v269*/, v242, v247 :: v_dual_mul_f32 v15 /*v271*/, v244, v249
	s_set_vgpr_msb 0                        ;  msbs: dst=0 src0=0 src1=0 src2=0
	v_add_f32_e32 v9, v9, v11
	v_mul_f32_e32 v11, v134, v151
	s_set_vgpr_msb 64                       ;  msbs: dst=1 src0=0 src1=0 src2=0
	v_dual_fmac_f32 v13 /*v269*/, v243, v246 :: v_dual_fmac_f32 v15 /*v271*/, v245, v248
	s_set_vgpr_msb 0                        ;  msbs: dst=0 src0=0 src1=0 src2=0
	s_delay_alu instid0(VALU_DEP_2) | instskip(NEXT) | instid1(VALU_DEP_1)
	v_fmac_f32_e32 v11, v135, v150
	v_dual_add_f32 v9, v9, v11 :: v_dual_mul_f32 v11, v136, v153
	s_delay_alu instid0(VALU_DEP_1) | instskip(NEXT) | instid1(VALU_DEP_1)
	v_fmac_f32_e32 v11, v137, v152
	v_add_f32_e32 v9, v9, v11
	v_mul_f32_e32 v11, v138, v155
	s_delay_alu instid0(VALU_DEP_1) | instskip(NEXT) | instid1(VALU_DEP_1)
	v_fmac_f32_e32 v11, v139, v154
	v_dual_add_f32 v9, v9, v11 :: v_dual_mul_f32 v11, v140, v157
	s_delay_alu instid0(VALU_DEP_1) | instskip(NEXT) | instid1(VALU_DEP_1)
	v_fmac_f32_e32 v11, v141, v156
	v_add_f32_e32 v9, v9, v11
	v_mul_f32_e32 v11, v142, v159
	s_delay_alu instid0(VALU_DEP_1) | instskip(NEXT) | instid1(VALU_DEP_1)
	;; [unrolled: 7-line block ×4, first 2 shown]
	v_fmac_f32_e32 v11, v171, v174
	v_dual_add_f32 v9, v9, v11 :: v_dual_mul_f32 v11, v172, v177
	s_delay_alu instid0(VALU_DEP_1) | instskip(NEXT) | instid1(VALU_DEP_1)
	v_fmac_f32_e32 v11, v173, v176
	v_add_f32_e32 v9, v9, v11
	s_wait_dscnt 0x7
	v_mul_f32_e32 v11, v178, v183
	s_delay_alu instid0(VALU_DEP_1) | instskip(NEXT) | instid1(VALU_DEP_1)
	v_fmac_f32_e32 v11, v179, v182
	v_dual_add_f32 v9, v9, v11 :: v_dual_mul_f32 v11, v180, v185
	s_delay_alu instid0(VALU_DEP_1) | instskip(NEXT) | instid1(VALU_DEP_1)
	v_fmac_f32_e32 v11, v181, v184
	v_add_f32_e32 v9, v9, v11
	s_wait_dscnt 0x6
	v_mul_f32_e32 v11, v186, v191
	s_delay_alu instid0(VALU_DEP_1) | instskip(NEXT) | instid1(VALU_DEP_1)
	;; [unrolled: 8-line block ×8, first 2 shown]
	v_fmac_f32_e32 v11, v235, v238
	v_dual_add_f32 v9, v9, v11 :: v_dual_mul_f32 v11, v236, v241
	s_delay_alu instid0(VALU_DEP_1) | instskip(SKIP_1) | instid1(VALU_DEP_1)
	v_fmac_f32_e32 v11, v237, v240
	s_set_vgpr_msb 64                       ;  msbs: dst=1 src0=0 src1=0 src2=0
	v_add_f32_e32 v11 /*v267*/, v9, v11
	s_set_vgpr_msb 0                        ;  msbs: dst=0 src0=0 src1=0 src2=0
	v_dual_mul_f32 v9, v131, v147 :: v_dual_mul_f32 v11, v133, v149
	s_delay_alu instid0(VALU_DEP_1) | instskip(NEXT) | instid1(VALU_DEP_1)
	v_dual_fma_f32 v9, v130, v146, -v9 :: v_dual_fma_f32 v11, v132, v148, -v11
	v_add_f32_e32 v9, 0, v9
	s_delay_alu instid0(VALU_DEP_1) | instskip(SKIP_1) | instid1(VALU_DEP_1)
	v_add_f32_e32 v9, v9, v11
	v_mul_f32_e32 v11, v135, v151
	v_fma_f32 v11, v134, v150, -v11
	s_delay_alu instid0(VALU_DEP_1) | instskip(SKIP_1) | instid1(VALU_DEP_1)
	v_add_f32_e32 v9, v9, v11
	v_mul_f32_e32 v11, v137, v153
	v_fma_f32 v11, v136, v152, -v11
	s_delay_alu instid0(VALU_DEP_1) | instskip(SKIP_1) | instid1(VALU_DEP_1)
	v_add_f32_e32 v9, v9, v11
	v_mul_f32_e32 v11, v139, v155
	v_fma_f32 v11, v138, v154, -v11
	s_delay_alu instid0(VALU_DEP_1) | instskip(SKIP_1) | instid1(VALU_DEP_1)
	v_add_f32_e32 v9, v9, v11
	v_mul_f32_e32 v11, v141, v157
	v_fma_f32 v11, v140, v156, -v11
	s_delay_alu instid0(VALU_DEP_1) | instskip(SKIP_1) | instid1(VALU_DEP_1)
	v_add_f32_e32 v9, v9, v11
	v_mul_f32_e32 v11, v143, v159
	v_fma_f32 v11, v142, v158, -v11
	s_delay_alu instid0(VALU_DEP_1) | instskip(SKIP_1) | instid1(VALU_DEP_1)
	v_add_f32_e32 v9, v9, v11
	v_mul_f32_e32 v11, v145, v161
	v_fma_f32 v11, v144, v160, -v11
	ds_load_b128 v[130:133], v7 offset:960
	ds_load_b128 v[134:137], v7 offset:976
	;; [unrolled: 1-line block ×4, first 2 shown]
	v_add_f32_e32 v9, v9, v11
	v_mul_f32_e32 v11, v163, v167
	s_delay_alu instid0(VALU_DEP_1) | instskip(NEXT) | instid1(VALU_DEP_1)
	v_fma_f32 v11, v162, v166, -v11
	v_add_f32_e32 v9, v9, v11
	v_mul_f32_e32 v11, v165, v169
	s_wait_loadcnt_dscnt 0x303
	v_pk_mul_f32 v[148:149], v[130:131], v[250:251] op_sel:[1,1] op_sel_hi:[0,1]
	s_delay_alu instid0(VALU_DEP_2) | instskip(NEXT) | instid1(VALU_DEP_2)
	v_fma_f32 v11, v164, v168, -v11
	v_pk_fma_f32 v[150:151], v[130:131], v[250:251], v[148:149] neg_lo:[0,0,1] neg_hi:[0,0,1]
	v_pk_fma_f32 v[130:131], v[130:131], v[250:251], v[148:149] op_sel_hi:[1,0,1]
	v_mov_b32_e32 v148, v253
	s_delay_alu instid0(VALU_DEP_4) | instskip(SKIP_1) | instid1(VALU_DEP_1)
	v_add_f32_e32 v9, v9, v11
	v_mul_f32_e32 v11, v171, v175
	v_dual_mov_b32 v151, v131 :: v_dual_fma_f32 v11, v170, v174, -v11
	s_delay_alu instid0(VALU_DEP_1) | instskip(SKIP_1) | instid1(VALU_DEP_1)
	v_add_f32_e32 v9, v9, v11
	v_mul_f32_e32 v11, v173, v177
	v_fma_f32 v11, v172, v176, -v11
	s_delay_alu instid0(VALU_DEP_1) | instskip(SKIP_1) | instid1(VALU_DEP_1)
	v_add_f32_e32 v9, v9, v11
	v_mul_f32_e32 v11, v179, v183
	v_fma_f32 v11, v178, v182, -v11
	;; [unrolled: 4-line block ×17, first 2 shown]
	s_set_vgpr_msb 64                       ;  msbs: dst=1 src0=0 src1=0 src2=0
	s_delay_alu instid0(VALU_DEP_1) | instskip(SKIP_3) | instid1(VALU_DEP_1)
	v_add_f32_e32 v10 /*v266*/, v9, v11
	s_set_vgpr_msb 0                        ;  msbs: dst=0 src0=0 src1=0 src2=0
	v_mul_f32_e32 v9, v243, v247
	s_set_vgpr_msb 64                       ;  msbs: dst=1 src0=0 src1=0 src2=0
	v_fma_f32 v12 /*v268*/, v242, v246, -v9
	s_set_vgpr_msb 0                        ;  msbs: dst=0 src0=0 src1=0 src2=0
	v_mul_f32_e32 v9, v245, v249
	s_set_vgpr_msb 5                        ;  msbs: dst=0 src0=1 src1=1 src2=0
	s_delay_alu instid0(VALU_DEP_2) | instskip(SKIP_1) | instid1(VALU_DEP_2)
	v_pk_add_f32 v[146:147], v[10:11] /*v[266:267]*/, v[12:13] /*v[268:269]*/
	s_set_vgpr_msb 64                       ;  msbs: dst=1 src0=0 src1=0 src2=0
	v_fma_f32 v14 /*v270*/, v244, v248, -v9
	s_set_vgpr_msb 4                        ;  msbs: dst=0 src0=0 src1=1 src2=0
	s_delay_alu instid0(VALU_DEP_1) | instskip(SKIP_1) | instid1(VALU_DEP_1)
	v_pk_add_f32 v[146:147], v[146:147], v[14:15] /*v[270:271]*/
	s_set_vgpr_msb 0                        ;  msbs: dst=0 src0=0 src1=0 src2=0
	v_pk_add_f32 v[130:131], v[146:147], v[150:151]
	v_dual_mov_b32 v146, v133 :: v_dual_mov_b32 v147, v132
	s_delay_alu instid0(VALU_DEP_1) | instskip(NEXT) | instid1(VALU_DEP_1)
	v_pk_mul_f32 v[146:147], v[146:147], v[148:149] op_sel_hi:[1,0]
	v_pk_fma_f32 v[148:149], v[132:133], v[252:253], v[146:147] neg_lo:[0,0,1] neg_hi:[0,0,1]
	v_pk_fma_f32 v[132:133], v[132:133], v[252:253], v[146:147] op_sel_hi:[1,0,1]
	s_delay_alu instid0(VALU_DEP_1) | instskip(SKIP_2) | instid1(VALU_DEP_2)
	v_mov_b32_e32 v149, v133
	s_wait_loadcnt_dscnt 0x202
	v_pk_mul_f32 v[132:133], v[134:135], v[254:255] op_sel:[1,1] op_sel_hi:[0,1]
	v_pk_add_f32 v[130:131], v[130:131], v[148:149]
	s_delay_alu instid0(VALU_DEP_2)
	v_pk_fma_f32 v[146:147], v[134:135], v[254:255], v[132:133] neg_lo:[0,0,1] neg_hi:[0,0,1]
	v_pk_fma_f32 v[132:133], v[134:135], v[254:255], v[132:133] op_sel_hi:[1,0,1]
	v_mov_b32_e32 v132, v137
	s_set_vgpr_msb 1                        ;  msbs: dst=0 src0=1 src1=0 src2=0
	v_mov_b32_e32 v134, v1 /*v257*/
	s_set_vgpr_msb 0                        ;  msbs: dst=0 src0=0 src1=0 src2=0
	v_dual_mov_b32 v147, v133 :: v_dual_mov_b32 v133, v136
	s_delay_alu instid0(VALU_DEP_1) | instskip(NEXT) | instid1(VALU_DEP_2)
	v_pk_add_f32 v[130:131], v[130:131], v[146:147]
	v_pk_mul_f32 v[132:133], v[132:133], v[134:135] op_sel_hi:[1,0]
	s_set_vgpr_msb 4                        ;  msbs: dst=0 src0=0 src1=1 src2=0
	s_delay_alu instid0(VALU_DEP_1) | instskip(SKIP_1) | instid1(VALU_DEP_1)
	v_pk_fma_f32 v[134:135], v[136:137], v[0:1] /*v[256:257]*/, v[132:133] neg_lo:[0,0,1] neg_hi:[0,0,1]
	v_pk_fma_f32 v[132:133], v[136:137], v[0:1] /*v[256:257]*/, v[132:133] op_sel_hi:[1,0,1]
	v_mov_b32_e32 v135, v133
	s_wait_loadcnt_dscnt 0x101
	v_pk_mul_f32 v[132:133], v[138:139], v[2:3] /*v[258:259]*/ op_sel:[1,1] op_sel_hi:[0,1]
	s_set_vgpr_msb 0                        ;  msbs: dst=0 src0=0 src1=0 src2=0
	s_delay_alu instid0(VALU_DEP_2) | instskip(SKIP_1) | instid1(VALU_DEP_2)
	v_pk_add_f32 v[130:131], v[130:131], v[134:135]
	s_set_vgpr_msb 4                        ;  msbs: dst=0 src0=0 src1=1 src2=0
	v_pk_fma_f32 v[134:135], v[138:139], v[2:3] /*v[258:259]*/, v[132:133] neg_lo:[0,0,1] neg_hi:[0,0,1]
	v_pk_fma_f32 v[132:133], v[138:139], v[2:3] /*v[258:259]*/, v[132:133] op_sel_hi:[1,0,1]
	s_delay_alu instid0(VALU_DEP_1) | instskip(SKIP_2) | instid1(VALU_DEP_2)
	v_dual_mov_b32 v132, v141 :: v_dual_mov_b32 v135, v133
	v_mov_b32_e32 v133, v140
	s_set_vgpr_msb 0                        ;  msbs: dst=0 src0=0 src1=0 src2=0
	v_pk_add_f32 v[130:131], v[130:131], v[134:135]
	s_set_vgpr_msb 1                        ;  msbs: dst=0 src0=1 src1=0 src2=0
	v_mov_b32_e32 v134, v5 /*v261*/
	s_set_vgpr_msb 0                        ;  msbs: dst=0 src0=0 src1=0 src2=0
	s_delay_alu instid0(VALU_DEP_1) | instskip(SKIP_1) | instid1(VALU_DEP_1)
	v_pk_mul_f32 v[132:133], v[132:133], v[134:135] op_sel_hi:[1,0]
	s_set_vgpr_msb 4                        ;  msbs: dst=0 src0=0 src1=1 src2=0
	v_pk_fma_f32 v[134:135], v[140:141], v[4:5] /*v[260:261]*/, v[132:133] neg_lo:[0,0,1] neg_hi:[0,0,1]
	v_pk_fma_f32 v[132:133], v[140:141], v[4:5] /*v[260:261]*/, v[132:133] op_sel_hi:[1,0,1]
	s_delay_alu instid0(VALU_DEP_1) | instskip(SKIP_3) | instid1(VALU_DEP_2)
	v_mov_b32_e32 v135, v133
	s_wait_loadcnt_dscnt 0x0
	v_pk_mul_f32 v[132:133], v[142:143], v[6:7] /*v[262:263]*/ op_sel:[1,1] op_sel_hi:[0,1]
	s_set_vgpr_msb 0                        ;  msbs: dst=0 src0=0 src1=0 src2=0
	v_pk_add_f32 v[130:131], v[130:131], v[134:135]
	s_set_vgpr_msb 4                        ;  msbs: dst=0 src0=0 src1=1 src2=0
	s_delay_alu instid0(VALU_DEP_2) | instskip(SKIP_1) | instid1(VALU_DEP_1)
	v_pk_fma_f32 v[134:135], v[142:143], v[6:7] /*v[262:263]*/, v[132:133] neg_lo:[0,0,1] neg_hi:[0,0,1]
	v_pk_fma_f32 v[132:133], v[142:143], v[6:7] /*v[262:263]*/, v[132:133] op_sel_hi:[1,0,1]
	v_dual_mov_b32 v132, v145 :: v_dual_mov_b32 v135, v133
	v_mov_b32_e32 v133, v144
	s_set_vgpr_msb 0                        ;  msbs: dst=0 src0=0 src1=0 src2=0
	s_delay_alu instid0(VALU_DEP_2) | instskip(SKIP_3) | instid1(VALU_DEP_1)
	v_pk_add_f32 v[130:131], v[130:131], v[134:135]
	s_set_vgpr_msb 1                        ;  msbs: dst=0 src0=1 src1=0 src2=0
	v_mov_b32_e32 v134, v9 /*v265*/
	s_set_vgpr_msb 0                        ;  msbs: dst=0 src0=0 src1=0 src2=0
	v_pk_mul_f32 v[132:133], v[132:133], v[134:135] op_sel_hi:[1,0]
	s_set_vgpr_msb 4                        ;  msbs: dst=0 src0=0 src1=1 src2=0
	s_delay_alu instid0(VALU_DEP_1) | instskip(SKIP_1) | instid1(VALU_DEP_1)
	v_pk_fma_f32 v[134:135], v[144:145], v[8:9] /*v[264:265]*/, v[132:133] neg_lo:[0,0,1] neg_hi:[0,0,1]
	v_pk_fma_f32 v[132:133], v[144:145], v[8:9] /*v[264:265]*/, v[132:133] op_sel_hi:[1,0,1]
	v_mov_b32_e32 v135, v133
	scratch_load_b64 v[132:133], off, off offset:200
	s_set_vgpr_msb 0                        ;  msbs: dst=0 src0=0 src1=0 src2=0
	v_pk_add_f32 v[130:131], v[130:131], v[134:135]
	s_wait_loadcnt 0x0
	s_delay_alu instid0(VALU_DEP_1)
	v_pk_add_f32 v[130:131], v[132:133], v[130:131] neg_lo:[0,1] neg_hi:[0,1]
	scratch_store_b64 off, v[130:131], off offset:200
	s_wait_xcnt 0x0
	v_cmpx_lt_u32_e32 24, v0
	s_cbranch_execz .LBB63_349
; %bb.348:
	scratch_load_b64 v[130:131], off, off offset:192
	v_mov_b64_e32 v[132:133], 0
	scratch_store_b64 off, v[132:133], off offset:192
	s_wait_loadcnt 0x0
	ds_store_b64 v1, v[130:131]
.LBB63_349:
	s_wait_xcnt 0x0
	s_or_b32 exec_lo, exec_lo, s0
	s_wait_storecnt_dscnt 0x0
	s_barrier_signal -1
	s_barrier_wait -1
	s_clause 0xf
	scratch_load_b128 v[134:137], off, off offset:200
	scratch_load_b128 v[142:145], off, off offset:216
	;; [unrolled: 1-line block ×16, first 2 shown]
	v_mov_b32_e32 v7, 0
	s_mov_b32 s0, exec_lo
	ds_load_2addr_b64 v[130:133], v7 offset0:89 offset1:90
	ds_load_2addr_b64 v[138:141], v7 offset0:91 offset1:92
	s_wait_loadcnt_dscnt 0xf01
	v_dual_mul_f32 v9, v130, v135 :: v_dual_mul_f32 v11, v132, v137
	ds_load_2addr_b64 v[146:149], v7 offset0:93 offset1:94
	ds_load_2addr_b64 v[154:157], v7 offset0:95 offset1:96
	;; [unrolled: 1-line block ×4, first 2 shown]
	v_dual_fmac_f32 v9, v131, v134 :: v_dual_fmac_f32 v11, v133, v136
	ds_load_2addr_b64 v[162:165], v7 offset0:97 offset1:98
	ds_load_2addr_b64 v[170:173], v7 offset0:99 offset1:100
	;; [unrolled: 1-line block ×4, first 2 shown]
	v_add_f32_e32 v9, 0, v9
	ds_load_2addr_b64 v[194:197], v7 offset0:105 offset1:106
	ds_load_2addr_b64 v[202:205], v7 offset0:107 offset1:108
	;; [unrolled: 1-line block ×4, first 2 shown]
	v_add_f32_e32 v9, v9, v11
	s_wait_loadcnt_dscnt 0xe0c
	v_mul_f32_e32 v11, v138, v143
	ds_load_2addr_b64 v[226:229], v7 offset0:113 offset1:114
	ds_load_2addr_b64 v[234:237], v7 offset0:115 offset1:116
	s_set_vgpr_msb 64                       ;  msbs: dst=1 src0=0 src1=0 src2=0
	s_clause 0x3
	scratch_load_b128 v[2:5] /*v[258:261]*/, off, off offset:456
	scratch_load_b128 v[6:9] /*v[262:265]*/, off, off offset:472
	;; [unrolled: 1-line block ×3, first 2 shown]
	scratch_load_b64 v[20:21] /*v[276:277]*/, off, off offset:504
	s_set_vgpr_msb 0                        ;  msbs: dst=0 src0=0 src1=0 src2=0
	v_fmac_f32_e32 v11, v139, v142
	s_wait_loadcnt_dscnt 0x40a
	s_set_vgpr_msb 64                       ;  msbs: dst=1 src0=0 src1=0 src2=0
	v_dual_mul_f32 v17 /*v273*/, v244, v249 :: v_dual_mul_f32 v19 /*v275*/, v250, v255
	s_set_vgpr_msb 0                        ;  msbs: dst=0 src0=0 src1=0 src2=0
	v_dual_add_f32 v9, v9, v11 :: v_dual_mul_f32 v11, v140, v145
	s_set_vgpr_msb 64                       ;  msbs: dst=1 src0=0 src1=0 src2=0
	s_delay_alu instid0(VALU_DEP_2) | instskip(SKIP_1) | instid1(VALU_DEP_2)
	v_fmac_f32_e32 v17 /*v273*/, v245, v248
	s_set_vgpr_msb 0                        ;  msbs: dst=0 src0=0 src1=0 src2=0
	v_fmac_f32_e32 v11, v141, v144
	s_delay_alu instid0(VALU_DEP_1) | instskip(SKIP_1) | instid1(VALU_DEP_1)
	v_add_f32_e32 v9, v9, v11
	v_mul_f32_e32 v11, v146, v151
	v_fmac_f32_e32 v11, v147, v150
	s_delay_alu instid0(VALU_DEP_1) | instskip(NEXT) | instid1(VALU_DEP_1)
	v_dual_add_f32 v9, v9, v11 :: v_dual_mul_f32 v11, v148, v153
	v_fmac_f32_e32 v11, v149, v152
	s_delay_alu instid0(VALU_DEP_1) | instskip(SKIP_1) | instid1(VALU_DEP_1)
	v_add_f32_e32 v9, v9, v11
	v_mul_f32_e32 v11, v154, v159
	v_fmac_f32_e32 v11, v155, v158
	s_delay_alu instid0(VALU_DEP_1) | instskip(NEXT) | instid1(VALU_DEP_1)
	v_dual_add_f32 v9, v9, v11 :: v_dual_mul_f32 v11, v156, v161
	v_fmac_f32_e32 v11, v157, v160
	s_delay_alu instid0(VALU_DEP_1) | instskip(SKIP_2) | instid1(VALU_DEP_1)
	v_add_f32_e32 v9, v9, v11
	s_wait_dscnt 0x9
	v_mul_f32_e32 v11, v162, v167
	v_fmac_f32_e32 v11, v163, v166
	s_delay_alu instid0(VALU_DEP_1) | instskip(NEXT) | instid1(VALU_DEP_1)
	v_dual_add_f32 v9, v9, v11 :: v_dual_mul_f32 v11, v164, v169
	v_fmac_f32_e32 v11, v165, v168
	s_delay_alu instid0(VALU_DEP_1) | instskip(SKIP_2) | instid1(VALU_DEP_1)
	v_add_f32_e32 v9, v9, v11
	s_wait_dscnt 0x8
	;; [unrolled: 8-line block ×10, first 2 shown]
	v_mul_f32_e32 v11, v234, v239
	v_fmac_f32_e32 v11, v235, v238
	s_delay_alu instid0(VALU_DEP_1) | instskip(NEXT) | instid1(VALU_DEP_1)
	v_dual_add_f32 v9, v9, v11 :: v_dual_mul_f32 v11, v236, v241
	v_fmac_f32_e32 v11, v237, v240
	s_delay_alu instid0(VALU_DEP_1) | instskip(SKIP_1) | instid1(VALU_DEP_1)
	v_add_f32_e32 v9, v9, v11
	v_mul_f32_e32 v11, v242, v247
	v_fmac_f32_e32 v11, v243, v246
	s_set_vgpr_msb 64                       ;  msbs: dst=1 src0=0 src1=0 src2=0
	s_delay_alu instid0(VALU_DEP_1) | instskip(SKIP_2) | instid1(VALU_DEP_1)
	v_add_f32_e32 v15 /*v271*/, v9, v11
	s_set_vgpr_msb 0                        ;  msbs: dst=0 src0=0 src1=0 src2=0
	v_dual_mul_f32 v9, v131, v135 :: v_dual_mul_f32 v11, v133, v137
	v_dual_fma_f32 v9, v130, v134, -v9 :: v_dual_fma_f32 v11, v132, v136, -v11
	s_delay_alu instid0(VALU_DEP_1) | instskip(NEXT) | instid1(VALU_DEP_1)
	v_add_f32_e32 v9, 0, v9
	v_add_f32_e32 v9, v9, v11
	v_mul_f32_e32 v11, v139, v143
	s_delay_alu instid0(VALU_DEP_1) | instskip(NEXT) | instid1(VALU_DEP_1)
	v_fma_f32 v11, v138, v142, -v11
	v_add_f32_e32 v9, v9, v11
	v_mul_f32_e32 v11, v141, v145
	s_delay_alu instid0(VALU_DEP_1)
	v_fma_f32 v11, v140, v144, -v11
	ds_load_2addr_b64 v[130:133], v7 offset0:121 offset1:122
	ds_load_2addr_b64 v[134:137], v7 offset0:123 offset1:124
	;; [unrolled: 1-line block ×3, first 2 shown]
	ds_load_b64 v[142:143], v7 offset:1016
	v_add_f32_e32 v9, v9, v11
	v_dual_mul_f32 v11, v147, v151 :: v_dual_mov_b32 v147, v252
	s_delay_alu instid0(VALU_DEP_1) | instskip(NEXT) | instid1(VALU_DEP_1)
	v_dual_fma_f32 v11, v146, v150, -v11 :: v_dual_mov_b32 v146, v253
	v_add_f32_e32 v9, v9, v11
	v_mul_f32_e32 v11, v149, v153
	s_delay_alu instid0(VALU_DEP_1) | instskip(SKIP_3) | instid1(VALU_DEP_2)
	v_fma_f32 v11, v148, v152, -v11
	s_set_vgpr_msb 1                        ;  msbs: dst=0 src0=1 src1=0 src2=0
	v_mov_b32_e32 v148, v1 /*v257*/
	s_set_vgpr_msb 0                        ;  msbs: dst=0 src0=0 src1=0 src2=0
	v_add_f32_e32 v9, v9, v11
	v_mul_f32_e32 v11, v155, v159
	s_delay_alu instid0(VALU_DEP_3) | instskip(NEXT) | instid1(VALU_DEP_2)
	v_pk_mul_f32 v[146:147], v[146:147], v[148:149] op_sel_hi:[1,0]
	v_fma_f32 v11, v154, v158, -v11
	s_set_vgpr_msb 4                        ;  msbs: dst=0 src0=0 src1=1 src2=0
	s_delay_alu instid0(VALU_DEP_2) | instskip(SKIP_3) | instid1(VALU_DEP_2)
	v_pk_fma_f32 v[148:149], v[252:253], v[0:1] /*v[256:257]*/, v[146:147] neg_lo:[0,0,1] neg_hi:[0,0,1]
	v_pk_fma_f32 v[146:147], v[252:253], v[0:1] /*v[256:257]*/, v[146:147] op_sel_hi:[1,0,1]
	s_set_vgpr_msb 0                        ;  msbs: dst=0 src0=0 src1=0 src2=0
	v_add_f32_e32 v9, v9, v11
	v_dual_mul_f32 v11, v157, v161 :: v_dual_mov_b32 v149, v147
	s_wait_loadcnt_dscnt 0x303
	s_set_vgpr_msb 4                        ;  msbs: dst=0 src0=0 src1=1 src2=0
	v_pk_mul_f32 v[146:147], v[130:131], v[2:3] /*v[258:259]*/ op_sel:[1,1] op_sel_hi:[0,1]
	s_set_vgpr_msb 0                        ;  msbs: dst=0 src0=0 src1=0 src2=0
	v_fma_f32 v11, v156, v160, -v11
	s_delay_alu instid0(VALU_DEP_1) | instskip(SKIP_1) | instid1(VALU_DEP_1)
	v_add_f32_e32 v9, v9, v11
	v_mul_f32_e32 v11, v163, v167
	v_fma_f32 v11, v162, v166, -v11
	s_delay_alu instid0(VALU_DEP_1) | instskip(SKIP_1) | instid1(VALU_DEP_1)
	v_add_f32_e32 v9, v9, v11
	v_mul_f32_e32 v11, v165, v169
	;; [unrolled: 4-line block ×21, first 2 shown]
	v_fma_f32 v11, v242, v246, -v11
	s_set_vgpr_msb 64                       ;  msbs: dst=1 src0=0 src1=0 src2=0
	s_delay_alu instid0(VALU_DEP_1) | instskip(SKIP_3) | instid1(VALU_DEP_1)
	v_dual_fmac_f32 v19 /*v275*/, v251, v254 :: v_dual_add_f32 v14 /*v270*/, v9, v11
	s_set_vgpr_msb 0                        ;  msbs: dst=0 src0=0 src1=0 src2=0
	v_mul_f32_e32 v9, v245, v249
	s_set_vgpr_msb 64                       ;  msbs: dst=1 src0=0 src1=0 src2=0
	v_fma_f32 v16 /*v272*/, v244, v248, -v9
	s_set_vgpr_msb 0                        ;  msbs: dst=0 src0=0 src1=0 src2=0
	v_mul_f32_e32 v9, v251, v255
	s_set_vgpr_msb 64                       ;  msbs: dst=1 src0=0 src1=0 src2=0
	s_delay_alu instid0(VALU_DEP_1) | instskip(SKIP_3) | instid1(VALU_DEP_1)
	v_fma_f32 v18 /*v274*/, v250, v254, -v9
	s_set_vgpr_msb 5                        ;  msbs: dst=0 src0=1 src1=1 src2=0
	v_pk_add_f32 v[144:145], v[14:15] /*v[270:271]*/, v[16:17] /*v[272:273]*/
	s_set_vgpr_msb 4                        ;  msbs: dst=0 src0=0 src1=1 src2=0
	v_pk_add_f32 v[144:145], v[144:145], v[18:19] /*v[274:275]*/
	s_set_vgpr_msb 0                        ;  msbs: dst=0 src0=0 src1=0 src2=0
	s_delay_alu instid0(VALU_DEP_1)
	v_pk_add_f32 v[144:145], v[144:145], v[148:149]
	s_set_vgpr_msb 4                        ;  msbs: dst=0 src0=0 src1=1 src2=0
	v_pk_fma_f32 v[148:149], v[130:131], v[2:3] /*v[258:259]*/, v[146:147] neg_lo:[0,0,1] neg_hi:[0,0,1]
	v_pk_fma_f32 v[130:131], v[130:131], v[2:3] /*v[258:259]*/, v[146:147] op_sel_hi:[1,0,1]
	s_set_vgpr_msb 1                        ;  msbs: dst=0 src0=1 src1=0 src2=0
	v_mov_b32_e32 v146, v5 /*v261*/
	s_set_vgpr_msb 0                        ;  msbs: dst=0 src0=0 src1=0 src2=0
	s_delay_alu instid0(VALU_DEP_2) | instskip(NEXT) | instid1(VALU_DEP_1)
	v_mov_b32_e32 v149, v131
	v_pk_add_f32 v[130:131], v[144:145], v[148:149]
	v_dual_mov_b32 v144, v133 :: v_dual_mov_b32 v145, v132
	s_delay_alu instid0(VALU_DEP_1) | instskip(SKIP_1) | instid1(VALU_DEP_1)
	v_pk_mul_f32 v[144:145], v[144:145], v[146:147] op_sel_hi:[1,0]
	s_set_vgpr_msb 4                        ;  msbs: dst=0 src0=0 src1=1 src2=0
	v_pk_fma_f32 v[146:147], v[132:133], v[4:5] /*v[260:261]*/, v[144:145] neg_lo:[0,0,1] neg_hi:[0,0,1]
	v_pk_fma_f32 v[132:133], v[132:133], v[4:5] /*v[260:261]*/, v[144:145] op_sel_hi:[1,0,1]
	s_delay_alu instid0(VALU_DEP_1) | instskip(SKIP_3) | instid1(VALU_DEP_2)
	v_mov_b32_e32 v147, v133
	s_wait_loadcnt_dscnt 0x202
	v_pk_mul_f32 v[132:133], v[134:135], v[6:7] /*v[262:263]*/ op_sel:[1,1] op_sel_hi:[0,1]
	s_set_vgpr_msb 0                        ;  msbs: dst=0 src0=0 src1=0 src2=0
	v_pk_add_f32 v[130:131], v[130:131], v[146:147]
	s_set_vgpr_msb 4                        ;  msbs: dst=0 src0=0 src1=1 src2=0
	s_delay_alu instid0(VALU_DEP_2)
	v_pk_fma_f32 v[144:145], v[134:135], v[6:7] /*v[262:263]*/, v[132:133] neg_lo:[0,0,1] neg_hi:[0,0,1]
	v_pk_fma_f32 v[132:133], v[134:135], v[6:7] /*v[262:263]*/, v[132:133] op_sel_hi:[1,0,1]
	v_mov_b32_e32 v132, v137
	s_set_vgpr_msb 1                        ;  msbs: dst=0 src0=1 src1=0 src2=0
	v_mov_b32_e32 v134, v9 /*v265*/
	s_set_vgpr_msb 0                        ;  msbs: dst=0 src0=0 src1=0 src2=0
	v_dual_mov_b32 v145, v133 :: v_dual_mov_b32 v133, v136
	s_delay_alu instid0(VALU_DEP_1) | instskip(NEXT) | instid1(VALU_DEP_2)
	v_pk_add_f32 v[130:131], v[130:131], v[144:145]
	v_pk_mul_f32 v[132:133], v[132:133], v[134:135] op_sel_hi:[1,0]
	s_set_vgpr_msb 4                        ;  msbs: dst=0 src0=0 src1=1 src2=0
	s_delay_alu instid0(VALU_DEP_1) | instskip(SKIP_1) | instid1(VALU_DEP_1)
	v_pk_fma_f32 v[134:135], v[136:137], v[8:9] /*v[264:265]*/, v[132:133] neg_lo:[0,0,1] neg_hi:[0,0,1]
	v_pk_fma_f32 v[132:133], v[136:137], v[8:9] /*v[264:265]*/, v[132:133] op_sel_hi:[1,0,1]
	v_mov_b32_e32 v135, v133
	s_wait_loadcnt_dscnt 0x101
	v_pk_mul_f32 v[132:133], v[138:139], v[10:11] /*v[266:267]*/ op_sel:[1,1] op_sel_hi:[0,1]
	s_set_vgpr_msb 0                        ;  msbs: dst=0 src0=0 src1=0 src2=0
	s_delay_alu instid0(VALU_DEP_2) | instskip(SKIP_1) | instid1(VALU_DEP_2)
	v_pk_add_f32 v[130:131], v[130:131], v[134:135]
	s_set_vgpr_msb 4                        ;  msbs: dst=0 src0=0 src1=1 src2=0
	v_pk_fma_f32 v[134:135], v[138:139], v[10:11] /*v[266:267]*/, v[132:133] neg_lo:[0,0,1] neg_hi:[0,0,1]
	v_pk_fma_f32 v[132:133], v[138:139], v[10:11] /*v[266:267]*/, v[132:133] op_sel_hi:[1,0,1]
	s_delay_alu instid0(VALU_DEP_1) | instskip(SKIP_2) | instid1(VALU_DEP_2)
	v_dual_mov_b32 v132, v141 :: v_dual_mov_b32 v135, v133
	v_mov_b32_e32 v133, v140
	s_set_vgpr_msb 0                        ;  msbs: dst=0 src0=0 src1=0 src2=0
	v_pk_add_f32 v[130:131], v[130:131], v[134:135]
	s_set_vgpr_msb 1                        ;  msbs: dst=0 src0=1 src1=0 src2=0
	v_mov_b32_e32 v134, v13 /*v269*/
	s_set_vgpr_msb 0                        ;  msbs: dst=0 src0=0 src1=0 src2=0
	s_delay_alu instid0(VALU_DEP_1) | instskip(SKIP_1) | instid1(VALU_DEP_1)
	v_pk_mul_f32 v[132:133], v[132:133], v[134:135] op_sel_hi:[1,0]
	s_set_vgpr_msb 4                        ;  msbs: dst=0 src0=0 src1=1 src2=0
	v_pk_fma_f32 v[134:135], v[140:141], v[12:13] /*v[268:269]*/, v[132:133] neg_lo:[0,0,1] neg_hi:[0,0,1]
	v_pk_fma_f32 v[132:133], v[140:141], v[12:13] /*v[268:269]*/, v[132:133] op_sel_hi:[1,0,1]
	s_delay_alu instid0(VALU_DEP_1) | instskip(SKIP_3) | instid1(VALU_DEP_2)
	v_mov_b32_e32 v135, v133
	s_wait_loadcnt_dscnt 0x0
	v_pk_mul_f32 v[132:133], v[142:143], v[20:21] /*v[276:277]*/ op_sel:[1,1] op_sel_hi:[0,1]
	s_set_vgpr_msb 0                        ;  msbs: dst=0 src0=0 src1=0 src2=0
	v_pk_add_f32 v[130:131], v[130:131], v[134:135]
	s_set_vgpr_msb 4                        ;  msbs: dst=0 src0=0 src1=1 src2=0
	s_delay_alu instid0(VALU_DEP_2) | instskip(SKIP_1) | instid1(VALU_DEP_1)
	v_pk_fma_f32 v[134:135], v[142:143], v[20:21] /*v[276:277]*/, v[132:133] neg_lo:[0,0,1] neg_hi:[0,0,1]
	v_pk_fma_f32 v[132:133], v[142:143], v[20:21] /*v[276:277]*/, v[132:133] op_sel_hi:[1,0,1]
	v_mov_b32_e32 v135, v133
	scratch_load_b64 v[132:133], off, off offset:192
	s_set_vgpr_msb 0                        ;  msbs: dst=0 src0=0 src1=0 src2=0
	v_pk_add_f32 v[130:131], v[130:131], v[134:135]
	s_wait_loadcnt 0x0
	s_delay_alu instid0(VALU_DEP_1)
	v_pk_add_f32 v[130:131], v[132:133], v[130:131] neg_lo:[0,1] neg_hi:[0,1]
	scratch_store_b64 off, v[130:131], off offset:192
	s_wait_xcnt 0x0
	v_cmpx_lt_u32_e32 23, v0
	s_cbranch_execz .LBB63_351
; %bb.350:
	scratch_load_b64 v[130:131], off, off offset:184
	v_mov_b64_e32 v[132:133], 0
	scratch_store_b64 off, v[132:133], off offset:184
	s_wait_loadcnt 0x0
	ds_store_b64 v1, v[130:131]
.LBB63_351:
	s_wait_xcnt 0x0
	s_or_b32 exec_lo, exec_lo, s0
	s_wait_storecnt_dscnt 0x0
	s_barrier_signal -1
	s_barrier_wait -1
	ds_load_b128 v[130:133], v7 offset:704
	ds_load_b128 v[134:137], v7 offset:720
	;; [unrolled: 1-line block ×4, first 2 shown]
	s_clause 0xf
	scratch_load_b128 v[146:149], off, off offset:192
	scratch_load_b128 v[150:153], off, off offset:208
	;; [unrolled: 1-line block ×16, first 2 shown]
	ds_load_b128 v[162:165], v7 offset:768
	ds_load_b128 v[170:173], v7 offset:784
	;; [unrolled: 1-line block ×12, first 2 shown]
	s_set_vgpr_msb 64                       ;  msbs: dst=1 src0=0 src1=0 src2=0
	s_clause 0x3
	scratch_load_b128 v[2:5] /*v[258:261]*/, off, off offset:448
	scratch_load_b128 v[6:9] /*v[262:265]*/, off, off offset:464
	;; [unrolled: 1-line block ×4, first 2 shown]
	s_mov_b32 s0, exec_lo
	s_wait_loadcnt_dscnt 0x130f
	s_set_vgpr_msb 0                        ;  msbs: dst=0 src0=0 src1=0 src2=0
	v_dual_mul_f32 v9, v130, v147 :: v_dual_mul_f32 v11, v132, v149
	s_delay_alu instid0(VALU_DEP_1) | instskip(NEXT) | instid1(VALU_DEP_1)
	v_dual_fmac_f32 v9, v131, v146 :: v_dual_fmac_f32 v11, v133, v148
	v_add_f32_e32 v9, 0, v9
	s_delay_alu instid0(VALU_DEP_1)
	v_add_f32_e32 v9, v9, v11
	s_wait_loadcnt_dscnt 0x120e
	v_mul_f32_e32 v11, v134, v151
	s_wait_loadcnt_dscnt 0x408
	s_set_vgpr_msb 64                       ;  msbs: dst=1 src0=0 src1=0 src2=0
	v_mul_f32_e32 v21 /*v277*/, v250, v255
	s_set_vgpr_msb 0                        ;  msbs: dst=0 src0=0 src1=0 src2=0
	v_fmac_f32_e32 v11, v135, v150
	s_delay_alu instid0(VALU_DEP_1) | instskip(NEXT) | instid1(VALU_DEP_1)
	v_dual_add_f32 v9, v9, v11 :: v_dual_mul_f32 v11, v136, v153
	v_fmac_f32_e32 v11, v137, v152
	s_delay_alu instid0(VALU_DEP_1) | instskip(SKIP_1) | instid1(VALU_DEP_1)
	v_add_f32_e32 v9, v9, v11
	v_mul_f32_e32 v11, v138, v155
	v_fmac_f32_e32 v11, v139, v154
	s_delay_alu instid0(VALU_DEP_1) | instskip(NEXT) | instid1(VALU_DEP_1)
	v_dual_add_f32 v9, v9, v11 :: v_dual_mul_f32 v11, v140, v157
	v_fmac_f32_e32 v11, v141, v156
	s_delay_alu instid0(VALU_DEP_1) | instskip(SKIP_1) | instid1(VALU_DEP_1)
	v_add_f32_e32 v9, v9, v11
	v_mul_f32_e32 v11, v142, v159
	;; [unrolled: 7-line block ×4, first 2 shown]
	v_fmac_f32_e32 v11, v171, v174
	s_delay_alu instid0(VALU_DEP_1) | instskip(NEXT) | instid1(VALU_DEP_1)
	v_dual_add_f32 v9, v9, v11 :: v_dual_mul_f32 v11, v172, v177
	v_fmac_f32_e32 v11, v173, v176
	s_delay_alu instid0(VALU_DEP_1) | instskip(SKIP_2) | instid1(VALU_DEP_1)
	v_add_f32_e32 v9, v9, v11
	s_wait_dscnt 0x7
	v_mul_f32_e32 v11, v178, v183
	v_fmac_f32_e32 v11, v179, v182
	s_delay_alu instid0(VALU_DEP_1) | instskip(NEXT) | instid1(VALU_DEP_1)
	v_dual_add_f32 v9, v9, v11 :: v_dual_mul_f32 v11, v180, v185
	v_fmac_f32_e32 v11, v181, v184
	s_delay_alu instid0(VALU_DEP_1) | instskip(SKIP_2) | instid1(VALU_DEP_1)
	v_add_f32_e32 v9, v9, v11
	s_wait_dscnt 0x6
	v_mul_f32_e32 v11, v186, v191
	;; [unrolled: 8-line block ×8, first 2 shown]
	v_fmac_f32_e32 v11, v235, v238
	s_delay_alu instid0(VALU_DEP_1) | instskip(NEXT) | instid1(VALU_DEP_1)
	v_dual_add_f32 v9, v9, v11 :: v_dual_mul_f32 v11, v236, v241
	v_fmac_f32_e32 v11, v237, v240
	s_delay_alu instid0(VALU_DEP_1) | instskip(SKIP_1) | instid1(VALU_DEP_1)
	v_add_f32_e32 v9, v9, v11
	v_mul_f32_e32 v11, v242, v247
	v_fmac_f32_e32 v11, v243, v246
	s_delay_alu instid0(VALU_DEP_1) | instskip(NEXT) | instid1(VALU_DEP_1)
	v_dual_add_f32 v9, v9, v11 :: v_dual_mul_f32 v11, v244, v249
	v_fmac_f32_e32 v11, v245, v248
	s_set_vgpr_msb 64                       ;  msbs: dst=1 src0=0 src1=0 src2=0
	s_delay_alu instid0(VALU_DEP_1) | instskip(SKIP_2) | instid1(VALU_DEP_1)
	v_add_f32_e32 v19 /*v275*/, v9, v11
	s_set_vgpr_msb 0                        ;  msbs: dst=0 src0=0 src1=0 src2=0
	v_dual_mul_f32 v9, v131, v147 :: v_dual_mul_f32 v11, v133, v149
	v_dual_fma_f32 v9, v130, v146, -v9 :: v_dual_fma_f32 v11, v132, v148, -v11
	s_delay_alu instid0(VALU_DEP_1) | instskip(NEXT) | instid1(VALU_DEP_1)
	v_add_f32_e32 v9, 0, v9
	v_add_f32_e32 v9, v9, v11
	v_mul_f32_e32 v11, v135, v151
	s_delay_alu instid0(VALU_DEP_1) | instskip(NEXT) | instid1(VALU_DEP_1)
	v_fma_f32 v11, v134, v150, -v11
	v_add_f32_e32 v9, v9, v11
	v_mul_f32_e32 v11, v137, v153
	s_delay_alu instid0(VALU_DEP_1) | instskip(NEXT) | instid1(VALU_DEP_1)
	v_fma_f32 v11, v136, v152, -v11
	;; [unrolled: 4-line block ×5, first 2 shown]
	v_add_f32_e32 v9, v9, v11
	v_mul_f32_e32 v11, v145, v161
	s_delay_alu instid0(VALU_DEP_1)
	v_fma_f32 v11, v144, v160, -v11
	ds_load_b128 v[130:133], v7 offset:960
	ds_load_b128 v[134:137], v7 offset:976
	;; [unrolled: 1-line block ×4, first 2 shown]
	v_add_f32_e32 v9, v9, v11
	v_mul_f32_e32 v11, v163, v167
	s_delay_alu instid0(VALU_DEP_1) | instskip(NEXT) | instid1(VALU_DEP_1)
	v_fma_f32 v11, v162, v166, -v11
	v_add_f32_e32 v9, v9, v11
	v_mul_f32_e32 v11, v165, v169
	s_wait_loadcnt_dscnt 0x303
	s_set_vgpr_msb 4                        ;  msbs: dst=0 src0=0 src1=1 src2=0
	v_pk_mul_f32 v[148:149], v[130:131], v[2:3] /*v[258:259]*/ op_sel:[1,1] op_sel_hi:[0,1]
	s_set_vgpr_msb 0                        ;  msbs: dst=0 src0=0 src1=0 src2=0
	v_fma_f32 v11, v164, v168, -v11
	s_set_vgpr_msb 4                        ;  msbs: dst=0 src0=0 src1=1 src2=0
	s_delay_alu instid0(VALU_DEP_2)
	v_pk_fma_f32 v[150:151], v[130:131], v[2:3] /*v[258:259]*/, v[148:149] neg_lo:[0,0,1] neg_hi:[0,0,1]
	v_pk_fma_f32 v[130:131], v[130:131], v[2:3] /*v[258:259]*/, v[148:149] op_sel_hi:[1,0,1]
	s_set_vgpr_msb 1                        ;  msbs: dst=0 src0=1 src1=0 src2=0
	v_mov_b32_e32 v148, v5 /*v261*/
	s_set_vgpr_msb 0                        ;  msbs: dst=0 src0=0 src1=0 src2=0
	v_add_f32_e32 v9, v9, v11
	v_mul_f32_e32 v11, v171, v175
	s_delay_alu instid0(VALU_DEP_1) | instskip(NEXT) | instid1(VALU_DEP_1)
	v_dual_mov_b32 v151, v131 :: v_dual_fma_f32 v11, v170, v174, -v11
	v_add_f32_e32 v9, v9, v11
	v_mul_f32_e32 v11, v173, v177
	s_delay_alu instid0(VALU_DEP_1) | instskip(NEXT) | instid1(VALU_DEP_1)
	v_fma_f32 v11, v172, v176, -v11
	v_add_f32_e32 v9, v9, v11
	v_mul_f32_e32 v11, v179, v183
	s_delay_alu instid0(VALU_DEP_1) | instskip(NEXT) | instid1(VALU_DEP_1)
	v_fma_f32 v11, v178, v182, -v11
	;; [unrolled: 4-line block ×18, first 2 shown]
	v_add_f32_e32 v9, v9, v11
	v_mul_f32_e32 v11, v245, v249
	s_delay_alu instid0(VALU_DEP_1) | instskip(SKIP_1) | instid1(VALU_DEP_1)
	v_fma_f32 v11, v244, v248, -v11
	s_set_vgpr_msb 64                       ;  msbs: dst=1 src0=0 src1=0 src2=0
	v_add_f32_e32 v18 /*v274*/, v9, v11
	s_set_vgpr_msb 0                        ;  msbs: dst=0 src0=0 src1=0 src2=0
	v_mul_f32_e32 v9, v251, v255
	s_set_vgpr_msb 64                       ;  msbs: dst=1 src0=0 src1=0 src2=0
	s_delay_alu instid0(VALU_DEP_1)
	v_fma_f32 v20 /*v276*/, v250, v254, -v9
	v_fmac_f32_e32 v21 /*v277*/, v251, v254
	s_set_vgpr_msb 4                        ;  msbs: dst=0 src0=0 src1=1 src2=0
	v_mul_f32_e32 v9, v253, v1 /*v257*/
	s_set_vgpr_msb 0x44                     ;  msbs: dst=1 src0=0 src1=1 src2=0
	v_mul_f32_e32 v23 /*v279*/, v252, v1 /*v257*/
	s_set_vgpr_msb 5                        ;  msbs: dst=0 src0=1 src1=1 src2=0
	v_pk_add_f32 v[146:147], v[18:19] /*v[274:275]*/, v[20:21] /*v[276:277]*/
	s_set_vgpr_msb 0x44                     ;  msbs: dst=1 src0=0 src1=1 src2=0
	v_fma_f32 v22 /*v278*/, v252, v0 /*v256*/, -v9
	v_fmac_f32_e32 v23 /*v279*/, v253, v0 /*v256*/
	s_set_vgpr_msb 4                        ;  msbs: dst=0 src0=0 src1=1 src2=0
	s_delay_alu instid0(VALU_DEP_1) | instskip(SKIP_1) | instid1(VALU_DEP_1)
	v_pk_add_f32 v[146:147], v[146:147], v[22:23] /*v[278:279]*/
	s_set_vgpr_msb 0                        ;  msbs: dst=0 src0=0 src1=0 src2=0
	v_pk_add_f32 v[130:131], v[146:147], v[150:151]
	v_dual_mov_b32 v146, v133 :: v_dual_mov_b32 v147, v132
	s_delay_alu instid0(VALU_DEP_1) | instskip(SKIP_1) | instid1(VALU_DEP_1)
	v_pk_mul_f32 v[146:147], v[146:147], v[148:149] op_sel_hi:[1,0]
	s_set_vgpr_msb 4                        ;  msbs: dst=0 src0=0 src1=1 src2=0
	v_pk_fma_f32 v[148:149], v[132:133], v[4:5] /*v[260:261]*/, v[146:147] neg_lo:[0,0,1] neg_hi:[0,0,1]
	v_pk_fma_f32 v[132:133], v[132:133], v[4:5] /*v[260:261]*/, v[146:147] op_sel_hi:[1,0,1]
	s_delay_alu instid0(VALU_DEP_1) | instskip(SKIP_3) | instid1(VALU_DEP_2)
	v_mov_b32_e32 v149, v133
	s_wait_loadcnt_dscnt 0x202
	v_pk_mul_f32 v[132:133], v[134:135], v[6:7] /*v[262:263]*/ op_sel:[1,1] op_sel_hi:[0,1]
	s_set_vgpr_msb 0                        ;  msbs: dst=0 src0=0 src1=0 src2=0
	v_pk_add_f32 v[130:131], v[130:131], v[148:149]
	s_set_vgpr_msb 4                        ;  msbs: dst=0 src0=0 src1=1 src2=0
	s_delay_alu instid0(VALU_DEP_2)
	v_pk_fma_f32 v[146:147], v[134:135], v[6:7] /*v[262:263]*/, v[132:133] neg_lo:[0,0,1] neg_hi:[0,0,1]
	v_pk_fma_f32 v[132:133], v[134:135], v[6:7] /*v[262:263]*/, v[132:133] op_sel_hi:[1,0,1]
	v_mov_b32_e32 v132, v137
	s_set_vgpr_msb 1                        ;  msbs: dst=0 src0=1 src1=0 src2=0
	v_mov_b32_e32 v134, v9 /*v265*/
	s_set_vgpr_msb 0                        ;  msbs: dst=0 src0=0 src1=0 src2=0
	v_dual_mov_b32 v147, v133 :: v_dual_mov_b32 v133, v136
	s_delay_alu instid0(VALU_DEP_1) | instskip(NEXT) | instid1(VALU_DEP_2)
	v_pk_add_f32 v[130:131], v[130:131], v[146:147]
	v_pk_mul_f32 v[132:133], v[132:133], v[134:135] op_sel_hi:[1,0]
	s_set_vgpr_msb 4                        ;  msbs: dst=0 src0=0 src1=1 src2=0
	s_delay_alu instid0(VALU_DEP_1) | instskip(SKIP_1) | instid1(VALU_DEP_1)
	v_pk_fma_f32 v[134:135], v[136:137], v[8:9] /*v[264:265]*/, v[132:133] neg_lo:[0,0,1] neg_hi:[0,0,1]
	v_pk_fma_f32 v[132:133], v[136:137], v[8:9] /*v[264:265]*/, v[132:133] op_sel_hi:[1,0,1]
	v_mov_b32_e32 v135, v133
	s_wait_loadcnt_dscnt 0x101
	v_pk_mul_f32 v[132:133], v[138:139], v[10:11] /*v[266:267]*/ op_sel:[1,1] op_sel_hi:[0,1]
	s_set_vgpr_msb 0                        ;  msbs: dst=0 src0=0 src1=0 src2=0
	s_delay_alu instid0(VALU_DEP_2) | instskip(SKIP_1) | instid1(VALU_DEP_2)
	v_pk_add_f32 v[130:131], v[130:131], v[134:135]
	s_set_vgpr_msb 4                        ;  msbs: dst=0 src0=0 src1=1 src2=0
	v_pk_fma_f32 v[134:135], v[138:139], v[10:11] /*v[266:267]*/, v[132:133] neg_lo:[0,0,1] neg_hi:[0,0,1]
	v_pk_fma_f32 v[132:133], v[138:139], v[10:11] /*v[266:267]*/, v[132:133] op_sel_hi:[1,0,1]
	s_delay_alu instid0(VALU_DEP_1) | instskip(SKIP_2) | instid1(VALU_DEP_2)
	v_dual_mov_b32 v132, v141 :: v_dual_mov_b32 v135, v133
	v_mov_b32_e32 v133, v140
	s_set_vgpr_msb 0                        ;  msbs: dst=0 src0=0 src1=0 src2=0
	v_pk_add_f32 v[130:131], v[130:131], v[134:135]
	s_set_vgpr_msb 1                        ;  msbs: dst=0 src0=1 src1=0 src2=0
	v_mov_b32_e32 v134, v13 /*v269*/
	s_set_vgpr_msb 0                        ;  msbs: dst=0 src0=0 src1=0 src2=0
	s_delay_alu instid0(VALU_DEP_1) | instskip(SKIP_1) | instid1(VALU_DEP_1)
	v_pk_mul_f32 v[132:133], v[132:133], v[134:135] op_sel_hi:[1,0]
	s_set_vgpr_msb 4                        ;  msbs: dst=0 src0=0 src1=1 src2=0
	v_pk_fma_f32 v[134:135], v[140:141], v[12:13] /*v[268:269]*/, v[132:133] neg_lo:[0,0,1] neg_hi:[0,0,1]
	v_pk_fma_f32 v[132:133], v[140:141], v[12:13] /*v[268:269]*/, v[132:133] op_sel_hi:[1,0,1]
	s_delay_alu instid0(VALU_DEP_1) | instskip(SKIP_3) | instid1(VALU_DEP_2)
	v_mov_b32_e32 v135, v133
	s_wait_loadcnt_dscnt 0x0
	v_pk_mul_f32 v[132:133], v[142:143], v[14:15] /*v[270:271]*/ op_sel:[1,1] op_sel_hi:[0,1]
	s_set_vgpr_msb 0                        ;  msbs: dst=0 src0=0 src1=0 src2=0
	v_pk_add_f32 v[130:131], v[130:131], v[134:135]
	s_set_vgpr_msb 4                        ;  msbs: dst=0 src0=0 src1=1 src2=0
	s_delay_alu instid0(VALU_DEP_2) | instskip(SKIP_1) | instid1(VALU_DEP_1)
	v_pk_fma_f32 v[134:135], v[142:143], v[14:15] /*v[270:271]*/, v[132:133] neg_lo:[0,0,1] neg_hi:[0,0,1]
	v_pk_fma_f32 v[132:133], v[142:143], v[14:15] /*v[270:271]*/, v[132:133] op_sel_hi:[1,0,1]
	v_dual_mov_b32 v132, v145 :: v_dual_mov_b32 v135, v133
	v_mov_b32_e32 v133, v144
	s_set_vgpr_msb 0                        ;  msbs: dst=0 src0=0 src1=0 src2=0
	s_delay_alu instid0(VALU_DEP_2) | instskip(SKIP_3) | instid1(VALU_DEP_1)
	v_pk_add_f32 v[130:131], v[130:131], v[134:135]
	s_set_vgpr_msb 1                        ;  msbs: dst=0 src0=1 src1=0 src2=0
	v_mov_b32_e32 v134, v17 /*v273*/
	s_set_vgpr_msb 0                        ;  msbs: dst=0 src0=0 src1=0 src2=0
	v_pk_mul_f32 v[132:133], v[132:133], v[134:135] op_sel_hi:[1,0]
	s_set_vgpr_msb 4                        ;  msbs: dst=0 src0=0 src1=1 src2=0
	s_delay_alu instid0(VALU_DEP_1) | instskip(SKIP_1) | instid1(VALU_DEP_1)
	v_pk_fma_f32 v[134:135], v[144:145], v[16:17] /*v[272:273]*/, v[132:133] neg_lo:[0,0,1] neg_hi:[0,0,1]
	v_pk_fma_f32 v[132:133], v[144:145], v[16:17] /*v[272:273]*/, v[132:133] op_sel_hi:[1,0,1]
	v_mov_b32_e32 v135, v133
	scratch_load_b64 v[132:133], off, off offset:184
	s_set_vgpr_msb 0                        ;  msbs: dst=0 src0=0 src1=0 src2=0
	v_pk_add_f32 v[130:131], v[130:131], v[134:135]
	s_wait_loadcnt 0x0
	s_delay_alu instid0(VALU_DEP_1)
	v_pk_add_f32 v[130:131], v[132:133], v[130:131] neg_lo:[0,1] neg_hi:[0,1]
	scratch_store_b64 off, v[130:131], off offset:184
	s_wait_xcnt 0x0
	v_cmpx_lt_u32_e32 22, v0
	s_cbranch_execz .LBB63_353
; %bb.352:
	scratch_load_b64 v[130:131], off, off offset:176
	v_mov_b64_e32 v[132:133], 0
	scratch_store_b64 off, v[132:133], off offset:176
	s_wait_loadcnt 0x0
	ds_store_b64 v1, v[130:131]
.LBB63_353:
	s_wait_xcnt 0x0
	s_or_b32 exec_lo, exec_lo, s0
	s_wait_storecnt_dscnt 0x0
	s_barrier_signal -1
	s_barrier_wait -1
	s_clause 0xf
	scratch_load_b128 v[134:137], off, off offset:184
	scratch_load_b128 v[142:145], off, off offset:200
	scratch_load_b128 v[150:153], off, off offset:216
	scratch_load_b128 v[158:161], off, off offset:232
	scratch_load_b128 v[166:169], off, off offset:248
	scratch_load_b128 v[174:177], off, off offset:264
	scratch_load_b128 v[182:185], off, off offset:280
	scratch_load_b128 v[190:193], off, off offset:296
	scratch_load_b128 v[198:201], off, off offset:312
	scratch_load_b128 v[206:209], off, off offset:328
	scratch_load_b128 v[214:217], off, off offset:344
	scratch_load_b128 v[222:225], off, off offset:360
	scratch_load_b128 v[230:233], off, off offset:376
	scratch_load_b128 v[238:241], off, off offset:392
	scratch_load_b128 v[246:249], off, off offset:408
	scratch_load_b128 v[254:257], off, off offset:424
	v_mov_b32_e32 v7, 0
	s_set_vgpr_msb 64                       ;  msbs: dst=1 src0=0 src1=0 src2=0
	scratch_load_b128 v[6:9] /*v[262:265]*/, off, off offset:440
	s_mov_b32 s0, exec_lo
	s_set_vgpr_msb 0                        ;  msbs: dst=0 src0=0 src1=0 src2=0
	ds_load_2addr_b64 v[130:133], v7 offset0:87 offset1:88
	ds_load_2addr_b64 v[138:141], v7 offset0:89 offset1:90
	s_wait_loadcnt_dscnt 0x1001
	v_dual_mul_f32 v9, v130, v135 :: v_dual_mul_f32 v11, v132, v137
	ds_load_2addr_b64 v[146:149], v7 offset0:91 offset1:92
	ds_load_2addr_b64 v[154:157], v7 offset0:93 offset1:94
	;; [unrolled: 1-line block ×4, first 2 shown]
	v_dual_fmac_f32 v9, v131, v134 :: v_dual_fmac_f32 v11, v133, v136
	ds_load_2addr_b64 v[178:181], v7 offset0:99 offset1:100
	ds_load_2addr_b64 v[186:189], v7 offset0:101 offset1:102
	;; [unrolled: 1-line block ×4, first 2 shown]
	v_add_f32_e32 v9, 0, v9
	ds_load_2addr_b64 v[210:213], v7 offset0:107 offset1:108
	ds_load_2addr_b64 v[218:221], v7 offset0:109 offset1:110
	;; [unrolled: 1-line block ×4, first 2 shown]
	v_add_f32_e32 v9, v9, v11
	s_wait_loadcnt_dscnt 0xf0c
	v_mul_f32_e32 v11, v138, v143
	ds_load_2addr_b64 v[242:245], v7 offset0:115 offset1:116
	ds_load_2addr_b64 v[250:253], v7 offset0:117 offset1:118
	s_set_vgpr_msb 64                       ;  msbs: dst=1 src0=0 src1=0 src2=0
	ds_load_2addr_b64 v[2:5] /*v[258:261]*/, v7 offset0:119 offset1:120
	s_clause 0x3
	scratch_load_b128 v[10:13] /*v[266:269]*/, off, off offset:456
	scratch_load_b128 v[14:17] /*v[270:273]*/, off, off offset:472
	;; [unrolled: 1-line block ×3, first 2 shown]
	scratch_load_b64 v[28:29] /*v[284:285]*/, off, off offset:504
	s_set_vgpr_msb 0                        ;  msbs: dst=0 src0=0 src1=0 src2=0
	v_fmac_f32_e32 v11, v139, v142
	s_delay_alu instid0(VALU_DEP_1) | instskip(NEXT) | instid1(VALU_DEP_1)
	v_dual_add_f32 v9, v9, v11 :: v_dual_mul_f32 v11, v140, v145
	v_fmac_f32_e32 v11, v141, v144
	s_delay_alu instid0(VALU_DEP_1) | instskip(SKIP_2) | instid1(VALU_DEP_1)
	v_add_f32_e32 v9, v9, v11
	s_wait_loadcnt_dscnt 0x120e
	v_mul_f32_e32 v11, v146, v151
	v_fmac_f32_e32 v11, v147, v150
	s_delay_alu instid0(VALU_DEP_1) | instskip(NEXT) | instid1(VALU_DEP_1)
	v_dual_add_f32 v9, v9, v11 :: v_dual_mul_f32 v11, v148, v153
	v_fmac_f32_e32 v11, v149, v152
	s_delay_alu instid0(VALU_DEP_1) | instskip(SKIP_2) | instid1(VALU_DEP_1)
	v_add_f32_e32 v9, v9, v11
	s_wait_loadcnt_dscnt 0x110d
	v_mul_f32_e32 v11, v154, v159
	;; [unrolled: 8-line block ×14, first 2 shown]
	v_fmac_f32_e32 v11, v251, v254
	s_set_vgpr_msb 64                       ;  msbs: dst=1 src0=0 src1=0 src2=0
	s_delay_alu instid0(VALU_DEP_1) | instskip(SKIP_2) | instid1(VALU_DEP_1)
	v_add_f32_e32 v23 /*v279*/, v9, v11
	s_set_vgpr_msb 0                        ;  msbs: dst=0 src0=0 src1=0 src2=0
	v_dual_mul_f32 v9, v131, v135 :: v_dual_mul_f32 v11, v133, v137
	v_dual_fma_f32 v9, v130, v134, -v9 :: v_dual_fma_f32 v11, v132, v136, -v11
	s_delay_alu instid0(VALU_DEP_1) | instskip(NEXT) | instid1(VALU_DEP_1)
	v_add_f32_e32 v9, 0, v9
	v_add_f32_e32 v9, v9, v11
	v_mul_f32_e32 v11, v139, v143
	s_delay_alu instid0(VALU_DEP_1) | instskip(NEXT) | instid1(VALU_DEP_1)
	v_fma_f32 v11, v138, v142, -v11
	v_add_f32_e32 v9, v9, v11
	v_mul_f32_e32 v11, v141, v145
	s_delay_alu instid0(VALU_DEP_1)
	v_fma_f32 v11, v140, v144, -v11
	ds_load_2addr_b64 v[130:133], v7 offset0:121 offset1:122
	ds_load_2addr_b64 v[134:137], v7 offset0:123 offset1:124
	;; [unrolled: 1-line block ×3, first 2 shown]
	ds_load_b64 v[142:143], v7 offset:1016
	v_add_f32_e32 v9, v9, v11
	v_mul_f32_e32 v11, v147, v151
	s_wait_dscnt 0x4
	s_set_vgpr_msb 1                        ;  msbs: dst=0 src0=1 src1=0 src2=0
	v_mov_b32_e32 v147, v4 /*v260*/
	s_set_vgpr_msb 0                        ;  msbs: dst=0 src0=0 src1=0 src2=0
	v_fma_f32 v11, v146, v150, -v11
	s_set_vgpr_msb 1                        ;  msbs: dst=0 src0=1 src1=0 src2=0
	v_mov_b32_e32 v146, v5 /*v261*/
	s_set_vgpr_msb 0                        ;  msbs: dst=0 src0=0 src1=0 src2=0
	s_delay_alu instid0(VALU_DEP_2) | instskip(SKIP_1) | instid1(VALU_DEP_1)
	v_add_f32_e32 v9, v9, v11
	v_mul_f32_e32 v11, v149, v153
	v_fma_f32 v11, v148, v152, -v11
	s_wait_loadcnt 0x4
	s_set_vgpr_msb 1                        ;  msbs: dst=0 src0=1 src1=0 src2=0
	v_mov_b32_e32 v148, v9 /*v265*/
	s_set_vgpr_msb 0                        ;  msbs: dst=0 src0=0 src1=0 src2=0
	v_add_f32_e32 v9, v9, v11
	v_mul_f32_e32 v11, v155, v159
	s_delay_alu instid0(VALU_DEP_3) | instskip(NEXT) | instid1(VALU_DEP_2)
	v_pk_mul_f32 v[146:147], v[146:147], v[148:149] op_sel_hi:[1,0]
	v_fma_f32 v11, v154, v158, -v11
	s_set_vgpr_msb 5                        ;  msbs: dst=0 src0=1 src1=1 src2=0
	s_delay_alu instid0(VALU_DEP_2) | instskip(SKIP_3) | instid1(VALU_DEP_2)
	v_pk_fma_f32 v[148:149], v[4:5] /*v[260:261]*/, v[8:9] /*v[264:265]*/, v[146:147] neg_lo:[0,0,1] neg_hi:[0,0,1]
	v_pk_fma_f32 v[146:147], v[4:5] /*v[260:261]*/, v[8:9] /*v[264:265]*/, v[146:147] op_sel_hi:[1,0,1]
	s_set_vgpr_msb 0                        ;  msbs: dst=0 src0=0 src1=0 src2=0
	v_add_f32_e32 v9, v9, v11
	v_dual_mul_f32 v11, v157, v161 :: v_dual_mov_b32 v149, v147
	s_wait_loadcnt_dscnt 0x303
	s_set_vgpr_msb 4                        ;  msbs: dst=0 src0=0 src1=1 src2=0
	v_pk_mul_f32 v[146:147], v[130:131], v[10:11] /*v[266:267]*/ op_sel:[1,1] op_sel_hi:[0,1]
	s_set_vgpr_msb 0                        ;  msbs: dst=0 src0=0 src1=0 src2=0
	v_fma_f32 v11, v156, v160, -v11
	s_delay_alu instid0(VALU_DEP_1) | instskip(SKIP_1) | instid1(VALU_DEP_1)
	v_add_f32_e32 v9, v9, v11
	v_mul_f32_e32 v11, v163, v167
	v_fma_f32 v11, v162, v166, -v11
	s_delay_alu instid0(VALU_DEP_1) | instskip(SKIP_1) | instid1(VALU_DEP_1)
	v_add_f32_e32 v9, v9, v11
	v_mul_f32_e32 v11, v165, v169
	;; [unrolled: 4-line block ×23, first 2 shown]
	v_fma_f32 v11, v250, v254, -v11
	s_set_vgpr_msb 64                       ;  msbs: dst=1 src0=0 src1=0 src2=0
	s_delay_alu instid0(VALU_DEP_1) | instskip(SKIP_3) | instid1(VALU_DEP_1)
	v_add_f32_e32 v22 /*v278*/, v9, v11
	s_set_vgpr_msb 4                        ;  msbs: dst=0 src0=0 src1=1 src2=0
	v_mul_f32_e32 v9, v253, v1 /*v257*/
	s_set_vgpr_msb 0x44                     ;  msbs: dst=1 src0=0 src1=1 src2=0
	v_dual_mul_f32 v25 /*v281*/, v252, v1 /*v257*/ :: v_dual_fma_f32 v24 /*v280*/, v252, v0 /*v256*/, -v9
	s_set_vgpr_msb 5                        ;  msbs: dst=0 src0=1 src1=1 src2=0
	v_mul_f32_e32 v9, v3 /*v259*/, v7 /*v263*/
	s_set_vgpr_msb 0x44                     ;  msbs: dst=1 src0=0 src1=1 src2=0
	s_delay_alu instid0(VALU_DEP_2) | instskip(SKIP_1) | instid1(VALU_DEP_2)
	v_fmac_f32_e32 v25 /*v281*/, v253, v0 /*v256*/
	s_set_vgpr_msb 0x45                     ;  msbs: dst=1 src0=1 src1=1 src2=0
	v_dual_mul_f32 v27 /*v283*/, v2 /*v258*/, v7 /*v263*/ :: v_dual_fma_f32 v26 /*v282*/, v2 /*v258*/, v6 /*v262*/, -v9
	s_set_vgpr_msb 5                        ;  msbs: dst=0 src0=1 src1=1 src2=0
	s_delay_alu instid0(VALU_DEP_2) | instskip(SKIP_1) | instid1(VALU_DEP_2)
	v_pk_add_f32 v[144:145], v[22:23] /*v[278:279]*/, v[24:25] /*v[280:281]*/
	s_set_vgpr_msb 0x45                     ;  msbs: dst=1 src0=1 src1=1 src2=0
	v_fmac_f32_e32 v27 /*v283*/, v3 /*v259*/, v6 /*v262*/
	s_set_vgpr_msb 4                        ;  msbs: dst=0 src0=0 src1=1 src2=0
	s_delay_alu instid0(VALU_DEP_1) | instskip(SKIP_1) | instid1(VALU_DEP_1)
	v_pk_add_f32 v[144:145], v[144:145], v[26:27] /*v[282:283]*/
	s_set_vgpr_msb 0                        ;  msbs: dst=0 src0=0 src1=0 src2=0
	v_pk_add_f32 v[144:145], v[144:145], v[148:149]
	s_set_vgpr_msb 4                        ;  msbs: dst=0 src0=0 src1=1 src2=0
	v_pk_fma_f32 v[148:149], v[130:131], v[10:11] /*v[266:267]*/, v[146:147] neg_lo:[0,0,1] neg_hi:[0,0,1]
	v_pk_fma_f32 v[130:131], v[130:131], v[10:11] /*v[266:267]*/, v[146:147] op_sel_hi:[1,0,1]
	s_set_vgpr_msb 1                        ;  msbs: dst=0 src0=1 src1=0 src2=0
	v_mov_b32_e32 v146, v13 /*v269*/
	s_set_vgpr_msb 0                        ;  msbs: dst=0 src0=0 src1=0 src2=0
	s_delay_alu instid0(VALU_DEP_2) | instskip(NEXT) | instid1(VALU_DEP_1)
	v_mov_b32_e32 v149, v131
	v_pk_add_f32 v[130:131], v[144:145], v[148:149]
	v_dual_mov_b32 v144, v133 :: v_dual_mov_b32 v145, v132
	s_delay_alu instid0(VALU_DEP_1) | instskip(SKIP_1) | instid1(VALU_DEP_1)
	v_pk_mul_f32 v[144:145], v[144:145], v[146:147] op_sel_hi:[1,0]
	s_set_vgpr_msb 4                        ;  msbs: dst=0 src0=0 src1=1 src2=0
	v_pk_fma_f32 v[146:147], v[132:133], v[12:13] /*v[268:269]*/, v[144:145] neg_lo:[0,0,1] neg_hi:[0,0,1]
	v_pk_fma_f32 v[132:133], v[132:133], v[12:13] /*v[268:269]*/, v[144:145] op_sel_hi:[1,0,1]
	s_delay_alu instid0(VALU_DEP_1) | instskip(SKIP_3) | instid1(VALU_DEP_2)
	v_mov_b32_e32 v147, v133
	s_wait_loadcnt_dscnt 0x202
	v_pk_mul_f32 v[132:133], v[134:135], v[14:15] /*v[270:271]*/ op_sel:[1,1] op_sel_hi:[0,1]
	s_set_vgpr_msb 0                        ;  msbs: dst=0 src0=0 src1=0 src2=0
	v_pk_add_f32 v[130:131], v[130:131], v[146:147]
	s_set_vgpr_msb 4                        ;  msbs: dst=0 src0=0 src1=1 src2=0
	s_delay_alu instid0(VALU_DEP_2)
	v_pk_fma_f32 v[144:145], v[134:135], v[14:15] /*v[270:271]*/, v[132:133] neg_lo:[0,0,1] neg_hi:[0,0,1]
	v_pk_fma_f32 v[132:133], v[134:135], v[14:15] /*v[270:271]*/, v[132:133] op_sel_hi:[1,0,1]
	v_mov_b32_e32 v132, v137
	s_set_vgpr_msb 1                        ;  msbs: dst=0 src0=1 src1=0 src2=0
	v_mov_b32_e32 v134, v17 /*v273*/
	s_set_vgpr_msb 0                        ;  msbs: dst=0 src0=0 src1=0 src2=0
	v_dual_mov_b32 v145, v133 :: v_dual_mov_b32 v133, v136
	s_delay_alu instid0(VALU_DEP_1) | instskip(NEXT) | instid1(VALU_DEP_2)
	v_pk_add_f32 v[130:131], v[130:131], v[144:145]
	v_pk_mul_f32 v[132:133], v[132:133], v[134:135] op_sel_hi:[1,0]
	s_set_vgpr_msb 4                        ;  msbs: dst=0 src0=0 src1=1 src2=0
	s_delay_alu instid0(VALU_DEP_1) | instskip(SKIP_1) | instid1(VALU_DEP_1)
	v_pk_fma_f32 v[134:135], v[136:137], v[16:17] /*v[272:273]*/, v[132:133] neg_lo:[0,0,1] neg_hi:[0,0,1]
	v_pk_fma_f32 v[132:133], v[136:137], v[16:17] /*v[272:273]*/, v[132:133] op_sel_hi:[1,0,1]
	v_mov_b32_e32 v135, v133
	s_wait_loadcnt_dscnt 0x101
	v_pk_mul_f32 v[132:133], v[138:139], v[18:19] /*v[274:275]*/ op_sel:[1,1] op_sel_hi:[0,1]
	s_set_vgpr_msb 0                        ;  msbs: dst=0 src0=0 src1=0 src2=0
	s_delay_alu instid0(VALU_DEP_2) | instskip(SKIP_1) | instid1(VALU_DEP_2)
	v_pk_add_f32 v[130:131], v[130:131], v[134:135]
	s_set_vgpr_msb 4                        ;  msbs: dst=0 src0=0 src1=1 src2=0
	v_pk_fma_f32 v[134:135], v[138:139], v[18:19] /*v[274:275]*/, v[132:133] neg_lo:[0,0,1] neg_hi:[0,0,1]
	v_pk_fma_f32 v[132:133], v[138:139], v[18:19] /*v[274:275]*/, v[132:133] op_sel_hi:[1,0,1]
	s_delay_alu instid0(VALU_DEP_1) | instskip(SKIP_2) | instid1(VALU_DEP_2)
	v_dual_mov_b32 v132, v141 :: v_dual_mov_b32 v135, v133
	v_mov_b32_e32 v133, v140
	s_set_vgpr_msb 0                        ;  msbs: dst=0 src0=0 src1=0 src2=0
	v_pk_add_f32 v[130:131], v[130:131], v[134:135]
	s_set_vgpr_msb 1                        ;  msbs: dst=0 src0=1 src1=0 src2=0
	v_mov_b32_e32 v134, v21 /*v277*/
	s_set_vgpr_msb 0                        ;  msbs: dst=0 src0=0 src1=0 src2=0
	s_delay_alu instid0(VALU_DEP_1) | instskip(SKIP_1) | instid1(VALU_DEP_1)
	v_pk_mul_f32 v[132:133], v[132:133], v[134:135] op_sel_hi:[1,0]
	s_set_vgpr_msb 4                        ;  msbs: dst=0 src0=0 src1=1 src2=0
	v_pk_fma_f32 v[134:135], v[140:141], v[20:21] /*v[276:277]*/, v[132:133] neg_lo:[0,0,1] neg_hi:[0,0,1]
	v_pk_fma_f32 v[132:133], v[140:141], v[20:21] /*v[276:277]*/, v[132:133] op_sel_hi:[1,0,1]
	s_delay_alu instid0(VALU_DEP_1) | instskip(SKIP_3) | instid1(VALU_DEP_2)
	v_mov_b32_e32 v135, v133
	s_wait_loadcnt_dscnt 0x0
	v_pk_mul_f32 v[132:133], v[142:143], v[28:29] /*v[284:285]*/ op_sel:[1,1] op_sel_hi:[0,1]
	s_set_vgpr_msb 0                        ;  msbs: dst=0 src0=0 src1=0 src2=0
	v_pk_add_f32 v[130:131], v[130:131], v[134:135]
	s_set_vgpr_msb 4                        ;  msbs: dst=0 src0=0 src1=1 src2=0
	s_delay_alu instid0(VALU_DEP_2) | instskip(SKIP_1) | instid1(VALU_DEP_1)
	v_pk_fma_f32 v[134:135], v[142:143], v[28:29] /*v[284:285]*/, v[132:133] neg_lo:[0,0,1] neg_hi:[0,0,1]
	v_pk_fma_f32 v[132:133], v[142:143], v[28:29] /*v[284:285]*/, v[132:133] op_sel_hi:[1,0,1]
	v_mov_b32_e32 v135, v133
	scratch_load_b64 v[132:133], off, off offset:176
	s_set_vgpr_msb 0                        ;  msbs: dst=0 src0=0 src1=0 src2=0
	v_pk_add_f32 v[130:131], v[130:131], v[134:135]
	s_wait_loadcnt 0x0
	s_delay_alu instid0(VALU_DEP_1)
	v_pk_add_f32 v[130:131], v[132:133], v[130:131] neg_lo:[0,1] neg_hi:[0,1]
	scratch_store_b64 off, v[130:131], off offset:176
	s_wait_xcnt 0x0
	v_cmpx_lt_u32_e32 21, v0
	s_cbranch_execz .LBB63_355
; %bb.354:
	scratch_load_b64 v[130:131], off, off offset:168
	v_mov_b64_e32 v[132:133], 0
	scratch_store_b64 off, v[132:133], off offset:168
	s_wait_loadcnt 0x0
	ds_store_b64 v1, v[130:131]
.LBB63_355:
	s_wait_xcnt 0x0
	s_or_b32 exec_lo, exec_lo, s0
	s_wait_storecnt_dscnt 0x0
	s_barrier_signal -1
	s_barrier_wait -1
	ds_load_b128 v[130:133], v7 offset:688
	ds_load_b128 v[134:137], v7 offset:704
	;; [unrolled: 1-line block ×4, first 2 shown]
	s_clause 0xf
	scratch_load_b128 v[146:149], off, off offset:176
	scratch_load_b128 v[150:153], off, off offset:192
	;; [unrolled: 1-line block ×16, first 2 shown]
	ds_load_b128 v[162:165], v7 offset:752
	ds_load_b128 v[170:173], v7 offset:768
	ds_load_b128 v[178:181], v7 offset:784
	ds_load_b128 v[186:189], v7 offset:800
	ds_load_b128 v[194:197], v7 offset:816
	ds_load_b128 v[202:205], v7 offset:832
	ds_load_b128 v[210:213], v7 offset:848
	ds_load_b128 v[218:221], v7 offset:864
	ds_load_b128 v[226:229], v7 offset:880
	ds_load_b128 v[234:237], v7 offset:896
	ds_load_b128 v[242:245], v7 offset:912
	ds_load_b128 v[250:253], v7 offset:928
	s_set_vgpr_msb 64                       ;  msbs: dst=1 src0=0 src1=0 src2=0
	scratch_load_b128 v[6:9] /*v[262:265]*/, off, off offset:432
	ds_load_b128 v[2:5] /*v[258:261]*/, v7 offset:944
	s_clause 0x3
	scratch_load_b128 v[10:13] /*v[266:269]*/, off, off offset:448
	scratch_load_b128 v[14:17] /*v[270:273]*/, off, off offset:464
	;; [unrolled: 1-line block ×4, first 2 shown]
	s_mov_b32 s0, exec_lo
	s_wait_loadcnt_dscnt 0x1410
	s_set_vgpr_msb 0                        ;  msbs: dst=0 src0=0 src1=0 src2=0
	v_dual_mul_f32 v9, v130, v147 :: v_dual_mul_f32 v11, v132, v149
	s_delay_alu instid0(VALU_DEP_1) | instskip(NEXT) | instid1(VALU_DEP_1)
	v_dual_fmac_f32 v9, v131, v146 :: v_dual_fmac_f32 v11, v133, v148
	v_add_f32_e32 v9, 0, v9
	s_delay_alu instid0(VALU_DEP_1) | instskip(SKIP_2) | instid1(VALU_DEP_1)
	v_add_f32_e32 v9, v9, v11
	s_wait_loadcnt_dscnt 0x130f
	v_mul_f32_e32 v11, v134, v151
	v_fmac_f32_e32 v11, v135, v150
	s_delay_alu instid0(VALU_DEP_1)
	v_dual_add_f32 v9, v9, v11 :: v_dual_mul_f32 v11, v136, v153
	s_wait_loadcnt_dscnt 0x400
	s_set_vgpr_msb 0x45                     ;  msbs: dst=1 src0=1 src1=1 src2=0
	v_dual_mul_f32 v29 /*v285*/, v2 /*v258*/, v7 /*v263*/ :: v_dual_mul_f32 v31 /*v287*/, v4 /*v260*/, v9 /*v265*/
	s_set_vgpr_msb 0                        ;  msbs: dst=0 src0=0 src1=0 src2=0
	v_fmac_f32_e32 v11, v137, v152
	s_set_vgpr_msb 0x45                     ;  msbs: dst=1 src0=1 src1=1 src2=0
	s_delay_alu instid0(VALU_DEP_2) | instskip(SKIP_1) | instid1(VALU_DEP_2)
	v_dual_fmac_f32 v29 /*v285*/, v3 /*v259*/, v6 /*v262*/ :: v_dual_fmac_f32 v31 /*v287*/, v5 /*v261*/, v8 /*v264*/
	s_set_vgpr_msb 0                        ;  msbs: dst=0 src0=0 src1=0 src2=0
	v_add_f32_e32 v9, v9, v11
	v_mul_f32_e32 v11, v138, v155
	s_delay_alu instid0(VALU_DEP_1) | instskip(NEXT) | instid1(VALU_DEP_1)
	v_fmac_f32_e32 v11, v139, v154
	v_dual_add_f32 v9, v9, v11 :: v_dual_mul_f32 v11, v140, v157
	s_delay_alu instid0(VALU_DEP_1) | instskip(NEXT) | instid1(VALU_DEP_1)
	v_fmac_f32_e32 v11, v141, v156
	v_add_f32_e32 v9, v9, v11
	v_mul_f32_e32 v11, v142, v159
	s_delay_alu instid0(VALU_DEP_1) | instskip(NEXT) | instid1(VALU_DEP_1)
	v_fmac_f32_e32 v11, v143, v158
	v_dual_add_f32 v9, v9, v11 :: v_dual_mul_f32 v11, v144, v161
	s_delay_alu instid0(VALU_DEP_1) | instskip(NEXT) | instid1(VALU_DEP_1)
	v_fmac_f32_e32 v11, v145, v160
	;; [unrolled: 7-line block ×13, first 2 shown]
	v_add_f32_e32 v9, v9, v11
	v_mul_f32_e32 v11, v250, v255
	s_delay_alu instid0(VALU_DEP_1) | instskip(NEXT) | instid1(VALU_DEP_1)
	v_fmac_f32_e32 v11, v251, v254
	v_add_f32_e32 v9, v9, v11
	s_set_vgpr_msb 4                        ;  msbs: dst=0 src0=0 src1=1 src2=0
	v_mul_f32_e32 v11, v252, v1 /*v257*/
	s_delay_alu instid0(VALU_DEP_1) | instskip(SKIP_1) | instid1(VALU_DEP_1)
	v_fmac_f32_e32 v11, v253, v0 /*v256*/
	s_set_vgpr_msb 64                       ;  msbs: dst=1 src0=0 src1=0 src2=0
	v_add_f32_e32 v27 /*v283*/, v9, v11
	s_set_vgpr_msb 0                        ;  msbs: dst=0 src0=0 src1=0 src2=0
	v_dual_mul_f32 v9, v131, v147 :: v_dual_mul_f32 v11, v133, v149
	s_delay_alu instid0(VALU_DEP_1) | instskip(NEXT) | instid1(VALU_DEP_1)
	v_dual_fma_f32 v9, v130, v146, -v9 :: v_dual_fma_f32 v11, v132, v148, -v11
	v_add_f32_e32 v9, 0, v9
	s_delay_alu instid0(VALU_DEP_1) | instskip(SKIP_1) | instid1(VALU_DEP_1)
	v_add_f32_e32 v9, v9, v11
	v_mul_f32_e32 v11, v135, v151
	v_fma_f32 v11, v134, v150, -v11
	s_delay_alu instid0(VALU_DEP_1) | instskip(SKIP_1) | instid1(VALU_DEP_1)
	v_add_f32_e32 v9, v9, v11
	v_mul_f32_e32 v11, v137, v153
	v_fma_f32 v11, v136, v152, -v11
	;; [unrolled: 4-line block ×6, first 2 shown]
	ds_load_b128 v[130:133], v7 offset:960
	ds_load_b128 v[134:137], v7 offset:976
	;; [unrolled: 1-line block ×4, first 2 shown]
	v_add_f32_e32 v9, v9, v11
	v_mul_f32_e32 v11, v163, v167
	s_delay_alu instid0(VALU_DEP_1) | instskip(NEXT) | instid1(VALU_DEP_1)
	v_fma_f32 v11, v162, v166, -v11
	v_add_f32_e32 v9, v9, v11
	v_mul_f32_e32 v11, v165, v169
	s_wait_loadcnt_dscnt 0x303
	s_set_vgpr_msb 4                        ;  msbs: dst=0 src0=0 src1=1 src2=0
	v_pk_mul_f32 v[148:149], v[130:131], v[10:11] /*v[266:267]*/ op_sel:[1,1] op_sel_hi:[0,1]
	s_set_vgpr_msb 0                        ;  msbs: dst=0 src0=0 src1=0 src2=0
	v_fma_f32 v11, v164, v168, -v11
	s_set_vgpr_msb 4                        ;  msbs: dst=0 src0=0 src1=1 src2=0
	s_delay_alu instid0(VALU_DEP_2)
	v_pk_fma_f32 v[150:151], v[130:131], v[10:11] /*v[266:267]*/, v[148:149] neg_lo:[0,0,1] neg_hi:[0,0,1]
	v_pk_fma_f32 v[130:131], v[130:131], v[10:11] /*v[266:267]*/, v[148:149] op_sel_hi:[1,0,1]
	s_set_vgpr_msb 1                        ;  msbs: dst=0 src0=1 src1=0 src2=0
	v_mov_b32_e32 v148, v13 /*v269*/
	s_set_vgpr_msb 0                        ;  msbs: dst=0 src0=0 src1=0 src2=0
	v_add_f32_e32 v9, v9, v11
	v_mul_f32_e32 v11, v171, v175
	s_delay_alu instid0(VALU_DEP_1) | instskip(NEXT) | instid1(VALU_DEP_1)
	v_dual_mov_b32 v151, v131 :: v_dual_fma_f32 v11, v170, v174, -v11
	v_add_f32_e32 v9, v9, v11
	v_mul_f32_e32 v11, v173, v177
	s_delay_alu instid0(VALU_DEP_1) | instskip(NEXT) | instid1(VALU_DEP_1)
	v_fma_f32 v11, v172, v176, -v11
	v_add_f32_e32 v9, v9, v11
	v_mul_f32_e32 v11, v179, v183
	s_delay_alu instid0(VALU_DEP_1) | instskip(NEXT) | instid1(VALU_DEP_1)
	v_fma_f32 v11, v178, v182, -v11
	v_add_f32_e32 v9, v9, v11
	v_mul_f32_e32 v11, v181, v185
	s_delay_alu instid0(VALU_DEP_1) | instskip(NEXT) | instid1(VALU_DEP_1)
	v_fma_f32 v11, v180, v184, -v11
	v_add_f32_e32 v9, v9, v11
	v_mul_f32_e32 v11, v187, v191
	s_delay_alu instid0(VALU_DEP_1) | instskip(NEXT) | instid1(VALU_DEP_1)
	v_fma_f32 v11, v186, v190, -v11
	v_add_f32_e32 v9, v9, v11
	v_mul_f32_e32 v11, v189, v193
	s_delay_alu instid0(VALU_DEP_1) | instskip(NEXT) | instid1(VALU_DEP_1)
	v_fma_f32 v11, v188, v192, -v11
	v_add_f32_e32 v9, v9, v11
	v_mul_f32_e32 v11, v195, v199
	s_delay_alu instid0(VALU_DEP_1) | instskip(NEXT) | instid1(VALU_DEP_1)
	v_fma_f32 v11, v194, v198, -v11
	v_add_f32_e32 v9, v9, v11
	v_mul_f32_e32 v11, v197, v201
	s_delay_alu instid0(VALU_DEP_1) | instskip(NEXT) | instid1(VALU_DEP_1)
	v_fma_f32 v11, v196, v200, -v11
	v_add_f32_e32 v9, v9, v11
	v_mul_f32_e32 v11, v203, v207
	s_delay_alu instid0(VALU_DEP_1) | instskip(NEXT) | instid1(VALU_DEP_1)
	v_fma_f32 v11, v202, v206, -v11
	v_add_f32_e32 v9, v9, v11
	v_mul_f32_e32 v11, v205, v209
	s_delay_alu instid0(VALU_DEP_1) | instskip(NEXT) | instid1(VALU_DEP_1)
	v_fma_f32 v11, v204, v208, -v11
	v_add_f32_e32 v9, v9, v11
	v_mul_f32_e32 v11, v211, v215
	s_delay_alu instid0(VALU_DEP_1) | instskip(NEXT) | instid1(VALU_DEP_1)
	v_fma_f32 v11, v210, v214, -v11
	v_add_f32_e32 v9, v9, v11
	v_mul_f32_e32 v11, v213, v217
	s_delay_alu instid0(VALU_DEP_1) | instskip(NEXT) | instid1(VALU_DEP_1)
	v_fma_f32 v11, v212, v216, -v11
	v_add_f32_e32 v9, v9, v11
	v_mul_f32_e32 v11, v219, v223
	s_delay_alu instid0(VALU_DEP_1) | instskip(NEXT) | instid1(VALU_DEP_1)
	v_fma_f32 v11, v218, v222, -v11
	v_add_f32_e32 v9, v9, v11
	v_mul_f32_e32 v11, v221, v225
	s_delay_alu instid0(VALU_DEP_1) | instskip(NEXT) | instid1(VALU_DEP_1)
	v_fma_f32 v11, v220, v224, -v11
	v_add_f32_e32 v9, v9, v11
	v_mul_f32_e32 v11, v227, v231
	s_delay_alu instid0(VALU_DEP_1) | instskip(NEXT) | instid1(VALU_DEP_1)
	v_fma_f32 v11, v226, v230, -v11
	v_add_f32_e32 v9, v9, v11
	v_mul_f32_e32 v11, v229, v233
	s_delay_alu instid0(VALU_DEP_1) | instskip(NEXT) | instid1(VALU_DEP_1)
	v_fma_f32 v11, v228, v232, -v11
	v_add_f32_e32 v9, v9, v11
	v_mul_f32_e32 v11, v235, v239
	s_delay_alu instid0(VALU_DEP_1) | instskip(NEXT) | instid1(VALU_DEP_1)
	v_fma_f32 v11, v234, v238, -v11
	v_add_f32_e32 v9, v9, v11
	v_mul_f32_e32 v11, v237, v241
	s_delay_alu instid0(VALU_DEP_1) | instskip(NEXT) | instid1(VALU_DEP_1)
	v_fma_f32 v11, v236, v240, -v11
	v_add_f32_e32 v9, v9, v11
	v_mul_f32_e32 v11, v243, v247
	s_delay_alu instid0(VALU_DEP_1) | instskip(NEXT) | instid1(VALU_DEP_1)
	v_fma_f32 v11, v242, v246, -v11
	v_add_f32_e32 v9, v9, v11
	v_mul_f32_e32 v11, v245, v249
	s_delay_alu instid0(VALU_DEP_1) | instskip(NEXT) | instid1(VALU_DEP_1)
	v_fma_f32 v11, v244, v248, -v11
	v_add_f32_e32 v9, v9, v11
	v_mul_f32_e32 v11, v251, v255
	s_delay_alu instid0(VALU_DEP_1) | instskip(NEXT) | instid1(VALU_DEP_1)
	v_fma_f32 v11, v250, v254, -v11
	v_add_f32_e32 v9, v9, v11
	s_set_vgpr_msb 4                        ;  msbs: dst=0 src0=0 src1=1 src2=0
	v_mul_f32_e32 v11, v253, v1 /*v257*/
	s_delay_alu instid0(VALU_DEP_1) | instskip(SKIP_1) | instid1(VALU_DEP_1)
	v_fma_f32 v11, v252, v0 /*v256*/, -v11
	s_set_vgpr_msb 64                       ;  msbs: dst=1 src0=0 src1=0 src2=0
	v_add_f32_e32 v26 /*v282*/, v9, v11
	s_set_vgpr_msb 5                        ;  msbs: dst=0 src0=1 src1=1 src2=0
	v_mul_f32_e32 v9, v3 /*v259*/, v7 /*v263*/
	s_set_vgpr_msb 0x45                     ;  msbs: dst=1 src0=1 src1=1 src2=0
	s_delay_alu instid0(VALU_DEP_1) | instskip(SKIP_3) | instid1(VALU_DEP_1)
	v_fma_f32 v28 /*v284*/, v2 /*v258*/, v6 /*v262*/, -v9
	s_set_vgpr_msb 5                        ;  msbs: dst=0 src0=1 src1=1 src2=0
	v_mul_f32_e32 v9, v5 /*v261*/, v9 /*v265*/
	s_set_vgpr_msb 0x45                     ;  msbs: dst=1 src0=1 src1=1 src2=0
	v_fma_f32 v30 /*v286*/, v4 /*v260*/, v8 /*v264*/, -v9
	s_set_vgpr_msb 5                        ;  msbs: dst=0 src0=1 src1=1 src2=0
	v_pk_add_f32 v[146:147], v[26:27] /*v[282:283]*/, v[28:29] /*v[284:285]*/
	s_set_vgpr_msb 4                        ;  msbs: dst=0 src0=0 src1=1 src2=0
	s_delay_alu instid0(VALU_DEP_1) | instskip(SKIP_1) | instid1(VALU_DEP_1)
	v_pk_add_f32 v[146:147], v[146:147], v[30:31] /*v[286:287]*/
	s_set_vgpr_msb 0                        ;  msbs: dst=0 src0=0 src1=0 src2=0
	v_pk_add_f32 v[130:131], v[146:147], v[150:151]
	v_dual_mov_b32 v146, v133 :: v_dual_mov_b32 v147, v132
	s_delay_alu instid0(VALU_DEP_1) | instskip(SKIP_1) | instid1(VALU_DEP_1)
	v_pk_mul_f32 v[146:147], v[146:147], v[148:149] op_sel_hi:[1,0]
	s_set_vgpr_msb 4                        ;  msbs: dst=0 src0=0 src1=1 src2=0
	v_pk_fma_f32 v[148:149], v[132:133], v[12:13] /*v[268:269]*/, v[146:147] neg_lo:[0,0,1] neg_hi:[0,0,1]
	v_pk_fma_f32 v[132:133], v[132:133], v[12:13] /*v[268:269]*/, v[146:147] op_sel_hi:[1,0,1]
	s_delay_alu instid0(VALU_DEP_1) | instskip(SKIP_3) | instid1(VALU_DEP_2)
	v_mov_b32_e32 v149, v133
	s_wait_loadcnt_dscnt 0x202
	v_pk_mul_f32 v[132:133], v[134:135], v[14:15] /*v[270:271]*/ op_sel:[1,1] op_sel_hi:[0,1]
	s_set_vgpr_msb 0                        ;  msbs: dst=0 src0=0 src1=0 src2=0
	v_pk_add_f32 v[130:131], v[130:131], v[148:149]
	s_set_vgpr_msb 4                        ;  msbs: dst=0 src0=0 src1=1 src2=0
	s_delay_alu instid0(VALU_DEP_2)
	v_pk_fma_f32 v[146:147], v[134:135], v[14:15] /*v[270:271]*/, v[132:133] neg_lo:[0,0,1] neg_hi:[0,0,1]
	v_pk_fma_f32 v[132:133], v[134:135], v[14:15] /*v[270:271]*/, v[132:133] op_sel_hi:[1,0,1]
	v_mov_b32_e32 v132, v137
	s_set_vgpr_msb 1                        ;  msbs: dst=0 src0=1 src1=0 src2=0
	v_mov_b32_e32 v134, v17 /*v273*/
	s_set_vgpr_msb 0                        ;  msbs: dst=0 src0=0 src1=0 src2=0
	v_dual_mov_b32 v147, v133 :: v_dual_mov_b32 v133, v136
	s_delay_alu instid0(VALU_DEP_1) | instskip(NEXT) | instid1(VALU_DEP_2)
	v_pk_add_f32 v[130:131], v[130:131], v[146:147]
	v_pk_mul_f32 v[132:133], v[132:133], v[134:135] op_sel_hi:[1,0]
	s_set_vgpr_msb 4                        ;  msbs: dst=0 src0=0 src1=1 src2=0
	s_delay_alu instid0(VALU_DEP_1) | instskip(SKIP_1) | instid1(VALU_DEP_1)
	v_pk_fma_f32 v[134:135], v[136:137], v[16:17] /*v[272:273]*/, v[132:133] neg_lo:[0,0,1] neg_hi:[0,0,1]
	v_pk_fma_f32 v[132:133], v[136:137], v[16:17] /*v[272:273]*/, v[132:133] op_sel_hi:[1,0,1]
	v_mov_b32_e32 v135, v133
	s_wait_loadcnt_dscnt 0x101
	v_pk_mul_f32 v[132:133], v[138:139], v[18:19] /*v[274:275]*/ op_sel:[1,1] op_sel_hi:[0,1]
	s_set_vgpr_msb 0                        ;  msbs: dst=0 src0=0 src1=0 src2=0
	s_delay_alu instid0(VALU_DEP_2) | instskip(SKIP_1) | instid1(VALU_DEP_2)
	v_pk_add_f32 v[130:131], v[130:131], v[134:135]
	s_set_vgpr_msb 4                        ;  msbs: dst=0 src0=0 src1=1 src2=0
	v_pk_fma_f32 v[134:135], v[138:139], v[18:19] /*v[274:275]*/, v[132:133] neg_lo:[0,0,1] neg_hi:[0,0,1]
	v_pk_fma_f32 v[132:133], v[138:139], v[18:19] /*v[274:275]*/, v[132:133] op_sel_hi:[1,0,1]
	s_delay_alu instid0(VALU_DEP_1) | instskip(SKIP_2) | instid1(VALU_DEP_2)
	v_dual_mov_b32 v132, v141 :: v_dual_mov_b32 v135, v133
	v_mov_b32_e32 v133, v140
	s_set_vgpr_msb 0                        ;  msbs: dst=0 src0=0 src1=0 src2=0
	v_pk_add_f32 v[130:131], v[130:131], v[134:135]
	s_set_vgpr_msb 1                        ;  msbs: dst=0 src0=1 src1=0 src2=0
	v_mov_b32_e32 v134, v21 /*v277*/
	s_set_vgpr_msb 0                        ;  msbs: dst=0 src0=0 src1=0 src2=0
	s_delay_alu instid0(VALU_DEP_1) | instskip(SKIP_1) | instid1(VALU_DEP_1)
	v_pk_mul_f32 v[132:133], v[132:133], v[134:135] op_sel_hi:[1,0]
	s_set_vgpr_msb 4                        ;  msbs: dst=0 src0=0 src1=1 src2=0
	v_pk_fma_f32 v[134:135], v[140:141], v[20:21] /*v[276:277]*/, v[132:133] neg_lo:[0,0,1] neg_hi:[0,0,1]
	v_pk_fma_f32 v[132:133], v[140:141], v[20:21] /*v[276:277]*/, v[132:133] op_sel_hi:[1,0,1]
	s_delay_alu instid0(VALU_DEP_1) | instskip(SKIP_3) | instid1(VALU_DEP_2)
	v_mov_b32_e32 v135, v133
	s_wait_loadcnt_dscnt 0x0
	v_pk_mul_f32 v[132:133], v[142:143], v[22:23] /*v[278:279]*/ op_sel:[1,1] op_sel_hi:[0,1]
	s_set_vgpr_msb 0                        ;  msbs: dst=0 src0=0 src1=0 src2=0
	v_pk_add_f32 v[130:131], v[130:131], v[134:135]
	s_set_vgpr_msb 4                        ;  msbs: dst=0 src0=0 src1=1 src2=0
	s_delay_alu instid0(VALU_DEP_2) | instskip(SKIP_1) | instid1(VALU_DEP_1)
	v_pk_fma_f32 v[134:135], v[142:143], v[22:23] /*v[278:279]*/, v[132:133] neg_lo:[0,0,1] neg_hi:[0,0,1]
	v_pk_fma_f32 v[132:133], v[142:143], v[22:23] /*v[278:279]*/, v[132:133] op_sel_hi:[1,0,1]
	v_dual_mov_b32 v132, v145 :: v_dual_mov_b32 v135, v133
	v_mov_b32_e32 v133, v144
	s_set_vgpr_msb 0                        ;  msbs: dst=0 src0=0 src1=0 src2=0
	s_delay_alu instid0(VALU_DEP_2) | instskip(SKIP_3) | instid1(VALU_DEP_1)
	v_pk_add_f32 v[130:131], v[130:131], v[134:135]
	s_set_vgpr_msb 1                        ;  msbs: dst=0 src0=1 src1=0 src2=0
	v_mov_b32_e32 v134, v25 /*v281*/
	s_set_vgpr_msb 0                        ;  msbs: dst=0 src0=0 src1=0 src2=0
	v_pk_mul_f32 v[132:133], v[132:133], v[134:135] op_sel_hi:[1,0]
	s_set_vgpr_msb 4                        ;  msbs: dst=0 src0=0 src1=1 src2=0
	s_delay_alu instid0(VALU_DEP_1) | instskip(SKIP_1) | instid1(VALU_DEP_1)
	v_pk_fma_f32 v[134:135], v[144:145], v[24:25] /*v[280:281]*/, v[132:133] neg_lo:[0,0,1] neg_hi:[0,0,1]
	v_pk_fma_f32 v[132:133], v[144:145], v[24:25] /*v[280:281]*/, v[132:133] op_sel_hi:[1,0,1]
	v_mov_b32_e32 v135, v133
	scratch_load_b64 v[132:133], off, off offset:168
	s_set_vgpr_msb 0                        ;  msbs: dst=0 src0=0 src1=0 src2=0
	v_pk_add_f32 v[130:131], v[130:131], v[134:135]
	s_wait_loadcnt 0x0
	s_delay_alu instid0(VALU_DEP_1)
	v_pk_add_f32 v[130:131], v[132:133], v[130:131] neg_lo:[0,1] neg_hi:[0,1]
	scratch_store_b64 off, v[130:131], off offset:168
	s_wait_xcnt 0x0
	v_cmpx_lt_u32_e32 20, v0
	s_cbranch_execz .LBB63_357
; %bb.356:
	scratch_load_b64 v[130:131], off, off offset:160
	v_mov_b64_e32 v[132:133], 0
	scratch_store_b64 off, v[132:133], off offset:160
	s_wait_loadcnt 0x0
	ds_store_b64 v1, v[130:131]
.LBB63_357:
	s_wait_xcnt 0x0
	s_or_b32 exec_lo, exec_lo, s0
	s_wait_storecnt_dscnt 0x0
	s_barrier_signal -1
	s_barrier_wait -1
	s_clause 0xf
	scratch_load_b128 v[134:137], off, off offset:168
	scratch_load_b128 v[142:145], off, off offset:184
	;; [unrolled: 1-line block ×16, first 2 shown]
	v_mov_b32_e32 v7, 0
	s_set_vgpr_msb 64                       ;  msbs: dst=1 src0=0 src1=0 src2=0
	s_clause 0x1
	scratch_load_b128 v[6:9] /*v[262:265]*/, off, off offset:424
	scratch_load_b128 v[14:17] /*v[270:273]*/, off, off offset:440
	s_mov_b32 s0, exec_lo
	s_set_vgpr_msb 0                        ;  msbs: dst=0 src0=0 src1=0 src2=0
	ds_load_2addr_b64 v[130:133], v7 offset0:85 offset1:86
	ds_load_2addr_b64 v[138:141], v7 offset0:87 offset1:88
	s_wait_loadcnt_dscnt 0x1101
	v_dual_mul_f32 v9, v130, v135 :: v_dual_mul_f32 v11, v132, v137
	ds_load_2addr_b64 v[146:149], v7 offset0:89 offset1:90
	ds_load_2addr_b64 v[154:157], v7 offset0:91 offset1:92
	;; [unrolled: 1-line block ×4, first 2 shown]
	v_dual_fmac_f32 v9, v131, v134 :: v_dual_fmac_f32 v11, v133, v136
	ds_load_2addr_b64 v[178:181], v7 offset0:97 offset1:98
	ds_load_2addr_b64 v[186:189], v7 offset0:99 offset1:100
	ds_load_2addr_b64 v[194:197], v7 offset0:101 offset1:102
	ds_load_2addr_b64 v[202:205], v7 offset0:103 offset1:104
	v_add_f32_e32 v9, 0, v9
	ds_load_2addr_b64 v[210:213], v7 offset0:105 offset1:106
	ds_load_2addr_b64 v[218:221], v7 offset0:107 offset1:108
	;; [unrolled: 1-line block ×4, first 2 shown]
	v_add_f32_e32 v9, v9, v11
	s_wait_loadcnt_dscnt 0x100c
	v_mul_f32_e32 v11, v138, v143
	ds_load_2addr_b64 v[242:245], v7 offset0:113 offset1:114
	ds_load_2addr_b64 v[250:253], v7 offset0:115 offset1:116
	s_set_vgpr_msb 64                       ;  msbs: dst=1 src0=0 src1=0 src2=0
	ds_load_2addr_b64 v[2:5] /*v[258:261]*/, v7 offset0:117 offset1:118
	ds_load_2addr_b64 v[10:13] /*v[266:269]*/, v7 offset0:119 offset1:120
	s_set_vgpr_msb 0                        ;  msbs: dst=0 src0=0 src1=0 src2=0
	v_fmac_f32_e32 v11, v139, v142
	s_set_vgpr_msb 64                       ;  msbs: dst=1 src0=0 src1=0 src2=0
	s_clause 0x3
	scratch_load_b128 v[18:21] /*v[274:277]*/, off, off offset:456
	scratch_load_b128 v[22:25] /*v[278:281]*/, off, off offset:472
	;; [unrolled: 1-line block ×3, first 2 shown]
	scratch_load_b64 v[36:37] /*v[292:293]*/, off, off offset:504
	s_set_vgpr_msb 0                        ;  msbs: dst=0 src0=0 src1=0 src2=0
	v_dual_add_f32 v9, v9, v11 :: v_dual_mul_f32 v11, v140, v145
	s_delay_alu instid0(VALU_DEP_1) | instskip(NEXT) | instid1(VALU_DEP_1)
	v_fmac_f32_e32 v11, v141, v144
	v_add_f32_e32 v9, v9, v11
	s_wait_loadcnt_dscnt 0x130f
	v_mul_f32_e32 v11, v146, v151
	s_wait_loadcnt_dscnt 0x400
	s_set_vgpr_msb 0x45                     ;  msbs: dst=1 src0=1 src1=1 src2=0
	v_dual_mul_f32 v33 /*v289*/, v4 /*v260*/, v9 /*v265*/ :: v_dual_mul_f32 v35 /*v291*/, v10 /*v266*/, v15 /*v271*/
	s_set_vgpr_msb 0                        ;  msbs: dst=0 src0=0 src1=0 src2=0
	v_fmac_f32_e32 v11, v147, v150
	s_set_vgpr_msb 0x45                     ;  msbs: dst=1 src0=1 src1=1 src2=0
	s_delay_alu instid0(VALU_DEP_2) | instskip(SKIP_1) | instid1(VALU_DEP_2)
	v_dual_fmac_f32 v33 /*v289*/, v5 /*v261*/, v8 /*v264*/ :: v_dual_fmac_f32 v35 /*v291*/, v11 /*v267*/, v14 /*v270*/
	s_set_vgpr_msb 0                        ;  msbs: dst=0 src0=0 src1=0 src2=0
	v_dual_add_f32 v9, v9, v11 :: v_dual_mul_f32 v11, v148, v153
	s_delay_alu instid0(VALU_DEP_1) | instskip(NEXT) | instid1(VALU_DEP_1)
	v_fmac_f32_e32 v11, v149, v152
	v_add_f32_e32 v9, v9, v11
	v_mul_f32_e32 v11, v154, v159
	s_delay_alu instid0(VALU_DEP_1) | instskip(NEXT) | instid1(VALU_DEP_1)
	v_fmac_f32_e32 v11, v155, v158
	v_dual_add_f32 v9, v9, v11 :: v_dual_mul_f32 v11, v156, v161
	s_delay_alu instid0(VALU_DEP_1) | instskip(NEXT) | instid1(VALU_DEP_1)
	v_fmac_f32_e32 v11, v157, v160
	v_add_f32_e32 v9, v9, v11
	v_mul_f32_e32 v11, v162, v167
	s_delay_alu instid0(VALU_DEP_1) | instskip(NEXT) | instid1(VALU_DEP_1)
	v_fmac_f32_e32 v11, v163, v166
	;; [unrolled: 7-line block ×13, first 2 shown]
	v_add_f32_e32 v9, v9, v11
	s_set_vgpr_msb 4                        ;  msbs: dst=0 src0=0 src1=1 src2=0
	v_mul_f32_e32 v11, v252, v1 /*v257*/
	s_delay_alu instid0(VALU_DEP_1) | instskip(SKIP_1) | instid1(VALU_DEP_1)
	v_fmac_f32_e32 v11, v253, v0 /*v256*/
	s_set_vgpr_msb 0                        ;  msbs: dst=0 src0=0 src1=0 src2=0
	v_add_f32_e32 v9, v9, v11
	s_set_vgpr_msb 5                        ;  msbs: dst=0 src0=1 src1=1 src2=0
	v_mul_f32_e32 v11, v2 /*v258*/, v7 /*v263*/
	s_delay_alu instid0(VALU_DEP_1) | instskip(SKIP_1) | instid1(VALU_DEP_1)
	v_fmac_f32_e32 v11, v3 /*v259*/, v6 /*v262*/
	s_set_vgpr_msb 64                       ;  msbs: dst=1 src0=0 src1=0 src2=0
	v_add_f32_e32 v31 /*v287*/, v9, v11
	s_set_vgpr_msb 0                        ;  msbs: dst=0 src0=0 src1=0 src2=0
	v_dual_mul_f32 v9, v131, v135 :: v_dual_mul_f32 v11, v133, v137
	s_delay_alu instid0(VALU_DEP_1) | instskip(NEXT) | instid1(VALU_DEP_1)
	v_dual_fma_f32 v9, v130, v134, -v9 :: v_dual_fma_f32 v11, v132, v136, -v11
	v_add_f32_e32 v9, 0, v9
	s_delay_alu instid0(VALU_DEP_1) | instskip(SKIP_1) | instid1(VALU_DEP_1)
	v_add_f32_e32 v9, v9, v11
	v_mul_f32_e32 v11, v139, v143
	v_fma_f32 v11, v138, v142, -v11
	s_delay_alu instid0(VALU_DEP_1) | instskip(SKIP_1) | instid1(VALU_DEP_1)
	v_add_f32_e32 v9, v9, v11
	v_mul_f32_e32 v11, v141, v145
	v_fma_f32 v11, v140, v144, -v11
	ds_load_2addr_b64 v[130:133], v7 offset0:121 offset1:122
	ds_load_2addr_b64 v[134:137], v7 offset0:123 offset1:124
	ds_load_2addr_b64 v[138:141], v7 offset0:125 offset1:126
	ds_load_b64 v[142:143], v7 offset:1016
	v_add_f32_e32 v9, v9, v11
	v_mul_f32_e32 v11, v147, v151
	s_set_vgpr_msb 1                        ;  msbs: dst=0 src0=1 src1=0 src2=0
	v_mov_b32_e32 v147, v12 /*v268*/
	s_set_vgpr_msb 0                        ;  msbs: dst=0 src0=0 src1=0 src2=0
	s_delay_alu instid0(VALU_DEP_2) | instskip(SKIP_3) | instid1(VALU_DEP_2)
	v_fma_f32 v11, v146, v150, -v11
	s_set_vgpr_msb 1                        ;  msbs: dst=0 src0=1 src1=0 src2=0
	v_mov_b32_e32 v146, v13 /*v269*/
	s_set_vgpr_msb 0                        ;  msbs: dst=0 src0=0 src1=0 src2=0
	v_add_f32_e32 v9, v9, v11
	v_mul_f32_e32 v11, v149, v153
	s_delay_alu instid0(VALU_DEP_1) | instskip(SKIP_3) | instid1(VALU_DEP_2)
	v_fma_f32 v11, v148, v152, -v11
	s_set_vgpr_msb 1                        ;  msbs: dst=0 src0=1 src1=0 src2=0
	v_mov_b32_e32 v148, v17 /*v273*/
	s_set_vgpr_msb 0                        ;  msbs: dst=0 src0=0 src1=0 src2=0
	v_add_f32_e32 v9, v9, v11
	v_mul_f32_e32 v11, v155, v159
	s_delay_alu instid0(VALU_DEP_3) | instskip(NEXT) | instid1(VALU_DEP_2)
	v_pk_mul_f32 v[146:147], v[146:147], v[148:149] op_sel_hi:[1,0]
	v_fma_f32 v11, v154, v158, -v11
	s_set_vgpr_msb 5                        ;  msbs: dst=0 src0=1 src1=1 src2=0
	s_delay_alu instid0(VALU_DEP_2) | instskip(SKIP_3) | instid1(VALU_DEP_2)
	v_pk_fma_f32 v[148:149], v[12:13] /*v[268:269]*/, v[16:17] /*v[272:273]*/, v[146:147] neg_lo:[0,0,1] neg_hi:[0,0,1]
	v_pk_fma_f32 v[146:147], v[12:13] /*v[268:269]*/, v[16:17] /*v[272:273]*/, v[146:147] op_sel_hi:[1,0,1]
	s_set_vgpr_msb 0                        ;  msbs: dst=0 src0=0 src1=0 src2=0
	v_add_f32_e32 v9, v9, v11
	v_dual_mul_f32 v11, v157, v161 :: v_dual_mov_b32 v149, v147
	s_wait_loadcnt_dscnt 0x303
	s_set_vgpr_msb 4                        ;  msbs: dst=0 src0=0 src1=1 src2=0
	v_pk_mul_f32 v[146:147], v[130:131], v[18:19] /*v[274:275]*/ op_sel:[1,1] op_sel_hi:[0,1]
	s_set_vgpr_msb 0                        ;  msbs: dst=0 src0=0 src1=0 src2=0
	v_fma_f32 v11, v156, v160, -v11
	s_delay_alu instid0(VALU_DEP_1) | instskip(SKIP_1) | instid1(VALU_DEP_1)
	v_add_f32_e32 v9, v9, v11
	v_mul_f32_e32 v11, v163, v167
	v_fma_f32 v11, v162, v166, -v11
	s_delay_alu instid0(VALU_DEP_1) | instskip(SKIP_1) | instid1(VALU_DEP_1)
	v_add_f32_e32 v9, v9, v11
	v_mul_f32_e32 v11, v165, v169
	;; [unrolled: 4-line block ×23, first 2 shown]
	v_fma_f32 v11, v250, v254, -v11
	s_delay_alu instid0(VALU_DEP_1) | instskip(SKIP_2) | instid1(VALU_DEP_1)
	v_add_f32_e32 v9, v9, v11
	s_set_vgpr_msb 4                        ;  msbs: dst=0 src0=0 src1=1 src2=0
	v_mul_f32_e32 v11, v253, v1 /*v257*/
	v_fma_f32 v11, v252, v0 /*v256*/, -v11
	s_set_vgpr_msb 0                        ;  msbs: dst=0 src0=0 src1=0 src2=0
	s_delay_alu instid0(VALU_DEP_1) | instskip(SKIP_2) | instid1(VALU_DEP_1)
	v_add_f32_e32 v9, v9, v11
	s_set_vgpr_msb 5                        ;  msbs: dst=0 src0=1 src1=1 src2=0
	v_mul_f32_e32 v11, v3 /*v259*/, v7 /*v263*/
	v_fma_f32 v11, v2 /*v258*/, v6 /*v262*/, -v11
	s_set_vgpr_msb 64                       ;  msbs: dst=1 src0=0 src1=0 src2=0
	s_delay_alu instid0(VALU_DEP_1) | instskip(SKIP_3) | instid1(VALU_DEP_1)
	v_add_f32_e32 v30 /*v286*/, v9, v11
	s_set_vgpr_msb 5                        ;  msbs: dst=0 src0=1 src1=1 src2=0
	v_mul_f32_e32 v9, v5 /*v261*/, v9 /*v265*/
	s_set_vgpr_msb 0x45                     ;  msbs: dst=1 src0=1 src1=1 src2=0
	v_fma_f32 v32 /*v288*/, v4 /*v260*/, v8 /*v264*/, -v9
	s_set_vgpr_msb 5                        ;  msbs: dst=0 src0=1 src1=1 src2=0
	v_mul_f32_e32 v9, v11 /*v267*/, v15 /*v271*/
	s_set_vgpr_msb 0x45                     ;  msbs: dst=1 src0=1 src1=1 src2=0
	s_delay_alu instid0(VALU_DEP_1) | instskip(SKIP_3) | instid1(VALU_DEP_1)
	v_fma_f32 v34 /*v290*/, v10 /*v266*/, v14 /*v270*/, -v9
	s_set_vgpr_msb 5                        ;  msbs: dst=0 src0=1 src1=1 src2=0
	v_pk_add_f32 v[144:145], v[30:31] /*v[286:287]*/, v[32:33] /*v[288:289]*/
	s_set_vgpr_msb 4                        ;  msbs: dst=0 src0=0 src1=1 src2=0
	v_pk_add_f32 v[144:145], v[144:145], v[34:35] /*v[290:291]*/
	s_set_vgpr_msb 0                        ;  msbs: dst=0 src0=0 src1=0 src2=0
	s_delay_alu instid0(VALU_DEP_1)
	v_pk_add_f32 v[144:145], v[144:145], v[148:149]
	s_set_vgpr_msb 4                        ;  msbs: dst=0 src0=0 src1=1 src2=0
	v_pk_fma_f32 v[148:149], v[130:131], v[18:19] /*v[274:275]*/, v[146:147] neg_lo:[0,0,1] neg_hi:[0,0,1]
	v_pk_fma_f32 v[130:131], v[130:131], v[18:19] /*v[274:275]*/, v[146:147] op_sel_hi:[1,0,1]
	s_set_vgpr_msb 1                        ;  msbs: dst=0 src0=1 src1=0 src2=0
	v_mov_b32_e32 v146, v21 /*v277*/
	s_set_vgpr_msb 0                        ;  msbs: dst=0 src0=0 src1=0 src2=0
	s_delay_alu instid0(VALU_DEP_2) | instskip(NEXT) | instid1(VALU_DEP_1)
	v_mov_b32_e32 v149, v131
	v_pk_add_f32 v[130:131], v[144:145], v[148:149]
	v_dual_mov_b32 v144, v133 :: v_dual_mov_b32 v145, v132
	s_delay_alu instid0(VALU_DEP_1) | instskip(SKIP_1) | instid1(VALU_DEP_1)
	v_pk_mul_f32 v[144:145], v[144:145], v[146:147] op_sel_hi:[1,0]
	s_set_vgpr_msb 4                        ;  msbs: dst=0 src0=0 src1=1 src2=0
	v_pk_fma_f32 v[146:147], v[132:133], v[20:21] /*v[276:277]*/, v[144:145] neg_lo:[0,0,1] neg_hi:[0,0,1]
	v_pk_fma_f32 v[132:133], v[132:133], v[20:21] /*v[276:277]*/, v[144:145] op_sel_hi:[1,0,1]
	s_delay_alu instid0(VALU_DEP_1) | instskip(SKIP_3) | instid1(VALU_DEP_2)
	v_mov_b32_e32 v147, v133
	s_wait_loadcnt_dscnt 0x202
	v_pk_mul_f32 v[132:133], v[134:135], v[22:23] /*v[278:279]*/ op_sel:[1,1] op_sel_hi:[0,1]
	s_set_vgpr_msb 0                        ;  msbs: dst=0 src0=0 src1=0 src2=0
	v_pk_add_f32 v[130:131], v[130:131], v[146:147]
	s_set_vgpr_msb 4                        ;  msbs: dst=0 src0=0 src1=1 src2=0
	s_delay_alu instid0(VALU_DEP_2)
	v_pk_fma_f32 v[144:145], v[134:135], v[22:23] /*v[278:279]*/, v[132:133] neg_lo:[0,0,1] neg_hi:[0,0,1]
	v_pk_fma_f32 v[132:133], v[134:135], v[22:23] /*v[278:279]*/, v[132:133] op_sel_hi:[1,0,1]
	v_mov_b32_e32 v132, v137
	s_set_vgpr_msb 1                        ;  msbs: dst=0 src0=1 src1=0 src2=0
	v_mov_b32_e32 v134, v25 /*v281*/
	s_set_vgpr_msb 0                        ;  msbs: dst=0 src0=0 src1=0 src2=0
	v_dual_mov_b32 v145, v133 :: v_dual_mov_b32 v133, v136
	s_delay_alu instid0(VALU_DEP_1) | instskip(NEXT) | instid1(VALU_DEP_2)
	v_pk_add_f32 v[130:131], v[130:131], v[144:145]
	v_pk_mul_f32 v[132:133], v[132:133], v[134:135] op_sel_hi:[1,0]
	s_set_vgpr_msb 4                        ;  msbs: dst=0 src0=0 src1=1 src2=0
	s_delay_alu instid0(VALU_DEP_1) | instskip(SKIP_1) | instid1(VALU_DEP_1)
	v_pk_fma_f32 v[134:135], v[136:137], v[24:25] /*v[280:281]*/, v[132:133] neg_lo:[0,0,1] neg_hi:[0,0,1]
	v_pk_fma_f32 v[132:133], v[136:137], v[24:25] /*v[280:281]*/, v[132:133] op_sel_hi:[1,0,1]
	v_mov_b32_e32 v135, v133
	s_wait_loadcnt_dscnt 0x101
	v_pk_mul_f32 v[132:133], v[138:139], v[26:27] /*v[282:283]*/ op_sel:[1,1] op_sel_hi:[0,1]
	s_set_vgpr_msb 0                        ;  msbs: dst=0 src0=0 src1=0 src2=0
	s_delay_alu instid0(VALU_DEP_2) | instskip(SKIP_1) | instid1(VALU_DEP_2)
	v_pk_add_f32 v[130:131], v[130:131], v[134:135]
	s_set_vgpr_msb 4                        ;  msbs: dst=0 src0=0 src1=1 src2=0
	v_pk_fma_f32 v[134:135], v[138:139], v[26:27] /*v[282:283]*/, v[132:133] neg_lo:[0,0,1] neg_hi:[0,0,1]
	v_pk_fma_f32 v[132:133], v[138:139], v[26:27] /*v[282:283]*/, v[132:133] op_sel_hi:[1,0,1]
	s_delay_alu instid0(VALU_DEP_1) | instskip(SKIP_2) | instid1(VALU_DEP_2)
	v_dual_mov_b32 v132, v141 :: v_dual_mov_b32 v135, v133
	v_mov_b32_e32 v133, v140
	s_set_vgpr_msb 0                        ;  msbs: dst=0 src0=0 src1=0 src2=0
	v_pk_add_f32 v[130:131], v[130:131], v[134:135]
	s_set_vgpr_msb 1                        ;  msbs: dst=0 src0=1 src1=0 src2=0
	v_mov_b32_e32 v134, v29 /*v285*/
	s_set_vgpr_msb 0                        ;  msbs: dst=0 src0=0 src1=0 src2=0
	s_delay_alu instid0(VALU_DEP_1) | instskip(SKIP_1) | instid1(VALU_DEP_1)
	v_pk_mul_f32 v[132:133], v[132:133], v[134:135] op_sel_hi:[1,0]
	s_set_vgpr_msb 4                        ;  msbs: dst=0 src0=0 src1=1 src2=0
	v_pk_fma_f32 v[134:135], v[140:141], v[28:29] /*v[284:285]*/, v[132:133] neg_lo:[0,0,1] neg_hi:[0,0,1]
	v_pk_fma_f32 v[132:133], v[140:141], v[28:29] /*v[284:285]*/, v[132:133] op_sel_hi:[1,0,1]
	s_delay_alu instid0(VALU_DEP_1) | instskip(SKIP_3) | instid1(VALU_DEP_2)
	v_mov_b32_e32 v135, v133
	s_wait_loadcnt_dscnt 0x0
	v_pk_mul_f32 v[132:133], v[142:143], v[36:37] /*v[292:293]*/ op_sel:[1,1] op_sel_hi:[0,1]
	s_set_vgpr_msb 0                        ;  msbs: dst=0 src0=0 src1=0 src2=0
	v_pk_add_f32 v[130:131], v[130:131], v[134:135]
	s_set_vgpr_msb 4                        ;  msbs: dst=0 src0=0 src1=1 src2=0
	s_delay_alu instid0(VALU_DEP_2) | instskip(SKIP_1) | instid1(VALU_DEP_1)
	v_pk_fma_f32 v[134:135], v[142:143], v[36:37] /*v[292:293]*/, v[132:133] neg_lo:[0,0,1] neg_hi:[0,0,1]
	v_pk_fma_f32 v[132:133], v[142:143], v[36:37] /*v[292:293]*/, v[132:133] op_sel_hi:[1,0,1]
	v_mov_b32_e32 v135, v133
	scratch_load_b64 v[132:133], off, off offset:160
	s_set_vgpr_msb 0                        ;  msbs: dst=0 src0=0 src1=0 src2=0
	v_pk_add_f32 v[130:131], v[130:131], v[134:135]
	s_wait_loadcnt 0x0
	s_delay_alu instid0(VALU_DEP_1)
	v_pk_add_f32 v[130:131], v[132:133], v[130:131] neg_lo:[0,1] neg_hi:[0,1]
	scratch_store_b64 off, v[130:131], off offset:160
	s_wait_xcnt 0x0
	v_cmpx_lt_u32_e32 19, v0
	s_cbranch_execz .LBB63_359
; %bb.358:
	scratch_load_b64 v[130:131], off, off offset:152
	v_mov_b64_e32 v[132:133], 0
	scratch_store_b64 off, v[132:133], off offset:152
	s_wait_loadcnt 0x0
	ds_store_b64 v1, v[130:131]
.LBB63_359:
	s_wait_xcnt 0x0
	s_or_b32 exec_lo, exec_lo, s0
	s_wait_storecnt_dscnt 0x0
	s_barrier_signal -1
	s_barrier_wait -1
	ds_load_b128 v[130:133], v7 offset:672
	ds_load_b128 v[134:137], v7 offset:688
	;; [unrolled: 1-line block ×4, first 2 shown]
	s_clause 0x12
	scratch_load_b128 v[146:149], off, off offset:160
	scratch_load_b128 v[150:153], off, off offset:176
	;; [unrolled: 1-line block ×16, first 2 shown]
	s_set_vgpr_msb 64                       ;  msbs: dst=1 src0=0 src1=0 src2=0
	scratch_load_b128 v[6:9] /*v[262:265]*/, off, off offset:416
	scratch_load_b128 v[14:17] /*v[270:273]*/, off, off offset:432
	s_set_vgpr_msb 0                        ;  msbs: dst=0 src0=0 src1=0 src2=0
	ds_load_b128 v[162:165], v7 offset:736
	ds_load_b128 v[170:173], v7 offset:752
	;; [unrolled: 1-line block ×12, first 2 shown]
	s_set_vgpr_msb 64                       ;  msbs: dst=1 src0=0 src1=0 src2=0
	ds_load_b128 v[2:5] /*v[258:261]*/, v7 offset:928
	ds_load_b128 v[10:13] /*v[266:269]*/, v7 offset:944
	s_clause 0x3
	scratch_load_b128 v[18:21] /*v[274:277]*/, off, off offset:448
	scratch_load_b128 v[22:25] /*v[278:281]*/, off, off offset:464
	scratch_load_b128 v[26:29] /*v[282:285]*/, off, off offset:480
	scratch_load_b128 v[30:33] /*v[286:289]*/, off, off offset:496
	s_mov_b32 s0, exec_lo
	s_wait_loadcnt_dscnt 0x1511
	s_set_vgpr_msb 0                        ;  msbs: dst=0 src0=0 src1=0 src2=0
	v_dual_mul_f32 v9, v130, v147 :: v_dual_mul_f32 v11, v132, v149
	s_delay_alu instid0(VALU_DEP_1) | instskip(NEXT) | instid1(VALU_DEP_1)
	v_dual_fmac_f32 v9, v131, v146 :: v_dual_fmac_f32 v11, v133, v148
	v_add_f32_e32 v9, 0, v9
	s_delay_alu instid0(VALU_DEP_1)
	v_add_f32_e32 v9, v9, v11
	s_wait_loadcnt_dscnt 0x1410
	v_mul_f32_e32 v11, v134, v151
	s_wait_loadcnt_dscnt 0x400
	s_set_vgpr_msb 0x45                     ;  msbs: dst=1 src0=1 src1=1 src2=0
	v_dual_mul_f32 v37 /*v293*/, v10 /*v266*/, v15 /*v271*/ :: v_dual_mul_f32 v39 /*v295*/, v12 /*v268*/, v17 /*v273*/
	s_set_vgpr_msb 0                        ;  msbs: dst=0 src0=0 src1=0 src2=0
	v_fmac_f32_e32 v11, v135, v150
	s_set_vgpr_msb 0x45                     ;  msbs: dst=1 src0=1 src1=1 src2=0
	s_delay_alu instid0(VALU_DEP_2) | instskip(SKIP_1) | instid1(VALU_DEP_2)
	v_dual_fmac_f32 v37 /*v293*/, v11 /*v267*/, v14 /*v270*/ :: v_dual_fmac_f32 v39 /*v295*/, v13 /*v269*/, v16 /*v272*/
	s_set_vgpr_msb 0                        ;  msbs: dst=0 src0=0 src1=0 src2=0
	v_dual_add_f32 v9, v9, v11 :: v_dual_mul_f32 v11, v136, v153
	s_delay_alu instid0(VALU_DEP_1) | instskip(NEXT) | instid1(VALU_DEP_1)
	v_fmac_f32_e32 v11, v137, v152
	v_add_f32_e32 v9, v9, v11
	v_mul_f32_e32 v11, v138, v155
	s_delay_alu instid0(VALU_DEP_1) | instskip(NEXT) | instid1(VALU_DEP_1)
	v_fmac_f32_e32 v11, v139, v154
	v_dual_add_f32 v9, v9, v11 :: v_dual_mul_f32 v11, v140, v157
	s_delay_alu instid0(VALU_DEP_1) | instskip(NEXT) | instid1(VALU_DEP_1)
	v_fmac_f32_e32 v11, v141, v156
	v_add_f32_e32 v9, v9, v11
	v_mul_f32_e32 v11, v142, v159
	s_delay_alu instid0(VALU_DEP_1) | instskip(NEXT) | instid1(VALU_DEP_1)
	v_fmac_f32_e32 v11, v143, v158
	;; [unrolled: 7-line block ×14, first 2 shown]
	v_add_f32_e32 v9, v9, v11
	s_set_vgpr_msb 4                        ;  msbs: dst=0 src0=0 src1=1 src2=0
	v_mul_f32_e32 v11, v252, v1 /*v257*/
	s_delay_alu instid0(VALU_DEP_1) | instskip(SKIP_1) | instid1(VALU_DEP_1)
	v_fmac_f32_e32 v11, v253, v0 /*v256*/
	s_set_vgpr_msb 0                        ;  msbs: dst=0 src0=0 src1=0 src2=0
	v_add_f32_e32 v9, v9, v11
	s_set_vgpr_msb 5                        ;  msbs: dst=0 src0=1 src1=1 src2=0
	v_mul_f32_e32 v11, v2 /*v258*/, v7 /*v263*/
	s_delay_alu instid0(VALU_DEP_1) | instskip(SKIP_1) | instid1(VALU_DEP_1)
	v_fmac_f32_e32 v11, v3 /*v259*/, v6 /*v262*/
	s_set_vgpr_msb 0                        ;  msbs: dst=0 src0=0 src1=0 src2=0
	v_add_f32_e32 v9, v9, v11
	s_set_vgpr_msb 5                        ;  msbs: dst=0 src0=1 src1=1 src2=0
	v_mul_f32_e32 v11, v4 /*v260*/, v9 /*v265*/
	s_delay_alu instid0(VALU_DEP_1) | instskip(SKIP_1) | instid1(VALU_DEP_1)
	v_fmac_f32_e32 v11, v5 /*v261*/, v8 /*v264*/
	s_set_vgpr_msb 64                       ;  msbs: dst=1 src0=0 src1=0 src2=0
	v_add_f32_e32 v35 /*v291*/, v9, v11
	s_set_vgpr_msb 0                        ;  msbs: dst=0 src0=0 src1=0 src2=0
	v_dual_mul_f32 v9, v131, v147 :: v_dual_mul_f32 v11, v133, v149
	s_delay_alu instid0(VALU_DEP_1) | instskip(NEXT) | instid1(VALU_DEP_1)
	v_dual_fma_f32 v9, v130, v146, -v9 :: v_dual_fma_f32 v11, v132, v148, -v11
	v_add_f32_e32 v9, 0, v9
	s_delay_alu instid0(VALU_DEP_1) | instskip(SKIP_1) | instid1(VALU_DEP_1)
	v_add_f32_e32 v9, v9, v11
	v_mul_f32_e32 v11, v135, v151
	v_fma_f32 v11, v134, v150, -v11
	s_delay_alu instid0(VALU_DEP_1) | instskip(SKIP_1) | instid1(VALU_DEP_1)
	v_add_f32_e32 v9, v9, v11
	v_mul_f32_e32 v11, v137, v153
	v_fma_f32 v11, v136, v152, -v11
	;; [unrolled: 4-line block ×6, first 2 shown]
	ds_load_b128 v[130:133], v7 offset:960
	ds_load_b128 v[134:137], v7 offset:976
	;; [unrolled: 1-line block ×4, first 2 shown]
	v_add_f32_e32 v9, v9, v11
	v_mul_f32_e32 v11, v163, v167
	s_delay_alu instid0(VALU_DEP_1) | instskip(NEXT) | instid1(VALU_DEP_1)
	v_fma_f32 v11, v162, v166, -v11
	v_add_f32_e32 v9, v9, v11
	v_mul_f32_e32 v11, v165, v169
	s_wait_loadcnt_dscnt 0x303
	s_set_vgpr_msb 4                        ;  msbs: dst=0 src0=0 src1=1 src2=0
	v_pk_mul_f32 v[148:149], v[130:131], v[18:19] /*v[274:275]*/ op_sel:[1,1] op_sel_hi:[0,1]
	s_set_vgpr_msb 0                        ;  msbs: dst=0 src0=0 src1=0 src2=0
	v_fma_f32 v11, v164, v168, -v11
	s_set_vgpr_msb 4                        ;  msbs: dst=0 src0=0 src1=1 src2=0
	s_delay_alu instid0(VALU_DEP_2)
	v_pk_fma_f32 v[150:151], v[130:131], v[18:19] /*v[274:275]*/, v[148:149] neg_lo:[0,0,1] neg_hi:[0,0,1]
	v_pk_fma_f32 v[130:131], v[130:131], v[18:19] /*v[274:275]*/, v[148:149] op_sel_hi:[1,0,1]
	s_set_vgpr_msb 1                        ;  msbs: dst=0 src0=1 src1=0 src2=0
	v_mov_b32_e32 v148, v21 /*v277*/
	s_set_vgpr_msb 0                        ;  msbs: dst=0 src0=0 src1=0 src2=0
	v_add_f32_e32 v9, v9, v11
	v_mul_f32_e32 v11, v171, v175
	s_delay_alu instid0(VALU_DEP_1) | instskip(NEXT) | instid1(VALU_DEP_1)
	v_dual_mov_b32 v151, v131 :: v_dual_fma_f32 v11, v170, v174, -v11
	v_add_f32_e32 v9, v9, v11
	v_mul_f32_e32 v11, v173, v177
	s_delay_alu instid0(VALU_DEP_1) | instskip(NEXT) | instid1(VALU_DEP_1)
	v_fma_f32 v11, v172, v176, -v11
	v_add_f32_e32 v9, v9, v11
	v_mul_f32_e32 v11, v179, v183
	s_delay_alu instid0(VALU_DEP_1) | instskip(NEXT) | instid1(VALU_DEP_1)
	v_fma_f32 v11, v178, v182, -v11
	;; [unrolled: 4-line block ×20, first 2 shown]
	v_add_f32_e32 v9, v9, v11
	s_set_vgpr_msb 4                        ;  msbs: dst=0 src0=0 src1=1 src2=0
	v_mul_f32_e32 v11, v253, v1 /*v257*/
	s_delay_alu instid0(VALU_DEP_1) | instskip(SKIP_1) | instid1(VALU_DEP_1)
	v_fma_f32 v11, v252, v0 /*v256*/, -v11
	s_set_vgpr_msb 0                        ;  msbs: dst=0 src0=0 src1=0 src2=0
	v_add_f32_e32 v9, v9, v11
	s_set_vgpr_msb 5                        ;  msbs: dst=0 src0=1 src1=1 src2=0
	v_mul_f32_e32 v11, v3 /*v259*/, v7 /*v263*/
	s_delay_alu instid0(VALU_DEP_1) | instskip(SKIP_1) | instid1(VALU_DEP_1)
	v_fma_f32 v11, v2 /*v258*/, v6 /*v262*/, -v11
	s_set_vgpr_msb 0                        ;  msbs: dst=0 src0=0 src1=0 src2=0
	v_add_f32_e32 v9, v9, v11
	s_set_vgpr_msb 5                        ;  msbs: dst=0 src0=1 src1=1 src2=0
	v_mul_f32_e32 v11, v5 /*v261*/, v9 /*v265*/
	s_delay_alu instid0(VALU_DEP_1) | instskip(SKIP_1) | instid1(VALU_DEP_1)
	v_fma_f32 v11, v4 /*v260*/, v8 /*v264*/, -v11
	s_set_vgpr_msb 64                       ;  msbs: dst=1 src0=0 src1=0 src2=0
	v_add_f32_e32 v34 /*v290*/, v9, v11
	s_set_vgpr_msb 5                        ;  msbs: dst=0 src0=1 src1=1 src2=0
	v_mul_f32_e32 v9, v11 /*v267*/, v15 /*v271*/
	s_set_vgpr_msb 0x45                     ;  msbs: dst=1 src0=1 src1=1 src2=0
	s_delay_alu instid0(VALU_DEP_1) | instskip(SKIP_3) | instid1(VALU_DEP_1)
	v_fma_f32 v36 /*v292*/, v10 /*v266*/, v14 /*v270*/, -v9
	s_set_vgpr_msb 5                        ;  msbs: dst=0 src0=1 src1=1 src2=0
	v_mul_f32_e32 v9, v13 /*v269*/, v17 /*v273*/
	s_set_vgpr_msb 0x45                     ;  msbs: dst=1 src0=1 src1=1 src2=0
	v_fma_f32 v38 /*v294*/, v12 /*v268*/, v16 /*v272*/, -v9
	s_set_vgpr_msb 5                        ;  msbs: dst=0 src0=1 src1=1 src2=0
	v_pk_add_f32 v[146:147], v[34:35] /*v[290:291]*/, v[36:37] /*v[292:293]*/
	s_set_vgpr_msb 4                        ;  msbs: dst=0 src0=0 src1=1 src2=0
	s_delay_alu instid0(VALU_DEP_1) | instskip(SKIP_1) | instid1(VALU_DEP_1)
	v_pk_add_f32 v[146:147], v[146:147], v[38:39] /*v[294:295]*/
	s_set_vgpr_msb 0                        ;  msbs: dst=0 src0=0 src1=0 src2=0
	v_pk_add_f32 v[130:131], v[146:147], v[150:151]
	v_dual_mov_b32 v146, v133 :: v_dual_mov_b32 v147, v132
	s_delay_alu instid0(VALU_DEP_1) | instskip(SKIP_1) | instid1(VALU_DEP_1)
	v_pk_mul_f32 v[146:147], v[146:147], v[148:149] op_sel_hi:[1,0]
	s_set_vgpr_msb 4                        ;  msbs: dst=0 src0=0 src1=1 src2=0
	v_pk_fma_f32 v[148:149], v[132:133], v[20:21] /*v[276:277]*/, v[146:147] neg_lo:[0,0,1] neg_hi:[0,0,1]
	v_pk_fma_f32 v[132:133], v[132:133], v[20:21] /*v[276:277]*/, v[146:147] op_sel_hi:[1,0,1]
	s_delay_alu instid0(VALU_DEP_1) | instskip(SKIP_3) | instid1(VALU_DEP_2)
	v_mov_b32_e32 v149, v133
	s_wait_loadcnt_dscnt 0x202
	v_pk_mul_f32 v[132:133], v[134:135], v[22:23] /*v[278:279]*/ op_sel:[1,1] op_sel_hi:[0,1]
	s_set_vgpr_msb 0                        ;  msbs: dst=0 src0=0 src1=0 src2=0
	v_pk_add_f32 v[130:131], v[130:131], v[148:149]
	s_set_vgpr_msb 4                        ;  msbs: dst=0 src0=0 src1=1 src2=0
	s_delay_alu instid0(VALU_DEP_2)
	v_pk_fma_f32 v[146:147], v[134:135], v[22:23] /*v[278:279]*/, v[132:133] neg_lo:[0,0,1] neg_hi:[0,0,1]
	v_pk_fma_f32 v[132:133], v[134:135], v[22:23] /*v[278:279]*/, v[132:133] op_sel_hi:[1,0,1]
	v_mov_b32_e32 v132, v137
	s_set_vgpr_msb 1                        ;  msbs: dst=0 src0=1 src1=0 src2=0
	v_mov_b32_e32 v134, v25 /*v281*/
	s_set_vgpr_msb 0                        ;  msbs: dst=0 src0=0 src1=0 src2=0
	v_dual_mov_b32 v147, v133 :: v_dual_mov_b32 v133, v136
	s_delay_alu instid0(VALU_DEP_1) | instskip(NEXT) | instid1(VALU_DEP_2)
	v_pk_add_f32 v[130:131], v[130:131], v[146:147]
	v_pk_mul_f32 v[132:133], v[132:133], v[134:135] op_sel_hi:[1,0]
	s_set_vgpr_msb 4                        ;  msbs: dst=0 src0=0 src1=1 src2=0
	s_delay_alu instid0(VALU_DEP_1) | instskip(SKIP_1) | instid1(VALU_DEP_1)
	v_pk_fma_f32 v[134:135], v[136:137], v[24:25] /*v[280:281]*/, v[132:133] neg_lo:[0,0,1] neg_hi:[0,0,1]
	v_pk_fma_f32 v[132:133], v[136:137], v[24:25] /*v[280:281]*/, v[132:133] op_sel_hi:[1,0,1]
	v_mov_b32_e32 v135, v133
	s_wait_loadcnt_dscnt 0x101
	v_pk_mul_f32 v[132:133], v[138:139], v[26:27] /*v[282:283]*/ op_sel:[1,1] op_sel_hi:[0,1]
	s_set_vgpr_msb 0                        ;  msbs: dst=0 src0=0 src1=0 src2=0
	s_delay_alu instid0(VALU_DEP_2) | instskip(SKIP_1) | instid1(VALU_DEP_2)
	v_pk_add_f32 v[130:131], v[130:131], v[134:135]
	s_set_vgpr_msb 4                        ;  msbs: dst=0 src0=0 src1=1 src2=0
	v_pk_fma_f32 v[134:135], v[138:139], v[26:27] /*v[282:283]*/, v[132:133] neg_lo:[0,0,1] neg_hi:[0,0,1]
	v_pk_fma_f32 v[132:133], v[138:139], v[26:27] /*v[282:283]*/, v[132:133] op_sel_hi:[1,0,1]
	s_delay_alu instid0(VALU_DEP_1) | instskip(SKIP_2) | instid1(VALU_DEP_2)
	v_dual_mov_b32 v132, v141 :: v_dual_mov_b32 v135, v133
	v_mov_b32_e32 v133, v140
	s_set_vgpr_msb 0                        ;  msbs: dst=0 src0=0 src1=0 src2=0
	v_pk_add_f32 v[130:131], v[130:131], v[134:135]
	s_set_vgpr_msb 1                        ;  msbs: dst=0 src0=1 src1=0 src2=0
	v_mov_b32_e32 v134, v29 /*v285*/
	s_set_vgpr_msb 0                        ;  msbs: dst=0 src0=0 src1=0 src2=0
	s_delay_alu instid0(VALU_DEP_1) | instskip(SKIP_1) | instid1(VALU_DEP_1)
	v_pk_mul_f32 v[132:133], v[132:133], v[134:135] op_sel_hi:[1,0]
	s_set_vgpr_msb 4                        ;  msbs: dst=0 src0=0 src1=1 src2=0
	v_pk_fma_f32 v[134:135], v[140:141], v[28:29] /*v[284:285]*/, v[132:133] neg_lo:[0,0,1] neg_hi:[0,0,1]
	v_pk_fma_f32 v[132:133], v[140:141], v[28:29] /*v[284:285]*/, v[132:133] op_sel_hi:[1,0,1]
	s_delay_alu instid0(VALU_DEP_1) | instskip(SKIP_3) | instid1(VALU_DEP_2)
	v_mov_b32_e32 v135, v133
	s_wait_loadcnt_dscnt 0x0
	v_pk_mul_f32 v[132:133], v[142:143], v[30:31] /*v[286:287]*/ op_sel:[1,1] op_sel_hi:[0,1]
	s_set_vgpr_msb 0                        ;  msbs: dst=0 src0=0 src1=0 src2=0
	v_pk_add_f32 v[130:131], v[130:131], v[134:135]
	s_set_vgpr_msb 4                        ;  msbs: dst=0 src0=0 src1=1 src2=0
	s_delay_alu instid0(VALU_DEP_2) | instskip(SKIP_1) | instid1(VALU_DEP_1)
	v_pk_fma_f32 v[134:135], v[142:143], v[30:31] /*v[286:287]*/, v[132:133] neg_lo:[0,0,1] neg_hi:[0,0,1]
	v_pk_fma_f32 v[132:133], v[142:143], v[30:31] /*v[286:287]*/, v[132:133] op_sel_hi:[1,0,1]
	v_dual_mov_b32 v132, v145 :: v_dual_mov_b32 v135, v133
	v_mov_b32_e32 v133, v144
	s_set_vgpr_msb 0                        ;  msbs: dst=0 src0=0 src1=0 src2=0
	s_delay_alu instid0(VALU_DEP_2) | instskip(SKIP_3) | instid1(VALU_DEP_1)
	v_pk_add_f32 v[130:131], v[130:131], v[134:135]
	s_set_vgpr_msb 1                        ;  msbs: dst=0 src0=1 src1=0 src2=0
	v_mov_b32_e32 v134, v33 /*v289*/
	s_set_vgpr_msb 0                        ;  msbs: dst=0 src0=0 src1=0 src2=0
	v_pk_mul_f32 v[132:133], v[132:133], v[134:135] op_sel_hi:[1,0]
	s_set_vgpr_msb 4                        ;  msbs: dst=0 src0=0 src1=1 src2=0
	s_delay_alu instid0(VALU_DEP_1) | instskip(SKIP_1) | instid1(VALU_DEP_1)
	v_pk_fma_f32 v[134:135], v[144:145], v[32:33] /*v[288:289]*/, v[132:133] neg_lo:[0,0,1] neg_hi:[0,0,1]
	v_pk_fma_f32 v[132:133], v[144:145], v[32:33] /*v[288:289]*/, v[132:133] op_sel_hi:[1,0,1]
	v_mov_b32_e32 v135, v133
	scratch_load_b64 v[132:133], off, off offset:152
	s_set_vgpr_msb 0                        ;  msbs: dst=0 src0=0 src1=0 src2=0
	v_pk_add_f32 v[130:131], v[130:131], v[134:135]
	s_wait_loadcnt 0x0
	s_delay_alu instid0(VALU_DEP_1)
	v_pk_add_f32 v[130:131], v[132:133], v[130:131] neg_lo:[0,1] neg_hi:[0,1]
	scratch_store_b64 off, v[130:131], off offset:152
	s_wait_xcnt 0x0
	v_cmpx_lt_u32_e32 18, v0
	s_cbranch_execz .LBB63_361
; %bb.360:
	scratch_load_b64 v[130:131], off, off offset:144
	v_mov_b64_e32 v[132:133], 0
	scratch_store_b64 off, v[132:133], off offset:144
	s_wait_loadcnt 0x0
	ds_store_b64 v1, v[130:131]
.LBB63_361:
	s_wait_xcnt 0x0
	s_or_b32 exec_lo, exec_lo, s0
	s_wait_storecnt_dscnt 0x0
	s_barrier_signal -1
	s_barrier_wait -1
	s_clause 0xf
	scratch_load_b128 v[134:137], off, off offset:152
	scratch_load_b128 v[142:145], off, off offset:168
	scratch_load_b128 v[150:153], off, off offset:184
	scratch_load_b128 v[158:161], off, off offset:200
	scratch_load_b128 v[166:169], off, off offset:216
	scratch_load_b128 v[174:177], off, off offset:232
	scratch_load_b128 v[182:185], off, off offset:248
	scratch_load_b128 v[190:193], off, off offset:264
	scratch_load_b128 v[198:201], off, off offset:280
	scratch_load_b128 v[206:209], off, off offset:296
	scratch_load_b128 v[214:217], off, off offset:312
	scratch_load_b128 v[222:225], off, off offset:328
	scratch_load_b128 v[230:233], off, off offset:344
	scratch_load_b128 v[238:241], off, off offset:360
	scratch_load_b128 v[246:249], off, off offset:376
	scratch_load_b128 v[254:257], off, off offset:392
	v_mov_b32_e32 v7, 0
	s_set_vgpr_msb 64                       ;  msbs: dst=1 src0=0 src1=0 src2=0
	s_clause 0x2
	scratch_load_b128 v[6:9] /*v[262:265]*/, off, off offset:408
	scratch_load_b128 v[14:17] /*v[270:273]*/, off, off offset:424
	;; [unrolled: 1-line block ×3, first 2 shown]
	s_mov_b32 s0, exec_lo
	s_set_vgpr_msb 0                        ;  msbs: dst=0 src0=0 src1=0 src2=0
	ds_load_2addr_b64 v[130:133], v7 offset0:83 offset1:84
	ds_load_2addr_b64 v[138:141], v7 offset0:85 offset1:86
	s_wait_loadcnt_dscnt 0x1201
	v_dual_mul_f32 v9, v130, v135 :: v_dual_mul_f32 v11, v132, v137
	ds_load_2addr_b64 v[146:149], v7 offset0:87 offset1:88
	ds_load_2addr_b64 v[154:157], v7 offset0:89 offset1:90
	;; [unrolled: 1-line block ×4, first 2 shown]
	v_dual_fmac_f32 v9, v131, v134 :: v_dual_fmac_f32 v11, v133, v136
	ds_load_2addr_b64 v[178:181], v7 offset0:95 offset1:96
	ds_load_2addr_b64 v[186:189], v7 offset0:97 offset1:98
	;; [unrolled: 1-line block ×4, first 2 shown]
	v_add_f32_e32 v9, 0, v9
	ds_load_2addr_b64 v[210:213], v7 offset0:103 offset1:104
	ds_load_2addr_b64 v[218:221], v7 offset0:105 offset1:106
	;; [unrolled: 1-line block ×4, first 2 shown]
	v_add_f32_e32 v9, v9, v11
	s_wait_loadcnt_dscnt 0x110c
	v_mul_f32_e32 v11, v138, v143
	ds_load_2addr_b64 v[242:245], v7 offset0:111 offset1:112
	ds_load_2addr_b64 v[250:253], v7 offset0:113 offset1:114
	s_set_vgpr_msb 64                       ;  msbs: dst=1 src0=0 src1=0 src2=0
	ds_load_2addr_b64 v[2:5] /*v[258:261]*/, v7 offset0:115 offset1:116
	ds_load_2addr_b64 v[10:13] /*v[266:269]*/, v7 offset0:117 offset1:118
	s_set_vgpr_msb 0                        ;  msbs: dst=0 src0=0 src1=0 src2=0
	v_fmac_f32_e32 v11, v139, v142
	s_set_vgpr_msb 64                       ;  msbs: dst=1 src0=0 src1=0 src2=0
	ds_load_2addr_b64 v[18:21] /*v[274:277]*/, v7 offset0:119 offset1:120
	s_clause 0x3
	scratch_load_b128 v[26:29] /*v[282:285]*/, off, off offset:456
	scratch_load_b128 v[30:33] /*v[286:289]*/, off, off offset:472
	;; [unrolled: 1-line block ×3, first 2 shown]
	scratch_load_b64 v[44:45] /*v[300:301]*/, off, off offset:504
	s_set_vgpr_msb 0                        ;  msbs: dst=0 src0=0 src1=0 src2=0
	v_dual_add_f32 v9, v9, v11 :: v_dual_mul_f32 v11, v140, v145
	s_delay_alu instid0(VALU_DEP_1) | instskip(NEXT) | instid1(VALU_DEP_1)
	v_fmac_f32_e32 v11, v141, v144
	v_add_f32_e32 v9, v9, v11
	s_wait_loadcnt_dscnt 0x1410
	v_mul_f32_e32 v11, v146, v151
	s_wait_loadcnt_dscnt 0x400
	s_set_vgpr_msb 0x45                     ;  msbs: dst=1 src0=1 src1=1 src2=0
	v_dual_mul_f32 v41 /*v297*/, v12 /*v268*/, v17 /*v273*/ :: v_dual_mul_f32 v43 /*v299*/, v18 /*v274*/, v23 /*v279*/
	s_set_vgpr_msb 0                        ;  msbs: dst=0 src0=0 src1=0 src2=0
	v_fmac_f32_e32 v11, v147, v150
	s_set_vgpr_msb 0x45                     ;  msbs: dst=1 src0=1 src1=1 src2=0
	s_delay_alu instid0(VALU_DEP_2) | instskip(SKIP_1) | instid1(VALU_DEP_2)
	v_dual_fmac_f32 v41 /*v297*/, v13 /*v269*/, v16 /*v272*/ :: v_dual_fmac_f32 v43 /*v299*/, v19 /*v275*/, v22 /*v278*/
	s_set_vgpr_msb 0                        ;  msbs: dst=0 src0=0 src1=0 src2=0
	v_dual_add_f32 v9, v9, v11 :: v_dual_mul_f32 v11, v148, v153
	s_delay_alu instid0(VALU_DEP_1) | instskip(NEXT) | instid1(VALU_DEP_1)
	v_fmac_f32_e32 v11, v149, v152
	v_add_f32_e32 v9, v9, v11
	v_mul_f32_e32 v11, v154, v159
	s_delay_alu instid0(VALU_DEP_1) | instskip(NEXT) | instid1(VALU_DEP_1)
	v_fmac_f32_e32 v11, v155, v158
	v_dual_add_f32 v9, v9, v11 :: v_dual_mul_f32 v11, v156, v161
	s_delay_alu instid0(VALU_DEP_1) | instskip(NEXT) | instid1(VALU_DEP_1)
	v_fmac_f32_e32 v11, v157, v160
	v_add_f32_e32 v9, v9, v11
	v_mul_f32_e32 v11, v162, v167
	s_delay_alu instid0(VALU_DEP_1) | instskip(NEXT) | instid1(VALU_DEP_1)
	v_fmac_f32_e32 v11, v163, v166
	v_dual_add_f32 v9, v9, v11 :: v_dual_mul_f32 v11, v164, v169
	s_delay_alu instid0(VALU_DEP_1) | instskip(NEXT) | instid1(VALU_DEP_1)
	v_fmac_f32_e32 v11, v165, v168
	v_add_f32_e32 v9, v9, v11
	v_mul_f32_e32 v11, v170, v175
	s_delay_alu instid0(VALU_DEP_1) | instskip(NEXT) | instid1(VALU_DEP_1)
	v_fmac_f32_e32 v11, v171, v174
	v_dual_add_f32 v9, v9, v11 :: v_dual_mul_f32 v11, v172, v177
	s_delay_alu instid0(VALU_DEP_1) | instskip(NEXT) | instid1(VALU_DEP_1)
	v_fmac_f32_e32 v11, v173, v176
	v_add_f32_e32 v9, v9, v11
	v_mul_f32_e32 v11, v178, v183
	s_delay_alu instid0(VALU_DEP_1) | instskip(NEXT) | instid1(VALU_DEP_1)
	v_fmac_f32_e32 v11, v179, v182
	v_dual_add_f32 v9, v9, v11 :: v_dual_mul_f32 v11, v180, v185
	s_delay_alu instid0(VALU_DEP_1) | instskip(NEXT) | instid1(VALU_DEP_1)
	v_fmac_f32_e32 v11, v181, v184
	v_add_f32_e32 v9, v9, v11
	v_mul_f32_e32 v11, v186, v191
	s_delay_alu instid0(VALU_DEP_1) | instskip(NEXT) | instid1(VALU_DEP_1)
	v_fmac_f32_e32 v11, v187, v190
	v_dual_add_f32 v9, v9, v11 :: v_dual_mul_f32 v11, v188, v193
	s_delay_alu instid0(VALU_DEP_1) | instskip(NEXT) | instid1(VALU_DEP_1)
	v_fmac_f32_e32 v11, v189, v192
	v_add_f32_e32 v9, v9, v11
	v_mul_f32_e32 v11, v194, v199
	s_delay_alu instid0(VALU_DEP_1) | instskip(NEXT) | instid1(VALU_DEP_1)
	v_fmac_f32_e32 v11, v195, v198
	v_dual_add_f32 v9, v9, v11 :: v_dual_mul_f32 v11, v196, v201
	s_delay_alu instid0(VALU_DEP_1) | instskip(NEXT) | instid1(VALU_DEP_1)
	v_fmac_f32_e32 v11, v197, v200
	v_add_f32_e32 v9, v9, v11
	v_mul_f32_e32 v11, v202, v207
	s_delay_alu instid0(VALU_DEP_1) | instskip(NEXT) | instid1(VALU_DEP_1)
	v_fmac_f32_e32 v11, v203, v206
	v_dual_add_f32 v9, v9, v11 :: v_dual_mul_f32 v11, v204, v209
	s_delay_alu instid0(VALU_DEP_1) | instskip(NEXT) | instid1(VALU_DEP_1)
	v_fmac_f32_e32 v11, v205, v208
	v_add_f32_e32 v9, v9, v11
	v_mul_f32_e32 v11, v210, v215
	s_delay_alu instid0(VALU_DEP_1) | instskip(NEXT) | instid1(VALU_DEP_1)
	v_fmac_f32_e32 v11, v211, v214
	v_dual_add_f32 v9, v9, v11 :: v_dual_mul_f32 v11, v212, v217
	s_delay_alu instid0(VALU_DEP_1) | instskip(NEXT) | instid1(VALU_DEP_1)
	v_fmac_f32_e32 v11, v213, v216
	v_add_f32_e32 v9, v9, v11
	v_mul_f32_e32 v11, v218, v223
	s_delay_alu instid0(VALU_DEP_1) | instskip(NEXT) | instid1(VALU_DEP_1)
	v_fmac_f32_e32 v11, v219, v222
	v_dual_add_f32 v9, v9, v11 :: v_dual_mul_f32 v11, v220, v225
	s_delay_alu instid0(VALU_DEP_1) | instskip(NEXT) | instid1(VALU_DEP_1)
	v_fmac_f32_e32 v11, v221, v224
	v_add_f32_e32 v9, v9, v11
	v_mul_f32_e32 v11, v226, v231
	s_delay_alu instid0(VALU_DEP_1) | instskip(NEXT) | instid1(VALU_DEP_1)
	v_fmac_f32_e32 v11, v227, v230
	v_dual_add_f32 v9, v9, v11 :: v_dual_mul_f32 v11, v228, v233
	s_delay_alu instid0(VALU_DEP_1) | instskip(NEXT) | instid1(VALU_DEP_1)
	v_fmac_f32_e32 v11, v229, v232
	v_add_f32_e32 v9, v9, v11
	v_mul_f32_e32 v11, v234, v239
	s_delay_alu instid0(VALU_DEP_1) | instskip(NEXT) | instid1(VALU_DEP_1)
	v_fmac_f32_e32 v11, v235, v238
	v_dual_add_f32 v9, v9, v11 :: v_dual_mul_f32 v11, v236, v241
	s_delay_alu instid0(VALU_DEP_1) | instskip(NEXT) | instid1(VALU_DEP_1)
	v_fmac_f32_e32 v11, v237, v240
	v_add_f32_e32 v9, v9, v11
	v_mul_f32_e32 v11, v242, v247
	s_delay_alu instid0(VALU_DEP_1) | instskip(NEXT) | instid1(VALU_DEP_1)
	v_fmac_f32_e32 v11, v243, v246
	v_dual_add_f32 v9, v9, v11 :: v_dual_mul_f32 v11, v244, v249
	s_delay_alu instid0(VALU_DEP_1) | instskip(NEXT) | instid1(VALU_DEP_1)
	v_fmac_f32_e32 v11, v245, v248
	v_add_f32_e32 v9, v9, v11
	v_mul_f32_e32 v11, v250, v255
	s_delay_alu instid0(VALU_DEP_1) | instskip(NEXT) | instid1(VALU_DEP_1)
	v_fmac_f32_e32 v11, v251, v254
	v_add_f32_e32 v9, v9, v11
	s_set_vgpr_msb 4                        ;  msbs: dst=0 src0=0 src1=1 src2=0
	v_mul_f32_e32 v11, v252, v1 /*v257*/
	s_delay_alu instid0(VALU_DEP_1) | instskip(SKIP_1) | instid1(VALU_DEP_1)
	v_fmac_f32_e32 v11, v253, v0 /*v256*/
	s_set_vgpr_msb 0                        ;  msbs: dst=0 src0=0 src1=0 src2=0
	v_add_f32_e32 v9, v9, v11
	s_set_vgpr_msb 5                        ;  msbs: dst=0 src0=1 src1=1 src2=0
	v_mul_f32_e32 v11, v2 /*v258*/, v7 /*v263*/
	s_delay_alu instid0(VALU_DEP_1) | instskip(SKIP_1) | instid1(VALU_DEP_1)
	v_fmac_f32_e32 v11, v3 /*v259*/, v6 /*v262*/
	s_set_vgpr_msb 0                        ;  msbs: dst=0 src0=0 src1=0 src2=0
	v_add_f32_e32 v9, v9, v11
	s_set_vgpr_msb 5                        ;  msbs: dst=0 src0=1 src1=1 src2=0
	v_mul_f32_e32 v11, v4 /*v260*/, v9 /*v265*/
	s_delay_alu instid0(VALU_DEP_1) | instskip(SKIP_1) | instid1(VALU_DEP_1)
	v_fmac_f32_e32 v11, v5 /*v261*/, v8 /*v264*/
	;; [unrolled: 6-line block ×3, first 2 shown]
	s_set_vgpr_msb 64                       ;  msbs: dst=1 src0=0 src1=0 src2=0
	v_add_f32_e32 v39 /*v295*/, v9, v11
	s_set_vgpr_msb 0                        ;  msbs: dst=0 src0=0 src1=0 src2=0
	v_dual_mul_f32 v9, v131, v135 :: v_dual_mul_f32 v11, v133, v137
	s_delay_alu instid0(VALU_DEP_1) | instskip(NEXT) | instid1(VALU_DEP_1)
	v_dual_fma_f32 v9, v130, v134, -v9 :: v_dual_fma_f32 v11, v132, v136, -v11
	v_add_f32_e32 v9, 0, v9
	s_delay_alu instid0(VALU_DEP_1) | instskip(SKIP_1) | instid1(VALU_DEP_1)
	v_add_f32_e32 v9, v9, v11
	v_mul_f32_e32 v11, v139, v143
	v_fma_f32 v11, v138, v142, -v11
	s_delay_alu instid0(VALU_DEP_1) | instskip(SKIP_1) | instid1(VALU_DEP_1)
	v_add_f32_e32 v9, v9, v11
	v_mul_f32_e32 v11, v141, v145
	v_fma_f32 v11, v140, v144, -v11
	ds_load_2addr_b64 v[130:133], v7 offset0:121 offset1:122
	ds_load_2addr_b64 v[134:137], v7 offset0:123 offset1:124
	ds_load_2addr_b64 v[138:141], v7 offset0:125 offset1:126
	ds_load_b64 v[142:143], v7 offset:1016
	v_add_f32_e32 v9, v9, v11
	v_mul_f32_e32 v11, v147, v151
	s_set_vgpr_msb 1                        ;  msbs: dst=0 src0=1 src1=0 src2=0
	v_mov_b32_e32 v147, v20 /*v276*/
	s_set_vgpr_msb 0                        ;  msbs: dst=0 src0=0 src1=0 src2=0
	s_delay_alu instid0(VALU_DEP_2) | instskip(SKIP_3) | instid1(VALU_DEP_2)
	v_fma_f32 v11, v146, v150, -v11
	s_set_vgpr_msb 1                        ;  msbs: dst=0 src0=1 src1=0 src2=0
	v_mov_b32_e32 v146, v21 /*v277*/
	s_set_vgpr_msb 0                        ;  msbs: dst=0 src0=0 src1=0 src2=0
	v_add_f32_e32 v9, v9, v11
	v_mul_f32_e32 v11, v149, v153
	s_delay_alu instid0(VALU_DEP_1) | instskip(SKIP_3) | instid1(VALU_DEP_2)
	v_fma_f32 v11, v148, v152, -v11
	s_set_vgpr_msb 1                        ;  msbs: dst=0 src0=1 src1=0 src2=0
	v_mov_b32_e32 v148, v25 /*v281*/
	s_set_vgpr_msb 0                        ;  msbs: dst=0 src0=0 src1=0 src2=0
	v_add_f32_e32 v9, v9, v11
	v_mul_f32_e32 v11, v155, v159
	s_delay_alu instid0(VALU_DEP_3) | instskip(NEXT) | instid1(VALU_DEP_2)
	v_pk_mul_f32 v[146:147], v[146:147], v[148:149] op_sel_hi:[1,0]
	v_fma_f32 v11, v154, v158, -v11
	s_set_vgpr_msb 5                        ;  msbs: dst=0 src0=1 src1=1 src2=0
	s_delay_alu instid0(VALU_DEP_2) | instskip(SKIP_3) | instid1(VALU_DEP_2)
	v_pk_fma_f32 v[148:149], v[20:21] /*v[276:277]*/, v[24:25] /*v[280:281]*/, v[146:147] neg_lo:[0,0,1] neg_hi:[0,0,1]
	v_pk_fma_f32 v[146:147], v[20:21] /*v[276:277]*/, v[24:25] /*v[280:281]*/, v[146:147] op_sel_hi:[1,0,1]
	s_set_vgpr_msb 0                        ;  msbs: dst=0 src0=0 src1=0 src2=0
	v_add_f32_e32 v9, v9, v11
	v_dual_mul_f32 v11, v157, v161 :: v_dual_mov_b32 v149, v147
	s_wait_loadcnt_dscnt 0x303
	s_set_vgpr_msb 4                        ;  msbs: dst=0 src0=0 src1=1 src2=0
	v_pk_mul_f32 v[146:147], v[130:131], v[26:27] /*v[282:283]*/ op_sel:[1,1] op_sel_hi:[0,1]
	s_set_vgpr_msb 0                        ;  msbs: dst=0 src0=0 src1=0 src2=0
	v_fma_f32 v11, v156, v160, -v11
	s_delay_alu instid0(VALU_DEP_1) | instskip(SKIP_1) | instid1(VALU_DEP_1)
	v_add_f32_e32 v9, v9, v11
	v_mul_f32_e32 v11, v163, v167
	v_fma_f32 v11, v162, v166, -v11
	s_delay_alu instid0(VALU_DEP_1) | instskip(SKIP_1) | instid1(VALU_DEP_1)
	v_add_f32_e32 v9, v9, v11
	v_mul_f32_e32 v11, v165, v169
	;; [unrolled: 4-line block ×23, first 2 shown]
	v_fma_f32 v11, v250, v254, -v11
	s_delay_alu instid0(VALU_DEP_1) | instskip(SKIP_2) | instid1(VALU_DEP_1)
	v_add_f32_e32 v9, v9, v11
	s_set_vgpr_msb 4                        ;  msbs: dst=0 src0=0 src1=1 src2=0
	v_mul_f32_e32 v11, v253, v1 /*v257*/
	v_fma_f32 v11, v252, v0 /*v256*/, -v11
	s_set_vgpr_msb 0                        ;  msbs: dst=0 src0=0 src1=0 src2=0
	s_delay_alu instid0(VALU_DEP_1) | instskip(SKIP_2) | instid1(VALU_DEP_1)
	v_add_f32_e32 v9, v9, v11
	s_set_vgpr_msb 5                        ;  msbs: dst=0 src0=1 src1=1 src2=0
	v_mul_f32_e32 v11, v3 /*v259*/, v7 /*v263*/
	v_fma_f32 v11, v2 /*v258*/, v6 /*v262*/, -v11
	s_set_vgpr_msb 0                        ;  msbs: dst=0 src0=0 src1=0 src2=0
	s_delay_alu instid0(VALU_DEP_1) | instskip(SKIP_2) | instid1(VALU_DEP_1)
	v_add_f32_e32 v9, v9, v11
	s_set_vgpr_msb 5                        ;  msbs: dst=0 src0=1 src1=1 src2=0
	v_mul_f32_e32 v11, v5 /*v261*/, v9 /*v265*/
	v_fma_f32 v11, v4 /*v260*/, v8 /*v264*/, -v11
	s_set_vgpr_msb 0                        ;  msbs: dst=0 src0=0 src1=0 src2=0
	s_delay_alu instid0(VALU_DEP_1) | instskip(SKIP_2) | instid1(VALU_DEP_1)
	v_add_f32_e32 v9, v9, v11
	s_set_vgpr_msb 5                        ;  msbs: dst=0 src0=1 src1=1 src2=0
	v_mul_f32_e32 v11, v11 /*v267*/, v15 /*v271*/
	v_fma_f32 v11, v10 /*v266*/, v14 /*v270*/, -v11
	s_set_vgpr_msb 64                       ;  msbs: dst=1 src0=0 src1=0 src2=0
	s_delay_alu instid0(VALU_DEP_1) | instskip(SKIP_3) | instid1(VALU_DEP_1)
	v_add_f32_e32 v38 /*v294*/, v9, v11
	s_set_vgpr_msb 5                        ;  msbs: dst=0 src0=1 src1=1 src2=0
	v_mul_f32_e32 v9, v13 /*v269*/, v17 /*v273*/
	s_set_vgpr_msb 0x45                     ;  msbs: dst=1 src0=1 src1=1 src2=0
	v_fma_f32 v40 /*v296*/, v12 /*v268*/, v16 /*v272*/, -v9
	s_set_vgpr_msb 5                        ;  msbs: dst=0 src0=1 src1=1 src2=0
	v_mul_f32_e32 v9, v19 /*v275*/, v23 /*v279*/
	s_set_vgpr_msb 0x45                     ;  msbs: dst=1 src0=1 src1=1 src2=0
	s_delay_alu instid0(VALU_DEP_1) | instskip(SKIP_3) | instid1(VALU_DEP_1)
	v_fma_f32 v42 /*v298*/, v18 /*v274*/, v22 /*v278*/, -v9
	s_set_vgpr_msb 5                        ;  msbs: dst=0 src0=1 src1=1 src2=0
	v_pk_add_f32 v[144:145], v[38:39] /*v[294:295]*/, v[40:41] /*v[296:297]*/
	s_set_vgpr_msb 4                        ;  msbs: dst=0 src0=0 src1=1 src2=0
	v_pk_add_f32 v[144:145], v[144:145], v[42:43] /*v[298:299]*/
	s_set_vgpr_msb 0                        ;  msbs: dst=0 src0=0 src1=0 src2=0
	s_delay_alu instid0(VALU_DEP_1)
	v_pk_add_f32 v[144:145], v[144:145], v[148:149]
	s_set_vgpr_msb 4                        ;  msbs: dst=0 src0=0 src1=1 src2=0
	v_pk_fma_f32 v[148:149], v[130:131], v[26:27] /*v[282:283]*/, v[146:147] neg_lo:[0,0,1] neg_hi:[0,0,1]
	v_pk_fma_f32 v[130:131], v[130:131], v[26:27] /*v[282:283]*/, v[146:147] op_sel_hi:[1,0,1]
	s_set_vgpr_msb 1                        ;  msbs: dst=0 src0=1 src1=0 src2=0
	v_mov_b32_e32 v146, v29 /*v285*/
	s_set_vgpr_msb 0                        ;  msbs: dst=0 src0=0 src1=0 src2=0
	s_delay_alu instid0(VALU_DEP_2) | instskip(NEXT) | instid1(VALU_DEP_1)
	v_mov_b32_e32 v149, v131
	v_pk_add_f32 v[130:131], v[144:145], v[148:149]
	v_dual_mov_b32 v144, v133 :: v_dual_mov_b32 v145, v132
	s_delay_alu instid0(VALU_DEP_1) | instskip(SKIP_1) | instid1(VALU_DEP_1)
	v_pk_mul_f32 v[144:145], v[144:145], v[146:147] op_sel_hi:[1,0]
	s_set_vgpr_msb 4                        ;  msbs: dst=0 src0=0 src1=1 src2=0
	v_pk_fma_f32 v[146:147], v[132:133], v[28:29] /*v[284:285]*/, v[144:145] neg_lo:[0,0,1] neg_hi:[0,0,1]
	v_pk_fma_f32 v[132:133], v[132:133], v[28:29] /*v[284:285]*/, v[144:145] op_sel_hi:[1,0,1]
	s_delay_alu instid0(VALU_DEP_1) | instskip(SKIP_3) | instid1(VALU_DEP_2)
	v_mov_b32_e32 v147, v133
	s_wait_loadcnt_dscnt 0x202
	v_pk_mul_f32 v[132:133], v[134:135], v[30:31] /*v[286:287]*/ op_sel:[1,1] op_sel_hi:[0,1]
	s_set_vgpr_msb 0                        ;  msbs: dst=0 src0=0 src1=0 src2=0
	v_pk_add_f32 v[130:131], v[130:131], v[146:147]
	s_set_vgpr_msb 4                        ;  msbs: dst=0 src0=0 src1=1 src2=0
	s_delay_alu instid0(VALU_DEP_2)
	v_pk_fma_f32 v[144:145], v[134:135], v[30:31] /*v[286:287]*/, v[132:133] neg_lo:[0,0,1] neg_hi:[0,0,1]
	v_pk_fma_f32 v[132:133], v[134:135], v[30:31] /*v[286:287]*/, v[132:133] op_sel_hi:[1,0,1]
	v_mov_b32_e32 v132, v137
	s_set_vgpr_msb 1                        ;  msbs: dst=0 src0=1 src1=0 src2=0
	v_mov_b32_e32 v134, v33 /*v289*/
	s_set_vgpr_msb 0                        ;  msbs: dst=0 src0=0 src1=0 src2=0
	v_dual_mov_b32 v145, v133 :: v_dual_mov_b32 v133, v136
	s_delay_alu instid0(VALU_DEP_1) | instskip(NEXT) | instid1(VALU_DEP_2)
	v_pk_add_f32 v[130:131], v[130:131], v[144:145]
	v_pk_mul_f32 v[132:133], v[132:133], v[134:135] op_sel_hi:[1,0]
	s_set_vgpr_msb 4                        ;  msbs: dst=0 src0=0 src1=1 src2=0
	s_delay_alu instid0(VALU_DEP_1) | instskip(SKIP_1) | instid1(VALU_DEP_1)
	v_pk_fma_f32 v[134:135], v[136:137], v[32:33] /*v[288:289]*/, v[132:133] neg_lo:[0,0,1] neg_hi:[0,0,1]
	v_pk_fma_f32 v[132:133], v[136:137], v[32:33] /*v[288:289]*/, v[132:133] op_sel_hi:[1,0,1]
	v_mov_b32_e32 v135, v133
	s_wait_loadcnt_dscnt 0x101
	v_pk_mul_f32 v[132:133], v[138:139], v[34:35] /*v[290:291]*/ op_sel:[1,1] op_sel_hi:[0,1]
	s_set_vgpr_msb 0                        ;  msbs: dst=0 src0=0 src1=0 src2=0
	s_delay_alu instid0(VALU_DEP_2) | instskip(SKIP_1) | instid1(VALU_DEP_2)
	v_pk_add_f32 v[130:131], v[130:131], v[134:135]
	s_set_vgpr_msb 4                        ;  msbs: dst=0 src0=0 src1=1 src2=0
	v_pk_fma_f32 v[134:135], v[138:139], v[34:35] /*v[290:291]*/, v[132:133] neg_lo:[0,0,1] neg_hi:[0,0,1]
	v_pk_fma_f32 v[132:133], v[138:139], v[34:35] /*v[290:291]*/, v[132:133] op_sel_hi:[1,0,1]
	s_delay_alu instid0(VALU_DEP_1) | instskip(SKIP_2) | instid1(VALU_DEP_2)
	v_dual_mov_b32 v132, v141 :: v_dual_mov_b32 v135, v133
	v_mov_b32_e32 v133, v140
	s_set_vgpr_msb 0                        ;  msbs: dst=0 src0=0 src1=0 src2=0
	v_pk_add_f32 v[130:131], v[130:131], v[134:135]
	s_set_vgpr_msb 1                        ;  msbs: dst=0 src0=1 src1=0 src2=0
	v_mov_b32_e32 v134, v37 /*v293*/
	s_set_vgpr_msb 0                        ;  msbs: dst=0 src0=0 src1=0 src2=0
	s_delay_alu instid0(VALU_DEP_1) | instskip(SKIP_1) | instid1(VALU_DEP_1)
	v_pk_mul_f32 v[132:133], v[132:133], v[134:135] op_sel_hi:[1,0]
	s_set_vgpr_msb 4                        ;  msbs: dst=0 src0=0 src1=1 src2=0
	v_pk_fma_f32 v[134:135], v[140:141], v[36:37] /*v[292:293]*/, v[132:133] neg_lo:[0,0,1] neg_hi:[0,0,1]
	v_pk_fma_f32 v[132:133], v[140:141], v[36:37] /*v[292:293]*/, v[132:133] op_sel_hi:[1,0,1]
	s_delay_alu instid0(VALU_DEP_1) | instskip(SKIP_3) | instid1(VALU_DEP_2)
	v_mov_b32_e32 v135, v133
	s_wait_loadcnt_dscnt 0x0
	v_pk_mul_f32 v[132:133], v[142:143], v[44:45] /*v[300:301]*/ op_sel:[1,1] op_sel_hi:[0,1]
	s_set_vgpr_msb 0                        ;  msbs: dst=0 src0=0 src1=0 src2=0
	v_pk_add_f32 v[130:131], v[130:131], v[134:135]
	s_set_vgpr_msb 4                        ;  msbs: dst=0 src0=0 src1=1 src2=0
	s_delay_alu instid0(VALU_DEP_2) | instskip(SKIP_1) | instid1(VALU_DEP_1)
	v_pk_fma_f32 v[134:135], v[142:143], v[44:45] /*v[300:301]*/, v[132:133] neg_lo:[0,0,1] neg_hi:[0,0,1]
	v_pk_fma_f32 v[132:133], v[142:143], v[44:45] /*v[300:301]*/, v[132:133] op_sel_hi:[1,0,1]
	v_mov_b32_e32 v135, v133
	scratch_load_b64 v[132:133], off, off offset:144
	s_set_vgpr_msb 0                        ;  msbs: dst=0 src0=0 src1=0 src2=0
	v_pk_add_f32 v[130:131], v[130:131], v[134:135]
	s_wait_loadcnt 0x0
	s_delay_alu instid0(VALU_DEP_1)
	v_pk_add_f32 v[130:131], v[132:133], v[130:131] neg_lo:[0,1] neg_hi:[0,1]
	scratch_store_b64 off, v[130:131], off offset:144
	s_wait_xcnt 0x0
	v_cmpx_lt_u32_e32 17, v0
	s_cbranch_execz .LBB63_363
; %bb.362:
	scratch_load_b64 v[130:131], off, off offset:136
	v_mov_b64_e32 v[132:133], 0
	scratch_store_b64 off, v[132:133], off offset:136
	s_wait_loadcnt 0x0
	ds_store_b64 v1, v[130:131]
.LBB63_363:
	s_wait_xcnt 0x0
	s_or_b32 exec_lo, exec_lo, s0
	s_wait_storecnt_dscnt 0x0
	s_barrier_signal -1
	s_barrier_wait -1
	ds_load_b128 v[130:133], v7 offset:656
	ds_load_b128 v[134:137], v7 offset:672
	;; [unrolled: 1-line block ×4, first 2 shown]
	s_clause 0x12
	scratch_load_b128 v[146:149], off, off offset:144
	scratch_load_b128 v[150:153], off, off offset:160
	;; [unrolled: 1-line block ×16, first 2 shown]
	s_set_vgpr_msb 64                       ;  msbs: dst=1 src0=0 src1=0 src2=0
	scratch_load_b128 v[6:9] /*v[262:265]*/, off, off offset:400
	scratch_load_b128 v[14:17] /*v[270:273]*/, off, off offset:416
	s_set_vgpr_msb 0                        ;  msbs: dst=0 src0=0 src1=0 src2=0
	ds_load_b128 v[162:165], v7 offset:720
	ds_load_b128 v[170:173], v7 offset:736
	;; [unrolled: 1-line block ×12, first 2 shown]
	s_set_vgpr_msb 64                       ;  msbs: dst=1 src0=0 src1=0 src2=0
	ds_load_b128 v[2:5] /*v[258:261]*/, v7 offset:912
	ds_load_b128 v[10:13] /*v[266:269]*/, v7 offset:928
	;; [unrolled: 1-line block ×3, first 2 shown]
	s_clause 0x4
	scratch_load_b128 v[22:25] /*v[278:281]*/, off, off offset:432
	scratch_load_b128 v[26:29] /*v[282:285]*/, off, off offset:448
	;; [unrolled: 1-line block ×5, first 2 shown]
	s_mov_b32 s0, exec_lo
	s_wait_loadcnt_dscnt 0x1612
	s_set_vgpr_msb 0                        ;  msbs: dst=0 src0=0 src1=0 src2=0
	v_dual_mul_f32 v9, v130, v147 :: v_dual_mul_f32 v11, v132, v149
	s_delay_alu instid0(VALU_DEP_1) | instskip(NEXT) | instid1(VALU_DEP_1)
	v_dual_fmac_f32 v9, v131, v146 :: v_dual_fmac_f32 v11, v133, v148
	v_add_f32_e32 v9, 0, v9
	s_delay_alu instid0(VALU_DEP_1) | instskip(SKIP_2) | instid1(VALU_DEP_1)
	v_add_f32_e32 v9, v9, v11
	s_wait_loadcnt_dscnt 0x1511
	v_mul_f32_e32 v11, v134, v151
	v_fmac_f32_e32 v11, v135, v150
	s_delay_alu instid0(VALU_DEP_1) | instskip(NEXT) | instid1(VALU_DEP_1)
	v_dual_add_f32 v9, v9, v11 :: v_dual_mul_f32 v11, v136, v153
	v_fmac_f32_e32 v11, v137, v152
	s_wait_loadcnt_dscnt 0x400
	s_set_vgpr_msb 0x45                     ;  msbs: dst=1 src0=1 src1=1 src2=0
	v_dual_mul_f32 v45 /*v301*/, v18 /*v274*/, v23 /*v279*/ :: v_dual_mul_f32 v47 /*v303*/, v20 /*v276*/, v25 /*v281*/
	s_set_vgpr_msb 0                        ;  msbs: dst=0 src0=0 src1=0 src2=0
	v_add_f32_e32 v9, v9, v11
	v_mul_f32_e32 v11, v138, v155
	s_set_vgpr_msb 0x45                     ;  msbs: dst=1 src0=1 src1=1 src2=0
	v_dual_fmac_f32 v45 /*v301*/, v19 /*v275*/, v22 /*v278*/ :: v_dual_fmac_f32 v47 /*v303*/, v21 /*v277*/, v24 /*v280*/
	s_set_vgpr_msb 0                        ;  msbs: dst=0 src0=0 src1=0 src2=0
	s_delay_alu instid0(VALU_DEP_2) | instskip(NEXT) | instid1(VALU_DEP_1)
	v_fmac_f32_e32 v11, v139, v154
	v_dual_add_f32 v9, v9, v11 :: v_dual_mul_f32 v11, v140, v157
	s_delay_alu instid0(VALU_DEP_1) | instskip(NEXT) | instid1(VALU_DEP_1)
	v_fmac_f32_e32 v11, v141, v156
	v_add_f32_e32 v9, v9, v11
	v_mul_f32_e32 v11, v142, v159
	s_delay_alu instid0(VALU_DEP_1) | instskip(NEXT) | instid1(VALU_DEP_1)
	v_fmac_f32_e32 v11, v143, v158
	v_dual_add_f32 v9, v9, v11 :: v_dual_mul_f32 v11, v144, v161
	s_delay_alu instid0(VALU_DEP_1) | instskip(NEXT) | instid1(VALU_DEP_1)
	v_fmac_f32_e32 v11, v145, v160
	v_add_f32_e32 v9, v9, v11
	v_mul_f32_e32 v11, v162, v167
	s_delay_alu instid0(VALU_DEP_1) | instskip(NEXT) | instid1(VALU_DEP_1)
	;; [unrolled: 7-line block ×13, first 2 shown]
	v_fmac_f32_e32 v11, v251, v254
	v_add_f32_e32 v9, v9, v11
	s_set_vgpr_msb 4                        ;  msbs: dst=0 src0=0 src1=1 src2=0
	v_mul_f32_e32 v11, v252, v1 /*v257*/
	s_delay_alu instid0(VALU_DEP_1) | instskip(SKIP_1) | instid1(VALU_DEP_1)
	v_fmac_f32_e32 v11, v253, v0 /*v256*/
	s_set_vgpr_msb 0                        ;  msbs: dst=0 src0=0 src1=0 src2=0
	v_add_f32_e32 v9, v9, v11
	s_set_vgpr_msb 5                        ;  msbs: dst=0 src0=1 src1=1 src2=0
	v_mul_f32_e32 v11, v2 /*v258*/, v7 /*v263*/
	s_delay_alu instid0(VALU_DEP_1) | instskip(SKIP_1) | instid1(VALU_DEP_1)
	v_fmac_f32_e32 v11, v3 /*v259*/, v6 /*v262*/
	s_set_vgpr_msb 0                        ;  msbs: dst=0 src0=0 src1=0 src2=0
	v_add_f32_e32 v9, v9, v11
	s_set_vgpr_msb 5                        ;  msbs: dst=0 src0=1 src1=1 src2=0
	v_mul_f32_e32 v11, v4 /*v260*/, v9 /*v265*/
	s_delay_alu instid0(VALU_DEP_1) | instskip(SKIP_1) | instid1(VALU_DEP_1)
	v_fmac_f32_e32 v11, v5 /*v261*/, v8 /*v264*/
	;; [unrolled: 6-line block ×4, first 2 shown]
	s_set_vgpr_msb 64                       ;  msbs: dst=1 src0=0 src1=0 src2=0
	v_add_f32_e32 v43 /*v299*/, v9, v11
	s_set_vgpr_msb 0                        ;  msbs: dst=0 src0=0 src1=0 src2=0
	v_dual_mul_f32 v9, v131, v147 :: v_dual_mul_f32 v11, v133, v149
	s_delay_alu instid0(VALU_DEP_1) | instskip(NEXT) | instid1(VALU_DEP_1)
	v_dual_fma_f32 v9, v130, v146, -v9 :: v_dual_fma_f32 v11, v132, v148, -v11
	v_add_f32_e32 v9, 0, v9
	s_delay_alu instid0(VALU_DEP_1) | instskip(SKIP_1) | instid1(VALU_DEP_1)
	v_add_f32_e32 v9, v9, v11
	v_mul_f32_e32 v11, v135, v151
	v_fma_f32 v11, v134, v150, -v11
	s_delay_alu instid0(VALU_DEP_1) | instskip(SKIP_1) | instid1(VALU_DEP_1)
	v_add_f32_e32 v9, v9, v11
	v_mul_f32_e32 v11, v137, v153
	v_fma_f32 v11, v136, v152, -v11
	;; [unrolled: 4-line block ×6, first 2 shown]
	ds_load_b128 v[130:133], v7 offset:960
	ds_load_b128 v[134:137], v7 offset:976
	;; [unrolled: 1-line block ×4, first 2 shown]
	v_add_f32_e32 v9, v9, v11
	v_mul_f32_e32 v11, v163, v167
	s_delay_alu instid0(VALU_DEP_1) | instskip(NEXT) | instid1(VALU_DEP_1)
	v_fma_f32 v11, v162, v166, -v11
	v_add_f32_e32 v9, v9, v11
	v_mul_f32_e32 v11, v165, v169
	s_wait_loadcnt_dscnt 0x303
	s_set_vgpr_msb 4                        ;  msbs: dst=0 src0=0 src1=1 src2=0
	v_pk_mul_f32 v[148:149], v[130:131], v[26:27] /*v[282:283]*/ op_sel:[1,1] op_sel_hi:[0,1]
	s_set_vgpr_msb 0                        ;  msbs: dst=0 src0=0 src1=0 src2=0
	v_fma_f32 v11, v164, v168, -v11
	s_set_vgpr_msb 4                        ;  msbs: dst=0 src0=0 src1=1 src2=0
	s_delay_alu instid0(VALU_DEP_2)
	v_pk_fma_f32 v[150:151], v[130:131], v[26:27] /*v[282:283]*/, v[148:149] neg_lo:[0,0,1] neg_hi:[0,0,1]
	v_pk_fma_f32 v[130:131], v[130:131], v[26:27] /*v[282:283]*/, v[148:149] op_sel_hi:[1,0,1]
	s_set_vgpr_msb 1                        ;  msbs: dst=0 src0=1 src1=0 src2=0
	v_mov_b32_e32 v148, v29 /*v285*/
	s_set_vgpr_msb 0                        ;  msbs: dst=0 src0=0 src1=0 src2=0
	v_add_f32_e32 v9, v9, v11
	v_mul_f32_e32 v11, v171, v175
	s_delay_alu instid0(VALU_DEP_1) | instskip(NEXT) | instid1(VALU_DEP_1)
	v_dual_mov_b32 v151, v131 :: v_dual_fma_f32 v11, v170, v174, -v11
	v_add_f32_e32 v9, v9, v11
	v_mul_f32_e32 v11, v173, v177
	s_delay_alu instid0(VALU_DEP_1) | instskip(NEXT) | instid1(VALU_DEP_1)
	v_fma_f32 v11, v172, v176, -v11
	v_add_f32_e32 v9, v9, v11
	v_mul_f32_e32 v11, v179, v183
	s_delay_alu instid0(VALU_DEP_1) | instskip(NEXT) | instid1(VALU_DEP_1)
	v_fma_f32 v11, v178, v182, -v11
	;; [unrolled: 4-line block ×20, first 2 shown]
	v_add_f32_e32 v9, v9, v11
	s_set_vgpr_msb 4                        ;  msbs: dst=0 src0=0 src1=1 src2=0
	v_mul_f32_e32 v11, v253, v1 /*v257*/
	s_delay_alu instid0(VALU_DEP_1) | instskip(SKIP_1) | instid1(VALU_DEP_1)
	v_fma_f32 v11, v252, v0 /*v256*/, -v11
	s_set_vgpr_msb 0                        ;  msbs: dst=0 src0=0 src1=0 src2=0
	v_add_f32_e32 v9, v9, v11
	s_set_vgpr_msb 5                        ;  msbs: dst=0 src0=1 src1=1 src2=0
	v_mul_f32_e32 v11, v3 /*v259*/, v7 /*v263*/
	s_delay_alu instid0(VALU_DEP_1) | instskip(SKIP_1) | instid1(VALU_DEP_1)
	v_fma_f32 v11, v2 /*v258*/, v6 /*v262*/, -v11
	s_set_vgpr_msb 0                        ;  msbs: dst=0 src0=0 src1=0 src2=0
	v_add_f32_e32 v9, v9, v11
	s_set_vgpr_msb 5                        ;  msbs: dst=0 src0=1 src1=1 src2=0
	v_mul_f32_e32 v11, v5 /*v261*/, v9 /*v265*/
	s_delay_alu instid0(VALU_DEP_1) | instskip(SKIP_1) | instid1(VALU_DEP_1)
	v_fma_f32 v11, v4 /*v260*/, v8 /*v264*/, -v11
	;; [unrolled: 6-line block ×4, first 2 shown]
	s_set_vgpr_msb 64                       ;  msbs: dst=1 src0=0 src1=0 src2=0
	v_add_f32_e32 v42 /*v298*/, v9, v11
	s_set_vgpr_msb 5                        ;  msbs: dst=0 src0=1 src1=1 src2=0
	v_mul_f32_e32 v9, v19 /*v275*/, v23 /*v279*/
	s_set_vgpr_msb 0x45                     ;  msbs: dst=1 src0=1 src1=1 src2=0
	s_delay_alu instid0(VALU_DEP_1) | instskip(SKIP_3) | instid1(VALU_DEP_1)
	v_fma_f32 v44 /*v300*/, v18 /*v274*/, v22 /*v278*/, -v9
	s_set_vgpr_msb 5                        ;  msbs: dst=0 src0=1 src1=1 src2=0
	v_mul_f32_e32 v9, v21 /*v277*/, v25 /*v281*/
	s_set_vgpr_msb 0x45                     ;  msbs: dst=1 src0=1 src1=1 src2=0
	v_fma_f32 v46 /*v302*/, v20 /*v276*/, v24 /*v280*/, -v9
	s_set_vgpr_msb 5                        ;  msbs: dst=0 src0=1 src1=1 src2=0
	v_pk_add_f32 v[146:147], v[42:43] /*v[298:299]*/, v[44:45] /*v[300:301]*/
	s_set_vgpr_msb 4                        ;  msbs: dst=0 src0=0 src1=1 src2=0
	s_delay_alu instid0(VALU_DEP_1) | instskip(SKIP_1) | instid1(VALU_DEP_1)
	v_pk_add_f32 v[146:147], v[146:147], v[46:47] /*v[302:303]*/
	s_set_vgpr_msb 0                        ;  msbs: dst=0 src0=0 src1=0 src2=0
	v_pk_add_f32 v[130:131], v[146:147], v[150:151]
	v_dual_mov_b32 v146, v133 :: v_dual_mov_b32 v147, v132
	s_delay_alu instid0(VALU_DEP_1) | instskip(SKIP_1) | instid1(VALU_DEP_1)
	v_pk_mul_f32 v[146:147], v[146:147], v[148:149] op_sel_hi:[1,0]
	s_set_vgpr_msb 4                        ;  msbs: dst=0 src0=0 src1=1 src2=0
	v_pk_fma_f32 v[148:149], v[132:133], v[28:29] /*v[284:285]*/, v[146:147] neg_lo:[0,0,1] neg_hi:[0,0,1]
	v_pk_fma_f32 v[132:133], v[132:133], v[28:29] /*v[284:285]*/, v[146:147] op_sel_hi:[1,0,1]
	s_delay_alu instid0(VALU_DEP_1) | instskip(SKIP_3) | instid1(VALU_DEP_2)
	v_mov_b32_e32 v149, v133
	s_wait_loadcnt_dscnt 0x202
	v_pk_mul_f32 v[132:133], v[134:135], v[30:31] /*v[286:287]*/ op_sel:[1,1] op_sel_hi:[0,1]
	s_set_vgpr_msb 0                        ;  msbs: dst=0 src0=0 src1=0 src2=0
	v_pk_add_f32 v[130:131], v[130:131], v[148:149]
	s_set_vgpr_msb 4                        ;  msbs: dst=0 src0=0 src1=1 src2=0
	s_delay_alu instid0(VALU_DEP_2)
	v_pk_fma_f32 v[146:147], v[134:135], v[30:31] /*v[286:287]*/, v[132:133] neg_lo:[0,0,1] neg_hi:[0,0,1]
	v_pk_fma_f32 v[132:133], v[134:135], v[30:31] /*v[286:287]*/, v[132:133] op_sel_hi:[1,0,1]
	v_mov_b32_e32 v132, v137
	s_set_vgpr_msb 1                        ;  msbs: dst=0 src0=1 src1=0 src2=0
	v_mov_b32_e32 v134, v33 /*v289*/
	s_set_vgpr_msb 0                        ;  msbs: dst=0 src0=0 src1=0 src2=0
	v_dual_mov_b32 v147, v133 :: v_dual_mov_b32 v133, v136
	s_delay_alu instid0(VALU_DEP_1) | instskip(NEXT) | instid1(VALU_DEP_2)
	v_pk_add_f32 v[130:131], v[130:131], v[146:147]
	v_pk_mul_f32 v[132:133], v[132:133], v[134:135] op_sel_hi:[1,0]
	s_set_vgpr_msb 4                        ;  msbs: dst=0 src0=0 src1=1 src2=0
	s_delay_alu instid0(VALU_DEP_1) | instskip(SKIP_1) | instid1(VALU_DEP_1)
	v_pk_fma_f32 v[134:135], v[136:137], v[32:33] /*v[288:289]*/, v[132:133] neg_lo:[0,0,1] neg_hi:[0,0,1]
	v_pk_fma_f32 v[132:133], v[136:137], v[32:33] /*v[288:289]*/, v[132:133] op_sel_hi:[1,0,1]
	v_mov_b32_e32 v135, v133
	s_wait_loadcnt_dscnt 0x101
	v_pk_mul_f32 v[132:133], v[138:139], v[34:35] /*v[290:291]*/ op_sel:[1,1] op_sel_hi:[0,1]
	s_set_vgpr_msb 0                        ;  msbs: dst=0 src0=0 src1=0 src2=0
	s_delay_alu instid0(VALU_DEP_2) | instskip(SKIP_1) | instid1(VALU_DEP_2)
	v_pk_add_f32 v[130:131], v[130:131], v[134:135]
	s_set_vgpr_msb 4                        ;  msbs: dst=0 src0=0 src1=1 src2=0
	v_pk_fma_f32 v[134:135], v[138:139], v[34:35] /*v[290:291]*/, v[132:133] neg_lo:[0,0,1] neg_hi:[0,0,1]
	v_pk_fma_f32 v[132:133], v[138:139], v[34:35] /*v[290:291]*/, v[132:133] op_sel_hi:[1,0,1]
	s_delay_alu instid0(VALU_DEP_1) | instskip(SKIP_2) | instid1(VALU_DEP_2)
	v_dual_mov_b32 v132, v141 :: v_dual_mov_b32 v135, v133
	v_mov_b32_e32 v133, v140
	s_set_vgpr_msb 0                        ;  msbs: dst=0 src0=0 src1=0 src2=0
	v_pk_add_f32 v[130:131], v[130:131], v[134:135]
	s_set_vgpr_msb 1                        ;  msbs: dst=0 src0=1 src1=0 src2=0
	v_mov_b32_e32 v134, v37 /*v293*/
	s_set_vgpr_msb 0                        ;  msbs: dst=0 src0=0 src1=0 src2=0
	s_delay_alu instid0(VALU_DEP_1) | instskip(SKIP_1) | instid1(VALU_DEP_1)
	v_pk_mul_f32 v[132:133], v[132:133], v[134:135] op_sel_hi:[1,0]
	s_set_vgpr_msb 4                        ;  msbs: dst=0 src0=0 src1=1 src2=0
	v_pk_fma_f32 v[134:135], v[140:141], v[36:37] /*v[292:293]*/, v[132:133] neg_lo:[0,0,1] neg_hi:[0,0,1]
	v_pk_fma_f32 v[132:133], v[140:141], v[36:37] /*v[292:293]*/, v[132:133] op_sel_hi:[1,0,1]
	s_delay_alu instid0(VALU_DEP_1) | instskip(SKIP_3) | instid1(VALU_DEP_2)
	v_mov_b32_e32 v135, v133
	s_wait_loadcnt_dscnt 0x0
	v_pk_mul_f32 v[132:133], v[142:143], v[38:39] /*v[294:295]*/ op_sel:[1,1] op_sel_hi:[0,1]
	s_set_vgpr_msb 0                        ;  msbs: dst=0 src0=0 src1=0 src2=0
	v_pk_add_f32 v[130:131], v[130:131], v[134:135]
	s_set_vgpr_msb 4                        ;  msbs: dst=0 src0=0 src1=1 src2=0
	s_delay_alu instid0(VALU_DEP_2) | instskip(SKIP_1) | instid1(VALU_DEP_1)
	v_pk_fma_f32 v[134:135], v[142:143], v[38:39] /*v[294:295]*/, v[132:133] neg_lo:[0,0,1] neg_hi:[0,0,1]
	v_pk_fma_f32 v[132:133], v[142:143], v[38:39] /*v[294:295]*/, v[132:133] op_sel_hi:[1,0,1]
	v_dual_mov_b32 v132, v145 :: v_dual_mov_b32 v135, v133
	v_mov_b32_e32 v133, v144
	s_set_vgpr_msb 0                        ;  msbs: dst=0 src0=0 src1=0 src2=0
	s_delay_alu instid0(VALU_DEP_2) | instskip(SKIP_3) | instid1(VALU_DEP_1)
	v_pk_add_f32 v[130:131], v[130:131], v[134:135]
	s_set_vgpr_msb 1                        ;  msbs: dst=0 src0=1 src1=0 src2=0
	v_mov_b32_e32 v134, v41 /*v297*/
	s_set_vgpr_msb 0                        ;  msbs: dst=0 src0=0 src1=0 src2=0
	v_pk_mul_f32 v[132:133], v[132:133], v[134:135] op_sel_hi:[1,0]
	s_set_vgpr_msb 4                        ;  msbs: dst=0 src0=0 src1=1 src2=0
	s_delay_alu instid0(VALU_DEP_1) | instskip(SKIP_1) | instid1(VALU_DEP_1)
	v_pk_fma_f32 v[134:135], v[144:145], v[40:41] /*v[296:297]*/, v[132:133] neg_lo:[0,0,1] neg_hi:[0,0,1]
	v_pk_fma_f32 v[132:133], v[144:145], v[40:41] /*v[296:297]*/, v[132:133] op_sel_hi:[1,0,1]
	v_mov_b32_e32 v135, v133
	scratch_load_b64 v[132:133], off, off offset:136
	s_set_vgpr_msb 0                        ;  msbs: dst=0 src0=0 src1=0 src2=0
	v_pk_add_f32 v[130:131], v[130:131], v[134:135]
	s_wait_loadcnt 0x0
	s_delay_alu instid0(VALU_DEP_1)
	v_pk_add_f32 v[130:131], v[132:133], v[130:131] neg_lo:[0,1] neg_hi:[0,1]
	scratch_store_b64 off, v[130:131], off offset:136
	s_wait_xcnt 0x0
	v_cmpx_lt_u32_e32 16, v0
	s_cbranch_execz .LBB63_365
; %bb.364:
	scratch_load_b64 v[130:131], off, off offset:128
	v_mov_b64_e32 v[132:133], 0
	scratch_store_b64 off, v[132:133], off offset:128
	s_wait_loadcnt 0x0
	ds_store_b64 v1, v[130:131]
.LBB63_365:
	s_wait_xcnt 0x0
	s_or_b32 exec_lo, exec_lo, s0
	s_wait_storecnt_dscnt 0x0
	s_barrier_signal -1
	s_barrier_wait -1
	s_clause 0xf
	scratch_load_b128 v[134:137], off, off offset:136
	scratch_load_b128 v[142:145], off, off offset:152
	;; [unrolled: 1-line block ×16, first 2 shown]
	v_mov_b32_e32 v7, 0
	s_set_vgpr_msb 64                       ;  msbs: dst=1 src0=0 src1=0 src2=0
	s_clause 0x3
	scratch_load_b128 v[6:9] /*v[262:265]*/, off, off offset:392
	scratch_load_b128 v[14:17] /*v[270:273]*/, off, off offset:408
	scratch_load_b128 v[22:25] /*v[278:281]*/, off, off offset:424
	scratch_load_b128 v[30:33] /*v[286:289]*/, off, off offset:440
	s_set_vgpr_msb 0                        ;  msbs: dst=0 src0=0 src1=0 src2=0
	ds_load_2addr_b64 v[130:133], v7 offset0:81 offset1:82
	ds_load_2addr_b64 v[138:141], v7 offset0:83 offset1:84
	s_mov_b32 s0, exec_lo
	s_wait_loadcnt_dscnt 0x1301
	v_dual_mul_f32 v9, v130, v135 :: v_dual_mul_f32 v11, v132, v137
	ds_load_2addr_b64 v[146:149], v7 offset0:85 offset1:86
	ds_load_2addr_b64 v[154:157], v7 offset0:87 offset1:88
	;; [unrolled: 1-line block ×4, first 2 shown]
	v_dual_fmac_f32 v9, v131, v134 :: v_dual_fmac_f32 v11, v133, v136
	ds_load_2addr_b64 v[178:181], v7 offset0:93 offset1:94
	ds_load_2addr_b64 v[186:189], v7 offset0:95 offset1:96
	;; [unrolled: 1-line block ×4, first 2 shown]
	v_add_f32_e32 v9, 0, v9
	ds_load_2addr_b64 v[210:213], v7 offset0:101 offset1:102
	ds_load_2addr_b64 v[218:221], v7 offset0:103 offset1:104
	;; [unrolled: 1-line block ×4, first 2 shown]
	v_add_f32_e32 v9, v9, v11
	s_wait_loadcnt_dscnt 0x120c
	v_mul_f32_e32 v11, v138, v143
	ds_load_2addr_b64 v[242:245], v7 offset0:109 offset1:110
	ds_load_2addr_b64 v[250:253], v7 offset0:111 offset1:112
	s_set_vgpr_msb 64                       ;  msbs: dst=1 src0=0 src1=0 src2=0
	ds_load_2addr_b64 v[2:5] /*v[258:261]*/, v7 offset0:113 offset1:114
	ds_load_2addr_b64 v[10:13] /*v[266:269]*/, v7 offset0:115 offset1:116
	s_set_vgpr_msb 0                        ;  msbs: dst=0 src0=0 src1=0 src2=0
	v_fmac_f32_e32 v11, v139, v142
	s_set_vgpr_msb 64                       ;  msbs: dst=1 src0=0 src1=0 src2=0
	ds_load_2addr_b64 v[18:21] /*v[274:277]*/, v7 offset0:117 offset1:118
	ds_load_2addr_b64 v[26:29] /*v[282:285]*/, v7 offset0:119 offset1:120
	s_clause 0x3
	scratch_load_b128 v[34:37] /*v[290:293]*/, off, off offset:456
	scratch_load_b128 v[38:41] /*v[294:297]*/, off, off offset:472
	;; [unrolled: 1-line block ×3, first 2 shown]
	scratch_load_b64 v[52:53] /*v[308:309]*/, off, off offset:504
	s_set_vgpr_msb 0                        ;  msbs: dst=0 src0=0 src1=0 src2=0
	v_dual_add_f32 v9, v9, v11 :: v_dual_mul_f32 v11, v140, v145
	s_delay_alu instid0(VALU_DEP_1) | instskip(NEXT) | instid1(VALU_DEP_1)
	v_fmac_f32_e32 v11, v141, v144
	v_add_f32_e32 v9, v9, v11
	s_wait_loadcnt_dscnt 0x1511
	v_mul_f32_e32 v11, v146, v151
	s_wait_loadcnt_dscnt 0x400
	s_set_vgpr_msb 0x45                     ;  msbs: dst=1 src0=1 src1=1 src2=0
	v_dual_mul_f32 v49 /*v305*/, v20 /*v276*/, v25 /*v281*/ :: v_dual_mul_f32 v51 /*v307*/, v26 /*v282*/, v31 /*v287*/
	s_set_vgpr_msb 0                        ;  msbs: dst=0 src0=0 src1=0 src2=0
	v_fmac_f32_e32 v11, v147, v150
	s_set_vgpr_msb 0x45                     ;  msbs: dst=1 src0=1 src1=1 src2=0
	s_delay_alu instid0(VALU_DEP_2) | instskip(SKIP_1) | instid1(VALU_DEP_2)
	v_dual_fmac_f32 v49 /*v305*/, v21 /*v277*/, v24 /*v280*/ :: v_dual_fmac_f32 v51 /*v307*/, v27 /*v283*/, v30 /*v286*/
	s_set_vgpr_msb 0                        ;  msbs: dst=0 src0=0 src1=0 src2=0
	v_dual_add_f32 v9, v9, v11 :: v_dual_mul_f32 v11, v148, v153
	s_delay_alu instid0(VALU_DEP_1) | instskip(NEXT) | instid1(VALU_DEP_1)
	v_fmac_f32_e32 v11, v149, v152
	v_add_f32_e32 v9, v9, v11
	v_mul_f32_e32 v11, v154, v159
	s_delay_alu instid0(VALU_DEP_1) | instskip(NEXT) | instid1(VALU_DEP_1)
	v_fmac_f32_e32 v11, v155, v158
	v_dual_add_f32 v9, v9, v11 :: v_dual_mul_f32 v11, v156, v161
	s_delay_alu instid0(VALU_DEP_1) | instskip(NEXT) | instid1(VALU_DEP_1)
	v_fmac_f32_e32 v11, v157, v160
	v_add_f32_e32 v9, v9, v11
	v_mul_f32_e32 v11, v162, v167
	s_delay_alu instid0(VALU_DEP_1) | instskip(NEXT) | instid1(VALU_DEP_1)
	v_fmac_f32_e32 v11, v163, v166
	;; [unrolled: 7-line block ×13, first 2 shown]
	v_add_f32_e32 v9, v9, v11
	s_set_vgpr_msb 4                        ;  msbs: dst=0 src0=0 src1=1 src2=0
	v_mul_f32_e32 v11, v252, v1 /*v257*/
	s_delay_alu instid0(VALU_DEP_1) | instskip(SKIP_1) | instid1(VALU_DEP_1)
	v_fmac_f32_e32 v11, v253, v0 /*v256*/
	s_set_vgpr_msb 0                        ;  msbs: dst=0 src0=0 src1=0 src2=0
	v_add_f32_e32 v9, v9, v11
	s_set_vgpr_msb 5                        ;  msbs: dst=0 src0=1 src1=1 src2=0
	v_mul_f32_e32 v11, v2 /*v258*/, v7 /*v263*/
	s_delay_alu instid0(VALU_DEP_1) | instskip(SKIP_1) | instid1(VALU_DEP_1)
	v_fmac_f32_e32 v11, v3 /*v259*/, v6 /*v262*/
	s_set_vgpr_msb 0                        ;  msbs: dst=0 src0=0 src1=0 src2=0
	v_add_f32_e32 v9, v9, v11
	s_set_vgpr_msb 5                        ;  msbs: dst=0 src0=1 src1=1 src2=0
	v_mul_f32_e32 v11, v4 /*v260*/, v9 /*v265*/
	s_delay_alu instid0(VALU_DEP_1) | instskip(SKIP_1) | instid1(VALU_DEP_1)
	v_fmac_f32_e32 v11, v5 /*v261*/, v8 /*v264*/
	s_set_vgpr_msb 0                        ;  msbs: dst=0 src0=0 src1=0 src2=0
	v_add_f32_e32 v9, v9, v11
	s_set_vgpr_msb 5                        ;  msbs: dst=0 src0=1 src1=1 src2=0
	v_mul_f32_e32 v11, v10 /*v266*/, v15 /*v271*/
	s_delay_alu instid0(VALU_DEP_1) | instskip(SKIP_1) | instid1(VALU_DEP_1)
	v_fmac_f32_e32 v11, v11 /*v267*/, v14 /*v270*/
	s_set_vgpr_msb 0                        ;  msbs: dst=0 src0=0 src1=0 src2=0
	v_add_f32_e32 v9, v9, v11
	s_set_vgpr_msb 5                        ;  msbs: dst=0 src0=1 src1=1 src2=0
	v_mul_f32_e32 v11, v12 /*v268*/, v17 /*v273*/
	s_delay_alu instid0(VALU_DEP_1) | instskip(SKIP_1) | instid1(VALU_DEP_1)
	v_fmac_f32_e32 v11, v13 /*v269*/, v16 /*v272*/
	s_set_vgpr_msb 0                        ;  msbs: dst=0 src0=0 src1=0 src2=0
	v_add_f32_e32 v9, v9, v11
	s_set_vgpr_msb 5                        ;  msbs: dst=0 src0=1 src1=1 src2=0
	v_mul_f32_e32 v11, v18 /*v274*/, v23 /*v279*/
	s_delay_alu instid0(VALU_DEP_1) | instskip(SKIP_1) | instid1(VALU_DEP_1)
	v_fmac_f32_e32 v11, v19 /*v275*/, v22 /*v278*/
	s_set_vgpr_msb 64                       ;  msbs: dst=1 src0=0 src1=0 src2=0
	v_add_f32_e32 v47 /*v303*/, v9, v11
	s_set_vgpr_msb 0                        ;  msbs: dst=0 src0=0 src1=0 src2=0
	v_dual_mul_f32 v9, v131, v135 :: v_dual_mul_f32 v11, v133, v137
	s_delay_alu instid0(VALU_DEP_1) | instskip(NEXT) | instid1(VALU_DEP_1)
	v_dual_fma_f32 v9, v130, v134, -v9 :: v_dual_fma_f32 v11, v132, v136, -v11
	v_add_f32_e32 v9, 0, v9
	s_delay_alu instid0(VALU_DEP_1) | instskip(SKIP_1) | instid1(VALU_DEP_1)
	v_add_f32_e32 v9, v9, v11
	v_mul_f32_e32 v11, v139, v143
	v_fma_f32 v11, v138, v142, -v11
	s_delay_alu instid0(VALU_DEP_1) | instskip(SKIP_1) | instid1(VALU_DEP_1)
	v_add_f32_e32 v9, v9, v11
	v_mul_f32_e32 v11, v141, v145
	v_fma_f32 v11, v140, v144, -v11
	ds_load_2addr_b64 v[130:133], v7 offset0:121 offset1:122
	ds_load_2addr_b64 v[134:137], v7 offset0:123 offset1:124
	;; [unrolled: 1-line block ×3, first 2 shown]
	ds_load_b64 v[142:143], v7 offset:1016
	v_add_f32_e32 v9, v9, v11
	v_mul_f32_e32 v11, v147, v151
	s_set_vgpr_msb 1                        ;  msbs: dst=0 src0=1 src1=0 src2=0
	v_mov_b32_e32 v147, v28 /*v284*/
	s_set_vgpr_msb 0                        ;  msbs: dst=0 src0=0 src1=0 src2=0
	s_delay_alu instid0(VALU_DEP_2) | instskip(SKIP_3) | instid1(VALU_DEP_2)
	v_fma_f32 v11, v146, v150, -v11
	s_set_vgpr_msb 1                        ;  msbs: dst=0 src0=1 src1=0 src2=0
	v_mov_b32_e32 v146, v29 /*v285*/
	s_set_vgpr_msb 0                        ;  msbs: dst=0 src0=0 src1=0 src2=0
	v_add_f32_e32 v9, v9, v11
	v_mul_f32_e32 v11, v149, v153
	s_delay_alu instid0(VALU_DEP_1) | instskip(SKIP_3) | instid1(VALU_DEP_2)
	v_fma_f32 v11, v148, v152, -v11
	s_set_vgpr_msb 1                        ;  msbs: dst=0 src0=1 src1=0 src2=0
	v_mov_b32_e32 v148, v33 /*v289*/
	s_set_vgpr_msb 0                        ;  msbs: dst=0 src0=0 src1=0 src2=0
	v_add_f32_e32 v9, v9, v11
	v_mul_f32_e32 v11, v155, v159
	s_delay_alu instid0(VALU_DEP_3) | instskip(NEXT) | instid1(VALU_DEP_2)
	v_pk_mul_f32 v[146:147], v[146:147], v[148:149] op_sel_hi:[1,0]
	v_fma_f32 v11, v154, v158, -v11
	s_set_vgpr_msb 5                        ;  msbs: dst=0 src0=1 src1=1 src2=0
	s_delay_alu instid0(VALU_DEP_2) | instskip(SKIP_3) | instid1(VALU_DEP_2)
	v_pk_fma_f32 v[148:149], v[28:29] /*v[284:285]*/, v[32:33] /*v[288:289]*/, v[146:147] neg_lo:[0,0,1] neg_hi:[0,0,1]
	v_pk_fma_f32 v[146:147], v[28:29] /*v[284:285]*/, v[32:33] /*v[288:289]*/, v[146:147] op_sel_hi:[1,0,1]
	s_set_vgpr_msb 0                        ;  msbs: dst=0 src0=0 src1=0 src2=0
	v_add_f32_e32 v9, v9, v11
	v_dual_mul_f32 v11, v157, v161 :: v_dual_mov_b32 v149, v147
	s_wait_loadcnt_dscnt 0x303
	s_set_vgpr_msb 4                        ;  msbs: dst=0 src0=0 src1=1 src2=0
	v_pk_mul_f32 v[146:147], v[130:131], v[34:35] /*v[290:291]*/ op_sel:[1,1] op_sel_hi:[0,1]
	s_set_vgpr_msb 0                        ;  msbs: dst=0 src0=0 src1=0 src2=0
	v_fma_f32 v11, v156, v160, -v11
	s_delay_alu instid0(VALU_DEP_1) | instskip(SKIP_1) | instid1(VALU_DEP_1)
	v_add_f32_e32 v9, v9, v11
	v_mul_f32_e32 v11, v163, v167
	v_fma_f32 v11, v162, v166, -v11
	s_delay_alu instid0(VALU_DEP_1) | instskip(SKIP_1) | instid1(VALU_DEP_1)
	v_add_f32_e32 v9, v9, v11
	v_mul_f32_e32 v11, v165, v169
	;; [unrolled: 4-line block ×23, first 2 shown]
	v_fma_f32 v11, v250, v254, -v11
	s_delay_alu instid0(VALU_DEP_1) | instskip(SKIP_2) | instid1(VALU_DEP_1)
	v_add_f32_e32 v9, v9, v11
	s_set_vgpr_msb 4                        ;  msbs: dst=0 src0=0 src1=1 src2=0
	v_mul_f32_e32 v11, v253, v1 /*v257*/
	v_fma_f32 v11, v252, v0 /*v256*/, -v11
	s_set_vgpr_msb 0                        ;  msbs: dst=0 src0=0 src1=0 src2=0
	s_delay_alu instid0(VALU_DEP_1) | instskip(SKIP_2) | instid1(VALU_DEP_1)
	v_add_f32_e32 v9, v9, v11
	s_set_vgpr_msb 5                        ;  msbs: dst=0 src0=1 src1=1 src2=0
	v_mul_f32_e32 v11, v3 /*v259*/, v7 /*v263*/
	v_fma_f32 v11, v2 /*v258*/, v6 /*v262*/, -v11
	s_set_vgpr_msb 0                        ;  msbs: dst=0 src0=0 src1=0 src2=0
	s_delay_alu instid0(VALU_DEP_1) | instskip(SKIP_2) | instid1(VALU_DEP_1)
	v_add_f32_e32 v9, v9, v11
	s_set_vgpr_msb 5                        ;  msbs: dst=0 src0=1 src1=1 src2=0
	v_mul_f32_e32 v11, v5 /*v261*/, v9 /*v265*/
	v_fma_f32 v11, v4 /*v260*/, v8 /*v264*/, -v11
	;; [unrolled: 6-line block ×5, first 2 shown]
	s_set_vgpr_msb 64                       ;  msbs: dst=1 src0=0 src1=0 src2=0
	s_delay_alu instid0(VALU_DEP_1) | instskip(SKIP_3) | instid1(VALU_DEP_1)
	v_add_f32_e32 v46 /*v302*/, v9, v11
	s_set_vgpr_msb 5                        ;  msbs: dst=0 src0=1 src1=1 src2=0
	v_mul_f32_e32 v9, v21 /*v277*/, v25 /*v281*/
	s_set_vgpr_msb 0x45                     ;  msbs: dst=1 src0=1 src1=1 src2=0
	v_fma_f32 v48 /*v304*/, v20 /*v276*/, v24 /*v280*/, -v9
	s_set_vgpr_msb 5                        ;  msbs: dst=0 src0=1 src1=1 src2=0
	v_mul_f32_e32 v9, v27 /*v283*/, v31 /*v287*/
	s_set_vgpr_msb 0x45                     ;  msbs: dst=1 src0=1 src1=1 src2=0
	s_delay_alu instid0(VALU_DEP_1) | instskip(SKIP_3) | instid1(VALU_DEP_1)
	v_fma_f32 v50 /*v306*/, v26 /*v282*/, v30 /*v286*/, -v9
	s_set_vgpr_msb 5                        ;  msbs: dst=0 src0=1 src1=1 src2=0
	v_pk_add_f32 v[144:145], v[46:47] /*v[302:303]*/, v[48:49] /*v[304:305]*/
	s_set_vgpr_msb 4                        ;  msbs: dst=0 src0=0 src1=1 src2=0
	v_pk_add_f32 v[144:145], v[144:145], v[50:51] /*v[306:307]*/
	s_set_vgpr_msb 0                        ;  msbs: dst=0 src0=0 src1=0 src2=0
	s_delay_alu instid0(VALU_DEP_1)
	v_pk_add_f32 v[144:145], v[144:145], v[148:149]
	s_set_vgpr_msb 4                        ;  msbs: dst=0 src0=0 src1=1 src2=0
	v_pk_fma_f32 v[148:149], v[130:131], v[34:35] /*v[290:291]*/, v[146:147] neg_lo:[0,0,1] neg_hi:[0,0,1]
	v_pk_fma_f32 v[130:131], v[130:131], v[34:35] /*v[290:291]*/, v[146:147] op_sel_hi:[1,0,1]
	s_set_vgpr_msb 1                        ;  msbs: dst=0 src0=1 src1=0 src2=0
	v_mov_b32_e32 v146, v37 /*v293*/
	s_set_vgpr_msb 0                        ;  msbs: dst=0 src0=0 src1=0 src2=0
	s_delay_alu instid0(VALU_DEP_2) | instskip(NEXT) | instid1(VALU_DEP_1)
	v_mov_b32_e32 v149, v131
	v_pk_add_f32 v[130:131], v[144:145], v[148:149]
	v_dual_mov_b32 v144, v133 :: v_dual_mov_b32 v145, v132
	s_delay_alu instid0(VALU_DEP_1) | instskip(SKIP_1) | instid1(VALU_DEP_1)
	v_pk_mul_f32 v[144:145], v[144:145], v[146:147] op_sel_hi:[1,0]
	s_set_vgpr_msb 4                        ;  msbs: dst=0 src0=0 src1=1 src2=0
	v_pk_fma_f32 v[146:147], v[132:133], v[36:37] /*v[292:293]*/, v[144:145] neg_lo:[0,0,1] neg_hi:[0,0,1]
	v_pk_fma_f32 v[132:133], v[132:133], v[36:37] /*v[292:293]*/, v[144:145] op_sel_hi:[1,0,1]
	s_delay_alu instid0(VALU_DEP_1) | instskip(SKIP_3) | instid1(VALU_DEP_2)
	v_mov_b32_e32 v147, v133
	s_wait_loadcnt_dscnt 0x202
	v_pk_mul_f32 v[132:133], v[134:135], v[38:39] /*v[294:295]*/ op_sel:[1,1] op_sel_hi:[0,1]
	s_set_vgpr_msb 0                        ;  msbs: dst=0 src0=0 src1=0 src2=0
	v_pk_add_f32 v[130:131], v[130:131], v[146:147]
	s_set_vgpr_msb 4                        ;  msbs: dst=0 src0=0 src1=1 src2=0
	s_delay_alu instid0(VALU_DEP_2)
	v_pk_fma_f32 v[144:145], v[134:135], v[38:39] /*v[294:295]*/, v[132:133] neg_lo:[0,0,1] neg_hi:[0,0,1]
	v_pk_fma_f32 v[132:133], v[134:135], v[38:39] /*v[294:295]*/, v[132:133] op_sel_hi:[1,0,1]
	v_mov_b32_e32 v132, v137
	s_set_vgpr_msb 1                        ;  msbs: dst=0 src0=1 src1=0 src2=0
	v_mov_b32_e32 v134, v41 /*v297*/
	s_set_vgpr_msb 0                        ;  msbs: dst=0 src0=0 src1=0 src2=0
	v_dual_mov_b32 v145, v133 :: v_dual_mov_b32 v133, v136
	s_delay_alu instid0(VALU_DEP_1) | instskip(NEXT) | instid1(VALU_DEP_2)
	v_pk_add_f32 v[130:131], v[130:131], v[144:145]
	v_pk_mul_f32 v[132:133], v[132:133], v[134:135] op_sel_hi:[1,0]
	s_set_vgpr_msb 4                        ;  msbs: dst=0 src0=0 src1=1 src2=0
	s_delay_alu instid0(VALU_DEP_1) | instskip(SKIP_1) | instid1(VALU_DEP_1)
	v_pk_fma_f32 v[134:135], v[136:137], v[40:41] /*v[296:297]*/, v[132:133] neg_lo:[0,0,1] neg_hi:[0,0,1]
	v_pk_fma_f32 v[132:133], v[136:137], v[40:41] /*v[296:297]*/, v[132:133] op_sel_hi:[1,0,1]
	v_mov_b32_e32 v135, v133
	s_wait_loadcnt_dscnt 0x101
	v_pk_mul_f32 v[132:133], v[138:139], v[42:43] /*v[298:299]*/ op_sel:[1,1] op_sel_hi:[0,1]
	s_set_vgpr_msb 0                        ;  msbs: dst=0 src0=0 src1=0 src2=0
	s_delay_alu instid0(VALU_DEP_2) | instskip(SKIP_1) | instid1(VALU_DEP_2)
	v_pk_add_f32 v[130:131], v[130:131], v[134:135]
	s_set_vgpr_msb 4                        ;  msbs: dst=0 src0=0 src1=1 src2=0
	v_pk_fma_f32 v[134:135], v[138:139], v[42:43] /*v[298:299]*/, v[132:133] neg_lo:[0,0,1] neg_hi:[0,0,1]
	v_pk_fma_f32 v[132:133], v[138:139], v[42:43] /*v[298:299]*/, v[132:133] op_sel_hi:[1,0,1]
	s_delay_alu instid0(VALU_DEP_1) | instskip(SKIP_2) | instid1(VALU_DEP_2)
	v_dual_mov_b32 v132, v141 :: v_dual_mov_b32 v135, v133
	v_mov_b32_e32 v133, v140
	s_set_vgpr_msb 0                        ;  msbs: dst=0 src0=0 src1=0 src2=0
	v_pk_add_f32 v[130:131], v[130:131], v[134:135]
	s_set_vgpr_msb 1                        ;  msbs: dst=0 src0=1 src1=0 src2=0
	v_mov_b32_e32 v134, v45 /*v301*/
	s_set_vgpr_msb 0                        ;  msbs: dst=0 src0=0 src1=0 src2=0
	s_delay_alu instid0(VALU_DEP_1) | instskip(SKIP_1) | instid1(VALU_DEP_1)
	v_pk_mul_f32 v[132:133], v[132:133], v[134:135] op_sel_hi:[1,0]
	s_set_vgpr_msb 4                        ;  msbs: dst=0 src0=0 src1=1 src2=0
	v_pk_fma_f32 v[134:135], v[140:141], v[44:45] /*v[300:301]*/, v[132:133] neg_lo:[0,0,1] neg_hi:[0,0,1]
	v_pk_fma_f32 v[132:133], v[140:141], v[44:45] /*v[300:301]*/, v[132:133] op_sel_hi:[1,0,1]
	s_delay_alu instid0(VALU_DEP_1) | instskip(SKIP_3) | instid1(VALU_DEP_2)
	v_mov_b32_e32 v135, v133
	s_wait_loadcnt_dscnt 0x0
	v_pk_mul_f32 v[132:133], v[142:143], v[52:53] /*v[308:309]*/ op_sel:[1,1] op_sel_hi:[0,1]
	s_set_vgpr_msb 0                        ;  msbs: dst=0 src0=0 src1=0 src2=0
	v_pk_add_f32 v[130:131], v[130:131], v[134:135]
	s_set_vgpr_msb 4                        ;  msbs: dst=0 src0=0 src1=1 src2=0
	s_delay_alu instid0(VALU_DEP_2) | instskip(SKIP_1) | instid1(VALU_DEP_1)
	v_pk_fma_f32 v[134:135], v[142:143], v[52:53] /*v[308:309]*/, v[132:133] neg_lo:[0,0,1] neg_hi:[0,0,1]
	v_pk_fma_f32 v[132:133], v[142:143], v[52:53] /*v[308:309]*/, v[132:133] op_sel_hi:[1,0,1]
	v_mov_b32_e32 v135, v133
	scratch_load_b64 v[132:133], off, off offset:128
	s_set_vgpr_msb 0                        ;  msbs: dst=0 src0=0 src1=0 src2=0
	v_pk_add_f32 v[130:131], v[130:131], v[134:135]
	s_wait_loadcnt 0x0
	s_delay_alu instid0(VALU_DEP_1)
	v_pk_add_f32 v[130:131], v[132:133], v[130:131] neg_lo:[0,1] neg_hi:[0,1]
	scratch_store_b64 off, v[130:131], off offset:128
	s_wait_xcnt 0x0
	v_cmpx_lt_u32_e32 15, v0
	s_cbranch_execz .LBB63_367
; %bb.366:
	scratch_load_b64 v[130:131], off, off offset:120
	v_mov_b64_e32 v[132:133], 0
	scratch_store_b64 off, v[132:133], off offset:120
	s_wait_loadcnt 0x0
	ds_store_b64 v1, v[130:131]
.LBB63_367:
	s_wait_xcnt 0x0
	s_or_b32 exec_lo, exec_lo, s0
	s_wait_storecnt_dscnt 0x0
	s_barrier_signal -1
	s_barrier_wait -1
	s_clause 0x17
	scratch_load_b128 v[130:133], off, off offset:128
	scratch_load_b128 v[134:137], off, off offset:144
	;; [unrolled: 1-line block ×24, first 2 shown]
	ds_load_b128 v[226:229], v7 offset:640
	ds_load_b128 v[230:233], v7 offset:656
	;; [unrolled: 1-line block ×6, first 2 shown]
	s_set_vgpr_msb 64                       ;  msbs: dst=1 src0=0 src1=0 src2=0
	scratch_load_b64 v[66:67] /*v[322:323]*/, off, off offset:120
	s_set_vgpr_msb 0                        ;  msbs: dst=0 src0=0 src1=0 src2=0
	ds_load_b128 v[250:253], v7 offset:704
	ds_load_b128 v[254:257], v7 offset:720
	s_set_vgpr_msb 64                       ;  msbs: dst=1 src0=0 src1=0 src2=0
	ds_load_b128 v[2:5] /*v[258:261]*/, v7 offset:992
	ds_load_b128 v[6:9] /*v[262:265]*/, v7 offset:1008
	ds_load_b128 v[10:13] /*v[266:269]*/, v7 offset:736
	ds_load_b128 v[14:17] /*v[270:273]*/, v7 offset:752
	ds_load_b128 v[18:21] /*v[274:277]*/, v7 offset:768
	ds_load_b128 v[22:25] /*v[278:281]*/, v7 offset:784
	ds_load_b128 v[26:29] /*v[282:285]*/, v7 offset:800
	ds_load_b128 v[30:33] /*v[286:289]*/, v7 offset:816
	ds_load_b128 v[34:37] /*v[290:293]*/, v7 offset:832
	ds_load_b128 v[38:41] /*v[294:297]*/, v7 offset:848
	ds_load_b128 v[42:45] /*v[298:301]*/, v7 offset:864
	ds_load_b128 v[46:49] /*v[302:305]*/, v7 offset:880
	ds_load_b128 v[50:53] /*v[306:309]*/, v7 offset:896
	ds_load_b128 v[54:57] /*v[310:313]*/, v7 offset:912
	ds_load_b128 v[58:61] /*v[314:317]*/, v7 offset:928
	ds_load_b128 v[62:65] /*v[318:321]*/, v7 offset:944
	s_mov_b32 s0, exec_lo
	s_wait_dscnt 0xf
	s_set_vgpr_msb 0x41                     ;  msbs: dst=1 src0=1 src1=0 src2=0
	v_dual_mov_b32 v72 /*v328*/, v5 /*v261*/ :: v_dual_mov_b32 v73 /*v329*/, v4 /*v260*/
	s_wait_dscnt 0xe
	v_dual_mov_b32 v74 /*v330*/, v9 /*v265*/ :: v_dual_mov_b32 v75 /*v331*/, v8 /*v264*/
	s_set_vgpr_msb 64                       ;  msbs: dst=1 src0=0 src1=0 src2=0
	v_dual_mov_b32 v68 /*v324*/, v245 :: v_dual_mov_b32 v69 /*v325*/, v244
	v_dual_mov_b32 v70 /*v326*/, v249 :: v_dual_mov_b32 v71 /*v327*/, v248
	s_wait_loadcnt 0x18
	s_set_vgpr_msb 0                        ;  msbs: dst=0 src0=0 src1=0 src2=0
	v_dual_mul_f32 v7, v226, v131 :: v_dual_mul_f32 v9, v228, v133
	s_wait_loadcnt 0x17
	v_dual_mul_f32 v83, v227, v131 :: v_dual_mul_f32 v89, v233, v137
	v_dual_mul_f32 v11, v230, v135 :: v_dual_mul_f32 v13, v232, v137
	s_delay_alu instid0(VALU_DEP_3)
	v_dual_fmac_f32 v7, v227, v130 :: v_dual_fmac_f32 v9, v229, v132
	s_wait_loadcnt 0x13
	v_dual_mul_f32 v27, v254, v151 :: v_dual_mul_f32 v85, v229, v133
	v_dual_mul_f32 v87, v231, v135 :: v_dual_mul_f32 v93, v237, v141
	v_dual_mul_f32 v91, v235, v139 :: v_dual_fma_f32 v83, v226, v130, -v83
	v_add_f32_e32 v7, 0, v7
	s_delay_alu instid0(VALU_DEP_4)
	v_dual_mul_f32 v95, v239, v143 :: v_dual_fma_f32 v85, v228, v132, -v85
	v_dual_fmac_f32 v11, v231, v134 :: v_dual_fmac_f32 v13, v233, v136
	s_wait_loadcnt_dscnt 0x601
	s_set_vgpr_msb 1                        ;  msbs: dst=0 src0=1 src1=0 src2=0
	v_dual_mul_f32 v81, v60 /*v316*/, v205 :: v_dual_add_f32 v83, 0, v83
	s_set_vgpr_msb 0                        ;  msbs: dst=0 src0=0 src1=0 src2=0
	v_dual_mul_f32 v97, v241, v145 :: v_dual_fma_f32 v87, v230, v134, -v87
	v_dual_add_f32 v7, v7, v9 :: v_dual_mul_f32 v15, v234, v139
	v_mul_f32_e32 v17, v236, v141
	v_dual_add_f32 v9, v83, v85 :: v_dual_fma_f32 v85, v232, v136, -v89
	s_delay_alu instid0(VALU_DEP_3) | instskip(NEXT) | instid1(VALU_DEP_4)
	v_add_f32_e32 v7, v7, v11
	v_dual_fmac_f32 v15, v235, v138 :: v_dual_mul_f32 v19, v238, v143
	s_delay_alu instid0(VALU_DEP_3) | instskip(NEXT) | instid1(VALU_DEP_3)
	v_dual_mul_f32 v21, v240, v145 :: v_dual_add_f32 v9, v9, v87
	v_dual_fma_f32 v87, v234, v138, -v91 :: v_dual_add_f32 v7, v7, v13
	v_dual_fmac_f32 v17, v237, v140 :: v_dual_mul_f32 v13, v255, v151
	s_delay_alu instid0(VALU_DEP_3) | instskip(NEXT) | instid1(VALU_DEP_3)
	v_dual_add_f32 v9, v9, v85 :: v_dual_fma_f32 v85, v236, v140, -v93
	v_add_f32_e32 v7, v7, v15
	v_dual_fmac_f32 v19, v239, v142 :: v_dual_mul_f32 v23, v250, v147
	s_delay_alu instid0(VALU_DEP_3) | instskip(NEXT) | instid1(VALU_DEP_3)
	v_dual_mul_f32 v25, v252, v149 :: v_dual_add_f32 v9, v9, v87
	v_dual_fma_f32 v87, v238, v142, -v95 :: v_dual_add_f32 v7, v7, v17
	v_dual_mul_f32 v83, v251, v147 :: v_dual_mul_f32 v11, v253, v149
	s_delay_alu instid0(VALU_DEP_3) | instskip(NEXT) | instid1(VALU_DEP_3)
	v_dual_add_f32 v9, v9, v85 :: v_dual_fma_f32 v85, v240, v144, -v97
	v_dual_fmac_f32 v21, v241, v144 :: v_dual_add_f32 v7, v7, v19
	s_delay_alu instid0(VALU_DEP_2) | instskip(NEXT) | instid1(VALU_DEP_4)
	v_dual_fmac_f32 v23, v251, v146 :: v_dual_add_f32 v9, v9, v87
	v_fma_f32 v83, v250, v146, -v83
	s_set_vgpr_msb 1                        ;  msbs: dst=0 src0=1 src1=0 src2=0
	v_dual_mul_f32 v29, v0 /*v256*/, v153 :: v_dual_mul_f32 v31, v10 /*v266*/, v155
	s_set_vgpr_msb 0                        ;  msbs: dst=0 src0=0 src1=0 src2=0
	v_add_f32_e32 v7, v7, v21
	v_dual_add_f32 v9, v9, v85 :: v_dual_fma_f32 v11, v252, v148, -v11
	v_fmac_f32_e32 v25, v253, v148
	s_set_vgpr_msb 1                        ;  msbs: dst=0 src0=1 src1=0 src2=0
	v_dual_mul_f32 v15, v1 /*v257*/, v153 :: v_dual_mul_f32 v17, v11 /*v267*/, v155
	s_set_vgpr_msb 0                        ;  msbs: dst=0 src0=0 src1=0 src2=0
	v_add_f32_e32 v7, v7, v23
	v_dual_add_f32 v9, v9, v83 :: v_dual_fmac_f32 v27, v255, v150
	v_fma_f32 v13, v254, v150, -v13
	s_set_vgpr_msb 1                        ;  msbs: dst=0 src0=1 src1=0 src2=0
	v_dual_fmac_f32 v29, v1 /*v257*/, v152 :: v_dual_fma_f32 v15, v0 /*v256*/, v152, -v15
	s_set_vgpr_msb 0                        ;  msbs: dst=0 src0=0 src1=0 src2=0
	v_add_f32_e32 v7, v7, v25
	s_set_vgpr_msb 1                        ;  msbs: dst=0 src0=1 src1=0 src2=0
	v_dual_mul_f32 v33, v12 /*v268*/, v157 :: v_dual_mul_f32 v35, v14 /*v270*/, v159
	v_dual_mul_f32 v19, v13 /*v269*/, v157 :: v_dual_mul_f32 v21, v15 /*v271*/, v159
	s_set_vgpr_msb 0                        ;  msbs: dst=0 src0=0 src1=0 src2=0
	v_add_f32_e32 v7, v7, v27
	v_add_f32_e32 v9, v9, v11
	s_set_vgpr_msb 1                        ;  msbs: dst=0 src0=1 src1=0 src2=0
	v_dual_fmac_f32 v31, v11 /*v267*/, v154 :: v_dual_fma_f32 v17, v10 /*v266*/, v154, -v17
	v_dual_fmac_f32 v33, v13 /*v269*/, v156 :: v_dual_fma_f32 v19, v12 /*v268*/, v156, -v19
	s_set_vgpr_msb 0                        ;  msbs: dst=0 src0=0 src1=0 src2=0
	v_add_f32_e32 v7, v7, v29
	v_add_f32_e32 v9, v9, v13
	s_set_vgpr_msb 1                        ;  msbs: dst=0 src0=1 src1=0 src2=0
	v_mul_f32_e32 v13, v21 /*v277*/, v165
	v_dual_mul_f32 v37, v16 /*v272*/, v161 :: v_dual_mul_f32 v39, v18 /*v274*/, v163
	s_set_vgpr_msb 0                        ;  msbs: dst=0 src0=0 src1=0 src2=0
	v_add_f32_e32 v7, v7, v31
	v_add_f32_e32 v9, v9, v15
	s_set_vgpr_msb 1                        ;  msbs: dst=0 src0=1 src1=0 src2=0
	v_dual_mul_f32 v23, v17 /*v273*/, v161 :: v_dual_mul_f32 v11, v19 /*v275*/, v163
	v_mul_f32_e32 v15, v23 /*v279*/, v167
	v_fmac_f32_e32 v35, v15 /*v271*/, v158
	s_set_vgpr_msb 0                        ;  msbs: dst=0 src0=0 src1=0 src2=0
	v_add_f32_e32 v7, v7, v33
	v_add_f32_e32 v9, v9, v17
	s_set_vgpr_msb 1                        ;  msbs: dst=0 src0=1 src1=0 src2=0
	v_dual_mul_f32 v17, v25 /*v281*/, v169 :: v_dual_fma_f32 v21, v14 /*v270*/, v158, -v21
	v_dual_fmac_f32 v37, v17 /*v273*/, v160 :: v_dual_fma_f32 v23, v16 /*v272*/, v160, -v23
	s_set_vgpr_msb 0                        ;  msbs: dst=0 src0=0 src1=0 src2=0
	v_add_f32_e32 v7, v7, v35
	v_add_f32_e32 v9, v9, v19
	s_set_vgpr_msb 1                        ;  msbs: dst=0 src0=1 src1=0 src2=0
	v_dual_mul_f32 v41, v20 /*v276*/, v165 :: v_dual_mul_f32 v43, v22 /*v278*/, v167
	v_mul_f32_e32 v19, v27 /*v283*/, v171
	v_fmac_f32_e32 v39, v19 /*v275*/, v162
	s_set_vgpr_msb 0                        ;  msbs: dst=0 src0=0 src1=0 src2=0
	v_add_f32_e32 v7, v7, v37
	v_add_f32_e32 v9, v9, v21
	s_set_vgpr_msb 1                        ;  msbs: dst=0 src0=1 src1=0 src2=0
	v_mul_f32_e32 v21, v29 /*v285*/, v173
	v_dual_fmac_f32 v41, v21 /*v277*/, v164 :: v_dual_fmac_f32 v43, v23 /*v279*/, v166
	v_fma_f32 v13, v20 /*v276*/, v164, -v13
	s_set_vgpr_msb 0                        ;  msbs: dst=0 src0=0 src1=0 src2=0
	v_add_f32_e32 v7, v7, v39
	s_set_vgpr_msb 1                        ;  msbs: dst=0 src0=1 src1=0 src2=0
	v_dual_mul_f32 v45, v24 /*v280*/, v169 :: v_dual_mul_f32 v47, v26 /*v282*/, v171
	s_set_vgpr_msb 0                        ;  msbs: dst=0 src0=0 src1=0 src2=0
	v_add_f32_e32 v9, v9, v23
	s_set_vgpr_msb 1                        ;  msbs: dst=0 src0=1 src1=0 src2=0
	v_dual_fma_f32 v11, v18 /*v274*/, v162, -v11 :: v_dual_mul_f32 v23, v31 /*v287*/, v175
	s_set_vgpr_msb 0                        ;  msbs: dst=0 src0=0 src1=0 src2=0
	v_add_f32_e32 v7, v7, v41
	s_set_vgpr_msb 1                        ;  msbs: dst=0 src0=1 src1=0 src2=0
	v_dual_fmac_f32 v45, v25 /*v281*/, v168 :: v_dual_fmac_f32 v47, v27 /*v283*/, v170
	v_fma_f32 v17, v24 /*v280*/, v168, -v17
	v_dual_mul_f32 v49, v28 /*v284*/, v173 :: v_dual_mul_f32 v51, v30 /*v286*/, v175
	s_set_vgpr_msb 0                        ;  msbs: dst=0 src0=0 src1=0 src2=0
	v_add_f32_e32 v7, v7, v43
	v_add_f32_e32 v9, v9, v11
	s_set_vgpr_msb 1                        ;  msbs: dst=0 src0=1 src1=0 src2=0
	v_dual_mul_f32 v11, v33 /*v289*/, v177 :: v_dual_fma_f32 v15, v22 /*v278*/, v166, -v15
	v_dual_fmac_f32 v49, v29 /*v285*/, v172 :: v_dual_fmac_f32 v51, v31 /*v287*/, v174
	s_set_vgpr_msb 0                        ;  msbs: dst=0 src0=0 src1=0 src2=0
	v_add_f32_e32 v7, v7, v45
	v_add_f32_e32 v9, v9, v13
	s_set_vgpr_msb 1                        ;  msbs: dst=0 src0=1 src1=0 src2=0
	v_fma_f32 v21, v28 /*v284*/, v172, -v21
	v_dual_mul_f32 v53, v32 /*v288*/, v177 :: v_dual_mul_f32 v55, v34 /*v290*/, v179
	s_set_vgpr_msb 0                        ;  msbs: dst=0 src0=0 src1=0 src2=0
	v_add_f32_e32 v7, v7, v47
	s_set_vgpr_msb 1                        ;  msbs: dst=0 src0=1 src1=0 src2=0
	v_mul_f32_e32 v13, v35 /*v291*/, v179
	s_set_vgpr_msb 0                        ;  msbs: dst=0 src0=0 src1=0 src2=0
	v_add_f32_e32 v9, v9, v15
	s_set_vgpr_msb 1                        ;  msbs: dst=0 src0=1 src1=0 src2=0
	v_dual_mul_f32 v15, v37 /*v293*/, v181 :: v_dual_fma_f32 v19, v26 /*v282*/, v170, -v19
	s_set_vgpr_msb 0                        ;  msbs: dst=0 src0=0 src1=0 src2=0
	v_add_f32_e32 v7, v7, v49
	s_set_vgpr_msb 1                        ;  msbs: dst=0 src0=1 src1=0 src2=0
	v_dual_fmac_f32 v53, v33 /*v289*/, v176 :: v_dual_fma_f32 v11, v32 /*v288*/, v176, -v11
	s_set_vgpr_msb 0                        ;  msbs: dst=0 src0=0 src1=0 src2=0
	v_add_f32_e32 v9, v9, v17
	s_set_vgpr_msb 1                        ;  msbs: dst=0 src0=1 src1=0 src2=0
	v_dual_fmac_f32 v55, v35 /*v291*/, v178 :: v_dual_fma_f32 v13, v34 /*v290*/, v178, -v13
	s_set_vgpr_msb 0                        ;  msbs: dst=0 src0=0 src1=0 src2=0
	v_add_f32_e32 v7, v7, v51
	s_set_vgpr_msb 1                        ;  msbs: dst=0 src0=1 src1=0 src2=0
	v_dual_mul_f32 v57, v36 /*v292*/, v181 :: v_dual_mul_f32 v59, v38 /*v294*/, v183
	v_mul_f32_e32 v17, v39 /*v295*/, v183
	s_set_vgpr_msb 0                        ;  msbs: dst=0 src0=0 src1=0 src2=0
	v_dual_add_f32 v9, v9, v19 :: v_dual_add_f32 v7, v7, v53
	s_set_vgpr_msb 1                        ;  msbs: dst=0 src0=1 src1=0 src2=0
	v_dual_mul_f32 v19, v41 /*v297*/, v185 :: v_dual_fma_f32 v23, v30 /*v286*/, v174, -v23
	v_dual_fmac_f32 v57, v37 /*v293*/, v180 :: v_dual_fma_f32 v15, v36 /*v292*/, v180, -v15
	s_set_vgpr_msb 0                        ;  msbs: dst=0 src0=0 src1=0 src2=0
	v_add_f32_e32 v9, v9, v21
	s_set_vgpr_msb 1                        ;  msbs: dst=0 src0=1 src1=0 src2=0
	v_dual_fmac_f32 v59, v39 /*v295*/, v182 :: v_dual_fma_f32 v17, v38 /*v294*/, v182, -v17
	s_set_vgpr_msb 0                        ;  msbs: dst=0 src0=0 src1=0 src2=0
	v_add_f32_e32 v7, v7, v55
	s_set_vgpr_msb 1                        ;  msbs: dst=0 src0=1 src1=0 src2=0
	v_dual_mul_f32 v61, v40 /*v296*/, v185 :: v_dual_mul_f32 v63, v42 /*v298*/, v187
	v_mul_f32_e32 v21, v43 /*v299*/, v187
	s_set_vgpr_msb 0                        ;  msbs: dst=0 src0=0 src1=0 src2=0
	v_dual_add_f32 v9, v9, v23 :: v_dual_add_f32 v7, v7, v57
	s_set_vgpr_msb 1                        ;  msbs: dst=0 src0=1 src1=0 src2=0
	v_dual_fmac_f32 v61, v41 /*v297*/, v184 :: v_dual_fma_f32 v19, v40 /*v296*/, v184, -v19
	v_dual_fmac_f32 v63, v43 /*v299*/, v186 :: v_dual_fma_f32 v21, v42 /*v298*/, v186, -v21
	s_set_vgpr_msb 0                        ;  msbs: dst=0 src0=0 src1=0 src2=0
	v_add_f32_e32 v7, v7, v59
	s_set_vgpr_msb 1                        ;  msbs: dst=0 src0=1 src1=0 src2=0
	v_dual_mul_f32 v65, v44 /*v300*/, v189 :: v_dual_mul_f32 v67, v46 /*v302*/, v191
	s_set_vgpr_msb 0                        ;  msbs: dst=0 src0=0 src1=0 src2=0
	v_add_f32_e32 v9, v9, v11
	s_set_vgpr_msb 1                        ;  msbs: dst=0 src0=1 src1=0 src2=0
	v_dual_mul_f32 v23, v45 /*v301*/, v189 :: v_dual_mul_f32 v11, v47 /*v303*/, v191
	s_set_vgpr_msb 0                        ;  msbs: dst=0 src0=0 src1=0 src2=0
	v_add_f32_e32 v7, v7, v61
	s_set_vgpr_msb 1                        ;  msbs: dst=0 src0=1 src1=0 src2=0
	v_fmac_f32_e32 v65, v45 /*v301*/, v188
	s_set_vgpr_msb 0                        ;  msbs: dst=0 src0=0 src1=0 src2=0
	v_add_f32_e32 v9, v9, v13
	s_set_vgpr_msb 1                        ;  msbs: dst=0 src0=1 src1=0 src2=0
	v_dual_mul_f32 v69, v48 /*v304*/, v193 :: v_dual_mul_f32 v71, v50 /*v306*/, v195
	s_set_vgpr_msb 0                        ;  msbs: dst=0 src0=0 src1=0 src2=0
	v_add_f32_e32 v7, v7, v63
	s_set_vgpr_msb 1                        ;  msbs: dst=0 src0=1 src1=0 src2=0
	v_fma_f32 v23, v44 /*v300*/, v188, -v23
	s_set_vgpr_msb 0                        ;  msbs: dst=0 src0=0 src1=0 src2=0
	v_add_f32_e32 v9, v9, v15
	s_set_vgpr_msb 1                        ;  msbs: dst=0 src0=1 src1=0 src2=0
	v_dual_fmac_f32 v67, v47 /*v303*/, v190 :: v_dual_fmac_f32 v69, v49 /*v305*/, v192
	s_set_vgpr_msb 0                        ;  msbs: dst=0 src0=0 src1=0 src2=0
	v_add_f32_e32 v7, v7, v65
	s_set_vgpr_msb 1                        ;  msbs: dst=0 src0=1 src1=0 src2=0
	v_dual_mul_f32 v73, v52 /*v308*/, v197 :: v_dual_mul_f32 v75, v54 /*v310*/, v199
	s_set_vgpr_msb 0                        ;  msbs: dst=0 src0=0 src1=0 src2=0
	v_add_f32_e32 v9, v9, v17
	s_set_vgpr_msb 1                        ;  msbs: dst=0 src0=1 src1=0 src2=0
	v_fmac_f32_e32 v71, v51 /*v307*/, v194
	s_set_vgpr_msb 0                        ;  msbs: dst=0 src0=0 src1=0 src2=0
	v_add_f32_e32 v7, v7, v67
	s_set_vgpr_msb 1                        ;  msbs: dst=0 src0=1 src1=0 src2=0
	v_dual_fmac_f32 v73, v53 /*v309*/, v196 :: v_dual_mul_f32 v77, v56 /*v312*/, v201
	v_mul_f32_e32 v79, v58 /*v314*/, v203
	s_set_vgpr_msb 0                        ;  msbs: dst=0 src0=0 src1=0 src2=0
	v_dual_add_f32 v9, v9, v19 :: v_dual_add_f32 v7, v7, v69
	s_set_vgpr_msb 1                        ;  msbs: dst=0 src0=1 src1=0 src2=0
	v_dual_mul_f32 v13, v49 /*v305*/, v193 :: v_dual_mul_f32 v15, v51 /*v307*/, v195
	v_fma_f32 v11, v46 /*v302*/, v190, -v11
	s_set_vgpr_msb 0                        ;  msbs: dst=0 src0=0 src1=0 src2=0
	v_dual_add_f32 v9, v9, v21 :: v_dual_add_f32 v7, v7, v71
	s_wait_loadcnt 0x4
	v_mov_b32_e32 v132, v213
	s_set_vgpr_msb 1                        ;  msbs: dst=0 src0=1 src1=0 src2=0
	v_dual_mul_f32 v21, v57 /*v313*/, v201 :: v_dual_fmac_f32 v75, v55 /*v311*/, v198
	v_fmac_f32_e32 v77, v57 /*v313*/, v200
	s_set_vgpr_msb 0                        ;  msbs: dst=0 src0=0 src1=0 src2=0
	v_dual_add_f32 v9, v9, v23 :: v_dual_add_f32 v7, v7, v73
	s_set_vgpr_msb 1                        ;  msbs: dst=0 src0=1 src1=0 src2=0
	v_dual_mul_f32 v23, v59 /*v315*/, v203 :: v_dual_fma_f32 v13, v48 /*v304*/, v192, -v13
	v_dual_mul_f32 v17, v53 /*v309*/, v197 :: v_dual_mul_f32 v19, v55 /*v311*/, v199
	s_set_vgpr_msb 0                        ;  msbs: dst=0 src0=0 src1=0 src2=0
	v_add_f32_e32 v7, v7, v75
	v_add_f32_e32 v9, v9, v11
	s_set_vgpr_msb 1                        ;  msbs: dst=0 src0=1 src1=0 src2=0
	v_dual_mul_f32 v11, v61 /*v317*/, v205 :: v_dual_fma_f32 v15, v50 /*v306*/, v194, -v15
	v_dual_fmac_f32 v79, v59 /*v315*/, v202 :: v_dual_fmac_f32 v81, v61 /*v317*/, v204
	s_set_vgpr_msb 0                        ;  msbs: dst=0 src0=0 src1=0 src2=0
	v_add_f32_e32 v7, v7, v77
	v_add_f32_e32 v9, v9, v13
	s_wait_dscnt 0x0
	s_set_vgpr_msb 1                        ;  msbs: dst=0 src0=1 src1=0 src2=0
	v_dual_mul_f32 v13, v63 /*v319*/, v207 :: v_dual_fma_f32 v17, v52 /*v308*/, v196, -v17
	s_wait_loadcnt 0x3
	s_set_vgpr_msb 0                        ;  msbs: dst=0 src0=0 src1=0 src2=0
	v_dual_mov_b32 v136, v217 :: v_dual_add_f32 v7, v7, v79
	v_add_f32_e32 v9, v9, v15
	s_set_vgpr_msb 1                        ;  msbs: dst=0 src0=1 src1=0 src2=0
	v_dual_mul_f32 v15, v65 /*v321*/, v209 :: v_dual_fma_f32 v19, v54 /*v310*/, v198, -v19
	s_set_vgpr_msb 0x41                     ;  msbs: dst=1 src0=1 src1=0 src2=0
	v_dual_mul_f32 v77 /*v333*/, v62 /*v318*/, v207 :: v_dual_mul_f32 v79 /*v335*/, v64 /*v320*/, v209
	s_set_vgpr_msb 0                        ;  msbs: dst=0 src0=0 src1=0 src2=0
	v_add_f32_e32 v139, v7, v81
	v_add_f32_e32 v9, v9, v17
	s_set_vgpr_msb 1                        ;  msbs: dst=0 src0=1 src1=0 src2=0
	v_fma_f32 v17, v56 /*v312*/, v200, -v21
	v_fma_f32 v11, v60 /*v316*/, v204, -v11
	s_set_vgpr_msb 0                        ;  msbs: dst=0 src0=0 src1=0 src2=0
	v_pk_mul_f32 v[130:131], v[242:243], v[210:211] op_sel:[1,1] op_sel_hi:[0,1]
	s_set_vgpr_msb 0x41                     ;  msbs: dst=1 src0=1 src1=0 src2=0
	v_dual_fmac_f32 v77 /*v333*/, v63 /*v319*/, v206 :: v_dual_fmac_f32 v79 /*v335*/, v65 /*v321*/, v208
	s_set_vgpr_msb 0                        ;  msbs: dst=0 src0=0 src1=0 src2=0
	v_add_f32_e32 v9, v9, v19
	s_set_vgpr_msb 1                        ;  msbs: dst=0 src0=1 src1=0 src2=0
	v_fma_f32 v19, v58 /*v314*/, v202, -v23
	s_set_vgpr_msb 0x41                     ;  msbs: dst=1 src0=1 src1=0 src2=0
	v_dual_fma_f32 v76 /*v332*/, v62 /*v318*/, v206, -v13 :: v_dual_fma_f32 v78 /*v334*/, v64 /*v320*/, v208, -v15
	s_set_vgpr_msb 0                        ;  msbs: dst=0 src0=0 src1=0 src2=0
	v_pk_fma_f32 v[140:141], v[242:243], v[210:211], v[130:131] op_sel_hi:[1,0,1]
	v_add_f32_e32 v9, v9, v17
	s_set_vgpr_msb 1                        ;  msbs: dst=0 src0=1 src1=0 src2=0
	v_pk_mul_f32 v[132:133], v[68:69] /*v[324:325]*/, v[132:133] op_sel_hi:[1,0]
	s_set_vgpr_msb 0                        ;  msbs: dst=0 src0=0 src1=0 src2=0
	v_pk_fma_f32 v[130:131], v[242:243], v[210:211], v[130:131] neg_lo:[0,0,1] neg_hi:[0,0,1]
	v_pk_mul_f32 v[134:135], v[246:247], v[214:215] op_sel:[1,1] op_sel_hi:[0,1]
	v_mov_b32_e32 v131, v141
	v_add_f32_e32 v9, v9, v19
	v_pk_fma_f32 v[140:141], v[244:245], v[212:213], v[132:133] op_sel_hi:[1,0,1]
	v_pk_fma_f32 v[132:133], v[244:245], v[212:213], v[132:133] neg_lo:[0,0,1] neg_hi:[0,0,1]
	v_pk_fma_f32 v[144:145], v[246:247], v[214:215], v[134:135] op_sel_hi:[1,0,1]
	s_set_vgpr_msb 1                        ;  msbs: dst=0 src0=1 src1=0 src2=0
	v_pk_mul_f32 v[136:137], v[70:71] /*v[326:327]*/, v[136:137] op_sel_hi:[1,0]
	s_set_vgpr_msb 0                        ;  msbs: dst=0 src0=0 src1=0 src2=0
	v_add_f32_e32 v138, v9, v11
	v_mov_b32_e32 v133, v141
	s_wait_loadcnt 0x2
	s_set_vgpr_msb 1                        ;  msbs: dst=0 src0=1 src1=0 src2=0
	v_pk_mul_f32 v[142:143], v[2:3] /*v[258:259]*/, v[218:219] op_sel:[1,1] op_sel_hi:[0,1]
	s_set_vgpr_msb 0                        ;  msbs: dst=0 src0=0 src1=0 src2=0
	v_pk_fma_f32 v[134:135], v[246:247], v[214:215], v[134:135] neg_lo:[0,0,1] neg_hi:[0,0,1]
	v_mov_b32_e32 v135, v145
	s_set_vgpr_msb 4                        ;  msbs: dst=0 src0=0 src1=1 src2=0
	v_pk_add_f32 v[138:139], v[138:139], v[76:77] /*v[332:333]*/
	s_set_vgpr_msb 0                        ;  msbs: dst=0 src0=0 src1=0 src2=0
	v_pk_fma_f32 v[140:141], v[248:249], v[216:217], v[136:137] op_sel_hi:[1,0,1]
	v_pk_fma_f32 v[136:137], v[248:249], v[216:217], v[136:137] neg_lo:[0,0,1] neg_hi:[0,0,1]
	s_set_vgpr_msb 4                        ;  msbs: dst=0 src0=0 src1=1 src2=0
	v_pk_add_f32 v[138:139], v[138:139], v[78:79] /*v[334:335]*/
	s_set_vgpr_msb 0                        ;  msbs: dst=0 src0=0 src1=0 src2=0
	s_delay_alu instid0(VALU_DEP_1) | instskip(SKIP_1) | instid1(VALU_DEP_2)
	v_pk_add_f32 v[130:131], v[138:139], v[130:131]
	v_mov_b32_e32 v138, v221
	v_pk_add_f32 v[130:131], v[130:131], v[132:133]
	s_set_vgpr_msb 1                        ;  msbs: dst=0 src0=1 src1=0 src2=0
	v_pk_fma_f32 v[132:133], v[2:3] /*v[258:259]*/, v[218:219], v[142:143] op_sel_hi:[1,0,1]
	s_delay_alu instid0(VALU_DEP_3)
	v_pk_mul_f32 v[138:139], v[72:73] /*v[328:329]*/, v[138:139] op_sel_hi:[1,0]
	s_set_vgpr_msb 0                        ;  msbs: dst=0 src0=0 src1=0 src2=0
	v_mov_b32_e32 v137, v141
	s_set_vgpr_msb 1                        ;  msbs: dst=0 src0=1 src1=0 src2=0
	v_pk_fma_f32 v[140:141], v[2:3] /*v[258:259]*/, v[218:219], v[142:143] neg_lo:[0,0,1] neg_hi:[0,0,1]
	s_set_vgpr_msb 0                        ;  msbs: dst=0 src0=0 src1=0 src2=0
	v_pk_add_f32 v[130:131], v[130:131], v[134:135]
	v_mov_b32_e32 v141, v133
	s_set_vgpr_msb 1                        ;  msbs: dst=0 src0=1 src1=0 src2=0
	v_pk_fma_f32 v[132:133], v[4:5] /*v[260:261]*/, v[220:221], v[138:139] op_sel_hi:[1,0,1]
	s_wait_loadcnt 0x1
	v_pk_mul_f32 v[134:135], v[6:7] /*v[262:263]*/, v[222:223] op_sel:[1,1] op_sel_hi:[0,1]
	s_set_vgpr_msb 0                        ;  msbs: dst=0 src0=0 src1=0 src2=0
	v_mov_b32_e32 v132, v225
	v_pk_add_f32 v[130:131], v[130:131], v[136:137]
	s_set_vgpr_msb 1                        ;  msbs: dst=0 src0=1 src1=0 src2=0
	v_pk_fma_f32 v[138:139], v[4:5] /*v[260:261]*/, v[220:221], v[138:139] neg_lo:[0,0,1] neg_hi:[0,0,1]
	s_set_vgpr_msb 0                        ;  msbs: dst=0 src0=0 src1=0 src2=0
	v_mov_b32_e32 v139, v133
	s_set_vgpr_msb 1                        ;  msbs: dst=0 src0=1 src1=0 src2=0
	v_pk_fma_f32 v[136:137], v[6:7] /*v[262:263]*/, v[222:223], v[134:135] op_sel_hi:[1,0,1]
	v_pk_mul_f32 v[132:133], v[74:75] /*v[330:331]*/, v[132:133] op_sel_hi:[1,0]
	s_set_vgpr_msb 0                        ;  msbs: dst=0 src0=0 src1=0 src2=0
	v_pk_add_f32 v[130:131], v[130:131], v[140:141]
	s_set_vgpr_msb 1                        ;  msbs: dst=0 src0=1 src1=0 src2=0
	v_pk_fma_f32 v[134:135], v[6:7] /*v[262:263]*/, v[222:223], v[134:135] neg_lo:[0,0,1] neg_hi:[0,0,1]
	s_set_vgpr_msb 0                        ;  msbs: dst=0 src0=0 src1=0 src2=0
	v_mov_b32_e32 v135, v137
	s_set_vgpr_msb 1                        ;  msbs: dst=0 src0=1 src1=0 src2=0
	v_pk_fma_f32 v[136:137], v[8:9] /*v[264:265]*/, v[224:225], v[132:133] op_sel_hi:[1,0,1]
	s_set_vgpr_msb 0                        ;  msbs: dst=0 src0=0 src1=0 src2=0
	v_pk_add_f32 v[130:131], v[130:131], v[138:139]
	s_set_vgpr_msb 1                        ;  msbs: dst=0 src0=1 src1=0 src2=0
	v_pk_fma_f32 v[132:133], v[8:9] /*v[264:265]*/, v[224:225], v[132:133] neg_lo:[0,0,1] neg_hi:[0,0,1]
	s_set_vgpr_msb 0                        ;  msbs: dst=0 src0=0 src1=0 src2=0
	v_mov_b32_e32 v133, v137
	v_pk_add_f32 v[130:131], v[130:131], v[134:135]
	s_delay_alu instid0(VALU_DEP_1) | instskip(SKIP_2) | instid1(VALU_DEP_1)
	v_pk_add_f32 v[130:131], v[130:131], v[132:133]
	s_wait_loadcnt 0x0
	s_set_vgpr_msb 1                        ;  msbs: dst=0 src0=1 src1=0 src2=0
	v_pk_add_f32 v[130:131], v[66:67] /*v[322:323]*/, v[130:131] neg_lo:[0,1] neg_hi:[0,1]
	scratch_store_b64 off, v[130:131], off offset:120
	s_wait_xcnt 0x0
	v_cmpx_lt_u32_e32 14, v0
	s_set_vgpr_msb 0                        ;  msbs: dst=0 src0=0 src1=0 src2=0
	s_cbranch_execz .LBB63_369
; %bb.368:
	scratch_load_b64 v[130:131], off, off offset:112
	v_mov_b64_e32 v[132:133], 0
	scratch_store_b64 off, v[132:133], off offset:112
	s_wait_loadcnt 0x0
	ds_store_b64 v1, v[130:131]
.LBB63_369:
	s_wait_xcnt 0x0
	s_or_b32 exec_lo, exec_lo, s0
	s_wait_storecnt_dscnt 0x0
	s_barrier_signal -1
	s_barrier_wait -1
	s_clause 0x1a
	scratch_load_b128 v[130:133], off, off offset:120
	scratch_load_b128 v[134:137], off, off offset:136
	;; [unrolled: 1-line block ×24, first 2 shown]
	s_set_vgpr_msb 64                       ;  msbs: dst=1 src0=0 src1=0 src2=0
	scratch_load_b64 v[66:67] /*v[322:323]*/, off, off offset:504
	scratch_load_b64 v[68:69] /*v[324:325]*/, off, off offset:112
	s_set_vgpr_msb 0                        ;  msbs: dst=0 src0=0 src1=0 src2=0
	v_mov_b32_e32 v7, 0
	ds_load_2addr_b64 v[226:229], v7 offset0:79 offset1:80
	ds_load_2addr_b64 v[230:233], v7 offset0:81 offset1:82
	;; [unrolled: 1-line block ×8, first 2 shown]
	s_set_vgpr_msb 64                       ;  msbs: dst=1 src0=0 src1=0 src2=0
	ds_load_2addr_b64 v[2:5] /*v[258:261]*/, v7 offset0:123 offset1:124
	ds_load_2addr_b64 v[6:9] /*v[262:265]*/, v7 offset0:91 offset1:92
	;; [unrolled: 1-line block ×16, first 2 shown]
	ds_load_b64 v[70:71] /*v[326:327]*/, v7 offset:1016
	s_wait_dscnt 0x14
	v_dual_mov_b32 v72 /*v328*/, v245 :: v_dual_mov_b32 v73 /*v329*/, v244
	s_wait_dscnt 0x11
	s_set_vgpr_msb 0x41                     ;  msbs: dst=1 src0=1 src1=0 src2=0
	v_dual_mov_b32 v74 /*v330*/, v1 /*v257*/ :: v_dual_mov_b32 v75 /*v331*/, v0 /*v256*/
	s_wait_dscnt 0x10
	v_dual_mov_b32 v76 /*v332*/, v5 /*v261*/ :: v_dual_mov_b32 v77 /*v333*/, v4 /*v260*/
	s_wait_dscnt 0xd
	v_dual_mov_b32 v78 /*v334*/, v17 /*v273*/ :: v_dual_mov_b32 v79 /*v335*/, v16 /*v272*/
	s_mov_b32 s0, exec_lo
	s_wait_loadcnt 0x19
	s_set_vgpr_msb 0                        ;  msbs: dst=0 src0=0 src1=0 src2=0
	v_dual_mul_f32 v9, v226, v131 :: v_dual_mul_f32 v87, v227, v131
	s_wait_loadcnt 0x18
	v_dual_mul_f32 v11, v228, v133 :: v_dual_mul_f32 v13, v230, v135
	v_dual_mul_f32 v89, v229, v133 :: v_dual_mul_f32 v91, v231, v135
	s_wait_loadcnt 0x14
	v_dual_mul_f32 v31, v252, v153 :: v_dual_fmac_f32 v9, v227, v130
	v_dual_fma_f32 v87, v226, v130, -v87 :: v_dual_mul_f32 v101, v241, v145
	s_delay_alu instid0(VALU_DEP_3) | instskip(SKIP_1) | instid1(VALU_DEP_3)
	v_dual_fma_f32 v89, v228, v132, -v89 :: v_dual_fmac_f32 v11, v229, v132
	v_dual_mul_f32 v15, v232, v137 :: v_dual_mul_f32 v17, v234, v139
	v_dual_add_f32 v87, 0, v87 :: v_dual_add_f32 v9, 0, v9
	v_dual_mul_f32 v93, v233, v137 :: v_dual_mul_f32 v95, v235, v139
	v_dual_mul_f32 v103, v247, v147 :: v_dual_fma_f32 v91, v230, v134, -v91
	s_wait_loadcnt_dscnt 0x601
	s_set_vgpr_msb 1                        ;  msbs: dst=0 src0=1 src1=0 src2=0
	v_mul_f32_e32 v85, v62 /*v318*/, v207
	s_set_vgpr_msb 0                        ;  msbs: dst=0 src0=0 src1=0 src2=0
	v_dual_fmac_f32 v13, v231, v134 :: v_dual_add_f32 v9, v9, v11
	v_dual_add_f32 v11, v87, v89 :: v_dual_fmac_f32 v15, v233, v136
	v_dual_mul_f32 v87, v249, v149 :: v_dual_fma_f32 v89, v232, v136, -v93
	s_delay_alu instid0(VALU_DEP_2) | instskip(SKIP_3) | instid1(VALU_DEP_4)
	v_dual_add_f32 v9, v9, v13 :: v_dual_add_f32 v11, v11, v91
	v_dual_mul_f32 v19, v236, v141 :: v_dual_mul_f32 v21, v238, v143
	v_dual_mul_f32 v97, v237, v141 :: v_dual_mul_f32 v99, v239, v143
	v_dual_mul_f32 v13, v251, v151 :: v_dual_fma_f32 v91, v234, v138, -v95
	v_dual_fmac_f32 v17, v235, v138 :: v_dual_add_f32 v9, v9, v15
	s_delay_alu instid0(VALU_DEP_4) | instskip(NEXT) | instid1(VALU_DEP_4)
	v_dual_add_f32 v11, v11, v89 :: v_dual_fmac_f32 v19, v237, v140
	v_dual_mul_f32 v15, v253, v153 :: v_dual_fma_f32 v89, v236, v140, -v97
	s_delay_alu instid0(VALU_DEP_2) | instskip(SKIP_2) | instid1(VALU_DEP_3)
	v_dual_add_f32 v9, v9, v17 :: v_dual_add_f32 v11, v11, v91
	v_dual_mul_f32 v23, v240, v145 :: v_dual_mul_f32 v25, v246, v147
	v_dual_fmac_f32 v21, v239, v142 :: v_dual_fma_f32 v91, v238, v142, -v99
	v_dual_add_f32 v9, v9, v19 :: v_dual_add_f32 v11, v11, v89
	s_delay_alu instid0(VALU_DEP_3) | instskip(SKIP_1) | instid1(VALU_DEP_3)
	v_dual_fmac_f32 v23, v241, v144 :: v_dual_fma_f32 v89, v240, v144, -v101
	v_dual_mul_f32 v27, v248, v149 :: v_dual_mul_f32 v29, v250, v151
	v_dual_add_f32 v9, v9, v21 :: v_dual_add_f32 v11, v11, v91
	v_dual_fmac_f32 v25, v247, v146 :: v_dual_fma_f32 v91, v246, v146, -v103
	s_set_vgpr_msb 1                        ;  msbs: dst=0 src0=1 src1=0 src2=0
	v_dual_mul_f32 v33, v6 /*v262*/, v155 :: v_dual_mul_f32 v35, v8 /*v264*/, v157
	s_set_vgpr_msb 0                        ;  msbs: dst=0 src0=0 src1=0 src2=0
	v_dual_add_f32 v9, v9, v23 :: v_dual_add_f32 v11, v11, v89
	v_fmac_f32_e32 v27, v249, v148
	v_fma_f32 v87, v248, v148, -v87
	s_set_vgpr_msb 1                        ;  msbs: dst=0 src0=1 src1=0 src2=0
	v_dual_mul_f32 v17, v7 /*v263*/, v155 :: v_dual_mul_f32 v19, v9 /*v265*/, v157
	s_set_vgpr_msb 0                        ;  msbs: dst=0 src0=0 src1=0 src2=0
	v_dual_add_f32 v9, v9, v25 :: v_dual_add_f32 v11, v11, v91
	v_fmac_f32_e32 v29, v251, v150
	v_fma_f32 v13, v250, v150, -v13
	s_set_vgpr_msb 1                        ;  msbs: dst=0 src0=1 src1=0 src2=0
	v_fmac_f32_e32 v33, v7 /*v263*/, v154
	s_set_vgpr_msb 0                        ;  msbs: dst=0 src0=0 src1=0 src2=0
	v_add_f32_e32 v9, v9, v27
	v_dual_add_f32 v11, v11, v87 :: v_dual_fmac_f32 v31, v253, v152
	v_fma_f32 v15, v252, v152, -v15
	s_set_vgpr_msb 1                        ;  msbs: dst=0 src0=1 src1=0 src2=0
	v_fma_f32 v17, v6 /*v262*/, v154, -v17
	s_set_vgpr_msb 0                        ;  msbs: dst=0 src0=0 src1=0 src2=0
	v_add_f32_e32 v9, v9, v29
	v_add_f32_e32 v11, v11, v13
	s_set_vgpr_msb 1                        ;  msbs: dst=0 src0=1 src1=0 src2=0
	v_mul_f32_e32 v13, v23 /*v279*/, v167
	v_dual_mul_f32 v37, v10 /*v266*/, v159 :: v_dual_mul_f32 v39, v12 /*v268*/, v161
	v_dual_mul_f32 v21, v11 /*v267*/, v159 :: v_dual_mul_f32 v23, v13 /*v269*/, v161
	s_set_vgpr_msb 0                        ;  msbs: dst=0 src0=0 src1=0 src2=0
	v_add_f32_e32 v11, v11, v15
	v_add_f32_e32 v9, v9, v31
	s_set_vgpr_msb 1                        ;  msbs: dst=0 src0=1 src1=0 src2=0
	v_mul_f32_e32 v15, v25 /*v281*/, v169
	v_fmac_f32_e32 v35, v9 /*v265*/, v156
	v_dual_fma_f32 v19, v8 /*v264*/, v156, -v19 :: v_dual_fmac_f32 v37, v11 /*v267*/, v158
	s_set_vgpr_msb 0                        ;  msbs: dst=0 src0=0 src1=0 src2=0
	v_add_f32_e32 v11, v11, v17
	v_add_f32_e32 v9, v9, v33
	s_set_vgpr_msb 1                        ;  msbs: dst=0 src0=1 src1=0 src2=0
	v_dual_mul_f32 v17, v27 /*v283*/, v171 :: v_dual_fma_f32 v21, v10 /*v266*/, v158, -v21
	v_dual_mul_f32 v41, v18 /*v274*/, v163 :: v_dual_mul_f32 v43, v20 /*v276*/, v165
	s_set_vgpr_msb 0                        ;  msbs: dst=0 src0=0 src1=0 src2=0
	v_add_f32_e32 v11, v11, v19
	s_set_vgpr_msb 1                        ;  msbs: dst=0 src0=1 src1=0 src2=0
	v_mul_f32_e32 v19, v29 /*v285*/, v173
	s_set_vgpr_msb 0                        ;  msbs: dst=0 src0=0 src1=0 src2=0
	v_add_f32_e32 v9, v9, v35
	s_set_vgpr_msb 1                        ;  msbs: dst=0 src0=1 src1=0 src2=0
	v_dual_mul_f32 v25, v19 /*v275*/, v163 :: v_dual_mul_f32 v27, v21 /*v277*/, v165
	v_fmac_f32_e32 v39, v13 /*v269*/, v160
	v_dual_fma_f32 v23, v12 /*v268*/, v160, -v23 :: v_dual_fmac_f32 v41, v19 /*v275*/, v162
	s_set_vgpr_msb 0                        ;  msbs: dst=0 src0=0 src1=0 src2=0
	v_add_f32_e32 v11, v11, v21
	v_add_f32_e32 v9, v9, v37
	s_set_vgpr_msb 1                        ;  msbs: dst=0 src0=1 src1=0 src2=0
	v_dual_mul_f32 v21, v31 /*v287*/, v175 :: v_dual_fma_f32 v25, v18 /*v274*/, v162, -v25
	v_dual_mul_f32 v45, v22 /*v278*/, v167 :: v_dual_mul_f32 v47, v24 /*v280*/, v169
	s_set_vgpr_msb 0                        ;  msbs: dst=0 src0=0 src1=0 src2=0
	v_add_f32_e32 v11, v11, v23
	s_set_vgpr_msb 1                        ;  msbs: dst=0 src0=1 src1=0 src2=0
	v_mul_f32_e32 v23, v33 /*v289*/, v177
	s_set_vgpr_msb 0                        ;  msbs: dst=0 src0=0 src1=0 src2=0
	v_add_f32_e32 v9, v9, v39
	s_set_vgpr_msb 1                        ;  msbs: dst=0 src0=1 src1=0 src2=0
	v_fmac_f32_e32 v43, v21 /*v277*/, v164
	v_dual_fma_f32 v27, v20 /*v276*/, v164, -v27 :: v_dual_fmac_f32 v45, v23 /*v279*/, v166
	s_set_vgpr_msb 0                        ;  msbs: dst=0 src0=0 src1=0 src2=0
	v_add_f32_e32 v11, v11, v25
	v_add_f32_e32 v9, v9, v41
	s_set_vgpr_msb 1                        ;  msbs: dst=0 src0=1 src1=0 src2=0
	v_dual_mul_f32 v25, v35 /*v291*/, v179 :: v_dual_fma_f32 v13, v22 /*v278*/, v166, -v13
	v_dual_mul_f32 v49, v26 /*v282*/, v171 :: v_dual_mul_f32 v51, v28 /*v284*/, v173
	s_set_vgpr_msb 0                        ;  msbs: dst=0 src0=0 src1=0 src2=0
	v_add_f32_e32 v11, v11, v27
	s_set_vgpr_msb 1                        ;  msbs: dst=0 src0=1 src1=0 src2=0
	v_mul_f32_e32 v27, v37 /*v293*/, v181
	s_set_vgpr_msb 0                        ;  msbs: dst=0 src0=0 src1=0 src2=0
	v_add_f32_e32 v9, v9, v43
	s_set_vgpr_msb 1                        ;  msbs: dst=0 src0=1 src1=0 src2=0
	;; [unrolled: 15-line block ×9, first 2 shown]
	v_dual_fmac_f32 v75, v53 /*v309*/, v196 :: v_dual_fmac_f32 v77, v55 /*v311*/, v198
	v_dual_fma_f32 v27, v52 /*v308*/, v196, -v27 :: v_dual_fma_f32 v13, v54 /*v310*/, v198, -v13
	s_set_vgpr_msb 0                        ;  msbs: dst=0 src0=0 src1=0 src2=0
	v_add_f32_e32 v11, v11, v25
	v_add_f32_e32 v9, v9, v73
	s_set_vgpr_msb 1                        ;  msbs: dst=0 src0=1 src1=0 src2=0
	v_dual_mul_f32 v81, v58 /*v314*/, v203 :: v_dual_mul_f32 v83, v60 /*v316*/, v205
	v_fmac_f32_e32 v79, v57 /*v313*/, v200
	s_set_vgpr_msb 0                        ;  msbs: dst=0 src0=0 src1=0 src2=0
	v_add_f32_e32 v11, v11, v27
	v_add_f32_e32 v9, v9, v75
	s_set_vgpr_msb 1                        ;  msbs: dst=0 src0=1 src1=0 src2=0
	v_dual_fma_f32 v15, v56 /*v312*/, v200, -v15 :: v_dual_fmac_f32 v81, v59 /*v315*/, v202
	s_wait_loadcnt 0x4
	s_set_vgpr_msb 0                        ;  msbs: dst=0 src0=0 src1=0 src2=0
	v_dual_mov_b32 v134, v217 :: v_dual_add_f32 v11, v11, v13
	v_add_f32_e32 v9, v9, v77
	s_set_vgpr_msb 1                        ;  msbs: dst=0 src0=1 src1=0 src2=0
	v_fma_f32 v13, v58 /*v314*/, v202, -v17
	s_set_vgpr_msb 0                        ;  msbs: dst=0 src0=0 src1=0 src2=0
	v_dual_mul_f32 v25, v243, v211 :: v_dual_mov_b32 v130, v213
	v_add_f32_e32 v11, v11, v15
	v_add_f32_e32 v9, v9, v79
	s_set_vgpr_msb 1                        ;  msbs: dst=0 src0=1 src1=0 src2=0
	v_dual_fmac_f32 v83, v61 /*v317*/, v204 :: v_dual_fmac_f32 v85, v63 /*v319*/, v206
	v_fma_f32 v15, v60 /*v316*/, v204, -v19
	s_set_vgpr_msb 0                        ;  msbs: dst=0 src0=0 src1=0 src2=0
	v_add_f32_e32 v11, v11, v13
	s_set_vgpr_msb 1                        ;  msbs: dst=0 src0=1 src1=0 src2=0
	v_fma_f32 v13, v62 /*v318*/, v206, -v21
	s_set_vgpr_msb 0                        ;  msbs: dst=0 src0=0 src1=0 src2=0
	v_add_f32_e32 v9, v9, v81
	s_set_vgpr_msb 0x41                     ;  msbs: dst=1 src0=1 src1=0 src2=0
	v_dual_mul_f32 v81 /*v337*/, v64 /*v320*/, v209 :: v_dual_fma_f32 v80 /*v336*/, v64 /*v320*/, v208, -v23
	s_set_vgpr_msb 0                        ;  msbs: dst=0 src0=0 src1=0 src2=0
	v_add_f32_e32 v11, v11, v15
	s_set_vgpr_msb 1                        ;  msbs: dst=0 src0=1 src1=0 src2=0
	v_pk_mul_f32 v[130:131], v[72:73] /*v[328:329]*/, v[130:131] op_sel_hi:[1,0]
	s_set_vgpr_msb 0                        ;  msbs: dst=0 src0=0 src1=0 src2=0
	v_add_f32_e32 v9, v9, v83
	s_set_vgpr_msb 64                       ;  msbs: dst=1 src0=0 src1=0 src2=0
	v_dual_mul_f32 v83 /*v339*/, v242, v211 :: v_dual_fma_f32 v82 /*v338*/, v242, v210, -v25
	s_set_vgpr_msb 0x41                     ;  msbs: dst=1 src0=1 src1=0 src2=0
	v_fmac_f32_e32 v81 /*v337*/, v65 /*v321*/, v208
	s_set_vgpr_msb 0                        ;  msbs: dst=0 src0=0 src1=0 src2=0
	v_add_f32_e32 v138, v11, v13
	v_pk_fma_f32 v[142:143], v[244:245], v[212:213], v[130:131] op_sel_hi:[1,0,1]
	v_add_f32_e32 v139, v9, v85
	v_pk_fma_f32 v[130:131], v[244:245], v[212:213], v[130:131] neg_lo:[0,0,1] neg_hi:[0,0,1]
	v_pk_mul_f32 v[132:133], v[254:255], v[214:215] op_sel:[1,1] op_sel_hi:[0,1]
	s_set_vgpr_msb 64                       ;  msbs: dst=1 src0=0 src1=0 src2=0
	v_fmac_f32_e32 v83 /*v339*/, v243, v210
	s_set_vgpr_msb 4                        ;  msbs: dst=0 src0=0 src1=1 src2=0
	v_mov_b32_e32 v131, v143
	v_pk_add_f32 v[138:139], v[138:139], v[80:81] /*v[336:337]*/
	s_set_vgpr_msb 1                        ;  msbs: dst=0 src0=1 src1=0 src2=0
	v_pk_mul_f32 v[134:135], v[74:75] /*v[330:331]*/, v[134:135] op_sel_hi:[1,0]
	s_set_vgpr_msb 0                        ;  msbs: dst=0 src0=0 src1=0 src2=0
	v_pk_fma_f32 v[144:145], v[254:255], v[214:215], v[132:133] op_sel_hi:[1,0,1]
	v_pk_fma_f32 v[132:133], v[254:255], v[214:215], v[132:133] neg_lo:[0,0,1] neg_hi:[0,0,1]
	s_wait_loadcnt 0x3
	s_set_vgpr_msb 1                        ;  msbs: dst=0 src0=1 src1=0 src2=0
	v_pk_mul_f32 v[136:137], v[2:3] /*v[258:259]*/, v[218:219] op_sel:[1,1] op_sel_hi:[0,1]
	s_set_vgpr_msb 4                        ;  msbs: dst=0 src0=0 src1=1 src2=0
	v_pk_add_f32 v[138:139], v[138:139], v[82:83] /*v[338:339]*/
	v_dual_mov_b32 v140, v221 :: v_dual_mov_b32 v133, v145
	s_set_vgpr_msb 1                        ;  msbs: dst=0 src0=1 src1=0 src2=0
	v_pk_fma_f32 v[144:145], v[0:1] /*v[256:257]*/, v[216:217], v[134:135] op_sel_hi:[1,0,1]
	v_pk_fma_f32 v[134:135], v[0:1] /*v[256:257]*/, v[216:217], v[134:135] neg_lo:[0,0,1] neg_hi:[0,0,1]
	s_set_vgpr_msb 0                        ;  msbs: dst=0 src0=0 src1=0 src2=0
	v_pk_add_f32 v[130:131], v[138:139], v[130:131]
	s_set_vgpr_msb 1                        ;  msbs: dst=0 src0=1 src1=0 src2=0
	v_pk_fma_f32 v[138:139], v[2:3] /*v[258:259]*/, v[218:219], v[136:137] op_sel_hi:[1,0,1]
	v_pk_mul_f32 v[140:141], v[76:77] /*v[332:333]*/, v[140:141] op_sel_hi:[1,0]
	s_set_vgpr_msb 0                        ;  msbs: dst=0 src0=0 src1=0 src2=0
	v_mov_b32_e32 v135, v145
	s_set_vgpr_msb 1                        ;  msbs: dst=0 src0=1 src1=0 src2=0
	v_pk_fma_f32 v[136:137], v[2:3] /*v[258:259]*/, v[218:219], v[136:137] neg_lo:[0,0,1] neg_hi:[0,0,1]
	s_set_vgpr_msb 0                        ;  msbs: dst=0 src0=0 src1=0 src2=0
	v_pk_add_f32 v[130:131], v[130:131], v[132:133]
	s_wait_loadcnt 0x2
	s_set_vgpr_msb 1                        ;  msbs: dst=0 src0=1 src1=0 src2=0
	v_pk_mul_f32 v[142:143], v[14:15] /*v[270:271]*/, v[222:223] op_sel:[1,1] op_sel_hi:[0,1]
	s_set_vgpr_msb 0                        ;  msbs: dst=0 src0=0 src1=0 src2=0
	v_dual_mov_b32 v132, v225 :: v_dual_mov_b32 v137, v139
	s_set_vgpr_msb 1                        ;  msbs: dst=0 src0=1 src1=0 src2=0
	v_pk_fma_f32 v[138:139], v[4:5] /*v[260:261]*/, v[220:221], v[140:141] op_sel_hi:[1,0,1]
	s_set_vgpr_msb 0                        ;  msbs: dst=0 src0=0 src1=0 src2=0
	v_pk_add_f32 v[130:131], v[130:131], v[134:135]
	s_set_vgpr_msb 1                        ;  msbs: dst=0 src0=1 src1=0 src2=0
	v_pk_fma_f32 v[140:141], v[4:5] /*v[260:261]*/, v[220:221], v[140:141] neg_lo:[0,0,1] neg_hi:[0,0,1]
	v_pk_fma_f32 v[134:135], v[14:15] /*v[270:271]*/, v[222:223], v[142:143] op_sel_hi:[1,0,1]
	v_pk_mul_f32 v[132:133], v[78:79] /*v[334:335]*/, v[132:133] op_sel_hi:[1,0]
	s_set_vgpr_msb 0                        ;  msbs: dst=0 src0=0 src1=0 src2=0
	v_mov_b32_e32 v141, v139
	v_pk_add_f32 v[130:131], v[130:131], v[136:137]
	s_set_vgpr_msb 1                        ;  msbs: dst=0 src0=1 src1=0 src2=0
	v_pk_fma_f32 v[136:137], v[14:15] /*v[270:271]*/, v[222:223], v[142:143] neg_lo:[0,0,1] neg_hi:[0,0,1]
	s_set_vgpr_msb 0                        ;  msbs: dst=0 src0=0 src1=0 src2=0
	v_mov_b32_e32 v137, v135
	s_set_vgpr_msb 1                        ;  msbs: dst=0 src0=1 src1=0 src2=0
	v_pk_fma_f32 v[134:135], v[16:17] /*v[272:273]*/, v[224:225], v[132:133] op_sel_hi:[1,0,1]
	s_wait_loadcnt_dscnt 0x100
	s_set_vgpr_msb 5                        ;  msbs: dst=0 src0=1 src1=1 src2=0
	v_pk_mul_f32 v[138:139], v[70:71] /*v[326:327]*/, v[66:67] /*v[322:323]*/ op_sel:[1,1] op_sel_hi:[0,1]
	s_set_vgpr_msb 0                        ;  msbs: dst=0 src0=0 src1=0 src2=0
	v_pk_add_f32 v[130:131], v[130:131], v[140:141]
	s_set_vgpr_msb 1                        ;  msbs: dst=0 src0=1 src1=0 src2=0
	v_pk_fma_f32 v[132:133], v[16:17] /*v[272:273]*/, v[224:225], v[132:133] neg_lo:[0,0,1] neg_hi:[0,0,1]
	s_set_vgpr_msb 0                        ;  msbs: dst=0 src0=0 src1=0 src2=0
	v_mov_b32_e32 v133, v135
	s_set_vgpr_msb 5                        ;  msbs: dst=0 src0=1 src1=1 src2=0
	v_pk_fma_f32 v[134:135], v[70:71] /*v[326:327]*/, v[66:67] /*v[322:323]*/, v[138:139] op_sel_hi:[1,0,1]
	s_set_vgpr_msb 0                        ;  msbs: dst=0 src0=0 src1=0 src2=0
	v_pk_add_f32 v[130:131], v[130:131], v[136:137]
	s_set_vgpr_msb 5                        ;  msbs: dst=0 src0=1 src1=1 src2=0
	v_pk_fma_f32 v[136:137], v[70:71] /*v[326:327]*/, v[66:67] /*v[322:323]*/, v[138:139] neg_lo:[0,0,1] neg_hi:[0,0,1]
	s_set_vgpr_msb 0                        ;  msbs: dst=0 src0=0 src1=0 src2=0
	v_mov_b32_e32 v137, v135
	v_pk_add_f32 v[130:131], v[130:131], v[132:133]
	s_delay_alu instid0(VALU_DEP_1) | instskip(SKIP_2) | instid1(VALU_DEP_1)
	v_pk_add_f32 v[130:131], v[130:131], v[136:137]
	s_wait_loadcnt 0x0
	s_set_vgpr_msb 1                        ;  msbs: dst=0 src0=1 src1=0 src2=0
	v_pk_add_f32 v[130:131], v[68:69] /*v[324:325]*/, v[130:131] neg_lo:[0,1] neg_hi:[0,1]
	scratch_store_b64 off, v[130:131], off offset:112
	s_wait_xcnt 0x0
	v_cmpx_lt_u32_e32 13, v0
	s_set_vgpr_msb 0                        ;  msbs: dst=0 src0=0 src1=0 src2=0
	s_cbranch_execz .LBB63_371
; %bb.370:
	scratch_load_b64 v[130:131], off, off offset:104
	v_mov_b64_e32 v[132:133], 0
	scratch_store_b64 off, v[132:133], off offset:104
	s_wait_loadcnt 0x0
	ds_store_b64 v1, v[130:131]
.LBB63_371:
	s_wait_xcnt 0x0
	s_or_b32 exec_lo, exec_lo, s0
	s_wait_storecnt_dscnt 0x0
	s_barrier_signal -1
	s_barrier_wait -1
	s_clause 0x18
	scratch_load_b128 v[130:133], off, off offset:112
	scratch_load_b128 v[134:137], off, off offset:128
	;; [unrolled: 1-line block ×25, first 2 shown]
	ds_load_b128 v[230:233], v7 offset:624
	ds_load_b128 v[234:237], v7 offset:640
	;; [unrolled: 1-line block ×7, first 2 shown]
	s_set_vgpr_msb 64                       ;  msbs: dst=1 src0=0 src1=0 src2=0
	ds_load_b128 v[2:5] /*v[258:261]*/, v7 offset:704
	ds_load_b128 v[6:9] /*v[262:265]*/, v7 offset:976
	;; [unrolled: 1-line block ×12, first 2 shown]
	scratch_load_b64 v[74:75] /*v[330:331]*/, off, off offset:104
	ds_load_b128 v[50:53] /*v[306:309]*/, v7 offset:848
	ds_load_b128 v[54:57] /*v[310:313]*/, v7 offset:864
	ds_load_b128 v[58:61] /*v[314:317]*/, v7 offset:880
	ds_load_b128 v[62:65] /*v[318:321]*/, v7 offset:896
	ds_load_b128 v[66:69] /*v[322:325]*/, v7 offset:912
	ds_load_b128 v[70:73] /*v[326:329]*/, v7 offset:928
	s_mov_b32 s0, exec_lo
	s_wait_dscnt 0x13
	v_dual_mov_b32 v76 /*v332*/, v253 :: v_dual_mov_b32 v77 /*v333*/, v252
	s_wait_dscnt 0x10
	s_set_vgpr_msb 0x41                     ;  msbs: dst=1 src0=1 src1=0 src2=0
	v_dual_mov_b32 v78 /*v334*/, v9 /*v265*/ :: v_dual_mov_b32 v79 /*v335*/, v8 /*v264*/
	s_wait_dscnt 0xf
	v_dual_mov_b32 v80 /*v336*/, v13 /*v269*/ :: v_dual_mov_b32 v81 /*v337*/, v12 /*v268*/
	s_wait_dscnt 0xc
	v_dual_mov_b32 v82 /*v338*/, v25 /*v281*/ :: v_dual_mov_b32 v83 /*v339*/, v24 /*v280*/
	s_wait_loadcnt 0x19
	s_set_vgpr_msb 0                        ;  msbs: dst=0 src0=0 src1=0 src2=0
	v_dual_mul_f32 v7, v230, v131 :: v_dual_mul_f32 v9, v232, v133
	v_dual_mul_f32 v83, v231, v131 :: v_dual_mul_f32 v85, v233, v133
	s_wait_loadcnt 0x15
	s_delay_alu instid0(VALU_DEP_2) | instskip(NEXT) | instid1(VALU_DEP_3)
	v_dual_mul_f32 v23, v254, v147 :: v_dual_fmac_f32 v7, v231, v130
	v_dual_fmac_f32 v9, v233, v132 :: v_dual_mul_f32 v11, v234, v135
	v_dual_mul_f32 v13, v236, v137 :: v_dual_mul_f32 v91, v235, v135
	v_dual_mul_f32 v97, v241, v141 :: v_dual_mul_f32 v99, v243, v143
	v_dual_fma_f32 v85, v232, v132, -v85 :: v_dual_mul_f32 v15, v238, v139
	v_dual_mul_f32 v17, v240, v141 :: v_dual_add_f32 v7, 0, v7
	v_dual_mul_f32 v93, v237, v137 :: v_dual_fmac_f32 v11, v235, v134
	v_fmac_f32_e32 v13, v237, v136
	s_wait_loadcnt_dscnt 0x600
	s_set_vgpr_msb 1                        ;  msbs: dst=0 src0=1 src1=0 src2=0
	v_mul_f32_e32 v89, v72 /*v328*/, v209
	s_wait_loadcnt 0x5
	s_set_vgpr_msb 0                        ;  msbs: dst=0 src0=0 src1=0 src2=0
	v_dual_mul_f32 v133, v248, v213 :: v_dual_mul_f32 v95, v239, v139
	v_fma_f32 v83, v230, v130, -v83
	v_dual_mul_f32 v131, v246, v211 :: v_dual_mul_f32 v101, v245, v145
	v_dual_fma_f32 v91, v234, v134, -v91 :: v_dual_add_f32 v7, v7, v9
	s_delay_alu instid0(VALU_DEP_3)
	v_add_f32_e32 v83, 0, v83
	v_dual_mul_f32 v19, v242, v143 :: v_dual_mul_f32 v21, v244, v145
	s_set_vgpr_msb 1                        ;  msbs: dst=0 src0=1 src1=0 src2=0
	v_dual_mul_f32 v25, v0 /*v256*/, v149 :: v_dual_mul_f32 v27, v2 /*v258*/, v151
	s_set_vgpr_msb 0                        ;  msbs: dst=0 src0=0 src1=0 src2=0
	v_dual_add_f32 v9, v83, v85 :: v_dual_fma_f32 v85, v236, v136, -v93
	v_fmac_f32_e32 v15, v239, v138
	v_dual_mul_f32 v83, v255, v147 :: v_dual_fmac_f32 v17, v241, v140
	s_delay_alu instid0(VALU_DEP_3)
	v_add_f32_e32 v9, v9, v91
	v_dual_add_f32 v7, v7, v11 :: v_dual_fma_f32 v91, v238, v138, -v95
	s_set_vgpr_msb 1                        ;  msbs: dst=0 src0=1 src1=0 src2=0
	v_mul_f32_e32 v11, v1 /*v257*/, v149
	s_set_vgpr_msb 0                        ;  msbs: dst=0 src0=0 src1=0 src2=0
	v_dual_fmac_f32 v19, v243, v142 :: v_dual_add_f32 v9, v9, v85
	v_dual_add_f32 v7, v7, v13 :: v_dual_fma_f32 v85, v240, v140, -v97
	s_set_vgpr_msb 1                        ;  msbs: dst=0 src0=1 src1=0 src2=0
	v_dual_mul_f32 v13, v3 /*v259*/, v151 :: v_dual_fmac_f32 v25, v1 /*v257*/, v148
	v_fma_f32 v11, v0 /*v256*/, v148, -v11
	s_set_vgpr_msb 0                        ;  msbs: dst=0 src0=0 src1=0 src2=0
	v_add_f32_e32 v7, v7, v15
	v_dual_add_f32 v9, v9, v91 :: v_dual_fma_f32 v91, v242, v142, -v99
	v_fmac_f32_e32 v23, v255, v146
	s_set_vgpr_msb 1                        ;  msbs: dst=0 src0=1 src1=0 src2=0
	v_dual_mul_f32 v29, v4 /*v260*/, v153 :: v_dual_mul_f32 v31, v14 /*v270*/, v155
	s_set_vgpr_msb 0                        ;  msbs: dst=0 src0=0 src1=0 src2=0
	v_add_f32_e32 v7, v7, v17
	v_dual_add_f32 v9, v9, v85 :: v_dual_fma_f32 v85, v244, v144, -v101
	v_fmac_f32_e32 v21, v245, v144
	s_set_vgpr_msb 1                        ;  msbs: dst=0 src0=1 src1=0 src2=0
	v_dual_mul_f32 v15, v5 /*v261*/, v153 :: v_dual_mul_f32 v17, v15 /*v271*/, v155
	s_set_vgpr_msb 0                        ;  msbs: dst=0 src0=0 src1=0 src2=0
	v_add_f32_e32 v7, v7, v19
	v_dual_add_f32 v9, v9, v91 :: v_dual_fma_f32 v83, v254, v146, -v83
	s_set_vgpr_msb 1                        ;  msbs: dst=0 src0=1 src1=0 src2=0
	v_dual_fmac_f32 v27, v3 /*v259*/, v150 :: v_dual_fma_f32 v13, v2 /*v258*/, v150, -v13
	s_set_vgpr_msb 0                        ;  msbs: dst=0 src0=0 src1=0 src2=0
	v_add_f32_e32 v7, v7, v21
	v_add_f32_e32 v9, v9, v85
	s_set_vgpr_msb 1                        ;  msbs: dst=0 src0=1 src1=0 src2=0
	v_dual_fmac_f32 v29, v5 /*v261*/, v152 :: v_dual_fma_f32 v15, v4 /*v260*/, v152, -v15
	v_dual_mul_f32 v33, v16 /*v272*/, v157 :: v_dual_mul_f32 v35, v18 /*v274*/, v159
	s_set_vgpr_msb 0                        ;  msbs: dst=0 src0=0 src1=0 src2=0
	v_add_f32_e32 v7, v7, v23
	v_add_f32_e32 v9, v9, v83
	s_set_vgpr_msb 1                        ;  msbs: dst=0 src0=1 src1=0 src2=0
	v_mul_f32_e32 v23, v21 /*v277*/, v161
	v_dual_mul_f32 v19, v17 /*v273*/, v157 :: v_dual_mul_f32 v21, v19 /*v275*/, v159
	s_set_vgpr_msb 0                        ;  msbs: dst=0 src0=0 src1=0 src2=0
	v_add_f32_e32 v7, v7, v25
	s_set_vgpr_msb 1                        ;  msbs: dst=0 src0=1 src1=0 src2=0
	v_dual_fmac_f32 v31, v15 /*v271*/, v154 :: v_dual_fma_f32 v17, v14 /*v270*/, v154, -v17
	v_dual_fmac_f32 v33, v17 /*v273*/, v156 :: v_dual_fma_f32 v19, v16 /*v272*/, v156, -v19
	s_set_vgpr_msb 0                        ;  msbs: dst=0 src0=0 src1=0 src2=0
	v_add_f32_e32 v7, v7, v27
	v_add_f32_e32 v9, v9, v11
	s_set_vgpr_msb 1                        ;  msbs: dst=0 src0=1 src1=0 src2=0
	v_dual_mul_f32 v11, v27 /*v283*/, v163 :: v_dual_mul_f32 v37, v20 /*v276*/, v161
	v_mul_f32_e32 v39, v26 /*v282*/, v163
	s_set_vgpr_msb 0                        ;  msbs: dst=0 src0=0 src1=0 src2=0
	v_add_f32_e32 v7, v7, v29
	v_add_f32_e32 v9, v9, v13
	s_set_vgpr_msb 1                        ;  msbs: dst=0 src0=1 src1=0 src2=0
	v_dual_mul_f32 v13, v29 /*v285*/, v165 :: v_dual_fmac_f32 v35, v19 /*v275*/, v158
	v_fma_f32 v21, v18 /*v274*/, v158, -v21
	s_set_vgpr_msb 0                        ;  msbs: dst=0 src0=0 src1=0 src2=0
	v_add_f32_e32 v7, v7, v31
	v_add_f32_e32 v9, v9, v15
	s_set_vgpr_msb 1                        ;  msbs: dst=0 src0=1 src1=0 src2=0
	v_dual_mul_f32 v15, v31 /*v287*/, v167 :: v_dual_fmac_f32 v37, v21 /*v277*/, v160
	v_fma_f32 v23, v20 /*v276*/, v160, -v23
	s_set_vgpr_msb 0                        ;  msbs: dst=0 src0=0 src1=0 src2=0
	v_add_f32_e32 v7, v7, v33
	v_add_f32_e32 v9, v9, v17
	s_set_vgpr_msb 1                        ;  msbs: dst=0 src0=1 src1=0 src2=0
	v_mul_f32_e32 v17, v33 /*v289*/, v169
	v_dual_mul_f32 v41, v28 /*v284*/, v165 :: v_dual_mul_f32 v43, v30 /*v286*/, v167
	s_set_vgpr_msb 0                        ;  msbs: dst=0 src0=0 src1=0 src2=0
	v_add_f32_e32 v7, v7, v35
	v_add_f32_e32 v9, v9, v19
	s_set_vgpr_msb 1                        ;  msbs: dst=0 src0=1 src1=0 src2=0
	v_mul_f32_e32 v19, v35 /*v291*/, v171
	v_dual_fmac_f32 v39, v27 /*v283*/, v162 :: v_dual_fmac_f32 v41, v29 /*v285*/, v164
	v_fmac_f32_e32 v43, v31 /*v287*/, v166
	s_set_vgpr_msb 0                        ;  msbs: dst=0 src0=0 src1=0 src2=0
	v_add_f32_e32 v7, v7, v37
	v_add_f32_e32 v9, v9, v21
	s_set_vgpr_msb 1                        ;  msbs: dst=0 src0=1 src1=0 src2=0
	v_dual_mul_f32 v21, v37 /*v293*/, v173 :: v_dual_fma_f32 v13, v28 /*v284*/, v164, -v13
	v_dual_mul_f32 v45, v32 /*v288*/, v169 :: v_dual_mul_f32 v47, v34 /*v290*/, v171
	s_set_vgpr_msb 0                        ;  msbs: dst=0 src0=0 src1=0 src2=0
	v_add_f32_e32 v7, v7, v39
	v_add_f32_e32 v9, v9, v23
	s_set_vgpr_msb 1                        ;  msbs: dst=0 src0=1 src1=0 src2=0
	v_dual_fma_f32 v11, v26 /*v282*/, v162, -v11 :: v_dual_mul_f32 v23, v39 /*v295*/, v175
	v_dual_fmac_f32 v45, v33 /*v289*/, v168 :: v_dual_fmac_f32 v47, v35 /*v291*/, v170
	s_set_vgpr_msb 0                        ;  msbs: dst=0 src0=0 src1=0 src2=0
	v_add_f32_e32 v7, v7, v41
	s_set_vgpr_msb 1                        ;  msbs: dst=0 src0=1 src1=0 src2=0
	v_fma_f32 v17, v32 /*v288*/, v168, -v17
	v_dual_mul_f32 v49, v36 /*v292*/, v173 :: v_dual_mul_f32 v51, v38 /*v294*/, v175
	v_fma_f32 v15, v30 /*v286*/, v166, -v15
	s_set_vgpr_msb 0                        ;  msbs: dst=0 src0=0 src1=0 src2=0
	v_add_f32_e32 v7, v7, v43
	v_add_f32_e32 v9, v9, v11
	s_set_vgpr_msb 1                        ;  msbs: dst=0 src0=1 src1=0 src2=0
	v_mul_f32_e32 v11, v41 /*v297*/, v177
	v_dual_fmac_f32 v49, v37 /*v293*/, v172 :: v_dual_fmac_f32 v51, v39 /*v295*/, v174
	s_set_vgpr_msb 0                        ;  msbs: dst=0 src0=0 src1=0 src2=0
	v_add_f32_e32 v7, v7, v45
	v_add_f32_e32 v9, v9, v13
	s_set_vgpr_msb 1                        ;  msbs: dst=0 src0=1 src1=0 src2=0
	v_fma_f32 v21, v36 /*v292*/, v172, -v21
	v_dual_mul_f32 v53, v40 /*v296*/, v177 :: v_dual_mul_f32 v55, v42 /*v298*/, v179
	s_set_vgpr_msb 0                        ;  msbs: dst=0 src0=0 src1=0 src2=0
	v_add_f32_e32 v7, v7, v47
	s_set_vgpr_msb 1                        ;  msbs: dst=0 src0=1 src1=0 src2=0
	v_mul_f32_e32 v13, v43 /*v299*/, v179
	s_set_vgpr_msb 0                        ;  msbs: dst=0 src0=0 src1=0 src2=0
	v_add_f32_e32 v9, v9, v15
	s_set_vgpr_msb 1                        ;  msbs: dst=0 src0=1 src1=0 src2=0
	v_dual_mul_f32 v15, v45 /*v301*/, v181 :: v_dual_fma_f32 v19, v34 /*v290*/, v170, -v19
	s_set_vgpr_msb 0                        ;  msbs: dst=0 src0=0 src1=0 src2=0
	v_add_f32_e32 v7, v7, v49
	s_set_vgpr_msb 1                        ;  msbs: dst=0 src0=1 src1=0 src2=0
	v_dual_fmac_f32 v53, v41 /*v297*/, v176 :: v_dual_fma_f32 v11, v40 /*v296*/, v176, -v11
	s_set_vgpr_msb 0                        ;  msbs: dst=0 src0=0 src1=0 src2=0
	v_add_f32_e32 v9, v9, v17
	s_set_vgpr_msb 1                        ;  msbs: dst=0 src0=1 src1=0 src2=0
	v_dual_fmac_f32 v55, v43 /*v299*/, v178 :: v_dual_fma_f32 v13, v42 /*v298*/, v178, -v13
	s_set_vgpr_msb 0                        ;  msbs: dst=0 src0=0 src1=0 src2=0
	v_add_f32_e32 v7, v7, v51
	s_set_vgpr_msb 1                        ;  msbs: dst=0 src0=1 src1=0 src2=0
	v_dual_mul_f32 v57, v44 /*v300*/, v181 :: v_dual_mul_f32 v59, v46 /*v302*/, v183
	v_mul_f32_e32 v17, v47 /*v303*/, v183
	s_set_vgpr_msb 0                        ;  msbs: dst=0 src0=0 src1=0 src2=0
	v_dual_add_f32 v9, v9, v19 :: v_dual_add_f32 v7, v7, v53
	s_set_vgpr_msb 1                        ;  msbs: dst=0 src0=1 src1=0 src2=0
	v_dual_mul_f32 v19, v49 /*v305*/, v185 :: v_dual_fma_f32 v23, v38 /*v294*/, v174, -v23
	v_dual_fmac_f32 v57, v45 /*v301*/, v180 :: v_dual_fma_f32 v15, v44 /*v300*/, v180, -v15
	s_set_vgpr_msb 0                        ;  msbs: dst=0 src0=0 src1=0 src2=0
	v_add_f32_e32 v9, v9, v21
	s_set_vgpr_msb 1                        ;  msbs: dst=0 src0=1 src1=0 src2=0
	v_dual_fmac_f32 v59, v47 /*v303*/, v182 :: v_dual_fma_f32 v17, v46 /*v302*/, v182, -v17
	s_set_vgpr_msb 0                        ;  msbs: dst=0 src0=0 src1=0 src2=0
	v_add_f32_e32 v7, v7, v55
	s_set_vgpr_msb 1                        ;  msbs: dst=0 src0=1 src1=0 src2=0
	v_dual_mul_f32 v61, v48 /*v304*/, v185 :: v_dual_mul_f32 v63, v50 /*v306*/, v187
	v_mul_f32_e32 v21, v51 /*v307*/, v187
	s_set_vgpr_msb 0                        ;  msbs: dst=0 src0=0 src1=0 src2=0
	v_dual_add_f32 v9, v9, v23 :: v_dual_add_f32 v7, v7, v57
	s_set_vgpr_msb 1                        ;  msbs: dst=0 src0=1 src1=0 src2=0
	v_dual_fmac_f32 v61, v49 /*v305*/, v184 :: v_dual_fma_f32 v19, v48 /*v304*/, v184, -v19
	v_dual_fmac_f32 v63, v51 /*v307*/, v186 :: v_dual_fma_f32 v21, v50 /*v306*/, v186, -v21
	s_set_vgpr_msb 0                        ;  msbs: dst=0 src0=0 src1=0 src2=0
	v_add_f32_e32 v7, v7, v59
	s_set_vgpr_msb 1                        ;  msbs: dst=0 src0=1 src1=0 src2=0
	v_dual_mul_f32 v65, v52 /*v308*/, v189 :: v_dual_mul_f32 v67, v54 /*v310*/, v191
	s_set_vgpr_msb 0                        ;  msbs: dst=0 src0=0 src1=0 src2=0
	v_add_f32_e32 v9, v9, v11
	s_set_vgpr_msb 1                        ;  msbs: dst=0 src0=1 src1=0 src2=0
	v_dual_mul_f32 v23, v53 /*v309*/, v189 :: v_dual_mul_f32 v11, v55 /*v311*/, v191
	s_set_vgpr_msb 0                        ;  msbs: dst=0 src0=0 src1=0 src2=0
	v_add_f32_e32 v7, v7, v61
	s_set_vgpr_msb 1                        ;  msbs: dst=0 src0=1 src1=0 src2=0
	v_fmac_f32_e32 v65, v53 /*v309*/, v188
	s_set_vgpr_msb 0                        ;  msbs: dst=0 src0=0 src1=0 src2=0
	v_add_f32_e32 v9, v9, v13
	s_set_vgpr_msb 1                        ;  msbs: dst=0 src0=1 src1=0 src2=0
	v_dual_mul_f32 v69, v56 /*v312*/, v193 :: v_dual_mul_f32 v71, v58 /*v314*/, v195
	s_set_vgpr_msb 0                        ;  msbs: dst=0 src0=0 src1=0 src2=0
	v_add_f32_e32 v7, v7, v63
	s_set_vgpr_msb 1                        ;  msbs: dst=0 src0=1 src1=0 src2=0
	v_fma_f32 v23, v52 /*v308*/, v188, -v23
	s_set_vgpr_msb 0                        ;  msbs: dst=0 src0=0 src1=0 src2=0
	v_add_f32_e32 v9, v9, v15
	s_set_vgpr_msb 1                        ;  msbs: dst=0 src0=1 src1=0 src2=0
	v_dual_fmac_f32 v67, v55 /*v311*/, v190 :: v_dual_fmac_f32 v69, v57 /*v313*/, v192
	s_set_vgpr_msb 0                        ;  msbs: dst=0 src0=0 src1=0 src2=0
	v_add_f32_e32 v7, v7, v65
	s_set_vgpr_msb 1                        ;  msbs: dst=0 src0=1 src1=0 src2=0
	v_dual_mul_f32 v73, v60 /*v316*/, v197 :: v_dual_mul_f32 v75, v62 /*v318*/, v199
	s_set_vgpr_msb 0                        ;  msbs: dst=0 src0=0 src1=0 src2=0
	v_add_f32_e32 v9, v9, v17
	s_set_vgpr_msb 1                        ;  msbs: dst=0 src0=1 src1=0 src2=0
	v_fmac_f32_e32 v71, v59 /*v315*/, v194
	s_set_vgpr_msb 0                        ;  msbs: dst=0 src0=0 src1=0 src2=0
	v_add_f32_e32 v7, v7, v67
	s_set_vgpr_msb 1                        ;  msbs: dst=0 src0=1 src1=0 src2=0
	v_dual_fmac_f32 v73, v61 /*v317*/, v196 :: v_dual_mul_f32 v77, v64 /*v320*/, v201
	v_mul_f32_e32 v79, v66 /*v322*/, v203
	s_set_vgpr_msb 0                        ;  msbs: dst=0 src0=0 src1=0 src2=0
	v_dual_add_f32 v9, v9, v19 :: v_dual_add_f32 v7, v7, v69
	s_set_vgpr_msb 1                        ;  msbs: dst=0 src0=1 src1=0 src2=0
	v_dual_mul_f32 v13, v57 /*v313*/, v193 :: v_dual_mul_f32 v15, v59 /*v315*/, v195
	v_fma_f32 v11, v54 /*v310*/, v190, -v11
	s_set_vgpr_msb 0                        ;  msbs: dst=0 src0=0 src1=0 src2=0
	v_dual_add_f32 v9, v9, v21 :: v_dual_add_f32 v7, v7, v71
	s_set_vgpr_msb 1                        ;  msbs: dst=0 src0=1 src1=0 src2=0
	v_dual_mul_f32 v21, v65 /*v321*/, v201 :: v_dual_fmac_f32 v75, v63 /*v319*/, v198
	v_fmac_f32_e32 v77, v65 /*v321*/, v200
	s_set_vgpr_msb 0                        ;  msbs: dst=0 src0=0 src1=0 src2=0
	v_dual_add_f32 v9, v9, v23 :: v_dual_add_f32 v7, v7, v73
	s_set_vgpr_msb 1                        ;  msbs: dst=0 src0=1 src1=0 src2=0
	v_dual_mul_f32 v23, v67 /*v323*/, v203 :: v_dual_fma_f32 v13, v56 /*v312*/, v192, -v13
	s_wait_loadcnt 0x4
	s_set_vgpr_msb 0                        ;  msbs: dst=0 src0=0 src1=0 src2=0
	v_mov_b32_e32 v136, v217
	s_set_vgpr_msb 1                        ;  msbs: dst=0 src0=1 src1=0 src2=0
	v_dual_mul_f32 v81, v68 /*v324*/, v205 :: v_dual_mul_f32 v87, v70 /*v326*/, v207
	s_set_vgpr_msb 0                        ;  msbs: dst=0 src0=0 src1=0 src2=0
	v_add_f32_e32 v7, v7, v75
	v_add_f32_e32 v9, v9, v11
	s_set_vgpr_msb 1                        ;  msbs: dst=0 src0=1 src1=0 src2=0
	v_dual_mul_f32 v17, v61 /*v317*/, v197 :: v_dual_mul_f32 v19, v63 /*v319*/, v199
	v_dual_mul_f32 v11, v69 /*v325*/, v205 :: v_dual_fma_f32 v15, v58 /*v314*/, v194, -v15
	v_dual_fma_f32 v21, v64 /*v320*/, v200, -v21 :: v_dual_fmac_f32 v79, v67 /*v323*/, v202
	s_set_vgpr_msb 0                        ;  msbs: dst=0 src0=0 src1=0 src2=0
	v_add_f32_e32 v7, v7, v77
	v_add_f32_e32 v9, v9, v13
	s_set_vgpr_msb 1                        ;  msbs: dst=0 src0=1 src1=0 src2=0
	v_dual_mul_f32 v13, v71 /*v327*/, v207 :: v_dual_fma_f32 v17, v60 /*v316*/, v196, -v17
	v_dual_fma_f32 v23, v66 /*v322*/, v202, -v23 :: v_dual_fmac_f32 v81, v69 /*v325*/, v204
	s_delay_alu instid0(VALU_DEP_2)
	v_dual_fma_f32 v11, v68 /*v324*/, v204, -v11 :: v_dual_fma_f32 v13, v70 /*v326*/, v206, -v13
	s_set_vgpr_msb 0                        ;  msbs: dst=0 src0=0 src1=0 src2=0
	v_add_f32_e32 v7, v7, v79
	v_add_f32_e32 v9, v9, v15
	s_set_vgpr_msb 1                        ;  msbs: dst=0 src0=1 src1=0 src2=0
	v_dual_mul_f32 v15, v73 /*v329*/, v209 :: v_dual_fma_f32 v19, v62 /*v318*/, v198, -v19
	s_set_vgpr_msb 0                        ;  msbs: dst=0 src0=0 src1=0 src2=0
	v_fmac_f32_e32 v131, v247, v210
	v_add_f32_e32 v7, v7, v81
	v_add_f32_e32 v9, v9, v17
	s_set_vgpr_msb 1                        ;  msbs: dst=0 src0=1 src1=0 src2=0
	v_dual_fmac_f32 v87, v71 /*v327*/, v206 :: v_dual_fmac_f32 v89, v73 /*v329*/, v208
	s_wait_loadcnt 0x3
	s_set_vgpr_msb 0                        ;  msbs: dst=0 src0=0 src1=0 src2=0
	v_mov_b32_e32 v140, v221
	v_pk_mul_f32 v[134:135], v[250:251], v[214:215] op_sel:[1,1] op_sel_hi:[0,1]
	v_add_f32_e32 v9, v9, v19
	v_mul_f32_e32 v17, v247, v211
	v_dual_add_f32 v7, v7, v87 :: v_dual_mul_f32 v19, v249, v213
	v_fmac_f32_e32 v133, v249, v212
	s_delay_alu instid0(VALU_DEP_3) | instskip(NEXT) | instid1(VALU_DEP_3)
	v_dual_add_f32 v9, v9, v21 :: v_dual_fma_f32 v130, v246, v210, -v17
	v_dual_add_f32 v143, v7, v89 :: v_dual_fma_f32 v132, v248, v212, -v19
	v_pk_fma_f32 v[144:145], v[250:251], v[214:215], v[134:135] op_sel_hi:[1,0,1]
	s_delay_alu instid0(VALU_DEP_3)
	v_add_f32_e32 v9, v9, v23
	s_set_vgpr_msb 1                        ;  msbs: dst=0 src0=1 src1=0 src2=0
	v_pk_mul_f32 v[136:137], v[76:77] /*v[332:333]*/, v[136:137] op_sel_hi:[1,0]
	s_set_vgpr_msb 0                        ;  msbs: dst=0 src0=0 src1=0 src2=0
	v_pk_fma_f32 v[134:135], v[250:251], v[214:215], v[134:135] neg_lo:[0,0,1] neg_hi:[0,0,1]
	s_set_vgpr_msb 1                        ;  msbs: dst=0 src0=1 src1=0 src2=0
	v_pk_mul_f32 v[138:139], v[6:7] /*v[262:263]*/, v[218:219] op_sel:[1,1] op_sel_hi:[0,1]
	s_set_vgpr_msb 0                        ;  msbs: dst=0 src0=0 src1=0 src2=0
	v_mov_b32_e32 v135, v145
	v_add_f32_e32 v9, v9, v11
	s_set_vgpr_msb 1                        ;  msbs: dst=0 src0=1 src1=0 src2=0
	v_fma_f32 v11, v72 /*v328*/, v208, -v15
	s_set_vgpr_msb 0                        ;  msbs: dst=0 src0=0 src1=0 src2=0
	v_pk_fma_f32 v[144:145], v[252:253], v[216:217], v[136:137] op_sel_hi:[1,0,1]
	v_pk_fma_f32 v[136:137], v[252:253], v[216:217], v[136:137] neg_lo:[0,0,1] neg_hi:[0,0,1]
	s_set_vgpr_msb 1                        ;  msbs: dst=0 src0=1 src1=0 src2=0
	v_pk_mul_f32 v[140:141], v[78:79] /*v[334:335]*/, v[140:141] op_sel_hi:[1,0]
	s_set_vgpr_msb 0                        ;  msbs: dst=0 src0=0 src1=0 src2=0
	v_add_f32_e32 v9, v9, v13
	v_mov_b32_e32 v137, v145
	s_delay_alu instid0(VALU_DEP_2) | instskip(NEXT) | instid1(VALU_DEP_1)
	v_add_f32_e32 v142, v9, v11
	v_pk_add_f32 v[130:131], v[142:143], v[130:131]
	s_wait_loadcnt 0x2
	s_set_vgpr_msb 1                        ;  msbs: dst=0 src0=1 src1=0 src2=0
	v_pk_mul_f32 v[142:143], v[10:11] /*v[266:267]*/, v[222:223] op_sel:[1,1] op_sel_hi:[0,1]
	s_set_vgpr_msb 0                        ;  msbs: dst=0 src0=0 src1=0 src2=0
	v_pk_add_f32 v[130:131], v[130:131], v[132:133]
	s_set_vgpr_msb 1                        ;  msbs: dst=0 src0=1 src1=0 src2=0
	v_pk_fma_f32 v[132:133], v[6:7] /*v[262:263]*/, v[218:219], v[138:139] op_sel_hi:[1,0,1]
	s_set_vgpr_msb 0                        ;  msbs: dst=0 src0=0 src1=0 src2=0
	v_mov_b32_e32 v132, v225
	v_pk_add_f32 v[130:131], v[130:131], v[134:135]
	s_set_vgpr_msb 1                        ;  msbs: dst=0 src0=1 src1=0 src2=0
	v_pk_fma_f32 v[134:135], v[6:7] /*v[262:263]*/, v[218:219], v[138:139] neg_lo:[0,0,1] neg_hi:[0,0,1]
	s_set_vgpr_msb 0                        ;  msbs: dst=0 src0=0 src1=0 src2=0
	v_mov_b32_e32 v135, v133
	s_set_vgpr_msb 1                        ;  msbs: dst=0 src0=1 src1=0 src2=0
	v_pk_fma_f32 v[138:139], v[8:9] /*v[264:265]*/, v[220:221], v[140:141] op_sel_hi:[1,0,1]
	v_pk_mul_f32 v[132:133], v[80:81] /*v[336:337]*/, v[132:133] op_sel_hi:[1,0]
	s_set_vgpr_msb 0                        ;  msbs: dst=0 src0=0 src1=0 src2=0
	v_pk_add_f32 v[130:131], v[130:131], v[136:137]
	s_set_vgpr_msb 1                        ;  msbs: dst=0 src0=1 src1=0 src2=0
	v_pk_fma_f32 v[136:137], v[10:11] /*v[266:267]*/, v[222:223], v[142:143] op_sel_hi:[1,0,1]
	v_pk_fma_f32 v[140:141], v[8:9] /*v[264:265]*/, v[220:221], v[140:141] neg_lo:[0,0,1] neg_hi:[0,0,1]
	s_set_vgpr_msb 0                        ;  msbs: dst=0 src0=0 src1=0 src2=0
	v_mov_b32_e32 v141, v139
	s_set_vgpr_msb 1                        ;  msbs: dst=0 src0=1 src1=0 src2=0
	v_pk_fma_f32 v[138:139], v[10:11] /*v[266:267]*/, v[222:223], v[142:143] neg_lo:[0,0,1] neg_hi:[0,0,1]
	s_set_vgpr_msb 0                        ;  msbs: dst=0 src0=0 src1=0 src2=0
	v_pk_add_f32 v[130:131], v[130:131], v[134:135]
	v_mov_b32_e32 v139, v137
	s_set_vgpr_msb 1                        ;  msbs: dst=0 src0=1 src1=0 src2=0
	v_pk_fma_f32 v[136:137], v[12:13] /*v[268:269]*/, v[224:225], v[132:133] op_sel_hi:[1,0,1]
	s_wait_loadcnt 0x1
	v_pk_mul_f32 v[134:135], v[22:23] /*v[278:279]*/, v[226:227] op_sel:[1,1] op_sel_hi:[0,1]
	s_set_vgpr_msb 0                        ;  msbs: dst=0 src0=0 src1=0 src2=0
	v_mov_b32_e32 v136, v229
	v_pk_add_f32 v[130:131], v[130:131], v[140:141]
	s_set_vgpr_msb 1                        ;  msbs: dst=0 src0=1 src1=0 src2=0
	v_pk_fma_f32 v[132:133], v[12:13] /*v[268:269]*/, v[224:225], v[132:133] neg_lo:[0,0,1] neg_hi:[0,0,1]
	v_pk_fma_f32 v[140:141], v[22:23] /*v[278:279]*/, v[226:227], v[134:135] op_sel_hi:[1,0,1]
	s_set_vgpr_msb 0                        ;  msbs: dst=0 src0=0 src1=0 src2=0
	v_mov_b32_e32 v133, v137
	v_pk_add_f32 v[130:131], v[130:131], v[138:139]
	s_set_vgpr_msb 1                        ;  msbs: dst=0 src0=1 src1=0 src2=0
	v_pk_mul_f32 v[136:137], v[82:83] /*v[338:339]*/, v[136:137] op_sel_hi:[1,0]
	v_pk_fma_f32 v[134:135], v[22:23] /*v[278:279]*/, v[226:227], v[134:135] neg_lo:[0,0,1] neg_hi:[0,0,1]
	s_set_vgpr_msb 0                        ;  msbs: dst=0 src0=0 src1=0 src2=0
	v_mov_b32_e32 v135, v141
	v_pk_add_f32 v[130:131], v[130:131], v[132:133]
	s_set_vgpr_msb 1                        ;  msbs: dst=0 src0=1 src1=0 src2=0
	v_pk_fma_f32 v[132:133], v[24:25] /*v[280:281]*/, v[228:229], v[136:137] op_sel_hi:[1,0,1]
	v_pk_fma_f32 v[136:137], v[24:25] /*v[280:281]*/, v[228:229], v[136:137] neg_lo:[0,0,1] neg_hi:[0,0,1]
	s_set_vgpr_msb 0                        ;  msbs: dst=0 src0=0 src1=0 src2=0
	v_pk_add_f32 v[130:131], v[130:131], v[134:135]
	s_delay_alu instid0(VALU_DEP_3) | instskip(NEXT) | instid1(VALU_DEP_1)
	v_mov_b32_e32 v137, v133
	v_pk_add_f32 v[130:131], v[130:131], v[136:137]
	s_wait_loadcnt 0x0
	s_set_vgpr_msb 1                        ;  msbs: dst=0 src0=1 src1=0 src2=0
	s_delay_alu instid0(VALU_DEP_1)
	v_pk_add_f32 v[130:131], v[74:75] /*v[330:331]*/, v[130:131] neg_lo:[0,1] neg_hi:[0,1]
	scratch_store_b64 off, v[130:131], off offset:104
	s_wait_xcnt 0x0
	v_cmpx_lt_u32_e32 12, v0
	s_set_vgpr_msb 0                        ;  msbs: dst=0 src0=0 src1=0 src2=0
	s_cbranch_execz .LBB63_373
; %bb.372:
	scratch_load_b64 v[130:131], off, off offset:96
	v_mov_b64_e32 v[132:133], 0
	scratch_store_b64 off, v[132:133], off offset:96
	s_wait_loadcnt 0x0
	ds_store_b64 v1, v[130:131]
.LBB63_373:
	s_wait_xcnt 0x0
	s_or_b32 exec_lo, exec_lo, s0
	s_wait_storecnt_dscnt 0x0
	s_barrier_signal -1
	s_barrier_wait -1
	s_clause 0x1b
	scratch_load_b128 v[130:133], off, off offset:104
	scratch_load_b128 v[134:137], off, off offset:120
	;; [unrolled: 1-line block ×25, first 2 shown]
	s_set_vgpr_msb 64                       ;  msbs: dst=1 src0=0 src1=0 src2=0
	scratch_load_b64 v[74:75] /*v[330:331]*/, off, off offset:504
	scratch_load_b64 v[76:77] /*v[332:333]*/, off, off offset:96
	s_set_vgpr_msb 0                        ;  msbs: dst=0 src0=0 src1=0 src2=0
	v_mov_b32_e32 v7, 0
	ds_load_2addr_b64 v[230:233], v7 offset0:77 offset1:78
	ds_load_2addr_b64 v[234:237], v7 offset0:79 offset1:80
	;; [unrolled: 1-line block ×7, first 2 shown]
	s_set_vgpr_msb 64                       ;  msbs: dst=1 src0=0 src1=0 src2=0
	ds_load_2addr_b64 v[2:5] /*v[258:261]*/, v7 offset0:87 offset1:88
	ds_load_2addr_b64 v[6:9] /*v[262:265]*/, v7 offset0:121 offset1:122
	;; [unrolled: 1-line block ×18, first 2 shown]
	ds_load_b64 v[78:79] /*v[334:335]*/, v7 offset:1016
	s_wait_dscnt 0x14
	v_dual_mov_b32 v80 /*v336*/, v253 :: v_dual_mov_b32 v81 /*v337*/, v252
	s_wait_dscnt 0x11
	s_set_vgpr_msb 0x41                     ;  msbs: dst=1 src0=1 src1=0 src2=0
	v_dual_mov_b32 v82 /*v338*/, v9 /*v265*/ :: v_dual_mov_b32 v83 /*v339*/, v8 /*v264*/
	s_wait_dscnt 0x10
	v_dual_mov_b32 v84 /*v340*/, v13 /*v269*/ :: v_dual_mov_b32 v85 /*v341*/, v12 /*v268*/
	s_wait_dscnt 0xd
	v_dual_mov_b32 v86 /*v342*/, v25 /*v281*/ :: v_dual_mov_b32 v87 /*v343*/, v24 /*v280*/
	s_mov_b32 s0, exec_lo
	s_wait_loadcnt 0x1a
	s_set_vgpr_msb 0                        ;  msbs: dst=0 src0=0 src1=0 src2=0
	v_dual_mul_f32 v9, v230, v131 :: v_dual_mul_f32 v11, v232, v133
	s_wait_loadcnt 0x19
	v_mul_f32_e32 v13, v234, v135
	v_dual_mul_f32 v91, v231, v131 :: v_dual_mul_f32 v97, v237, v137
	s_delay_alu instid0(VALU_DEP_3) | instskip(SKIP_1) | instid1(VALU_DEP_2)
	v_dual_fmac_f32 v9, v231, v130 :: v_dual_fmac_f32 v11, v233, v132
	s_wait_loadcnt 0x18
	v_dual_mul_f32 v99, v239, v139 :: v_dual_fma_f32 v91, v230, v130, -v91
	v_dual_mul_f32 v15, v236, v137 :: v_dual_mul_f32 v17, v238, v139
	v_dual_mul_f32 v95, v235, v135 :: v_dual_mul_f32 v101, v241, v141
	s_wait_loadcnt 0x16
	v_dual_mul_f32 v107, v255, v147 :: v_dual_mul_f32 v19, v240, v141
	v_dual_mul_f32 v21, v242, v143 :: v_dual_mul_f32 v93, v233, v133
	s_delay_alu instid0(VALU_DEP_3)
	v_dual_add_f32 v91, 0, v91 :: v_dual_fma_f32 v95, v234, v134, -v95
	s_wait_loadcnt_dscnt 0x701
	s_set_vgpr_msb 1                        ;  msbs: dst=0 src0=1 src1=0 src2=0
	v_mul_f32_e32 v87, v72 /*v328*/, v209
	s_wait_loadcnt 0x6
	s_set_vgpr_msb 0                        ;  msbs: dst=0 src0=0 src1=0 src2=0
	v_dual_mul_f32 v89, v246, v211 :: v_dual_fma_f32 v93, v232, v132, -v93
	v_dual_add_f32 v9, 0, v9 :: v_dual_fmac_f32 v13, v235, v134
	v_dual_mul_f32 v23, v244, v145 :: v_dual_mul_f32 v25, v254, v147
	v_fmac_f32_e32 v15, v237, v136
	s_delay_alu instid0(VALU_DEP_3) | instskip(SKIP_2) | instid1(VALU_DEP_3)
	v_dual_add_f32 v9, v9, v11 :: v_dual_add_f32 v11, v91, v93
	v_dual_fma_f32 v93, v236, v136, -v97 :: v_dual_mul_f32 v103, v243, v143
	v_mul_f32_e32 v105, v245, v145
	v_dual_add_f32 v9, v9, v13 :: v_dual_add_f32 v11, v11, v95
	v_dual_fma_f32 v95, v238, v138, -v99 :: v_dual_fmac_f32 v17, v239, v138
	v_fmac_f32_e32 v19, v241, v140
	s_delay_alu instid0(VALU_DEP_3)
	v_dual_add_f32 v9, v9, v15 :: v_dual_add_f32 v11, v11, v93
	v_fma_f32 v93, v240, v140, -v101
	s_set_vgpr_msb 1                        ;  msbs: dst=0 src0=1 src1=0 src2=0
	v_dual_mul_f32 v27, v0 /*v256*/, v149 :: v_dual_mul_f32 v29, v2 /*v258*/, v151
	s_set_vgpr_msb 0                        ;  msbs: dst=0 src0=0 src1=0 src2=0
	v_dual_add_f32 v9, v9, v17 :: v_dual_add_f32 v11, v11, v95
	v_dual_fma_f32 v95, v242, v142, -v103 :: v_dual_fmac_f32 v21, v243, v142
	v_fmac_f32_e32 v23, v245, v144
	s_delay_alu instid0(VALU_DEP_3)
	v_dual_add_f32 v9, v9, v19 :: v_dual_add_f32 v11, v11, v93
	v_fma_f32 v93, v244, v144, -v105
	s_set_vgpr_msb 1                        ;  msbs: dst=0 src0=1 src1=0 src2=0
	v_dual_mul_f32 v91, v1 /*v257*/, v149 :: v_dual_mul_f32 v13, v3 /*v259*/, v151
	s_set_vgpr_msb 0                        ;  msbs: dst=0 src0=0 src1=0 src2=0
	v_dual_add_f32 v9, v9, v21 :: v_dual_add_f32 v11, v11, v95
	v_dual_fma_f32 v95, v254, v146, -v107 :: v_dual_fmac_f32 v25, v255, v146
	s_set_vgpr_msb 1                        ;  msbs: dst=0 src0=1 src1=0 src2=0
	v_fmac_f32_e32 v27, v1 /*v257*/, v148
	s_set_vgpr_msb 0                        ;  msbs: dst=0 src0=0 src1=0 src2=0
	v_add_f32_e32 v9, v9, v23
	s_set_vgpr_msb 1                        ;  msbs: dst=0 src0=1 src1=0 src2=0
	v_dual_mul_f32 v23, v21 /*v277*/, v161 :: v_dual_fma_f32 v91, v0 /*v256*/, v148, -v91
	v_dual_mul_f32 v31, v4 /*v260*/, v153 :: v_dual_mul_f32 v33, v14 /*v270*/, v155
	s_set_vgpr_msb 0                        ;  msbs: dst=0 src0=0 src1=0 src2=0
	v_add_f32_e32 v9, v9, v25
	s_set_vgpr_msb 1                        ;  msbs: dst=0 src0=1 src1=0 src2=0
	v_mul_f32_e32 v25, v27 /*v283*/, v163
	s_set_vgpr_msb 0                        ;  msbs: dst=0 src0=0 src1=0 src2=0
	v_add_f32_e32 v11, v11, v93
	s_set_vgpr_msb 1                        ;  msbs: dst=0 src0=1 src1=0 src2=0
	v_dual_mul_f32 v15, v5 /*v261*/, v153 :: v_dual_mul_f32 v17, v15 /*v271*/, v155
	s_set_vgpr_msb 0                        ;  msbs: dst=0 src0=0 src1=0 src2=0
	v_add_f32_e32 v9, v9, v27
	s_set_vgpr_msb 1                        ;  msbs: dst=0 src0=1 src1=0 src2=0
	v_dual_fmac_f32 v29, v3 /*v259*/, v150 :: v_dual_mul_f32 v27, v29 /*v285*/, v165
	s_set_vgpr_msb 0                        ;  msbs: dst=0 src0=0 src1=0 src2=0
	v_add_f32_e32 v11, v11, v95
	s_set_vgpr_msb 1                        ;  msbs: dst=0 src0=1 src1=0 src2=0
	v_dual_fma_f32 v13, v2 /*v258*/, v150, -v13 :: v_dual_fmac_f32 v31, v5 /*v261*/, v152
	v_fma_f32 v15, v4 /*v260*/, v152, -v15
	s_set_vgpr_msb 0                        ;  msbs: dst=0 src0=0 src1=0 src2=0
	v_dual_add_f32 v9, v9, v29 :: v_dual_add_f32 v11, v11, v91
	s_set_vgpr_msb 1                        ;  msbs: dst=0 src0=1 src1=0 src2=0
	v_dual_mul_f32 v35, v16 /*v272*/, v157 :: v_dual_mul_f32 v37, v18 /*v274*/, v159
	v_dual_mul_f32 v19, v17 /*v273*/, v157 :: v_dual_mul_f32 v21, v19 /*v275*/, v159
	s_set_vgpr_msb 0                        ;  msbs: dst=0 src0=0 src1=0 src2=0
	v_dual_add_f32 v11, v11, v13 :: v_dual_add_f32 v9, v9, v31
	s_set_vgpr_msb 1                        ;  msbs: dst=0 src0=1 src1=0 src2=0
	v_mul_f32_e32 v13, v31 /*v287*/, v167
	v_fmac_f32_e32 v33, v15 /*v271*/, v154
	v_dual_fma_f32 v17, v14 /*v270*/, v154, -v17 :: v_dual_fmac_f32 v35, v17 /*v273*/, v156
	s_set_vgpr_msb 0                        ;  msbs: dst=0 src0=0 src1=0 src2=0
	v_add_f32_e32 v11, v11, v15
	s_set_vgpr_msb 1                        ;  msbs: dst=0 src0=1 src1=0 src2=0
	v_dual_mul_f32 v15, v33 /*v289*/, v169 :: v_dual_fma_f32 v19, v16 /*v272*/, v156, -v19
	s_set_vgpr_msb 0                        ;  msbs: dst=0 src0=0 src1=0 src2=0
	v_add_f32_e32 v9, v9, v33
	s_set_vgpr_msb 1                        ;  msbs: dst=0 src0=1 src1=0 src2=0
	v_dual_mul_f32 v39, v20 /*v276*/, v161 :: v_dual_mul_f32 v41, v26 /*v282*/, v163
	s_set_vgpr_msb 0                        ;  msbs: dst=0 src0=0 src1=0 src2=0
	v_add_f32_e32 v11, v11, v17
	s_set_vgpr_msb 1                        ;  msbs: dst=0 src0=1 src1=0 src2=0
	v_mul_f32_e32 v17, v35 /*v291*/, v171
	v_fmac_f32_e32 v37, v19 /*v275*/, v158
	v_dual_fma_f32 v21, v18 /*v274*/, v158, -v21 :: v_dual_fmac_f32 v39, v21 /*v277*/, v160
	s_set_vgpr_msb 0                        ;  msbs: dst=0 src0=0 src1=0 src2=0
	v_add_f32_e32 v9, v9, v35
	v_add_f32_e32 v11, v11, v19
	s_set_vgpr_msb 1                        ;  msbs: dst=0 src0=1 src1=0 src2=0
	v_dual_mul_f32 v19, v37 /*v293*/, v173 :: v_dual_fma_f32 v23, v20 /*v276*/, v160, -v23
	v_dual_mul_f32 v43, v28 /*v284*/, v165 :: v_dual_mul_f32 v45, v30 /*v286*/, v167
	s_set_vgpr_msb 0                        ;  msbs: dst=0 src0=0 src1=0 src2=0
	v_add_f32_e32 v9, v9, v37
	v_add_f32_e32 v11, v11, v21
	s_set_vgpr_msb 1                        ;  msbs: dst=0 src0=1 src1=0 src2=0
	v_mul_f32_e32 v21, v39 /*v295*/, v175
	v_fmac_f32_e32 v41, v27 /*v283*/, v162
	v_dual_fma_f32 v25, v26 /*v282*/, v162, -v25 :: v_dual_fmac_f32 v43, v29 /*v285*/, v164
	s_set_vgpr_msb 0                        ;  msbs: dst=0 src0=0 src1=0 src2=0
	v_add_f32_e32 v9, v9, v39
	v_add_f32_e32 v11, v11, v23
	s_set_vgpr_msb 1                        ;  msbs: dst=0 src0=1 src1=0 src2=0
	v_dual_mul_f32 v23, v41 /*v297*/, v177 :: v_dual_fma_f32 v27, v28 /*v284*/, v164, -v27
	v_dual_mul_f32 v47, v32 /*v288*/, v169 :: v_dual_mul_f32 v49, v34 /*v290*/, v171
	s_set_vgpr_msb 0                        ;  msbs: dst=0 src0=0 src1=0 src2=0
	v_add_f32_e32 v9, v9, v41
	;; [unrolled: 13-line block ×9, first 2 shown]
	v_add_f32_e32 v11, v11, v21
	s_set_vgpr_msb 1                        ;  msbs: dst=0 src0=1 src1=0 src2=0
	v_mul_f32_e32 v21, v71 /*v327*/, v207
	v_fmac_f32_e32 v73, v59 /*v315*/, v194
	v_dual_fma_f32 v25, v58 /*v314*/, v194, -v25 :: v_dual_fmac_f32 v75, v61 /*v317*/, v196
	s_set_vgpr_msb 0                        ;  msbs: dst=0 src0=0 src1=0 src2=0
	v_add_f32_e32 v9, v9, v71
	v_add_f32_e32 v11, v11, v23
	s_set_vgpr_msb 1                        ;  msbs: dst=0 src0=1 src1=0 src2=0
	v_dual_mul_f32 v23, v73 /*v329*/, v209 :: v_dual_fma_f32 v27, v60 /*v316*/, v196, -v27
	v_fmac_f32_e32 v77, v63 /*v319*/, v198
	s_set_vgpr_msb 0                        ;  msbs: dst=0 src0=0 src1=0 src2=0
	v_add_f32_e32 v9, v9, v73
	v_add_f32_e32 v11, v11, v25
	s_set_vgpr_msb 1                        ;  msbs: dst=0 src0=1 src1=0 src2=0
	v_dual_mul_f32 v79, v64 /*v320*/, v201 :: v_dual_mul_f32 v81, v66 /*v322*/, v203
	v_fma_f32 v13, v62 /*v318*/, v198, -v13
	s_set_vgpr_msb 0                        ;  msbs: dst=0 src0=0 src1=0 src2=0
	v_add_f32_e32 v9, v9, v75
	v_add_f32_e32 v11, v11, v27
	s_set_vgpr_msb 1                        ;  msbs: dst=0 src0=1 src1=0 src2=0
	v_fmac_f32_e32 v79, v65 /*v321*/, v200
	v_dual_fma_f32 v15, v64 /*v320*/, v200, -v15 :: v_dual_fmac_f32 v81, v67 /*v323*/, v202
	s_set_vgpr_msb 0                        ;  msbs: dst=0 src0=0 src1=0 src2=0
	v_add_f32_e32 v9, v9, v77
	v_add_f32_e32 v11, v11, v13
	s_set_vgpr_msb 1                        ;  msbs: dst=0 src0=1 src1=0 src2=0
	v_dual_mul_f32 v83, v68 /*v324*/, v205 :: v_dual_mul_f32 v85, v70 /*v326*/, v207
	v_fma_f32 v17, v66 /*v322*/, v202, -v17
	s_set_vgpr_msb 0                        ;  msbs: dst=0 src0=0 src1=0 src2=0
	v_add_f32_e32 v9, v9, v79
	v_add_f32_e32 v11, v11, v15
	s_set_vgpr_msb 1                        ;  msbs: dst=0 src0=1 src1=0 src2=0
	v_fmac_f32_e32 v83, v69 /*v325*/, v204
	v_dual_fma_f32 v15, v68 /*v324*/, v204, -v19 :: v_dual_fmac_f32 v85, v71 /*v327*/, v206
	s_set_vgpr_msb 0                        ;  msbs: dst=0 src0=0 src1=0 src2=0
	v_add_f32_e32 v9, v9, v81
	v_add_f32_e32 v11, v11, v17
	s_set_vgpr_msb 1                        ;  msbs: dst=0 src0=1 src1=0 src2=0
	v_dual_fma_f32 v17, v70 /*v326*/, v206, -v21 :: v_dual_fmac_f32 v87, v73 /*v329*/, v208
	s_set_vgpr_msb 0                        ;  msbs: dst=0 src0=0 src1=0 src2=0
	v_dual_mul_f32 v25, v247, v211 :: v_dual_mul_f32 v27, v249, v213
	v_add_f32_e32 v9, v9, v83
	s_wait_loadcnt 0x4
	v_dual_add_f32 v11, v11, v15 :: v_dual_mov_b32 v134, v221
	s_set_vgpr_msb 1                        ;  msbs: dst=0 src0=1 src1=0 src2=0
	v_fma_f32 v15, v72 /*v328*/, v208, -v23
	s_set_vgpr_msb 64                       ;  msbs: dst=1 src0=0 src1=0 src2=0
	v_dual_mul_f32 v89 /*v345*/, v248, v213 :: v_dual_mul_f32 v91 /*v347*/, v250, v215
	s_set_vgpr_msb 0                        ;  msbs: dst=0 src0=0 src1=0 src2=0
	v_dual_add_f32 v9, v9, v85 :: v_dual_fmac_f32 v89, v247, v210
	v_dual_add_f32 v11, v11, v17 :: v_dual_fma_f32 v17, v246, v210, -v25
	v_dual_mul_f32 v13, v251, v215 :: v_dual_mov_b32 v130, v217
	s_set_vgpr_msb 64                       ;  msbs: dst=1 src0=0 src1=0 src2=0
	v_dual_fmac_f32 v89 /*v345*/, v249, v212 :: v_dual_fmac_f32 v91 /*v347*/, v251, v214
	s_set_vgpr_msb 0                        ;  msbs: dst=0 src0=0 src1=0 src2=0
	v_add_f32_e32 v11, v11, v15
	v_add_f32_e32 v9, v9, v87
	s_set_vgpr_msb 64                       ;  msbs: dst=1 src0=0 src1=0 src2=0
	v_dual_fma_f32 v88 /*v344*/, v248, v212, -v27 :: v_dual_fma_f32 v90 /*v346*/, v250, v214, -v13
	s_set_vgpr_msb 1                        ;  msbs: dst=0 src0=1 src1=0 src2=0
	v_pk_mul_f32 v[130:131], v[80:81] /*v[336:337]*/, v[130:131] op_sel_hi:[1,0]
	s_set_vgpr_msb 0                        ;  msbs: dst=0 src0=0 src1=0 src2=0
	v_add_f32_e32 v138, v11, v17
	v_add_f32_e32 v139, v9, v89
	s_set_vgpr_msb 1                        ;  msbs: dst=0 src0=1 src1=0 src2=0
	v_pk_mul_f32 v[132:133], v[6:7] /*v[262:263]*/, v[218:219] op_sel:[1,1] op_sel_hi:[0,1]
	v_pk_mul_f32 v[134:135], v[82:83] /*v[338:339]*/, v[134:135] op_sel_hi:[1,0]
	s_set_vgpr_msb 0                        ;  msbs: dst=0 src0=0 src1=0 src2=0
	v_pk_fma_f32 v[142:143], v[252:253], v[216:217], v[130:131] op_sel_hi:[1,0,1]
	v_pk_fma_f32 v[130:131], v[252:253], v[216:217], v[130:131] neg_lo:[0,0,1] neg_hi:[0,0,1]
	s_set_vgpr_msb 4                        ;  msbs: dst=0 src0=0 src1=1 src2=0
	v_pk_add_f32 v[138:139], v[138:139], v[88:89] /*v[344:345]*/
	s_wait_loadcnt 0x3
	v_mov_b32_e32 v140, v225
	s_set_vgpr_msb 1                        ;  msbs: dst=0 src0=1 src1=0 src2=0
	v_pk_fma_f32 v[144:145], v[6:7] /*v[262:263]*/, v[218:219], v[132:133] op_sel_hi:[1,0,1]
	s_set_vgpr_msb 0                        ;  msbs: dst=0 src0=0 src1=0 src2=0
	v_mov_b32_e32 v131, v143
	s_set_vgpr_msb 1                        ;  msbs: dst=0 src0=1 src1=0 src2=0
	v_pk_fma_f32 v[132:133], v[6:7] /*v[262:263]*/, v[218:219], v[132:133] neg_lo:[0,0,1] neg_hi:[0,0,1]
	s_set_vgpr_msb 4                        ;  msbs: dst=0 src0=0 src1=1 src2=0
	v_pk_add_f32 v[138:139], v[138:139], v[90:91] /*v[346:347]*/
	s_set_vgpr_msb 1                        ;  msbs: dst=0 src0=1 src1=0 src2=0
	v_pk_mul_f32 v[136:137], v[10:11] /*v[266:267]*/, v[222:223] op_sel:[1,1] op_sel_hi:[0,1]
	s_set_vgpr_msb 0                        ;  msbs: dst=0 src0=0 src1=0 src2=0
	v_mov_b32_e32 v133, v145
	s_set_vgpr_msb 1                        ;  msbs: dst=0 src0=1 src1=0 src2=0
	v_pk_fma_f32 v[144:145], v[8:9] /*v[264:265]*/, v[220:221], v[134:135] op_sel_hi:[1,0,1]
	v_pk_fma_f32 v[134:135], v[8:9] /*v[264:265]*/, v[220:221], v[134:135] neg_lo:[0,0,1] neg_hi:[0,0,1]
	s_set_vgpr_msb 0                        ;  msbs: dst=0 src0=0 src1=0 src2=0
	v_pk_add_f32 v[130:131], v[138:139], v[130:131]
	s_set_vgpr_msb 1                        ;  msbs: dst=0 src0=1 src1=0 src2=0
	v_pk_fma_f32 v[138:139], v[10:11] /*v[266:267]*/, v[222:223], v[136:137] op_sel_hi:[1,0,1]
	v_pk_mul_f32 v[140:141], v[84:85] /*v[340:341]*/, v[140:141] op_sel_hi:[1,0]
	s_set_vgpr_msb 0                        ;  msbs: dst=0 src0=0 src1=0 src2=0
	v_mov_b32_e32 v135, v145
	s_set_vgpr_msb 1                        ;  msbs: dst=0 src0=1 src1=0 src2=0
	v_pk_fma_f32 v[136:137], v[10:11] /*v[266:267]*/, v[222:223], v[136:137] neg_lo:[0,0,1] neg_hi:[0,0,1]
	s_set_vgpr_msb 0                        ;  msbs: dst=0 src0=0 src1=0 src2=0
	v_pk_add_f32 v[130:131], v[130:131], v[132:133]
	s_wait_loadcnt 0x2
	s_set_vgpr_msb 1                        ;  msbs: dst=0 src0=1 src1=0 src2=0
	v_pk_mul_f32 v[142:143], v[22:23] /*v[278:279]*/, v[226:227] op_sel:[1,1] op_sel_hi:[0,1]
	s_set_vgpr_msb 0                        ;  msbs: dst=0 src0=0 src1=0 src2=0
	v_dual_mov_b32 v132, v229 :: v_dual_mov_b32 v137, v139
	s_set_vgpr_msb 1                        ;  msbs: dst=0 src0=1 src1=0 src2=0
	v_pk_fma_f32 v[138:139], v[12:13] /*v[268:269]*/, v[224:225], v[140:141] op_sel_hi:[1,0,1]
	s_set_vgpr_msb 0                        ;  msbs: dst=0 src0=0 src1=0 src2=0
	v_pk_add_f32 v[130:131], v[130:131], v[134:135]
	s_set_vgpr_msb 1                        ;  msbs: dst=0 src0=1 src1=0 src2=0
	v_pk_fma_f32 v[140:141], v[12:13] /*v[268:269]*/, v[224:225], v[140:141] neg_lo:[0,0,1] neg_hi:[0,0,1]
	v_pk_fma_f32 v[134:135], v[22:23] /*v[278:279]*/, v[226:227], v[142:143] op_sel_hi:[1,0,1]
	v_pk_mul_f32 v[132:133], v[86:87] /*v[342:343]*/, v[132:133] op_sel_hi:[1,0]
	s_set_vgpr_msb 0                        ;  msbs: dst=0 src0=0 src1=0 src2=0
	v_mov_b32_e32 v141, v139
	v_pk_add_f32 v[130:131], v[130:131], v[136:137]
	s_set_vgpr_msb 1                        ;  msbs: dst=0 src0=1 src1=0 src2=0
	v_pk_fma_f32 v[136:137], v[22:23] /*v[278:279]*/, v[226:227], v[142:143] neg_lo:[0,0,1] neg_hi:[0,0,1]
	s_set_vgpr_msb 0                        ;  msbs: dst=0 src0=0 src1=0 src2=0
	v_mov_b32_e32 v137, v135
	s_set_vgpr_msb 1                        ;  msbs: dst=0 src0=1 src1=0 src2=0
	v_pk_fma_f32 v[134:135], v[24:25] /*v[280:281]*/, v[228:229], v[132:133] op_sel_hi:[1,0,1]
	s_wait_loadcnt_dscnt 0x100
	s_set_vgpr_msb 5                        ;  msbs: dst=0 src0=1 src1=1 src2=0
	v_pk_mul_f32 v[138:139], v[78:79] /*v[334:335]*/, v[74:75] /*v[330:331]*/ op_sel:[1,1] op_sel_hi:[0,1]
	s_set_vgpr_msb 0                        ;  msbs: dst=0 src0=0 src1=0 src2=0
	v_pk_add_f32 v[130:131], v[130:131], v[140:141]
	s_set_vgpr_msb 1                        ;  msbs: dst=0 src0=1 src1=0 src2=0
	v_pk_fma_f32 v[132:133], v[24:25] /*v[280:281]*/, v[228:229], v[132:133] neg_lo:[0,0,1] neg_hi:[0,0,1]
	s_set_vgpr_msb 0                        ;  msbs: dst=0 src0=0 src1=0 src2=0
	v_mov_b32_e32 v133, v135
	s_set_vgpr_msb 5                        ;  msbs: dst=0 src0=1 src1=1 src2=0
	v_pk_fma_f32 v[134:135], v[78:79] /*v[334:335]*/, v[74:75] /*v[330:331]*/, v[138:139] op_sel_hi:[1,0,1]
	s_set_vgpr_msb 0                        ;  msbs: dst=0 src0=0 src1=0 src2=0
	v_pk_add_f32 v[130:131], v[130:131], v[136:137]
	s_set_vgpr_msb 5                        ;  msbs: dst=0 src0=1 src1=1 src2=0
	v_pk_fma_f32 v[136:137], v[78:79] /*v[334:335]*/, v[74:75] /*v[330:331]*/, v[138:139] neg_lo:[0,0,1] neg_hi:[0,0,1]
	s_set_vgpr_msb 0                        ;  msbs: dst=0 src0=0 src1=0 src2=0
	v_mov_b32_e32 v137, v135
	v_pk_add_f32 v[130:131], v[130:131], v[132:133]
	s_delay_alu instid0(VALU_DEP_1) | instskip(SKIP_2) | instid1(VALU_DEP_1)
	v_pk_add_f32 v[130:131], v[130:131], v[136:137]
	s_wait_loadcnt 0x0
	s_set_vgpr_msb 1                        ;  msbs: dst=0 src0=1 src1=0 src2=0
	v_pk_add_f32 v[130:131], v[76:77] /*v[332:333]*/, v[130:131] neg_lo:[0,1] neg_hi:[0,1]
	scratch_store_b64 off, v[130:131], off offset:96
	s_wait_xcnt 0x0
	v_cmpx_lt_u32_e32 11, v0
	s_set_vgpr_msb 0                        ;  msbs: dst=0 src0=0 src1=0 src2=0
	s_cbranch_execz .LBB63_375
; %bb.374:
	scratch_load_b64 v[130:131], off, off offset:88
	v_mov_b64_e32 v[132:133], 0
	scratch_store_b64 off, v[132:133], off offset:88
	s_wait_loadcnt 0x0
	ds_store_b64 v1, v[130:131]
.LBB63_375:
	s_wait_xcnt 0x0
	s_or_b32 exec_lo, exec_lo, s0
	s_wait_storecnt_dscnt 0x0
	s_barrier_signal -1
	s_barrier_wait -1
	s_clause 0x18
	scratch_load_b128 v[130:133], off, off offset:96
	scratch_load_b128 v[134:137], off, off offset:112
	scratch_load_b128 v[138:141], off, off offset:128
	scratch_load_b128 v[142:145], off, off offset:144
	scratch_load_b128 v[146:149], off, off offset:160
	scratch_load_b128 v[150:153], off, off offset:176
	scratch_load_b128 v[154:157], off, off offset:192
	scratch_load_b128 v[158:161], off, off offset:208
	scratch_load_b128 v[162:165], off, off offset:224
	scratch_load_b128 v[166:169], off, off offset:240
	scratch_load_b128 v[170:173], off, off offset:256
	scratch_load_b128 v[174:177], off, off offset:272
	scratch_load_b128 v[178:181], off, off offset:288
	scratch_load_b128 v[182:185], off, off offset:304
	scratch_load_b128 v[186:189], off, off offset:320
	scratch_load_b128 v[190:193], off, off offset:336
	scratch_load_b128 v[194:197], off, off offset:352
	scratch_load_b128 v[198:201], off, off offset:368
	scratch_load_b128 v[202:205], off, off offset:384
	scratch_load_b128 v[206:209], off, off offset:400
	scratch_load_b128 v[210:213], off, off offset:416
	scratch_load_b128 v[214:217], off, off offset:432
	scratch_load_b128 v[218:221], off, off offset:448
	scratch_load_b128 v[222:225], off, off offset:464
	scratch_load_b128 v[226:229], off, off offset:480
	ds_load_b128 v[230:233], v7 offset:608
	ds_load_b128 v[234:237], v7 offset:624
	scratch_load_b128 v[238:241], off, off offset:496
	ds_load_b128 v[242:245], v7 offset:640
	ds_load_b128 v[246:249], v7 offset:656
	;; [unrolled: 1-line block ×4, first 2 shown]
	s_set_vgpr_msb 64                       ;  msbs: dst=1 src0=0 src1=0 src2=0
	ds_load_b128 v[2:5] /*v[258:261]*/, v7 offset:960
	ds_load_b128 v[6:9] /*v[262:265]*/, v7 offset:704
	;; [unrolled: 1-line block ×20, first 2 shown]
	scratch_load_b64 v[82:83] /*v[338:339]*/, off, off offset:88
	s_wait_dscnt 0x13
	s_set_vgpr_msb 0x41                     ;  msbs: dst=1 src0=1 src1=0 src2=0
	v_dual_mov_b32 v84 /*v340*/, v5 /*v261*/ :: v_dual_mov_b32 v85 /*v341*/, v4 /*v260*/
	s_wait_dscnt 0x10
	v_dual_mov_b32 v86 /*v342*/, v17 /*v273*/ :: v_dual_mov_b32 v87 /*v343*/, v16 /*v272*/
	s_wait_dscnt 0xf
	;; [unrolled: 2-line block ×3, first 2 shown]
	v_dual_mov_b32 v90 /*v346*/, v33 /*v289*/ :: v_dual_mov_b32 v91 /*v347*/, v32 /*v288*/
	s_mov_b32 s0, exec_lo
	s_wait_loadcnt 0x1a
	s_set_vgpr_msb 0                        ;  msbs: dst=0 src0=0 src1=0 src2=0
	v_dual_mul_f32 v7, v230, v131 :: v_dual_mul_f32 v9, v232, v133
	s_wait_loadcnt 0x19
	v_dual_mul_f32 v91, v231, v131 :: v_dual_mul_f32 v97, v237, v137
	v_dual_mul_f32 v11, v234, v135 :: v_dual_mul_f32 v13, v236, v137
	s_delay_alu instid0(VALU_DEP_3) | instskip(SKIP_4) | instid1(VALU_DEP_3)
	v_dual_fmac_f32 v7, v231, v130 :: v_dual_fmac_f32 v9, v233, v132
	s_wait_loadcnt 0x15
	v_dual_mul_f32 v27, v254, v151 :: v_dual_mul_f32 v93, v233, v133
	v_dual_mul_f32 v95, v235, v135 :: v_dual_mul_f32 v101, v245, v141
	v_dual_mul_f32 v99, v243, v139 :: v_dual_fma_f32 v91, v230, v130, -v91
	v_dual_mul_f32 v103, v247, v143 :: v_dual_fma_f32 v93, v232, v132, -v93
	v_dual_add_f32 v7, 0, v7 :: v_dual_fmac_f32 v11, v235, v134
	s_delay_alu instid0(VALU_DEP_3)
	v_dual_fmac_f32 v13, v237, v136 :: v_dual_add_f32 v91, 0, v91
	v_mul_f32_e32 v105, v249, v145
	s_wait_loadcnt_dscnt 0x601
	s_set_vgpr_msb 1                        ;  msbs: dst=0 src0=1 src1=0 src2=0
	v_mul_f32_e32 v89, v76 /*v332*/, v213
	s_set_vgpr_msb 0                        ;  msbs: dst=0 src0=0 src1=0 src2=0
	v_dual_fma_f32 v95, v234, v134, -v95 :: v_dual_add_f32 v7, v7, v9
	v_dual_mul_f32 v15, v242, v139 :: v_dual_mul_f32 v17, v244, v141
	v_dual_add_f32 v9, v91, v93 :: v_dual_fma_f32 v93, v236, v136, -v97
	s_delay_alu instid0(VALU_DEP_3) | instskip(NEXT) | instid1(VALU_DEP_3)
	v_add_f32_e32 v7, v7, v11
	v_dual_fmac_f32 v15, v243, v138 :: v_dual_mul_f32 v19, v246, v143
	s_delay_alu instid0(VALU_DEP_3) | instskip(NEXT) | instid1(VALU_DEP_3)
	v_dual_mul_f32 v21, v248, v145 :: v_dual_add_f32 v9, v9, v95
	v_dual_fma_f32 v95, v242, v138, -v99 :: v_dual_add_f32 v7, v7, v13
	v_dual_fmac_f32 v17, v245, v140 :: v_dual_mul_f32 v13, v255, v151
	s_delay_alu instid0(VALU_DEP_3) | instskip(NEXT) | instid1(VALU_DEP_3)
	v_dual_add_f32 v9, v9, v93 :: v_dual_fma_f32 v93, v244, v140, -v101
	v_add_f32_e32 v7, v7, v15
	v_dual_fmac_f32 v19, v247, v142 :: v_dual_mul_f32 v23, v250, v147
	s_delay_alu instid0(VALU_DEP_3) | instskip(NEXT) | instid1(VALU_DEP_3)
	v_dual_mul_f32 v25, v252, v149 :: v_dual_add_f32 v9, v9, v95
	v_dual_fma_f32 v95, v246, v142, -v103 :: v_dual_add_f32 v7, v7, v17
	v_dual_mul_f32 v91, v251, v147 :: v_dual_mul_f32 v11, v253, v149
	s_delay_alu instid0(VALU_DEP_3) | instskip(NEXT) | instid1(VALU_DEP_3)
	v_dual_add_f32 v9, v9, v93 :: v_dual_fma_f32 v93, v248, v144, -v105
	v_dual_fmac_f32 v21, v249, v144 :: v_dual_add_f32 v7, v7, v19
	s_delay_alu instid0(VALU_DEP_2) | instskip(NEXT) | instid1(VALU_DEP_4)
	v_dual_fmac_f32 v23, v251, v146 :: v_dual_add_f32 v9, v9, v95
	v_fma_f32 v91, v250, v146, -v91
	s_set_vgpr_msb 1                        ;  msbs: dst=0 src0=1 src1=0 src2=0
	v_dual_mul_f32 v29, v0 /*v256*/, v153 :: v_dual_mul_f32 v31, v6 /*v262*/, v155
	s_set_vgpr_msb 0                        ;  msbs: dst=0 src0=0 src1=0 src2=0
	v_add_f32_e32 v7, v7, v21
	v_dual_add_f32 v9, v9, v93 :: v_dual_fma_f32 v11, v252, v148, -v11
	v_fmac_f32_e32 v25, v253, v148
	s_set_vgpr_msb 1                        ;  msbs: dst=0 src0=1 src1=0 src2=0
	v_dual_mul_f32 v15, v1 /*v257*/, v153 :: v_dual_mul_f32 v17, v7 /*v263*/, v155
	s_set_vgpr_msb 0                        ;  msbs: dst=0 src0=0 src1=0 src2=0
	v_add_f32_e32 v7, v7, v23
	v_dual_add_f32 v9, v9, v91 :: v_dual_fmac_f32 v27, v255, v150
	v_fma_f32 v13, v254, v150, -v13
	s_set_vgpr_msb 1                        ;  msbs: dst=0 src0=1 src1=0 src2=0
	v_dual_fmac_f32 v29, v1 /*v257*/, v152 :: v_dual_fma_f32 v15, v0 /*v256*/, v152, -v15
	s_set_vgpr_msb 0                        ;  msbs: dst=0 src0=0 src1=0 src2=0
	v_add_f32_e32 v7, v7, v25
	s_set_vgpr_msb 1                        ;  msbs: dst=0 src0=1 src1=0 src2=0
	v_dual_mul_f32 v33, v8 /*v264*/, v157 :: v_dual_mul_f32 v35, v10 /*v266*/, v159
	v_dual_mul_f32 v19, v9 /*v265*/, v157 :: v_dual_mul_f32 v21, v11 /*v267*/, v159
	s_set_vgpr_msb 0                        ;  msbs: dst=0 src0=0 src1=0 src2=0
	v_add_f32_e32 v7, v7, v27
	v_add_f32_e32 v9, v9, v11
	s_set_vgpr_msb 1                        ;  msbs: dst=0 src0=1 src1=0 src2=0
	v_dual_fmac_f32 v31, v7 /*v263*/, v154 :: v_dual_fma_f32 v17, v6 /*v262*/, v154, -v17
	v_dual_fmac_f32 v33, v9 /*v265*/, v156 :: v_dual_fma_f32 v19, v8 /*v264*/, v156, -v19
	s_set_vgpr_msb 0                        ;  msbs: dst=0 src0=0 src1=0 src2=0
	v_add_f32_e32 v7, v7, v29
	v_add_f32_e32 v9, v9, v13
	s_set_vgpr_msb 1                        ;  msbs: dst=0 src0=1 src1=0 src2=0
	v_mul_f32_e32 v13, v25 /*v281*/, v165
	v_dual_mul_f32 v37, v12 /*v268*/, v161 :: v_dual_mul_f32 v39, v22 /*v278*/, v163
	s_set_vgpr_msb 0                        ;  msbs: dst=0 src0=0 src1=0 src2=0
	v_add_f32_e32 v7, v7, v31
	v_add_f32_e32 v9, v9, v15
	s_set_vgpr_msb 1                        ;  msbs: dst=0 src0=1 src1=0 src2=0
	v_dual_mul_f32 v23, v13 /*v269*/, v161 :: v_dual_mul_f32 v11, v23 /*v279*/, v163
	v_mul_f32_e32 v15, v27 /*v283*/, v167
	v_fmac_f32_e32 v35, v11 /*v267*/, v158
	s_set_vgpr_msb 0                        ;  msbs: dst=0 src0=0 src1=0 src2=0
	v_add_f32_e32 v7, v7, v33
	v_add_f32_e32 v9, v9, v17
	s_set_vgpr_msb 1                        ;  msbs: dst=0 src0=1 src1=0 src2=0
	v_dual_mul_f32 v17, v29 /*v285*/, v169 :: v_dual_fma_f32 v21, v10 /*v266*/, v158, -v21
	v_dual_fmac_f32 v37, v13 /*v269*/, v160 :: v_dual_fma_f32 v23, v12 /*v268*/, v160, -v23
	s_set_vgpr_msb 0                        ;  msbs: dst=0 src0=0 src1=0 src2=0
	v_add_f32_e32 v7, v7, v35
	v_add_f32_e32 v9, v9, v19
	s_set_vgpr_msb 1                        ;  msbs: dst=0 src0=1 src1=0 src2=0
	v_dual_mul_f32 v41, v24 /*v280*/, v165 :: v_dual_mul_f32 v43, v26 /*v282*/, v167
	v_mul_f32_e32 v19, v35 /*v291*/, v171
	v_fmac_f32_e32 v39, v23 /*v279*/, v162
	s_set_vgpr_msb 0                        ;  msbs: dst=0 src0=0 src1=0 src2=0
	v_add_f32_e32 v7, v7, v37
	v_add_f32_e32 v9, v9, v21
	s_set_vgpr_msb 1                        ;  msbs: dst=0 src0=1 src1=0 src2=0
	v_mul_f32_e32 v21, v37 /*v293*/, v173
	v_dual_fmac_f32 v41, v25 /*v281*/, v164 :: v_dual_fmac_f32 v43, v27 /*v283*/, v166
	v_fma_f32 v13, v24 /*v280*/, v164, -v13
	s_set_vgpr_msb 0                        ;  msbs: dst=0 src0=0 src1=0 src2=0
	v_add_f32_e32 v7, v7, v39
	s_set_vgpr_msb 1                        ;  msbs: dst=0 src0=1 src1=0 src2=0
	v_dual_mul_f32 v45, v28 /*v284*/, v169 :: v_dual_mul_f32 v47, v34 /*v290*/, v171
	s_set_vgpr_msb 0                        ;  msbs: dst=0 src0=0 src1=0 src2=0
	v_add_f32_e32 v9, v9, v23
	s_set_vgpr_msb 1                        ;  msbs: dst=0 src0=1 src1=0 src2=0
	v_dual_fma_f32 v11, v22 /*v278*/, v162, -v11 :: v_dual_mul_f32 v23, v39 /*v295*/, v175
	s_set_vgpr_msb 0                        ;  msbs: dst=0 src0=0 src1=0 src2=0
	v_add_f32_e32 v7, v7, v41
	s_set_vgpr_msb 1                        ;  msbs: dst=0 src0=1 src1=0 src2=0
	v_dual_fmac_f32 v45, v29 /*v285*/, v168 :: v_dual_fmac_f32 v47, v35 /*v291*/, v170
	v_fma_f32 v17, v28 /*v284*/, v168, -v17
	v_dual_mul_f32 v49, v36 /*v292*/, v173 :: v_dual_mul_f32 v51, v38 /*v294*/, v175
	s_set_vgpr_msb 0                        ;  msbs: dst=0 src0=0 src1=0 src2=0
	v_add_f32_e32 v7, v7, v43
	v_add_f32_e32 v9, v9, v11
	s_set_vgpr_msb 1                        ;  msbs: dst=0 src0=1 src1=0 src2=0
	v_dual_mul_f32 v11, v41 /*v297*/, v177 :: v_dual_fma_f32 v15, v26 /*v282*/, v166, -v15
	v_dual_fmac_f32 v49, v37 /*v293*/, v172 :: v_dual_fmac_f32 v51, v39 /*v295*/, v174
	s_set_vgpr_msb 0                        ;  msbs: dst=0 src0=0 src1=0 src2=0
	v_add_f32_e32 v7, v7, v45
	v_add_f32_e32 v9, v9, v13
	s_set_vgpr_msb 1                        ;  msbs: dst=0 src0=1 src1=0 src2=0
	v_fma_f32 v21, v36 /*v292*/, v172, -v21
	v_dual_mul_f32 v53, v40 /*v296*/, v177 :: v_dual_mul_f32 v55, v42 /*v298*/, v179
	s_set_vgpr_msb 0                        ;  msbs: dst=0 src0=0 src1=0 src2=0
	v_add_f32_e32 v7, v7, v47
	s_set_vgpr_msb 1                        ;  msbs: dst=0 src0=1 src1=0 src2=0
	v_mul_f32_e32 v13, v43 /*v299*/, v179
	s_set_vgpr_msb 0                        ;  msbs: dst=0 src0=0 src1=0 src2=0
	v_add_f32_e32 v9, v9, v15
	s_set_vgpr_msb 1                        ;  msbs: dst=0 src0=1 src1=0 src2=0
	v_dual_mul_f32 v15, v45 /*v301*/, v181 :: v_dual_fma_f32 v19, v34 /*v290*/, v170, -v19
	s_set_vgpr_msb 0                        ;  msbs: dst=0 src0=0 src1=0 src2=0
	v_add_f32_e32 v7, v7, v49
	s_set_vgpr_msb 1                        ;  msbs: dst=0 src0=1 src1=0 src2=0
	v_dual_fmac_f32 v53, v41 /*v297*/, v176 :: v_dual_fma_f32 v11, v40 /*v296*/, v176, -v11
	s_set_vgpr_msb 0                        ;  msbs: dst=0 src0=0 src1=0 src2=0
	v_add_f32_e32 v9, v9, v17
	s_set_vgpr_msb 1                        ;  msbs: dst=0 src0=1 src1=0 src2=0
	v_dual_fmac_f32 v55, v43 /*v299*/, v178 :: v_dual_fma_f32 v13, v42 /*v298*/, v178, -v13
	s_set_vgpr_msb 0                        ;  msbs: dst=0 src0=0 src1=0 src2=0
	v_add_f32_e32 v7, v7, v51
	s_set_vgpr_msb 1                        ;  msbs: dst=0 src0=1 src1=0 src2=0
	v_dual_mul_f32 v57, v44 /*v300*/, v181 :: v_dual_mul_f32 v59, v46 /*v302*/, v183
	v_mul_f32_e32 v17, v47 /*v303*/, v183
	s_set_vgpr_msb 0                        ;  msbs: dst=0 src0=0 src1=0 src2=0
	v_dual_add_f32 v9, v9, v19 :: v_dual_add_f32 v7, v7, v53
	s_set_vgpr_msb 1                        ;  msbs: dst=0 src0=1 src1=0 src2=0
	v_dual_mul_f32 v19, v49 /*v305*/, v185 :: v_dual_fma_f32 v23, v38 /*v294*/, v174, -v23
	v_dual_fmac_f32 v57, v45 /*v301*/, v180 :: v_dual_fma_f32 v15, v44 /*v300*/, v180, -v15
	s_set_vgpr_msb 0                        ;  msbs: dst=0 src0=0 src1=0 src2=0
	v_add_f32_e32 v9, v9, v21
	s_set_vgpr_msb 1                        ;  msbs: dst=0 src0=1 src1=0 src2=0
	v_dual_fmac_f32 v59, v47 /*v303*/, v182 :: v_dual_fma_f32 v17, v46 /*v302*/, v182, -v17
	s_set_vgpr_msb 0                        ;  msbs: dst=0 src0=0 src1=0 src2=0
	v_add_f32_e32 v7, v7, v55
	s_set_vgpr_msb 1                        ;  msbs: dst=0 src0=1 src1=0 src2=0
	v_dual_mul_f32 v61, v48 /*v304*/, v185 :: v_dual_mul_f32 v63, v50 /*v306*/, v187
	v_mul_f32_e32 v21, v51 /*v307*/, v187
	s_set_vgpr_msb 0                        ;  msbs: dst=0 src0=0 src1=0 src2=0
	v_dual_add_f32 v9, v9, v23 :: v_dual_add_f32 v7, v7, v57
	s_set_vgpr_msb 1                        ;  msbs: dst=0 src0=1 src1=0 src2=0
	v_dual_fmac_f32 v61, v49 /*v305*/, v184 :: v_dual_fma_f32 v19, v48 /*v304*/, v184, -v19
	v_dual_fmac_f32 v63, v51 /*v307*/, v186 :: v_dual_fma_f32 v21, v50 /*v306*/, v186, -v21
	s_set_vgpr_msb 0                        ;  msbs: dst=0 src0=0 src1=0 src2=0
	v_add_f32_e32 v7, v7, v59
	v_add_f32_e32 v9, v9, v11
	s_set_vgpr_msb 1                        ;  msbs: dst=0 src0=1 src1=0 src2=0
	v_dual_mul_f32 v65, v52 /*v308*/, v189 :: v_dual_mul_f32 v67, v54 /*v310*/, v191
	v_dual_mul_f32 v23, v53 /*v309*/, v189 :: v_dual_mul_f32 v11, v55 /*v311*/, v191
	s_set_vgpr_msb 0                        ;  msbs: dst=0 src0=0 src1=0 src2=0
	v_add_f32_e32 v7, v7, v61
	v_add_f32_e32 v9, v9, v13
	s_set_vgpr_msb 1                        ;  msbs: dst=0 src0=1 src1=0 src2=0
	v_dual_fmac_f32 v65, v53 /*v309*/, v188 :: v_dual_fma_f32 v23, v52 /*v308*/, v188, -v23
	v_dual_mul_f32 v69, v56 /*v312*/, v193 :: v_dual_mul_f32 v71, v58 /*v314*/, v195
	s_set_vgpr_msb 0                        ;  msbs: dst=0 src0=0 src1=0 src2=0
	v_add_f32_e32 v7, v7, v63
	v_add_f32_e32 v9, v9, v15
	s_set_vgpr_msb 1                        ;  msbs: dst=0 src0=1 src1=0 src2=0
	v_dual_fmac_f32 v67, v55 /*v311*/, v190 :: v_dual_fmac_f32 v69, v57 /*v313*/, v192
	v_dual_mul_f32 v73, v60 /*v316*/, v197 :: v_dual_mul_f32 v75, v62 /*v318*/, v199
	s_set_vgpr_msb 0                        ;  msbs: dst=0 src0=0 src1=0 src2=0
	v_add_f32_e32 v7, v7, v65
	v_add_f32_e32 v9, v9, v17
	s_set_vgpr_msb 1                        ;  msbs: dst=0 src0=1 src1=0 src2=0
	v_dual_mul_f32 v77, v64 /*v320*/, v201 :: v_dual_mul_f32 v79, v66 /*v322*/, v203
	v_dual_fmac_f32 v71, v59 /*v315*/, v194 :: v_dual_fmac_f32 v73, v61 /*v317*/, v196
	s_set_vgpr_msb 0                        ;  msbs: dst=0 src0=0 src1=0 src2=0
	v_add_f32_e32 v7, v7, v67
	v_add_f32_e32 v9, v9, v19
	s_set_vgpr_msb 1                        ;  msbs: dst=0 src0=1 src1=0 src2=0
	v_fma_f32 v11, v54 /*v310*/, v190, -v11
	v_dual_fmac_f32 v79, v67 /*v323*/, v202 :: v_dual_mul_f32 v13, v57 /*v313*/, v193
	v_mul_f32_e32 v15, v59 /*v315*/, v195
	s_set_vgpr_msb 0                        ;  msbs: dst=0 src0=0 src1=0 src2=0
	v_add_f32_e32 v7, v7, v69
	v_add_f32_e32 v9, v9, v21
	s_set_vgpr_msb 1                        ;  msbs: dst=0 src0=1 src1=0 src2=0
	v_dual_mul_f32 v21, v65 /*v321*/, v201 :: v_dual_fmac_f32 v75, v63 /*v319*/, v198
	v_fmac_f32_e32 v77, v65 /*v321*/, v200
	v_fma_f32 v13, v56 /*v312*/, v192, -v13
	v_dual_mul_f32 v81, v68 /*v324*/, v205 :: v_dual_mul_f32 v83, v70 /*v326*/, v207
	s_delay_alu instid0(VALU_DEP_4)
	v_fma_f32 v21, v64 /*v320*/, v200, -v21
	s_set_vgpr_msb 0                        ;  msbs: dst=0 src0=0 src1=0 src2=0
	v_add_f32_e32 v7, v7, v71
	v_add_f32_e32 v9, v9, v23
	s_set_vgpr_msb 1                        ;  msbs: dst=0 src0=1 src1=0 src2=0
	v_dual_mul_f32 v23, v67 /*v323*/, v203 :: v_dual_mul_f32 v17, v61 /*v317*/, v197
	v_mul_f32_e32 v19, v63 /*v319*/, v199
	s_set_vgpr_msb 0                        ;  msbs: dst=0 src0=0 src1=0 src2=0
	v_add_f32_e32 v7, v7, v73
	s_set_vgpr_msb 1                        ;  msbs: dst=0 src0=1 src1=0 src2=0
	v_fma_f32 v15, v58 /*v314*/, v194, -v15
	s_wait_loadcnt 0x4
	s_set_vgpr_msb 0                        ;  msbs: dst=0 src0=0 src1=0 src2=0
	v_mov_b32_e32 v132, v221
	s_set_vgpr_msb 1                        ;  msbs: dst=0 src0=1 src1=0 src2=0
	v_fma_f32 v17, v60 /*v316*/, v196, -v17
	v_dual_mul_f32 v85, v72 /*v328*/, v209 :: v_dual_mul_f32 v87, v74 /*v330*/, v211
	s_set_vgpr_msb 0                        ;  msbs: dst=0 src0=0 src1=0 src2=0
	v_add_f32_e32 v7, v7, v75
	v_add_f32_e32 v9, v9, v11
	s_set_vgpr_msb 1                        ;  msbs: dst=0 src0=1 src1=0 src2=0
	v_dual_mul_f32 v11, v69 /*v325*/, v205 :: v_dual_fmac_f32 v81, v69 /*v325*/, v204
	v_fma_f32 v19, v62 /*v318*/, v198, -v19
	s_set_vgpr_msb 0                        ;  msbs: dst=0 src0=0 src1=0 src2=0
	v_add_f32_e32 v7, v7, v77
	v_add_f32_e32 v9, v9, v13
	s_set_vgpr_msb 1                        ;  msbs: dst=0 src0=1 src1=0 src2=0
	v_dual_mul_f32 v13, v71 /*v327*/, v207 :: v_dual_fma_f32 v11, v68 /*v324*/, v204, -v11
	v_dual_fmac_f32 v83, v71 /*v327*/, v206 :: v_dual_fmac_f32 v85, v73 /*v329*/, v208
	s_set_vgpr_msb 0                        ;  msbs: dst=0 src0=0 src1=0 src2=0
	v_add_f32_e32 v7, v7, v79
	v_add_f32_e32 v9, v9, v15
	s_set_vgpr_msb 1                        ;  msbs: dst=0 src0=1 src1=0 src2=0
	v_dual_mul_f32 v15, v73 /*v329*/, v209 :: v_dual_fma_f32 v23, v66 /*v322*/, v202, -v23
	v_dual_fmac_f32 v87, v75 /*v331*/, v210 :: v_dual_fmac_f32 v89, v77 /*v333*/, v212
	s_set_vgpr_msb 0                        ;  msbs: dst=0 src0=0 src1=0 src2=0
	v_add_f32_e32 v7, v7, v81
	v_add_f32_e32 v9, v9, v17
	s_wait_loadcnt 0x3
	v_mov_b32_e32 v136, v225
	s_set_vgpr_msb 1                        ;  msbs: dst=0 src0=1 src1=0 src2=0
	v_dual_fma_f32 v13, v70 /*v326*/, v206, -v13 :: v_dual_mul_f32 v17, v75 /*v331*/, v211
	s_set_vgpr_msb 0                        ;  msbs: dst=0 src0=0 src1=0 src2=0
	v_add_f32_e32 v7, v7, v83
	v_add_f32_e32 v9, v9, v19
	s_set_vgpr_msb 1                        ;  msbs: dst=0 src0=1 src1=0 src2=0
	v_mul_f32_e32 v19, v77 /*v333*/, v213
	s_wait_dscnt 0x0
	s_set_vgpr_msb 0x41                     ;  msbs: dst=1 src0=1 src1=0 src2=0
	v_dual_mul_f32 v93 /*v349*/, v78 /*v334*/, v215 :: v_dual_mul_f32 v95 /*v351*/, v80 /*v336*/, v217
	s_set_vgpr_msb 0                        ;  msbs: dst=0 src0=0 src1=0 src2=0
	v_add_f32_e32 v7, v7, v85
	v_add_f32_e32 v9, v9, v21
	s_set_vgpr_msb 1                        ;  msbs: dst=0 src0=1 src1=0 src2=0
	v_mul_f32_e32 v21, v79 /*v335*/, v215
	v_pk_mul_f32 v[130:131], v[2:3] /*v[258:259]*/, v[218:219] op_sel:[1,1] op_sel_hi:[0,1]
	s_set_vgpr_msb 0x41                     ;  msbs: dst=1 src0=1 src1=0 src2=0
	v_dual_fmac_f32 v93 /*v349*/, v79 /*v335*/, v214 :: v_dual_fmac_f32 v95 /*v351*/, v81 /*v337*/, v216
	s_set_vgpr_msb 0                        ;  msbs: dst=0 src0=0 src1=0 src2=0
	v_add_f32_e32 v7, v7, v87
	v_add_f32_e32 v9, v9, v23
	s_set_vgpr_msb 1                        ;  msbs: dst=0 src0=1 src1=0 src2=0
	v_mul_f32_e32 v23, v81 /*v337*/, v217
	s_set_vgpr_msb 0x41                     ;  msbs: dst=1 src0=1 src1=0 src2=0
	v_fma_f32 v92 /*v348*/, v78 /*v334*/, v214, -v21
	s_set_vgpr_msb 1                        ;  msbs: dst=0 src0=1 src1=0 src2=0
	v_pk_fma_f32 v[140:141], v[2:3] /*v[258:259]*/, v[218:219], v[130:131] op_sel_hi:[1,0,1]
	s_set_vgpr_msb 0                        ;  msbs: dst=0 src0=0 src1=0 src2=0
	v_dual_add_f32 v139, v7, v89 :: v_dual_add_f32 v9, v9, v11
	s_set_vgpr_msb 1                        ;  msbs: dst=0 src0=1 src1=0 src2=0
	v_fma_f32 v11, v72 /*v328*/, v208, -v15
	s_set_vgpr_msb 0x41                     ;  msbs: dst=1 src0=1 src1=0 src2=0
	v_fma_f32 v94 /*v350*/, v80 /*v336*/, v216, -v23
	s_set_vgpr_msb 1                        ;  msbs: dst=0 src0=1 src1=0 src2=0
	v_pk_mul_f32 v[132:133], v[84:85] /*v[340:341]*/, v[132:133] op_sel_hi:[1,0]
	v_pk_fma_f32 v[130:131], v[2:3] /*v[258:259]*/, v[218:219], v[130:131] neg_lo:[0,0,1] neg_hi:[0,0,1]
	s_set_vgpr_msb 0                        ;  msbs: dst=0 src0=0 src1=0 src2=0
	v_add_f32_e32 v9, v9, v13
	s_set_vgpr_msb 1                        ;  msbs: dst=0 src0=1 src1=0 src2=0
	v_fma_f32 v13, v74 /*v330*/, v210, -v17
	v_pk_mul_f32 v[134:135], v[14:15] /*v[270:271]*/, v[222:223] op_sel:[1,1] op_sel_hi:[0,1]
	s_set_vgpr_msb 0                        ;  msbs: dst=0 src0=0 src1=0 src2=0
	v_mov_b32_e32 v131, v141
	s_set_vgpr_msb 1                        ;  msbs: dst=0 src0=1 src1=0 src2=0
	v_pk_fma_f32 v[140:141], v[4:5] /*v[260:261]*/, v[220:221], v[132:133] op_sel_hi:[1,0,1]
	s_set_vgpr_msb 0                        ;  msbs: dst=0 src0=0 src1=0 src2=0
	v_add_f32_e32 v9, v9, v11
	s_set_vgpr_msb 1                        ;  msbs: dst=0 src0=1 src1=0 src2=0
	v_fma_f32 v11, v76 /*v332*/, v212, -v19
	v_pk_fma_f32 v[132:133], v[4:5] /*v[260:261]*/, v[220:221], v[132:133] neg_lo:[0,0,1] neg_hi:[0,0,1]
	v_pk_fma_f32 v[144:145], v[14:15] /*v[270:271]*/, v[222:223], v[134:135] op_sel_hi:[1,0,1]
	v_pk_mul_f32 v[136:137], v[86:87] /*v[342:343]*/, v[136:137] op_sel_hi:[1,0]
	s_set_vgpr_msb 0                        ;  msbs: dst=0 src0=0 src1=0 src2=0
	v_add_f32_e32 v9, v9, v13
	v_mov_b32_e32 v133, v141
	s_wait_loadcnt 0x2
	s_set_vgpr_msb 1                        ;  msbs: dst=0 src0=1 src1=0 src2=0
	v_pk_mul_f32 v[142:143], v[18:19] /*v[274:275]*/, v[226:227] op_sel:[1,1] op_sel_hi:[0,1]
	v_pk_fma_f32 v[134:135], v[14:15] /*v[270:271]*/, v[222:223], v[134:135] neg_lo:[0,0,1] neg_hi:[0,0,1]
	s_set_vgpr_msb 0                        ;  msbs: dst=0 src0=0 src1=0 src2=0
	v_mov_b32_e32 v135, v145
	v_add_f32_e32 v138, v9, v11
	s_set_vgpr_msb 1                        ;  msbs: dst=0 src0=1 src1=0 src2=0
	v_pk_fma_f32 v[140:141], v[16:17] /*v[272:273]*/, v[224:225], v[136:137] op_sel_hi:[1,0,1]
	v_pk_fma_f32 v[136:137], v[16:17] /*v[272:273]*/, v[224:225], v[136:137] neg_lo:[0,0,1] neg_hi:[0,0,1]
	s_set_vgpr_msb 4                        ;  msbs: dst=0 src0=0 src1=1 src2=0
	v_pk_add_f32 v[138:139], v[138:139], v[92:93] /*v[348:349]*/
	s_delay_alu instid0(VALU_DEP_1) | instskip(SKIP_1) | instid1(VALU_DEP_1)
	v_pk_add_f32 v[138:139], v[138:139], v[94:95] /*v[350:351]*/
	s_set_vgpr_msb 0                        ;  msbs: dst=0 src0=0 src1=0 src2=0
	v_pk_add_f32 v[130:131], v[138:139], v[130:131]
	v_mov_b32_e32 v138, v229
	s_delay_alu instid0(VALU_DEP_2) | instskip(SKIP_2) | instid1(VALU_DEP_3)
	v_pk_add_f32 v[130:131], v[130:131], v[132:133]
	s_set_vgpr_msb 1                        ;  msbs: dst=0 src0=1 src1=0 src2=0
	v_pk_fma_f32 v[132:133], v[18:19] /*v[274:275]*/, v[226:227], v[142:143] op_sel_hi:[1,0,1]
	v_pk_mul_f32 v[138:139], v[88:89] /*v[344:345]*/, v[138:139] op_sel_hi:[1,0]
	s_set_vgpr_msb 0                        ;  msbs: dst=0 src0=0 src1=0 src2=0
	v_mov_b32_e32 v137, v141
	s_set_vgpr_msb 1                        ;  msbs: dst=0 src0=1 src1=0 src2=0
	v_pk_fma_f32 v[140:141], v[18:19] /*v[274:275]*/, v[226:227], v[142:143] neg_lo:[0,0,1] neg_hi:[0,0,1]
	s_set_vgpr_msb 0                        ;  msbs: dst=0 src0=0 src1=0 src2=0
	v_pk_add_f32 v[130:131], v[130:131], v[134:135]
	v_mov_b32_e32 v141, v133
	s_set_vgpr_msb 1                        ;  msbs: dst=0 src0=1 src1=0 src2=0
	v_pk_fma_f32 v[132:133], v[20:21] /*v[276:277]*/, v[228:229], v[138:139] op_sel_hi:[1,0,1]
	s_wait_loadcnt 0x1
	v_pk_mul_f32 v[134:135], v[30:31] /*v[286:287]*/, v[238:239] op_sel:[1,1] op_sel_hi:[0,1]
	s_set_vgpr_msb 0                        ;  msbs: dst=0 src0=0 src1=0 src2=0
	v_mov_b32_e32 v132, v241
	v_pk_add_f32 v[130:131], v[130:131], v[136:137]
	s_set_vgpr_msb 1                        ;  msbs: dst=0 src0=1 src1=0 src2=0
	v_pk_fma_f32 v[138:139], v[20:21] /*v[276:277]*/, v[228:229], v[138:139] neg_lo:[0,0,1] neg_hi:[0,0,1]
	s_set_vgpr_msb 0                        ;  msbs: dst=0 src0=0 src1=0 src2=0
	v_mov_b32_e32 v139, v133
	s_set_vgpr_msb 1                        ;  msbs: dst=0 src0=1 src1=0 src2=0
	v_pk_fma_f32 v[136:137], v[30:31] /*v[286:287]*/, v[238:239], v[134:135] op_sel_hi:[1,0,1]
	v_pk_mul_f32 v[132:133], v[90:91] /*v[346:347]*/, v[132:133] op_sel_hi:[1,0]
	s_set_vgpr_msb 0                        ;  msbs: dst=0 src0=0 src1=0 src2=0
	v_pk_add_f32 v[130:131], v[130:131], v[140:141]
	s_set_vgpr_msb 1                        ;  msbs: dst=0 src0=1 src1=0 src2=0
	v_pk_fma_f32 v[134:135], v[30:31] /*v[286:287]*/, v[238:239], v[134:135] neg_lo:[0,0,1] neg_hi:[0,0,1]
	s_set_vgpr_msb 0                        ;  msbs: dst=0 src0=0 src1=0 src2=0
	v_mov_b32_e32 v135, v137
	s_set_vgpr_msb 1                        ;  msbs: dst=0 src0=1 src1=0 src2=0
	v_pk_fma_f32 v[136:137], v[32:33] /*v[288:289]*/, v[240:241], v[132:133] op_sel_hi:[1,0,1]
	s_set_vgpr_msb 0                        ;  msbs: dst=0 src0=0 src1=0 src2=0
	v_pk_add_f32 v[130:131], v[130:131], v[138:139]
	s_set_vgpr_msb 1                        ;  msbs: dst=0 src0=1 src1=0 src2=0
	v_pk_fma_f32 v[132:133], v[32:33] /*v[288:289]*/, v[240:241], v[132:133] neg_lo:[0,0,1] neg_hi:[0,0,1]
	s_set_vgpr_msb 0                        ;  msbs: dst=0 src0=0 src1=0 src2=0
	v_mov_b32_e32 v133, v137
	v_pk_add_f32 v[130:131], v[130:131], v[134:135]
	s_delay_alu instid0(VALU_DEP_1) | instskip(SKIP_2) | instid1(VALU_DEP_1)
	v_pk_add_f32 v[130:131], v[130:131], v[132:133]
	s_wait_loadcnt 0x0
	s_set_vgpr_msb 1                        ;  msbs: dst=0 src0=1 src1=0 src2=0
	v_pk_add_f32 v[130:131], v[82:83] /*v[338:339]*/, v[130:131] neg_lo:[0,1] neg_hi:[0,1]
	scratch_store_b64 off, v[130:131], off offset:88
	s_wait_xcnt 0x0
	v_cmpx_lt_u32_e32 10, v0
	s_set_vgpr_msb 0                        ;  msbs: dst=0 src0=0 src1=0 src2=0
	s_cbranch_execz .LBB63_377
; %bb.376:
	scratch_load_b64 v[130:131], off, off offset:80
	v_mov_b64_e32 v[132:133], 0
	scratch_store_b64 off, v[132:133], off offset:80
	s_wait_loadcnt 0x0
	ds_store_b64 v1, v[130:131]
.LBB63_377:
	s_wait_xcnt 0x0
	s_or_b32 exec_lo, exec_lo, s0
	s_wait_storecnt_dscnt 0x0
	s_barrier_signal -1
	s_barrier_wait -1
	s_clause 0xf
	scratch_load_b128 v[134:137], off, off offset:88
	scratch_load_b128 v[142:145], off, off offset:104
	;; [unrolled: 1-line block ×16, first 2 shown]
	v_mov_b32_e32 v7, 0
	s_set_vgpr_msb 64                       ;  msbs: dst=1 src0=0 src1=0 src2=0
	s_clause 0x3
	scratch_load_b128 v[6:9] /*v[262:265]*/, off, off offset:344
	scratch_load_b128 v[14:17] /*v[270:273]*/, off, off offset:360
	;; [unrolled: 1-line block ×4, first 2 shown]
	s_set_vgpr_msb 0                        ;  msbs: dst=0 src0=0 src1=0 src2=0
	ds_load_2addr_b64 v[130:133], v7 offset0:75 offset1:76
	ds_load_2addr_b64 v[138:141], v7 offset0:77 offset1:78
	s_set_vgpr_msb 64                       ;  msbs: dst=1 src0=0 src1=0 src2=0
	s_clause 0x2
	scratch_load_b128 v[38:41] /*v[294:297]*/, off, off offset:408
	scratch_load_b128 v[46:49] /*v[302:305]*/, off, off offset:424
	scratch_load_b128 v[54:57] /*v[310:313]*/, off, off offset:440
	s_mov_b32 s0, exec_lo
	s_wait_loadcnt_dscnt 0x1601
	s_set_vgpr_msb 0                        ;  msbs: dst=0 src0=0 src1=0 src2=0
	v_dual_mul_f32 v9, v130, v135 :: v_dual_mul_f32 v11, v132, v137
	ds_load_2addr_b64 v[146:149], v7 offset0:79 offset1:80
	ds_load_2addr_b64 v[154:157], v7 offset0:81 offset1:82
	;; [unrolled: 1-line block ×4, first 2 shown]
	v_dual_fmac_f32 v9, v131, v134 :: v_dual_fmac_f32 v11, v133, v136
	ds_load_2addr_b64 v[178:181], v7 offset0:87 offset1:88
	ds_load_2addr_b64 v[186:189], v7 offset0:89 offset1:90
	;; [unrolled: 1-line block ×4, first 2 shown]
	v_add_f32_e32 v9, 0, v9
	ds_load_2addr_b64 v[210:213], v7 offset0:95 offset1:96
	ds_load_2addr_b64 v[218:221], v7 offset0:97 offset1:98
	;; [unrolled: 1-line block ×4, first 2 shown]
	v_add_f32_e32 v9, v9, v11
	s_wait_loadcnt_dscnt 0x150c
	v_mul_f32_e32 v11, v138, v143
	ds_load_2addr_b64 v[242:245], v7 offset0:103 offset1:104
	ds_load_2addr_b64 v[250:253], v7 offset0:105 offset1:106
	s_set_vgpr_msb 64                       ;  msbs: dst=1 src0=0 src1=0 src2=0
	ds_load_2addr_b64 v[2:5] /*v[258:261]*/, v7 offset0:107 offset1:108
	ds_load_2addr_b64 v[10:13] /*v[266:269]*/, v7 offset0:109 offset1:110
	s_set_vgpr_msb 0                        ;  msbs: dst=0 src0=0 src1=0 src2=0
	v_fmac_f32_e32 v11, v139, v142
	s_set_vgpr_msb 64                       ;  msbs: dst=1 src0=0 src1=0 src2=0
	ds_load_2addr_b64 v[34:37] /*v[290:293]*/, v7 offset0:115 offset1:116
	ds_load_2addr_b64 v[42:45] /*v[298:301]*/, v7 offset0:117 offset1:118
	;; [unrolled: 1-line block ×5, first 2 shown]
	s_set_vgpr_msb 0                        ;  msbs: dst=0 src0=0 src1=0 src2=0
	v_dual_add_f32 v9, v9, v11 :: v_dual_mul_f32 v11, v140, v145
	s_set_vgpr_msb 64                       ;  msbs: dst=1 src0=0 src1=0 src2=0
	s_clause 0x3
	scratch_load_b128 v[58:61] /*v[314:317]*/, off, off offset:456
	scratch_load_b128 v[62:65] /*v[318:321]*/, off, off offset:472
	;; [unrolled: 1-line block ×3, first 2 shown]
	scratch_load_b64 v[76:77] /*v[332:333]*/, off, off offset:504
	s_set_vgpr_msb 0                        ;  msbs: dst=0 src0=0 src1=0 src2=0
	v_fmac_f32_e32 v11, v141, v144
	s_delay_alu instid0(VALU_DEP_1)
	v_add_f32_e32 v9, v9, v11
	s_wait_loadcnt_dscnt 0x1814
	v_mul_f32_e32 v11, v146, v151
	s_wait_loadcnt_dscnt 0x402
	s_set_vgpr_msb 0x45                     ;  msbs: dst=1 src0=1 src1=1 src2=0
	v_dual_mul_f32 v73 /*v329*/, v44 /*v300*/, v49 /*v305*/ :: v_dual_mul_f32 v75 /*v331*/, v50 /*v306*/, v55 /*v311*/
	s_set_vgpr_msb 0                        ;  msbs: dst=0 src0=0 src1=0 src2=0
	v_fmac_f32_e32 v11, v147, v150
	s_set_vgpr_msb 0x45                     ;  msbs: dst=1 src0=1 src1=1 src2=0
	s_delay_alu instid0(VALU_DEP_2) | instskip(SKIP_1) | instid1(VALU_DEP_2)
	v_dual_fmac_f32 v73 /*v329*/, v45 /*v301*/, v48 /*v304*/ :: v_dual_fmac_f32 v75 /*v331*/, v51 /*v307*/, v54 /*v310*/
	s_set_vgpr_msb 0                        ;  msbs: dst=0 src0=0 src1=0 src2=0
	v_dual_add_f32 v9, v9, v11 :: v_dual_mul_f32 v11, v148, v153
	s_delay_alu instid0(VALU_DEP_1) | instskip(NEXT) | instid1(VALU_DEP_1)
	v_fmac_f32_e32 v11, v149, v152
	v_add_f32_e32 v9, v9, v11
	v_mul_f32_e32 v11, v154, v159
	s_delay_alu instid0(VALU_DEP_1) | instskip(NEXT) | instid1(VALU_DEP_1)
	v_fmac_f32_e32 v11, v155, v158
	v_dual_add_f32 v9, v9, v11 :: v_dual_mul_f32 v11, v156, v161
	s_delay_alu instid0(VALU_DEP_1) | instskip(NEXT) | instid1(VALU_DEP_1)
	v_fmac_f32_e32 v11, v157, v160
	v_add_f32_e32 v9, v9, v11
	v_mul_f32_e32 v11, v162, v167
	s_delay_alu instid0(VALU_DEP_1) | instskip(NEXT) | instid1(VALU_DEP_1)
	v_fmac_f32_e32 v11, v163, v166
	;; [unrolled: 7-line block ×13, first 2 shown]
	v_add_f32_e32 v9, v9, v11
	s_set_vgpr_msb 4                        ;  msbs: dst=0 src0=0 src1=1 src2=0
	v_mul_f32_e32 v11, v252, v1 /*v257*/
	s_delay_alu instid0(VALU_DEP_1) | instskip(SKIP_1) | instid1(VALU_DEP_1)
	v_fmac_f32_e32 v11, v253, v0 /*v256*/
	s_set_vgpr_msb 0                        ;  msbs: dst=0 src0=0 src1=0 src2=0
	v_add_f32_e32 v9, v9, v11
	s_set_vgpr_msb 5                        ;  msbs: dst=0 src0=1 src1=1 src2=0
	v_mul_f32_e32 v11, v2 /*v258*/, v7 /*v263*/
	s_delay_alu instid0(VALU_DEP_1) | instskip(SKIP_1) | instid1(VALU_DEP_1)
	v_fmac_f32_e32 v11, v3 /*v259*/, v6 /*v262*/
	s_set_vgpr_msb 0                        ;  msbs: dst=0 src0=0 src1=0 src2=0
	v_add_f32_e32 v9, v9, v11
	s_set_vgpr_msb 5                        ;  msbs: dst=0 src0=1 src1=1 src2=0
	v_mul_f32_e32 v11, v4 /*v260*/, v9 /*v265*/
	s_delay_alu instid0(VALU_DEP_1) | instskip(SKIP_1) | instid1(VALU_DEP_1)
	v_fmac_f32_e32 v11, v5 /*v261*/, v8 /*v264*/
	;; [unrolled: 6-line block ×4, first 2 shown]
	s_set_vgpr_msb 0                        ;  msbs: dst=0 src0=0 src1=0 src2=0
	v_add_f32_e32 v9, v9, v11
	s_wait_dscnt 0x1
	s_set_vgpr_msb 5                        ;  msbs: dst=0 src0=1 src1=1 src2=0
	v_mul_f32_e32 v11, v18 /*v274*/, v23 /*v279*/
	s_delay_alu instid0(VALU_DEP_1) | instskip(SKIP_1) | instid1(VALU_DEP_1)
	v_fmac_f32_e32 v11, v19 /*v275*/, v22 /*v278*/
	s_set_vgpr_msb 0                        ;  msbs: dst=0 src0=0 src1=0 src2=0
	v_add_f32_e32 v9, v9, v11
	s_set_vgpr_msb 5                        ;  msbs: dst=0 src0=1 src1=1 src2=0
	v_mul_f32_e32 v11, v20 /*v276*/, v25 /*v281*/
	s_delay_alu instid0(VALU_DEP_1) | instskip(SKIP_1) | instid1(VALU_DEP_1)
	v_fmac_f32_e32 v11, v21 /*v277*/, v24 /*v280*/
	s_set_vgpr_msb 0                        ;  msbs: dst=0 src0=0 src1=0 src2=0
	v_add_f32_e32 v9, v9, v11
	s_wait_dscnt 0x0
	s_set_vgpr_msb 5                        ;  msbs: dst=0 src0=1 src1=1 src2=0
	v_mul_f32_e32 v11, v26 /*v282*/, v31 /*v287*/
	s_delay_alu instid0(VALU_DEP_1) | instskip(SKIP_1) | instid1(VALU_DEP_1)
	v_fmac_f32_e32 v11, v27 /*v283*/, v30 /*v286*/
	s_set_vgpr_msb 0                        ;  msbs: dst=0 src0=0 src1=0 src2=0
	v_add_f32_e32 v9, v9, v11
	s_set_vgpr_msb 5                        ;  msbs: dst=0 src0=1 src1=1 src2=0
	v_mul_f32_e32 v11, v28 /*v284*/, v33 /*v289*/
	s_delay_alu instid0(VALU_DEP_1) | instskip(SKIP_1) | instid1(VALU_DEP_1)
	v_fmac_f32_e32 v11, v29 /*v285*/, v32 /*v288*/
	s_set_vgpr_msb 0                        ;  msbs: dst=0 src0=0 src1=0 src2=0
	v_add_f32_e32 v9, v9, v11
	;; [unrolled: 6-line block ×4, first 2 shown]
	s_set_vgpr_msb 5                        ;  msbs: dst=0 src0=1 src1=1 src2=0
	v_mul_f32_e32 v11, v42 /*v298*/, v47 /*v303*/
	s_delay_alu instid0(VALU_DEP_1) | instskip(SKIP_1) | instid1(VALU_DEP_1)
	v_fmac_f32_e32 v11, v43 /*v299*/, v46 /*v302*/
	s_set_vgpr_msb 64                       ;  msbs: dst=1 src0=0 src1=0 src2=0
	v_add_f32_e32 v71 /*v327*/, v9, v11
	s_set_vgpr_msb 0                        ;  msbs: dst=0 src0=0 src1=0 src2=0
	v_dual_mul_f32 v9, v131, v135 :: v_dual_mul_f32 v11, v133, v137
	s_delay_alu instid0(VALU_DEP_1) | instskip(NEXT) | instid1(VALU_DEP_1)
	v_dual_fma_f32 v9, v130, v134, -v9 :: v_dual_fma_f32 v11, v132, v136, -v11
	v_add_f32_e32 v9, 0, v9
	s_delay_alu instid0(VALU_DEP_1) | instskip(SKIP_1) | instid1(VALU_DEP_1)
	v_add_f32_e32 v9, v9, v11
	v_mul_f32_e32 v11, v139, v143
	v_fma_f32 v11, v138, v142, -v11
	s_delay_alu instid0(VALU_DEP_1) | instskip(SKIP_1) | instid1(VALU_DEP_1)
	v_add_f32_e32 v9, v9, v11
	v_mul_f32_e32 v11, v141, v145
	v_fma_f32 v11, v140, v144, -v11
	ds_load_2addr_b64 v[130:133], v7 offset0:121 offset1:122
	ds_load_2addr_b64 v[134:137], v7 offset0:123 offset1:124
	;; [unrolled: 1-line block ×3, first 2 shown]
	ds_load_b64 v[142:143], v7 offset:1016
	v_add_f32_e32 v9, v9, v11
	v_mul_f32_e32 v11, v147, v151
	s_set_vgpr_msb 1                        ;  msbs: dst=0 src0=1 src1=0 src2=0
	v_mov_b32_e32 v147, v52 /*v308*/
	s_set_vgpr_msb 0                        ;  msbs: dst=0 src0=0 src1=0 src2=0
	s_delay_alu instid0(VALU_DEP_2) | instskip(SKIP_3) | instid1(VALU_DEP_2)
	v_fma_f32 v11, v146, v150, -v11
	s_set_vgpr_msb 1                        ;  msbs: dst=0 src0=1 src1=0 src2=0
	v_mov_b32_e32 v146, v53 /*v309*/
	s_set_vgpr_msb 0                        ;  msbs: dst=0 src0=0 src1=0 src2=0
	v_add_f32_e32 v9, v9, v11
	v_mul_f32_e32 v11, v149, v153
	s_delay_alu instid0(VALU_DEP_1) | instskip(SKIP_3) | instid1(VALU_DEP_2)
	v_fma_f32 v11, v148, v152, -v11
	s_set_vgpr_msb 1                        ;  msbs: dst=0 src0=1 src1=0 src2=0
	v_mov_b32_e32 v148, v57 /*v313*/
	s_set_vgpr_msb 0                        ;  msbs: dst=0 src0=0 src1=0 src2=0
	v_add_f32_e32 v9, v9, v11
	v_mul_f32_e32 v11, v155, v159
	s_delay_alu instid0(VALU_DEP_3) | instskip(NEXT) | instid1(VALU_DEP_2)
	v_pk_mul_f32 v[146:147], v[146:147], v[148:149] op_sel_hi:[1,0]
	v_fma_f32 v11, v154, v158, -v11
	s_set_vgpr_msb 5                        ;  msbs: dst=0 src0=1 src1=1 src2=0
	s_delay_alu instid0(VALU_DEP_2) | instskip(SKIP_3) | instid1(VALU_DEP_2)
	v_pk_fma_f32 v[148:149], v[52:53] /*v[308:309]*/, v[56:57] /*v[312:313]*/, v[146:147] neg_lo:[0,0,1] neg_hi:[0,0,1]
	v_pk_fma_f32 v[146:147], v[52:53] /*v[308:309]*/, v[56:57] /*v[312:313]*/, v[146:147] op_sel_hi:[1,0,1]
	s_set_vgpr_msb 0                        ;  msbs: dst=0 src0=0 src1=0 src2=0
	v_add_f32_e32 v9, v9, v11
	v_dual_mul_f32 v11, v157, v161 :: v_dual_mov_b32 v149, v147
	s_wait_loadcnt_dscnt 0x303
	s_set_vgpr_msb 4                        ;  msbs: dst=0 src0=0 src1=1 src2=0
	v_pk_mul_f32 v[146:147], v[130:131], v[58:59] /*v[314:315]*/ op_sel:[1,1] op_sel_hi:[0,1]
	s_set_vgpr_msb 0                        ;  msbs: dst=0 src0=0 src1=0 src2=0
	v_fma_f32 v11, v156, v160, -v11
	s_delay_alu instid0(VALU_DEP_1) | instskip(SKIP_1) | instid1(VALU_DEP_1)
	v_add_f32_e32 v9, v9, v11
	v_mul_f32_e32 v11, v163, v167
	v_fma_f32 v11, v162, v166, -v11
	s_delay_alu instid0(VALU_DEP_1) | instskip(SKIP_1) | instid1(VALU_DEP_1)
	v_add_f32_e32 v9, v9, v11
	v_mul_f32_e32 v11, v165, v169
	;; [unrolled: 4-line block ×23, first 2 shown]
	v_fma_f32 v11, v250, v254, -v11
	s_delay_alu instid0(VALU_DEP_1) | instskip(SKIP_2) | instid1(VALU_DEP_1)
	v_add_f32_e32 v9, v9, v11
	s_set_vgpr_msb 4                        ;  msbs: dst=0 src0=0 src1=1 src2=0
	v_mul_f32_e32 v11, v253, v1 /*v257*/
	v_fma_f32 v11, v252, v0 /*v256*/, -v11
	s_set_vgpr_msb 0                        ;  msbs: dst=0 src0=0 src1=0 src2=0
	s_delay_alu instid0(VALU_DEP_1) | instskip(SKIP_2) | instid1(VALU_DEP_1)
	v_add_f32_e32 v9, v9, v11
	s_set_vgpr_msb 5                        ;  msbs: dst=0 src0=1 src1=1 src2=0
	v_mul_f32_e32 v11, v3 /*v259*/, v7 /*v263*/
	v_fma_f32 v11, v2 /*v258*/, v6 /*v262*/, -v11
	s_set_vgpr_msb 0                        ;  msbs: dst=0 src0=0 src1=0 src2=0
	s_delay_alu instid0(VALU_DEP_1) | instskip(SKIP_2) | instid1(VALU_DEP_1)
	v_add_f32_e32 v9, v9, v11
	s_set_vgpr_msb 5                        ;  msbs: dst=0 src0=1 src1=1 src2=0
	v_mul_f32_e32 v11, v5 /*v261*/, v9 /*v265*/
	v_fma_f32 v11, v4 /*v260*/, v8 /*v264*/, -v11
	;; [unrolled: 6-line block ×11, first 2 shown]
	s_set_vgpr_msb 64                       ;  msbs: dst=1 src0=0 src1=0 src2=0
	s_delay_alu instid0(VALU_DEP_1) | instskip(SKIP_3) | instid1(VALU_DEP_1)
	v_add_f32_e32 v70 /*v326*/, v9, v11
	s_set_vgpr_msb 5                        ;  msbs: dst=0 src0=1 src1=1 src2=0
	v_mul_f32_e32 v9, v45 /*v301*/, v49 /*v305*/
	s_set_vgpr_msb 0x45                     ;  msbs: dst=1 src0=1 src1=1 src2=0
	v_fma_f32 v72 /*v328*/, v44 /*v300*/, v48 /*v304*/, -v9
	s_set_vgpr_msb 5                        ;  msbs: dst=0 src0=1 src1=1 src2=0
	v_mul_f32_e32 v9, v51 /*v307*/, v55 /*v311*/
	s_set_vgpr_msb 0x45                     ;  msbs: dst=1 src0=1 src1=1 src2=0
	s_delay_alu instid0(VALU_DEP_1) | instskip(SKIP_3) | instid1(VALU_DEP_1)
	v_fma_f32 v74 /*v330*/, v50 /*v306*/, v54 /*v310*/, -v9
	s_set_vgpr_msb 5                        ;  msbs: dst=0 src0=1 src1=1 src2=0
	v_pk_add_f32 v[144:145], v[70:71] /*v[326:327]*/, v[72:73] /*v[328:329]*/
	s_set_vgpr_msb 4                        ;  msbs: dst=0 src0=0 src1=1 src2=0
	v_pk_add_f32 v[144:145], v[144:145], v[74:75] /*v[330:331]*/
	s_set_vgpr_msb 0                        ;  msbs: dst=0 src0=0 src1=0 src2=0
	s_delay_alu instid0(VALU_DEP_1)
	v_pk_add_f32 v[144:145], v[144:145], v[148:149]
	s_set_vgpr_msb 4                        ;  msbs: dst=0 src0=0 src1=1 src2=0
	v_pk_fma_f32 v[148:149], v[130:131], v[58:59] /*v[314:315]*/, v[146:147] neg_lo:[0,0,1] neg_hi:[0,0,1]
	v_pk_fma_f32 v[130:131], v[130:131], v[58:59] /*v[314:315]*/, v[146:147] op_sel_hi:[1,0,1]
	s_set_vgpr_msb 1                        ;  msbs: dst=0 src0=1 src1=0 src2=0
	v_mov_b32_e32 v146, v61 /*v317*/
	s_set_vgpr_msb 0                        ;  msbs: dst=0 src0=0 src1=0 src2=0
	s_delay_alu instid0(VALU_DEP_2) | instskip(NEXT) | instid1(VALU_DEP_1)
	v_mov_b32_e32 v149, v131
	v_pk_add_f32 v[130:131], v[144:145], v[148:149]
	v_dual_mov_b32 v144, v133 :: v_dual_mov_b32 v145, v132
	s_delay_alu instid0(VALU_DEP_1) | instskip(SKIP_1) | instid1(VALU_DEP_1)
	v_pk_mul_f32 v[144:145], v[144:145], v[146:147] op_sel_hi:[1,0]
	s_set_vgpr_msb 4                        ;  msbs: dst=0 src0=0 src1=1 src2=0
	v_pk_fma_f32 v[146:147], v[132:133], v[60:61] /*v[316:317]*/, v[144:145] neg_lo:[0,0,1] neg_hi:[0,0,1]
	v_pk_fma_f32 v[132:133], v[132:133], v[60:61] /*v[316:317]*/, v[144:145] op_sel_hi:[1,0,1]
	s_delay_alu instid0(VALU_DEP_1) | instskip(SKIP_3) | instid1(VALU_DEP_2)
	v_mov_b32_e32 v147, v133
	s_wait_loadcnt_dscnt 0x202
	v_pk_mul_f32 v[132:133], v[134:135], v[62:63] /*v[318:319]*/ op_sel:[1,1] op_sel_hi:[0,1]
	s_set_vgpr_msb 0                        ;  msbs: dst=0 src0=0 src1=0 src2=0
	v_pk_add_f32 v[130:131], v[130:131], v[146:147]
	s_set_vgpr_msb 4                        ;  msbs: dst=0 src0=0 src1=1 src2=0
	s_delay_alu instid0(VALU_DEP_2)
	v_pk_fma_f32 v[144:145], v[134:135], v[62:63] /*v[318:319]*/, v[132:133] neg_lo:[0,0,1] neg_hi:[0,0,1]
	v_pk_fma_f32 v[132:133], v[134:135], v[62:63] /*v[318:319]*/, v[132:133] op_sel_hi:[1,0,1]
	v_mov_b32_e32 v132, v137
	s_set_vgpr_msb 1                        ;  msbs: dst=0 src0=1 src1=0 src2=0
	v_mov_b32_e32 v134, v65 /*v321*/
	s_set_vgpr_msb 0                        ;  msbs: dst=0 src0=0 src1=0 src2=0
	v_dual_mov_b32 v145, v133 :: v_dual_mov_b32 v133, v136
	s_delay_alu instid0(VALU_DEP_1) | instskip(NEXT) | instid1(VALU_DEP_2)
	v_pk_add_f32 v[130:131], v[130:131], v[144:145]
	v_pk_mul_f32 v[132:133], v[132:133], v[134:135] op_sel_hi:[1,0]
	s_set_vgpr_msb 4                        ;  msbs: dst=0 src0=0 src1=1 src2=0
	s_delay_alu instid0(VALU_DEP_1) | instskip(SKIP_1) | instid1(VALU_DEP_1)
	v_pk_fma_f32 v[134:135], v[136:137], v[64:65] /*v[320:321]*/, v[132:133] neg_lo:[0,0,1] neg_hi:[0,0,1]
	v_pk_fma_f32 v[132:133], v[136:137], v[64:65] /*v[320:321]*/, v[132:133] op_sel_hi:[1,0,1]
	v_mov_b32_e32 v135, v133
	s_wait_loadcnt_dscnt 0x101
	v_pk_mul_f32 v[132:133], v[138:139], v[66:67] /*v[322:323]*/ op_sel:[1,1] op_sel_hi:[0,1]
	s_set_vgpr_msb 0                        ;  msbs: dst=0 src0=0 src1=0 src2=0
	s_delay_alu instid0(VALU_DEP_2) | instskip(SKIP_1) | instid1(VALU_DEP_2)
	v_pk_add_f32 v[130:131], v[130:131], v[134:135]
	s_set_vgpr_msb 4                        ;  msbs: dst=0 src0=0 src1=1 src2=0
	v_pk_fma_f32 v[134:135], v[138:139], v[66:67] /*v[322:323]*/, v[132:133] neg_lo:[0,0,1] neg_hi:[0,0,1]
	v_pk_fma_f32 v[132:133], v[138:139], v[66:67] /*v[322:323]*/, v[132:133] op_sel_hi:[1,0,1]
	s_delay_alu instid0(VALU_DEP_1) | instskip(SKIP_2) | instid1(VALU_DEP_2)
	v_dual_mov_b32 v132, v141 :: v_dual_mov_b32 v135, v133
	v_mov_b32_e32 v133, v140
	s_set_vgpr_msb 0                        ;  msbs: dst=0 src0=0 src1=0 src2=0
	v_pk_add_f32 v[130:131], v[130:131], v[134:135]
	s_set_vgpr_msb 1                        ;  msbs: dst=0 src0=1 src1=0 src2=0
	v_mov_b32_e32 v134, v69 /*v325*/
	s_set_vgpr_msb 0                        ;  msbs: dst=0 src0=0 src1=0 src2=0
	s_delay_alu instid0(VALU_DEP_1) | instskip(SKIP_1) | instid1(VALU_DEP_1)
	v_pk_mul_f32 v[132:133], v[132:133], v[134:135] op_sel_hi:[1,0]
	s_set_vgpr_msb 4                        ;  msbs: dst=0 src0=0 src1=1 src2=0
	v_pk_fma_f32 v[134:135], v[140:141], v[68:69] /*v[324:325]*/, v[132:133] neg_lo:[0,0,1] neg_hi:[0,0,1]
	v_pk_fma_f32 v[132:133], v[140:141], v[68:69] /*v[324:325]*/, v[132:133] op_sel_hi:[1,0,1]
	s_delay_alu instid0(VALU_DEP_1) | instskip(SKIP_3) | instid1(VALU_DEP_2)
	v_mov_b32_e32 v135, v133
	s_wait_loadcnt_dscnt 0x0
	v_pk_mul_f32 v[132:133], v[142:143], v[76:77] /*v[332:333]*/ op_sel:[1,1] op_sel_hi:[0,1]
	s_set_vgpr_msb 0                        ;  msbs: dst=0 src0=0 src1=0 src2=0
	v_pk_add_f32 v[130:131], v[130:131], v[134:135]
	s_set_vgpr_msb 4                        ;  msbs: dst=0 src0=0 src1=1 src2=0
	s_delay_alu instid0(VALU_DEP_2) | instskip(SKIP_1) | instid1(VALU_DEP_1)
	v_pk_fma_f32 v[134:135], v[142:143], v[76:77] /*v[332:333]*/, v[132:133] neg_lo:[0,0,1] neg_hi:[0,0,1]
	v_pk_fma_f32 v[132:133], v[142:143], v[76:77] /*v[332:333]*/, v[132:133] op_sel_hi:[1,0,1]
	v_mov_b32_e32 v135, v133
	scratch_load_b64 v[132:133], off, off offset:80
	s_set_vgpr_msb 0                        ;  msbs: dst=0 src0=0 src1=0 src2=0
	v_pk_add_f32 v[130:131], v[130:131], v[134:135]
	s_wait_loadcnt 0x0
	s_delay_alu instid0(VALU_DEP_1)
	v_pk_add_f32 v[130:131], v[132:133], v[130:131] neg_lo:[0,1] neg_hi:[0,1]
	scratch_store_b64 off, v[130:131], off offset:80
	s_wait_xcnt 0x0
	v_cmpx_lt_u32_e32 9, v0
	s_cbranch_execz .LBB63_379
; %bb.378:
	scratch_load_b64 v[130:131], off, off offset:72
	v_mov_b64_e32 v[132:133], 0
	scratch_store_b64 off, v[132:133], off offset:72
	s_wait_loadcnt 0x0
	ds_store_b64 v1, v[130:131]
.LBB63_379:
	s_wait_xcnt 0x0
	s_or_b32 exec_lo, exec_lo, s0
	s_wait_storecnt_dscnt 0x0
	s_barrier_signal -1
	s_barrier_wait -1
	ds_load_b128 v[130:133], v7 offset:592
	ds_load_b128 v[134:137], v7 offset:608
	;; [unrolled: 1-line block ×4, first 2 shown]
	s_clause 0x14
	scratch_load_b128 v[146:149], off, off offset:80
	scratch_load_b128 v[150:153], off, off offset:96
	;; [unrolled: 1-line block ×16, first 2 shown]
	s_set_vgpr_msb 64                       ;  msbs: dst=1 src0=0 src1=0 src2=0
	scratch_load_b128 v[6:9] /*v[262:265]*/, off, off offset:336
	scratch_load_b128 v[14:17] /*v[270:273]*/, off, off offset:352
	;; [unrolled: 1-line block ×4, first 2 shown]
	s_set_vgpr_msb 0                        ;  msbs: dst=0 src0=0 src1=0 src2=0
	ds_load_b128 v[162:165], v7 offset:656
	ds_load_b128 v[170:173], v7 offset:672
	s_set_vgpr_msb 64                       ;  msbs: dst=1 src0=0 src1=0 src2=0
	s_clause 0x1
	scratch_load_b128 v[38:41] /*v[294:297]*/, off, off offset:400
	scratch_load_b128 v[46:49] /*v[302:305]*/, off, off offset:416
	s_set_vgpr_msb 0                        ;  msbs: dst=0 src0=0 src1=0 src2=0
	ds_load_b128 v[178:181], v7 offset:688
	ds_load_b128 v[186:189], v7 offset:704
	;; [unrolled: 1-line block ×10, first 2 shown]
	s_set_vgpr_msb 64                       ;  msbs: dst=1 src0=0 src1=0 src2=0
	ds_load_b128 v[2:5] /*v[258:261]*/, v7 offset:848
	ds_load_b128 v[10:13] /*v[266:269]*/, v7 offset:864
	;; [unrolled: 1-line block ×3, first 2 shown]
	scratch_load_b128 v[54:57] /*v[310:313]*/, off, off offset:432
	ds_load_b128 v[18:21] /*v[274:277]*/, v7 offset:880
	ds_load_b128 v[26:29] /*v[282:285]*/, v7 offset:896
	;; [unrolled: 1-line block ×4, first 2 shown]
	s_clause 0x3
	scratch_load_b128 v[58:61] /*v[314:317]*/, off, off offset:448
	scratch_load_b128 v[62:65] /*v[318:321]*/, off, off offset:464
	;; [unrolled: 1-line block ×4, first 2 shown]
	s_mov_b32 s0, exec_lo
	s_wait_loadcnt_dscnt 0x1a16
	s_set_vgpr_msb 0                        ;  msbs: dst=0 src0=0 src1=0 src2=0
	v_dual_mul_f32 v9, v130, v147 :: v_dual_mul_f32 v11, v132, v149
	s_delay_alu instid0(VALU_DEP_1) | instskip(NEXT) | instid1(VALU_DEP_1)
	v_dual_fmac_f32 v9, v131, v146 :: v_dual_fmac_f32 v11, v133, v148
	v_add_f32_e32 v9, 0, v9
	s_delay_alu instid0(VALU_DEP_1) | instskip(SKIP_2) | instid1(VALU_DEP_1)
	v_add_f32_e32 v9, v9, v11
	s_wait_loadcnt_dscnt 0x1915
	v_mul_f32_e32 v11, v134, v151
	v_fmac_f32_e32 v11, v135, v150
	s_delay_alu instid0(VALU_DEP_1) | instskip(NEXT) | instid1(VALU_DEP_1)
	v_dual_add_f32 v9, v9, v11 :: v_dual_mul_f32 v11, v136, v153
	v_fmac_f32_e32 v11, v137, v152
	s_delay_alu instid0(VALU_DEP_1)
	v_add_f32_e32 v9, v9, v11
	s_wait_loadcnt_dscnt 0x1814
	v_mul_f32_e32 v11, v138, v155
	s_wait_loadcnt_dscnt 0x404
	s_set_vgpr_msb 0x45                     ;  msbs: dst=1 src0=1 src1=1 src2=0
	v_dual_mul_f32 v77 /*v333*/, v50 /*v306*/, v55 /*v311*/ :: v_dual_mul_f32 v79 /*v335*/, v52 /*v308*/, v57 /*v313*/
	s_set_vgpr_msb 0                        ;  msbs: dst=0 src0=0 src1=0 src2=0
	v_fmac_f32_e32 v11, v139, v154
	s_set_vgpr_msb 0x45                     ;  msbs: dst=1 src0=1 src1=1 src2=0
	s_delay_alu instid0(VALU_DEP_2) | instskip(SKIP_1) | instid1(VALU_DEP_2)
	v_dual_fmac_f32 v77 /*v333*/, v51 /*v307*/, v54 /*v310*/ :: v_dual_fmac_f32 v79 /*v335*/, v53 /*v309*/, v56 /*v312*/
	s_set_vgpr_msb 0                        ;  msbs: dst=0 src0=0 src1=0 src2=0
	v_dual_add_f32 v9, v9, v11 :: v_dual_mul_f32 v11, v140, v157
	s_delay_alu instid0(VALU_DEP_1) | instskip(NEXT) | instid1(VALU_DEP_1)
	v_fmac_f32_e32 v11, v141, v156
	v_add_f32_e32 v9, v9, v11
	v_mul_f32_e32 v11, v142, v159
	s_delay_alu instid0(VALU_DEP_1) | instskip(NEXT) | instid1(VALU_DEP_1)
	v_fmac_f32_e32 v11, v143, v158
	v_dual_add_f32 v9, v9, v11 :: v_dual_mul_f32 v11, v144, v161
	s_delay_alu instid0(VALU_DEP_1) | instskip(NEXT) | instid1(VALU_DEP_1)
	v_fmac_f32_e32 v11, v145, v160
	v_add_f32_e32 v9, v9, v11
	v_mul_f32_e32 v11, v162, v167
	s_delay_alu instid0(VALU_DEP_1) | instskip(NEXT) | instid1(VALU_DEP_1)
	v_fmac_f32_e32 v11, v163, v166
	;; [unrolled: 7-line block ×13, first 2 shown]
	v_add_f32_e32 v9, v9, v11
	s_set_vgpr_msb 4                        ;  msbs: dst=0 src0=0 src1=1 src2=0
	v_mul_f32_e32 v11, v252, v1 /*v257*/
	s_delay_alu instid0(VALU_DEP_1) | instskip(SKIP_1) | instid1(VALU_DEP_1)
	v_fmac_f32_e32 v11, v253, v0 /*v256*/
	s_set_vgpr_msb 0                        ;  msbs: dst=0 src0=0 src1=0 src2=0
	v_add_f32_e32 v9, v9, v11
	s_set_vgpr_msb 5                        ;  msbs: dst=0 src0=1 src1=1 src2=0
	v_mul_f32_e32 v11, v2 /*v258*/, v7 /*v263*/
	s_delay_alu instid0(VALU_DEP_1) | instskip(SKIP_1) | instid1(VALU_DEP_1)
	v_fmac_f32_e32 v11, v3 /*v259*/, v6 /*v262*/
	s_set_vgpr_msb 0                        ;  msbs: dst=0 src0=0 src1=0 src2=0
	v_add_f32_e32 v9, v9, v11
	s_set_vgpr_msb 5                        ;  msbs: dst=0 src0=1 src1=1 src2=0
	v_mul_f32_e32 v11, v4 /*v260*/, v9 /*v265*/
	s_delay_alu instid0(VALU_DEP_1) | instskip(SKIP_1) | instid1(VALU_DEP_1)
	v_fmac_f32_e32 v11, v5 /*v261*/, v8 /*v264*/
	;; [unrolled: 6-line block ×4, first 2 shown]
	s_set_vgpr_msb 0                        ;  msbs: dst=0 src0=0 src1=0 src2=0
	v_add_f32_e32 v9, v9, v11
	s_wait_dscnt 0x3
	s_set_vgpr_msb 5                        ;  msbs: dst=0 src0=1 src1=1 src2=0
	v_mul_f32_e32 v11, v18 /*v274*/, v23 /*v279*/
	s_delay_alu instid0(VALU_DEP_1) | instskip(SKIP_1) | instid1(VALU_DEP_1)
	v_fmac_f32_e32 v11, v19 /*v275*/, v22 /*v278*/
	s_set_vgpr_msb 0                        ;  msbs: dst=0 src0=0 src1=0 src2=0
	v_add_f32_e32 v9, v9, v11
	s_set_vgpr_msb 5                        ;  msbs: dst=0 src0=1 src1=1 src2=0
	v_mul_f32_e32 v11, v20 /*v276*/, v25 /*v281*/
	s_delay_alu instid0(VALU_DEP_1) | instskip(SKIP_1) | instid1(VALU_DEP_1)
	v_fmac_f32_e32 v11, v21 /*v277*/, v24 /*v280*/
	s_set_vgpr_msb 0                        ;  msbs: dst=0 src0=0 src1=0 src2=0
	v_add_f32_e32 v9, v9, v11
	s_wait_dscnt 0x2
	s_set_vgpr_msb 5                        ;  msbs: dst=0 src0=1 src1=1 src2=0
	v_mul_f32_e32 v11, v26 /*v282*/, v31 /*v287*/
	s_delay_alu instid0(VALU_DEP_1) | instskip(SKIP_1) | instid1(VALU_DEP_1)
	v_fmac_f32_e32 v11, v27 /*v283*/, v30 /*v286*/
	s_set_vgpr_msb 0                        ;  msbs: dst=0 src0=0 src1=0 src2=0
	v_add_f32_e32 v9, v9, v11
	s_set_vgpr_msb 5                        ;  msbs: dst=0 src0=1 src1=1 src2=0
	v_mul_f32_e32 v11, v28 /*v284*/, v33 /*v289*/
	s_delay_alu instid0(VALU_DEP_1) | instskip(SKIP_1) | instid1(VALU_DEP_1)
	v_fmac_f32_e32 v11, v29 /*v285*/, v32 /*v288*/
	;; [unrolled: 13-line block ×4, first 2 shown]
	s_set_vgpr_msb 64                       ;  msbs: dst=1 src0=0 src1=0 src2=0
	v_add_f32_e32 v75 /*v331*/, v9, v11
	s_set_vgpr_msb 0                        ;  msbs: dst=0 src0=0 src1=0 src2=0
	v_dual_mul_f32 v9, v131, v147 :: v_dual_mul_f32 v11, v133, v149
	s_delay_alu instid0(VALU_DEP_1) | instskip(NEXT) | instid1(VALU_DEP_1)
	v_dual_fma_f32 v9, v130, v146, -v9 :: v_dual_fma_f32 v11, v132, v148, -v11
	v_add_f32_e32 v9, 0, v9
	s_delay_alu instid0(VALU_DEP_1) | instskip(SKIP_1) | instid1(VALU_DEP_1)
	v_add_f32_e32 v9, v9, v11
	v_mul_f32_e32 v11, v135, v151
	v_fma_f32 v11, v134, v150, -v11
	s_delay_alu instid0(VALU_DEP_1) | instskip(SKIP_1) | instid1(VALU_DEP_1)
	v_add_f32_e32 v9, v9, v11
	v_mul_f32_e32 v11, v137, v153
	v_fma_f32 v11, v136, v152, -v11
	;; [unrolled: 4-line block ×6, first 2 shown]
	ds_load_b128 v[130:133], v7 offset:960
	ds_load_b128 v[134:137], v7 offset:976
	ds_load_b128 v[138:141], v7 offset:992
	ds_load_b128 v[142:145], v7 offset:1008
	v_add_f32_e32 v9, v9, v11
	v_mul_f32_e32 v11, v163, v167
	s_delay_alu instid0(VALU_DEP_1) | instskip(NEXT) | instid1(VALU_DEP_1)
	v_fma_f32 v11, v162, v166, -v11
	v_add_f32_e32 v9, v9, v11
	v_mul_f32_e32 v11, v165, v169
	s_wait_loadcnt_dscnt 0x303
	s_set_vgpr_msb 4                        ;  msbs: dst=0 src0=0 src1=1 src2=0
	v_pk_mul_f32 v[148:149], v[130:131], v[58:59] /*v[314:315]*/ op_sel:[1,1] op_sel_hi:[0,1]
	s_set_vgpr_msb 0                        ;  msbs: dst=0 src0=0 src1=0 src2=0
	v_fma_f32 v11, v164, v168, -v11
	s_set_vgpr_msb 4                        ;  msbs: dst=0 src0=0 src1=1 src2=0
	s_delay_alu instid0(VALU_DEP_2)
	v_pk_fma_f32 v[150:151], v[130:131], v[58:59] /*v[314:315]*/, v[148:149] neg_lo:[0,0,1] neg_hi:[0,0,1]
	v_pk_fma_f32 v[130:131], v[130:131], v[58:59] /*v[314:315]*/, v[148:149] op_sel_hi:[1,0,1]
	s_set_vgpr_msb 1                        ;  msbs: dst=0 src0=1 src1=0 src2=0
	v_mov_b32_e32 v148, v61 /*v317*/
	s_set_vgpr_msb 0                        ;  msbs: dst=0 src0=0 src1=0 src2=0
	v_add_f32_e32 v9, v9, v11
	v_mul_f32_e32 v11, v171, v175
	s_delay_alu instid0(VALU_DEP_1) | instskip(NEXT) | instid1(VALU_DEP_1)
	v_dual_mov_b32 v151, v131 :: v_dual_fma_f32 v11, v170, v174, -v11
	v_add_f32_e32 v9, v9, v11
	v_mul_f32_e32 v11, v173, v177
	s_delay_alu instid0(VALU_DEP_1) | instskip(NEXT) | instid1(VALU_DEP_1)
	v_fma_f32 v11, v172, v176, -v11
	v_add_f32_e32 v9, v9, v11
	v_mul_f32_e32 v11, v179, v183
	s_delay_alu instid0(VALU_DEP_1) | instskip(NEXT) | instid1(VALU_DEP_1)
	v_fma_f32 v11, v178, v182, -v11
	v_add_f32_e32 v9, v9, v11
	v_mul_f32_e32 v11, v181, v185
	s_delay_alu instid0(VALU_DEP_1) | instskip(NEXT) | instid1(VALU_DEP_1)
	v_fma_f32 v11, v180, v184, -v11
	v_add_f32_e32 v9, v9, v11
	v_mul_f32_e32 v11, v187, v191
	s_delay_alu instid0(VALU_DEP_1) | instskip(NEXT) | instid1(VALU_DEP_1)
	v_fma_f32 v11, v186, v190, -v11
	v_add_f32_e32 v9, v9, v11
	v_mul_f32_e32 v11, v189, v193
	s_delay_alu instid0(VALU_DEP_1) | instskip(NEXT) | instid1(VALU_DEP_1)
	v_fma_f32 v11, v188, v192, -v11
	v_add_f32_e32 v9, v9, v11
	v_mul_f32_e32 v11, v195, v199
	s_delay_alu instid0(VALU_DEP_1) | instskip(NEXT) | instid1(VALU_DEP_1)
	v_fma_f32 v11, v194, v198, -v11
	v_add_f32_e32 v9, v9, v11
	v_mul_f32_e32 v11, v197, v201
	s_delay_alu instid0(VALU_DEP_1) | instskip(NEXT) | instid1(VALU_DEP_1)
	v_fma_f32 v11, v196, v200, -v11
	v_add_f32_e32 v9, v9, v11
	v_mul_f32_e32 v11, v203, v207
	s_delay_alu instid0(VALU_DEP_1) | instskip(NEXT) | instid1(VALU_DEP_1)
	v_fma_f32 v11, v202, v206, -v11
	v_add_f32_e32 v9, v9, v11
	v_mul_f32_e32 v11, v205, v209
	s_delay_alu instid0(VALU_DEP_1) | instskip(NEXT) | instid1(VALU_DEP_1)
	v_fma_f32 v11, v204, v208, -v11
	v_add_f32_e32 v9, v9, v11
	v_mul_f32_e32 v11, v211, v215
	s_delay_alu instid0(VALU_DEP_1) | instskip(NEXT) | instid1(VALU_DEP_1)
	v_fma_f32 v11, v210, v214, -v11
	v_add_f32_e32 v9, v9, v11
	v_mul_f32_e32 v11, v213, v217
	s_delay_alu instid0(VALU_DEP_1) | instskip(NEXT) | instid1(VALU_DEP_1)
	v_fma_f32 v11, v212, v216, -v11
	v_add_f32_e32 v9, v9, v11
	v_mul_f32_e32 v11, v219, v223
	s_delay_alu instid0(VALU_DEP_1) | instskip(NEXT) | instid1(VALU_DEP_1)
	v_fma_f32 v11, v218, v222, -v11
	v_add_f32_e32 v9, v9, v11
	v_mul_f32_e32 v11, v221, v225
	s_delay_alu instid0(VALU_DEP_1) | instskip(NEXT) | instid1(VALU_DEP_1)
	v_fma_f32 v11, v220, v224, -v11
	v_add_f32_e32 v9, v9, v11
	v_mul_f32_e32 v11, v227, v231
	s_delay_alu instid0(VALU_DEP_1) | instskip(NEXT) | instid1(VALU_DEP_1)
	v_fma_f32 v11, v226, v230, -v11
	v_add_f32_e32 v9, v9, v11
	v_mul_f32_e32 v11, v229, v233
	s_delay_alu instid0(VALU_DEP_1) | instskip(NEXT) | instid1(VALU_DEP_1)
	v_fma_f32 v11, v228, v232, -v11
	v_add_f32_e32 v9, v9, v11
	v_mul_f32_e32 v11, v235, v239
	s_delay_alu instid0(VALU_DEP_1) | instskip(NEXT) | instid1(VALU_DEP_1)
	v_fma_f32 v11, v234, v238, -v11
	v_add_f32_e32 v9, v9, v11
	v_mul_f32_e32 v11, v237, v241
	s_delay_alu instid0(VALU_DEP_1) | instskip(NEXT) | instid1(VALU_DEP_1)
	v_fma_f32 v11, v236, v240, -v11
	v_add_f32_e32 v9, v9, v11
	v_mul_f32_e32 v11, v243, v247
	s_delay_alu instid0(VALU_DEP_1) | instskip(NEXT) | instid1(VALU_DEP_1)
	v_fma_f32 v11, v242, v246, -v11
	v_add_f32_e32 v9, v9, v11
	v_mul_f32_e32 v11, v245, v249
	s_delay_alu instid0(VALU_DEP_1) | instskip(NEXT) | instid1(VALU_DEP_1)
	v_fma_f32 v11, v244, v248, -v11
	v_add_f32_e32 v9, v9, v11
	v_mul_f32_e32 v11, v251, v255
	s_delay_alu instid0(VALU_DEP_1) | instskip(NEXT) | instid1(VALU_DEP_1)
	v_fma_f32 v11, v250, v254, -v11
	v_add_f32_e32 v9, v9, v11
	s_set_vgpr_msb 4                        ;  msbs: dst=0 src0=0 src1=1 src2=0
	v_mul_f32_e32 v11, v253, v1 /*v257*/
	s_delay_alu instid0(VALU_DEP_1) | instskip(SKIP_1) | instid1(VALU_DEP_1)
	v_fma_f32 v11, v252, v0 /*v256*/, -v11
	s_set_vgpr_msb 0                        ;  msbs: dst=0 src0=0 src1=0 src2=0
	v_add_f32_e32 v9, v9, v11
	s_set_vgpr_msb 5                        ;  msbs: dst=0 src0=1 src1=1 src2=0
	v_mul_f32_e32 v11, v3 /*v259*/, v7 /*v263*/
	s_delay_alu instid0(VALU_DEP_1) | instskip(SKIP_1) | instid1(VALU_DEP_1)
	v_fma_f32 v11, v2 /*v258*/, v6 /*v262*/, -v11
	s_set_vgpr_msb 0                        ;  msbs: dst=0 src0=0 src1=0 src2=0
	v_add_f32_e32 v9, v9, v11
	s_set_vgpr_msb 5                        ;  msbs: dst=0 src0=1 src1=1 src2=0
	v_mul_f32_e32 v11, v5 /*v261*/, v9 /*v265*/
	s_delay_alu instid0(VALU_DEP_1) | instskip(SKIP_1) | instid1(VALU_DEP_1)
	v_fma_f32 v11, v4 /*v260*/, v8 /*v264*/, -v11
	s_set_vgpr_msb 0                        ;  msbs: dst=0 src0=0 src1=0 src2=0
	v_add_f32_e32 v9, v9, v11
	s_set_vgpr_msb 5                        ;  msbs: dst=0 src0=1 src1=1 src2=0
	v_mul_f32_e32 v11, v11 /*v267*/, v15 /*v271*/
	s_delay_alu instid0(VALU_DEP_1) | instskip(SKIP_1) | instid1(VALU_DEP_1)
	v_fma_f32 v11, v10 /*v266*/, v14 /*v270*/, -v11
	s_set_vgpr_msb 0                        ;  msbs: dst=0 src0=0 src1=0 src2=0
	v_add_f32_e32 v9, v9, v11
	s_set_vgpr_msb 5                        ;  msbs: dst=0 src0=1 src1=1 src2=0
	v_mul_f32_e32 v11, v13 /*v269*/, v17 /*v273*/
	s_delay_alu instid0(VALU_DEP_1) | instskip(SKIP_1) | instid1(VALU_DEP_1)
	v_fma_f32 v11, v12 /*v268*/, v16 /*v272*/, -v11
	s_set_vgpr_msb 0                        ;  msbs: dst=0 src0=0 src1=0 src2=0
	v_add_f32_e32 v9, v9, v11
	s_set_vgpr_msb 5                        ;  msbs: dst=0 src0=1 src1=1 src2=0
	v_mul_f32_e32 v11, v19 /*v275*/, v23 /*v279*/
	s_delay_alu instid0(VALU_DEP_1) | instskip(SKIP_1) | instid1(VALU_DEP_1)
	v_fma_f32 v11, v18 /*v274*/, v22 /*v278*/, -v11
	s_set_vgpr_msb 0                        ;  msbs: dst=0 src0=0 src1=0 src2=0
	v_add_f32_e32 v9, v9, v11
	s_set_vgpr_msb 5                        ;  msbs: dst=0 src0=1 src1=1 src2=0
	v_mul_f32_e32 v11, v21 /*v277*/, v25 /*v281*/
	s_delay_alu instid0(VALU_DEP_1) | instskip(SKIP_1) | instid1(VALU_DEP_1)
	v_fma_f32 v11, v20 /*v276*/, v24 /*v280*/, -v11
	s_set_vgpr_msb 0                        ;  msbs: dst=0 src0=0 src1=0 src2=0
	v_add_f32_e32 v9, v9, v11
	s_set_vgpr_msb 5                        ;  msbs: dst=0 src0=1 src1=1 src2=0
	v_mul_f32_e32 v11, v27 /*v283*/, v31 /*v287*/
	s_delay_alu instid0(VALU_DEP_1) | instskip(SKIP_1) | instid1(VALU_DEP_1)
	v_fma_f32 v11, v26 /*v282*/, v30 /*v286*/, -v11
	s_set_vgpr_msb 0                        ;  msbs: dst=0 src0=0 src1=0 src2=0
	v_add_f32_e32 v9, v9, v11
	s_set_vgpr_msb 5                        ;  msbs: dst=0 src0=1 src1=1 src2=0
	v_mul_f32_e32 v11, v29 /*v285*/, v33 /*v289*/
	s_delay_alu instid0(VALU_DEP_1) | instskip(SKIP_1) | instid1(VALU_DEP_1)
	v_fma_f32 v11, v28 /*v284*/, v32 /*v288*/, -v11
	s_set_vgpr_msb 0                        ;  msbs: dst=0 src0=0 src1=0 src2=0
	v_add_f32_e32 v9, v9, v11
	s_set_vgpr_msb 5                        ;  msbs: dst=0 src0=1 src1=1 src2=0
	v_mul_f32_e32 v11, v35 /*v291*/, v39 /*v295*/
	s_delay_alu instid0(VALU_DEP_1) | instskip(SKIP_1) | instid1(VALU_DEP_1)
	v_fma_f32 v11, v34 /*v290*/, v38 /*v294*/, -v11
	s_set_vgpr_msb 0                        ;  msbs: dst=0 src0=0 src1=0 src2=0
	v_add_f32_e32 v9, v9, v11
	s_set_vgpr_msb 5                        ;  msbs: dst=0 src0=1 src1=1 src2=0
	v_mul_f32_e32 v11, v37 /*v293*/, v41 /*v297*/
	s_delay_alu instid0(VALU_DEP_1) | instskip(SKIP_1) | instid1(VALU_DEP_1)
	v_fma_f32 v11, v36 /*v292*/, v40 /*v296*/, -v11
	s_set_vgpr_msb 0                        ;  msbs: dst=0 src0=0 src1=0 src2=0
	v_add_f32_e32 v9, v9, v11
	s_set_vgpr_msb 5                        ;  msbs: dst=0 src0=1 src1=1 src2=0
	v_mul_f32_e32 v11, v43 /*v299*/, v47 /*v303*/
	s_delay_alu instid0(VALU_DEP_1) | instskip(SKIP_1) | instid1(VALU_DEP_1)
	v_fma_f32 v11, v42 /*v298*/, v46 /*v302*/, -v11
	s_set_vgpr_msb 0                        ;  msbs: dst=0 src0=0 src1=0 src2=0
	v_add_f32_e32 v9, v9, v11
	s_set_vgpr_msb 5                        ;  msbs: dst=0 src0=1 src1=1 src2=0
	v_mul_f32_e32 v11, v45 /*v301*/, v49 /*v305*/
	s_delay_alu instid0(VALU_DEP_1) | instskip(SKIP_1) | instid1(VALU_DEP_1)
	v_fma_f32 v11, v44 /*v300*/, v48 /*v304*/, -v11
	s_set_vgpr_msb 64                       ;  msbs: dst=1 src0=0 src1=0 src2=0
	v_add_f32_e32 v74 /*v330*/, v9, v11
	s_set_vgpr_msb 5                        ;  msbs: dst=0 src0=1 src1=1 src2=0
	v_mul_f32_e32 v9, v51 /*v307*/, v55 /*v311*/
	s_set_vgpr_msb 0x45                     ;  msbs: dst=1 src0=1 src1=1 src2=0
	s_delay_alu instid0(VALU_DEP_1) | instskip(SKIP_3) | instid1(VALU_DEP_1)
	v_fma_f32 v76 /*v332*/, v50 /*v306*/, v54 /*v310*/, -v9
	s_set_vgpr_msb 5                        ;  msbs: dst=0 src0=1 src1=1 src2=0
	v_mul_f32_e32 v9, v53 /*v309*/, v57 /*v313*/
	s_set_vgpr_msb 0x45                     ;  msbs: dst=1 src0=1 src1=1 src2=0
	v_fma_f32 v78 /*v334*/, v52 /*v308*/, v56 /*v312*/, -v9
	s_set_vgpr_msb 5                        ;  msbs: dst=0 src0=1 src1=1 src2=0
	v_pk_add_f32 v[146:147], v[74:75] /*v[330:331]*/, v[76:77] /*v[332:333]*/
	s_set_vgpr_msb 4                        ;  msbs: dst=0 src0=0 src1=1 src2=0
	s_delay_alu instid0(VALU_DEP_1) | instskip(SKIP_1) | instid1(VALU_DEP_1)
	v_pk_add_f32 v[146:147], v[146:147], v[78:79] /*v[334:335]*/
	s_set_vgpr_msb 0                        ;  msbs: dst=0 src0=0 src1=0 src2=0
	v_pk_add_f32 v[130:131], v[146:147], v[150:151]
	v_dual_mov_b32 v146, v133 :: v_dual_mov_b32 v147, v132
	s_delay_alu instid0(VALU_DEP_1) | instskip(SKIP_1) | instid1(VALU_DEP_1)
	v_pk_mul_f32 v[146:147], v[146:147], v[148:149] op_sel_hi:[1,0]
	s_set_vgpr_msb 4                        ;  msbs: dst=0 src0=0 src1=1 src2=0
	v_pk_fma_f32 v[148:149], v[132:133], v[60:61] /*v[316:317]*/, v[146:147] neg_lo:[0,0,1] neg_hi:[0,0,1]
	v_pk_fma_f32 v[132:133], v[132:133], v[60:61] /*v[316:317]*/, v[146:147] op_sel_hi:[1,0,1]
	s_delay_alu instid0(VALU_DEP_1) | instskip(SKIP_3) | instid1(VALU_DEP_2)
	v_mov_b32_e32 v149, v133
	s_wait_loadcnt_dscnt 0x202
	v_pk_mul_f32 v[132:133], v[134:135], v[62:63] /*v[318:319]*/ op_sel:[1,1] op_sel_hi:[0,1]
	s_set_vgpr_msb 0                        ;  msbs: dst=0 src0=0 src1=0 src2=0
	v_pk_add_f32 v[130:131], v[130:131], v[148:149]
	s_set_vgpr_msb 4                        ;  msbs: dst=0 src0=0 src1=1 src2=0
	s_delay_alu instid0(VALU_DEP_2)
	v_pk_fma_f32 v[146:147], v[134:135], v[62:63] /*v[318:319]*/, v[132:133] neg_lo:[0,0,1] neg_hi:[0,0,1]
	v_pk_fma_f32 v[132:133], v[134:135], v[62:63] /*v[318:319]*/, v[132:133] op_sel_hi:[1,0,1]
	v_mov_b32_e32 v132, v137
	s_set_vgpr_msb 1                        ;  msbs: dst=0 src0=1 src1=0 src2=0
	v_mov_b32_e32 v134, v65 /*v321*/
	s_set_vgpr_msb 0                        ;  msbs: dst=0 src0=0 src1=0 src2=0
	v_dual_mov_b32 v147, v133 :: v_dual_mov_b32 v133, v136
	s_delay_alu instid0(VALU_DEP_1) | instskip(NEXT) | instid1(VALU_DEP_2)
	v_pk_add_f32 v[130:131], v[130:131], v[146:147]
	v_pk_mul_f32 v[132:133], v[132:133], v[134:135] op_sel_hi:[1,0]
	s_set_vgpr_msb 4                        ;  msbs: dst=0 src0=0 src1=1 src2=0
	s_delay_alu instid0(VALU_DEP_1) | instskip(SKIP_1) | instid1(VALU_DEP_1)
	v_pk_fma_f32 v[134:135], v[136:137], v[64:65] /*v[320:321]*/, v[132:133] neg_lo:[0,0,1] neg_hi:[0,0,1]
	v_pk_fma_f32 v[132:133], v[136:137], v[64:65] /*v[320:321]*/, v[132:133] op_sel_hi:[1,0,1]
	v_mov_b32_e32 v135, v133
	s_wait_loadcnt_dscnt 0x101
	v_pk_mul_f32 v[132:133], v[138:139], v[66:67] /*v[322:323]*/ op_sel:[1,1] op_sel_hi:[0,1]
	s_set_vgpr_msb 0                        ;  msbs: dst=0 src0=0 src1=0 src2=0
	s_delay_alu instid0(VALU_DEP_2) | instskip(SKIP_1) | instid1(VALU_DEP_2)
	v_pk_add_f32 v[130:131], v[130:131], v[134:135]
	s_set_vgpr_msb 4                        ;  msbs: dst=0 src0=0 src1=1 src2=0
	v_pk_fma_f32 v[134:135], v[138:139], v[66:67] /*v[322:323]*/, v[132:133] neg_lo:[0,0,1] neg_hi:[0,0,1]
	v_pk_fma_f32 v[132:133], v[138:139], v[66:67] /*v[322:323]*/, v[132:133] op_sel_hi:[1,0,1]
	s_delay_alu instid0(VALU_DEP_1) | instskip(SKIP_2) | instid1(VALU_DEP_2)
	v_dual_mov_b32 v132, v141 :: v_dual_mov_b32 v135, v133
	v_mov_b32_e32 v133, v140
	s_set_vgpr_msb 0                        ;  msbs: dst=0 src0=0 src1=0 src2=0
	v_pk_add_f32 v[130:131], v[130:131], v[134:135]
	s_set_vgpr_msb 1                        ;  msbs: dst=0 src0=1 src1=0 src2=0
	v_mov_b32_e32 v134, v69 /*v325*/
	s_set_vgpr_msb 0                        ;  msbs: dst=0 src0=0 src1=0 src2=0
	s_delay_alu instid0(VALU_DEP_1) | instskip(SKIP_1) | instid1(VALU_DEP_1)
	v_pk_mul_f32 v[132:133], v[132:133], v[134:135] op_sel_hi:[1,0]
	s_set_vgpr_msb 4                        ;  msbs: dst=0 src0=0 src1=1 src2=0
	v_pk_fma_f32 v[134:135], v[140:141], v[68:69] /*v[324:325]*/, v[132:133] neg_lo:[0,0,1] neg_hi:[0,0,1]
	v_pk_fma_f32 v[132:133], v[140:141], v[68:69] /*v[324:325]*/, v[132:133] op_sel_hi:[1,0,1]
	s_delay_alu instid0(VALU_DEP_1) | instskip(SKIP_3) | instid1(VALU_DEP_2)
	v_mov_b32_e32 v135, v133
	s_wait_loadcnt_dscnt 0x0
	v_pk_mul_f32 v[132:133], v[142:143], v[70:71] /*v[326:327]*/ op_sel:[1,1] op_sel_hi:[0,1]
	s_set_vgpr_msb 0                        ;  msbs: dst=0 src0=0 src1=0 src2=0
	v_pk_add_f32 v[130:131], v[130:131], v[134:135]
	s_set_vgpr_msb 4                        ;  msbs: dst=0 src0=0 src1=1 src2=0
	s_delay_alu instid0(VALU_DEP_2) | instskip(SKIP_1) | instid1(VALU_DEP_1)
	v_pk_fma_f32 v[134:135], v[142:143], v[70:71] /*v[326:327]*/, v[132:133] neg_lo:[0,0,1] neg_hi:[0,0,1]
	v_pk_fma_f32 v[132:133], v[142:143], v[70:71] /*v[326:327]*/, v[132:133] op_sel_hi:[1,0,1]
	v_dual_mov_b32 v132, v145 :: v_dual_mov_b32 v135, v133
	v_mov_b32_e32 v133, v144
	s_set_vgpr_msb 0                        ;  msbs: dst=0 src0=0 src1=0 src2=0
	s_delay_alu instid0(VALU_DEP_2) | instskip(SKIP_3) | instid1(VALU_DEP_1)
	v_pk_add_f32 v[130:131], v[130:131], v[134:135]
	s_set_vgpr_msb 1                        ;  msbs: dst=0 src0=1 src1=0 src2=0
	v_mov_b32_e32 v134, v73 /*v329*/
	s_set_vgpr_msb 0                        ;  msbs: dst=0 src0=0 src1=0 src2=0
	v_pk_mul_f32 v[132:133], v[132:133], v[134:135] op_sel_hi:[1,0]
	s_set_vgpr_msb 4                        ;  msbs: dst=0 src0=0 src1=1 src2=0
	s_delay_alu instid0(VALU_DEP_1) | instskip(SKIP_1) | instid1(VALU_DEP_1)
	v_pk_fma_f32 v[134:135], v[144:145], v[72:73] /*v[328:329]*/, v[132:133] neg_lo:[0,0,1] neg_hi:[0,0,1]
	v_pk_fma_f32 v[132:133], v[144:145], v[72:73] /*v[328:329]*/, v[132:133] op_sel_hi:[1,0,1]
	v_mov_b32_e32 v135, v133
	scratch_load_b64 v[132:133], off, off offset:72
	s_set_vgpr_msb 0                        ;  msbs: dst=0 src0=0 src1=0 src2=0
	v_pk_add_f32 v[130:131], v[130:131], v[134:135]
	s_wait_loadcnt 0x0
	s_delay_alu instid0(VALU_DEP_1)
	v_pk_add_f32 v[130:131], v[132:133], v[130:131] neg_lo:[0,1] neg_hi:[0,1]
	scratch_store_b64 off, v[130:131], off offset:72
	s_wait_xcnt 0x0
	v_cmpx_lt_u32_e32 8, v0
	s_cbranch_execz .LBB63_381
; %bb.380:
	scratch_load_b64 v[130:131], off, off offset:64
	v_mov_b64_e32 v[132:133], 0
	scratch_store_b64 off, v[132:133], off offset:64
	s_wait_loadcnt 0x0
	ds_store_b64 v1, v[130:131]
.LBB63_381:
	s_wait_xcnt 0x0
	s_or_b32 exec_lo, exec_lo, s0
	s_wait_storecnt_dscnt 0x0
	s_barrier_signal -1
	s_barrier_wait -1
	s_clause 0xf
	scratch_load_b128 v[134:137], off, off offset:72
	scratch_load_b128 v[142:145], off, off offset:88
	;; [unrolled: 1-line block ×16, first 2 shown]
	v_mov_b32_e32 v7, 0
	s_set_vgpr_msb 64                       ;  msbs: dst=1 src0=0 src1=0 src2=0
	s_clause 0x3
	scratch_load_b128 v[6:9] /*v[262:265]*/, off, off offset:328
	scratch_load_b128 v[14:17] /*v[270:273]*/, off, off offset:344
	;; [unrolled: 1-line block ×4, first 2 shown]
	s_set_vgpr_msb 0                        ;  msbs: dst=0 src0=0 src1=0 src2=0
	ds_load_2addr_b64 v[130:133], v7 offset0:73 offset1:74
	ds_load_2addr_b64 v[138:141], v7 offset0:75 offset1:76
	s_set_vgpr_msb 64                       ;  msbs: dst=1 src0=0 src1=0 src2=0
	s_clause 0x3
	scratch_load_b128 v[38:41] /*v[294:297]*/, off, off offset:392
	scratch_load_b128 v[46:49] /*v[302:305]*/, off, off offset:408
	;; [unrolled: 1-line block ×4, first 2 shown]
	s_mov_b32 s0, exec_lo
	s_wait_loadcnt_dscnt 0x1701
	s_set_vgpr_msb 0                        ;  msbs: dst=0 src0=0 src1=0 src2=0
	v_dual_mul_f32 v9, v130, v135 :: v_dual_mul_f32 v11, v132, v137
	ds_load_2addr_b64 v[146:149], v7 offset0:77 offset1:78
	ds_load_2addr_b64 v[154:157], v7 offset0:79 offset1:80
	;; [unrolled: 1-line block ×4, first 2 shown]
	v_dual_fmac_f32 v9, v131, v134 :: v_dual_fmac_f32 v11, v133, v136
	ds_load_2addr_b64 v[178:181], v7 offset0:85 offset1:86
	ds_load_2addr_b64 v[186:189], v7 offset0:87 offset1:88
	;; [unrolled: 1-line block ×4, first 2 shown]
	v_add_f32_e32 v9, 0, v9
	ds_load_2addr_b64 v[210:213], v7 offset0:93 offset1:94
	ds_load_2addr_b64 v[218:221], v7 offset0:95 offset1:96
	ds_load_2addr_b64 v[226:229], v7 offset0:97 offset1:98
	ds_load_2addr_b64 v[234:237], v7 offset0:99 offset1:100
	v_add_f32_e32 v9, v9, v11
	s_wait_loadcnt_dscnt 0x160c
	v_mul_f32_e32 v11, v138, v143
	ds_load_2addr_b64 v[242:245], v7 offset0:101 offset1:102
	ds_load_2addr_b64 v[250:253], v7 offset0:103 offset1:104
	s_set_vgpr_msb 64                       ;  msbs: dst=1 src0=0 src1=0 src2=0
	ds_load_2addr_b64 v[2:5] /*v[258:261]*/, v7 offset0:105 offset1:106
	ds_load_2addr_b64 v[10:13] /*v[266:269]*/, v7 offset0:107 offset1:108
	s_set_vgpr_msb 0                        ;  msbs: dst=0 src0=0 src1=0 src2=0
	v_fmac_f32_e32 v11, v139, v142
	s_set_vgpr_msb 64                       ;  msbs: dst=1 src0=0 src1=0 src2=0
	ds_load_2addr_b64 v[50:53] /*v[306:309]*/, v7 offset0:117 offset1:118
	ds_load_2addr_b64 v[58:61] /*v[314:317]*/, v7 offset0:119 offset1:120
	;; [unrolled: 1-line block ×4, first 2 shown]
	s_set_vgpr_msb 0                        ;  msbs: dst=0 src0=0 src1=0 src2=0
	v_dual_add_f32 v9, v9, v11 :: v_dual_mul_f32 v11, v140, v145
	s_set_vgpr_msb 64                       ;  msbs: dst=1 src0=0 src1=0 src2=0
	ds_load_2addr_b64 v[34:37] /*v[290:293]*/, v7 offset0:113 offset1:114
	ds_load_2addr_b64 v[42:45] /*v[298:301]*/, v7 offset0:115 offset1:116
	s_clause 0x3
	scratch_load_b128 v[66:69] /*v[322:325]*/, off, off offset:456
	scratch_load_b128 v[70:73] /*v[326:329]*/, off, off offset:472
	scratch_load_b128 v[74:77] /*v[330:333]*/, off, off offset:488
	scratch_load_b64 v[84:85] /*v[340:341]*/, off, off offset:504
	s_set_vgpr_msb 0                        ;  msbs: dst=0 src0=0 src1=0 src2=0
	v_fmac_f32_e32 v11, v141, v144
	s_delay_alu instid0(VALU_DEP_1)
	v_add_f32_e32 v9, v9, v11
	s_wait_loadcnt_dscnt 0x1915
	v_mul_f32_e32 v11, v146, v151
	s_wait_loadcnt_dscnt 0x404
	s_set_vgpr_msb 0x45                     ;  msbs: dst=1 src0=1 src1=1 src2=0
	v_dual_mul_f32 v81 /*v337*/, v52 /*v308*/, v57 /*v313*/ :: v_dual_mul_f32 v83 /*v339*/, v58 /*v314*/, v63 /*v319*/
	s_set_vgpr_msb 0                        ;  msbs: dst=0 src0=0 src1=0 src2=0
	v_fmac_f32_e32 v11, v147, v150
	s_set_vgpr_msb 0x45                     ;  msbs: dst=1 src0=1 src1=1 src2=0
	s_delay_alu instid0(VALU_DEP_2) | instskip(SKIP_1) | instid1(VALU_DEP_2)
	v_dual_fmac_f32 v81 /*v337*/, v53 /*v309*/, v56 /*v312*/ :: v_dual_fmac_f32 v83 /*v339*/, v59 /*v315*/, v62 /*v318*/
	s_set_vgpr_msb 0                        ;  msbs: dst=0 src0=0 src1=0 src2=0
	v_dual_add_f32 v9, v9, v11 :: v_dual_mul_f32 v11, v148, v153
	s_delay_alu instid0(VALU_DEP_1) | instskip(NEXT) | instid1(VALU_DEP_1)
	v_fmac_f32_e32 v11, v149, v152
	v_add_f32_e32 v9, v9, v11
	v_mul_f32_e32 v11, v154, v159
	s_delay_alu instid0(VALU_DEP_1) | instskip(NEXT) | instid1(VALU_DEP_1)
	v_fmac_f32_e32 v11, v155, v158
	v_dual_add_f32 v9, v9, v11 :: v_dual_mul_f32 v11, v156, v161
	s_delay_alu instid0(VALU_DEP_1) | instskip(NEXT) | instid1(VALU_DEP_1)
	v_fmac_f32_e32 v11, v157, v160
	v_add_f32_e32 v9, v9, v11
	v_mul_f32_e32 v11, v162, v167
	s_delay_alu instid0(VALU_DEP_1) | instskip(NEXT) | instid1(VALU_DEP_1)
	v_fmac_f32_e32 v11, v163, v166
	;; [unrolled: 7-line block ×13, first 2 shown]
	v_add_f32_e32 v9, v9, v11
	s_set_vgpr_msb 4                        ;  msbs: dst=0 src0=0 src1=1 src2=0
	v_mul_f32_e32 v11, v252, v1 /*v257*/
	s_delay_alu instid0(VALU_DEP_1) | instskip(SKIP_1) | instid1(VALU_DEP_1)
	v_fmac_f32_e32 v11, v253, v0 /*v256*/
	s_set_vgpr_msb 0                        ;  msbs: dst=0 src0=0 src1=0 src2=0
	v_add_f32_e32 v9, v9, v11
	s_set_vgpr_msb 5                        ;  msbs: dst=0 src0=1 src1=1 src2=0
	v_mul_f32_e32 v11, v2 /*v258*/, v7 /*v263*/
	s_delay_alu instid0(VALU_DEP_1) | instskip(SKIP_1) | instid1(VALU_DEP_1)
	v_fmac_f32_e32 v11, v3 /*v259*/, v6 /*v262*/
	s_set_vgpr_msb 0                        ;  msbs: dst=0 src0=0 src1=0 src2=0
	v_add_f32_e32 v9, v9, v11
	s_set_vgpr_msb 5                        ;  msbs: dst=0 src0=1 src1=1 src2=0
	v_mul_f32_e32 v11, v4 /*v260*/, v9 /*v265*/
	s_delay_alu instid0(VALU_DEP_1) | instskip(SKIP_1) | instid1(VALU_DEP_1)
	v_fmac_f32_e32 v11, v5 /*v261*/, v8 /*v264*/
	;; [unrolled: 6-line block ×4, first 2 shown]
	s_set_vgpr_msb 0                        ;  msbs: dst=0 src0=0 src1=0 src2=0
	v_add_f32_e32 v9, v9, v11
	s_wait_dscnt 0x3
	s_set_vgpr_msb 5                        ;  msbs: dst=0 src0=1 src1=1 src2=0
	v_mul_f32_e32 v11, v18 /*v274*/, v23 /*v279*/
	s_delay_alu instid0(VALU_DEP_1) | instskip(SKIP_1) | instid1(VALU_DEP_1)
	v_fmac_f32_e32 v11, v19 /*v275*/, v22 /*v278*/
	s_set_vgpr_msb 0                        ;  msbs: dst=0 src0=0 src1=0 src2=0
	v_add_f32_e32 v9, v9, v11
	s_set_vgpr_msb 5                        ;  msbs: dst=0 src0=1 src1=1 src2=0
	v_mul_f32_e32 v11, v20 /*v276*/, v25 /*v281*/
	s_delay_alu instid0(VALU_DEP_1) | instskip(SKIP_1) | instid1(VALU_DEP_1)
	v_fmac_f32_e32 v11, v21 /*v277*/, v24 /*v280*/
	s_set_vgpr_msb 0                        ;  msbs: dst=0 src0=0 src1=0 src2=0
	v_add_f32_e32 v9, v9, v11
	s_wait_dscnt 0x2
	s_set_vgpr_msb 5                        ;  msbs: dst=0 src0=1 src1=1 src2=0
	v_mul_f32_e32 v11, v26 /*v282*/, v31 /*v287*/
	s_delay_alu instid0(VALU_DEP_1) | instskip(SKIP_1) | instid1(VALU_DEP_1)
	v_fmac_f32_e32 v11, v27 /*v283*/, v30 /*v286*/
	s_set_vgpr_msb 0                        ;  msbs: dst=0 src0=0 src1=0 src2=0
	v_add_f32_e32 v9, v9, v11
	s_set_vgpr_msb 5                        ;  msbs: dst=0 src0=1 src1=1 src2=0
	v_mul_f32_e32 v11, v28 /*v284*/, v33 /*v289*/
	s_delay_alu instid0(VALU_DEP_1) | instskip(SKIP_1) | instid1(VALU_DEP_1)
	v_fmac_f32_e32 v11, v29 /*v285*/, v32 /*v288*/
	;; [unrolled: 13-line block ×4, first 2 shown]
	s_set_vgpr_msb 0                        ;  msbs: dst=0 src0=0 src1=0 src2=0
	v_add_f32_e32 v9, v9, v11
	s_set_vgpr_msb 5                        ;  msbs: dst=0 src0=1 src1=1 src2=0
	v_mul_f32_e32 v11, v50 /*v306*/, v55 /*v311*/
	s_delay_alu instid0(VALU_DEP_1) | instskip(SKIP_1) | instid1(VALU_DEP_1)
	v_fmac_f32_e32 v11, v51 /*v307*/, v54 /*v310*/
	s_set_vgpr_msb 64                       ;  msbs: dst=1 src0=0 src1=0 src2=0
	v_add_f32_e32 v79 /*v335*/, v9, v11
	s_set_vgpr_msb 0                        ;  msbs: dst=0 src0=0 src1=0 src2=0
	v_dual_mul_f32 v9, v131, v135 :: v_dual_mul_f32 v11, v133, v137
	s_delay_alu instid0(VALU_DEP_1) | instskip(NEXT) | instid1(VALU_DEP_1)
	v_dual_fma_f32 v9, v130, v134, -v9 :: v_dual_fma_f32 v11, v132, v136, -v11
	v_add_f32_e32 v9, 0, v9
	s_delay_alu instid0(VALU_DEP_1) | instskip(SKIP_1) | instid1(VALU_DEP_1)
	v_add_f32_e32 v9, v9, v11
	v_mul_f32_e32 v11, v139, v143
	v_fma_f32 v11, v138, v142, -v11
	s_delay_alu instid0(VALU_DEP_1) | instskip(SKIP_1) | instid1(VALU_DEP_1)
	v_add_f32_e32 v9, v9, v11
	v_mul_f32_e32 v11, v141, v145
	v_fma_f32 v11, v140, v144, -v11
	ds_load_2addr_b64 v[130:133], v7 offset0:121 offset1:122
	ds_load_2addr_b64 v[134:137], v7 offset0:123 offset1:124
	;; [unrolled: 1-line block ×3, first 2 shown]
	ds_load_b64 v[142:143], v7 offset:1016
	v_add_f32_e32 v9, v9, v11
	v_mul_f32_e32 v11, v147, v151
	s_set_vgpr_msb 1                        ;  msbs: dst=0 src0=1 src1=0 src2=0
	v_mov_b32_e32 v147, v60 /*v316*/
	s_set_vgpr_msb 0                        ;  msbs: dst=0 src0=0 src1=0 src2=0
	s_delay_alu instid0(VALU_DEP_2) | instskip(SKIP_3) | instid1(VALU_DEP_2)
	v_fma_f32 v11, v146, v150, -v11
	s_set_vgpr_msb 1                        ;  msbs: dst=0 src0=1 src1=0 src2=0
	v_mov_b32_e32 v146, v61 /*v317*/
	s_set_vgpr_msb 0                        ;  msbs: dst=0 src0=0 src1=0 src2=0
	v_add_f32_e32 v9, v9, v11
	v_mul_f32_e32 v11, v149, v153
	s_delay_alu instid0(VALU_DEP_1) | instskip(SKIP_3) | instid1(VALU_DEP_2)
	v_fma_f32 v11, v148, v152, -v11
	s_set_vgpr_msb 1                        ;  msbs: dst=0 src0=1 src1=0 src2=0
	v_mov_b32_e32 v148, v65 /*v321*/
	s_set_vgpr_msb 0                        ;  msbs: dst=0 src0=0 src1=0 src2=0
	v_add_f32_e32 v9, v9, v11
	v_mul_f32_e32 v11, v155, v159
	s_delay_alu instid0(VALU_DEP_3) | instskip(NEXT) | instid1(VALU_DEP_2)
	v_pk_mul_f32 v[146:147], v[146:147], v[148:149] op_sel_hi:[1,0]
	v_fma_f32 v11, v154, v158, -v11
	s_set_vgpr_msb 5                        ;  msbs: dst=0 src0=1 src1=1 src2=0
	s_delay_alu instid0(VALU_DEP_2) | instskip(SKIP_3) | instid1(VALU_DEP_2)
	v_pk_fma_f32 v[148:149], v[60:61] /*v[316:317]*/, v[64:65] /*v[320:321]*/, v[146:147] neg_lo:[0,0,1] neg_hi:[0,0,1]
	v_pk_fma_f32 v[146:147], v[60:61] /*v[316:317]*/, v[64:65] /*v[320:321]*/, v[146:147] op_sel_hi:[1,0,1]
	s_set_vgpr_msb 0                        ;  msbs: dst=0 src0=0 src1=0 src2=0
	v_add_f32_e32 v9, v9, v11
	v_dual_mul_f32 v11, v157, v161 :: v_dual_mov_b32 v149, v147
	s_wait_loadcnt_dscnt 0x303
	s_set_vgpr_msb 4                        ;  msbs: dst=0 src0=0 src1=1 src2=0
	v_pk_mul_f32 v[146:147], v[130:131], v[66:67] /*v[322:323]*/ op_sel:[1,1] op_sel_hi:[0,1]
	s_set_vgpr_msb 0                        ;  msbs: dst=0 src0=0 src1=0 src2=0
	v_fma_f32 v11, v156, v160, -v11
	s_delay_alu instid0(VALU_DEP_1) | instskip(SKIP_1) | instid1(VALU_DEP_1)
	v_add_f32_e32 v9, v9, v11
	v_mul_f32_e32 v11, v163, v167
	v_fma_f32 v11, v162, v166, -v11
	s_delay_alu instid0(VALU_DEP_1) | instskip(SKIP_1) | instid1(VALU_DEP_1)
	v_add_f32_e32 v9, v9, v11
	v_mul_f32_e32 v11, v165, v169
	;; [unrolled: 4-line block ×23, first 2 shown]
	v_fma_f32 v11, v250, v254, -v11
	s_delay_alu instid0(VALU_DEP_1) | instskip(SKIP_2) | instid1(VALU_DEP_1)
	v_add_f32_e32 v9, v9, v11
	s_set_vgpr_msb 4                        ;  msbs: dst=0 src0=0 src1=1 src2=0
	v_mul_f32_e32 v11, v253, v1 /*v257*/
	v_fma_f32 v11, v252, v0 /*v256*/, -v11
	s_set_vgpr_msb 0                        ;  msbs: dst=0 src0=0 src1=0 src2=0
	s_delay_alu instid0(VALU_DEP_1) | instskip(SKIP_2) | instid1(VALU_DEP_1)
	v_add_f32_e32 v9, v9, v11
	s_set_vgpr_msb 5                        ;  msbs: dst=0 src0=1 src1=1 src2=0
	v_mul_f32_e32 v11, v3 /*v259*/, v7 /*v263*/
	v_fma_f32 v11, v2 /*v258*/, v6 /*v262*/, -v11
	s_set_vgpr_msb 0                        ;  msbs: dst=0 src0=0 src1=0 src2=0
	s_delay_alu instid0(VALU_DEP_1) | instskip(SKIP_2) | instid1(VALU_DEP_1)
	v_add_f32_e32 v9, v9, v11
	s_set_vgpr_msb 5                        ;  msbs: dst=0 src0=1 src1=1 src2=0
	v_mul_f32_e32 v11, v5 /*v261*/, v9 /*v265*/
	v_fma_f32 v11, v4 /*v260*/, v8 /*v264*/, -v11
	;; [unrolled: 6-line block ×13, first 2 shown]
	s_set_vgpr_msb 64                       ;  msbs: dst=1 src0=0 src1=0 src2=0
	s_delay_alu instid0(VALU_DEP_1) | instskip(SKIP_3) | instid1(VALU_DEP_1)
	v_add_f32_e32 v78 /*v334*/, v9, v11
	s_set_vgpr_msb 5                        ;  msbs: dst=0 src0=1 src1=1 src2=0
	v_mul_f32_e32 v9, v53 /*v309*/, v57 /*v313*/
	s_set_vgpr_msb 0x45                     ;  msbs: dst=1 src0=1 src1=1 src2=0
	v_fma_f32 v80 /*v336*/, v52 /*v308*/, v56 /*v312*/, -v9
	s_set_vgpr_msb 5                        ;  msbs: dst=0 src0=1 src1=1 src2=0
	v_mul_f32_e32 v9, v59 /*v315*/, v63 /*v319*/
	s_set_vgpr_msb 0x45                     ;  msbs: dst=1 src0=1 src1=1 src2=0
	s_delay_alu instid0(VALU_DEP_1) | instskip(SKIP_3) | instid1(VALU_DEP_1)
	v_fma_f32 v82 /*v338*/, v58 /*v314*/, v62 /*v318*/, -v9
	s_set_vgpr_msb 5                        ;  msbs: dst=0 src0=1 src1=1 src2=0
	v_pk_add_f32 v[144:145], v[78:79] /*v[334:335]*/, v[80:81] /*v[336:337]*/
	s_set_vgpr_msb 4                        ;  msbs: dst=0 src0=0 src1=1 src2=0
	v_pk_add_f32 v[144:145], v[144:145], v[82:83] /*v[338:339]*/
	s_set_vgpr_msb 0                        ;  msbs: dst=0 src0=0 src1=0 src2=0
	s_delay_alu instid0(VALU_DEP_1)
	v_pk_add_f32 v[144:145], v[144:145], v[148:149]
	s_set_vgpr_msb 4                        ;  msbs: dst=0 src0=0 src1=1 src2=0
	v_pk_fma_f32 v[148:149], v[130:131], v[66:67] /*v[322:323]*/, v[146:147] neg_lo:[0,0,1] neg_hi:[0,0,1]
	v_pk_fma_f32 v[130:131], v[130:131], v[66:67] /*v[322:323]*/, v[146:147] op_sel_hi:[1,0,1]
	s_set_vgpr_msb 1                        ;  msbs: dst=0 src0=1 src1=0 src2=0
	v_mov_b32_e32 v146, v69 /*v325*/
	s_set_vgpr_msb 0                        ;  msbs: dst=0 src0=0 src1=0 src2=0
	s_delay_alu instid0(VALU_DEP_2) | instskip(NEXT) | instid1(VALU_DEP_1)
	v_mov_b32_e32 v149, v131
	v_pk_add_f32 v[130:131], v[144:145], v[148:149]
	v_dual_mov_b32 v144, v133 :: v_dual_mov_b32 v145, v132
	s_delay_alu instid0(VALU_DEP_1) | instskip(SKIP_1) | instid1(VALU_DEP_1)
	v_pk_mul_f32 v[144:145], v[144:145], v[146:147] op_sel_hi:[1,0]
	s_set_vgpr_msb 4                        ;  msbs: dst=0 src0=0 src1=1 src2=0
	v_pk_fma_f32 v[146:147], v[132:133], v[68:69] /*v[324:325]*/, v[144:145] neg_lo:[0,0,1] neg_hi:[0,0,1]
	v_pk_fma_f32 v[132:133], v[132:133], v[68:69] /*v[324:325]*/, v[144:145] op_sel_hi:[1,0,1]
	s_delay_alu instid0(VALU_DEP_1) | instskip(SKIP_3) | instid1(VALU_DEP_2)
	v_mov_b32_e32 v147, v133
	s_wait_loadcnt_dscnt 0x202
	v_pk_mul_f32 v[132:133], v[134:135], v[70:71] /*v[326:327]*/ op_sel:[1,1] op_sel_hi:[0,1]
	s_set_vgpr_msb 0                        ;  msbs: dst=0 src0=0 src1=0 src2=0
	v_pk_add_f32 v[130:131], v[130:131], v[146:147]
	s_set_vgpr_msb 4                        ;  msbs: dst=0 src0=0 src1=1 src2=0
	s_delay_alu instid0(VALU_DEP_2)
	v_pk_fma_f32 v[144:145], v[134:135], v[70:71] /*v[326:327]*/, v[132:133] neg_lo:[0,0,1] neg_hi:[0,0,1]
	v_pk_fma_f32 v[132:133], v[134:135], v[70:71] /*v[326:327]*/, v[132:133] op_sel_hi:[1,0,1]
	v_mov_b32_e32 v132, v137
	s_set_vgpr_msb 1                        ;  msbs: dst=0 src0=1 src1=0 src2=0
	v_mov_b32_e32 v134, v73 /*v329*/
	s_set_vgpr_msb 0                        ;  msbs: dst=0 src0=0 src1=0 src2=0
	v_dual_mov_b32 v145, v133 :: v_dual_mov_b32 v133, v136
	s_delay_alu instid0(VALU_DEP_1) | instskip(NEXT) | instid1(VALU_DEP_2)
	v_pk_add_f32 v[130:131], v[130:131], v[144:145]
	v_pk_mul_f32 v[132:133], v[132:133], v[134:135] op_sel_hi:[1,0]
	s_set_vgpr_msb 4                        ;  msbs: dst=0 src0=0 src1=1 src2=0
	s_delay_alu instid0(VALU_DEP_1) | instskip(SKIP_1) | instid1(VALU_DEP_1)
	v_pk_fma_f32 v[134:135], v[136:137], v[72:73] /*v[328:329]*/, v[132:133] neg_lo:[0,0,1] neg_hi:[0,0,1]
	v_pk_fma_f32 v[132:133], v[136:137], v[72:73] /*v[328:329]*/, v[132:133] op_sel_hi:[1,0,1]
	v_mov_b32_e32 v135, v133
	s_wait_loadcnt_dscnt 0x101
	v_pk_mul_f32 v[132:133], v[138:139], v[74:75] /*v[330:331]*/ op_sel:[1,1] op_sel_hi:[0,1]
	s_set_vgpr_msb 0                        ;  msbs: dst=0 src0=0 src1=0 src2=0
	s_delay_alu instid0(VALU_DEP_2) | instskip(SKIP_1) | instid1(VALU_DEP_2)
	v_pk_add_f32 v[130:131], v[130:131], v[134:135]
	s_set_vgpr_msb 4                        ;  msbs: dst=0 src0=0 src1=1 src2=0
	v_pk_fma_f32 v[134:135], v[138:139], v[74:75] /*v[330:331]*/, v[132:133] neg_lo:[0,0,1] neg_hi:[0,0,1]
	v_pk_fma_f32 v[132:133], v[138:139], v[74:75] /*v[330:331]*/, v[132:133] op_sel_hi:[1,0,1]
	s_delay_alu instid0(VALU_DEP_1) | instskip(SKIP_2) | instid1(VALU_DEP_2)
	v_dual_mov_b32 v132, v141 :: v_dual_mov_b32 v135, v133
	v_mov_b32_e32 v133, v140
	s_set_vgpr_msb 0                        ;  msbs: dst=0 src0=0 src1=0 src2=0
	v_pk_add_f32 v[130:131], v[130:131], v[134:135]
	s_set_vgpr_msb 1                        ;  msbs: dst=0 src0=1 src1=0 src2=0
	v_mov_b32_e32 v134, v77 /*v333*/
	s_set_vgpr_msb 0                        ;  msbs: dst=0 src0=0 src1=0 src2=0
	s_delay_alu instid0(VALU_DEP_1) | instskip(SKIP_1) | instid1(VALU_DEP_1)
	v_pk_mul_f32 v[132:133], v[132:133], v[134:135] op_sel_hi:[1,0]
	s_set_vgpr_msb 4                        ;  msbs: dst=0 src0=0 src1=1 src2=0
	v_pk_fma_f32 v[134:135], v[140:141], v[76:77] /*v[332:333]*/, v[132:133] neg_lo:[0,0,1] neg_hi:[0,0,1]
	v_pk_fma_f32 v[132:133], v[140:141], v[76:77] /*v[332:333]*/, v[132:133] op_sel_hi:[1,0,1]
	s_delay_alu instid0(VALU_DEP_1) | instskip(SKIP_3) | instid1(VALU_DEP_2)
	v_mov_b32_e32 v135, v133
	s_wait_loadcnt_dscnt 0x0
	v_pk_mul_f32 v[132:133], v[142:143], v[84:85] /*v[340:341]*/ op_sel:[1,1] op_sel_hi:[0,1]
	s_set_vgpr_msb 0                        ;  msbs: dst=0 src0=0 src1=0 src2=0
	v_pk_add_f32 v[130:131], v[130:131], v[134:135]
	s_set_vgpr_msb 4                        ;  msbs: dst=0 src0=0 src1=1 src2=0
	s_delay_alu instid0(VALU_DEP_2) | instskip(SKIP_1) | instid1(VALU_DEP_1)
	v_pk_fma_f32 v[134:135], v[142:143], v[84:85] /*v[340:341]*/, v[132:133] neg_lo:[0,0,1] neg_hi:[0,0,1]
	v_pk_fma_f32 v[132:133], v[142:143], v[84:85] /*v[340:341]*/, v[132:133] op_sel_hi:[1,0,1]
	v_mov_b32_e32 v135, v133
	scratch_load_b64 v[132:133], off, off offset:64
	s_set_vgpr_msb 0                        ;  msbs: dst=0 src0=0 src1=0 src2=0
	v_pk_add_f32 v[130:131], v[130:131], v[134:135]
	s_wait_loadcnt 0x0
	s_delay_alu instid0(VALU_DEP_1)
	v_pk_add_f32 v[130:131], v[132:133], v[130:131] neg_lo:[0,1] neg_hi:[0,1]
	scratch_store_b64 off, v[130:131], off offset:64
	s_wait_xcnt 0x0
	v_cmpx_lt_u32_e32 7, v0
	s_cbranch_execz .LBB63_383
; %bb.382:
	scratch_load_b64 v[130:131], off, off offset:56
	v_mov_b64_e32 v[132:133], 0
	scratch_store_b64 off, v[132:133], off offset:56
	s_wait_loadcnt 0x0
	ds_store_b64 v1, v[130:131]
.LBB63_383:
	s_wait_xcnt 0x0
	s_or_b32 exec_lo, exec_lo, s0
	s_wait_storecnt_dscnt 0x0
	s_barrier_signal -1
	s_barrier_wait -1
	ds_load_b128 v[130:133], v7 offset:576
	ds_load_b128 v[134:137], v7 offset:592
	;; [unrolled: 1-line block ×4, first 2 shown]
	s_clause 0x14
	scratch_load_b128 v[146:149], off, off offset:64
	scratch_load_b128 v[150:153], off, off offset:80
	;; [unrolled: 1-line block ×16, first 2 shown]
	s_set_vgpr_msb 64                       ;  msbs: dst=1 src0=0 src1=0 src2=0
	scratch_load_b128 v[6:9] /*v[262:265]*/, off, off offset:320
	scratch_load_b128 v[14:17] /*v[270:273]*/, off, off offset:336
	;; [unrolled: 1-line block ×4, first 2 shown]
	s_set_vgpr_msb 0                        ;  msbs: dst=0 src0=0 src1=0 src2=0
	ds_load_b128 v[162:165], v7 offset:640
	ds_load_b128 v[170:173], v7 offset:656
	s_set_vgpr_msb 64                       ;  msbs: dst=1 src0=0 src1=0 src2=0
	s_clause 0x1
	scratch_load_b128 v[38:41] /*v[294:297]*/, off, off offset:384
	scratch_load_b128 v[46:49] /*v[302:305]*/, off, off offset:400
	s_set_vgpr_msb 0                        ;  msbs: dst=0 src0=0 src1=0 src2=0
	ds_load_b128 v[178:181], v7 offset:672
	ds_load_b128 v[186:189], v7 offset:688
	s_set_vgpr_msb 64                       ;  msbs: dst=1 src0=0 src1=0 src2=0
	s_clause 0x1
	scratch_load_b128 v[54:57] /*v[310:313]*/, off, off offset:416
	scratch_load_b128 v[62:65] /*v[318:321]*/, off, off offset:432
	s_set_vgpr_msb 0                        ;  msbs: dst=0 src0=0 src1=0 src2=0
	ds_load_b128 v[194:197], v7 offset:704
	ds_load_b128 v[202:205], v7 offset:720
	ds_load_b128 v[210:213], v7 offset:736
	ds_load_b128 v[218:221], v7 offset:752
	ds_load_b128 v[226:229], v7 offset:768
	ds_load_b128 v[234:237], v7 offset:784
	ds_load_b128 v[242:245], v7 offset:800
	ds_load_b128 v[250:253], v7 offset:816
	s_set_vgpr_msb 64                       ;  msbs: dst=1 src0=0 src1=0 src2=0
	ds_load_b128 v[2:5] /*v[258:261]*/, v7 offset:832
	ds_load_b128 v[10:13] /*v[266:269]*/, v7 offset:848
	;; [unrolled: 1-line block ×8, first 2 shown]
	s_clause 0x3
	scratch_load_b128 v[66:69] /*v[322:325]*/, off, off offset:448
	scratch_load_b128 v[70:73] /*v[326:329]*/, off, off offset:464
	;; [unrolled: 1-line block ×4, first 2 shown]
	s_mov_b32 s0, exec_lo
	s_wait_loadcnt_dscnt 0x1b17
	s_set_vgpr_msb 0                        ;  msbs: dst=0 src0=0 src1=0 src2=0
	v_dual_mul_f32 v9, v130, v147 :: v_dual_mul_f32 v11, v132, v149
	s_delay_alu instid0(VALU_DEP_1) | instskip(NEXT) | instid1(VALU_DEP_1)
	v_dual_fmac_f32 v9, v131, v146 :: v_dual_fmac_f32 v11, v133, v148
	v_add_f32_e32 v9, 0, v9
	s_delay_alu instid0(VALU_DEP_1) | instskip(SKIP_2) | instid1(VALU_DEP_1)
	v_add_f32_e32 v9, v9, v11
	s_wait_loadcnt_dscnt 0x1a16
	v_mul_f32_e32 v11, v134, v151
	v_fmac_f32_e32 v11, v135, v150
	s_delay_alu instid0(VALU_DEP_1)
	v_dual_add_f32 v9, v9, v11 :: v_dual_mul_f32 v11, v136, v153
	s_wait_loadcnt_dscnt 0x404
	s_set_vgpr_msb 0x45                     ;  msbs: dst=1 src0=1 src1=1 src2=0
	v_dual_mul_f32 v85 /*v341*/, v58 /*v314*/, v63 /*v319*/ :: v_dual_mul_f32 v87 /*v343*/, v60 /*v316*/, v65 /*v321*/
	s_set_vgpr_msb 0                        ;  msbs: dst=0 src0=0 src1=0 src2=0
	v_fmac_f32_e32 v11, v137, v152
	s_set_vgpr_msb 0x45                     ;  msbs: dst=1 src0=1 src1=1 src2=0
	s_delay_alu instid0(VALU_DEP_2) | instskip(SKIP_1) | instid1(VALU_DEP_2)
	v_dual_fmac_f32 v85 /*v341*/, v59 /*v315*/, v62 /*v318*/ :: v_dual_fmac_f32 v87 /*v343*/, v61 /*v317*/, v64 /*v320*/
	s_set_vgpr_msb 0                        ;  msbs: dst=0 src0=0 src1=0 src2=0
	v_add_f32_e32 v9, v9, v11
	v_mul_f32_e32 v11, v138, v155
	s_delay_alu instid0(VALU_DEP_1) | instskip(NEXT) | instid1(VALU_DEP_1)
	v_fmac_f32_e32 v11, v139, v154
	v_dual_add_f32 v9, v9, v11 :: v_dual_mul_f32 v11, v140, v157
	s_delay_alu instid0(VALU_DEP_1) | instskip(NEXT) | instid1(VALU_DEP_1)
	v_fmac_f32_e32 v11, v141, v156
	v_add_f32_e32 v9, v9, v11
	v_mul_f32_e32 v11, v142, v159
	s_delay_alu instid0(VALU_DEP_1) | instskip(NEXT) | instid1(VALU_DEP_1)
	v_fmac_f32_e32 v11, v143, v158
	v_dual_add_f32 v9, v9, v11 :: v_dual_mul_f32 v11, v144, v161
	s_delay_alu instid0(VALU_DEP_1) | instskip(NEXT) | instid1(VALU_DEP_1)
	v_fmac_f32_e32 v11, v145, v160
	;; [unrolled: 7-line block ×13, first 2 shown]
	v_add_f32_e32 v9, v9, v11
	v_mul_f32_e32 v11, v250, v255
	s_delay_alu instid0(VALU_DEP_1) | instskip(NEXT) | instid1(VALU_DEP_1)
	v_fmac_f32_e32 v11, v251, v254
	v_add_f32_e32 v9, v9, v11
	s_set_vgpr_msb 4                        ;  msbs: dst=0 src0=0 src1=1 src2=0
	v_mul_f32_e32 v11, v252, v1 /*v257*/
	s_delay_alu instid0(VALU_DEP_1) | instskip(SKIP_1) | instid1(VALU_DEP_1)
	v_fmac_f32_e32 v11, v253, v0 /*v256*/
	s_set_vgpr_msb 0                        ;  msbs: dst=0 src0=0 src1=0 src2=0
	v_add_f32_e32 v9, v9, v11
	s_set_vgpr_msb 5                        ;  msbs: dst=0 src0=1 src1=1 src2=0
	v_mul_f32_e32 v11, v2 /*v258*/, v7 /*v263*/
	s_delay_alu instid0(VALU_DEP_1) | instskip(SKIP_1) | instid1(VALU_DEP_1)
	v_fmac_f32_e32 v11, v3 /*v259*/, v6 /*v262*/
	s_set_vgpr_msb 0                        ;  msbs: dst=0 src0=0 src1=0 src2=0
	v_add_f32_e32 v9, v9, v11
	s_set_vgpr_msb 5                        ;  msbs: dst=0 src0=1 src1=1 src2=0
	v_mul_f32_e32 v11, v4 /*v260*/, v9 /*v265*/
	s_delay_alu instid0(VALU_DEP_1) | instskip(SKIP_1) | instid1(VALU_DEP_1)
	v_fmac_f32_e32 v11, v5 /*v261*/, v8 /*v264*/
	;; [unrolled: 6-line block ×4, first 2 shown]
	s_set_vgpr_msb 0                        ;  msbs: dst=0 src0=0 src1=0 src2=0
	v_add_f32_e32 v9, v9, v11
	s_wait_dscnt 0x3
	s_set_vgpr_msb 5                        ;  msbs: dst=0 src0=1 src1=1 src2=0
	v_mul_f32_e32 v11, v18 /*v274*/, v23 /*v279*/
	s_delay_alu instid0(VALU_DEP_1) | instskip(SKIP_1) | instid1(VALU_DEP_1)
	v_fmac_f32_e32 v11, v19 /*v275*/, v22 /*v278*/
	s_set_vgpr_msb 0                        ;  msbs: dst=0 src0=0 src1=0 src2=0
	v_add_f32_e32 v9, v9, v11
	s_set_vgpr_msb 5                        ;  msbs: dst=0 src0=1 src1=1 src2=0
	v_mul_f32_e32 v11, v20 /*v276*/, v25 /*v281*/
	s_delay_alu instid0(VALU_DEP_1) | instskip(SKIP_1) | instid1(VALU_DEP_1)
	v_fmac_f32_e32 v11, v21 /*v277*/, v24 /*v280*/
	s_set_vgpr_msb 0                        ;  msbs: dst=0 src0=0 src1=0 src2=0
	v_add_f32_e32 v9, v9, v11
	s_wait_dscnt 0x2
	s_set_vgpr_msb 5                        ;  msbs: dst=0 src0=1 src1=1 src2=0
	v_mul_f32_e32 v11, v26 /*v282*/, v31 /*v287*/
	s_delay_alu instid0(VALU_DEP_1) | instskip(SKIP_1) | instid1(VALU_DEP_1)
	v_fmac_f32_e32 v11, v27 /*v283*/, v30 /*v286*/
	s_set_vgpr_msb 0                        ;  msbs: dst=0 src0=0 src1=0 src2=0
	v_add_f32_e32 v9, v9, v11
	s_set_vgpr_msb 5                        ;  msbs: dst=0 src0=1 src1=1 src2=0
	v_mul_f32_e32 v11, v28 /*v284*/, v33 /*v289*/
	s_delay_alu instid0(VALU_DEP_1) | instskip(SKIP_1) | instid1(VALU_DEP_1)
	v_fmac_f32_e32 v11, v29 /*v285*/, v32 /*v288*/
	;; [unrolled: 13-line block ×4, first 2 shown]
	s_set_vgpr_msb 0                        ;  msbs: dst=0 src0=0 src1=0 src2=0
	v_add_f32_e32 v9, v9, v11
	s_set_vgpr_msb 5                        ;  msbs: dst=0 src0=1 src1=1 src2=0
	v_mul_f32_e32 v11, v50 /*v306*/, v55 /*v311*/
	s_delay_alu instid0(VALU_DEP_1) | instskip(SKIP_1) | instid1(VALU_DEP_1)
	v_fmac_f32_e32 v11, v51 /*v307*/, v54 /*v310*/
	s_set_vgpr_msb 0                        ;  msbs: dst=0 src0=0 src1=0 src2=0
	v_add_f32_e32 v9, v9, v11
	s_set_vgpr_msb 5                        ;  msbs: dst=0 src0=1 src1=1 src2=0
	v_mul_f32_e32 v11, v52 /*v308*/, v57 /*v313*/
	s_delay_alu instid0(VALU_DEP_1) | instskip(SKIP_1) | instid1(VALU_DEP_1)
	v_fmac_f32_e32 v11, v53 /*v309*/, v56 /*v312*/
	s_set_vgpr_msb 64                       ;  msbs: dst=1 src0=0 src1=0 src2=0
	v_add_f32_e32 v83 /*v339*/, v9, v11
	s_set_vgpr_msb 0                        ;  msbs: dst=0 src0=0 src1=0 src2=0
	v_dual_mul_f32 v9, v131, v147 :: v_dual_mul_f32 v11, v133, v149
	s_delay_alu instid0(VALU_DEP_1) | instskip(NEXT) | instid1(VALU_DEP_1)
	v_dual_fma_f32 v9, v130, v146, -v9 :: v_dual_fma_f32 v11, v132, v148, -v11
	v_add_f32_e32 v9, 0, v9
	s_delay_alu instid0(VALU_DEP_1) | instskip(SKIP_1) | instid1(VALU_DEP_1)
	v_add_f32_e32 v9, v9, v11
	v_mul_f32_e32 v11, v135, v151
	v_fma_f32 v11, v134, v150, -v11
	s_delay_alu instid0(VALU_DEP_1) | instskip(SKIP_1) | instid1(VALU_DEP_1)
	v_add_f32_e32 v9, v9, v11
	v_mul_f32_e32 v11, v137, v153
	v_fma_f32 v11, v136, v152, -v11
	;; [unrolled: 4-line block ×6, first 2 shown]
	ds_load_b128 v[130:133], v7 offset:960
	ds_load_b128 v[134:137], v7 offset:976
	;; [unrolled: 1-line block ×4, first 2 shown]
	v_add_f32_e32 v9, v9, v11
	v_mul_f32_e32 v11, v163, v167
	s_delay_alu instid0(VALU_DEP_1) | instskip(NEXT) | instid1(VALU_DEP_1)
	v_fma_f32 v11, v162, v166, -v11
	v_add_f32_e32 v9, v9, v11
	v_mul_f32_e32 v11, v165, v169
	s_wait_loadcnt_dscnt 0x303
	s_set_vgpr_msb 4                        ;  msbs: dst=0 src0=0 src1=1 src2=0
	v_pk_mul_f32 v[148:149], v[130:131], v[66:67] /*v[322:323]*/ op_sel:[1,1] op_sel_hi:[0,1]
	s_set_vgpr_msb 0                        ;  msbs: dst=0 src0=0 src1=0 src2=0
	v_fma_f32 v11, v164, v168, -v11
	s_set_vgpr_msb 4                        ;  msbs: dst=0 src0=0 src1=1 src2=0
	s_delay_alu instid0(VALU_DEP_2)
	v_pk_fma_f32 v[150:151], v[130:131], v[66:67] /*v[322:323]*/, v[148:149] neg_lo:[0,0,1] neg_hi:[0,0,1]
	v_pk_fma_f32 v[130:131], v[130:131], v[66:67] /*v[322:323]*/, v[148:149] op_sel_hi:[1,0,1]
	s_set_vgpr_msb 1                        ;  msbs: dst=0 src0=1 src1=0 src2=0
	v_mov_b32_e32 v148, v69 /*v325*/
	s_set_vgpr_msb 0                        ;  msbs: dst=0 src0=0 src1=0 src2=0
	v_add_f32_e32 v9, v9, v11
	v_mul_f32_e32 v11, v171, v175
	s_delay_alu instid0(VALU_DEP_1) | instskip(NEXT) | instid1(VALU_DEP_1)
	v_dual_mov_b32 v151, v131 :: v_dual_fma_f32 v11, v170, v174, -v11
	v_add_f32_e32 v9, v9, v11
	v_mul_f32_e32 v11, v173, v177
	s_delay_alu instid0(VALU_DEP_1) | instskip(NEXT) | instid1(VALU_DEP_1)
	v_fma_f32 v11, v172, v176, -v11
	v_add_f32_e32 v9, v9, v11
	v_mul_f32_e32 v11, v179, v183
	s_delay_alu instid0(VALU_DEP_1) | instskip(NEXT) | instid1(VALU_DEP_1)
	v_fma_f32 v11, v178, v182, -v11
	v_add_f32_e32 v9, v9, v11
	v_mul_f32_e32 v11, v181, v185
	s_delay_alu instid0(VALU_DEP_1) | instskip(NEXT) | instid1(VALU_DEP_1)
	v_fma_f32 v11, v180, v184, -v11
	v_add_f32_e32 v9, v9, v11
	v_mul_f32_e32 v11, v187, v191
	s_delay_alu instid0(VALU_DEP_1) | instskip(NEXT) | instid1(VALU_DEP_1)
	v_fma_f32 v11, v186, v190, -v11
	v_add_f32_e32 v9, v9, v11
	v_mul_f32_e32 v11, v189, v193
	s_delay_alu instid0(VALU_DEP_1) | instskip(NEXT) | instid1(VALU_DEP_1)
	v_fma_f32 v11, v188, v192, -v11
	v_add_f32_e32 v9, v9, v11
	v_mul_f32_e32 v11, v195, v199
	s_delay_alu instid0(VALU_DEP_1) | instskip(NEXT) | instid1(VALU_DEP_1)
	v_fma_f32 v11, v194, v198, -v11
	v_add_f32_e32 v9, v9, v11
	v_mul_f32_e32 v11, v197, v201
	s_delay_alu instid0(VALU_DEP_1) | instskip(NEXT) | instid1(VALU_DEP_1)
	v_fma_f32 v11, v196, v200, -v11
	v_add_f32_e32 v9, v9, v11
	v_mul_f32_e32 v11, v203, v207
	s_delay_alu instid0(VALU_DEP_1) | instskip(NEXT) | instid1(VALU_DEP_1)
	v_fma_f32 v11, v202, v206, -v11
	v_add_f32_e32 v9, v9, v11
	v_mul_f32_e32 v11, v205, v209
	s_delay_alu instid0(VALU_DEP_1) | instskip(NEXT) | instid1(VALU_DEP_1)
	v_fma_f32 v11, v204, v208, -v11
	v_add_f32_e32 v9, v9, v11
	v_mul_f32_e32 v11, v211, v215
	s_delay_alu instid0(VALU_DEP_1) | instskip(NEXT) | instid1(VALU_DEP_1)
	v_fma_f32 v11, v210, v214, -v11
	v_add_f32_e32 v9, v9, v11
	v_mul_f32_e32 v11, v213, v217
	s_delay_alu instid0(VALU_DEP_1) | instskip(NEXT) | instid1(VALU_DEP_1)
	v_fma_f32 v11, v212, v216, -v11
	v_add_f32_e32 v9, v9, v11
	v_mul_f32_e32 v11, v219, v223
	s_delay_alu instid0(VALU_DEP_1) | instskip(NEXT) | instid1(VALU_DEP_1)
	v_fma_f32 v11, v218, v222, -v11
	v_add_f32_e32 v9, v9, v11
	v_mul_f32_e32 v11, v221, v225
	s_delay_alu instid0(VALU_DEP_1) | instskip(NEXT) | instid1(VALU_DEP_1)
	v_fma_f32 v11, v220, v224, -v11
	v_add_f32_e32 v9, v9, v11
	v_mul_f32_e32 v11, v227, v231
	s_delay_alu instid0(VALU_DEP_1) | instskip(NEXT) | instid1(VALU_DEP_1)
	v_fma_f32 v11, v226, v230, -v11
	v_add_f32_e32 v9, v9, v11
	v_mul_f32_e32 v11, v229, v233
	s_delay_alu instid0(VALU_DEP_1) | instskip(NEXT) | instid1(VALU_DEP_1)
	v_fma_f32 v11, v228, v232, -v11
	v_add_f32_e32 v9, v9, v11
	v_mul_f32_e32 v11, v235, v239
	s_delay_alu instid0(VALU_DEP_1) | instskip(NEXT) | instid1(VALU_DEP_1)
	v_fma_f32 v11, v234, v238, -v11
	v_add_f32_e32 v9, v9, v11
	v_mul_f32_e32 v11, v237, v241
	s_delay_alu instid0(VALU_DEP_1) | instskip(NEXT) | instid1(VALU_DEP_1)
	v_fma_f32 v11, v236, v240, -v11
	v_add_f32_e32 v9, v9, v11
	v_mul_f32_e32 v11, v243, v247
	s_delay_alu instid0(VALU_DEP_1) | instskip(NEXT) | instid1(VALU_DEP_1)
	v_fma_f32 v11, v242, v246, -v11
	v_add_f32_e32 v9, v9, v11
	v_mul_f32_e32 v11, v245, v249
	s_delay_alu instid0(VALU_DEP_1) | instskip(NEXT) | instid1(VALU_DEP_1)
	v_fma_f32 v11, v244, v248, -v11
	v_add_f32_e32 v9, v9, v11
	v_mul_f32_e32 v11, v251, v255
	s_delay_alu instid0(VALU_DEP_1) | instskip(NEXT) | instid1(VALU_DEP_1)
	v_fma_f32 v11, v250, v254, -v11
	v_add_f32_e32 v9, v9, v11
	s_set_vgpr_msb 4                        ;  msbs: dst=0 src0=0 src1=1 src2=0
	v_mul_f32_e32 v11, v253, v1 /*v257*/
	s_delay_alu instid0(VALU_DEP_1) | instskip(SKIP_1) | instid1(VALU_DEP_1)
	v_fma_f32 v11, v252, v0 /*v256*/, -v11
	s_set_vgpr_msb 0                        ;  msbs: dst=0 src0=0 src1=0 src2=0
	v_add_f32_e32 v9, v9, v11
	s_set_vgpr_msb 5                        ;  msbs: dst=0 src0=1 src1=1 src2=0
	v_mul_f32_e32 v11, v3 /*v259*/, v7 /*v263*/
	s_delay_alu instid0(VALU_DEP_1) | instskip(SKIP_1) | instid1(VALU_DEP_1)
	v_fma_f32 v11, v2 /*v258*/, v6 /*v262*/, -v11
	s_set_vgpr_msb 0                        ;  msbs: dst=0 src0=0 src1=0 src2=0
	v_add_f32_e32 v9, v9, v11
	s_set_vgpr_msb 5                        ;  msbs: dst=0 src0=1 src1=1 src2=0
	v_mul_f32_e32 v11, v5 /*v261*/, v9 /*v265*/
	s_delay_alu instid0(VALU_DEP_1) | instskip(SKIP_1) | instid1(VALU_DEP_1)
	v_fma_f32 v11, v4 /*v260*/, v8 /*v264*/, -v11
	;; [unrolled: 6-line block ×14, first 2 shown]
	s_set_vgpr_msb 64                       ;  msbs: dst=1 src0=0 src1=0 src2=0
	v_add_f32_e32 v82 /*v338*/, v9, v11
	s_set_vgpr_msb 5                        ;  msbs: dst=0 src0=1 src1=1 src2=0
	v_mul_f32_e32 v9, v59 /*v315*/, v63 /*v319*/
	s_set_vgpr_msb 0x45                     ;  msbs: dst=1 src0=1 src1=1 src2=0
	s_delay_alu instid0(VALU_DEP_1) | instskip(SKIP_3) | instid1(VALU_DEP_1)
	v_fma_f32 v84 /*v340*/, v58 /*v314*/, v62 /*v318*/, -v9
	s_set_vgpr_msb 5                        ;  msbs: dst=0 src0=1 src1=1 src2=0
	v_mul_f32_e32 v9, v61 /*v317*/, v65 /*v321*/
	s_set_vgpr_msb 0x45                     ;  msbs: dst=1 src0=1 src1=1 src2=0
	v_fma_f32 v86 /*v342*/, v60 /*v316*/, v64 /*v320*/, -v9
	s_set_vgpr_msb 5                        ;  msbs: dst=0 src0=1 src1=1 src2=0
	v_pk_add_f32 v[146:147], v[82:83] /*v[338:339]*/, v[84:85] /*v[340:341]*/
	s_set_vgpr_msb 4                        ;  msbs: dst=0 src0=0 src1=1 src2=0
	s_delay_alu instid0(VALU_DEP_1) | instskip(SKIP_1) | instid1(VALU_DEP_1)
	v_pk_add_f32 v[146:147], v[146:147], v[86:87] /*v[342:343]*/
	s_set_vgpr_msb 0                        ;  msbs: dst=0 src0=0 src1=0 src2=0
	v_pk_add_f32 v[130:131], v[146:147], v[150:151]
	v_dual_mov_b32 v146, v133 :: v_dual_mov_b32 v147, v132
	s_delay_alu instid0(VALU_DEP_1) | instskip(SKIP_1) | instid1(VALU_DEP_1)
	v_pk_mul_f32 v[146:147], v[146:147], v[148:149] op_sel_hi:[1,0]
	s_set_vgpr_msb 4                        ;  msbs: dst=0 src0=0 src1=1 src2=0
	v_pk_fma_f32 v[148:149], v[132:133], v[68:69] /*v[324:325]*/, v[146:147] neg_lo:[0,0,1] neg_hi:[0,0,1]
	v_pk_fma_f32 v[132:133], v[132:133], v[68:69] /*v[324:325]*/, v[146:147] op_sel_hi:[1,0,1]
	s_delay_alu instid0(VALU_DEP_1) | instskip(SKIP_3) | instid1(VALU_DEP_2)
	v_mov_b32_e32 v149, v133
	s_wait_loadcnt_dscnt 0x202
	v_pk_mul_f32 v[132:133], v[134:135], v[70:71] /*v[326:327]*/ op_sel:[1,1] op_sel_hi:[0,1]
	s_set_vgpr_msb 0                        ;  msbs: dst=0 src0=0 src1=0 src2=0
	v_pk_add_f32 v[130:131], v[130:131], v[148:149]
	s_set_vgpr_msb 4                        ;  msbs: dst=0 src0=0 src1=1 src2=0
	s_delay_alu instid0(VALU_DEP_2)
	v_pk_fma_f32 v[146:147], v[134:135], v[70:71] /*v[326:327]*/, v[132:133] neg_lo:[0,0,1] neg_hi:[0,0,1]
	v_pk_fma_f32 v[132:133], v[134:135], v[70:71] /*v[326:327]*/, v[132:133] op_sel_hi:[1,0,1]
	v_mov_b32_e32 v132, v137
	s_set_vgpr_msb 1                        ;  msbs: dst=0 src0=1 src1=0 src2=0
	v_mov_b32_e32 v134, v73 /*v329*/
	s_set_vgpr_msb 0                        ;  msbs: dst=0 src0=0 src1=0 src2=0
	v_dual_mov_b32 v147, v133 :: v_dual_mov_b32 v133, v136
	s_delay_alu instid0(VALU_DEP_1) | instskip(NEXT) | instid1(VALU_DEP_2)
	v_pk_add_f32 v[130:131], v[130:131], v[146:147]
	v_pk_mul_f32 v[132:133], v[132:133], v[134:135] op_sel_hi:[1,0]
	s_set_vgpr_msb 4                        ;  msbs: dst=0 src0=0 src1=1 src2=0
	s_delay_alu instid0(VALU_DEP_1) | instskip(SKIP_1) | instid1(VALU_DEP_1)
	v_pk_fma_f32 v[134:135], v[136:137], v[72:73] /*v[328:329]*/, v[132:133] neg_lo:[0,0,1] neg_hi:[0,0,1]
	v_pk_fma_f32 v[132:133], v[136:137], v[72:73] /*v[328:329]*/, v[132:133] op_sel_hi:[1,0,1]
	v_mov_b32_e32 v135, v133
	s_wait_loadcnt_dscnt 0x101
	v_pk_mul_f32 v[132:133], v[138:139], v[74:75] /*v[330:331]*/ op_sel:[1,1] op_sel_hi:[0,1]
	s_set_vgpr_msb 0                        ;  msbs: dst=0 src0=0 src1=0 src2=0
	s_delay_alu instid0(VALU_DEP_2) | instskip(SKIP_1) | instid1(VALU_DEP_2)
	v_pk_add_f32 v[130:131], v[130:131], v[134:135]
	s_set_vgpr_msb 4                        ;  msbs: dst=0 src0=0 src1=1 src2=0
	v_pk_fma_f32 v[134:135], v[138:139], v[74:75] /*v[330:331]*/, v[132:133] neg_lo:[0,0,1] neg_hi:[0,0,1]
	v_pk_fma_f32 v[132:133], v[138:139], v[74:75] /*v[330:331]*/, v[132:133] op_sel_hi:[1,0,1]
	s_delay_alu instid0(VALU_DEP_1) | instskip(SKIP_2) | instid1(VALU_DEP_2)
	v_dual_mov_b32 v132, v141 :: v_dual_mov_b32 v135, v133
	v_mov_b32_e32 v133, v140
	s_set_vgpr_msb 0                        ;  msbs: dst=0 src0=0 src1=0 src2=0
	v_pk_add_f32 v[130:131], v[130:131], v[134:135]
	s_set_vgpr_msb 1                        ;  msbs: dst=0 src0=1 src1=0 src2=0
	v_mov_b32_e32 v134, v77 /*v333*/
	s_set_vgpr_msb 0                        ;  msbs: dst=0 src0=0 src1=0 src2=0
	s_delay_alu instid0(VALU_DEP_1) | instskip(SKIP_1) | instid1(VALU_DEP_1)
	v_pk_mul_f32 v[132:133], v[132:133], v[134:135] op_sel_hi:[1,0]
	s_set_vgpr_msb 4                        ;  msbs: dst=0 src0=0 src1=1 src2=0
	v_pk_fma_f32 v[134:135], v[140:141], v[76:77] /*v[332:333]*/, v[132:133] neg_lo:[0,0,1] neg_hi:[0,0,1]
	v_pk_fma_f32 v[132:133], v[140:141], v[76:77] /*v[332:333]*/, v[132:133] op_sel_hi:[1,0,1]
	s_delay_alu instid0(VALU_DEP_1) | instskip(SKIP_3) | instid1(VALU_DEP_2)
	v_mov_b32_e32 v135, v133
	s_wait_loadcnt_dscnt 0x0
	v_pk_mul_f32 v[132:133], v[142:143], v[78:79] /*v[334:335]*/ op_sel:[1,1] op_sel_hi:[0,1]
	s_set_vgpr_msb 0                        ;  msbs: dst=0 src0=0 src1=0 src2=0
	v_pk_add_f32 v[130:131], v[130:131], v[134:135]
	s_set_vgpr_msb 4                        ;  msbs: dst=0 src0=0 src1=1 src2=0
	s_delay_alu instid0(VALU_DEP_2) | instskip(SKIP_1) | instid1(VALU_DEP_1)
	v_pk_fma_f32 v[134:135], v[142:143], v[78:79] /*v[334:335]*/, v[132:133] neg_lo:[0,0,1] neg_hi:[0,0,1]
	v_pk_fma_f32 v[132:133], v[142:143], v[78:79] /*v[334:335]*/, v[132:133] op_sel_hi:[1,0,1]
	v_dual_mov_b32 v132, v145 :: v_dual_mov_b32 v135, v133
	v_mov_b32_e32 v133, v144
	s_set_vgpr_msb 0                        ;  msbs: dst=0 src0=0 src1=0 src2=0
	s_delay_alu instid0(VALU_DEP_2) | instskip(SKIP_3) | instid1(VALU_DEP_1)
	v_pk_add_f32 v[130:131], v[130:131], v[134:135]
	s_set_vgpr_msb 1                        ;  msbs: dst=0 src0=1 src1=0 src2=0
	v_mov_b32_e32 v134, v81 /*v337*/
	s_set_vgpr_msb 0                        ;  msbs: dst=0 src0=0 src1=0 src2=0
	v_pk_mul_f32 v[132:133], v[132:133], v[134:135] op_sel_hi:[1,0]
	s_set_vgpr_msb 4                        ;  msbs: dst=0 src0=0 src1=1 src2=0
	s_delay_alu instid0(VALU_DEP_1) | instskip(SKIP_1) | instid1(VALU_DEP_1)
	v_pk_fma_f32 v[134:135], v[144:145], v[80:81] /*v[336:337]*/, v[132:133] neg_lo:[0,0,1] neg_hi:[0,0,1]
	v_pk_fma_f32 v[132:133], v[144:145], v[80:81] /*v[336:337]*/, v[132:133] op_sel_hi:[1,0,1]
	v_mov_b32_e32 v135, v133
	scratch_load_b64 v[132:133], off, off offset:56
	s_set_vgpr_msb 0                        ;  msbs: dst=0 src0=0 src1=0 src2=0
	v_pk_add_f32 v[130:131], v[130:131], v[134:135]
	s_wait_loadcnt 0x0
	s_delay_alu instid0(VALU_DEP_1)
	v_pk_add_f32 v[130:131], v[132:133], v[130:131] neg_lo:[0,1] neg_hi:[0,1]
	scratch_store_b64 off, v[130:131], off offset:56
	s_wait_xcnt 0x0
	v_cmpx_lt_u32_e32 6, v0
	s_cbranch_execz .LBB63_385
; %bb.384:
	scratch_load_b64 v[130:131], off, off offset:48
	v_mov_b64_e32 v[132:133], 0
	scratch_store_b64 off, v[132:133], off offset:48
	s_wait_loadcnt 0x0
	ds_store_b64 v1, v[130:131]
.LBB63_385:
	s_wait_xcnt 0x0
	s_or_b32 exec_lo, exec_lo, s0
	s_wait_storecnt_dscnt 0x0
	s_barrier_signal -1
	s_barrier_wait -1
	s_clause 0xf
	scratch_load_b128 v[134:137], off, off offset:56
	scratch_load_b128 v[142:145], off, off offset:72
	;; [unrolled: 1-line block ×16, first 2 shown]
	v_mov_b32_e32 v7, 0
	s_set_vgpr_msb 64                       ;  msbs: dst=1 src0=0 src1=0 src2=0
	s_clause 0x3
	scratch_load_b128 v[6:9] /*v[262:265]*/, off, off offset:312
	scratch_load_b128 v[14:17] /*v[270:273]*/, off, off offset:328
	;; [unrolled: 1-line block ×4, first 2 shown]
	s_set_vgpr_msb 0                        ;  msbs: dst=0 src0=0 src1=0 src2=0
	ds_load_2addr_b64 v[130:133], v7 offset0:71 offset1:72
	ds_load_2addr_b64 v[138:141], v7 offset0:73 offset1:74
	s_set_vgpr_msb 64                       ;  msbs: dst=1 src0=0 src1=0 src2=0
	s_clause 0x4
	scratch_load_b128 v[38:41] /*v[294:297]*/, off, off offset:376
	scratch_load_b128 v[46:49] /*v[302:305]*/, off, off offset:392
	;; [unrolled: 1-line block ×5, first 2 shown]
	s_mov_b32 s0, exec_lo
	s_wait_loadcnt_dscnt 0x1801
	s_set_vgpr_msb 0                        ;  msbs: dst=0 src0=0 src1=0 src2=0
	v_dual_mul_f32 v9, v130, v135 :: v_dual_mul_f32 v11, v132, v137
	ds_load_2addr_b64 v[146:149], v7 offset0:75 offset1:76
	ds_load_2addr_b64 v[154:157], v7 offset0:77 offset1:78
	;; [unrolled: 1-line block ×4, first 2 shown]
	v_dual_fmac_f32 v9, v131, v134 :: v_dual_fmac_f32 v11, v133, v136
	ds_load_2addr_b64 v[178:181], v7 offset0:83 offset1:84
	ds_load_2addr_b64 v[186:189], v7 offset0:85 offset1:86
	ds_load_2addr_b64 v[194:197], v7 offset0:87 offset1:88
	ds_load_2addr_b64 v[202:205], v7 offset0:89 offset1:90
	v_add_f32_e32 v9, 0, v9
	ds_load_2addr_b64 v[210:213], v7 offset0:91 offset1:92
	ds_load_2addr_b64 v[218:221], v7 offset0:93 offset1:94
	;; [unrolled: 1-line block ×4, first 2 shown]
	v_add_f32_e32 v9, v9, v11
	s_wait_loadcnt_dscnt 0x170c
	v_mul_f32_e32 v11, v138, v143
	ds_load_2addr_b64 v[242:245], v7 offset0:99 offset1:100
	ds_load_2addr_b64 v[250:253], v7 offset0:101 offset1:102
	s_set_vgpr_msb 64                       ;  msbs: dst=1 src0=0 src1=0 src2=0
	ds_load_2addr_b64 v[2:5] /*v[258:261]*/, v7 offset0:103 offset1:104
	ds_load_2addr_b64 v[10:13] /*v[266:269]*/, v7 offset0:105 offset1:106
	s_set_vgpr_msb 0                        ;  msbs: dst=0 src0=0 src1=0 src2=0
	v_fmac_f32_e32 v11, v139, v142
	s_set_vgpr_msb 64                       ;  msbs: dst=1 src0=0 src1=0 src2=0
	ds_load_2addr_b64 v[50:53] /*v[306:309]*/, v7 offset0:115 offset1:116
	ds_load_2addr_b64 v[58:61] /*v[314:317]*/, v7 offset0:117 offset1:118
	ds_load_2addr_b64 v[66:69] /*v[322:325]*/, v7 offset0:119 offset1:120
	ds_load_2addr_b64 v[18:21] /*v[274:277]*/, v7 offset0:107 offset1:108
	ds_load_2addr_b64 v[26:29] /*v[282:285]*/, v7 offset0:109 offset1:110
	s_set_vgpr_msb 0                        ;  msbs: dst=0 src0=0 src1=0 src2=0
	v_dual_add_f32 v9, v9, v11 :: v_dual_mul_f32 v11, v140, v145
	s_set_vgpr_msb 64                       ;  msbs: dst=1 src0=0 src1=0 src2=0
	ds_load_2addr_b64 v[34:37] /*v[290:293]*/, v7 offset0:111 offset1:112
	ds_load_2addr_b64 v[42:45] /*v[298:301]*/, v7 offset0:113 offset1:114
	s_clause 0x3
	scratch_load_b128 v[74:77] /*v[330:333]*/, off, off offset:456
	scratch_load_b128 v[78:81] /*v[334:337]*/, off, off offset:472
	;; [unrolled: 1-line block ×3, first 2 shown]
	scratch_load_b64 v[92:93] /*v[348:349]*/, off, off offset:504
	s_set_vgpr_msb 0                        ;  msbs: dst=0 src0=0 src1=0 src2=0
	v_fmac_f32_e32 v11, v141, v144
	s_delay_alu instid0(VALU_DEP_1)
	v_add_f32_e32 v9, v9, v11
	s_wait_loadcnt_dscnt 0x1a16
	v_mul_f32_e32 v11, v146, v151
	s_wait_loadcnt_dscnt 0x404
	s_set_vgpr_msb 0x45                     ;  msbs: dst=1 src0=1 src1=1 src2=0
	v_dual_mul_f32 v89 /*v345*/, v60 /*v316*/, v65 /*v321*/ :: v_dual_mul_f32 v91 /*v347*/, v66 /*v322*/, v71 /*v327*/
	s_set_vgpr_msb 0                        ;  msbs: dst=0 src0=0 src1=0 src2=0
	v_fmac_f32_e32 v11, v147, v150
	s_set_vgpr_msb 0x45                     ;  msbs: dst=1 src0=1 src1=1 src2=0
	s_delay_alu instid0(VALU_DEP_2) | instskip(SKIP_1) | instid1(VALU_DEP_2)
	v_dual_fmac_f32 v89 /*v345*/, v61 /*v317*/, v64 /*v320*/ :: v_dual_fmac_f32 v91 /*v347*/, v67 /*v323*/, v70 /*v326*/
	s_set_vgpr_msb 0                        ;  msbs: dst=0 src0=0 src1=0 src2=0
	v_dual_add_f32 v9, v9, v11 :: v_dual_mul_f32 v11, v148, v153
	s_delay_alu instid0(VALU_DEP_1) | instskip(NEXT) | instid1(VALU_DEP_1)
	v_fmac_f32_e32 v11, v149, v152
	v_add_f32_e32 v9, v9, v11
	v_mul_f32_e32 v11, v154, v159
	s_delay_alu instid0(VALU_DEP_1) | instskip(NEXT) | instid1(VALU_DEP_1)
	v_fmac_f32_e32 v11, v155, v158
	v_dual_add_f32 v9, v9, v11 :: v_dual_mul_f32 v11, v156, v161
	s_delay_alu instid0(VALU_DEP_1) | instskip(NEXT) | instid1(VALU_DEP_1)
	v_fmac_f32_e32 v11, v157, v160
	v_add_f32_e32 v9, v9, v11
	v_mul_f32_e32 v11, v162, v167
	s_delay_alu instid0(VALU_DEP_1) | instskip(NEXT) | instid1(VALU_DEP_1)
	v_fmac_f32_e32 v11, v163, v166
	;; [unrolled: 7-line block ×13, first 2 shown]
	v_add_f32_e32 v9, v9, v11
	s_set_vgpr_msb 4                        ;  msbs: dst=0 src0=0 src1=1 src2=0
	v_mul_f32_e32 v11, v252, v1 /*v257*/
	s_delay_alu instid0(VALU_DEP_1) | instskip(SKIP_1) | instid1(VALU_DEP_1)
	v_fmac_f32_e32 v11, v253, v0 /*v256*/
	s_set_vgpr_msb 0                        ;  msbs: dst=0 src0=0 src1=0 src2=0
	v_add_f32_e32 v9, v9, v11
	s_set_vgpr_msb 5                        ;  msbs: dst=0 src0=1 src1=1 src2=0
	v_mul_f32_e32 v11, v2 /*v258*/, v7 /*v263*/
	s_delay_alu instid0(VALU_DEP_1) | instskip(SKIP_1) | instid1(VALU_DEP_1)
	v_fmac_f32_e32 v11, v3 /*v259*/, v6 /*v262*/
	s_set_vgpr_msb 0                        ;  msbs: dst=0 src0=0 src1=0 src2=0
	v_add_f32_e32 v9, v9, v11
	s_set_vgpr_msb 5                        ;  msbs: dst=0 src0=1 src1=1 src2=0
	v_mul_f32_e32 v11, v4 /*v260*/, v9 /*v265*/
	s_delay_alu instid0(VALU_DEP_1) | instskip(SKIP_1) | instid1(VALU_DEP_1)
	v_fmac_f32_e32 v11, v5 /*v261*/, v8 /*v264*/
	;; [unrolled: 6-line block ×4, first 2 shown]
	s_set_vgpr_msb 0                        ;  msbs: dst=0 src0=0 src1=0 src2=0
	v_add_f32_e32 v9, v9, v11
	s_wait_dscnt 0x3
	s_set_vgpr_msb 5                        ;  msbs: dst=0 src0=1 src1=1 src2=0
	v_mul_f32_e32 v11, v18 /*v274*/, v23 /*v279*/
	s_delay_alu instid0(VALU_DEP_1) | instskip(SKIP_1) | instid1(VALU_DEP_1)
	v_fmac_f32_e32 v11, v19 /*v275*/, v22 /*v278*/
	s_set_vgpr_msb 0                        ;  msbs: dst=0 src0=0 src1=0 src2=0
	v_add_f32_e32 v9, v9, v11
	s_set_vgpr_msb 5                        ;  msbs: dst=0 src0=1 src1=1 src2=0
	v_mul_f32_e32 v11, v20 /*v276*/, v25 /*v281*/
	s_delay_alu instid0(VALU_DEP_1) | instskip(SKIP_1) | instid1(VALU_DEP_1)
	v_fmac_f32_e32 v11, v21 /*v277*/, v24 /*v280*/
	s_set_vgpr_msb 0                        ;  msbs: dst=0 src0=0 src1=0 src2=0
	v_add_f32_e32 v9, v9, v11
	s_wait_dscnt 0x2
	s_set_vgpr_msb 5                        ;  msbs: dst=0 src0=1 src1=1 src2=0
	v_mul_f32_e32 v11, v26 /*v282*/, v31 /*v287*/
	s_delay_alu instid0(VALU_DEP_1) | instskip(SKIP_1) | instid1(VALU_DEP_1)
	v_fmac_f32_e32 v11, v27 /*v283*/, v30 /*v286*/
	s_set_vgpr_msb 0                        ;  msbs: dst=0 src0=0 src1=0 src2=0
	v_add_f32_e32 v9, v9, v11
	s_set_vgpr_msb 5                        ;  msbs: dst=0 src0=1 src1=1 src2=0
	v_mul_f32_e32 v11, v28 /*v284*/, v33 /*v289*/
	s_delay_alu instid0(VALU_DEP_1) | instskip(SKIP_1) | instid1(VALU_DEP_1)
	v_fmac_f32_e32 v11, v29 /*v285*/, v32 /*v288*/
	;; [unrolled: 13-line block ×4, first 2 shown]
	s_set_vgpr_msb 0                        ;  msbs: dst=0 src0=0 src1=0 src2=0
	v_add_f32_e32 v9, v9, v11
	s_set_vgpr_msb 5                        ;  msbs: dst=0 src0=1 src1=1 src2=0
	v_mul_f32_e32 v11, v50 /*v306*/, v55 /*v311*/
	s_delay_alu instid0(VALU_DEP_1) | instskip(SKIP_1) | instid1(VALU_DEP_1)
	v_fmac_f32_e32 v11, v51 /*v307*/, v54 /*v310*/
	s_set_vgpr_msb 0                        ;  msbs: dst=0 src0=0 src1=0 src2=0
	v_add_f32_e32 v9, v9, v11
	s_set_vgpr_msb 5                        ;  msbs: dst=0 src0=1 src1=1 src2=0
	v_mul_f32_e32 v11, v52 /*v308*/, v57 /*v313*/
	s_delay_alu instid0(VALU_DEP_1) | instskip(SKIP_1) | instid1(VALU_DEP_1)
	v_fmac_f32_e32 v11, v53 /*v309*/, v56 /*v312*/
	;; [unrolled: 6-line block ×3, first 2 shown]
	s_set_vgpr_msb 64                       ;  msbs: dst=1 src0=0 src1=0 src2=0
	v_add_f32_e32 v87 /*v343*/, v9, v11
	s_set_vgpr_msb 0                        ;  msbs: dst=0 src0=0 src1=0 src2=0
	v_dual_mul_f32 v9, v131, v135 :: v_dual_mul_f32 v11, v133, v137
	s_delay_alu instid0(VALU_DEP_1) | instskip(NEXT) | instid1(VALU_DEP_1)
	v_dual_fma_f32 v9, v130, v134, -v9 :: v_dual_fma_f32 v11, v132, v136, -v11
	v_add_f32_e32 v9, 0, v9
	s_delay_alu instid0(VALU_DEP_1) | instskip(SKIP_1) | instid1(VALU_DEP_1)
	v_add_f32_e32 v9, v9, v11
	v_mul_f32_e32 v11, v139, v143
	v_fma_f32 v11, v138, v142, -v11
	s_delay_alu instid0(VALU_DEP_1) | instskip(SKIP_1) | instid1(VALU_DEP_1)
	v_add_f32_e32 v9, v9, v11
	v_mul_f32_e32 v11, v141, v145
	v_fma_f32 v11, v140, v144, -v11
	ds_load_2addr_b64 v[130:133], v7 offset0:121 offset1:122
	ds_load_2addr_b64 v[134:137], v7 offset0:123 offset1:124
	;; [unrolled: 1-line block ×3, first 2 shown]
	ds_load_b64 v[142:143], v7 offset:1016
	v_add_f32_e32 v9, v9, v11
	v_mul_f32_e32 v11, v147, v151
	s_set_vgpr_msb 1                        ;  msbs: dst=0 src0=1 src1=0 src2=0
	v_mov_b32_e32 v147, v68 /*v324*/
	s_set_vgpr_msb 0                        ;  msbs: dst=0 src0=0 src1=0 src2=0
	s_delay_alu instid0(VALU_DEP_2) | instskip(SKIP_3) | instid1(VALU_DEP_2)
	v_fma_f32 v11, v146, v150, -v11
	s_set_vgpr_msb 1                        ;  msbs: dst=0 src0=1 src1=0 src2=0
	v_mov_b32_e32 v146, v69 /*v325*/
	s_set_vgpr_msb 0                        ;  msbs: dst=0 src0=0 src1=0 src2=0
	v_add_f32_e32 v9, v9, v11
	v_mul_f32_e32 v11, v149, v153
	s_delay_alu instid0(VALU_DEP_1) | instskip(SKIP_3) | instid1(VALU_DEP_2)
	v_fma_f32 v11, v148, v152, -v11
	s_set_vgpr_msb 1                        ;  msbs: dst=0 src0=1 src1=0 src2=0
	v_mov_b32_e32 v148, v73 /*v329*/
	s_set_vgpr_msb 0                        ;  msbs: dst=0 src0=0 src1=0 src2=0
	v_add_f32_e32 v9, v9, v11
	v_mul_f32_e32 v11, v155, v159
	s_delay_alu instid0(VALU_DEP_3) | instskip(NEXT) | instid1(VALU_DEP_2)
	v_pk_mul_f32 v[146:147], v[146:147], v[148:149] op_sel_hi:[1,0]
	v_fma_f32 v11, v154, v158, -v11
	s_set_vgpr_msb 5                        ;  msbs: dst=0 src0=1 src1=1 src2=0
	s_delay_alu instid0(VALU_DEP_2) | instskip(SKIP_3) | instid1(VALU_DEP_2)
	v_pk_fma_f32 v[148:149], v[68:69] /*v[324:325]*/, v[72:73] /*v[328:329]*/, v[146:147] neg_lo:[0,0,1] neg_hi:[0,0,1]
	v_pk_fma_f32 v[146:147], v[68:69] /*v[324:325]*/, v[72:73] /*v[328:329]*/, v[146:147] op_sel_hi:[1,0,1]
	s_set_vgpr_msb 0                        ;  msbs: dst=0 src0=0 src1=0 src2=0
	v_add_f32_e32 v9, v9, v11
	v_dual_mul_f32 v11, v157, v161 :: v_dual_mov_b32 v149, v147
	s_wait_loadcnt_dscnt 0x303
	s_set_vgpr_msb 4                        ;  msbs: dst=0 src0=0 src1=1 src2=0
	v_pk_mul_f32 v[146:147], v[130:131], v[74:75] /*v[330:331]*/ op_sel:[1,1] op_sel_hi:[0,1]
	s_set_vgpr_msb 0                        ;  msbs: dst=0 src0=0 src1=0 src2=0
	v_fma_f32 v11, v156, v160, -v11
	s_delay_alu instid0(VALU_DEP_1) | instskip(SKIP_1) | instid1(VALU_DEP_1)
	v_add_f32_e32 v9, v9, v11
	v_mul_f32_e32 v11, v163, v167
	v_fma_f32 v11, v162, v166, -v11
	s_delay_alu instid0(VALU_DEP_1) | instskip(SKIP_1) | instid1(VALU_DEP_1)
	v_add_f32_e32 v9, v9, v11
	v_mul_f32_e32 v11, v165, v169
	;; [unrolled: 4-line block ×23, first 2 shown]
	v_fma_f32 v11, v250, v254, -v11
	s_delay_alu instid0(VALU_DEP_1) | instskip(SKIP_2) | instid1(VALU_DEP_1)
	v_add_f32_e32 v9, v9, v11
	s_set_vgpr_msb 4                        ;  msbs: dst=0 src0=0 src1=1 src2=0
	v_mul_f32_e32 v11, v253, v1 /*v257*/
	v_fma_f32 v11, v252, v0 /*v256*/, -v11
	s_set_vgpr_msb 0                        ;  msbs: dst=0 src0=0 src1=0 src2=0
	s_delay_alu instid0(VALU_DEP_1) | instskip(SKIP_2) | instid1(VALU_DEP_1)
	v_add_f32_e32 v9, v9, v11
	s_set_vgpr_msb 5                        ;  msbs: dst=0 src0=1 src1=1 src2=0
	v_mul_f32_e32 v11, v3 /*v259*/, v7 /*v263*/
	v_fma_f32 v11, v2 /*v258*/, v6 /*v262*/, -v11
	s_set_vgpr_msb 0                        ;  msbs: dst=0 src0=0 src1=0 src2=0
	s_delay_alu instid0(VALU_DEP_1) | instskip(SKIP_2) | instid1(VALU_DEP_1)
	v_add_f32_e32 v9, v9, v11
	s_set_vgpr_msb 5                        ;  msbs: dst=0 src0=1 src1=1 src2=0
	v_mul_f32_e32 v11, v5 /*v261*/, v9 /*v265*/
	v_fma_f32 v11, v4 /*v260*/, v8 /*v264*/, -v11
	;; [unrolled: 6-line block ×15, first 2 shown]
	s_set_vgpr_msb 64                       ;  msbs: dst=1 src0=0 src1=0 src2=0
	s_delay_alu instid0(VALU_DEP_1) | instskip(SKIP_3) | instid1(VALU_DEP_1)
	v_add_f32_e32 v86 /*v342*/, v9, v11
	s_set_vgpr_msb 5                        ;  msbs: dst=0 src0=1 src1=1 src2=0
	v_mul_f32_e32 v9, v61 /*v317*/, v65 /*v321*/
	s_set_vgpr_msb 0x45                     ;  msbs: dst=1 src0=1 src1=1 src2=0
	v_fma_f32 v88 /*v344*/, v60 /*v316*/, v64 /*v320*/, -v9
	s_set_vgpr_msb 5                        ;  msbs: dst=0 src0=1 src1=1 src2=0
	v_mul_f32_e32 v9, v67 /*v323*/, v71 /*v327*/
	s_set_vgpr_msb 0x45                     ;  msbs: dst=1 src0=1 src1=1 src2=0
	s_delay_alu instid0(VALU_DEP_1) | instskip(SKIP_3) | instid1(VALU_DEP_1)
	v_fma_f32 v90 /*v346*/, v66 /*v322*/, v70 /*v326*/, -v9
	s_set_vgpr_msb 5                        ;  msbs: dst=0 src0=1 src1=1 src2=0
	v_pk_add_f32 v[144:145], v[86:87] /*v[342:343]*/, v[88:89] /*v[344:345]*/
	s_set_vgpr_msb 4                        ;  msbs: dst=0 src0=0 src1=1 src2=0
	v_pk_add_f32 v[144:145], v[144:145], v[90:91] /*v[346:347]*/
	s_set_vgpr_msb 0                        ;  msbs: dst=0 src0=0 src1=0 src2=0
	s_delay_alu instid0(VALU_DEP_1)
	v_pk_add_f32 v[144:145], v[144:145], v[148:149]
	s_set_vgpr_msb 4                        ;  msbs: dst=0 src0=0 src1=1 src2=0
	v_pk_fma_f32 v[148:149], v[130:131], v[74:75] /*v[330:331]*/, v[146:147] neg_lo:[0,0,1] neg_hi:[0,0,1]
	v_pk_fma_f32 v[130:131], v[130:131], v[74:75] /*v[330:331]*/, v[146:147] op_sel_hi:[1,0,1]
	s_set_vgpr_msb 1                        ;  msbs: dst=0 src0=1 src1=0 src2=0
	v_mov_b32_e32 v146, v77 /*v333*/
	s_set_vgpr_msb 0                        ;  msbs: dst=0 src0=0 src1=0 src2=0
	s_delay_alu instid0(VALU_DEP_2) | instskip(NEXT) | instid1(VALU_DEP_1)
	v_mov_b32_e32 v149, v131
	v_pk_add_f32 v[130:131], v[144:145], v[148:149]
	v_dual_mov_b32 v144, v133 :: v_dual_mov_b32 v145, v132
	s_delay_alu instid0(VALU_DEP_1) | instskip(SKIP_1) | instid1(VALU_DEP_1)
	v_pk_mul_f32 v[144:145], v[144:145], v[146:147] op_sel_hi:[1,0]
	s_set_vgpr_msb 4                        ;  msbs: dst=0 src0=0 src1=1 src2=0
	v_pk_fma_f32 v[146:147], v[132:133], v[76:77] /*v[332:333]*/, v[144:145] neg_lo:[0,0,1] neg_hi:[0,0,1]
	v_pk_fma_f32 v[132:133], v[132:133], v[76:77] /*v[332:333]*/, v[144:145] op_sel_hi:[1,0,1]
	s_delay_alu instid0(VALU_DEP_1) | instskip(SKIP_3) | instid1(VALU_DEP_2)
	v_mov_b32_e32 v147, v133
	s_wait_loadcnt_dscnt 0x202
	v_pk_mul_f32 v[132:133], v[134:135], v[78:79] /*v[334:335]*/ op_sel:[1,1] op_sel_hi:[0,1]
	s_set_vgpr_msb 0                        ;  msbs: dst=0 src0=0 src1=0 src2=0
	v_pk_add_f32 v[130:131], v[130:131], v[146:147]
	s_set_vgpr_msb 4                        ;  msbs: dst=0 src0=0 src1=1 src2=0
	s_delay_alu instid0(VALU_DEP_2)
	v_pk_fma_f32 v[144:145], v[134:135], v[78:79] /*v[334:335]*/, v[132:133] neg_lo:[0,0,1] neg_hi:[0,0,1]
	v_pk_fma_f32 v[132:133], v[134:135], v[78:79] /*v[334:335]*/, v[132:133] op_sel_hi:[1,0,1]
	v_mov_b32_e32 v132, v137
	s_set_vgpr_msb 1                        ;  msbs: dst=0 src0=1 src1=0 src2=0
	v_mov_b32_e32 v134, v81 /*v337*/
	s_set_vgpr_msb 0                        ;  msbs: dst=0 src0=0 src1=0 src2=0
	v_dual_mov_b32 v145, v133 :: v_dual_mov_b32 v133, v136
	s_delay_alu instid0(VALU_DEP_1) | instskip(NEXT) | instid1(VALU_DEP_2)
	v_pk_add_f32 v[130:131], v[130:131], v[144:145]
	v_pk_mul_f32 v[132:133], v[132:133], v[134:135] op_sel_hi:[1,0]
	s_set_vgpr_msb 4                        ;  msbs: dst=0 src0=0 src1=1 src2=0
	s_delay_alu instid0(VALU_DEP_1) | instskip(SKIP_1) | instid1(VALU_DEP_1)
	v_pk_fma_f32 v[134:135], v[136:137], v[80:81] /*v[336:337]*/, v[132:133] neg_lo:[0,0,1] neg_hi:[0,0,1]
	v_pk_fma_f32 v[132:133], v[136:137], v[80:81] /*v[336:337]*/, v[132:133] op_sel_hi:[1,0,1]
	v_mov_b32_e32 v135, v133
	s_wait_loadcnt_dscnt 0x101
	v_pk_mul_f32 v[132:133], v[138:139], v[82:83] /*v[338:339]*/ op_sel:[1,1] op_sel_hi:[0,1]
	s_set_vgpr_msb 0                        ;  msbs: dst=0 src0=0 src1=0 src2=0
	s_delay_alu instid0(VALU_DEP_2) | instskip(SKIP_1) | instid1(VALU_DEP_2)
	v_pk_add_f32 v[130:131], v[130:131], v[134:135]
	s_set_vgpr_msb 4                        ;  msbs: dst=0 src0=0 src1=1 src2=0
	v_pk_fma_f32 v[134:135], v[138:139], v[82:83] /*v[338:339]*/, v[132:133] neg_lo:[0,0,1] neg_hi:[0,0,1]
	v_pk_fma_f32 v[132:133], v[138:139], v[82:83] /*v[338:339]*/, v[132:133] op_sel_hi:[1,0,1]
	s_delay_alu instid0(VALU_DEP_1) | instskip(SKIP_2) | instid1(VALU_DEP_2)
	v_dual_mov_b32 v132, v141 :: v_dual_mov_b32 v135, v133
	v_mov_b32_e32 v133, v140
	s_set_vgpr_msb 0                        ;  msbs: dst=0 src0=0 src1=0 src2=0
	v_pk_add_f32 v[130:131], v[130:131], v[134:135]
	s_set_vgpr_msb 1                        ;  msbs: dst=0 src0=1 src1=0 src2=0
	v_mov_b32_e32 v134, v85 /*v341*/
	s_set_vgpr_msb 0                        ;  msbs: dst=0 src0=0 src1=0 src2=0
	s_delay_alu instid0(VALU_DEP_1) | instskip(SKIP_1) | instid1(VALU_DEP_1)
	v_pk_mul_f32 v[132:133], v[132:133], v[134:135] op_sel_hi:[1,0]
	s_set_vgpr_msb 4                        ;  msbs: dst=0 src0=0 src1=1 src2=0
	v_pk_fma_f32 v[134:135], v[140:141], v[84:85] /*v[340:341]*/, v[132:133] neg_lo:[0,0,1] neg_hi:[0,0,1]
	v_pk_fma_f32 v[132:133], v[140:141], v[84:85] /*v[340:341]*/, v[132:133] op_sel_hi:[1,0,1]
	s_delay_alu instid0(VALU_DEP_1) | instskip(SKIP_3) | instid1(VALU_DEP_2)
	v_mov_b32_e32 v135, v133
	s_wait_loadcnt_dscnt 0x0
	v_pk_mul_f32 v[132:133], v[142:143], v[92:93] /*v[348:349]*/ op_sel:[1,1] op_sel_hi:[0,1]
	s_set_vgpr_msb 0                        ;  msbs: dst=0 src0=0 src1=0 src2=0
	v_pk_add_f32 v[130:131], v[130:131], v[134:135]
	s_set_vgpr_msb 4                        ;  msbs: dst=0 src0=0 src1=1 src2=0
	s_delay_alu instid0(VALU_DEP_2) | instskip(SKIP_1) | instid1(VALU_DEP_1)
	v_pk_fma_f32 v[134:135], v[142:143], v[92:93] /*v[348:349]*/, v[132:133] neg_lo:[0,0,1] neg_hi:[0,0,1]
	v_pk_fma_f32 v[132:133], v[142:143], v[92:93] /*v[348:349]*/, v[132:133] op_sel_hi:[1,0,1]
	v_mov_b32_e32 v135, v133
	scratch_load_b64 v[132:133], off, off offset:48
	s_set_vgpr_msb 0                        ;  msbs: dst=0 src0=0 src1=0 src2=0
	v_pk_add_f32 v[130:131], v[130:131], v[134:135]
	s_wait_loadcnt 0x0
	s_delay_alu instid0(VALU_DEP_1)
	v_pk_add_f32 v[130:131], v[132:133], v[130:131] neg_lo:[0,1] neg_hi:[0,1]
	scratch_store_b64 off, v[130:131], off offset:48
	s_wait_xcnt 0x0
	v_cmpx_lt_u32_e32 5, v0
	s_cbranch_execz .LBB63_387
; %bb.386:
	scratch_load_b64 v[130:131], off, off offset:40
	v_mov_b64_e32 v[132:133], 0
	scratch_store_b64 off, v[132:133], off offset:40
	s_wait_loadcnt 0x0
	ds_store_b64 v1, v[130:131]
.LBB63_387:
	s_wait_xcnt 0x0
	s_or_b32 exec_lo, exec_lo, s0
	s_wait_storecnt_dscnt 0x0
	s_barrier_signal -1
	s_barrier_wait -1
	ds_load_b128 v[130:133], v7 offset:560
	ds_load_b128 v[134:137], v7 offset:576
	;; [unrolled: 1-line block ×4, first 2 shown]
	s_clause 0x14
	scratch_load_b128 v[146:149], off, off offset:48
	scratch_load_b128 v[150:153], off, off offset:64
	;; [unrolled: 1-line block ×16, first 2 shown]
	s_set_vgpr_msb 64                       ;  msbs: dst=1 src0=0 src1=0 src2=0
	scratch_load_b128 v[6:9] /*v[262:265]*/, off, off offset:304
	scratch_load_b128 v[14:17] /*v[270:273]*/, off, off offset:320
	;; [unrolled: 1-line block ×4, first 2 shown]
	s_set_vgpr_msb 0                        ;  msbs: dst=0 src0=0 src1=0 src2=0
	ds_load_b128 v[162:165], v7 offset:624
	ds_load_b128 v[170:173], v7 offset:640
	s_set_vgpr_msb 64                       ;  msbs: dst=1 src0=0 src1=0 src2=0
	s_clause 0x1
	scratch_load_b128 v[38:41] /*v[294:297]*/, off, off offset:368
	scratch_load_b128 v[46:49] /*v[302:305]*/, off, off offset:384
	s_set_vgpr_msb 0                        ;  msbs: dst=0 src0=0 src1=0 src2=0
	ds_load_b128 v[178:181], v7 offset:656
	ds_load_b128 v[186:189], v7 offset:672
	s_set_vgpr_msb 64                       ;  msbs: dst=1 src0=0 src1=0 src2=0
	s_clause 0x1
	scratch_load_b128 v[54:57] /*v[310:313]*/, off, off offset:400
	scratch_load_b128 v[62:65] /*v[318:321]*/, off, off offset:416
	s_set_vgpr_msb 0                        ;  msbs: dst=0 src0=0 src1=0 src2=0
	ds_load_b128 v[194:197], v7 offset:688
	ds_load_b128 v[202:205], v7 offset:704
	;; [unrolled: 1-line block ×8, first 2 shown]
	s_set_vgpr_msb 64                       ;  msbs: dst=1 src0=0 src1=0 src2=0
	ds_load_b128 v[2:5] /*v[258:261]*/, v7 offset:816
	ds_load_b128 v[10:13] /*v[266:269]*/, v7 offset:832
	;; [unrolled: 1-line block ×3, first 2 shown]
	scratch_load_b128 v[70:73] /*v[326:329]*/, off, off offset:432
	ds_load_b128 v[18:21] /*v[274:277]*/, v7 offset:848
	ds_load_b128 v[26:29] /*v[282:285]*/, v7 offset:864
	ds_load_b128 v[34:37] /*v[290:293]*/, v7 offset:880
	ds_load_b128 v[42:45] /*v[298:301]*/, v7 offset:896
	ds_load_b128 v[50:53] /*v[306:309]*/, v7 offset:912
	ds_load_b128 v[58:61] /*v[314:317]*/, v7 offset:928
	s_clause 0x3
	scratch_load_b128 v[74:77] /*v[330:333]*/, off, off offset:448
	scratch_load_b128 v[78:81] /*v[334:337]*/, off, off offset:464
	;; [unrolled: 1-line block ×4, first 2 shown]
	s_mov_b32 s0, exec_lo
	s_wait_loadcnt_dscnt 0x1c18
	s_set_vgpr_msb 0                        ;  msbs: dst=0 src0=0 src1=0 src2=0
	v_dual_mul_f32 v9, v130, v147 :: v_dual_mul_f32 v11, v132, v149
	s_delay_alu instid0(VALU_DEP_1) | instskip(NEXT) | instid1(VALU_DEP_1)
	v_dual_fmac_f32 v9, v131, v146 :: v_dual_fmac_f32 v11, v133, v148
	v_add_f32_e32 v9, 0, v9
	s_delay_alu instid0(VALU_DEP_1) | instskip(SKIP_2) | instid1(VALU_DEP_1)
	v_add_f32_e32 v9, v9, v11
	s_wait_loadcnt_dscnt 0x1b17
	v_mul_f32_e32 v11, v134, v151
	v_fmac_f32_e32 v11, v135, v150
	s_delay_alu instid0(VALU_DEP_1) | instskip(NEXT) | instid1(VALU_DEP_1)
	v_dual_add_f32 v9, v9, v11 :: v_dual_mul_f32 v11, v136, v153
	v_fmac_f32_e32 v11, v137, v152
	s_delay_alu instid0(VALU_DEP_1)
	v_add_f32_e32 v9, v9, v11
	s_wait_loadcnt_dscnt 0x1a16
	v_mul_f32_e32 v11, v138, v155
	s_wait_loadcnt_dscnt 0x406
	s_set_vgpr_msb 0x45                     ;  msbs: dst=1 src0=1 src1=1 src2=0
	v_dual_mul_f32 v93 /*v349*/, v66 /*v322*/, v71 /*v327*/ :: v_dual_mul_f32 v95 /*v351*/, v68 /*v324*/, v73 /*v329*/
	s_set_vgpr_msb 0                        ;  msbs: dst=0 src0=0 src1=0 src2=0
	v_fmac_f32_e32 v11, v139, v154
	s_set_vgpr_msb 0x45                     ;  msbs: dst=1 src0=1 src1=1 src2=0
	s_delay_alu instid0(VALU_DEP_2) | instskip(SKIP_1) | instid1(VALU_DEP_2)
	v_dual_fmac_f32 v93 /*v349*/, v67 /*v323*/, v70 /*v326*/ :: v_dual_fmac_f32 v95 /*v351*/, v69 /*v325*/, v72 /*v328*/
	s_set_vgpr_msb 0                        ;  msbs: dst=0 src0=0 src1=0 src2=0
	v_dual_add_f32 v9, v9, v11 :: v_dual_mul_f32 v11, v140, v157
	s_delay_alu instid0(VALU_DEP_1) | instskip(NEXT) | instid1(VALU_DEP_1)
	v_fmac_f32_e32 v11, v141, v156
	v_add_f32_e32 v9, v9, v11
	v_mul_f32_e32 v11, v142, v159
	s_delay_alu instid0(VALU_DEP_1) | instskip(NEXT) | instid1(VALU_DEP_1)
	v_fmac_f32_e32 v11, v143, v158
	v_dual_add_f32 v9, v9, v11 :: v_dual_mul_f32 v11, v144, v161
	s_delay_alu instid0(VALU_DEP_1) | instskip(NEXT) | instid1(VALU_DEP_1)
	v_fmac_f32_e32 v11, v145, v160
	v_add_f32_e32 v9, v9, v11
	v_mul_f32_e32 v11, v162, v167
	s_delay_alu instid0(VALU_DEP_1) | instskip(NEXT) | instid1(VALU_DEP_1)
	v_fmac_f32_e32 v11, v163, v166
	;; [unrolled: 7-line block ×13, first 2 shown]
	v_add_f32_e32 v9, v9, v11
	s_set_vgpr_msb 4                        ;  msbs: dst=0 src0=0 src1=1 src2=0
	v_mul_f32_e32 v11, v252, v1 /*v257*/
	s_delay_alu instid0(VALU_DEP_1) | instskip(SKIP_1) | instid1(VALU_DEP_1)
	v_fmac_f32_e32 v11, v253, v0 /*v256*/
	s_set_vgpr_msb 0                        ;  msbs: dst=0 src0=0 src1=0 src2=0
	v_add_f32_e32 v9, v9, v11
	s_set_vgpr_msb 5                        ;  msbs: dst=0 src0=1 src1=1 src2=0
	v_mul_f32_e32 v11, v2 /*v258*/, v7 /*v263*/
	s_delay_alu instid0(VALU_DEP_1) | instskip(SKIP_1) | instid1(VALU_DEP_1)
	v_fmac_f32_e32 v11, v3 /*v259*/, v6 /*v262*/
	s_set_vgpr_msb 0                        ;  msbs: dst=0 src0=0 src1=0 src2=0
	v_add_f32_e32 v9, v9, v11
	s_set_vgpr_msb 5                        ;  msbs: dst=0 src0=1 src1=1 src2=0
	v_mul_f32_e32 v11, v4 /*v260*/, v9 /*v265*/
	s_delay_alu instid0(VALU_DEP_1) | instskip(SKIP_1) | instid1(VALU_DEP_1)
	v_fmac_f32_e32 v11, v5 /*v261*/, v8 /*v264*/
	;; [unrolled: 6-line block ×4, first 2 shown]
	s_set_vgpr_msb 0                        ;  msbs: dst=0 src0=0 src1=0 src2=0
	v_add_f32_e32 v9, v9, v11
	s_wait_dscnt 0x5
	s_set_vgpr_msb 5                        ;  msbs: dst=0 src0=1 src1=1 src2=0
	v_mul_f32_e32 v11, v18 /*v274*/, v23 /*v279*/
	s_delay_alu instid0(VALU_DEP_1) | instskip(SKIP_1) | instid1(VALU_DEP_1)
	v_fmac_f32_e32 v11, v19 /*v275*/, v22 /*v278*/
	s_set_vgpr_msb 0                        ;  msbs: dst=0 src0=0 src1=0 src2=0
	v_add_f32_e32 v9, v9, v11
	s_set_vgpr_msb 5                        ;  msbs: dst=0 src0=1 src1=1 src2=0
	v_mul_f32_e32 v11, v20 /*v276*/, v25 /*v281*/
	s_delay_alu instid0(VALU_DEP_1) | instskip(SKIP_1) | instid1(VALU_DEP_1)
	v_fmac_f32_e32 v11, v21 /*v277*/, v24 /*v280*/
	s_set_vgpr_msb 0                        ;  msbs: dst=0 src0=0 src1=0 src2=0
	v_add_f32_e32 v9, v9, v11
	s_wait_dscnt 0x4
	s_set_vgpr_msb 5                        ;  msbs: dst=0 src0=1 src1=1 src2=0
	v_mul_f32_e32 v11, v26 /*v282*/, v31 /*v287*/
	s_delay_alu instid0(VALU_DEP_1) | instskip(SKIP_1) | instid1(VALU_DEP_1)
	v_fmac_f32_e32 v11, v27 /*v283*/, v30 /*v286*/
	s_set_vgpr_msb 0                        ;  msbs: dst=0 src0=0 src1=0 src2=0
	v_add_f32_e32 v9, v9, v11
	s_set_vgpr_msb 5                        ;  msbs: dst=0 src0=1 src1=1 src2=0
	v_mul_f32_e32 v11, v28 /*v284*/, v33 /*v289*/
	s_delay_alu instid0(VALU_DEP_1) | instskip(SKIP_1) | instid1(VALU_DEP_1)
	v_fmac_f32_e32 v11, v29 /*v285*/, v32 /*v288*/
	;; [unrolled: 13-line block ×6, first 2 shown]
	s_set_vgpr_msb 64                       ;  msbs: dst=1 src0=0 src1=0 src2=0
	v_add_f32_e32 v91 /*v347*/, v9, v11
	s_set_vgpr_msb 0                        ;  msbs: dst=0 src0=0 src1=0 src2=0
	v_dual_mul_f32 v9, v131, v147 :: v_dual_mul_f32 v11, v133, v149
	s_delay_alu instid0(VALU_DEP_1) | instskip(NEXT) | instid1(VALU_DEP_1)
	v_dual_fma_f32 v9, v130, v146, -v9 :: v_dual_fma_f32 v11, v132, v148, -v11
	v_add_f32_e32 v9, 0, v9
	s_delay_alu instid0(VALU_DEP_1) | instskip(SKIP_1) | instid1(VALU_DEP_1)
	v_add_f32_e32 v9, v9, v11
	v_mul_f32_e32 v11, v135, v151
	v_fma_f32 v11, v134, v150, -v11
	s_delay_alu instid0(VALU_DEP_1) | instskip(SKIP_1) | instid1(VALU_DEP_1)
	v_add_f32_e32 v9, v9, v11
	v_mul_f32_e32 v11, v137, v153
	v_fma_f32 v11, v136, v152, -v11
	s_delay_alu instid0(VALU_DEP_1) | instskip(SKIP_1) | instid1(VALU_DEP_1)
	v_add_f32_e32 v9, v9, v11
	v_mul_f32_e32 v11, v139, v155
	v_fma_f32 v11, v138, v154, -v11
	s_delay_alu instid0(VALU_DEP_1) | instskip(SKIP_1) | instid1(VALU_DEP_1)
	v_add_f32_e32 v9, v9, v11
	v_mul_f32_e32 v11, v141, v157
	v_fma_f32 v11, v140, v156, -v11
	s_delay_alu instid0(VALU_DEP_1) | instskip(SKIP_1) | instid1(VALU_DEP_1)
	v_add_f32_e32 v9, v9, v11
	v_mul_f32_e32 v11, v143, v159
	v_fma_f32 v11, v142, v158, -v11
	s_delay_alu instid0(VALU_DEP_1) | instskip(SKIP_1) | instid1(VALU_DEP_1)
	v_add_f32_e32 v9, v9, v11
	v_mul_f32_e32 v11, v145, v161
	v_fma_f32 v11, v144, v160, -v11
	ds_load_b128 v[130:133], v7 offset:960
	ds_load_b128 v[134:137], v7 offset:976
	;; [unrolled: 1-line block ×4, first 2 shown]
	v_add_f32_e32 v9, v9, v11
	v_mul_f32_e32 v11, v163, v167
	s_delay_alu instid0(VALU_DEP_1) | instskip(NEXT) | instid1(VALU_DEP_1)
	v_fma_f32 v11, v162, v166, -v11
	v_add_f32_e32 v9, v9, v11
	v_mul_f32_e32 v11, v165, v169
	s_wait_loadcnt_dscnt 0x303
	s_set_vgpr_msb 4                        ;  msbs: dst=0 src0=0 src1=1 src2=0
	v_pk_mul_f32 v[148:149], v[130:131], v[74:75] /*v[330:331]*/ op_sel:[1,1] op_sel_hi:[0,1]
	s_set_vgpr_msb 0                        ;  msbs: dst=0 src0=0 src1=0 src2=0
	v_fma_f32 v11, v164, v168, -v11
	s_set_vgpr_msb 4                        ;  msbs: dst=0 src0=0 src1=1 src2=0
	s_delay_alu instid0(VALU_DEP_2)
	v_pk_fma_f32 v[150:151], v[130:131], v[74:75] /*v[330:331]*/, v[148:149] neg_lo:[0,0,1] neg_hi:[0,0,1]
	v_pk_fma_f32 v[130:131], v[130:131], v[74:75] /*v[330:331]*/, v[148:149] op_sel_hi:[1,0,1]
	s_set_vgpr_msb 1                        ;  msbs: dst=0 src0=1 src1=0 src2=0
	v_mov_b32_e32 v148, v77 /*v333*/
	s_set_vgpr_msb 0                        ;  msbs: dst=0 src0=0 src1=0 src2=0
	v_add_f32_e32 v9, v9, v11
	v_mul_f32_e32 v11, v171, v175
	s_delay_alu instid0(VALU_DEP_1) | instskip(NEXT) | instid1(VALU_DEP_1)
	v_dual_mov_b32 v151, v131 :: v_dual_fma_f32 v11, v170, v174, -v11
	v_add_f32_e32 v9, v9, v11
	v_mul_f32_e32 v11, v173, v177
	s_delay_alu instid0(VALU_DEP_1) | instskip(NEXT) | instid1(VALU_DEP_1)
	v_fma_f32 v11, v172, v176, -v11
	v_add_f32_e32 v9, v9, v11
	v_mul_f32_e32 v11, v179, v183
	s_delay_alu instid0(VALU_DEP_1) | instskip(NEXT) | instid1(VALU_DEP_1)
	v_fma_f32 v11, v178, v182, -v11
	;; [unrolled: 4-line block ×20, first 2 shown]
	v_add_f32_e32 v9, v9, v11
	s_set_vgpr_msb 4                        ;  msbs: dst=0 src0=0 src1=1 src2=0
	v_mul_f32_e32 v11, v253, v1 /*v257*/
	s_delay_alu instid0(VALU_DEP_1) | instskip(SKIP_1) | instid1(VALU_DEP_1)
	v_fma_f32 v11, v252, v0 /*v256*/, -v11
	s_set_vgpr_msb 0                        ;  msbs: dst=0 src0=0 src1=0 src2=0
	v_add_f32_e32 v9, v9, v11
	s_set_vgpr_msb 5                        ;  msbs: dst=0 src0=1 src1=1 src2=0
	v_mul_f32_e32 v11, v3 /*v259*/, v7 /*v263*/
	s_delay_alu instid0(VALU_DEP_1) | instskip(SKIP_1) | instid1(VALU_DEP_1)
	v_fma_f32 v11, v2 /*v258*/, v6 /*v262*/, -v11
	s_set_vgpr_msb 0                        ;  msbs: dst=0 src0=0 src1=0 src2=0
	v_add_f32_e32 v9, v9, v11
	s_set_vgpr_msb 5                        ;  msbs: dst=0 src0=1 src1=1 src2=0
	v_mul_f32_e32 v11, v5 /*v261*/, v9 /*v265*/
	s_delay_alu instid0(VALU_DEP_1) | instskip(SKIP_1) | instid1(VALU_DEP_1)
	v_fma_f32 v11, v4 /*v260*/, v8 /*v264*/, -v11
	;; [unrolled: 6-line block ×16, first 2 shown]
	s_set_vgpr_msb 64                       ;  msbs: dst=1 src0=0 src1=0 src2=0
	v_add_f32_e32 v90 /*v346*/, v9, v11
	s_set_vgpr_msb 5                        ;  msbs: dst=0 src0=1 src1=1 src2=0
	v_mul_f32_e32 v9, v67 /*v323*/, v71 /*v327*/
	s_set_vgpr_msb 0x45                     ;  msbs: dst=1 src0=1 src1=1 src2=0
	s_delay_alu instid0(VALU_DEP_1) | instskip(SKIP_3) | instid1(VALU_DEP_1)
	v_fma_f32 v92 /*v348*/, v66 /*v322*/, v70 /*v326*/, -v9
	s_set_vgpr_msb 5                        ;  msbs: dst=0 src0=1 src1=1 src2=0
	v_mul_f32_e32 v9, v69 /*v325*/, v73 /*v329*/
	s_set_vgpr_msb 0x45                     ;  msbs: dst=1 src0=1 src1=1 src2=0
	v_fma_f32 v94 /*v350*/, v68 /*v324*/, v72 /*v328*/, -v9
	s_set_vgpr_msb 5                        ;  msbs: dst=0 src0=1 src1=1 src2=0
	v_pk_add_f32 v[146:147], v[90:91] /*v[346:347]*/, v[92:93] /*v[348:349]*/
	s_set_vgpr_msb 4                        ;  msbs: dst=0 src0=0 src1=1 src2=0
	s_delay_alu instid0(VALU_DEP_1) | instskip(SKIP_1) | instid1(VALU_DEP_1)
	v_pk_add_f32 v[146:147], v[146:147], v[94:95] /*v[350:351]*/
	s_set_vgpr_msb 0                        ;  msbs: dst=0 src0=0 src1=0 src2=0
	v_pk_add_f32 v[130:131], v[146:147], v[150:151]
	v_dual_mov_b32 v146, v133 :: v_dual_mov_b32 v147, v132
	s_delay_alu instid0(VALU_DEP_1) | instskip(SKIP_1) | instid1(VALU_DEP_1)
	v_pk_mul_f32 v[146:147], v[146:147], v[148:149] op_sel_hi:[1,0]
	s_set_vgpr_msb 4                        ;  msbs: dst=0 src0=0 src1=1 src2=0
	v_pk_fma_f32 v[148:149], v[132:133], v[76:77] /*v[332:333]*/, v[146:147] neg_lo:[0,0,1] neg_hi:[0,0,1]
	v_pk_fma_f32 v[132:133], v[132:133], v[76:77] /*v[332:333]*/, v[146:147] op_sel_hi:[1,0,1]
	s_delay_alu instid0(VALU_DEP_1) | instskip(SKIP_3) | instid1(VALU_DEP_2)
	v_mov_b32_e32 v149, v133
	s_wait_loadcnt_dscnt 0x202
	v_pk_mul_f32 v[132:133], v[134:135], v[78:79] /*v[334:335]*/ op_sel:[1,1] op_sel_hi:[0,1]
	s_set_vgpr_msb 0                        ;  msbs: dst=0 src0=0 src1=0 src2=0
	v_pk_add_f32 v[130:131], v[130:131], v[148:149]
	s_set_vgpr_msb 4                        ;  msbs: dst=0 src0=0 src1=1 src2=0
	s_delay_alu instid0(VALU_DEP_2)
	v_pk_fma_f32 v[146:147], v[134:135], v[78:79] /*v[334:335]*/, v[132:133] neg_lo:[0,0,1] neg_hi:[0,0,1]
	v_pk_fma_f32 v[132:133], v[134:135], v[78:79] /*v[334:335]*/, v[132:133] op_sel_hi:[1,0,1]
	v_mov_b32_e32 v132, v137
	s_set_vgpr_msb 1                        ;  msbs: dst=0 src0=1 src1=0 src2=0
	v_mov_b32_e32 v134, v81 /*v337*/
	s_set_vgpr_msb 0                        ;  msbs: dst=0 src0=0 src1=0 src2=0
	v_dual_mov_b32 v147, v133 :: v_dual_mov_b32 v133, v136
	s_delay_alu instid0(VALU_DEP_1) | instskip(NEXT) | instid1(VALU_DEP_2)
	v_pk_add_f32 v[130:131], v[130:131], v[146:147]
	v_pk_mul_f32 v[132:133], v[132:133], v[134:135] op_sel_hi:[1,0]
	s_set_vgpr_msb 4                        ;  msbs: dst=0 src0=0 src1=1 src2=0
	s_delay_alu instid0(VALU_DEP_1) | instskip(SKIP_1) | instid1(VALU_DEP_1)
	v_pk_fma_f32 v[134:135], v[136:137], v[80:81] /*v[336:337]*/, v[132:133] neg_lo:[0,0,1] neg_hi:[0,0,1]
	v_pk_fma_f32 v[132:133], v[136:137], v[80:81] /*v[336:337]*/, v[132:133] op_sel_hi:[1,0,1]
	v_mov_b32_e32 v135, v133
	s_wait_loadcnt_dscnt 0x101
	v_pk_mul_f32 v[132:133], v[138:139], v[82:83] /*v[338:339]*/ op_sel:[1,1] op_sel_hi:[0,1]
	s_set_vgpr_msb 0                        ;  msbs: dst=0 src0=0 src1=0 src2=0
	s_delay_alu instid0(VALU_DEP_2) | instskip(SKIP_1) | instid1(VALU_DEP_2)
	v_pk_add_f32 v[130:131], v[130:131], v[134:135]
	s_set_vgpr_msb 4                        ;  msbs: dst=0 src0=0 src1=1 src2=0
	v_pk_fma_f32 v[134:135], v[138:139], v[82:83] /*v[338:339]*/, v[132:133] neg_lo:[0,0,1] neg_hi:[0,0,1]
	v_pk_fma_f32 v[132:133], v[138:139], v[82:83] /*v[338:339]*/, v[132:133] op_sel_hi:[1,0,1]
	s_delay_alu instid0(VALU_DEP_1) | instskip(SKIP_2) | instid1(VALU_DEP_2)
	v_dual_mov_b32 v132, v141 :: v_dual_mov_b32 v135, v133
	v_mov_b32_e32 v133, v140
	s_set_vgpr_msb 0                        ;  msbs: dst=0 src0=0 src1=0 src2=0
	v_pk_add_f32 v[130:131], v[130:131], v[134:135]
	s_set_vgpr_msb 1                        ;  msbs: dst=0 src0=1 src1=0 src2=0
	v_mov_b32_e32 v134, v85 /*v341*/
	s_set_vgpr_msb 0                        ;  msbs: dst=0 src0=0 src1=0 src2=0
	s_delay_alu instid0(VALU_DEP_1) | instskip(SKIP_1) | instid1(VALU_DEP_1)
	v_pk_mul_f32 v[132:133], v[132:133], v[134:135] op_sel_hi:[1,0]
	s_set_vgpr_msb 4                        ;  msbs: dst=0 src0=0 src1=1 src2=0
	v_pk_fma_f32 v[134:135], v[140:141], v[84:85] /*v[340:341]*/, v[132:133] neg_lo:[0,0,1] neg_hi:[0,0,1]
	v_pk_fma_f32 v[132:133], v[140:141], v[84:85] /*v[340:341]*/, v[132:133] op_sel_hi:[1,0,1]
	s_delay_alu instid0(VALU_DEP_1) | instskip(SKIP_3) | instid1(VALU_DEP_2)
	v_mov_b32_e32 v135, v133
	s_wait_loadcnt_dscnt 0x0
	v_pk_mul_f32 v[132:133], v[142:143], v[86:87] /*v[342:343]*/ op_sel:[1,1] op_sel_hi:[0,1]
	s_set_vgpr_msb 0                        ;  msbs: dst=0 src0=0 src1=0 src2=0
	v_pk_add_f32 v[130:131], v[130:131], v[134:135]
	s_set_vgpr_msb 4                        ;  msbs: dst=0 src0=0 src1=1 src2=0
	s_delay_alu instid0(VALU_DEP_2) | instskip(SKIP_1) | instid1(VALU_DEP_1)
	v_pk_fma_f32 v[134:135], v[142:143], v[86:87] /*v[342:343]*/, v[132:133] neg_lo:[0,0,1] neg_hi:[0,0,1]
	v_pk_fma_f32 v[132:133], v[142:143], v[86:87] /*v[342:343]*/, v[132:133] op_sel_hi:[1,0,1]
	v_dual_mov_b32 v132, v145 :: v_dual_mov_b32 v135, v133
	v_mov_b32_e32 v133, v144
	s_set_vgpr_msb 0                        ;  msbs: dst=0 src0=0 src1=0 src2=0
	s_delay_alu instid0(VALU_DEP_2) | instskip(SKIP_3) | instid1(VALU_DEP_1)
	v_pk_add_f32 v[130:131], v[130:131], v[134:135]
	s_set_vgpr_msb 1                        ;  msbs: dst=0 src0=1 src1=0 src2=0
	v_mov_b32_e32 v134, v89 /*v345*/
	s_set_vgpr_msb 0                        ;  msbs: dst=0 src0=0 src1=0 src2=0
	v_pk_mul_f32 v[132:133], v[132:133], v[134:135] op_sel_hi:[1,0]
	s_set_vgpr_msb 4                        ;  msbs: dst=0 src0=0 src1=1 src2=0
	s_delay_alu instid0(VALU_DEP_1) | instskip(SKIP_1) | instid1(VALU_DEP_1)
	v_pk_fma_f32 v[134:135], v[144:145], v[88:89] /*v[344:345]*/, v[132:133] neg_lo:[0,0,1] neg_hi:[0,0,1]
	v_pk_fma_f32 v[132:133], v[144:145], v[88:89] /*v[344:345]*/, v[132:133] op_sel_hi:[1,0,1]
	v_mov_b32_e32 v135, v133
	scratch_load_b64 v[132:133], off, off offset:40
	s_set_vgpr_msb 0                        ;  msbs: dst=0 src0=0 src1=0 src2=0
	v_pk_add_f32 v[130:131], v[130:131], v[134:135]
	s_wait_loadcnt 0x0
	s_delay_alu instid0(VALU_DEP_1)
	v_pk_add_f32 v[130:131], v[132:133], v[130:131] neg_lo:[0,1] neg_hi:[0,1]
	scratch_store_b64 off, v[130:131], off offset:40
	s_wait_xcnt 0x0
	v_cmpx_lt_u32_e32 4, v0
	s_cbranch_execz .LBB63_389
; %bb.388:
	scratch_load_b64 v[130:131], off, off offset:32
	v_mov_b64_e32 v[132:133], 0
	scratch_store_b64 off, v[132:133], off offset:32
	s_wait_loadcnt 0x0
	ds_store_b64 v1, v[130:131]
.LBB63_389:
	s_wait_xcnt 0x0
	s_or_b32 exec_lo, exec_lo, s0
	s_wait_storecnt_dscnt 0x0
	s_barrier_signal -1
	s_barrier_wait -1
	s_clause 0xf
	scratch_load_b128 v[134:137], off, off offset:40
	scratch_load_b128 v[142:145], off, off offset:56
	;; [unrolled: 1-line block ×16, first 2 shown]
	v_mov_b32_e32 v7, 0
	s_set_vgpr_msb 64                       ;  msbs: dst=1 src0=0 src1=0 src2=0
	s_clause 0x3
	scratch_load_b128 v[6:9] /*v[262:265]*/, off, off offset:296
	scratch_load_b128 v[14:17] /*v[270:273]*/, off, off offset:312
	;; [unrolled: 1-line block ×4, first 2 shown]
	s_set_vgpr_msb 0                        ;  msbs: dst=0 src0=0 src1=0 src2=0
	ds_load_2addr_b64 v[130:133], v7 offset0:69 offset1:70
	ds_load_2addr_b64 v[138:141], v7 offset0:71 offset1:72
	s_set_vgpr_msb 64                       ;  msbs: dst=1 src0=0 src1=0 src2=0
	s_clause 0x5
	scratch_load_b128 v[38:41] /*v[294:297]*/, off, off offset:360
	scratch_load_b128 v[46:49] /*v[302:305]*/, off, off offset:376
	;; [unrolled: 1-line block ×6, first 2 shown]
	s_mov_b32 s0, exec_lo
	s_wait_loadcnt_dscnt 0x1901
	s_set_vgpr_msb 0                        ;  msbs: dst=0 src0=0 src1=0 src2=0
	v_dual_mul_f32 v9, v130, v135 :: v_dual_mul_f32 v11, v132, v137
	ds_load_2addr_b64 v[146:149], v7 offset0:73 offset1:74
	ds_load_2addr_b64 v[154:157], v7 offset0:75 offset1:76
	;; [unrolled: 1-line block ×4, first 2 shown]
	v_dual_fmac_f32 v9, v131, v134 :: v_dual_fmac_f32 v11, v133, v136
	ds_load_2addr_b64 v[178:181], v7 offset0:81 offset1:82
	ds_load_2addr_b64 v[186:189], v7 offset0:83 offset1:84
	ds_load_2addr_b64 v[194:197], v7 offset0:85 offset1:86
	ds_load_2addr_b64 v[202:205], v7 offset0:87 offset1:88
	v_add_f32_e32 v9, 0, v9
	ds_load_2addr_b64 v[210:213], v7 offset0:89 offset1:90
	ds_load_2addr_b64 v[218:221], v7 offset0:91 offset1:92
	;; [unrolled: 1-line block ×4, first 2 shown]
	v_add_f32_e32 v9, v9, v11
	s_wait_loadcnt_dscnt 0x180c
	v_mul_f32_e32 v11, v138, v143
	ds_load_2addr_b64 v[242:245], v7 offset0:97 offset1:98
	ds_load_2addr_b64 v[250:253], v7 offset0:99 offset1:100
	s_set_vgpr_msb 64                       ;  msbs: dst=1 src0=0 src1=0 src2=0
	ds_load_2addr_b64 v[2:5] /*v[258:261]*/, v7 offset0:101 offset1:102
	ds_load_2addr_b64 v[10:13] /*v[266:269]*/, v7 offset0:103 offset1:104
	s_set_vgpr_msb 0                        ;  msbs: dst=0 src0=0 src1=0 src2=0
	v_fmac_f32_e32 v11, v139, v142
	s_set_vgpr_msb 64                       ;  msbs: dst=1 src0=0 src1=0 src2=0
	ds_load_2addr_b64 v[66:69] /*v[322:325]*/, v7 offset0:117 offset1:118
	ds_load_2addr_b64 v[74:77] /*v[330:333]*/, v7 offset0:119 offset1:120
	;; [unrolled: 1-line block ×4, first 2 shown]
	s_set_vgpr_msb 0                        ;  msbs: dst=0 src0=0 src1=0 src2=0
	v_dual_add_f32 v9, v9, v11 :: v_dual_mul_f32 v11, v140, v145
	s_set_vgpr_msb 64                       ;  msbs: dst=1 src0=0 src1=0 src2=0
	ds_load_2addr_b64 v[34:37] /*v[290:293]*/, v7 offset0:109 offset1:110
	ds_load_2addr_b64 v[42:45] /*v[298:301]*/, v7 offset0:111 offset1:112
	ds_load_2addr_b64 v[50:53] /*v[306:309]*/, v7 offset0:113 offset1:114
	ds_load_2addr_b64 v[58:61] /*v[314:317]*/, v7 offset0:115 offset1:116
	s_set_vgpr_msb 0                        ;  msbs: dst=0 src0=0 src1=0 src2=0
	v_fmac_f32_e32 v11, v141, v144
	s_set_vgpr_msb 64                       ;  msbs: dst=1 src0=0 src1=0 src2=0
	s_clause 0x3
	scratch_load_b128 v[82:85] /*v[338:341]*/, off, off offset:456
	scratch_load_b128 v[86:89] /*v[342:345]*/, off, off offset:472
	;; [unrolled: 1-line block ×3, first 2 shown]
	scratch_load_b64 v[100:101] /*v[356:357]*/, off, off offset:504
	s_set_vgpr_msb 0                        ;  msbs: dst=0 src0=0 src1=0 src2=0
	v_add_f32_e32 v9, v9, v11
	s_wait_loadcnt_dscnt 0x1b17
	v_mul_f32_e32 v11, v146, v151
	s_wait_loadcnt_dscnt 0x406
	s_set_vgpr_msb 0x45                     ;  msbs: dst=1 src0=1 src1=1 src2=0
	v_dual_mul_f32 v97 /*v353*/, v68 /*v324*/, v73 /*v329*/ :: v_dual_mul_f32 v99 /*v355*/, v74 /*v330*/, v79 /*v335*/
	s_set_vgpr_msb 0                        ;  msbs: dst=0 src0=0 src1=0 src2=0
	v_fmac_f32_e32 v11, v147, v150
	s_set_vgpr_msb 0x45                     ;  msbs: dst=1 src0=1 src1=1 src2=0
	s_delay_alu instid0(VALU_DEP_2) | instskip(SKIP_1) | instid1(VALU_DEP_2)
	v_dual_fmac_f32 v97 /*v353*/, v69 /*v325*/, v72 /*v328*/ :: v_dual_fmac_f32 v99 /*v355*/, v75 /*v331*/, v78 /*v334*/
	s_set_vgpr_msb 0                        ;  msbs: dst=0 src0=0 src1=0 src2=0
	v_dual_add_f32 v9, v9, v11 :: v_dual_mul_f32 v11, v148, v153
	s_delay_alu instid0(VALU_DEP_1) | instskip(NEXT) | instid1(VALU_DEP_1)
	v_fmac_f32_e32 v11, v149, v152
	v_add_f32_e32 v9, v9, v11
	v_mul_f32_e32 v11, v154, v159
	s_delay_alu instid0(VALU_DEP_1) | instskip(NEXT) | instid1(VALU_DEP_1)
	v_fmac_f32_e32 v11, v155, v158
	v_dual_add_f32 v9, v9, v11 :: v_dual_mul_f32 v11, v156, v161
	s_delay_alu instid0(VALU_DEP_1) | instskip(NEXT) | instid1(VALU_DEP_1)
	v_fmac_f32_e32 v11, v157, v160
	v_add_f32_e32 v9, v9, v11
	v_mul_f32_e32 v11, v162, v167
	s_delay_alu instid0(VALU_DEP_1) | instskip(NEXT) | instid1(VALU_DEP_1)
	v_fmac_f32_e32 v11, v163, v166
	;; [unrolled: 7-line block ×13, first 2 shown]
	v_add_f32_e32 v9, v9, v11
	s_set_vgpr_msb 4                        ;  msbs: dst=0 src0=0 src1=1 src2=0
	v_mul_f32_e32 v11, v252, v1 /*v257*/
	s_delay_alu instid0(VALU_DEP_1) | instskip(SKIP_1) | instid1(VALU_DEP_1)
	v_fmac_f32_e32 v11, v253, v0 /*v256*/
	s_set_vgpr_msb 0                        ;  msbs: dst=0 src0=0 src1=0 src2=0
	v_add_f32_e32 v9, v9, v11
	s_set_vgpr_msb 5                        ;  msbs: dst=0 src0=1 src1=1 src2=0
	v_mul_f32_e32 v11, v2 /*v258*/, v7 /*v263*/
	s_delay_alu instid0(VALU_DEP_1) | instskip(SKIP_1) | instid1(VALU_DEP_1)
	v_fmac_f32_e32 v11, v3 /*v259*/, v6 /*v262*/
	s_set_vgpr_msb 0                        ;  msbs: dst=0 src0=0 src1=0 src2=0
	v_add_f32_e32 v9, v9, v11
	s_set_vgpr_msb 5                        ;  msbs: dst=0 src0=1 src1=1 src2=0
	v_mul_f32_e32 v11, v4 /*v260*/, v9 /*v265*/
	s_delay_alu instid0(VALU_DEP_1) | instskip(SKIP_1) | instid1(VALU_DEP_1)
	v_fmac_f32_e32 v11, v5 /*v261*/, v8 /*v264*/
	;; [unrolled: 6-line block ×4, first 2 shown]
	s_set_vgpr_msb 0                        ;  msbs: dst=0 src0=0 src1=0 src2=0
	v_add_f32_e32 v9, v9, v11
	s_wait_dscnt 0x5
	s_set_vgpr_msb 5                        ;  msbs: dst=0 src0=1 src1=1 src2=0
	v_mul_f32_e32 v11, v18 /*v274*/, v23 /*v279*/
	s_delay_alu instid0(VALU_DEP_1) | instskip(SKIP_1) | instid1(VALU_DEP_1)
	v_fmac_f32_e32 v11, v19 /*v275*/, v22 /*v278*/
	s_set_vgpr_msb 0                        ;  msbs: dst=0 src0=0 src1=0 src2=0
	v_add_f32_e32 v9, v9, v11
	s_set_vgpr_msb 5                        ;  msbs: dst=0 src0=1 src1=1 src2=0
	v_mul_f32_e32 v11, v20 /*v276*/, v25 /*v281*/
	s_delay_alu instid0(VALU_DEP_1) | instskip(SKIP_1) | instid1(VALU_DEP_1)
	v_fmac_f32_e32 v11, v21 /*v277*/, v24 /*v280*/
	s_set_vgpr_msb 0                        ;  msbs: dst=0 src0=0 src1=0 src2=0
	v_add_f32_e32 v9, v9, v11
	s_wait_dscnt 0x4
	s_set_vgpr_msb 5                        ;  msbs: dst=0 src0=1 src1=1 src2=0
	v_mul_f32_e32 v11, v26 /*v282*/, v31 /*v287*/
	s_delay_alu instid0(VALU_DEP_1) | instskip(SKIP_1) | instid1(VALU_DEP_1)
	v_fmac_f32_e32 v11, v27 /*v283*/, v30 /*v286*/
	s_set_vgpr_msb 0                        ;  msbs: dst=0 src0=0 src1=0 src2=0
	v_add_f32_e32 v9, v9, v11
	s_set_vgpr_msb 5                        ;  msbs: dst=0 src0=1 src1=1 src2=0
	v_mul_f32_e32 v11, v28 /*v284*/, v33 /*v289*/
	s_delay_alu instid0(VALU_DEP_1) | instskip(SKIP_1) | instid1(VALU_DEP_1)
	v_fmac_f32_e32 v11, v29 /*v285*/, v32 /*v288*/
	;; [unrolled: 13-line block ×6, first 2 shown]
	s_set_vgpr_msb 0                        ;  msbs: dst=0 src0=0 src1=0 src2=0
	v_add_f32_e32 v9, v9, v11
	s_set_vgpr_msb 5                        ;  msbs: dst=0 src0=1 src1=1 src2=0
	v_mul_f32_e32 v11, v66 /*v322*/, v71 /*v327*/
	s_delay_alu instid0(VALU_DEP_1) | instskip(SKIP_1) | instid1(VALU_DEP_1)
	v_fmac_f32_e32 v11, v67 /*v323*/, v70 /*v326*/
	s_set_vgpr_msb 64                       ;  msbs: dst=1 src0=0 src1=0 src2=0
	v_add_f32_e32 v95 /*v351*/, v9, v11
	s_set_vgpr_msb 0                        ;  msbs: dst=0 src0=0 src1=0 src2=0
	v_dual_mul_f32 v9, v131, v135 :: v_dual_mul_f32 v11, v133, v137
	s_delay_alu instid0(VALU_DEP_1) | instskip(NEXT) | instid1(VALU_DEP_1)
	v_dual_fma_f32 v9, v130, v134, -v9 :: v_dual_fma_f32 v11, v132, v136, -v11
	v_add_f32_e32 v9, 0, v9
	s_delay_alu instid0(VALU_DEP_1) | instskip(SKIP_1) | instid1(VALU_DEP_1)
	v_add_f32_e32 v9, v9, v11
	v_mul_f32_e32 v11, v139, v143
	v_fma_f32 v11, v138, v142, -v11
	s_delay_alu instid0(VALU_DEP_1) | instskip(SKIP_1) | instid1(VALU_DEP_1)
	v_add_f32_e32 v9, v9, v11
	v_mul_f32_e32 v11, v141, v145
	v_fma_f32 v11, v140, v144, -v11
	ds_load_2addr_b64 v[130:133], v7 offset0:121 offset1:122
	ds_load_2addr_b64 v[134:137], v7 offset0:123 offset1:124
	;; [unrolled: 1-line block ×3, first 2 shown]
	ds_load_b64 v[142:143], v7 offset:1016
	v_add_f32_e32 v9, v9, v11
	v_mul_f32_e32 v11, v147, v151
	s_set_vgpr_msb 1                        ;  msbs: dst=0 src0=1 src1=0 src2=0
	v_mov_b32_e32 v147, v76 /*v332*/
	s_set_vgpr_msb 0                        ;  msbs: dst=0 src0=0 src1=0 src2=0
	s_delay_alu instid0(VALU_DEP_2) | instskip(SKIP_3) | instid1(VALU_DEP_2)
	v_fma_f32 v11, v146, v150, -v11
	s_set_vgpr_msb 1                        ;  msbs: dst=0 src0=1 src1=0 src2=0
	v_mov_b32_e32 v146, v77 /*v333*/
	s_set_vgpr_msb 0                        ;  msbs: dst=0 src0=0 src1=0 src2=0
	v_add_f32_e32 v9, v9, v11
	v_mul_f32_e32 v11, v149, v153
	s_delay_alu instid0(VALU_DEP_1) | instskip(SKIP_3) | instid1(VALU_DEP_2)
	v_fma_f32 v11, v148, v152, -v11
	s_set_vgpr_msb 1                        ;  msbs: dst=0 src0=1 src1=0 src2=0
	v_mov_b32_e32 v148, v81 /*v337*/
	s_set_vgpr_msb 0                        ;  msbs: dst=0 src0=0 src1=0 src2=0
	v_add_f32_e32 v9, v9, v11
	v_mul_f32_e32 v11, v155, v159
	s_delay_alu instid0(VALU_DEP_3) | instskip(NEXT) | instid1(VALU_DEP_2)
	v_pk_mul_f32 v[146:147], v[146:147], v[148:149] op_sel_hi:[1,0]
	v_fma_f32 v11, v154, v158, -v11
	s_set_vgpr_msb 5                        ;  msbs: dst=0 src0=1 src1=1 src2=0
	s_delay_alu instid0(VALU_DEP_2) | instskip(SKIP_3) | instid1(VALU_DEP_2)
	v_pk_fma_f32 v[148:149], v[76:77] /*v[332:333]*/, v[80:81] /*v[336:337]*/, v[146:147] neg_lo:[0,0,1] neg_hi:[0,0,1]
	v_pk_fma_f32 v[146:147], v[76:77] /*v[332:333]*/, v[80:81] /*v[336:337]*/, v[146:147] op_sel_hi:[1,0,1]
	s_set_vgpr_msb 0                        ;  msbs: dst=0 src0=0 src1=0 src2=0
	v_add_f32_e32 v9, v9, v11
	v_dual_mul_f32 v11, v157, v161 :: v_dual_mov_b32 v149, v147
	s_wait_loadcnt_dscnt 0x303
	s_set_vgpr_msb 4                        ;  msbs: dst=0 src0=0 src1=1 src2=0
	v_pk_mul_f32 v[146:147], v[130:131], v[82:83] /*v[338:339]*/ op_sel:[1,1] op_sel_hi:[0,1]
	s_set_vgpr_msb 0                        ;  msbs: dst=0 src0=0 src1=0 src2=0
	v_fma_f32 v11, v156, v160, -v11
	s_delay_alu instid0(VALU_DEP_1) | instskip(SKIP_1) | instid1(VALU_DEP_1)
	v_add_f32_e32 v9, v9, v11
	v_mul_f32_e32 v11, v163, v167
	v_fma_f32 v11, v162, v166, -v11
	s_delay_alu instid0(VALU_DEP_1) | instskip(SKIP_1) | instid1(VALU_DEP_1)
	v_add_f32_e32 v9, v9, v11
	v_mul_f32_e32 v11, v165, v169
	;; [unrolled: 4-line block ×23, first 2 shown]
	v_fma_f32 v11, v250, v254, -v11
	s_delay_alu instid0(VALU_DEP_1) | instskip(SKIP_2) | instid1(VALU_DEP_1)
	v_add_f32_e32 v9, v9, v11
	s_set_vgpr_msb 4                        ;  msbs: dst=0 src0=0 src1=1 src2=0
	v_mul_f32_e32 v11, v253, v1 /*v257*/
	v_fma_f32 v11, v252, v0 /*v256*/, -v11
	s_set_vgpr_msb 0                        ;  msbs: dst=0 src0=0 src1=0 src2=0
	s_delay_alu instid0(VALU_DEP_1) | instskip(SKIP_2) | instid1(VALU_DEP_1)
	v_add_f32_e32 v9, v9, v11
	s_set_vgpr_msb 5                        ;  msbs: dst=0 src0=1 src1=1 src2=0
	v_mul_f32_e32 v11, v3 /*v259*/, v7 /*v263*/
	v_fma_f32 v11, v2 /*v258*/, v6 /*v262*/, -v11
	s_set_vgpr_msb 0                        ;  msbs: dst=0 src0=0 src1=0 src2=0
	s_delay_alu instid0(VALU_DEP_1) | instskip(SKIP_2) | instid1(VALU_DEP_1)
	v_add_f32_e32 v9, v9, v11
	s_set_vgpr_msb 5                        ;  msbs: dst=0 src0=1 src1=1 src2=0
	v_mul_f32_e32 v11, v5 /*v261*/, v9 /*v265*/
	v_fma_f32 v11, v4 /*v260*/, v8 /*v264*/, -v11
	s_set_vgpr_msb 0                        ;  msbs: dst=0 src0=0 src1=0 src2=0
	s_delay_alu instid0(VALU_DEP_1) | instskip(SKIP_2) | instid1(VALU_DEP_1)
	v_add_f32_e32 v9, v9, v11
	s_set_vgpr_msb 5                        ;  msbs: dst=0 src0=1 src1=1 src2=0
	v_mul_f32_e32 v11, v11 /*v267*/, v15 /*v271*/
	v_fma_f32 v11, v10 /*v266*/, v14 /*v270*/, -v11
	s_set_vgpr_msb 0                        ;  msbs: dst=0 src0=0 src1=0 src2=0
	s_delay_alu instid0(VALU_DEP_1) | instskip(SKIP_2) | instid1(VALU_DEP_1)
	v_add_f32_e32 v9, v9, v11
	s_set_vgpr_msb 5                        ;  msbs: dst=0 src0=1 src1=1 src2=0
	v_mul_f32_e32 v11, v13 /*v269*/, v17 /*v273*/
	v_fma_f32 v11, v12 /*v268*/, v16 /*v272*/, -v11
	s_set_vgpr_msb 0                        ;  msbs: dst=0 src0=0 src1=0 src2=0
	s_delay_alu instid0(VALU_DEP_1) | instskip(SKIP_2) | instid1(VALU_DEP_1)
	v_add_f32_e32 v9, v9, v11
	s_set_vgpr_msb 5                        ;  msbs: dst=0 src0=1 src1=1 src2=0
	v_mul_f32_e32 v11, v19 /*v275*/, v23 /*v279*/
	v_fma_f32 v11, v18 /*v274*/, v22 /*v278*/, -v11
	s_set_vgpr_msb 0                        ;  msbs: dst=0 src0=0 src1=0 src2=0
	s_delay_alu instid0(VALU_DEP_1) | instskip(SKIP_2) | instid1(VALU_DEP_1)
	v_add_f32_e32 v9, v9, v11
	s_set_vgpr_msb 5                        ;  msbs: dst=0 src0=1 src1=1 src2=0
	v_mul_f32_e32 v11, v21 /*v277*/, v25 /*v281*/
	v_fma_f32 v11, v20 /*v276*/, v24 /*v280*/, -v11
	s_set_vgpr_msb 0                        ;  msbs: dst=0 src0=0 src1=0 src2=0
	s_delay_alu instid0(VALU_DEP_1) | instskip(SKIP_2) | instid1(VALU_DEP_1)
	v_add_f32_e32 v9, v9, v11
	s_set_vgpr_msb 5                        ;  msbs: dst=0 src0=1 src1=1 src2=0
	v_mul_f32_e32 v11, v27 /*v283*/, v31 /*v287*/
	v_fma_f32 v11, v26 /*v282*/, v30 /*v286*/, -v11
	s_set_vgpr_msb 0                        ;  msbs: dst=0 src0=0 src1=0 src2=0
	s_delay_alu instid0(VALU_DEP_1) | instskip(SKIP_2) | instid1(VALU_DEP_1)
	v_add_f32_e32 v9, v9, v11
	s_set_vgpr_msb 5                        ;  msbs: dst=0 src0=1 src1=1 src2=0
	v_mul_f32_e32 v11, v29 /*v285*/, v33 /*v289*/
	v_fma_f32 v11, v28 /*v284*/, v32 /*v288*/, -v11
	s_set_vgpr_msb 0                        ;  msbs: dst=0 src0=0 src1=0 src2=0
	s_delay_alu instid0(VALU_DEP_1) | instskip(SKIP_2) | instid1(VALU_DEP_1)
	v_add_f32_e32 v9, v9, v11
	s_set_vgpr_msb 5                        ;  msbs: dst=0 src0=1 src1=1 src2=0
	v_mul_f32_e32 v11, v35 /*v291*/, v39 /*v295*/
	v_fma_f32 v11, v34 /*v290*/, v38 /*v294*/, -v11
	s_set_vgpr_msb 0                        ;  msbs: dst=0 src0=0 src1=0 src2=0
	s_delay_alu instid0(VALU_DEP_1) | instskip(SKIP_2) | instid1(VALU_DEP_1)
	v_add_f32_e32 v9, v9, v11
	s_set_vgpr_msb 5                        ;  msbs: dst=0 src0=1 src1=1 src2=0
	v_mul_f32_e32 v11, v37 /*v293*/, v41 /*v297*/
	v_fma_f32 v11, v36 /*v292*/, v40 /*v296*/, -v11
	s_set_vgpr_msb 0                        ;  msbs: dst=0 src0=0 src1=0 src2=0
	s_delay_alu instid0(VALU_DEP_1) | instskip(SKIP_2) | instid1(VALU_DEP_1)
	v_add_f32_e32 v9, v9, v11
	s_set_vgpr_msb 5                        ;  msbs: dst=0 src0=1 src1=1 src2=0
	v_mul_f32_e32 v11, v43 /*v299*/, v47 /*v303*/
	v_fma_f32 v11, v42 /*v298*/, v46 /*v302*/, -v11
	s_set_vgpr_msb 0                        ;  msbs: dst=0 src0=0 src1=0 src2=0
	s_delay_alu instid0(VALU_DEP_1) | instskip(SKIP_2) | instid1(VALU_DEP_1)
	v_add_f32_e32 v9, v9, v11
	s_set_vgpr_msb 5                        ;  msbs: dst=0 src0=1 src1=1 src2=0
	v_mul_f32_e32 v11, v45 /*v301*/, v49 /*v305*/
	v_fma_f32 v11, v44 /*v300*/, v48 /*v304*/, -v11
	s_set_vgpr_msb 0                        ;  msbs: dst=0 src0=0 src1=0 src2=0
	s_delay_alu instid0(VALU_DEP_1) | instskip(SKIP_2) | instid1(VALU_DEP_1)
	v_add_f32_e32 v9, v9, v11
	s_set_vgpr_msb 5                        ;  msbs: dst=0 src0=1 src1=1 src2=0
	v_mul_f32_e32 v11, v51 /*v307*/, v55 /*v311*/
	v_fma_f32 v11, v50 /*v306*/, v54 /*v310*/, -v11
	s_set_vgpr_msb 0                        ;  msbs: dst=0 src0=0 src1=0 src2=0
	s_delay_alu instid0(VALU_DEP_1) | instskip(SKIP_2) | instid1(VALU_DEP_1)
	v_add_f32_e32 v9, v9, v11
	s_set_vgpr_msb 5                        ;  msbs: dst=0 src0=1 src1=1 src2=0
	v_mul_f32_e32 v11, v53 /*v309*/, v57 /*v313*/
	v_fma_f32 v11, v52 /*v308*/, v56 /*v312*/, -v11
	s_set_vgpr_msb 0                        ;  msbs: dst=0 src0=0 src1=0 src2=0
	s_delay_alu instid0(VALU_DEP_1) | instskip(SKIP_2) | instid1(VALU_DEP_1)
	v_add_f32_e32 v9, v9, v11
	s_set_vgpr_msb 5                        ;  msbs: dst=0 src0=1 src1=1 src2=0
	v_mul_f32_e32 v11, v59 /*v315*/, v63 /*v319*/
	v_fma_f32 v11, v58 /*v314*/, v62 /*v318*/, -v11
	s_set_vgpr_msb 0                        ;  msbs: dst=0 src0=0 src1=0 src2=0
	s_delay_alu instid0(VALU_DEP_1) | instskip(SKIP_2) | instid1(VALU_DEP_1)
	v_add_f32_e32 v9, v9, v11
	s_set_vgpr_msb 5                        ;  msbs: dst=0 src0=1 src1=1 src2=0
	v_mul_f32_e32 v11, v61 /*v317*/, v65 /*v321*/
	v_fma_f32 v11, v60 /*v316*/, v64 /*v320*/, -v11
	s_set_vgpr_msb 0                        ;  msbs: dst=0 src0=0 src1=0 src2=0
	s_delay_alu instid0(VALU_DEP_1) | instskip(SKIP_2) | instid1(VALU_DEP_1)
	v_add_f32_e32 v9, v9, v11
	s_set_vgpr_msb 5                        ;  msbs: dst=0 src0=1 src1=1 src2=0
	v_mul_f32_e32 v11, v67 /*v323*/, v71 /*v327*/
	v_fma_f32 v11, v66 /*v322*/, v70 /*v326*/, -v11
	s_set_vgpr_msb 64                       ;  msbs: dst=1 src0=0 src1=0 src2=0
	s_delay_alu instid0(VALU_DEP_1) | instskip(SKIP_3) | instid1(VALU_DEP_1)
	v_add_f32_e32 v94 /*v350*/, v9, v11
	s_set_vgpr_msb 5                        ;  msbs: dst=0 src0=1 src1=1 src2=0
	v_mul_f32_e32 v9, v69 /*v325*/, v73 /*v329*/
	s_set_vgpr_msb 0x45                     ;  msbs: dst=1 src0=1 src1=1 src2=0
	v_fma_f32 v96 /*v352*/, v68 /*v324*/, v72 /*v328*/, -v9
	s_set_vgpr_msb 5                        ;  msbs: dst=0 src0=1 src1=1 src2=0
	v_mul_f32_e32 v9, v75 /*v331*/, v79 /*v335*/
	s_set_vgpr_msb 0x45                     ;  msbs: dst=1 src0=1 src1=1 src2=0
	s_delay_alu instid0(VALU_DEP_1) | instskip(SKIP_3) | instid1(VALU_DEP_1)
	v_fma_f32 v98 /*v354*/, v74 /*v330*/, v78 /*v334*/, -v9
	s_set_vgpr_msb 5                        ;  msbs: dst=0 src0=1 src1=1 src2=0
	v_pk_add_f32 v[144:145], v[94:95] /*v[350:351]*/, v[96:97] /*v[352:353]*/
	s_set_vgpr_msb 4                        ;  msbs: dst=0 src0=0 src1=1 src2=0
	v_pk_add_f32 v[144:145], v[144:145], v[98:99] /*v[354:355]*/
	s_set_vgpr_msb 0                        ;  msbs: dst=0 src0=0 src1=0 src2=0
	s_delay_alu instid0(VALU_DEP_1)
	v_pk_add_f32 v[144:145], v[144:145], v[148:149]
	s_set_vgpr_msb 4                        ;  msbs: dst=0 src0=0 src1=1 src2=0
	v_pk_fma_f32 v[148:149], v[130:131], v[82:83] /*v[338:339]*/, v[146:147] neg_lo:[0,0,1] neg_hi:[0,0,1]
	v_pk_fma_f32 v[130:131], v[130:131], v[82:83] /*v[338:339]*/, v[146:147] op_sel_hi:[1,0,1]
	s_set_vgpr_msb 1                        ;  msbs: dst=0 src0=1 src1=0 src2=0
	v_mov_b32_e32 v146, v85 /*v341*/
	s_set_vgpr_msb 0                        ;  msbs: dst=0 src0=0 src1=0 src2=0
	s_delay_alu instid0(VALU_DEP_2) | instskip(NEXT) | instid1(VALU_DEP_1)
	v_mov_b32_e32 v149, v131
	v_pk_add_f32 v[130:131], v[144:145], v[148:149]
	v_dual_mov_b32 v144, v133 :: v_dual_mov_b32 v145, v132
	s_delay_alu instid0(VALU_DEP_1) | instskip(SKIP_1) | instid1(VALU_DEP_1)
	v_pk_mul_f32 v[144:145], v[144:145], v[146:147] op_sel_hi:[1,0]
	s_set_vgpr_msb 4                        ;  msbs: dst=0 src0=0 src1=1 src2=0
	v_pk_fma_f32 v[146:147], v[132:133], v[84:85] /*v[340:341]*/, v[144:145] neg_lo:[0,0,1] neg_hi:[0,0,1]
	v_pk_fma_f32 v[132:133], v[132:133], v[84:85] /*v[340:341]*/, v[144:145] op_sel_hi:[1,0,1]
	s_delay_alu instid0(VALU_DEP_1) | instskip(SKIP_3) | instid1(VALU_DEP_2)
	v_mov_b32_e32 v147, v133
	s_wait_loadcnt_dscnt 0x202
	v_pk_mul_f32 v[132:133], v[134:135], v[86:87] /*v[342:343]*/ op_sel:[1,1] op_sel_hi:[0,1]
	s_set_vgpr_msb 0                        ;  msbs: dst=0 src0=0 src1=0 src2=0
	v_pk_add_f32 v[130:131], v[130:131], v[146:147]
	s_set_vgpr_msb 4                        ;  msbs: dst=0 src0=0 src1=1 src2=0
	s_delay_alu instid0(VALU_DEP_2)
	v_pk_fma_f32 v[144:145], v[134:135], v[86:87] /*v[342:343]*/, v[132:133] neg_lo:[0,0,1] neg_hi:[0,0,1]
	v_pk_fma_f32 v[132:133], v[134:135], v[86:87] /*v[342:343]*/, v[132:133] op_sel_hi:[1,0,1]
	v_mov_b32_e32 v132, v137
	s_set_vgpr_msb 1                        ;  msbs: dst=0 src0=1 src1=0 src2=0
	v_mov_b32_e32 v134, v89 /*v345*/
	s_set_vgpr_msb 0                        ;  msbs: dst=0 src0=0 src1=0 src2=0
	v_dual_mov_b32 v145, v133 :: v_dual_mov_b32 v133, v136
	s_delay_alu instid0(VALU_DEP_1) | instskip(NEXT) | instid1(VALU_DEP_2)
	v_pk_add_f32 v[130:131], v[130:131], v[144:145]
	v_pk_mul_f32 v[132:133], v[132:133], v[134:135] op_sel_hi:[1,0]
	s_set_vgpr_msb 4                        ;  msbs: dst=0 src0=0 src1=1 src2=0
	s_delay_alu instid0(VALU_DEP_1) | instskip(SKIP_1) | instid1(VALU_DEP_1)
	v_pk_fma_f32 v[134:135], v[136:137], v[88:89] /*v[344:345]*/, v[132:133] neg_lo:[0,0,1] neg_hi:[0,0,1]
	v_pk_fma_f32 v[132:133], v[136:137], v[88:89] /*v[344:345]*/, v[132:133] op_sel_hi:[1,0,1]
	v_mov_b32_e32 v135, v133
	s_wait_loadcnt_dscnt 0x101
	v_pk_mul_f32 v[132:133], v[138:139], v[90:91] /*v[346:347]*/ op_sel:[1,1] op_sel_hi:[0,1]
	s_set_vgpr_msb 0                        ;  msbs: dst=0 src0=0 src1=0 src2=0
	s_delay_alu instid0(VALU_DEP_2) | instskip(SKIP_1) | instid1(VALU_DEP_2)
	v_pk_add_f32 v[130:131], v[130:131], v[134:135]
	s_set_vgpr_msb 4                        ;  msbs: dst=0 src0=0 src1=1 src2=0
	v_pk_fma_f32 v[134:135], v[138:139], v[90:91] /*v[346:347]*/, v[132:133] neg_lo:[0,0,1] neg_hi:[0,0,1]
	v_pk_fma_f32 v[132:133], v[138:139], v[90:91] /*v[346:347]*/, v[132:133] op_sel_hi:[1,0,1]
	s_delay_alu instid0(VALU_DEP_1) | instskip(SKIP_2) | instid1(VALU_DEP_2)
	v_dual_mov_b32 v132, v141 :: v_dual_mov_b32 v135, v133
	v_mov_b32_e32 v133, v140
	s_set_vgpr_msb 0                        ;  msbs: dst=0 src0=0 src1=0 src2=0
	v_pk_add_f32 v[130:131], v[130:131], v[134:135]
	s_set_vgpr_msb 1                        ;  msbs: dst=0 src0=1 src1=0 src2=0
	v_mov_b32_e32 v134, v93 /*v349*/
	s_set_vgpr_msb 0                        ;  msbs: dst=0 src0=0 src1=0 src2=0
	s_delay_alu instid0(VALU_DEP_1) | instskip(SKIP_1) | instid1(VALU_DEP_1)
	v_pk_mul_f32 v[132:133], v[132:133], v[134:135] op_sel_hi:[1,0]
	s_set_vgpr_msb 4                        ;  msbs: dst=0 src0=0 src1=1 src2=0
	v_pk_fma_f32 v[134:135], v[140:141], v[92:93] /*v[348:349]*/, v[132:133] neg_lo:[0,0,1] neg_hi:[0,0,1]
	v_pk_fma_f32 v[132:133], v[140:141], v[92:93] /*v[348:349]*/, v[132:133] op_sel_hi:[1,0,1]
	s_delay_alu instid0(VALU_DEP_1) | instskip(SKIP_3) | instid1(VALU_DEP_2)
	v_mov_b32_e32 v135, v133
	s_wait_loadcnt_dscnt 0x0
	v_pk_mul_f32 v[132:133], v[142:143], v[100:101] /*v[356:357]*/ op_sel:[1,1] op_sel_hi:[0,1]
	s_set_vgpr_msb 0                        ;  msbs: dst=0 src0=0 src1=0 src2=0
	v_pk_add_f32 v[130:131], v[130:131], v[134:135]
	s_set_vgpr_msb 4                        ;  msbs: dst=0 src0=0 src1=1 src2=0
	s_delay_alu instid0(VALU_DEP_2) | instskip(SKIP_1) | instid1(VALU_DEP_1)
	v_pk_fma_f32 v[134:135], v[142:143], v[100:101] /*v[356:357]*/, v[132:133] neg_lo:[0,0,1] neg_hi:[0,0,1]
	v_pk_fma_f32 v[132:133], v[142:143], v[100:101] /*v[356:357]*/, v[132:133] op_sel_hi:[1,0,1]
	v_mov_b32_e32 v135, v133
	scratch_load_b64 v[132:133], off, off offset:32
	s_set_vgpr_msb 0                        ;  msbs: dst=0 src0=0 src1=0 src2=0
	v_pk_add_f32 v[130:131], v[130:131], v[134:135]
	s_wait_loadcnt 0x0
	s_delay_alu instid0(VALU_DEP_1)
	v_pk_add_f32 v[130:131], v[132:133], v[130:131] neg_lo:[0,1] neg_hi:[0,1]
	scratch_store_b64 off, v[130:131], off offset:32
	s_wait_xcnt 0x0
	v_cmpx_lt_u32_e32 3, v0
	s_cbranch_execz .LBB63_391
; %bb.390:
	scratch_load_b64 v[130:131], off, off offset:24
	v_mov_b64_e32 v[132:133], 0
	scratch_store_b64 off, v[132:133], off offset:24
	s_wait_loadcnt 0x0
	ds_store_b64 v1, v[130:131]
.LBB63_391:
	s_wait_xcnt 0x0
	s_or_b32 exec_lo, exec_lo, s0
	s_wait_storecnt_dscnt 0x0
	s_barrier_signal -1
	s_barrier_wait -1
	ds_load_b128 v[130:133], v7 offset:544
	ds_load_b128 v[134:137], v7 offset:560
	;; [unrolled: 1-line block ×4, first 2 shown]
	s_clause 0x14
	scratch_load_b128 v[146:149], off, off offset:32
	scratch_load_b128 v[150:153], off, off offset:48
	scratch_load_b128 v[154:157], off, off offset:64
	scratch_load_b128 v[158:161], off, off offset:80
	scratch_load_b128 v[166:169], off, off offset:96
	scratch_load_b128 v[174:177], off, off offset:112
	scratch_load_b128 v[182:185], off, off offset:128
	scratch_load_b128 v[190:193], off, off offset:144
	scratch_load_b128 v[198:201], off, off offset:160
	scratch_load_b128 v[206:209], off, off offset:176
	scratch_load_b128 v[214:217], off, off offset:192
	scratch_load_b128 v[222:225], off, off offset:208
	scratch_load_b128 v[230:233], off, off offset:224
	scratch_load_b128 v[238:241], off, off offset:240
	scratch_load_b128 v[246:249], off, off offset:256
	scratch_load_b128 v[254:257], off, off offset:272
	s_set_vgpr_msb 64                       ;  msbs: dst=1 src0=0 src1=0 src2=0
	scratch_load_b128 v[6:9] /*v[262:265]*/, off, off offset:288
	scratch_load_b128 v[14:17] /*v[270:273]*/, off, off offset:304
	;; [unrolled: 1-line block ×4, first 2 shown]
	s_set_vgpr_msb 0                        ;  msbs: dst=0 src0=0 src1=0 src2=0
	ds_load_b128 v[162:165], v7 offset:608
	ds_load_b128 v[170:173], v7 offset:624
	s_set_vgpr_msb 64                       ;  msbs: dst=1 src0=0 src1=0 src2=0
	s_clause 0x1
	scratch_load_b128 v[38:41] /*v[294:297]*/, off, off offset:352
	scratch_load_b128 v[46:49] /*v[302:305]*/, off, off offset:368
	s_set_vgpr_msb 0                        ;  msbs: dst=0 src0=0 src1=0 src2=0
	ds_load_b128 v[178:181], v7 offset:640
	ds_load_b128 v[186:189], v7 offset:656
	s_set_vgpr_msb 64                       ;  msbs: dst=1 src0=0 src1=0 src2=0
	s_clause 0x1
	scratch_load_b128 v[54:57] /*v[310:313]*/, off, off offset:384
	scratch_load_b128 v[62:65] /*v[318:321]*/, off, off offset:400
	;; [unrolled: 7-line block ×3, first 2 shown]
	s_set_vgpr_msb 0                        ;  msbs: dst=0 src0=0 src1=0 src2=0
	ds_load_b128 v[210:213], v7 offset:704
	ds_load_b128 v[218:221], v7 offset:720
	;; [unrolled: 1-line block ×6, first 2 shown]
	s_set_vgpr_msb 64                       ;  msbs: dst=1 src0=0 src1=0 src2=0
	ds_load_b128 v[2:5] /*v[258:261]*/, v7 offset:800
	ds_load_b128 v[10:13] /*v[266:269]*/, v7 offset:816
	;; [unrolled: 1-line block ×10, first 2 shown]
	s_clause 0x3
	scratch_load_b128 v[82:85] /*v[338:341]*/, off, off offset:448
	scratch_load_b128 v[86:89] /*v[342:345]*/, off, off offset:464
	;; [unrolled: 1-line block ×4, first 2 shown]
	s_mov_b32 s0, exec_lo
	s_wait_loadcnt_dscnt 0x1d19
	s_set_vgpr_msb 0                        ;  msbs: dst=0 src0=0 src1=0 src2=0
	v_dual_mul_f32 v9, v130, v147 :: v_dual_mul_f32 v11, v132, v149
	s_delay_alu instid0(VALU_DEP_1) | instskip(NEXT) | instid1(VALU_DEP_1)
	v_dual_fmac_f32 v9, v131, v146 :: v_dual_fmac_f32 v11, v133, v148
	v_add_f32_e32 v9, 0, v9
	s_delay_alu instid0(VALU_DEP_1) | instskip(SKIP_2) | instid1(VALU_DEP_1)
	v_add_f32_e32 v9, v9, v11
	s_wait_loadcnt_dscnt 0x1c18
	v_mul_f32_e32 v11, v134, v151
	v_fmac_f32_e32 v11, v135, v150
	s_delay_alu instid0(VALU_DEP_1)
	v_dual_add_f32 v9, v9, v11 :: v_dual_mul_f32 v11, v136, v153
	s_wait_loadcnt_dscnt 0x406
	s_set_vgpr_msb 0x45                     ;  msbs: dst=1 src0=1 src1=1 src2=0
	v_dual_mul_f32 v101 /*v357*/, v74 /*v330*/, v79 /*v335*/ :: v_dual_mul_f32 v103 /*v359*/, v76 /*v332*/, v81 /*v337*/
	s_set_vgpr_msb 0                        ;  msbs: dst=0 src0=0 src1=0 src2=0
	v_fmac_f32_e32 v11, v137, v152
	s_set_vgpr_msb 0x45                     ;  msbs: dst=1 src0=1 src1=1 src2=0
	s_delay_alu instid0(VALU_DEP_2) | instskip(SKIP_1) | instid1(VALU_DEP_2)
	v_dual_fmac_f32 v101 /*v357*/, v75 /*v331*/, v78 /*v334*/ :: v_dual_fmac_f32 v103 /*v359*/, v77 /*v333*/, v80 /*v336*/
	s_set_vgpr_msb 0                        ;  msbs: dst=0 src0=0 src1=0 src2=0
	v_add_f32_e32 v9, v9, v11
	v_mul_f32_e32 v11, v138, v155
	s_delay_alu instid0(VALU_DEP_1) | instskip(NEXT) | instid1(VALU_DEP_1)
	v_fmac_f32_e32 v11, v139, v154
	v_dual_add_f32 v9, v9, v11 :: v_dual_mul_f32 v11, v140, v157
	s_delay_alu instid0(VALU_DEP_1) | instskip(NEXT) | instid1(VALU_DEP_1)
	v_fmac_f32_e32 v11, v141, v156
	v_add_f32_e32 v9, v9, v11
	v_mul_f32_e32 v11, v142, v159
	s_delay_alu instid0(VALU_DEP_1) | instskip(NEXT) | instid1(VALU_DEP_1)
	v_fmac_f32_e32 v11, v143, v158
	v_dual_add_f32 v9, v9, v11 :: v_dual_mul_f32 v11, v144, v161
	s_delay_alu instid0(VALU_DEP_1) | instskip(NEXT) | instid1(VALU_DEP_1)
	v_fmac_f32_e32 v11, v145, v160
	;; [unrolled: 7-line block ×13, first 2 shown]
	v_add_f32_e32 v9, v9, v11
	v_mul_f32_e32 v11, v250, v255
	s_delay_alu instid0(VALU_DEP_1) | instskip(NEXT) | instid1(VALU_DEP_1)
	v_fmac_f32_e32 v11, v251, v254
	v_add_f32_e32 v9, v9, v11
	s_set_vgpr_msb 4                        ;  msbs: dst=0 src0=0 src1=1 src2=0
	v_mul_f32_e32 v11, v252, v1 /*v257*/
	s_delay_alu instid0(VALU_DEP_1) | instskip(SKIP_1) | instid1(VALU_DEP_1)
	v_fmac_f32_e32 v11, v253, v0 /*v256*/
	s_set_vgpr_msb 0                        ;  msbs: dst=0 src0=0 src1=0 src2=0
	v_add_f32_e32 v9, v9, v11
	s_set_vgpr_msb 5                        ;  msbs: dst=0 src0=1 src1=1 src2=0
	v_mul_f32_e32 v11, v2 /*v258*/, v7 /*v263*/
	s_delay_alu instid0(VALU_DEP_1) | instskip(SKIP_1) | instid1(VALU_DEP_1)
	v_fmac_f32_e32 v11, v3 /*v259*/, v6 /*v262*/
	s_set_vgpr_msb 0                        ;  msbs: dst=0 src0=0 src1=0 src2=0
	v_add_f32_e32 v9, v9, v11
	s_set_vgpr_msb 5                        ;  msbs: dst=0 src0=1 src1=1 src2=0
	v_mul_f32_e32 v11, v4 /*v260*/, v9 /*v265*/
	s_delay_alu instid0(VALU_DEP_1) | instskip(SKIP_1) | instid1(VALU_DEP_1)
	v_fmac_f32_e32 v11, v5 /*v261*/, v8 /*v264*/
	;; [unrolled: 6-line block ×4, first 2 shown]
	s_set_vgpr_msb 0                        ;  msbs: dst=0 src0=0 src1=0 src2=0
	v_add_f32_e32 v9, v9, v11
	s_wait_dscnt 0x5
	s_set_vgpr_msb 5                        ;  msbs: dst=0 src0=1 src1=1 src2=0
	v_mul_f32_e32 v11, v18 /*v274*/, v23 /*v279*/
	s_delay_alu instid0(VALU_DEP_1) | instskip(SKIP_1) | instid1(VALU_DEP_1)
	v_fmac_f32_e32 v11, v19 /*v275*/, v22 /*v278*/
	s_set_vgpr_msb 0                        ;  msbs: dst=0 src0=0 src1=0 src2=0
	v_add_f32_e32 v9, v9, v11
	s_set_vgpr_msb 5                        ;  msbs: dst=0 src0=1 src1=1 src2=0
	v_mul_f32_e32 v11, v20 /*v276*/, v25 /*v281*/
	s_delay_alu instid0(VALU_DEP_1) | instskip(SKIP_1) | instid1(VALU_DEP_1)
	v_fmac_f32_e32 v11, v21 /*v277*/, v24 /*v280*/
	s_set_vgpr_msb 0                        ;  msbs: dst=0 src0=0 src1=0 src2=0
	v_add_f32_e32 v9, v9, v11
	s_wait_dscnt 0x4
	s_set_vgpr_msb 5                        ;  msbs: dst=0 src0=1 src1=1 src2=0
	v_mul_f32_e32 v11, v26 /*v282*/, v31 /*v287*/
	s_delay_alu instid0(VALU_DEP_1) | instskip(SKIP_1) | instid1(VALU_DEP_1)
	v_fmac_f32_e32 v11, v27 /*v283*/, v30 /*v286*/
	s_set_vgpr_msb 0                        ;  msbs: dst=0 src0=0 src1=0 src2=0
	v_add_f32_e32 v9, v9, v11
	s_set_vgpr_msb 5                        ;  msbs: dst=0 src0=1 src1=1 src2=0
	v_mul_f32_e32 v11, v28 /*v284*/, v33 /*v289*/
	s_delay_alu instid0(VALU_DEP_1) | instskip(SKIP_1) | instid1(VALU_DEP_1)
	v_fmac_f32_e32 v11, v29 /*v285*/, v32 /*v288*/
	;; [unrolled: 13-line block ×6, first 2 shown]
	s_set_vgpr_msb 0                        ;  msbs: dst=0 src0=0 src1=0 src2=0
	v_add_f32_e32 v9, v9, v11
	s_set_vgpr_msb 5                        ;  msbs: dst=0 src0=1 src1=1 src2=0
	v_mul_f32_e32 v11, v66 /*v322*/, v71 /*v327*/
	s_delay_alu instid0(VALU_DEP_1) | instskip(SKIP_1) | instid1(VALU_DEP_1)
	v_fmac_f32_e32 v11, v67 /*v323*/, v70 /*v326*/
	s_set_vgpr_msb 0                        ;  msbs: dst=0 src0=0 src1=0 src2=0
	v_add_f32_e32 v9, v9, v11
	s_set_vgpr_msb 5                        ;  msbs: dst=0 src0=1 src1=1 src2=0
	v_mul_f32_e32 v11, v68 /*v324*/, v73 /*v329*/
	s_delay_alu instid0(VALU_DEP_1) | instskip(SKIP_1) | instid1(VALU_DEP_1)
	v_fmac_f32_e32 v11, v69 /*v325*/, v72 /*v328*/
	s_set_vgpr_msb 64                       ;  msbs: dst=1 src0=0 src1=0 src2=0
	v_add_f32_e32 v99 /*v355*/, v9, v11
	s_set_vgpr_msb 0                        ;  msbs: dst=0 src0=0 src1=0 src2=0
	v_dual_mul_f32 v9, v131, v147 :: v_dual_mul_f32 v11, v133, v149
	s_delay_alu instid0(VALU_DEP_1) | instskip(NEXT) | instid1(VALU_DEP_1)
	v_dual_fma_f32 v9, v130, v146, -v9 :: v_dual_fma_f32 v11, v132, v148, -v11
	v_add_f32_e32 v9, 0, v9
	s_delay_alu instid0(VALU_DEP_1) | instskip(SKIP_1) | instid1(VALU_DEP_1)
	v_add_f32_e32 v9, v9, v11
	v_mul_f32_e32 v11, v135, v151
	v_fma_f32 v11, v134, v150, -v11
	s_delay_alu instid0(VALU_DEP_1) | instskip(SKIP_1) | instid1(VALU_DEP_1)
	v_add_f32_e32 v9, v9, v11
	v_mul_f32_e32 v11, v137, v153
	v_fma_f32 v11, v136, v152, -v11
	;; [unrolled: 4-line block ×6, first 2 shown]
	ds_load_b128 v[130:133], v7 offset:960
	ds_load_b128 v[134:137], v7 offset:976
	;; [unrolled: 1-line block ×4, first 2 shown]
	v_add_f32_e32 v9, v9, v11
	v_mul_f32_e32 v11, v163, v167
	s_delay_alu instid0(VALU_DEP_1) | instskip(NEXT) | instid1(VALU_DEP_1)
	v_fma_f32 v11, v162, v166, -v11
	v_add_f32_e32 v9, v9, v11
	v_mul_f32_e32 v11, v165, v169
	s_wait_loadcnt_dscnt 0x303
	s_set_vgpr_msb 4                        ;  msbs: dst=0 src0=0 src1=1 src2=0
	v_pk_mul_f32 v[148:149], v[130:131], v[82:83] /*v[338:339]*/ op_sel:[1,1] op_sel_hi:[0,1]
	s_set_vgpr_msb 0                        ;  msbs: dst=0 src0=0 src1=0 src2=0
	v_fma_f32 v11, v164, v168, -v11
	s_set_vgpr_msb 4                        ;  msbs: dst=0 src0=0 src1=1 src2=0
	s_delay_alu instid0(VALU_DEP_2)
	v_pk_fma_f32 v[150:151], v[130:131], v[82:83] /*v[338:339]*/, v[148:149] neg_lo:[0,0,1] neg_hi:[0,0,1]
	v_pk_fma_f32 v[130:131], v[130:131], v[82:83] /*v[338:339]*/, v[148:149] op_sel_hi:[1,0,1]
	s_set_vgpr_msb 1                        ;  msbs: dst=0 src0=1 src1=0 src2=0
	v_mov_b32_e32 v148, v85 /*v341*/
	s_set_vgpr_msb 0                        ;  msbs: dst=0 src0=0 src1=0 src2=0
	v_add_f32_e32 v9, v9, v11
	v_mul_f32_e32 v11, v171, v175
	s_delay_alu instid0(VALU_DEP_1) | instskip(NEXT) | instid1(VALU_DEP_1)
	v_dual_mov_b32 v151, v131 :: v_dual_fma_f32 v11, v170, v174, -v11
	v_add_f32_e32 v9, v9, v11
	v_mul_f32_e32 v11, v173, v177
	s_delay_alu instid0(VALU_DEP_1) | instskip(NEXT) | instid1(VALU_DEP_1)
	v_fma_f32 v11, v172, v176, -v11
	v_add_f32_e32 v9, v9, v11
	v_mul_f32_e32 v11, v179, v183
	s_delay_alu instid0(VALU_DEP_1) | instskip(NEXT) | instid1(VALU_DEP_1)
	v_fma_f32 v11, v178, v182, -v11
	;; [unrolled: 4-line block ×20, first 2 shown]
	v_add_f32_e32 v9, v9, v11
	s_set_vgpr_msb 4                        ;  msbs: dst=0 src0=0 src1=1 src2=0
	v_mul_f32_e32 v11, v253, v1 /*v257*/
	s_delay_alu instid0(VALU_DEP_1) | instskip(SKIP_1) | instid1(VALU_DEP_1)
	v_fma_f32 v11, v252, v0 /*v256*/, -v11
	s_set_vgpr_msb 0                        ;  msbs: dst=0 src0=0 src1=0 src2=0
	v_add_f32_e32 v9, v9, v11
	s_set_vgpr_msb 5                        ;  msbs: dst=0 src0=1 src1=1 src2=0
	v_mul_f32_e32 v11, v3 /*v259*/, v7 /*v263*/
	s_delay_alu instid0(VALU_DEP_1) | instskip(SKIP_1) | instid1(VALU_DEP_1)
	v_fma_f32 v11, v2 /*v258*/, v6 /*v262*/, -v11
	s_set_vgpr_msb 0                        ;  msbs: dst=0 src0=0 src1=0 src2=0
	v_add_f32_e32 v9, v9, v11
	s_set_vgpr_msb 5                        ;  msbs: dst=0 src0=1 src1=1 src2=0
	v_mul_f32_e32 v11, v5 /*v261*/, v9 /*v265*/
	s_delay_alu instid0(VALU_DEP_1) | instskip(SKIP_1) | instid1(VALU_DEP_1)
	v_fma_f32 v11, v4 /*v260*/, v8 /*v264*/, -v11
	;; [unrolled: 6-line block ×18, first 2 shown]
	s_set_vgpr_msb 64                       ;  msbs: dst=1 src0=0 src1=0 src2=0
	v_add_f32_e32 v98 /*v354*/, v9, v11
	s_set_vgpr_msb 5                        ;  msbs: dst=0 src0=1 src1=1 src2=0
	v_mul_f32_e32 v9, v75 /*v331*/, v79 /*v335*/
	s_set_vgpr_msb 0x45                     ;  msbs: dst=1 src0=1 src1=1 src2=0
	s_delay_alu instid0(VALU_DEP_1) | instskip(SKIP_3) | instid1(VALU_DEP_1)
	v_fma_f32 v100 /*v356*/, v74 /*v330*/, v78 /*v334*/, -v9
	s_set_vgpr_msb 5                        ;  msbs: dst=0 src0=1 src1=1 src2=0
	v_mul_f32_e32 v9, v77 /*v333*/, v81 /*v337*/
	s_set_vgpr_msb 0x45                     ;  msbs: dst=1 src0=1 src1=1 src2=0
	v_fma_f32 v102 /*v358*/, v76 /*v332*/, v80 /*v336*/, -v9
	s_set_vgpr_msb 5                        ;  msbs: dst=0 src0=1 src1=1 src2=0
	v_pk_add_f32 v[146:147], v[98:99] /*v[354:355]*/, v[100:101] /*v[356:357]*/
	s_set_vgpr_msb 4                        ;  msbs: dst=0 src0=0 src1=1 src2=0
	s_delay_alu instid0(VALU_DEP_1) | instskip(SKIP_1) | instid1(VALU_DEP_1)
	v_pk_add_f32 v[146:147], v[146:147], v[102:103] /*v[358:359]*/
	s_set_vgpr_msb 0                        ;  msbs: dst=0 src0=0 src1=0 src2=0
	v_pk_add_f32 v[130:131], v[146:147], v[150:151]
	v_dual_mov_b32 v146, v133 :: v_dual_mov_b32 v147, v132
	s_delay_alu instid0(VALU_DEP_1) | instskip(SKIP_1) | instid1(VALU_DEP_1)
	v_pk_mul_f32 v[146:147], v[146:147], v[148:149] op_sel_hi:[1,0]
	s_set_vgpr_msb 4                        ;  msbs: dst=0 src0=0 src1=1 src2=0
	v_pk_fma_f32 v[148:149], v[132:133], v[84:85] /*v[340:341]*/, v[146:147] neg_lo:[0,0,1] neg_hi:[0,0,1]
	v_pk_fma_f32 v[132:133], v[132:133], v[84:85] /*v[340:341]*/, v[146:147] op_sel_hi:[1,0,1]
	s_delay_alu instid0(VALU_DEP_1) | instskip(SKIP_3) | instid1(VALU_DEP_2)
	v_mov_b32_e32 v149, v133
	s_wait_loadcnt_dscnt 0x202
	v_pk_mul_f32 v[132:133], v[134:135], v[86:87] /*v[342:343]*/ op_sel:[1,1] op_sel_hi:[0,1]
	s_set_vgpr_msb 0                        ;  msbs: dst=0 src0=0 src1=0 src2=0
	v_pk_add_f32 v[130:131], v[130:131], v[148:149]
	s_set_vgpr_msb 4                        ;  msbs: dst=0 src0=0 src1=1 src2=0
	s_delay_alu instid0(VALU_DEP_2)
	v_pk_fma_f32 v[146:147], v[134:135], v[86:87] /*v[342:343]*/, v[132:133] neg_lo:[0,0,1] neg_hi:[0,0,1]
	v_pk_fma_f32 v[132:133], v[134:135], v[86:87] /*v[342:343]*/, v[132:133] op_sel_hi:[1,0,1]
	v_mov_b32_e32 v132, v137
	s_set_vgpr_msb 1                        ;  msbs: dst=0 src0=1 src1=0 src2=0
	v_mov_b32_e32 v134, v89 /*v345*/
	s_set_vgpr_msb 0                        ;  msbs: dst=0 src0=0 src1=0 src2=0
	v_dual_mov_b32 v147, v133 :: v_dual_mov_b32 v133, v136
	s_delay_alu instid0(VALU_DEP_1) | instskip(NEXT) | instid1(VALU_DEP_2)
	v_pk_add_f32 v[130:131], v[130:131], v[146:147]
	v_pk_mul_f32 v[132:133], v[132:133], v[134:135] op_sel_hi:[1,0]
	s_set_vgpr_msb 4                        ;  msbs: dst=0 src0=0 src1=1 src2=0
	s_delay_alu instid0(VALU_DEP_1) | instskip(SKIP_1) | instid1(VALU_DEP_1)
	v_pk_fma_f32 v[134:135], v[136:137], v[88:89] /*v[344:345]*/, v[132:133] neg_lo:[0,0,1] neg_hi:[0,0,1]
	v_pk_fma_f32 v[132:133], v[136:137], v[88:89] /*v[344:345]*/, v[132:133] op_sel_hi:[1,0,1]
	v_mov_b32_e32 v135, v133
	s_wait_loadcnt_dscnt 0x101
	v_pk_mul_f32 v[132:133], v[138:139], v[90:91] /*v[346:347]*/ op_sel:[1,1] op_sel_hi:[0,1]
	s_set_vgpr_msb 0                        ;  msbs: dst=0 src0=0 src1=0 src2=0
	s_delay_alu instid0(VALU_DEP_2) | instskip(SKIP_1) | instid1(VALU_DEP_2)
	v_pk_add_f32 v[130:131], v[130:131], v[134:135]
	s_set_vgpr_msb 4                        ;  msbs: dst=0 src0=0 src1=1 src2=0
	v_pk_fma_f32 v[134:135], v[138:139], v[90:91] /*v[346:347]*/, v[132:133] neg_lo:[0,0,1] neg_hi:[0,0,1]
	v_pk_fma_f32 v[132:133], v[138:139], v[90:91] /*v[346:347]*/, v[132:133] op_sel_hi:[1,0,1]
	s_delay_alu instid0(VALU_DEP_1) | instskip(SKIP_2) | instid1(VALU_DEP_2)
	v_dual_mov_b32 v132, v141 :: v_dual_mov_b32 v135, v133
	v_mov_b32_e32 v133, v140
	s_set_vgpr_msb 0                        ;  msbs: dst=0 src0=0 src1=0 src2=0
	v_pk_add_f32 v[130:131], v[130:131], v[134:135]
	s_set_vgpr_msb 1                        ;  msbs: dst=0 src0=1 src1=0 src2=0
	v_mov_b32_e32 v134, v93 /*v349*/
	s_set_vgpr_msb 0                        ;  msbs: dst=0 src0=0 src1=0 src2=0
	s_delay_alu instid0(VALU_DEP_1) | instskip(SKIP_1) | instid1(VALU_DEP_1)
	v_pk_mul_f32 v[132:133], v[132:133], v[134:135] op_sel_hi:[1,0]
	s_set_vgpr_msb 4                        ;  msbs: dst=0 src0=0 src1=1 src2=0
	v_pk_fma_f32 v[134:135], v[140:141], v[92:93] /*v[348:349]*/, v[132:133] neg_lo:[0,0,1] neg_hi:[0,0,1]
	v_pk_fma_f32 v[132:133], v[140:141], v[92:93] /*v[348:349]*/, v[132:133] op_sel_hi:[1,0,1]
	s_delay_alu instid0(VALU_DEP_1) | instskip(SKIP_3) | instid1(VALU_DEP_2)
	v_mov_b32_e32 v135, v133
	s_wait_loadcnt_dscnt 0x0
	v_pk_mul_f32 v[132:133], v[142:143], v[94:95] /*v[350:351]*/ op_sel:[1,1] op_sel_hi:[0,1]
	s_set_vgpr_msb 0                        ;  msbs: dst=0 src0=0 src1=0 src2=0
	v_pk_add_f32 v[130:131], v[130:131], v[134:135]
	s_set_vgpr_msb 4                        ;  msbs: dst=0 src0=0 src1=1 src2=0
	s_delay_alu instid0(VALU_DEP_2) | instskip(SKIP_1) | instid1(VALU_DEP_1)
	v_pk_fma_f32 v[134:135], v[142:143], v[94:95] /*v[350:351]*/, v[132:133] neg_lo:[0,0,1] neg_hi:[0,0,1]
	v_pk_fma_f32 v[132:133], v[142:143], v[94:95] /*v[350:351]*/, v[132:133] op_sel_hi:[1,0,1]
	v_dual_mov_b32 v132, v145 :: v_dual_mov_b32 v135, v133
	v_mov_b32_e32 v133, v144
	s_set_vgpr_msb 0                        ;  msbs: dst=0 src0=0 src1=0 src2=0
	s_delay_alu instid0(VALU_DEP_2) | instskip(SKIP_3) | instid1(VALU_DEP_1)
	v_pk_add_f32 v[130:131], v[130:131], v[134:135]
	s_set_vgpr_msb 1                        ;  msbs: dst=0 src0=1 src1=0 src2=0
	v_mov_b32_e32 v134, v97 /*v353*/
	s_set_vgpr_msb 0                        ;  msbs: dst=0 src0=0 src1=0 src2=0
	v_pk_mul_f32 v[132:133], v[132:133], v[134:135] op_sel_hi:[1,0]
	s_set_vgpr_msb 4                        ;  msbs: dst=0 src0=0 src1=1 src2=0
	s_delay_alu instid0(VALU_DEP_1) | instskip(SKIP_1) | instid1(VALU_DEP_1)
	v_pk_fma_f32 v[134:135], v[144:145], v[96:97] /*v[352:353]*/, v[132:133] neg_lo:[0,0,1] neg_hi:[0,0,1]
	v_pk_fma_f32 v[132:133], v[144:145], v[96:97] /*v[352:353]*/, v[132:133] op_sel_hi:[1,0,1]
	v_mov_b32_e32 v135, v133
	scratch_load_b64 v[132:133], off, off offset:24
	s_set_vgpr_msb 0                        ;  msbs: dst=0 src0=0 src1=0 src2=0
	v_pk_add_f32 v[130:131], v[130:131], v[134:135]
	s_wait_loadcnt 0x0
	s_delay_alu instid0(VALU_DEP_1)
	v_pk_add_f32 v[130:131], v[132:133], v[130:131] neg_lo:[0,1] neg_hi:[0,1]
	scratch_store_b64 off, v[130:131], off offset:24
	s_wait_xcnt 0x0
	v_cmpx_lt_u32_e32 2, v0
	s_cbranch_execz .LBB63_393
; %bb.392:
	scratch_load_b64 v[130:131], off, off offset:16
	v_mov_b64_e32 v[132:133], 0
	scratch_store_b64 off, v[132:133], off offset:16
	s_wait_loadcnt 0x0
	ds_store_b64 v1, v[130:131]
.LBB63_393:
	s_wait_xcnt 0x0
	s_or_b32 exec_lo, exec_lo, s0
	s_wait_storecnt_dscnt 0x0
	s_barrier_signal -1
	s_barrier_wait -1
	s_clause 0xf
	scratch_load_b128 v[134:137], off, off offset:24
	scratch_load_b128 v[142:145], off, off offset:40
	;; [unrolled: 1-line block ×16, first 2 shown]
	v_mov_b32_e32 v109, 0
	s_set_vgpr_msb 64                       ;  msbs: dst=1 src0=0 src1=0 src2=0
	s_clause 0x3
	scratch_load_b128 v[6:9] /*v[262:265]*/, off, off offset:280
	scratch_load_b128 v[14:17] /*v[270:273]*/, off, off offset:296
	;; [unrolled: 1-line block ×4, first 2 shown]
	s_set_vgpr_msb 0                        ;  msbs: dst=0 src0=0 src1=0 src2=0
	ds_load_2addr_b64 v[130:133], v109 offset0:67 offset1:68
	ds_load_2addr_b64 v[138:141], v109 offset0:69 offset1:70
	s_set_vgpr_msb 64                       ;  msbs: dst=1 src0=0 src1=0 src2=0
	s_clause 0x6
	scratch_load_b128 v[38:41] /*v[294:297]*/, off, off offset:344
	scratch_load_b128 v[46:49] /*v[302:305]*/, off, off offset:360
	;; [unrolled: 1-line block ×7, first 2 shown]
	s_mov_b32 s0, exec_lo
	s_wait_loadcnt_dscnt 0x1a01
	s_set_vgpr_msb 0                        ;  msbs: dst=0 src0=0 src1=0 src2=0
	v_dual_mul_f32 v7, v130, v135 :: v_dual_mul_f32 v9, v132, v137
	ds_load_2addr_b64 v[146:149], v109 offset0:71 offset1:72
	ds_load_2addr_b64 v[154:157], v109 offset0:73 offset1:74
	;; [unrolled: 1-line block ×4, first 2 shown]
	v_dual_fmac_f32 v7, v131, v134 :: v_dual_fmac_f32 v9, v133, v136
	ds_load_2addr_b64 v[178:181], v109 offset0:79 offset1:80
	ds_load_2addr_b64 v[186:189], v109 offset0:81 offset1:82
	;; [unrolled: 1-line block ×4, first 2 shown]
	v_add_f32_e32 v7, 0, v7
	ds_load_2addr_b64 v[210:213], v109 offset0:87 offset1:88
	ds_load_2addr_b64 v[218:221], v109 offset0:89 offset1:90
	;; [unrolled: 1-line block ×4, first 2 shown]
	s_wait_loadcnt_dscnt 0x190c
	v_dual_add_f32 v7, v7, v9 :: v_dual_mul_f32 v9, v138, v143
	ds_load_2addr_b64 v[242:245], v109 offset0:95 offset1:96
	ds_load_2addr_b64 v[250:253], v109 offset0:97 offset1:98
	s_set_vgpr_msb 64                       ;  msbs: dst=1 src0=0 src1=0 src2=0
	ds_load_2addr_b64 v[2:5] /*v[258:261]*/, v109 offset0:99 offset1:100
	ds_load_2addr_b64 v[10:13] /*v[266:269]*/, v109 offset0:101 offset1:102
	s_set_vgpr_msb 0                        ;  msbs: dst=0 src0=0 src1=0 src2=0
	v_fmac_f32_e32 v9, v139, v142
	s_set_vgpr_msb 64                       ;  msbs: dst=1 src0=0 src1=0 src2=0
	ds_load_2addr_b64 v[66:69] /*v[322:325]*/, v109 offset0:115 offset1:116
	ds_load_2addr_b64 v[74:77] /*v[330:333]*/, v109 offset0:117 offset1:118
	ds_load_2addr_b64 v[82:85] /*v[338:341]*/, v109 offset0:119 offset1:120
	ds_load_2addr_b64 v[18:21] /*v[274:277]*/, v109 offset0:103 offset1:104
	ds_load_2addr_b64 v[26:29] /*v[282:285]*/, v109 offset0:105 offset1:106
	s_set_vgpr_msb 0                        ;  msbs: dst=0 src0=0 src1=0 src2=0
	v_add_f32_e32 v7, v7, v9
	v_mul_f32_e32 v9, v140, v145
	s_set_vgpr_msb 64                       ;  msbs: dst=1 src0=0 src1=0 src2=0
	ds_load_2addr_b64 v[34:37] /*v[290:293]*/, v109 offset0:107 offset1:108
	ds_load_2addr_b64 v[42:45] /*v[298:301]*/, v109 offset0:109 offset1:110
	;; [unrolled: 1-line block ×4, first 2 shown]
	s_set_vgpr_msb 0                        ;  msbs: dst=0 src0=0 src1=0 src2=0
	v_fmac_f32_e32 v9, v141, v144
	s_set_vgpr_msb 64                       ;  msbs: dst=1 src0=0 src1=0 src2=0
	s_clause 0x3
	scratch_load_b128 v[90:93] /*v[346:349]*/, off, off offset:456
	scratch_load_b128 v[94:97] /*v[350:353]*/, off, off offset:472
	;; [unrolled: 1-line block ×3, first 2 shown]
	scratch_load_b64 v[108:109] /*v[364:365]*/, off, off offset:504
	s_wait_loadcnt_dscnt 0x1c18
	s_set_vgpr_msb 0                        ;  msbs: dst=0 src0=0 src1=0 src2=0
	v_dual_add_f32 v7, v7, v9 :: v_dual_mul_f32 v9, v146, v151
	s_wait_loadcnt_dscnt 0x406
	s_set_vgpr_msb 0x45                     ;  msbs: dst=1 src0=1 src1=1 src2=0
	v_dual_mul_f32 v105 /*v361*/, v76 /*v332*/, v81 /*v337*/ :: v_dual_mul_f32 v107 /*v363*/, v82 /*v338*/, v87 /*v343*/
	s_set_vgpr_msb 0                        ;  msbs: dst=0 src0=0 src1=0 src2=0
	v_fmac_f32_e32 v9, v147, v150
	s_set_vgpr_msb 0x45                     ;  msbs: dst=1 src0=1 src1=1 src2=0
	s_delay_alu instid0(VALU_DEP_2) | instskip(SKIP_1) | instid1(VALU_DEP_2)
	v_dual_fmac_f32 v105 /*v361*/, v77 /*v333*/, v80 /*v336*/ :: v_dual_fmac_f32 v107 /*v363*/, v83 /*v339*/, v86 /*v342*/
	s_set_vgpr_msb 0                        ;  msbs: dst=0 src0=0 src1=0 src2=0
	v_add_f32_e32 v7, v7, v9
	v_mul_f32_e32 v9, v148, v153
	s_delay_alu instid0(VALU_DEP_1) | instskip(NEXT) | instid1(VALU_DEP_1)
	v_fmac_f32_e32 v9, v149, v152
	v_dual_add_f32 v7, v7, v9 :: v_dual_mul_f32 v9, v154, v159
	s_delay_alu instid0(VALU_DEP_1) | instskip(NEXT) | instid1(VALU_DEP_1)
	v_fmac_f32_e32 v9, v155, v158
	v_add_f32_e32 v7, v7, v9
	v_mul_f32_e32 v9, v156, v161
	s_delay_alu instid0(VALU_DEP_1) | instskip(NEXT) | instid1(VALU_DEP_1)
	v_fmac_f32_e32 v9, v157, v160
	v_dual_add_f32 v7, v7, v9 :: v_dual_mul_f32 v9, v162, v167
	s_delay_alu instid0(VALU_DEP_1) | instskip(NEXT) | instid1(VALU_DEP_1)
	v_fmac_f32_e32 v9, v163, v166
	;; [unrolled: 7-line block ×13, first 2 shown]
	v_add_f32_e32 v7, v7, v9
	s_set_vgpr_msb 4                        ;  msbs: dst=0 src0=0 src1=1 src2=0
	v_mul_f32_e32 v9, v252, v1 /*v257*/
	s_delay_alu instid0(VALU_DEP_1) | instskip(SKIP_1) | instid1(VALU_DEP_1)
	v_fmac_f32_e32 v9, v253, v0 /*v256*/
	s_set_vgpr_msb 0                        ;  msbs: dst=0 src0=0 src1=0 src2=0
	v_add_f32_e32 v7, v7, v9
	s_set_vgpr_msb 5                        ;  msbs: dst=0 src0=1 src1=1 src2=0
	v_mul_f32_e32 v9, v2 /*v258*/, v7 /*v263*/
	s_delay_alu instid0(VALU_DEP_1) | instskip(SKIP_1) | instid1(VALU_DEP_1)
	v_fmac_f32_e32 v9, v3 /*v259*/, v6 /*v262*/
	s_set_vgpr_msb 0                        ;  msbs: dst=0 src0=0 src1=0 src2=0
	v_add_f32_e32 v7, v7, v9
	s_set_vgpr_msb 5                        ;  msbs: dst=0 src0=1 src1=1 src2=0
	v_mul_f32_e32 v9, v4 /*v260*/, v9 /*v265*/
	s_delay_alu instid0(VALU_DEP_1) | instskip(SKIP_1) | instid1(VALU_DEP_1)
	v_fmac_f32_e32 v9, v5 /*v261*/, v8 /*v264*/
	;; [unrolled: 6-line block ×4, first 2 shown]
	s_set_vgpr_msb 0                        ;  msbs: dst=0 src0=0 src1=0 src2=0
	v_add_f32_e32 v7, v7, v9
	s_wait_dscnt 0x5
	s_set_vgpr_msb 5                        ;  msbs: dst=0 src0=1 src1=1 src2=0
	v_mul_f32_e32 v9, v18 /*v274*/, v23 /*v279*/
	s_delay_alu instid0(VALU_DEP_1) | instskip(SKIP_1) | instid1(VALU_DEP_1)
	v_fmac_f32_e32 v9, v19 /*v275*/, v22 /*v278*/
	s_set_vgpr_msb 0                        ;  msbs: dst=0 src0=0 src1=0 src2=0
	v_add_f32_e32 v7, v7, v9
	s_set_vgpr_msb 5                        ;  msbs: dst=0 src0=1 src1=1 src2=0
	v_mul_f32_e32 v9, v20 /*v276*/, v25 /*v281*/
	s_delay_alu instid0(VALU_DEP_1) | instskip(SKIP_1) | instid1(VALU_DEP_1)
	v_fmac_f32_e32 v9, v21 /*v277*/, v24 /*v280*/
	s_set_vgpr_msb 0                        ;  msbs: dst=0 src0=0 src1=0 src2=0
	v_add_f32_e32 v7, v7, v9
	s_wait_dscnt 0x4
	s_set_vgpr_msb 5                        ;  msbs: dst=0 src0=1 src1=1 src2=0
	v_mul_f32_e32 v9, v26 /*v282*/, v31 /*v287*/
	s_delay_alu instid0(VALU_DEP_1) | instskip(SKIP_1) | instid1(VALU_DEP_1)
	v_fmac_f32_e32 v9, v27 /*v283*/, v30 /*v286*/
	s_set_vgpr_msb 0                        ;  msbs: dst=0 src0=0 src1=0 src2=0
	v_add_f32_e32 v7, v7, v9
	s_set_vgpr_msb 5                        ;  msbs: dst=0 src0=1 src1=1 src2=0
	v_mul_f32_e32 v9, v28 /*v284*/, v33 /*v289*/
	s_delay_alu instid0(VALU_DEP_1) | instskip(SKIP_1) | instid1(VALU_DEP_1)
	v_fmac_f32_e32 v9, v29 /*v285*/, v32 /*v288*/
	;; [unrolled: 13-line block ×6, first 2 shown]
	s_set_vgpr_msb 0                        ;  msbs: dst=0 src0=0 src1=0 src2=0
	v_add_f32_e32 v7, v7, v9
	s_set_vgpr_msb 5                        ;  msbs: dst=0 src0=1 src1=1 src2=0
	v_mul_f32_e32 v9, v66 /*v322*/, v71 /*v327*/
	s_delay_alu instid0(VALU_DEP_1) | instskip(SKIP_1) | instid1(VALU_DEP_1)
	v_fmac_f32_e32 v9, v67 /*v323*/, v70 /*v326*/
	s_set_vgpr_msb 0                        ;  msbs: dst=0 src0=0 src1=0 src2=0
	v_add_f32_e32 v7, v7, v9
	s_set_vgpr_msb 5                        ;  msbs: dst=0 src0=1 src1=1 src2=0
	v_mul_f32_e32 v9, v68 /*v324*/, v73 /*v329*/
	s_delay_alu instid0(VALU_DEP_1) | instskip(SKIP_1) | instid1(VALU_DEP_1)
	v_fmac_f32_e32 v9, v69 /*v325*/, v72 /*v328*/
	;; [unrolled: 6-line block ×3, first 2 shown]
	s_set_vgpr_msb 64                       ;  msbs: dst=1 src0=0 src1=0 src2=0
	v_add_f32_e32 v103 /*v359*/, v7, v9
	s_set_vgpr_msb 0                        ;  msbs: dst=0 src0=0 src1=0 src2=0
	v_dual_mul_f32 v7, v131, v135 :: v_dual_mul_f32 v9, v133, v137
	s_delay_alu instid0(VALU_DEP_1) | instskip(NEXT) | instid1(VALU_DEP_1)
	v_dual_fma_f32 v7, v130, v134, -v7 :: v_dual_fma_f32 v9, v132, v136, -v9
	v_add_f32_e32 v7, 0, v7
	s_delay_alu instid0(VALU_DEP_1) | instskip(SKIP_1) | instid1(VALU_DEP_1)
	v_add_f32_e32 v7, v7, v9
	v_mul_f32_e32 v9, v139, v143
	v_fma_f32 v9, v138, v142, -v9
	s_delay_alu instid0(VALU_DEP_1) | instskip(SKIP_1) | instid1(VALU_DEP_1)
	v_add_f32_e32 v7, v7, v9
	v_mul_f32_e32 v9, v141, v145
	v_fma_f32 v9, v140, v144, -v9
	ds_load_2addr_b64 v[130:133], v109 offset0:121 offset1:122
	ds_load_2addr_b64 v[134:137], v109 offset0:123 offset1:124
	;; [unrolled: 1-line block ×3, first 2 shown]
	ds_load_b64 v[142:143], v109 offset:1016
	v_add_f32_e32 v7, v7, v9
	v_mul_f32_e32 v9, v147, v151
	s_set_vgpr_msb 1                        ;  msbs: dst=0 src0=1 src1=0 src2=0
	v_mov_b32_e32 v147, v84 /*v340*/
	s_set_vgpr_msb 0                        ;  msbs: dst=0 src0=0 src1=0 src2=0
	s_delay_alu instid0(VALU_DEP_2) | instskip(SKIP_3) | instid1(VALU_DEP_2)
	v_fma_f32 v9, v146, v150, -v9
	s_set_vgpr_msb 1                        ;  msbs: dst=0 src0=1 src1=0 src2=0
	v_mov_b32_e32 v146, v85 /*v341*/
	s_set_vgpr_msb 0                        ;  msbs: dst=0 src0=0 src1=0 src2=0
	v_add_f32_e32 v7, v7, v9
	v_mul_f32_e32 v9, v149, v153
	s_delay_alu instid0(VALU_DEP_1) | instskip(SKIP_3) | instid1(VALU_DEP_2)
	v_fma_f32 v9, v148, v152, -v9
	s_set_vgpr_msb 1                        ;  msbs: dst=0 src0=1 src1=0 src2=0
	v_mov_b32_e32 v148, v89 /*v345*/
	s_set_vgpr_msb 0                        ;  msbs: dst=0 src0=0 src1=0 src2=0
	v_add_f32_e32 v7, v7, v9
	v_mul_f32_e32 v9, v155, v159
	s_delay_alu instid0(VALU_DEP_3) | instskip(NEXT) | instid1(VALU_DEP_2)
	v_pk_mul_f32 v[146:147], v[146:147], v[148:149] op_sel_hi:[1,0]
	v_fma_f32 v9, v154, v158, -v9
	s_set_vgpr_msb 5                        ;  msbs: dst=0 src0=1 src1=1 src2=0
	s_delay_alu instid0(VALU_DEP_2) | instskip(SKIP_3) | instid1(VALU_DEP_2)
	v_pk_fma_f32 v[148:149], v[84:85] /*v[340:341]*/, v[88:89] /*v[344:345]*/, v[146:147] neg_lo:[0,0,1] neg_hi:[0,0,1]
	v_pk_fma_f32 v[146:147], v[84:85] /*v[340:341]*/, v[88:89] /*v[344:345]*/, v[146:147] op_sel_hi:[1,0,1]
	s_set_vgpr_msb 0                        ;  msbs: dst=0 src0=0 src1=0 src2=0
	v_add_f32_e32 v7, v7, v9
	v_dual_mul_f32 v9, v157, v161 :: v_dual_mov_b32 v149, v147
	s_wait_loadcnt_dscnt 0x303
	s_set_vgpr_msb 4                        ;  msbs: dst=0 src0=0 src1=1 src2=0
	v_pk_mul_f32 v[146:147], v[130:131], v[90:91] /*v[346:347]*/ op_sel:[1,1] op_sel_hi:[0,1]
	s_set_vgpr_msb 0                        ;  msbs: dst=0 src0=0 src1=0 src2=0
	v_fma_f32 v9, v156, v160, -v9
	s_delay_alu instid0(VALU_DEP_1) | instskip(SKIP_1) | instid1(VALU_DEP_1)
	v_add_f32_e32 v7, v7, v9
	v_mul_f32_e32 v9, v163, v167
	v_fma_f32 v9, v162, v166, -v9
	s_delay_alu instid0(VALU_DEP_1) | instskip(SKIP_1) | instid1(VALU_DEP_1)
	v_add_f32_e32 v7, v7, v9
	v_mul_f32_e32 v9, v165, v169
	;; [unrolled: 4-line block ×23, first 2 shown]
	v_fma_f32 v9, v250, v254, -v9
	s_delay_alu instid0(VALU_DEP_1) | instskip(SKIP_2) | instid1(VALU_DEP_1)
	v_add_f32_e32 v7, v7, v9
	s_set_vgpr_msb 4                        ;  msbs: dst=0 src0=0 src1=1 src2=0
	v_mul_f32_e32 v9, v253, v1 /*v257*/
	v_fma_f32 v9, v252, v0 /*v256*/, -v9
	s_set_vgpr_msb 0                        ;  msbs: dst=0 src0=0 src1=0 src2=0
	s_delay_alu instid0(VALU_DEP_1) | instskip(SKIP_2) | instid1(VALU_DEP_1)
	v_add_f32_e32 v7, v7, v9
	s_set_vgpr_msb 5                        ;  msbs: dst=0 src0=1 src1=1 src2=0
	v_mul_f32_e32 v9, v3 /*v259*/, v7 /*v263*/
	v_fma_f32 v9, v2 /*v258*/, v6 /*v262*/, -v9
	s_set_vgpr_msb 0                        ;  msbs: dst=0 src0=0 src1=0 src2=0
	s_delay_alu instid0(VALU_DEP_1) | instskip(SKIP_2) | instid1(VALU_DEP_1)
	v_add_f32_e32 v7, v7, v9
	s_set_vgpr_msb 5                        ;  msbs: dst=0 src0=1 src1=1 src2=0
	v_mul_f32_e32 v9, v5 /*v261*/, v9 /*v265*/
	v_fma_f32 v9, v4 /*v260*/, v8 /*v264*/, -v9
	;; [unrolled: 6-line block ×19, first 2 shown]
	s_set_vgpr_msb 64                       ;  msbs: dst=1 src0=0 src1=0 src2=0
	s_delay_alu instid0(VALU_DEP_1) | instskip(SKIP_3) | instid1(VALU_DEP_1)
	v_add_f32_e32 v102 /*v358*/, v7, v9
	s_set_vgpr_msb 5                        ;  msbs: dst=0 src0=1 src1=1 src2=0
	v_mul_f32_e32 v7, v77 /*v333*/, v81 /*v337*/
	s_set_vgpr_msb 0x45                     ;  msbs: dst=1 src0=1 src1=1 src2=0
	v_fma_f32 v104 /*v360*/, v76 /*v332*/, v80 /*v336*/, -v7
	s_set_vgpr_msb 5                        ;  msbs: dst=0 src0=1 src1=1 src2=0
	v_mul_f32_e32 v7, v83 /*v339*/, v87 /*v343*/
	s_set_vgpr_msb 0x45                     ;  msbs: dst=1 src0=1 src1=1 src2=0
	s_delay_alu instid0(VALU_DEP_1) | instskip(SKIP_3) | instid1(VALU_DEP_1)
	v_fma_f32 v106 /*v362*/, v82 /*v338*/, v86 /*v342*/, -v7
	s_set_vgpr_msb 5                        ;  msbs: dst=0 src0=1 src1=1 src2=0
	v_pk_add_f32 v[144:145], v[102:103] /*v[358:359]*/, v[104:105] /*v[360:361]*/
	s_set_vgpr_msb 4                        ;  msbs: dst=0 src0=0 src1=1 src2=0
	v_pk_add_f32 v[144:145], v[144:145], v[106:107] /*v[362:363]*/
	s_set_vgpr_msb 0                        ;  msbs: dst=0 src0=0 src1=0 src2=0
	s_delay_alu instid0(VALU_DEP_1)
	v_pk_add_f32 v[144:145], v[144:145], v[148:149]
	s_set_vgpr_msb 4                        ;  msbs: dst=0 src0=0 src1=1 src2=0
	v_pk_fma_f32 v[148:149], v[130:131], v[90:91] /*v[346:347]*/, v[146:147] neg_lo:[0,0,1] neg_hi:[0,0,1]
	v_pk_fma_f32 v[130:131], v[130:131], v[90:91] /*v[346:347]*/, v[146:147] op_sel_hi:[1,0,1]
	s_set_vgpr_msb 1                        ;  msbs: dst=0 src0=1 src1=0 src2=0
	v_mov_b32_e32 v146, v93 /*v349*/
	s_set_vgpr_msb 0                        ;  msbs: dst=0 src0=0 src1=0 src2=0
	s_delay_alu instid0(VALU_DEP_2) | instskip(NEXT) | instid1(VALU_DEP_1)
	v_mov_b32_e32 v149, v131
	v_pk_add_f32 v[130:131], v[144:145], v[148:149]
	v_dual_mov_b32 v144, v133 :: v_dual_mov_b32 v145, v132
	s_delay_alu instid0(VALU_DEP_1) | instskip(SKIP_1) | instid1(VALU_DEP_1)
	v_pk_mul_f32 v[144:145], v[144:145], v[146:147] op_sel_hi:[1,0]
	s_set_vgpr_msb 4                        ;  msbs: dst=0 src0=0 src1=1 src2=0
	v_pk_fma_f32 v[146:147], v[132:133], v[92:93] /*v[348:349]*/, v[144:145] neg_lo:[0,0,1] neg_hi:[0,0,1]
	v_pk_fma_f32 v[132:133], v[132:133], v[92:93] /*v[348:349]*/, v[144:145] op_sel_hi:[1,0,1]
	s_delay_alu instid0(VALU_DEP_1) | instskip(SKIP_3) | instid1(VALU_DEP_2)
	v_mov_b32_e32 v147, v133
	s_wait_loadcnt_dscnt 0x202
	v_pk_mul_f32 v[132:133], v[134:135], v[94:95] /*v[350:351]*/ op_sel:[1,1] op_sel_hi:[0,1]
	s_set_vgpr_msb 0                        ;  msbs: dst=0 src0=0 src1=0 src2=0
	v_pk_add_f32 v[130:131], v[130:131], v[146:147]
	s_set_vgpr_msb 4                        ;  msbs: dst=0 src0=0 src1=1 src2=0
	s_delay_alu instid0(VALU_DEP_2)
	v_pk_fma_f32 v[144:145], v[134:135], v[94:95] /*v[350:351]*/, v[132:133] neg_lo:[0,0,1] neg_hi:[0,0,1]
	v_pk_fma_f32 v[132:133], v[134:135], v[94:95] /*v[350:351]*/, v[132:133] op_sel_hi:[1,0,1]
	v_mov_b32_e32 v132, v137
	s_set_vgpr_msb 1                        ;  msbs: dst=0 src0=1 src1=0 src2=0
	v_mov_b32_e32 v134, v97 /*v353*/
	s_set_vgpr_msb 0                        ;  msbs: dst=0 src0=0 src1=0 src2=0
	v_dual_mov_b32 v145, v133 :: v_dual_mov_b32 v133, v136
	s_delay_alu instid0(VALU_DEP_1) | instskip(NEXT) | instid1(VALU_DEP_2)
	v_pk_add_f32 v[130:131], v[130:131], v[144:145]
	v_pk_mul_f32 v[132:133], v[132:133], v[134:135] op_sel_hi:[1,0]
	s_set_vgpr_msb 4                        ;  msbs: dst=0 src0=0 src1=1 src2=0
	s_delay_alu instid0(VALU_DEP_1) | instskip(SKIP_1) | instid1(VALU_DEP_1)
	v_pk_fma_f32 v[134:135], v[136:137], v[96:97] /*v[352:353]*/, v[132:133] neg_lo:[0,0,1] neg_hi:[0,0,1]
	v_pk_fma_f32 v[132:133], v[136:137], v[96:97] /*v[352:353]*/, v[132:133] op_sel_hi:[1,0,1]
	v_mov_b32_e32 v135, v133
	s_wait_loadcnt_dscnt 0x101
	v_pk_mul_f32 v[132:133], v[138:139], v[98:99] /*v[354:355]*/ op_sel:[1,1] op_sel_hi:[0,1]
	s_set_vgpr_msb 0                        ;  msbs: dst=0 src0=0 src1=0 src2=0
	s_delay_alu instid0(VALU_DEP_2) | instskip(SKIP_1) | instid1(VALU_DEP_2)
	v_pk_add_f32 v[130:131], v[130:131], v[134:135]
	s_set_vgpr_msb 4                        ;  msbs: dst=0 src0=0 src1=1 src2=0
	v_pk_fma_f32 v[134:135], v[138:139], v[98:99] /*v[354:355]*/, v[132:133] neg_lo:[0,0,1] neg_hi:[0,0,1]
	v_pk_fma_f32 v[132:133], v[138:139], v[98:99] /*v[354:355]*/, v[132:133] op_sel_hi:[1,0,1]
	s_delay_alu instid0(VALU_DEP_1) | instskip(SKIP_2) | instid1(VALU_DEP_2)
	v_dual_mov_b32 v132, v141 :: v_dual_mov_b32 v135, v133
	v_mov_b32_e32 v133, v140
	s_set_vgpr_msb 0                        ;  msbs: dst=0 src0=0 src1=0 src2=0
	v_pk_add_f32 v[130:131], v[130:131], v[134:135]
	s_set_vgpr_msb 1                        ;  msbs: dst=0 src0=1 src1=0 src2=0
	v_mov_b32_e32 v134, v101 /*v357*/
	s_set_vgpr_msb 0                        ;  msbs: dst=0 src0=0 src1=0 src2=0
	s_delay_alu instid0(VALU_DEP_1) | instskip(SKIP_1) | instid1(VALU_DEP_1)
	v_pk_mul_f32 v[132:133], v[132:133], v[134:135] op_sel_hi:[1,0]
	s_set_vgpr_msb 4                        ;  msbs: dst=0 src0=0 src1=1 src2=0
	v_pk_fma_f32 v[134:135], v[140:141], v[100:101] /*v[356:357]*/, v[132:133] neg_lo:[0,0,1] neg_hi:[0,0,1]
	v_pk_fma_f32 v[132:133], v[140:141], v[100:101] /*v[356:357]*/, v[132:133] op_sel_hi:[1,0,1]
	s_delay_alu instid0(VALU_DEP_1) | instskip(SKIP_3) | instid1(VALU_DEP_2)
	v_mov_b32_e32 v135, v133
	s_wait_loadcnt_dscnt 0x0
	v_pk_mul_f32 v[132:133], v[142:143], v[108:109] /*v[364:365]*/ op_sel:[1,1] op_sel_hi:[0,1]
	s_set_vgpr_msb 0                        ;  msbs: dst=0 src0=0 src1=0 src2=0
	v_pk_add_f32 v[130:131], v[130:131], v[134:135]
	s_set_vgpr_msb 4                        ;  msbs: dst=0 src0=0 src1=1 src2=0
	s_delay_alu instid0(VALU_DEP_2) | instskip(SKIP_1) | instid1(VALU_DEP_1)
	v_pk_fma_f32 v[134:135], v[142:143], v[108:109] /*v[364:365]*/, v[132:133] neg_lo:[0,0,1] neg_hi:[0,0,1]
	v_pk_fma_f32 v[132:133], v[142:143], v[108:109] /*v[364:365]*/, v[132:133] op_sel_hi:[1,0,1]
	v_mov_b32_e32 v135, v133
	scratch_load_b64 v[132:133], off, off offset:16
	s_set_vgpr_msb 0                        ;  msbs: dst=0 src0=0 src1=0 src2=0
	v_pk_add_f32 v[130:131], v[130:131], v[134:135]
	s_wait_loadcnt 0x0
	s_delay_alu instid0(VALU_DEP_1)
	v_pk_add_f32 v[130:131], v[132:133], v[130:131] neg_lo:[0,1] neg_hi:[0,1]
	scratch_store_b64 off, v[130:131], off offset:16
	s_wait_xcnt 0x0
	v_cmpx_lt_u32_e32 1, v0
	s_cbranch_execz .LBB63_395
; %bb.394:
	scratch_load_b64 v[130:131], off, off offset:8
	v_mov_b64_e32 v[132:133], 0
	scratch_store_b64 off, v[132:133], off offset:8
	s_wait_loadcnt 0x0
	ds_store_b64 v1, v[130:131]
.LBB63_395:
	s_wait_xcnt 0x0
	s_or_b32 exec_lo, exec_lo, s0
	s_wait_storecnt_dscnt 0x0
	s_barrier_signal -1
	s_barrier_wait -1
	s_clause 0x1a
	scratch_load_b128 v[130:133], off, off offset:16
	scratch_load_b128 v[134:137], off, off offset:32
	;; [unrolled: 1-line block ×27, first 2 shown]
	ds_load_b128 v[238:241], v109 offset:528
	ds_load_b128 v[242:245], v109 offset:544
	;; [unrolled: 1-line block ×5, first 2 shown]
	s_set_vgpr_msb 64                       ;  msbs: dst=1 src0=0 src1=0 src2=0
	ds_load_b128 v[2:5] /*v[258:261]*/, v109 offset:608
	ds_load_b128 v[6:9] /*v[262:265]*/, v109 offset:624
	;; [unrolled: 1-line block ×20, first 2 shown]
	s_set_vgpr_msb 0                        ;  msbs: dst=0 src0=0 src1=0 src2=0
	v_ashrrev_i32_e32 v107, 31, v106
	s_set_vgpr_msb 64                       ;  msbs: dst=1 src0=0 src1=0 src2=0
	s_clause 0x1
	scratch_load_b128 v[82:85] /*v[338:341]*/, off, off offset:448
	scratch_load_b64 v[122:123] /*v[378:379]*/, off, off offset:8
	ds_load_b128 v[86:89] /*v[342:345]*/, v109 offset:848
	ds_load_b128 v[90:93] /*v[346:349]*/, v109 offset:864
	s_clause 0x2
	scratch_load_b128 v[94:97] /*v[350:353]*/, off, off offset:464
	scratch_load_b128 v[98:101] /*v[354:357]*/, off, off offset:480
	;; [unrolled: 1-line block ×3, first 2 shown]
	ds_load_b128 v[106:109] /*v[362:365]*/, v109 offset:880
	ds_load_b128 v[110:113] /*v[366:369]*/, v109 offset:896
	;; [unrolled: 1-line block ×4, first 2 shown]
	s_set_vgpr_msb 0                        ;  msbs: dst=0 src0=0 src1=0 src2=0
	v_dual_ashrrev_i32 v7, 31, v6 :: v_dual_ashrrev_i32 v9, 31, v8
	v_dual_ashrrev_i32 v11, 31, v10 :: v_dual_ashrrev_i32 v13, 31, v12
	;; [unrolled: 1-line block ×3, first 2 shown]
	s_wait_dscnt 0xf
	s_set_vgpr_msb 0x41                     ;  msbs: dst=1 src0=1 src1=0 src2=0
	v_dual_mov_b32 v124 /*v380*/, v45 /*v301*/ :: v_dual_mov_b32 v125 /*v381*/, v44 /*v300*/
	s_wait_dscnt 0xc
	v_dual_mov_b32 v126 /*v382*/, v57 /*v313*/ :: v_dual_mov_b32 v127 /*v383*/, v56 /*v312*/
	s_wait_dscnt 0xb
	;; [unrolled: 2-line block ×3, first 2 shown]
	v_dual_mov_b32 v130 /*v386*/, v73 /*v329*/ :: v_dual_mov_b32 v131 /*v387*/, v72 /*v328*/
	s_set_vgpr_msb 0                        ;  msbs: dst=0 src0=0 src1=0 src2=0
	v_dual_ashrrev_i32 v19, 31, v18 :: v_dual_ashrrev_i32 v21, 31, v20
	v_dual_ashrrev_i32 v23, 31, v22 :: v_dual_ashrrev_i32 v25, 31, v24
	;; [unrolled: 1-line block ×22, first 2 shown]
	s_mov_b32 s0, exec_lo
	s_wait_loadcnt 0x1f
	v_dual_mul_f32 v109, v238, v131 :: v_dual_mul_f32 v111, v240, v133
	v_dual_mul_f32 v113, v239, v131 :: v_dual_mul_f32 v115, v241, v133
	s_wait_loadcnt 0x1e
	s_delay_alu instid0(VALU_DEP_2) | instskip(NEXT) | instid1(VALU_DEP_3)
	v_dual_mul_f32 v117, v242, v135 :: v_dual_fmac_f32 v109, v239, v130
	v_dual_fmac_f32 v111, v241, v132 :: v_dual_mul_f32 v119, v244, v137
	v_dual_mul_f32 v121, v243, v135 :: v_dual_mul_f32 v123, v245, v137
	s_wait_loadcnt 0x1d
	v_dual_mul_f32 v125, v246, v139 :: v_dual_mul_f32 v127, v248, v141
	v_dual_mul_f32 v129, v247, v139 :: v_dual_mul_f32 v131, v249, v141
	s_wait_loadcnt 0x1c
	v_dual_mul_f32 v133, v250, v143 :: v_dual_mul_f32 v139, v253, v145
	s_wait_loadcnt 0x1b
	v_dual_mul_f32 v141, v254, v147 :: v_dual_mul_f32 v147, v255, v147
	v_dual_fma_f32 v113, v238, v130, -v113 :: v_dual_fma_f32 v115, v240, v132, -v115
	v_dual_add_f32 v109, 0, v109 :: v_dual_fmac_f32 v117, v243, v134
	s_delay_alu instid0(VALU_DEP_2) | instskip(NEXT) | instid1(VALU_DEP_2)
	v_dual_fma_f32 v121, v242, v134, -v121 :: v_dual_add_f32 v113, 0, v113
	v_dual_fmac_f32 v125, v247, v138 :: v_dual_add_f32 v109, v109, v111
	v_dual_fmac_f32 v127, v249, v140 :: v_dual_mul_f32 v135, v252, v145
	v_mul_f32_e32 v137, v251, v143
	s_delay_alu instid0(VALU_DEP_4) | instskip(SKIP_1) | instid1(VALU_DEP_3)
	v_dual_add_f32 v111, v113, v115 :: v_dual_fma_f32 v115, v244, v136, -v123
	v_fmac_f32_e32 v119, v245, v136
	v_dual_add_f32 v109, v109, v117 :: v_dual_fma_f32 v123, v250, v142, -v137
	s_delay_alu instid0(VALU_DEP_3) | instskip(SKIP_1) | instid1(VALU_DEP_3)
	v_dual_add_f32 v111, v111, v121 :: v_dual_fma_f32 v121, v246, v138, -v129
	v_fmac_f32_e32 v135, v253, v144
	v_dual_add_f32 v109, v109, v119 :: v_dual_fma_f32 v119, v248, v140, -v131
	s_delay_alu instid0(VALU_DEP_3)
	v_add_f32_e32 v111, v111, v115
	s_wait_loadcnt 0x1a
	s_set_vgpr_msb 1                        ;  msbs: dst=0 src0=1 src1=0 src2=0
	v_dual_mul_f32 v143, v0 /*v256*/, v149 :: v_dual_mul_f32 v145, v2 /*v258*/, v151
	s_set_vgpr_msb 0                        ;  msbs: dst=0 src0=0 src1=0 src2=0
	v_dual_add_f32 v109, v109, v125 :: v_dual_fmac_f32 v133, v251, v142
	v_add_f32_e32 v111, v111, v121
	s_set_vgpr_msb 1                        ;  msbs: dst=0 src0=1 src1=0 src2=0
	v_dual_mul_f32 v149, v1 /*v257*/, v149 :: v_dual_mul_f32 v151, v3 /*v259*/, v151
	s_set_vgpr_msb 0                        ;  msbs: dst=0 src0=0 src1=0 src2=0
	v_dual_add_f32 v109, v109, v127 :: v_dual_fma_f32 v125, v252, v144, -v139
	v_dual_add_f32 v111, v111, v119 :: v_dual_fma_f32 v127, v254, v146, -v147
	s_set_vgpr_msb 1                        ;  msbs: dst=0 src0=1 src1=0 src2=0
	v_dual_fmac_f32 v143, v1 /*v257*/, v148 :: v_dual_fma_f32 v129, v0 /*v256*/, v148, -v149
	s_set_vgpr_msb 0                        ;  msbs: dst=0 src0=0 src1=0 src2=0
	s_delay_alu instid0(VALU_DEP_2)
	v_dual_add_f32 v109, v109, v133 :: v_dual_add_f32 v111, v111, v123
	v_fmac_f32_e32 v141, v255, v146
	s_wait_loadcnt 0x19
	s_set_vgpr_msb 0x41                     ;  msbs: dst=1 src0=1 src1=0 src2=0
	v_dual_mul_f32 v132 /*v388*/, v4 /*v260*/, v153 :: v_dual_mul_f32 v133 /*v389*/, v6 /*v262*/, v155
	s_set_vgpr_msb 0                        ;  msbs: dst=0 src0=0 src1=0 src2=0
	v_add_f32_e32 v109, v109, v135
	s_set_vgpr_msb 1                        ;  msbs: dst=0 src0=1 src1=0 src2=0
	v_dual_mul_f32 v153, v5 /*v261*/, v153 :: v_dual_mul_f32 v155, v7 /*v263*/, v155
	v_fmac_f32_e32 v145, v3 /*v259*/, v150
	s_wait_loadcnt_dscnt 0xd07
	s_set_vgpr_msb 0x41                     ;  msbs: dst=1 src0=1 src1=0 src2=0
	v_dual_mul_f32 v158 /*v414*/, v76 /*v332*/, v205 :: v_dual_fmac_f32 v132 /*v388*/, v5 /*v261*/, v152
	s_set_vgpr_msb 0                        ;  msbs: dst=0 src0=0 src1=0 src2=0
	v_add_f32_e32 v109, v109, v141
	v_add_f32_e32 v111, v111, v125
	s_set_vgpr_msb 1                        ;  msbs: dst=0 src0=1 src1=0 src2=0
	v_dual_fma_f32 v131, v2 /*v258*/, v150, -v151 :: v_dual_fma_f32 v133, v4 /*v260*/, v152, -v153
	s_set_vgpr_msb 0x41                     ;  msbs: dst=1 src0=1 src1=0 src2=0
	v_dual_mul_f32 v134 /*v390*/, v8 /*v264*/, v157 :: v_dual_mul_f32 v135 /*v391*/, v10 /*v266*/, v159
	s_set_vgpr_msb 0                        ;  msbs: dst=0 src0=0 src1=0 src2=0
	v_add_f32_e32 v109, v109, v143
	v_add_f32_e32 v111, v111, v127
	s_wait_loadcnt_dscnt 0x802
	s_set_vgpr_msb 1                        ;  msbs: dst=0 src0=1 src1=0 src2=0
	v_mul_f32_e32 v127, v112 /*v368*/, v225
	s_set_vgpr_msb 0x41                     ;  msbs: dst=1 src0=1 src1=0 src2=0
	v_dual_fmac_f32 v133 /*v389*/, v7 /*v263*/, v154 :: v_dual_fmac_f32 v134 /*v390*/, v9 /*v265*/, v156
	s_set_vgpr_msb 0                        ;  msbs: dst=0 src0=0 src1=0 src2=0
	v_add_f32_e32 v109, v109, v145
	s_set_vgpr_msb 0x41                     ;  msbs: dst=1 src0=1 src1=0 src2=0
	v_dual_mul_f32 v136 /*v392*/, v12 /*v268*/, v161 :: v_dual_mul_f32 v137 /*v393*/, v14 /*v270*/, v163
	v_dual_fmac_f32 v135 /*v391*/, v11 /*v267*/, v158 :: v_dual_mul_f32 v138 /*v394*/, v16 /*v272*/, v165
	v_mul_f32_e32 v139 /*v395*/, v18 /*v274*/, v167
	s_set_vgpr_msb 4                        ;  msbs: dst=0 src0=0 src1=1 src2=0
	v_add_f32_e32 v109, v109, v132 /*v388*/
	s_set_vgpr_msb 0x41                     ;  msbs: dst=1 src0=1 src1=0 src2=0
	v_dual_fmac_f32 v136 /*v392*/, v13 /*v269*/, v160 :: v_dual_fmac_f32 v137 /*v393*/, v15 /*v271*/, v162
	v_dual_fmac_f32 v138 /*v394*/, v17 /*v273*/, v164 :: v_dual_mul_f32 v140 /*v396*/, v20 /*v276*/, v169
	v_mul_f32_e32 v141 /*v397*/, v22 /*v278*/, v171
	s_set_vgpr_msb 4                        ;  msbs: dst=0 src0=0 src1=1 src2=0
	v_add_f32_e32 v109, v109, v133 /*v389*/
	s_set_vgpr_msb 0x41                     ;  msbs: dst=1 src0=1 src1=0 src2=0
	v_dual_fmac_f32 v139 /*v395*/, v19 /*v275*/, v166 :: v_dual_mul_f32 v142 /*v398*/, v24 /*v280*/, v173
	v_dual_mul_f32 v143 /*v399*/, v26 /*v282*/, v175 :: v_dual_fmac_f32 v140 /*v396*/, v21 /*v277*/, v168
	s_set_vgpr_msb 4                        ;  msbs: dst=0 src0=0 src1=1 src2=0
	v_add_f32_e32 v109, v109, v134 /*v390*/
	s_set_vgpr_msb 0x41                     ;  msbs: dst=1 src0=1 src1=0 src2=0
	v_dual_fmac_f32 v141 /*v397*/, v23 /*v279*/, v170 :: v_dual_fmac_f32 v142 /*v398*/, v25 /*v281*/, v172
	v_dual_mul_f32 v144 /*v400*/, v28 /*v284*/, v177 :: v_dual_mul_f32 v145 /*v401*/, v30 /*v286*/, v179
	s_set_vgpr_msb 4                        ;  msbs: dst=0 src0=0 src1=1 src2=0
	v_add_f32_e32 v109, v109, v135 /*v391*/
	s_set_vgpr_msb 0x41                     ;  msbs: dst=1 src0=1 src1=0 src2=0
	v_dual_fmac_f32 v143 /*v399*/, v27 /*v283*/, v174 :: v_dual_mul_f32 v146 /*v402*/, v32 /*v288*/, v181
	v_dual_mul_f32 v147 /*v403*/, v34 /*v290*/, v183 :: v_dual_fmac_f32 v144 /*v400*/, v29 /*v285*/, v176
	s_set_vgpr_msb 4                        ;  msbs: dst=0 src0=0 src1=1 src2=0
	v_add_f32_e32 v109, v109, v136 /*v392*/
	s_set_vgpr_msb 0x41                     ;  msbs: dst=1 src0=1 src1=0 src2=0
	v_dual_fmac_f32 v145 /*v401*/, v31 /*v287*/, v178 :: v_dual_fmac_f32 v146 /*v402*/, v33 /*v289*/, v180
	v_dual_mul_f32 v148 /*v404*/, v36 /*v292*/, v185 :: v_dual_mul_f32 v149 /*v405*/, v46 /*v302*/, v187
	;; [unrolled: 10-line block ×4, first 2 shown]
	s_set_vgpr_msb 4                        ;  msbs: dst=0 src0=0 src1=1 src2=0
	v_add_f32_e32 v109, v109, v141 /*v397*/
	s_set_vgpr_msb 0x41                     ;  msbs: dst=1 src0=1 src1=0 src2=0
	v_fmac_f32_e32 v155 /*v411*/, v67 /*v323*/, v198
	s_set_vgpr_msb 1                        ;  msbs: dst=0 src0=1 src1=0 src2=0
	v_dual_mul_f32 v173, v25 /*v281*/, v173 :: v_dual_mul_f32 v130, v78 /*v334*/, v207
	s_set_vgpr_msb 0x41                     ;  msbs: dst=1 src0=1 src1=0 src2=0
	v_fmac_f32_e32 v156 /*v412*/, v69 /*v325*/, v200
	s_set_vgpr_msb 4                        ;  msbs: dst=0 src0=0 src1=1 src2=0
	v_add_f32_e32 v109, v109, v142 /*v398*/
	s_set_vgpr_msb 0x41                     ;  msbs: dst=1 src0=1 src1=0 src2=0
	v_dual_fmac_f32 v157 /*v413*/, v75 /*v331*/, v202 :: v_dual_fmac_f32 v158 /*v414*/, v77 /*v333*/, v204
	s_set_vgpr_msb 1                        ;  msbs: dst=0 src0=1 src1=0 src2=0
	v_dual_mul_f32 v132, v80 /*v336*/, v209 :: v_dual_mul_f32 v113, v86 /*v342*/, v211
	s_set_vgpr_msb 4                        ;  msbs: dst=0 src0=0 src1=1 src2=0
	v_add_f32_e32 v109, v109, v143 /*v399*/
	s_set_vgpr_msb 1                        ;  msbs: dst=0 src0=1 src1=0 src2=0
	v_dual_fmac_f32 v130, v79 /*v335*/, v206 :: v_dual_mul_f32 v157, v9 /*v265*/, v157
	v_dual_mul_f32 v159, v11 /*v267*/, v159 :: v_dual_fmac_f32 v132, v81 /*v337*/, v208
	s_set_vgpr_msb 4                        ;  msbs: dst=0 src0=0 src1=1 src2=0
	v_add_f32_e32 v109, v109, v144 /*v400*/
	s_set_vgpr_msb 1                        ;  msbs: dst=0 src0=1 src1=0 src2=0
	v_dual_mul_f32 v117, v88 /*v344*/, v213 :: v_dual_mul_f32 v115, v90 /*v346*/, v215
	v_dual_fmac_f32 v113, v87 /*v343*/, v210 :: v_dual_mul_f32 v121, v92 /*v348*/, v217
	v_mul_f32_e32 v119, v106 /*v362*/, v219
	s_set_vgpr_msb 4                        ;  msbs: dst=0 src0=0 src1=1 src2=0
	v_add_f32_e32 v109, v109, v145 /*v401*/
	s_set_vgpr_msb 1                        ;  msbs: dst=0 src0=1 src1=0 src2=0
	v_dual_mul_f32 v161, v13 /*v269*/, v161 :: v_dual_mul_f32 v163, v15 /*v271*/, v163
	v_dual_fmac_f32 v115, v91 /*v347*/, v214 :: v_dual_fmac_f32 v121, v93 /*v349*/, v216
	s_set_vgpr_msb 4                        ;  msbs: dst=0 src0=0 src1=1 src2=0
	v_add_f32_e32 v109, v109, v146 /*v402*/
	s_set_vgpr_msb 1                        ;  msbs: dst=0 src0=1 src1=0 src2=0
	v_dual_mul_f32 v165, v17 /*v273*/, v165 :: v_dual_mul_f32 v167, v19 /*v275*/, v167
	v_dual_mul_f32 v123, v108 /*v364*/, v221 :: v_dual_mul_f32 v125, v110 /*v366*/, v223
	s_set_vgpr_msb 4                        ;  msbs: dst=0 src0=0 src1=1 src2=0
	v_add_f32_e32 v109, v109, v147 /*v403*/
	s_set_vgpr_msb 1                        ;  msbs: dst=0 src0=1 src1=0 src2=0
	v_dual_fma_f32 v136, v14 /*v270*/, v162, -v163 :: v_dual_fma_f32 v138, v16 /*v272*/, v164, -v165
	v_fmac_f32_e32 v119, v107 /*v363*/, v218
	v_dual_fmac_f32 v123, v109 /*v365*/, v220 :: v_dual_fmac_f32 v125, v111 /*v367*/, v222
	s_set_vgpr_msb 4                        ;  msbs: dst=0 src0=0 src1=1 src2=0
	v_add_f32_e32 v109, v109, v148 /*v404*/
	s_set_vgpr_msb 1                        ;  msbs: dst=0 src0=1 src1=0 src2=0
	v_dual_mul_f32 v169, v21 /*v277*/, v169 :: v_dual_mul_f32 v171, v23 /*v279*/, v171
	s_wait_loadcnt_dscnt 0x600
	v_dual_mul_f32 v140, v118 /*v374*/, v231 :: v_dual_mul_f32 v141, v120 /*v376*/, v233
	s_set_vgpr_msb 4                        ;  msbs: dst=0 src0=0 src1=1 src2=0
	v_add_f32_e32 v109, v109, v149 /*v405*/
	s_set_vgpr_msb 1                        ;  msbs: dst=0 src0=1 src1=0 src2=0
	v_dual_fma_f32 v139, v20 /*v276*/, v168, -v169 :: v_dual_fma_f32 v142, v22 /*v278*/, v170, -v171
	v_fma_f32 v143, v24 /*v280*/, v172, -v173
	v_mul_f32_e32 v137, v116 /*v372*/, v229
	s_set_vgpr_msb 4                        ;  msbs: dst=0 src0=0 src1=1 src2=0
	v_add_f32_e32 v109, v109, v150 /*v406*/
	s_set_vgpr_msb 1                        ;  msbs: dst=0 src0=1 src1=0 src2=0
	v_mul_f32_e32 v134, v27 /*v283*/, v175
	v_dual_fmac_f32 v140, v119 /*v375*/, v230 :: v_dual_fmac_f32 v117, v89 /*v345*/, v212
	v_mul_f32_e32 v135, v29 /*v285*/, v177
	s_set_vgpr_msb 4                        ;  msbs: dst=0 src0=0 src1=1 src2=0
	v_add_f32_e32 v109, v109, v151 /*v407*/
	s_set_vgpr_msb 1                        ;  msbs: dst=0 src0=1 src1=0 src2=0
	v_dual_fmac_f32 v137, v117 /*v373*/, v228 :: v_dual_fma_f32 v134, v26 /*v282*/, v174, -v134
	v_fmac_f32_e32 v127, v113 /*v369*/, v224
	v_fma_f32 v135, v28 /*v284*/, v176, -v135
	s_set_vgpr_msb 4                        ;  msbs: dst=0 src0=0 src1=1 src2=0
	v_add_f32_e32 v109, v109, v152 /*v408*/
	s_delay_alu instid0(VALU_DEP_1) | instskip(NEXT) | instid1(VALU_DEP_1)
	v_add_f32_e32 v109, v109, v153 /*v409*/
	v_add_f32_e32 v109, v109, v154 /*v410*/
	s_delay_alu instid0(VALU_DEP_1) | instskip(NEXT) | instid1(VALU_DEP_1)
	v_add_f32_e32 v109, v109, v155 /*v411*/
	;; [unrolled: 3-line block ×3, first 2 shown]
	v_add_f32_e32 v109, v109, v158 /*v414*/
	s_set_vgpr_msb 0                        ;  msbs: dst=0 src0=0 src1=0 src2=0
	v_add_f32_e32 v111, v111, v129
	s_set_vgpr_msb 1                        ;  msbs: dst=0 src0=1 src1=0 src2=0
	v_mul_f32_e32 v129, v114 /*v370*/, v227
	s_set_vgpr_msb 0                        ;  msbs: dst=0 src0=0 src1=0 src2=0
	s_delay_alu instid0(VALU_DEP_2)
	v_dual_add_f32 v109, v109, v130 :: v_dual_add_f32 v111, v111, v131
	s_set_vgpr_msb 1                        ;  msbs: dst=0 src0=1 src1=0 src2=0
	v_fma_f32 v131, v6 /*v262*/, v154, -v155
	v_dual_fmac_f32 v129, v115 /*v371*/, v226 :: v_dual_mul_f32 v130, v109 /*v365*/, v221
	s_set_vgpr_msb 0                        ;  msbs: dst=0 src0=0 src1=0 src2=0
	v_dual_add_f32 v109, v109, v132 :: v_dual_add_f32 v111, v111, v133
	s_set_vgpr_msb 1                        ;  msbs: dst=0 src0=1 src1=0 src2=0
	v_dual_fma_f32 v133, v8 /*v264*/, v156, -v157 :: v_dual_mul_f32 v132, v111 /*v367*/, v223
	v_fma_f32 v130, v108 /*v364*/, v220, -v130
	s_set_vgpr_msb 0                        ;  msbs: dst=0 src0=0 src1=0 src2=0
	v_dual_add_f32 v109, v109, v113 :: v_dual_add_f32 v111, v111, v131
	s_set_vgpr_msb 1                        ;  msbs: dst=0 src0=1 src1=0 src2=0
	v_fma_f32 v131, v10 /*v266*/, v158, -v159
	v_dual_fma_f32 v132, v110 /*v366*/, v222, -v132 :: v_dual_mul_f32 v113, v113 /*v369*/, v225
	s_set_vgpr_msb 0                        ;  msbs: dst=0 src0=0 src1=0 src2=0
	v_add_f32_e32 v109, v109, v117
	v_add_f32_e32 v111, v111, v133
	s_set_vgpr_msb 1                        ;  msbs: dst=0 src0=1 src1=0 src2=0
	v_dual_fma_f32 v133, v12 /*v268*/, v160, -v161 :: v_dual_mul_f32 v117, v115 /*v371*/, v227
	v_fma_f32 v113, v112 /*v368*/, v224, -v113
	s_set_vgpr_msb 0                        ;  msbs: dst=0 src0=0 src1=0 src2=0
	v_add_f32_e32 v109, v109, v115
	v_add_f32_e32 v111, v111, v131
	s_wait_loadcnt 0x5
	s_set_vgpr_msb 1                        ;  msbs: dst=0 src0=1 src1=0 src2=0
	v_dual_mul_f32 v131, v38 /*v294*/, v235 :: v_dual_mul_f32 v115, v117 /*v373*/, v229
	v_fma_f32 v117, v114 /*v370*/, v226, -v117
	s_set_vgpr_msb 0                        ;  msbs: dst=0 src0=0 src1=0 src2=0
	v_add_f32_e32 v109, v109, v121
	v_add_f32_e32 v111, v111, v133
	s_set_vgpr_msb 1                        ;  msbs: dst=0 src0=1 src1=0 src2=0
	v_dual_mul_f32 v133, v40 /*v296*/, v237 :: v_dual_fmac_f32 v141, v121 /*v377*/, v232
	v_fmac_f32_e32 v131, v39 /*v295*/, v234
	s_set_vgpr_msb 0                        ;  msbs: dst=0 src0=0 src1=0 src2=0
	v_dual_add_f32 v109, v109, v119 :: v_dual_add_f32 v111, v111, v136
	s_set_vgpr_msb 1                        ;  msbs: dst=0 src0=1 src1=0 src2=0
	v_dual_fma_f32 v136, v18 /*v274*/, v166, -v167 :: v_dual_mul_f32 v121, v119 /*v375*/, v231
	v_mul_f32_e32 v119, v121 /*v377*/, v233
	s_set_vgpr_msb 0                        ;  msbs: dst=0 src0=0 src1=0 src2=0
	v_dual_add_f32 v109, v109, v123 :: v_dual_add_f32 v111, v111, v138
	s_set_vgpr_msb 1                        ;  msbs: dst=0 src0=1 src1=0 src2=0
	v_mul_f32_e32 v138, v31 /*v287*/, v179
	v_dual_mul_f32 v123, v39 /*v295*/, v235 :: v_dual_fmac_f32 v133, v41 /*v297*/, v236
	s_set_vgpr_msb 0                        ;  msbs: dst=0 src0=0 src1=0 src2=0
	v_dual_add_f32 v109, v109, v125 :: v_dual_add_f32 v111, v111, v136
	s_set_vgpr_msb 1                        ;  msbs: dst=0 src0=1 src1=0 src2=0
	v_dual_mul_f32 v136, v33 /*v289*/, v181 :: v_dual_fma_f32 v138, v30 /*v286*/, v178, -v138
	v_mul_f32_e32 v125, v41 /*v297*/, v237
	s_set_vgpr_msb 0                        ;  msbs: dst=0 src0=0 src1=0 src2=0
	v_add_f32_e32 v109, v109, v127
	v_add_f32_e32 v111, v111, v139
	s_set_vgpr_msb 1                        ;  msbs: dst=0 src0=1 src1=0 src2=0
	v_dual_mul_f32 v139, v35 /*v291*/, v183 :: v_dual_fma_f32 v136, v32 /*v288*/, v180, -v136
	s_set_vgpr_msb 0                        ;  msbs: dst=0 src0=0 src1=0 src2=0
	v_dual_ashrrev_i32 v127, 31, v126 :: v_dual_add_f32 v109, v109, v129
	v_add_f32_e32 v111, v111, v142
	s_set_vgpr_msb 1                        ;  msbs: dst=0 src0=1 src1=0 src2=0
	v_dual_mul_f32 v142, v37 /*v293*/, v185 :: v_dual_fma_f32 v139, v34 /*v290*/, v182, -v139
	s_set_vgpr_msb 0                        ;  msbs: dst=0 src0=0 src1=0 src2=0
	v_dual_ashrrev_i32 v129, 31, v128 :: v_dual_add_f32 v109, v109, v137
	v_add_f32_e32 v111, v111, v143
	s_set_vgpr_msb 1                        ;  msbs: dst=0 src0=1 src1=0 src2=0
	v_dual_mul_f32 v143, v47 /*v303*/, v187 :: v_dual_fma_f32 v142, v36 /*v292*/, v184, -v142
	s_set_vgpr_msb 0                        ;  msbs: dst=0 src0=0 src1=0 src2=0
	s_delay_alu instid0(VALU_DEP_2) | instskip(SKIP_1) | instid1(VALU_DEP_2)
	v_dual_add_f32 v109, v109, v140 :: v_dual_add_f32 v111, v111, v134
	s_set_vgpr_msb 1                        ;  msbs: dst=0 src0=1 src1=0 src2=0
	v_dual_mul_f32 v134, v49 /*v305*/, v189 :: v_dual_fma_f32 v143, v46 /*v302*/, v186, -v143
	s_wait_loadcnt 0x2
	v_mov_b32_e32 v140, v97 /*v353*/
	s_set_vgpr_msb 0                        ;  msbs: dst=0 src0=0 src1=0 src2=0
	v_add_f32_e32 v111, v111, v135
	s_set_vgpr_msb 1                        ;  msbs: dst=0 src0=1 src1=0 src2=0
	v_dual_mul_f32 v135, v51 /*v307*/, v191 :: v_dual_fma_f32 v134, v48 /*v304*/, v188, -v134
	s_set_vgpr_msb 0                        ;  msbs: dst=0 src0=0 src1=0 src2=0
	s_delay_alu instid0(VALU_DEP_2) | instskip(SKIP_1) | instid1(VALU_DEP_2)
	v_add_f32_e32 v111, v111, v138
	s_set_vgpr_msb 1                        ;  msbs: dst=0 src0=1 src1=0 src2=0
	v_dual_mul_f32 v138, v53 /*v309*/, v193 :: v_dual_fma_f32 v135, v50 /*v306*/, v190, -v135
	s_set_vgpr_msb 0                        ;  msbs: dst=0 src0=0 src1=0 src2=0
	s_delay_alu instid0(VALU_DEP_2) | instskip(SKIP_1) | instid1(VALU_DEP_2)
	v_add_f32_e32 v111, v111, v136
	s_set_vgpr_msb 1                        ;  msbs: dst=0 src0=1 src1=0 src2=0
	v_dual_mul_f32 v136, v63 /*v319*/, v195 :: v_dual_fma_f32 v138, v52 /*v308*/, v192, -v138
	s_set_vgpr_msb 0                        ;  msbs: dst=0 src0=0 src1=0 src2=0
	s_delay_alu instid0(VALU_DEP_2) | instskip(SKIP_1) | instid1(VALU_DEP_2)
	v_add_f32_e32 v111, v111, v139
	s_set_vgpr_msb 1                        ;  msbs: dst=0 src0=1 src1=0 src2=0
	v_dual_mul_f32 v139, v65 /*v321*/, v197 :: v_dual_fma_f32 v136, v62 /*v318*/, v194, -v136
	s_set_vgpr_msb 0                        ;  msbs: dst=0 src0=0 src1=0 src2=0
	s_delay_alu instid0(VALU_DEP_2) | instskip(SKIP_1) | instid1(VALU_DEP_2)
	v_add_f32_e32 v111, v111, v142
	s_set_vgpr_msb 1                        ;  msbs: dst=0 src0=1 src1=0 src2=0
	v_dual_mul_f32 v142, v67 /*v323*/, v199 :: v_dual_fma_f32 v139, v64 /*v320*/, v196, -v139
	s_set_vgpr_msb 0                        ;  msbs: dst=0 src0=0 src1=0 src2=0
	s_delay_alu instid0(VALU_DEP_2) | instskip(SKIP_1) | instid1(VALU_DEP_2)
	v_add_f32_e32 v111, v111, v143
	s_set_vgpr_msb 1                        ;  msbs: dst=0 src0=1 src1=0 src2=0
	v_dual_mul_f32 v143, v69 /*v325*/, v201 :: v_dual_fma_f32 v142, v66 /*v322*/, v198, -v142
	s_set_vgpr_msb 0                        ;  msbs: dst=0 src0=0 src1=0 src2=0
	s_delay_alu instid0(VALU_DEP_2) | instskip(SKIP_1) | instid1(VALU_DEP_2)
	v_add_f32_e32 v111, v111, v134
	s_set_vgpr_msb 1                        ;  msbs: dst=0 src0=1 src1=0 src2=0
	v_dual_mul_f32 v134, v75 /*v331*/, v203 :: v_dual_fma_f32 v143, v68 /*v324*/, v200, -v143
	s_set_vgpr_msb 0                        ;  msbs: dst=0 src0=0 src1=0 src2=0
	s_delay_alu instid0(VALU_DEP_2) | instskip(SKIP_1) | instid1(VALU_DEP_2)
	v_add_f32_e32 v111, v111, v135
	s_set_vgpr_msb 1                        ;  msbs: dst=0 src0=1 src1=0 src2=0
	v_dual_mul_f32 v135, v77 /*v333*/, v205 :: v_dual_fma_f32 v134, v74 /*v330*/, v202, -v134
	s_set_vgpr_msb 0                        ;  msbs: dst=0 src0=0 src1=0 src2=0
	s_delay_alu instid0(VALU_DEP_2) | instskip(SKIP_1) | instid1(VALU_DEP_2)
	v_add_f32_e32 v111, v111, v138
	s_set_vgpr_msb 1                        ;  msbs: dst=0 src0=1 src1=0 src2=0
	v_dual_mul_f32 v138, v79 /*v335*/, v207 :: v_dual_fma_f32 v135, v76 /*v332*/, v204, -v135
	s_set_vgpr_msb 0                        ;  msbs: dst=0 src0=0 src1=0 src2=0
	s_delay_alu instid0(VALU_DEP_2) | instskip(SKIP_1) | instid1(VALU_DEP_2)
	v_add_f32_e32 v111, v111, v136
	s_set_vgpr_msb 1                        ;  msbs: dst=0 src0=1 src1=0 src2=0
	v_dual_mul_f32 v136, v81 /*v337*/, v209 :: v_dual_fma_f32 v138, v78 /*v334*/, v206, -v138
	s_set_vgpr_msb 0                        ;  msbs: dst=0 src0=0 src1=0 src2=0
	s_delay_alu instid0(VALU_DEP_2) | instskip(SKIP_1) | instid1(VALU_DEP_2)
	v_add_f32_e32 v111, v111, v139
	s_set_vgpr_msb 1                        ;  msbs: dst=0 src0=1 src1=0 src2=0
	v_dual_mul_f32 v139, v87 /*v343*/, v211 :: v_dual_fma_f32 v136, v80 /*v336*/, v208, -v136
	s_set_vgpr_msb 0                        ;  msbs: dst=0 src0=0 src1=0 src2=0
	s_delay_alu instid0(VALU_DEP_2) | instskip(SKIP_3) | instid1(VALU_DEP_2)
	v_add_f32_e32 v111, v111, v142
	s_set_vgpr_msb 1                        ;  msbs: dst=0 src0=1 src1=0 src2=0
	v_mul_f32_e32 v142, v89 /*v345*/, v213
	s_set_vgpr_msb 0                        ;  msbs: dst=0 src0=0 src1=0 src2=0
	v_add_f32_e32 v111, v111, v143
	s_set_vgpr_msb 1                        ;  msbs: dst=0 src0=1 src1=0 src2=0
	v_mul_f32_e32 v143, v91 /*v347*/, v215
	s_set_vgpr_msb 0                        ;  msbs: dst=0 src0=0 src1=0 src2=0
	s_delay_alu instid0(VALU_DEP_2) | instskip(SKIP_3) | instid1(VALU_DEP_2)
	v_add_f32_e32 v111, v111, v134
	s_set_vgpr_msb 1                        ;  msbs: dst=0 src0=1 src1=0 src2=0
	v_mul_f32_e32 v134, v93 /*v349*/, v217
	s_set_vgpr_msb 0                        ;  msbs: dst=0 src0=0 src1=0 src2=0
	v_add_f32_e32 v111, v111, v135
	s_set_vgpr_msb 1                        ;  msbs: dst=0 src0=1 src1=0 src2=0
	s_delay_alu instid0(VALU_DEP_2) | instskip(SKIP_1) | instid1(VALU_DEP_2)
	v_dual_mul_f32 v135, v107 /*v363*/, v219 :: v_dual_fma_f32 v134, v92 /*v348*/, v216, -v134
	s_set_vgpr_msb 0                        ;  msbs: dst=0 src0=0 src1=0 src2=0
	v_add_f32_e32 v111, v111, v138
	s_set_vgpr_msb 1                        ;  msbs: dst=0 src0=1 src1=0 src2=0
	v_fma_f32 v138, v86 /*v342*/, v210, -v139
	v_fma_f32 v135, v106 /*v362*/, v218, -v135
	s_set_vgpr_msb 0                        ;  msbs: dst=0 src0=0 src1=0 src2=0
	v_add_f32_e32 v111, v111, v136
	s_set_vgpr_msb 1                        ;  msbs: dst=0 src0=1 src1=0 src2=0
	v_fma_f32 v136, v88 /*v344*/, v212, -v142
	s_set_vgpr_msb 0                        ;  msbs: dst=0 src0=0 src1=0 src2=0
	s_delay_alu instid0(VALU_DEP_2)
	v_add_f32_e32 v111, v111, v138
	s_set_vgpr_msb 1                        ;  msbs: dst=0 src0=1 src1=0 src2=0
	v_fma_f32 v138, v90 /*v346*/, v214, -v143
	s_set_vgpr_msb 0                        ;  msbs: dst=0 src0=0 src1=0 src2=0
	v_dual_add_f32 v143, v109, v141 :: v_dual_ashrrev_i32 v109, 31, v108
	v_add_f32_e32 v111, v111, v136
	s_set_vgpr_msb 1                        ;  msbs: dst=0 src0=1 src1=0 src2=0
	v_mov_b32_e32 v136, v85 /*v341*/
	s_set_vgpr_msb 0                        ;  msbs: dst=0 src0=0 src1=0 src2=0
	s_delay_alu instid0(VALU_DEP_2) | instskip(SKIP_1) | instid1(VALU_DEP_2)
	v_add_f32_e32 v111, v111, v138
	s_set_vgpr_msb 1                        ;  msbs: dst=0 src0=1 src1=0 src2=0
	v_pk_mul_f32 v[136:137], v[124:125] /*v[380:381]*/, v[136:137] op_sel_hi:[1,0]
	s_set_vgpr_msb 5                        ;  msbs: dst=0 src0=1 src1=1 src2=0
	v_pk_mul_f32 v[138:139], v[54:55] /*v[310:311]*/, v[94:95] /*v[350:351]*/ op_sel:[1,1] op_sel_hi:[0,1]
	s_set_vgpr_msb 0                        ;  msbs: dst=0 src0=0 src1=0 src2=0
	v_add_f32_e32 v111, v111, v134
	s_delay_alu instid0(VALU_DEP_1) | instskip(SKIP_3) | instid1(VALU_DEP_2)
	v_add_f32_e32 v111, v111, v135
	s_set_vgpr_msb 5                        ;  msbs: dst=0 src0=1 src1=1 src2=0
	v_pk_mul_f32 v[134:135], v[42:43] /*v[298:299]*/, v[82:83] /*v[338:339]*/ op_sel:[1,1] op_sel_hi:[0,1]
	s_set_vgpr_msb 0                        ;  msbs: dst=0 src0=0 src1=0 src2=0
	v_add_f32_e32 v111, v111, v130
	s_set_vgpr_msb 1                        ;  msbs: dst=0 src0=1 src1=0 src2=0
	v_fma_f32 v130, v38 /*v294*/, v234, -v123
	s_set_vgpr_msb 5                        ;  msbs: dst=0 src0=1 src1=1 src2=0
	v_pk_fma_f32 v[144:145], v[42:43] /*v[298:299]*/, v[82:83] /*v[338:339]*/, v[134:135] op_sel_hi:[1,0,1]
	v_pk_fma_f32 v[134:135], v[42:43] /*v[298:299]*/, v[82:83] /*v[338:339]*/, v[134:135] neg_lo:[0,0,1] neg_hi:[0,0,1]
	s_set_vgpr_msb 1                        ;  msbs: dst=0 src0=1 src1=0 src2=0
	v_pk_mul_f32 v[140:141], v[126:127] /*v[382:383]*/, v[140:141] op_sel_hi:[1,0]
	s_set_vgpr_msb 0                        ;  msbs: dst=0 src0=0 src1=0 src2=0
	v_add_f32_e32 v111, v111, v132
	s_set_vgpr_msb 1                        ;  msbs: dst=0 src0=1 src1=0 src2=0
	v_fma_f32 v132, v40 /*v296*/, v236, -v125
	s_set_vgpr_msb 0                        ;  msbs: dst=0 src0=0 src1=0 src2=0
	v_mov_b32_e32 v135, v145
	s_set_vgpr_msb 5                        ;  msbs: dst=0 src0=1 src1=1 src2=0
	v_pk_fma_f32 v[144:145], v[44:45] /*v[300:301]*/, v[84:85] /*v[340:341]*/, v[136:137] op_sel_hi:[1,0,1]
	v_pk_fma_f32 v[136:137], v[44:45] /*v[300:301]*/, v[84:85] /*v[340:341]*/, v[136:137] neg_lo:[0,0,1] neg_hi:[0,0,1]
	s_set_vgpr_msb 0                        ;  msbs: dst=0 src0=0 src1=0 src2=0
	v_add_f32_e32 v111, v111, v113
	s_set_vgpr_msb 1                        ;  msbs: dst=0 src0=1 src1=0 src2=0
	v_dual_fma_f32 v113, v116 /*v372*/, v228, -v115 :: v_dual_fma_f32 v115, v118 /*v374*/, v230, -v121
	s_set_vgpr_msb 0                        ;  msbs: dst=0 src0=0 src1=0 src2=0
	v_dual_mov_b32 v137, v145 :: v_dual_ashrrev_i32 v121, 31, v120
	v_dual_add_f32 v111, v111, v117 :: v_dual_ashrrev_i32 v117, 31, v116
	v_dual_ashrrev_i32 v123, 31, v122 :: v_dual_ashrrev_i32 v125, 31, v124
	s_delay_alu instid0(VALU_DEP_2) | instskip(SKIP_3) | instid1(VALU_DEP_2)
	v_add_f32_e32 v111, v111, v113
	s_set_vgpr_msb 1                        ;  msbs: dst=0 src0=1 src1=0 src2=0
	v_dual_fma_f32 v113, v120 /*v376*/, v232, -v119 :: v_dual_ashrrev_i32 v119, 31, v118
	s_set_vgpr_msb 0                        ;  msbs: dst=0 src0=0 src1=0 src2=0
	v_dual_add_f32 v111, v111, v115 :: v_dual_ashrrev_i32 v115, 31, v114
	s_delay_alu instid0(VALU_DEP_1) | instskip(SKIP_1) | instid1(VALU_DEP_2)
	v_dual_add_f32 v142, v111, v113 :: v_dual_ashrrev_i32 v111, 31, v110
	v_ashrrev_i32_e32 v113, 31, v112
	v_pk_add_f32 v[130:131], v[142:143], v[130:131]
	s_wait_loadcnt 0x1
	s_set_vgpr_msb 5                        ;  msbs: dst=0 src0=1 src1=1 src2=0
	v_pk_mul_f32 v[142:143], v[58:59] /*v[314:315]*/, v[98:99] /*v[354:355]*/ op_sel:[1,1] op_sel_hi:[0,1]
	s_set_vgpr_msb 0                        ;  msbs: dst=0 src0=0 src1=0 src2=0
	v_pk_add_f32 v[130:131], v[130:131], v[132:133]
	s_set_vgpr_msb 5                        ;  msbs: dst=0 src0=1 src1=1 src2=0
	v_pk_fma_f32 v[132:133], v[54:55] /*v[310:311]*/, v[94:95] /*v[350:351]*/, v[138:139] op_sel_hi:[1,0,1]
	v_mov_b32_e32 v132, v101 /*v357*/
	s_set_vgpr_msb 0                        ;  msbs: dst=0 src0=0 src1=0 src2=0
	v_pk_add_f32 v[130:131], v[130:131], v[134:135]
	s_set_vgpr_msb 5                        ;  msbs: dst=0 src0=1 src1=1 src2=0
	v_pk_fma_f32 v[134:135], v[54:55] /*v[310:311]*/, v[94:95] /*v[350:351]*/, v[138:139] neg_lo:[0,0,1] neg_hi:[0,0,1]
	s_set_vgpr_msb 0                        ;  msbs: dst=0 src0=0 src1=0 src2=0
	v_mov_b32_e32 v135, v133
	s_set_vgpr_msb 5                        ;  msbs: dst=0 src0=1 src1=1 src2=0
	v_pk_fma_f32 v[138:139], v[56:57] /*v[312:313]*/, v[96:97] /*v[352:353]*/, v[140:141] op_sel_hi:[1,0,1]
	s_set_vgpr_msb 1                        ;  msbs: dst=0 src0=1 src1=0 src2=0
	v_pk_mul_f32 v[132:133], v[128:129] /*v[384:385]*/, v[132:133] op_sel_hi:[1,0]
	s_set_vgpr_msb 0                        ;  msbs: dst=0 src0=0 src1=0 src2=0
	v_pk_add_f32 v[130:131], v[130:131], v[136:137]
	s_set_vgpr_msb 5                        ;  msbs: dst=0 src0=1 src1=1 src2=0
	v_pk_fma_f32 v[136:137], v[58:59] /*v[314:315]*/, v[98:99] /*v[354:355]*/, v[142:143] op_sel_hi:[1,0,1]
	v_pk_fma_f32 v[140:141], v[56:57] /*v[312:313]*/, v[96:97] /*v[352:353]*/, v[140:141] neg_lo:[0,0,1] neg_hi:[0,0,1]
	s_set_vgpr_msb 0                        ;  msbs: dst=0 src0=0 src1=0 src2=0
	v_mov_b32_e32 v141, v139
	s_set_vgpr_msb 5                        ;  msbs: dst=0 src0=1 src1=1 src2=0
	v_pk_fma_f32 v[138:139], v[58:59] /*v[314:315]*/, v[98:99] /*v[354:355]*/, v[142:143] neg_lo:[0,0,1] neg_hi:[0,0,1]
	s_set_vgpr_msb 0                        ;  msbs: dst=0 src0=0 src1=0 src2=0
	v_pk_add_f32 v[130:131], v[130:131], v[134:135]
	v_mov_b32_e32 v139, v137
	s_set_vgpr_msb 5                        ;  msbs: dst=0 src0=1 src1=1 src2=0
	v_pk_fma_f32 v[136:137], v[60:61] /*v[316:317]*/, v[100:101] /*v[356:357]*/, v[132:133] op_sel_hi:[1,0,1]
	s_wait_loadcnt 0x0
	v_pk_mul_f32 v[134:135], v[70:71] /*v[326:327]*/, v[102:103] /*v[358:359]*/ op_sel:[1,1] op_sel_hi:[0,1]
	v_mov_b32_e32 v136, v105 /*v361*/
	s_set_vgpr_msb 0                        ;  msbs: dst=0 src0=0 src1=0 src2=0
	v_pk_add_f32 v[130:131], v[130:131], v[140:141]
	s_set_vgpr_msb 5                        ;  msbs: dst=0 src0=1 src1=1 src2=0
	v_pk_fma_f32 v[132:133], v[60:61] /*v[316:317]*/, v[100:101] /*v[356:357]*/, v[132:133] neg_lo:[0,0,1] neg_hi:[0,0,1]
	s_set_vgpr_msb 0                        ;  msbs: dst=0 src0=0 src1=0 src2=0
	v_mov_b32_e32 v133, v137
	s_set_vgpr_msb 5                        ;  msbs: dst=0 src0=1 src1=1 src2=0
	v_pk_fma_f32 v[140:141], v[70:71] /*v[326:327]*/, v[102:103] /*v[358:359]*/, v[134:135] op_sel_hi:[1,0,1]
	s_set_vgpr_msb 1                        ;  msbs: dst=0 src0=1 src1=0 src2=0
	v_pk_mul_f32 v[136:137], v[130:131] /*v[386:387]*/, v[136:137] op_sel_hi:[1,0]
	s_set_vgpr_msb 0                        ;  msbs: dst=0 src0=0 src1=0 src2=0
	v_pk_add_f32 v[130:131], v[130:131], v[138:139]
	s_set_vgpr_msb 5                        ;  msbs: dst=0 src0=1 src1=1 src2=0
	v_pk_fma_f32 v[134:135], v[70:71] /*v[326:327]*/, v[102:103] /*v[358:359]*/, v[134:135] neg_lo:[0,0,1] neg_hi:[0,0,1]
	s_set_vgpr_msb 0                        ;  msbs: dst=0 src0=0 src1=0 src2=0
	v_mov_b32_e32 v135, v141
	v_pk_add_f32 v[130:131], v[130:131], v[132:133]
	s_set_vgpr_msb 5                        ;  msbs: dst=0 src0=1 src1=1 src2=0
	v_pk_fma_f32 v[132:133], v[72:73] /*v[328:329]*/, v[104:105] /*v[360:361]*/, v[136:137] op_sel_hi:[1,0,1]
	v_pk_fma_f32 v[136:137], v[72:73] /*v[328:329]*/, v[104:105] /*v[360:361]*/, v[136:137] neg_lo:[0,0,1] neg_hi:[0,0,1]
	s_set_vgpr_msb 0                        ;  msbs: dst=0 src0=0 src1=0 src2=0
	v_pk_add_f32 v[130:131], v[130:131], v[134:135]
	s_delay_alu instid0(VALU_DEP_3) | instskip(NEXT) | instid1(VALU_DEP_1)
	v_mov_b32_e32 v137, v133
	v_pk_add_f32 v[130:131], v[130:131], v[136:137]
	s_set_vgpr_msb 1                        ;  msbs: dst=0 src0=1 src1=0 src2=0
	s_delay_alu instid0(VALU_DEP_1)
	v_pk_add_f32 v[130:131], v[122:123] /*v[378:379]*/, v[130:131] neg_lo:[0,1] neg_hi:[0,1]
	scratch_store_b64 off, v[130:131], off offset:8
	s_wait_xcnt 0x0
	v_cmpx_ne_u32_e32 0, v0
	s_set_vgpr_msb 0                        ;  msbs: dst=0 src0=0 src1=0 src2=0
	s_cbranch_execz .LBB63_397
; %bb.396:
	scratch_load_b64 v[130:131], off, off
	v_mov_b64_e32 v[132:133], 0
	scratch_store_b64 off, v[132:133], off
	s_wait_loadcnt 0x0
	ds_store_b64 v1, v[130:131]
.LBB63_397:
	s_wait_xcnt 0x0
	s_or_b32 exec_lo, exec_lo, s0
	s_wait_storecnt_dscnt 0x0
	s_barrier_signal -1
	s_barrier_wait -1
	s_clause 0x1b
	scratch_load_b128 v[132:135], off, off offset:8
	scratch_load_b128 v[136:139], off, off offset:24
	;; [unrolled: 1-line block ×28, first 2 shown]
	v_mov_b32_e32 v130, 0
	s_clause 0x5
	scratch_load_b128 v[244:247], off, off offset:456
	scratch_load_b128 v[248:251], off, off offset:472
	;; [unrolled: 1-line block ×3, first 2 shown]
	scratch_load_b64 v[0:1], off, off offset:504
	s_set_vgpr_msb 64                       ;  msbs: dst=1 src0=0 src1=0 src2=0
	scratch_load_b64 v[124:125] /*v[380:381]*/, off, off
	ds_load_2addr_b64 v[0:3] /*v[256:259]*/, v130 offset0:65 offset1:66
	ds_load_2addr_b64 v[4:7] /*v[260:263]*/, v130 offset0:67 offset1:68
	;; [unrolled: 1-line block ×31, first 2 shown]
	ds_load_b64 v[126:127] /*v[382:383]*/, v130 offset:1016
	s_wait_dscnt 0x14
	s_set_vgpr_msb 0x41                     ;  msbs: dst=1 src0=1 src1=0 src2=0
	v_dual_mov_b32 v128 /*v384*/, v47 /*v303*/ :: v_dual_mov_b32 v129 /*v385*/, v46 /*v302*/
	s_wait_dscnt 0x11
	v_dual_mov_b32 v130 /*v386*/, v59 /*v315*/ :: v_dual_mov_b32 v131 /*v387*/, v58 /*v314*/
	s_wait_dscnt 0x10
	;; [unrolled: 2-line block ×3, first 2 shown]
	v_dual_mov_b32 v134 /*v390*/, v75 /*v331*/ :: v_dual_mov_b32 v135 /*v391*/, v74 /*v330*/
	s_and_b32 vcc_lo, exec_lo, s18
	s_wait_loadcnt 0x20
	s_set_vgpr_msb 1                        ;  msbs: dst=0 src0=1 src1=0 src2=0
	v_dual_mul_f32 v131, v0 /*v256*/, v133 :: v_dual_mul_f32 v133, v1 /*v257*/, v133
	s_wait_loadcnt 0x1f
	s_set_vgpr_msb 0x41                     ;  msbs: dst=1 src0=1 src1=0 src2=0
	v_dual_mul_f32 v136 /*v392*/, v2 /*v258*/, v135 :: v_dual_mul_f32 v138 /*v394*/, v4 /*v260*/, v137
	s_wait_loadcnt 0x1d
	v_dual_mul_f32 v142 /*v398*/, v10 /*v266*/, v143 :: v_dual_mul_f32 v143 /*v399*/, v12 /*v268*/, v145
	s_set_vgpr_msb 1                        ;  msbs: dst=0 src0=1 src1=0 src2=0
	v_dual_mul_f32 v135, v3 /*v259*/, v135 :: v_dual_mul_f32 v145, v13 /*v269*/, v145
	v_dual_fmac_f32 v131, v1 /*v257*/, v132 :: v_dual_fma_f32 v132, v0 /*v256*/, v132, -v133
	v_dual_mul_f32 v137, v5 /*v261*/, v137 :: v_dual_mul_f32 v133, v15 /*v271*/, v147
	s_set_vgpr_msb 0x41                     ;  msbs: dst=1 src0=1 src1=0 src2=0
	v_dual_fmac_f32 v136 /*v392*/, v3 /*v259*/, v134 :: v_dual_fmac_f32 v138 /*v394*/, v5 /*v261*/, v136
	s_set_vgpr_msb 1                        ;  msbs: dst=0 src0=1 src1=0 src2=0
	v_dual_fma_f32 v134, v2 /*v258*/, v134, -v135 :: v_dual_add_f32 v131, 0, v131
	s_wait_loadcnt 0x1c
	v_dual_add_f32 v132, 0, v132 :: v_dual_mul_f32 v135, v17 /*v273*/, v149
	s_set_vgpr_msb 0x41                     ;  msbs: dst=1 src0=1 src1=0 src2=0
	v_dual_mul_f32 v140 /*v396*/, v6 /*v262*/, v139 :: v_dual_mul_f32 v141 /*v397*/, v8 /*v264*/, v141
	s_set_vgpr_msb 1                        ;  msbs: dst=0 src0=1 src1=0 src2=0
	v_dual_mul_f32 v139, v7 /*v263*/, v139 :: v_dual_fma_f32 v136, v4 /*v260*/, v136, -v137
	s_set_vgpr_msb 0                        ;  msbs: dst=0 src0=0 src1=0 src2=0
	v_add_f32_e32 v132, v132, v134
	s_set_vgpr_msb 1                        ;  msbs: dst=0 src0=1 src1=0 src2=0
	v_dual_mul_f32 v141, v9 /*v265*/, v141 :: v_dual_mul_f32 v143, v11 /*v267*/, v143
	v_dual_mul_f32 v134, v19 /*v275*/, v151 :: v_dual_fma_f32 v137, v6 /*v262*/, v138, -v139
	s_set_vgpr_msb 0                        ;  msbs: dst=0 src0=0 src1=0 src2=0
	v_add_f32_e32 v132, v132, v136
	s_set_vgpr_msb 0x41                     ;  msbs: dst=1 src0=1 src1=0 src2=0
	v_dual_fmac_f32 v140 /*v396*/, v7 /*v263*/, v138 :: v_dual_fmac_f32 v141 /*v397*/, v9 /*v265*/, v140
	s_wait_loadcnt 0x1b
	s_set_vgpr_msb 1                        ;  msbs: dst=0 src0=1 src1=0 src2=0
	v_dual_mul_f32 v136, v21 /*v277*/, v153 :: v_dual_fma_f32 v138, v8 /*v264*/, v140, -v141
	s_set_vgpr_msb 0                        ;  msbs: dst=0 src0=0 src1=0 src2=0
	v_add_f32_e32 v132, v132, v137
	s_set_vgpr_msb 1                        ;  msbs: dst=0 src0=1 src1=0 src2=0
	v_dual_mul_f32 v137, v23 /*v279*/, v155 :: v_dual_fma_f32 v139, v10 /*v266*/, v142, -v143
	s_wait_loadcnt 0x6
	v_dual_fma_f32 v140, v12 /*v268*/, v144, -v145 :: v_dual_mul_f32 v141, v41 /*v297*/, v237
	s_set_vgpr_msb 0                        ;  msbs: dst=0 src0=0 src1=0 src2=0
	v_add_f32_e32 v132, v132, v138
	s_set_vgpr_msb 1                        ;  msbs: dst=0 src0=1 src1=0 src2=0
	v_mul_f32_e32 v138, v25 /*v281*/, v157
	s_set_vgpr_msb 0x41                     ;  msbs: dst=1 src0=1 src1=0 src2=0
	v_dual_fmac_f32 v142 /*v398*/, v11 /*v267*/, v142 :: v_dual_fmac_f32 v143 /*v399*/, v13 /*v269*/, v144
	s_set_vgpr_msb 1                        ;  msbs: dst=0 src0=1 src1=0 src2=0
	v_fma_f32 v133, v14 /*v270*/, v146, -v133
	s_set_vgpr_msb 0                        ;  msbs: dst=0 src0=0 src1=0 src2=0
	v_add_f32_e32 v132, v132, v139
	s_set_vgpr_msb 1                        ;  msbs: dst=0 src0=1 src1=0 src2=0
	v_dual_mul_f32 v139, v27 /*v283*/, v159 :: v_dual_fma_f32 v142, v40 /*v296*/, v236, -v141
	v_dual_fma_f32 v135, v16 /*v272*/, v148, -v135 :: v_dual_fma_f32 v134, v18 /*v274*/, v150, -v134
	s_set_vgpr_msb 0                        ;  msbs: dst=0 src0=0 src1=0 src2=0
	v_add_f32_e32 v132, v132, v140
	s_set_vgpr_msb 1                        ;  msbs: dst=0 src0=1 src1=0 src2=0
	v_dual_mul_f32 v140, v29 /*v285*/, v161 :: v_dual_fma_f32 v136, v20 /*v276*/, v152, -v136
	v_dual_fma_f32 v137, v22 /*v278*/, v154, -v137 :: v_dual_fma_f32 v138, v24 /*v280*/, v156, -v138
	s_set_vgpr_msb 0                        ;  msbs: dst=0 src0=0 src1=0 src2=0
	v_add_f32_e32 v132, v132, v133
	s_set_vgpr_msb 1                        ;  msbs: dst=0 src0=1 src1=0 src2=0
	v_dual_mul_f32 v133, v31 /*v287*/, v163 :: v_dual_fma_f32 v139, v26 /*v282*/, v158, -v139
	v_fma_f32 v140, v28 /*v284*/, v160, -v140
	s_set_vgpr_msb 0x41                     ;  msbs: dst=1 src0=1 src1=0 src2=0
	v_dual_mul_f32 v144 /*v400*/, v14 /*v270*/, v147 :: v_dual_mul_f32 v145 /*v401*/, v16 /*v272*/, v149
	s_set_vgpr_msb 0                        ;  msbs: dst=0 src0=0 src1=0 src2=0
	v_add_f32_e32 v132, v132, v135
	s_set_vgpr_msb 1                        ;  msbs: dst=0 src0=1 src1=0 src2=0
	v_dual_mul_f32 v135, v33 /*v289*/, v165 :: v_dual_fma_f32 v133, v30 /*v286*/, v162, -v133
	s_set_vgpr_msb 0x41                     ;  msbs: dst=1 src0=1 src1=0 src2=0
	v_dual_fmac_f32 v144 /*v400*/, v15 /*v271*/, v146 :: v_dual_fmac_f32 v145 /*v401*/, v17 /*v273*/, v148
	s_set_vgpr_msb 0                        ;  msbs: dst=0 src0=0 src1=0 src2=0
	v_add_f32_e32 v132, v132, v134
	s_set_vgpr_msb 1                        ;  msbs: dst=0 src0=1 src1=0 src2=0
	v_dual_mul_f32 v134, v35 /*v291*/, v167 :: v_dual_fma_f32 v135, v32 /*v288*/, v164, -v135
	s_set_vgpr_msb 0x41                     ;  msbs: dst=1 src0=1 src1=0 src2=0
	v_dual_mul_f32 v146 /*v402*/, v18 /*v274*/, v151 :: v_dual_mul_f32 v147 /*v403*/, v20 /*v276*/, v153
	s_set_vgpr_msb 0                        ;  msbs: dst=0 src0=0 src1=0 src2=0
	v_add_f32_e32 v132, v132, v136
	s_set_vgpr_msb 1                        ;  msbs: dst=0 src0=1 src1=0 src2=0
	v_dual_mul_f32 v136, v37 /*v293*/, v169 :: v_dual_fma_f32 v134, v34 /*v290*/, v166, -v134
	s_set_vgpr_msb 0x41                     ;  msbs: dst=1 src0=1 src1=0 src2=0
	v_dual_fmac_f32 v146 /*v402*/, v19 /*v275*/, v150 :: v_dual_fmac_f32 v147 /*v403*/, v21 /*v277*/, v152
	s_set_vgpr_msb 0                        ;  msbs: dst=0 src0=0 src1=0 src2=0
	v_add_f32_e32 v132, v132, v137
	s_set_vgpr_msb 1                        ;  msbs: dst=0 src0=1 src1=0 src2=0
	v_dual_mul_f32 v137, v39 /*v295*/, v171 :: v_dual_fma_f32 v136, v36 /*v292*/, v168, -v136
	;; [unrolled: 12-line block ×6, first 2 shown]
	s_set_vgpr_msb 0x41                     ;  msbs: dst=1 src0=1 src1=0 src2=0
	v_dual_mul_f32 v156 /*v412*/, v38 /*v294*/, v171 :: v_dual_mul_f32 v157 /*v413*/, v48 /*v304*/, v173
	s_set_vgpr_msb 0                        ;  msbs: dst=0 src0=0 src1=0 src2=0
	v_add_f32_e32 v132, v132, v138
	s_wait_dscnt 0xc
	s_set_vgpr_msb 1                        ;  msbs: dst=0 src0=1 src1=0 src2=0
	v_dual_mul_f32 v138, v77 /*v333*/, v189 :: v_dual_fma_f32 v137, v70 /*v326*/, v186, -v137
	s_set_vgpr_msb 0x41                     ;  msbs: dst=1 src0=1 src1=0 src2=0
	v_dual_fmac_f32 v156 /*v412*/, v39 /*v295*/, v170 :: v_dual_fmac_f32 v157 /*v413*/, v49 /*v305*/, v172
	s_set_vgpr_msb 0                        ;  msbs: dst=0 src0=0 src1=0 src2=0
	v_add_f32_e32 v132, v132, v139
	s_set_vgpr_msb 1                        ;  msbs: dst=0 src0=1 src1=0 src2=0
	v_dual_mul_f32 v139, v79 /*v335*/, v191 :: v_dual_fma_f32 v138, v76 /*v332*/, v188, -v138
	s_set_vgpr_msb 0x41                     ;  msbs: dst=1 src0=1 src1=0 src2=0
	v_dual_mul_f32 v158 /*v414*/, v50 /*v306*/, v175 :: v_dual_mul_f32 v159 /*v415*/, v52 /*v308*/, v177
	s_set_vgpr_msb 0                        ;  msbs: dst=0 src0=0 src1=0 src2=0
	v_add_f32_e32 v132, v132, v140
	s_wait_dscnt 0xb
	s_set_vgpr_msb 1                        ;  msbs: dst=0 src0=1 src1=0 src2=0
	v_dual_mul_f32 v140, v81 /*v337*/, v193 :: v_dual_fma_f32 v139, v78 /*v334*/, v190, -v139
	s_set_vgpr_msb 0x41                     ;  msbs: dst=1 src0=1 src1=0 src2=0
	v_dual_fmac_f32 v158 /*v414*/, v51 /*v307*/, v174 :: v_dual_fmac_f32 v159 /*v415*/, v53 /*v309*/, v176
	s_set_vgpr_msb 0                        ;  msbs: dst=0 src0=0 src1=0 src2=0
	v_add_f32_e32 v132, v132, v133
	s_set_vgpr_msb 1                        ;  msbs: dst=0 src0=1 src1=0 src2=0
	v_dual_mul_f32 v133, v83 /*v339*/, v195 :: v_dual_fma_f32 v140, v80 /*v336*/, v192, -v140
	;; [unrolled: 13-line block ×9, first 2 shown]
	s_wait_loadcnt 0x5
	v_mul_f32_e32 v143, v45 /*v301*/, v241
	s_set_vgpr_msb 0x41                     ;  msbs: dst=1 src0=1 src1=0 src2=0
	v_dual_mul_f32 v174 /*v430*/, v94 /*v350*/, v207 :: v_dual_mul_f32 v175 /*v431*/, v96 /*v352*/, v209
	s_set_vgpr_msb 0                        ;  msbs: dst=0 src0=0 src1=0 src2=0
	v_add_f32_e32 v132, v132, v140
	s_wait_dscnt 0x3
	s_set_vgpr_msb 1                        ;  msbs: dst=0 src0=1 src1=0 src2=0
	v_dual_mul_f32 v140, v113 /*v369*/, v225 :: v_dual_fma_f32 v139, v110 /*v366*/, v222, -v139
	s_set_vgpr_msb 0x41                     ;  msbs: dst=1 src0=1 src1=0 src2=0
	v_dual_fmac_f32 v174 /*v430*/, v95 /*v351*/, v206 :: v_dual_fmac_f32 v175 /*v431*/, v97 /*v353*/, v208
	s_set_vgpr_msb 0                        ;  msbs: dst=0 src0=0 src1=0 src2=0
	v_add_f32_e32 v132, v132, v133
	s_set_vgpr_msb 1                        ;  msbs: dst=0 src0=1 src1=0 src2=0
	v_mul_f32_e32 v133, v115 /*v371*/, v227
	s_set_vgpr_msb 0x41                     ;  msbs: dst=1 src0=1 src1=0 src2=0
	v_dual_mul_f32 v176 /*v432*/, v98 /*v354*/, v211 :: v_dual_mul_f32 v177 /*v433*/, v100 /*v356*/, v213
	v_dual_mul_f32 v178 /*v434*/, v102 /*v358*/, v215 :: v_dual_mul_f32 v179 /*v435*/, v104 /*v360*/, v217
	s_set_vgpr_msb 0                        ;  msbs: dst=0 src0=0 src1=0 src2=0
	v_add_f32_e32 v132, v132, v135
	s_wait_dscnt 0x2
	s_set_vgpr_msb 1                        ;  msbs: dst=0 src0=1 src1=0 src2=0
	v_dual_mul_f32 v135, v117 /*v373*/, v229 :: v_dual_fma_f32 v133, v114 /*v370*/, v226, -v133
	s_set_vgpr_msb 0x41                     ;  msbs: dst=1 src0=1 src1=0 src2=0
	v_dual_fmac_f32 v176 /*v432*/, v99 /*v355*/, v210 :: v_dual_fmac_f32 v177 /*v433*/, v101 /*v357*/, v212
	s_set_vgpr_msb 0                        ;  msbs: dst=0 src0=0 src1=0 src2=0
	v_add_f32_e32 v132, v132, v134
	s_set_vgpr_msb 1                        ;  msbs: dst=0 src0=1 src1=0 src2=0
	v_dual_mul_f32 v134, v119 /*v375*/, v231 :: v_dual_fma_f32 v135, v116 /*v372*/, v228, -v135
	s_set_vgpr_msb 0x41                     ;  msbs: dst=1 src0=1 src1=0 src2=0
	v_dual_fmac_f32 v178 /*v434*/, v103 /*v359*/, v214 :: v_dual_fmac_f32 v179 /*v435*/, v105 /*v361*/, v216
	s_set_vgpr_msb 0                        ;  msbs: dst=0 src0=0 src1=0 src2=0
	v_add_f32_e32 v132, v132, v136
	s_wait_dscnt 0x1
	s_set_vgpr_msb 1                        ;  msbs: dst=0 src0=1 src1=0 src2=0
	v_mul_f32_e32 v136, v121 /*v377*/, v233
	s_set_vgpr_msb 0x41                     ;  msbs: dst=1 src0=1 src1=0 src2=0
	v_dual_mul_f32 v180 /*v436*/, v106 /*v362*/, v219 :: v_dual_mul_f32 v181 /*v437*/, v108 /*v364*/, v221
	v_dual_mul_f32 v182 /*v438*/, v110 /*v366*/, v223 :: v_dual_mul_f32 v183 /*v439*/, v112 /*v368*/, v225
	s_set_vgpr_msb 0                        ;  msbs: dst=0 src0=0 src1=0 src2=0
	v_add_f32_e32 v132, v132, v137
	s_set_vgpr_msb 1                        ;  msbs: dst=0 src0=1 src1=0 src2=0
	v_mul_f32_e32 v137, v123 /*v379*/, v235
	s_set_vgpr_msb 0x41                     ;  msbs: dst=1 src0=1 src1=0 src2=0
	v_dual_fmac_f32 v180 /*v436*/, v107 /*v363*/, v218 :: v_dual_fmac_f32 v181 /*v437*/, v109 /*v365*/, v220
	v_dual_fmac_f32 v182 /*v438*/, v111 /*v367*/, v222 :: v_dual_fmac_f32 v183 /*v439*/, v113 /*v369*/, v224
	s_set_vgpr_msb 0                        ;  msbs: dst=0 src0=0 src1=0 src2=0
	v_add_f32_e32 v132, v132, v138
	s_set_vgpr_msb 1                        ;  msbs: dst=0 src0=1 src1=0 src2=0
	v_dual_fma_f32 v138, v112 /*v368*/, v224, -v140 :: v_dual_fma_f32 v137, v122 /*v378*/, v234, -v137
	s_set_vgpr_msb 0x41                     ;  msbs: dst=1 src0=1 src1=0 src2=0
	v_dual_mul_f32 v184 /*v440*/, v114 /*v370*/, v227 :: v_dual_mul_f32 v185 /*v441*/, v116 /*v372*/, v229
	s_set_vgpr_msb 0                        ;  msbs: dst=0 src0=0 src1=0 src2=0
	v_add_f32_e32 v132, v132, v139
	s_set_vgpr_msb 1                        ;  msbs: dst=0 src0=1 src1=0 src2=0
	v_fma_f32 v139, v120 /*v376*/, v232, -v136
	s_set_vgpr_msb 0x41                     ;  msbs: dst=1 src0=1 src1=0 src2=0
	v_dual_mul_f32 v186 /*v442*/, v118 /*v374*/, v231 :: v_dual_mul_f32 v187 /*v443*/, v120 /*v376*/, v233
	v_dual_fmac_f32 v184 /*v440*/, v115 /*v371*/, v226 :: v_dual_fmac_f32 v185 /*v441*/, v117 /*v373*/, v228
	s_set_vgpr_msb 0                        ;  msbs: dst=0 src0=0 src1=0 src2=0
	v_add_f32_e32 v132, v132, v138
	s_set_vgpr_msb 1                        ;  msbs: dst=0 src0=1 src1=0 src2=0
	v_fma_f32 v138, v118 /*v374*/, v230, -v134
	s_set_vgpr_msb 0x41                     ;  msbs: dst=1 src0=1 src1=0 src2=0
	v_dual_fmac_f32 v186 /*v442*/, v119 /*v375*/, v230 :: v_dual_fmac_f32 v187 /*v443*/, v121 /*v377*/, v232
	v_dual_mul_f32 v188 /*v444*/, v122 /*v378*/, v235 :: v_dual_mul_f32 v189 /*v445*/, v40 /*v296*/, v237
	s_set_vgpr_msb 0                        ;  msbs: dst=0 src0=0 src1=0 src2=0
	v_dual_add_f32 v133, v132, v133 :: v_dual_mov_b32 v132, v243
	s_set_vgpr_msb 0x41                     ;  msbs: dst=1 src0=1 src1=0 src2=0
	v_dual_mul_f32 v137 /*v393*/, v42 /*v298*/, v239 :: v_dual_mul_f32 v139 /*v395*/, v44 /*v300*/, v241
	v_dual_fmac_f32 v188 /*v444*/, v123 /*v379*/, v234 :: v_dual_fmac_f32 v189 /*v445*/, v41 /*v297*/, v236
	s_set_vgpr_msb 0                        ;  msbs: dst=0 src0=0 src1=0 src2=0
	v_add_f32_e32 v133, v133, v135
	s_set_vgpr_msb 1                        ;  msbs: dst=0 src0=1 src1=0 src2=0
	v_mul_f32_e32 v140, v43 /*v299*/, v239
	s_set_vgpr_msb 0x41                     ;  msbs: dst=1 src0=1 src1=0 src2=0
	v_dual_fmac_f32 v137 /*v393*/, v43 /*v299*/, v238 :: v_dual_fmac_f32 v139 /*v395*/, v45 /*v301*/, v240
	s_wait_loadcnt 0x4
	s_set_vgpr_msb 1                        ;  msbs: dst=0 src0=1 src1=0 src2=0
	v_pk_mul_f32 v[134:135], v[56:57] /*v[312:313]*/, v[244:245] op_sel:[1,1] op_sel_hi:[0,1]
	s_set_vgpr_msb 0                        ;  msbs: dst=0 src0=0 src1=0 src2=0
	v_dual_add_f32 v133, v133, v138 :: v_dual_mov_b32 v136, v247
	s_set_vgpr_msb 1                        ;  msbs: dst=0 src0=1 src1=0 src2=0
	s_delay_alu instid0(VALU_DEP_2) | instskip(SKIP_1) | instid1(VALU_DEP_2)
	v_pk_fma_f32 v[146:147], v[56:57] /*v[312:313]*/, v[244:245], v[134:135] op_sel_hi:[1,0,1]
	s_set_vgpr_msb 0                        ;  msbs: dst=0 src0=0 src1=0 src2=0
	v_add_f32_e32 v133, v133, v139
	s_set_vgpr_msb 1                        ;  msbs: dst=0 src0=1 src1=0 src2=0
	v_pk_fma_f32 v[134:135], v[56:57] /*v[312:313]*/, v[244:245], v[134:135] neg_lo:[0,0,1] neg_hi:[0,0,1]
	s_wait_loadcnt 0x3
	v_pk_mul_f32 v[138:139], v[60:61] /*v[316:317]*/, v[248:249] op_sel:[1,1] op_sel_hi:[0,1]
	s_set_vgpr_msb 0                        ;  msbs: dst=0 src0=0 src1=0 src2=0
	v_dual_mov_b32 v135, v147 :: v_dual_add_f32 v137, v133, v137
	s_set_vgpr_msb 1                        ;  msbs: dst=0 src0=1 src1=0 src2=0
	v_pk_mul_f32 v[132:133], v[128:129] /*v[384:385]*/, v[132:133] op_sel_hi:[1,0]
	s_delay_alu instid0(VALU_DEP_1)
	v_pk_fma_f32 v[144:145], v[46:47] /*v[302:303]*/, v[242:243], v[132:133] op_sel_hi:[1,0,1]
	s_set_vgpr_msb 4                        ;  msbs: dst=0 src0=0 src1=1 src2=0
	v_add_f32_e32 v131, v131, v136 /*v392*/
	s_set_vgpr_msb 1                        ;  msbs: dst=0 src0=1 src1=0 src2=0
	v_pk_fma_f32 v[132:133], v[46:47] /*v[302:303]*/, v[242:243], v[132:133] neg_lo:[0,0,1] neg_hi:[0,0,1]
	s_set_vgpr_msb 0x41                     ;  msbs: dst=1 src0=1 src1=0 src2=0
	v_fma_f32 v136 /*v392*/, v42 /*v298*/, v238, -v140
	s_set_vgpr_msb 0                        ;  msbs: dst=0 src0=0 src1=0 src2=0
	v_add_f32_e32 v140, v137, v142
	s_set_vgpr_msb 4                        ;  msbs: dst=0 src0=0 src1=1 src2=0
	v_dual_mov_b32 v133, v145 :: v_dual_add_f32 v131, v131, v138 /*v394*/
	s_set_vgpr_msb 0x41                     ;  msbs: dst=1 src0=1 src1=0 src2=0
	v_fma_f32 v138 /*v394*/, v44 /*v300*/, v240, -v143
	s_set_vgpr_msb 1                        ;  msbs: dst=0 src0=1 src1=0 src2=0
	v_pk_mul_f32 v[136:137], v[130:131] /*v[386:387]*/, v[136:137] op_sel_hi:[1,0]
	s_set_vgpr_msb 0                        ;  msbs: dst=0 src0=0 src1=0 src2=0
	v_mov_b32_e32 v142, v251
	s_wait_loadcnt 0x2
	s_set_vgpr_msb 1                        ;  msbs: dst=0 src0=1 src1=0 src2=0
	v_pk_mul_f32 v[144:145], v[72:73] /*v[328:329]*/, v[252:253] op_sel:[1,1] op_sel_hi:[0,1]
	s_set_vgpr_msb 4                        ;  msbs: dst=0 src0=0 src1=1 src2=0
	v_add_f32_e32 v131, v131, v140 /*v396*/
	s_set_vgpr_msb 1                        ;  msbs: dst=0 src0=1 src1=0 src2=0
	v_pk_fma_f32 v[146:147], v[58:59] /*v[314:315]*/, v[246:247], v[136:137] op_sel_hi:[1,0,1]
	v_pk_fma_f32 v[136:137], v[58:59] /*v[314:315]*/, v[246:247], v[136:137] neg_lo:[0,0,1] neg_hi:[0,0,1]
	v_pk_mul_f32 v[142:143], v[132:133] /*v[388:389]*/, v[142:143] op_sel_hi:[1,0]
	s_set_vgpr_msb 4                        ;  msbs: dst=0 src0=0 src1=1 src2=0
	v_add_f32_e32 v131, v131, v141 /*v397*/
	v_mov_b32_e32 v137, v147
	s_delay_alu instid0(VALU_DEP_2) | instskip(NEXT) | instid1(VALU_DEP_1)
	v_add_f32_e32 v131, v131, v142 /*v398*/
	v_add_f32_e32 v131, v131, v143 /*v399*/
	s_delay_alu instid0(VALU_DEP_1) | instskip(NEXT) | instid1(VALU_DEP_1)
	v_add_f32_e32 v131, v131, v144 /*v400*/
	v_add_f32_e32 v131, v131, v145 /*v401*/
	s_delay_alu instid0(VALU_DEP_1) | instskip(NEXT) | instid1(VALU_DEP_1)
	;; [unrolled: 3-line block ×24, first 2 shown]
	v_pk_add_f32 v[140:141], v[140:141], v[136:137] /*v[392:393]*/
	v_pk_add_f32 v[140:141], v[140:141], v[138:139] /*v[394:395]*/
	s_set_vgpr_msb 0                        ;  msbs: dst=0 src0=0 src1=0 src2=0
	s_delay_alu instid0(VALU_DEP_1)
	v_pk_add_f32 v[132:133], v[140:141], v[132:133]
	s_set_vgpr_msb 1                        ;  msbs: dst=0 src0=1 src1=0 src2=0
	v_pk_fma_f32 v[140:141], v[60:61] /*v[316:317]*/, v[248:249], v[138:139] op_sel_hi:[1,0,1]
	v_pk_fma_f32 v[138:139], v[60:61] /*v[316:317]*/, v[248:249], v[138:139] neg_lo:[0,0,1] neg_hi:[0,0,1]
	s_set_vgpr_msb 0                        ;  msbs: dst=0 src0=0 src1=0 src2=0
	v_pk_add_f32 v[132:133], v[132:133], v[134:135]
	s_delay_alu instid0(VALU_DEP_3)
	v_dual_mov_b32 v134, v255 :: v_dual_mov_b32 v139, v141
	s_set_vgpr_msb 1                        ;  msbs: dst=0 src0=1 src1=0 src2=0
	v_pk_fma_f32 v[140:141], v[62:63] /*v[318:319]*/, v[250:251], v[142:143] op_sel_hi:[1,0,1]
	v_pk_fma_f32 v[142:143], v[62:63] /*v[318:319]*/, v[250:251], v[142:143] neg_lo:[0,0,1] neg_hi:[0,0,1]
	s_set_vgpr_msb 0                        ;  msbs: dst=0 src0=0 src1=0 src2=0
	v_pk_add_f32 v[132:133], v[132:133], v[136:137]
	s_set_vgpr_msb 1                        ;  msbs: dst=0 src0=1 src1=0 src2=0
	v_pk_fma_f32 v[136:137], v[72:73] /*v[328:329]*/, v[252:253], v[144:145] op_sel_hi:[1,0,1]
	v_pk_mul_f32 v[134:135], v[134:135] /*v[390:391]*/, v[134:135] op_sel_hi:[1,0]
	s_set_vgpr_msb 0                        ;  msbs: dst=0 src0=0 src1=0 src2=0
	v_mov_b32_e32 v143, v141
	s_set_vgpr_msb 1                        ;  msbs: dst=0 src0=1 src1=0 src2=0
	v_pk_fma_f32 v[140:141], v[72:73] /*v[328:329]*/, v[252:253], v[144:145] neg_lo:[0,0,1] neg_hi:[0,0,1]
	s_set_vgpr_msb 0                        ;  msbs: dst=0 src0=0 src1=0 src2=0
	v_pk_add_f32 v[132:133], v[132:133], v[138:139]
	s_wait_loadcnt_dscnt 0x100
	s_set_vgpr_msb 1                        ;  msbs: dst=0 src0=1 src1=0 src2=0
	v_pk_mul_f32 v[138:139], v[126:127] /*v[382:383]*/, v[0:1] op_sel:[1,1] op_sel_hi:[0,1]
	s_set_vgpr_msb 0                        ;  msbs: dst=0 src0=0 src1=0 src2=0
	v_mov_b32_e32 v141, v137
	s_set_vgpr_msb 1                        ;  msbs: dst=0 src0=1 src1=0 src2=0
	v_pk_fma_f32 v[136:137], v[74:75] /*v[330:331]*/, v[254:255], v[134:135] op_sel_hi:[1,0,1]
	v_pk_fma_f32 v[134:135], v[74:75] /*v[330:331]*/, v[254:255], v[134:135] neg_lo:[0,0,1] neg_hi:[0,0,1]
	s_set_vgpr_msb 0                        ;  msbs: dst=0 src0=0 src1=0 src2=0
	v_pk_add_f32 v[132:133], v[132:133], v[142:143]
	s_set_vgpr_msb 1                        ;  msbs: dst=0 src0=1 src1=0 src2=0
	v_pk_fma_f32 v[142:143], v[126:127] /*v[382:383]*/, v[0:1], v[138:139] op_sel_hi:[1,0,1]
	v_pk_fma_f32 v[0:1], v[126:127] /*v[382:383]*/, v[0:1], v[138:139] neg_lo:[0,0,1] neg_hi:[0,0,1]
	s_set_vgpr_msb 0                        ;  msbs: dst=0 src0=0 src1=0 src2=0
	v_mov_b32_e32 v135, v137
	v_pk_add_f32 v[132:133], v[132:133], v[140:141]
	v_mov_b32_e32 v1, v143
	s_delay_alu instid0(VALU_DEP_2) | instskip(NEXT) | instid1(VALU_DEP_1)
	v_pk_add_f32 v[132:133], v[132:133], v[134:135]
	v_pk_add_f32 v[0:1], v[132:133], v[0:1]
	s_wait_loadcnt 0x0
	s_set_vgpr_msb 1                        ;  msbs: dst=0 src0=1 src1=0 src2=0
	s_delay_alu instid0(VALU_DEP_1)
	v_pk_add_f32 v[0:1], v[124:125] /*v[380:381]*/, v[0:1] neg_lo:[0,1] neg_hi:[0,1]
	scratch_store_b64 off, v[0:1], off
	s_set_vgpr_msb 0                        ;  msbs: dst=0 src0=0 src1=0 src2=0
	s_cbranch_vccz .LBB63_524
; %bb.398:
	global_load_b32 v0, v130, s[2:3] offset:248
	s_wait_loadcnt 0x0
	v_cmp_ne_u32_e32 vcc_lo, 63, v0
	s_cbranch_vccz .LBB63_400
; %bb.399:
	v_lshlrev_b32_e32 v0, 3, v0
	s_delay_alu instid0(VALU_DEP_1)
	v_mov_b32_e32 v132, v0
	scratch_load_b64 v[0:1], v132, off offset:-8
	scratch_load_b64 v[130:131], off, off offset:496
	s_wait_loadcnt 0x1
	scratch_store_b64 off, v[0:1], off offset:496
	s_wait_loadcnt 0x0
	scratch_store_b64 v132, v[130:131], off offset:-8
.LBB63_400:
	s_wait_xcnt 0x1
	v_mov_b32_e32 v0, 0
	global_load_b32 v1, v0, s[2:3] offset:244
	s_wait_loadcnt 0x0
	v_cmp_eq_u32_e32 vcc_lo, 62, v1
	s_cbranch_vccnz .LBB63_402
; %bb.401:
	v_lshlrev_b32_e32 v1, 3, v1
	scratch_load_b64 v[130:131], v1, off offset:-8
	scratch_load_b64 v[132:133], off, off offset:488
	s_wait_loadcnt 0x1
	scratch_store_b64 off, v[130:131], off offset:488
	s_wait_loadcnt 0x0
	scratch_store_b64 v1, v[132:133], off offset:-8
.LBB63_402:
	global_load_b32 v0, v0, s[2:3] offset:240
	s_wait_loadcnt 0x0
	v_cmp_eq_u32_e32 vcc_lo, 61, v0
	s_cbranch_vccnz .LBB63_404
; %bb.403:
	s_wait_xcnt 0x0
	v_lshlrev_b32_e32 v0, 3, v0
	s_delay_alu instid0(VALU_DEP_1)
	v_mov_b32_e32 v132, v0
	scratch_load_b64 v[0:1], v132, off offset:-8
	scratch_load_b64 v[130:131], off, off offset:480
	s_wait_loadcnt 0x1
	scratch_store_b64 off, v[0:1], off offset:480
	s_wait_loadcnt 0x0
	scratch_store_b64 v132, v[130:131], off offset:-8
.LBB63_404:
	s_wait_xcnt 0x0
	v_mov_b32_e32 v0, 0
	global_load_b32 v1, v0, s[2:3] offset:236
	s_wait_loadcnt 0x0
	v_cmp_eq_u32_e32 vcc_lo, 60, v1
	s_cbranch_vccnz .LBB63_406
; %bb.405:
	v_lshlrev_b32_e32 v1, 3, v1
	scratch_load_b64 v[130:131], v1, off offset:-8
	scratch_load_b64 v[132:133], off, off offset:472
	s_wait_loadcnt 0x1
	scratch_store_b64 off, v[130:131], off offset:472
	s_wait_loadcnt 0x0
	scratch_store_b64 v1, v[132:133], off offset:-8
.LBB63_406:
	global_load_b32 v0, v0, s[2:3] offset:232
	s_wait_loadcnt 0x0
	v_cmp_eq_u32_e32 vcc_lo, 59, v0
	s_cbranch_vccnz .LBB63_408
; %bb.407:
	s_wait_xcnt 0x0
	v_lshlrev_b32_e32 v0, 3, v0
	s_delay_alu instid0(VALU_DEP_1)
	v_mov_b32_e32 v132, v0
	scratch_load_b64 v[0:1], v132, off offset:-8
	scratch_load_b64 v[130:131], off, off offset:464
	s_wait_loadcnt 0x1
	scratch_store_b64 off, v[0:1], off offset:464
	s_wait_loadcnt 0x0
	scratch_store_b64 v132, v[130:131], off offset:-8
.LBB63_408:
	;; [unrolled: 31-line block ×30, first 2 shown]
	s_wait_xcnt 0x0
	v_mov_b32_e32 v0, 0
	global_load_b32 v1, v0, s[2:3] offset:4
	s_wait_loadcnt 0x0
	v_cmp_eq_u32_e32 vcc_lo, 2, v1
	s_cbranch_vccnz .LBB63_522
; %bb.521:
	v_lshlrev_b32_e32 v1, 3, v1
	scratch_load_b64 v[130:131], v1, off offset:-8
	scratch_load_b64 v[132:133], off, off offset:8
	s_wait_loadcnt 0x1
	scratch_store_b64 off, v[130:131], off offset:8
	s_wait_loadcnt 0x0
	scratch_store_b64 v1, v[132:133], off offset:-8
.LBB63_522:
	global_load_b32 v130, v0, s[2:3]
	scratch_load_b64 v[0:1], off, off
	s_wait_loadcnt 0x1
	v_cmp_eq_u32_e32 vcc_lo, 1, v130
	s_cbranch_vccnz .LBB63_524
; %bb.523:
	v_lshlrev_b32_e32 v130, 3, v130
	s_delay_alu instid0(VALU_DEP_1)
	v_mov_b32_e32 v132, v130
	scratch_load_b64 v[130:131], v132, off offset:-8
	s_wait_loadcnt 0x0
	scratch_store_b64 off, v[130:131], off
	scratch_store_b64 v132, v[0:1], off offset:-8
	scratch_load_b64 v[0:1], off, off
.LBB63_524:
	s_clause 0x1f
	scratch_load_b128 v[130:133], off, off offset:8
	scratch_load_b128 v[134:137], off, off offset:24
	;; [unrolled: 1-line block ×31, first 2 shown]
	scratch_load_b64 v[254:255], off, off offset:504
	v_lshl_add_u64 v[6:7], v[6:7], 3, s[4:5]
	v_lshl_add_u64 v[8:9], v[8:9], 3, s[4:5]
	;; [unrolled: 1-line block ×62, first 2 shown]
	s_wait_loadcnt 0x20
	global_store_b64 v[2:3], v[0:1], off
	s_wait_loadcnt 0x1f
	s_clause 0x1
	global_store_b64 v[4:5], v[130:131], off
	global_store_b64 v[6:7], v[132:133], off
	s_wait_loadcnt 0x1e
	s_clause 0x1
	global_store_b64 v[8:9], v[134:135], off
	;; [unrolled: 4-line block ×31, first 2 shown]
	global_store_b64 v[126:127], v[252:253], off
	s_wait_loadcnt 0x0
	global_store_b64 v[128:129], v[254:255], off
	s_sendmsg sendmsg(MSG_DEALLOC_VGPRS)
	s_endpgm
	.section	.rodata,"a",@progbits
	.p2align	6, 0x0
	.amdhsa_kernel _ZN9rocsolver6v33100L18getri_kernel_smallILi64E19rocblas_complex_numIfEPS3_EEvT1_iilPiilS6_bb
		.amdhsa_group_segment_fixed_size 1028
		.amdhsa_private_segment_fixed_size 528
		.amdhsa_kernarg_size 60
		.amdhsa_user_sgpr_count 2
		.amdhsa_user_sgpr_dispatch_ptr 0
		.amdhsa_user_sgpr_queue_ptr 0
		.amdhsa_user_sgpr_kernarg_segment_ptr 1
		.amdhsa_user_sgpr_dispatch_id 0
		.amdhsa_user_sgpr_kernarg_preload_length 0
		.amdhsa_user_sgpr_kernarg_preload_offset 0
		.amdhsa_user_sgpr_private_segment_size 0
		.amdhsa_wavefront_size32 1
		.amdhsa_uses_dynamic_stack 0
		.amdhsa_enable_private_segment 1
		.amdhsa_system_sgpr_workgroup_id_x 1
		.amdhsa_system_sgpr_workgroup_id_y 0
		.amdhsa_system_sgpr_workgroup_id_z 0
		.amdhsa_system_sgpr_workgroup_info 0
		.amdhsa_system_vgpr_workitem_id 0
		.amdhsa_next_free_vgpr 446
		.amdhsa_next_free_sgpr 19
		.amdhsa_named_barrier_count 0
		.amdhsa_reserve_vcc 1
		.amdhsa_float_round_mode_32 0
		.amdhsa_float_round_mode_16_64 0
		.amdhsa_float_denorm_mode_32 3
		.amdhsa_float_denorm_mode_16_64 3
		.amdhsa_fp16_overflow 0
		.amdhsa_memory_ordered 1
		.amdhsa_forward_progress 1
		.amdhsa_inst_pref_size 255
		.amdhsa_round_robin_scheduling 0
		.amdhsa_exception_fp_ieee_invalid_op 0
		.amdhsa_exception_fp_denorm_src 0
		.amdhsa_exception_fp_ieee_div_zero 0
		.amdhsa_exception_fp_ieee_overflow 0
		.amdhsa_exception_fp_ieee_underflow 0
		.amdhsa_exception_fp_ieee_inexact 0
		.amdhsa_exception_int_div_zero 0
	.end_amdhsa_kernel
	.section	.text._ZN9rocsolver6v33100L18getri_kernel_smallILi64E19rocblas_complex_numIfEPS3_EEvT1_iilPiilS6_bb,"axG",@progbits,_ZN9rocsolver6v33100L18getri_kernel_smallILi64E19rocblas_complex_numIfEPS3_EEvT1_iilPiilS6_bb,comdat
.Lfunc_end63:
	.size	_ZN9rocsolver6v33100L18getri_kernel_smallILi64E19rocblas_complex_numIfEPS3_EEvT1_iilPiilS6_bb, .Lfunc_end63-_ZN9rocsolver6v33100L18getri_kernel_smallILi64E19rocblas_complex_numIfEPS3_EEvT1_iilPiilS6_bb
                                        ; -- End function
	.set _ZN9rocsolver6v33100L18getri_kernel_smallILi64E19rocblas_complex_numIfEPS3_EEvT1_iilPiilS6_bb.num_vgpr, 446
	.set _ZN9rocsolver6v33100L18getri_kernel_smallILi64E19rocblas_complex_numIfEPS3_EEvT1_iilPiilS6_bb.num_agpr, 0
	.set _ZN9rocsolver6v33100L18getri_kernel_smallILi64E19rocblas_complex_numIfEPS3_EEvT1_iilPiilS6_bb.numbered_sgpr, 19
	.set _ZN9rocsolver6v33100L18getri_kernel_smallILi64E19rocblas_complex_numIfEPS3_EEvT1_iilPiilS6_bb.num_named_barrier, 0
	.set _ZN9rocsolver6v33100L18getri_kernel_smallILi64E19rocblas_complex_numIfEPS3_EEvT1_iilPiilS6_bb.private_seg_size, 528
	.set _ZN9rocsolver6v33100L18getri_kernel_smallILi64E19rocblas_complex_numIfEPS3_EEvT1_iilPiilS6_bb.uses_vcc, 1
	.set _ZN9rocsolver6v33100L18getri_kernel_smallILi64E19rocblas_complex_numIfEPS3_EEvT1_iilPiilS6_bb.uses_flat_scratch, 1
	.set _ZN9rocsolver6v33100L18getri_kernel_smallILi64E19rocblas_complex_numIfEPS3_EEvT1_iilPiilS6_bb.has_dyn_sized_stack, 0
	.set _ZN9rocsolver6v33100L18getri_kernel_smallILi64E19rocblas_complex_numIfEPS3_EEvT1_iilPiilS6_bb.has_recursion, 0
	.set _ZN9rocsolver6v33100L18getri_kernel_smallILi64E19rocblas_complex_numIfEPS3_EEvT1_iilPiilS6_bb.has_indirect_call, 0
	.section	.AMDGPU.csdata,"",@progbits
; Kernel info:
; codeLenInByte = 147824
; TotalNumSgprs: 21
; NumVgprs: 446
; ScratchSize: 528
; MemoryBound: 0
; FloatMode: 240
; IeeeMode: 1
; LDSByteSize: 1028 bytes/workgroup (compile time only)
; SGPRBlocks: 0
; VGPRBlocks: 27
; NumSGPRsForWavesPerEU: 21
; NumVGPRsForWavesPerEU: 446
; NamedBarCnt: 0
; Occupancy: 2
; WaveLimiterHint : 1
; COMPUTE_PGM_RSRC2:SCRATCH_EN: 1
; COMPUTE_PGM_RSRC2:USER_SGPR: 2
; COMPUTE_PGM_RSRC2:TRAP_HANDLER: 0
; COMPUTE_PGM_RSRC2:TGID_X_EN: 1
; COMPUTE_PGM_RSRC2:TGID_Y_EN: 0
; COMPUTE_PGM_RSRC2:TGID_Z_EN: 0
; COMPUTE_PGM_RSRC2:TIDIG_COMP_CNT: 0
	.section	.text._ZN9rocsolver6v33100L18getri_kernel_smallILi1E19rocblas_complex_numIfEPKPS3_EEvT1_iilPiilS8_bb,"axG",@progbits,_ZN9rocsolver6v33100L18getri_kernel_smallILi1E19rocblas_complex_numIfEPKPS3_EEvT1_iilPiilS8_bb,comdat
	.globl	_ZN9rocsolver6v33100L18getri_kernel_smallILi1E19rocblas_complex_numIfEPKPS3_EEvT1_iilPiilS8_bb ; -- Begin function _ZN9rocsolver6v33100L18getri_kernel_smallILi1E19rocblas_complex_numIfEPKPS3_EEvT1_iilPiilS8_bb
	.p2align	8
	.type	_ZN9rocsolver6v33100L18getri_kernel_smallILi1E19rocblas_complex_numIfEPKPS3_EEvT1_iilPiilS8_bb,@function
_ZN9rocsolver6v33100L18getri_kernel_smallILi1E19rocblas_complex_numIfEPKPS3_EEvT1_iilPiilS8_bb: ; @_ZN9rocsolver6v33100L18getri_kernel_smallILi1E19rocblas_complex_numIfEPKPS3_EEvT1_iilPiilS8_bb
; %bb.0:
	s_mov_b32 s7, 0
	s_mov_b32 s2, exec_lo
	v_cmpx_eq_u32_e32 0, v0
	s_cbranch_execz .LBB64_18
; %bb.1:
	s_clause 0x1
	s_load_b96 s[8:10], s[0:1], 0x30
	s_load_b96 s[4:6], s[0:1], 0x0
	s_getreg_b32 s2, hwreg(HW_REG_IB_STS2, 6, 4)
	s_wait_kmcnt 0x0
	s_bitcmp1_b32 s10, 0
	v_mov_b32_e32 v0, s6
	s_cselect_b32 s12, -1, 0
	s_bfe_u32 s0, ttmp6, 0x4000c
	s_and_b32 s1, ttmp6, 15
	s_add_co_i32 s0, s0, 1
	s_delay_alu instid0(SALU_CYCLE_1) | instskip(NEXT) | instid1(SALU_CYCLE_1)
	s_mul_i32 s0, ttmp9, s0
	s_add_co_i32 s1, s1, s0
	s_cmp_eq_u32 s2, 0
	s_cselect_b32 s10, ttmp9, s1
	s_and_b32 vcc_lo, exec_lo, s12
	s_ashr_i32 s11, s10, 31
	s_delay_alu instid0(SALU_CYCLE_1) | instskip(NEXT) | instid1(SALU_CYCLE_1)
	s_lshl_b64 s[0:1], s[10:11], 3
	s_add_nc_u64 s[0:1], s[4:5], s[0:1]
	s_load_b64 s[2:3], s[0:1], 0x0
	s_wait_kmcnt 0x0
	flat_load_b64 v[0:1], v0, s[2:3] scale_offset
	s_cbranch_vccnz .LBB64_4
; %bb.2:
	s_lshl_b64 s[0:1], s[10:11], 2
	s_delay_alu instid0(SALU_CYCLE_1)
	s_add_nc_u64 s[0:1], s[8:9], s[0:1]
	s_load_b32 s0, s[0:1], 0x0
	s_wait_kmcnt 0x0
	s_cmp_eq_u32 s0, 0
	s_mov_b32 s0, 0
	s_cbranch_scc0 .LBB64_5
; %bb.3:
	s_mov_b32 s7, -1
	s_branch .LBB64_5
.LBB64_4:
	s_mov_b32 s0, -1
.LBB64_5:
	s_delay_alu instid0(SALU_CYCLE_1)
	s_and_b32 vcc_lo, exec_lo, s0
	s_cbranch_vccz .LBB64_16
; %bb.6:
	s_wait_loadcnt_dscnt 0x0
	v_cmp_eq_f32_e32 vcc_lo, 0, v0
	v_cmp_eq_f32_e64 s0, 0, v1
	v_mov_b32_e32 v2, 0
	s_and_b32 s0, vcc_lo, s0
	ds_store_b32 v2, v2
	s_wait_dscnt 0x0
	s_barrier_signal -1
	s_barrier_wait -1
	s_and_saveexec_b32 s1, s0
	s_cbranch_execz .LBB64_10
; %bb.7:
	ds_load_b32 v3, v2
	s_wait_dscnt 0x0
	v_cmp_ne_u32_e32 vcc_lo, 0, v3
	v_cmp_gt_i32_e64 s0, 2, v3
	s_and_b32 s0, vcc_lo, s0
	s_delay_alu instid0(SALU_CYCLE_1)
	s_and_b32 vcc_lo, exec_lo, s0
	s_cbranch_vccnz .LBB64_10
; %bb.8:
	v_dual_mov_b32 v4, 1 :: v_dual_mov_b32 v5, 0
	s_mov_b32 s4, 0
.LBB64_9:                               ; =>This Inner Loop Header: Depth=1
	ds_cmpstore_rtn_b32 v3, v5, v4, v3
	s_wait_dscnt 0x0
	v_cmp_ne_u32_e32 vcc_lo, 0, v3
	v_cmp_gt_i32_e64 s0, 2, v3
	s_and_b32 s0, vcc_lo, s0
	s_delay_alu instid0(SALU_CYCLE_1) | instskip(NEXT) | instid1(SALU_CYCLE_1)
	s_and_b32 s0, exec_lo, s0
	s_or_b32 s4, s0, s4
	s_delay_alu instid0(SALU_CYCLE_1)
	s_and_not1_b32 exec_lo, exec_lo, s4
	s_cbranch_execnz .LBB64_9
.LBB64_10:
	s_or_b32 exec_lo, exec_lo, s1
	s_barrier_signal -1
	s_barrier_wait -1
	ds_load_b32 v3, v2
	s_lshl_b64 s[0:1], s[10:11], 2
	s_delay_alu instid0(SALU_CYCLE_1)
	s_add_nc_u64 s[0:1], s[8:9], s[0:1]
	s_wait_dscnt 0x0
	v_cmp_ne_u32_e32 vcc_lo, 0, v3
	global_store_b32 v2, v3, s[0:1]
	s_cbranch_vccnz .LBB64_16
; %bb.11:
	s_wait_xcnt 0x0
	v_cmp_ngt_f32_e64 s0, |v0|, |v1|
	s_and_saveexec_b32 s1, s0
	s_delay_alu instid0(SALU_CYCLE_1)
	s_xor_b32 s0, exec_lo, s1
	s_cbranch_execz .LBB64_13
; %bb.12:
	v_div_scale_f32 v2, null, v1, v1, v0
	v_div_scale_f32 v5, vcc_lo, v0, v1, v0
	s_delay_alu instid0(VALU_DEP_2) | instskip(SKIP_1) | instid1(TRANS32_DEP_1)
	v_rcp_f32_e32 v3, v2
	v_nop
	v_fma_f32 v4, -v2, v3, 1.0
	s_delay_alu instid0(VALU_DEP_1) | instskip(NEXT) | instid1(VALU_DEP_1)
	v_fmac_f32_e32 v3, v4, v3
	v_mul_f32_e32 v4, v5, v3
	s_delay_alu instid0(VALU_DEP_1) | instskip(NEXT) | instid1(VALU_DEP_1)
	v_fma_f32 v6, -v2, v4, v5
	v_fmac_f32_e32 v4, v6, v3
	s_delay_alu instid0(VALU_DEP_1) | instskip(NEXT) | instid1(VALU_DEP_1)
	v_fma_f32 v2, -v2, v4, v5
	v_div_fmas_f32 v2, v2, v3, v4
	s_delay_alu instid0(VALU_DEP_1) | instskip(NEXT) | instid1(VALU_DEP_1)
	v_div_fixup_f32 v2, v2, v1, v0
	v_fmac_f32_e32 v1, v0, v2
	s_delay_alu instid0(VALU_DEP_1) | instskip(SKIP_1) | instid1(VALU_DEP_2)
	v_div_scale_f32 v0, null, v1, v1, 1.0
	v_div_scale_f32 v5, vcc_lo, 1.0, v1, 1.0
	v_rcp_f32_e32 v3, v0
	v_nop
	s_delay_alu instid0(TRANS32_DEP_1) | instskip(NEXT) | instid1(VALU_DEP_1)
	v_fma_f32 v4, -v0, v3, 1.0
	v_fmac_f32_e32 v3, v4, v3
	s_delay_alu instid0(VALU_DEP_1) | instskip(NEXT) | instid1(VALU_DEP_1)
	v_mul_f32_e32 v4, v5, v3
	v_fma_f32 v6, -v0, v4, v5
	s_delay_alu instid0(VALU_DEP_1) | instskip(NEXT) | instid1(VALU_DEP_1)
	v_fmac_f32_e32 v4, v6, v3
	v_fma_f32 v0, -v0, v4, v5
	s_delay_alu instid0(VALU_DEP_1) | instskip(NEXT) | instid1(VALU_DEP_1)
	v_div_fmas_f32 v0, v0, v3, v4
	v_div_fixup_f32 v1, v0, v1, 1.0
	s_delay_alu instid0(VALU_DEP_1)
	v_mul_f32_e32 v0, v2, v1
	v_xor_b32_e32 v1, 0x80000000, v1
.LBB64_13:
	s_and_not1_saveexec_b32 s0, s0
	s_cbranch_execz .LBB64_15
; %bb.14:
	s_delay_alu instid0(VALU_DEP_1) | instskip(SKIP_1) | instid1(VALU_DEP_2)
	v_div_scale_f32 v2, null, v0, v0, v1
	v_div_scale_f32 v5, vcc_lo, v1, v0, v1
	v_rcp_f32_e32 v3, v2
	v_nop
	s_delay_alu instid0(TRANS32_DEP_1) | instskip(NEXT) | instid1(VALU_DEP_1)
	v_fma_f32 v4, -v2, v3, 1.0
	v_fmac_f32_e32 v3, v4, v3
	s_delay_alu instid0(VALU_DEP_1) | instskip(NEXT) | instid1(VALU_DEP_1)
	v_mul_f32_e32 v4, v5, v3
	v_fma_f32 v6, -v2, v4, v5
	s_delay_alu instid0(VALU_DEP_1) | instskip(NEXT) | instid1(VALU_DEP_1)
	v_fmac_f32_e32 v4, v6, v3
	v_fma_f32 v2, -v2, v4, v5
	s_delay_alu instid0(VALU_DEP_1) | instskip(NEXT) | instid1(VALU_DEP_1)
	v_div_fmas_f32 v2, v2, v3, v4
	v_div_fixup_f32 v2, v2, v0, v1
	s_delay_alu instid0(VALU_DEP_1) | instskip(NEXT) | instid1(VALU_DEP_1)
	v_fmac_f32_e32 v0, v1, v2
	v_div_scale_f32 v1, null, v0, v0, 1.0
	s_delay_alu instid0(VALU_DEP_1) | instskip(SKIP_1) | instid1(TRANS32_DEP_1)
	v_rcp_f32_e32 v3, v1
	v_nop
	v_fma_f32 v4, -v1, v3, 1.0
	s_delay_alu instid0(VALU_DEP_1) | instskip(SKIP_1) | instid1(VALU_DEP_1)
	v_fmac_f32_e32 v3, v4, v3
	v_div_scale_f32 v4, vcc_lo, 1.0, v0, 1.0
	v_mul_f32_e32 v5, v4, v3
	s_delay_alu instid0(VALU_DEP_1) | instskip(NEXT) | instid1(VALU_DEP_1)
	v_fma_f32 v6, -v1, v5, v4
	v_fmac_f32_e32 v5, v6, v3
	s_delay_alu instid0(VALU_DEP_1) | instskip(NEXT) | instid1(VALU_DEP_1)
	v_fma_f32 v1, -v1, v5, v4
	v_div_fmas_f32 v1, v1, v3, v5
	s_delay_alu instid0(VALU_DEP_1) | instskip(NEXT) | instid1(VALU_DEP_1)
	v_div_fixup_f32 v0, v1, v0, 1.0
	v_mul_f32_e64 v1, v2, -v0
.LBB64_15:
	s_or_b32 exec_lo, exec_lo, s0
	s_mov_b32 s7, -1
.LBB64_16:
	s_delay_alu instid0(SALU_CYCLE_1)
	s_and_b32 vcc_lo, exec_lo, s7
	s_cbranch_vccz .LBB64_18
; %bb.17:
	s_wait_xcnt 0x0
	s_ashr_i32 s1, s6, 31
	s_mov_b32 s0, s6
	v_mov_b32_e32 v2, 0
	s_lshl_b64 s[0:1], s[0:1], 3
	s_delay_alu instid0(SALU_CYCLE_1)
	s_add_nc_u64 s[0:1], s[2:3], s[0:1]
	s_wait_loadcnt_dscnt 0x0
	flat_store_b64 v2, v[0:1], s[0:1]
.LBB64_18:
	s_endpgm
	.section	.rodata,"a",@progbits
	.p2align	6, 0x0
	.amdhsa_kernel _ZN9rocsolver6v33100L18getri_kernel_smallILi1E19rocblas_complex_numIfEPKPS3_EEvT1_iilPiilS8_bb
		.amdhsa_group_segment_fixed_size 4
		.amdhsa_private_segment_fixed_size 0
		.amdhsa_kernarg_size 60
		.amdhsa_user_sgpr_count 2
		.amdhsa_user_sgpr_dispatch_ptr 0
		.amdhsa_user_sgpr_queue_ptr 0
		.amdhsa_user_sgpr_kernarg_segment_ptr 1
		.amdhsa_user_sgpr_dispatch_id 0
		.amdhsa_user_sgpr_kernarg_preload_length 0
		.amdhsa_user_sgpr_kernarg_preload_offset 0
		.amdhsa_user_sgpr_private_segment_size 0
		.amdhsa_wavefront_size32 1
		.amdhsa_uses_dynamic_stack 0
		.amdhsa_enable_private_segment 0
		.amdhsa_system_sgpr_workgroup_id_x 1
		.amdhsa_system_sgpr_workgroup_id_y 0
		.amdhsa_system_sgpr_workgroup_id_z 0
		.amdhsa_system_sgpr_workgroup_info 0
		.amdhsa_system_vgpr_workitem_id 0
		.amdhsa_next_free_vgpr 7
		.amdhsa_next_free_sgpr 13
		.amdhsa_named_barrier_count 0
		.amdhsa_reserve_vcc 1
		.amdhsa_float_round_mode_32 0
		.amdhsa_float_round_mode_16_64 0
		.amdhsa_float_denorm_mode_32 3
		.amdhsa_float_denorm_mode_16_64 3
		.amdhsa_fp16_overflow 0
		.amdhsa_memory_ordered 1
		.amdhsa_forward_progress 1
		.amdhsa_inst_pref_size 8
		.amdhsa_round_robin_scheduling 0
		.amdhsa_exception_fp_ieee_invalid_op 0
		.amdhsa_exception_fp_denorm_src 0
		.amdhsa_exception_fp_ieee_div_zero 0
		.amdhsa_exception_fp_ieee_overflow 0
		.amdhsa_exception_fp_ieee_underflow 0
		.amdhsa_exception_fp_ieee_inexact 0
		.amdhsa_exception_int_div_zero 0
	.end_amdhsa_kernel
	.section	.text._ZN9rocsolver6v33100L18getri_kernel_smallILi1E19rocblas_complex_numIfEPKPS3_EEvT1_iilPiilS8_bb,"axG",@progbits,_ZN9rocsolver6v33100L18getri_kernel_smallILi1E19rocblas_complex_numIfEPKPS3_EEvT1_iilPiilS8_bb,comdat
.Lfunc_end64:
	.size	_ZN9rocsolver6v33100L18getri_kernel_smallILi1E19rocblas_complex_numIfEPKPS3_EEvT1_iilPiilS8_bb, .Lfunc_end64-_ZN9rocsolver6v33100L18getri_kernel_smallILi1E19rocblas_complex_numIfEPKPS3_EEvT1_iilPiilS8_bb
                                        ; -- End function
	.set _ZN9rocsolver6v33100L18getri_kernel_smallILi1E19rocblas_complex_numIfEPKPS3_EEvT1_iilPiilS8_bb.num_vgpr, 7
	.set _ZN9rocsolver6v33100L18getri_kernel_smallILi1E19rocblas_complex_numIfEPKPS3_EEvT1_iilPiilS8_bb.num_agpr, 0
	.set _ZN9rocsolver6v33100L18getri_kernel_smallILi1E19rocblas_complex_numIfEPKPS3_EEvT1_iilPiilS8_bb.numbered_sgpr, 13
	.set _ZN9rocsolver6v33100L18getri_kernel_smallILi1E19rocblas_complex_numIfEPKPS3_EEvT1_iilPiilS8_bb.num_named_barrier, 0
	.set _ZN9rocsolver6v33100L18getri_kernel_smallILi1E19rocblas_complex_numIfEPKPS3_EEvT1_iilPiilS8_bb.private_seg_size, 0
	.set _ZN9rocsolver6v33100L18getri_kernel_smallILi1E19rocblas_complex_numIfEPKPS3_EEvT1_iilPiilS8_bb.uses_vcc, 1
	.set _ZN9rocsolver6v33100L18getri_kernel_smallILi1E19rocblas_complex_numIfEPKPS3_EEvT1_iilPiilS8_bb.uses_flat_scratch, 0
	.set _ZN9rocsolver6v33100L18getri_kernel_smallILi1E19rocblas_complex_numIfEPKPS3_EEvT1_iilPiilS8_bb.has_dyn_sized_stack, 0
	.set _ZN9rocsolver6v33100L18getri_kernel_smallILi1E19rocblas_complex_numIfEPKPS3_EEvT1_iilPiilS8_bb.has_recursion, 0
	.set _ZN9rocsolver6v33100L18getri_kernel_smallILi1E19rocblas_complex_numIfEPKPS3_EEvT1_iilPiilS8_bb.has_indirect_call, 0
	.section	.AMDGPU.csdata,"",@progbits
; Kernel info:
; codeLenInByte = 936
; TotalNumSgprs: 15
; NumVgprs: 7
; ScratchSize: 0
; MemoryBound: 0
; FloatMode: 240
; IeeeMode: 1
; LDSByteSize: 4 bytes/workgroup (compile time only)
; SGPRBlocks: 0
; VGPRBlocks: 0
; NumSGPRsForWavesPerEU: 15
; NumVGPRsForWavesPerEU: 7
; NamedBarCnt: 0
; Occupancy: 16
; WaveLimiterHint : 1
; COMPUTE_PGM_RSRC2:SCRATCH_EN: 0
; COMPUTE_PGM_RSRC2:USER_SGPR: 2
; COMPUTE_PGM_RSRC2:TRAP_HANDLER: 0
; COMPUTE_PGM_RSRC2:TGID_X_EN: 1
; COMPUTE_PGM_RSRC2:TGID_Y_EN: 0
; COMPUTE_PGM_RSRC2:TGID_Z_EN: 0
; COMPUTE_PGM_RSRC2:TIDIG_COMP_CNT: 0
	.section	.text._ZN9rocsolver6v33100L18getri_kernel_smallILi2E19rocblas_complex_numIfEPKPS3_EEvT1_iilPiilS8_bb,"axG",@progbits,_ZN9rocsolver6v33100L18getri_kernel_smallILi2E19rocblas_complex_numIfEPKPS3_EEvT1_iilPiilS8_bb,comdat
	.globl	_ZN9rocsolver6v33100L18getri_kernel_smallILi2E19rocblas_complex_numIfEPKPS3_EEvT1_iilPiilS8_bb ; -- Begin function _ZN9rocsolver6v33100L18getri_kernel_smallILi2E19rocblas_complex_numIfEPKPS3_EEvT1_iilPiilS8_bb
	.p2align	8
	.type	_ZN9rocsolver6v33100L18getri_kernel_smallILi2E19rocblas_complex_numIfEPKPS3_EEvT1_iilPiilS8_bb,@function
_ZN9rocsolver6v33100L18getri_kernel_smallILi2E19rocblas_complex_numIfEPKPS3_EEvT1_iilPiilS8_bb: ; @_ZN9rocsolver6v33100L18getri_kernel_smallILi2E19rocblas_complex_numIfEPKPS3_EEvT1_iilPiilS8_bb
; %bb.0:
	s_mov_b32 s2, exec_lo
	v_cmpx_gt_u32_e32 2, v0
	s_cbranch_execz .LBB65_22
; %bb.1:
	s_clause 0x1
	s_load_b32 s13, s[0:1], 0x38
	s_load_b64 s[2:3], s[0:1], 0x0
	s_getreg_b32 s6, hwreg(HW_REG_IB_STS2, 6, 4)
	s_wait_kmcnt 0x0
	s_bitcmp1_b32 s13, 8
	s_cselect_b32 s12, -1, 0
	s_bfe_u32 s4, ttmp6, 0x4000c
	s_and_b32 s5, ttmp6, 15
	s_add_co_i32 s4, s4, 1
	s_delay_alu instid0(SALU_CYCLE_1) | instskip(NEXT) | instid1(SALU_CYCLE_1)
	s_mul_i32 s4, ttmp9, s4
	s_add_co_i32 s5, s5, s4
	s_cmp_eq_u32 s6, 0
	s_cselect_b32 s8, ttmp9, s5
	s_load_b128 s[4:7], s[0:1], 0x28
	s_ashr_i32 s9, s8, 31
	s_delay_alu instid0(SALU_CYCLE_1) | instskip(NEXT) | instid1(SALU_CYCLE_1)
	s_lshl_b64 s[10:11], s[8:9], 3
	s_add_nc_u64 s[2:3], s[2:3], s[10:11]
	s_load_b64 s[10:11], s[2:3], 0x0
	s_wait_xcnt 0x0
	s_bfe_u32 s2, s13, 0x10008
	s_delay_alu instid0(SALU_CYCLE_1)
	s_cmp_eq_u32 s2, 0
                                        ; implicit-def: $sgpr2_sgpr3
	s_cbranch_scc1 .LBB65_3
; %bb.2:
	s_load_b96 s[16:18], s[0:1], 0x18
	s_wait_kmcnt 0x0
	s_mul_u64 s[2:3], s[4:5], s[8:9]
	s_delay_alu instid0(SALU_CYCLE_1) | instskip(SKIP_4) | instid1(SALU_CYCLE_1)
	s_lshl_b64 s[2:3], s[2:3], 2
	s_ashr_i32 s5, s18, 31
	s_mov_b32 s4, s18
	s_add_nc_u64 s[2:3], s[16:17], s[2:3]
	s_lshl_b64 s[4:5], s[4:5], 2
	s_add_nc_u64 s[2:3], s[2:3], s[4:5]
.LBB65_3:
	s_wait_kmcnt 0x0
	s_clause 0x1
	s_load_b64 s[4:5], s[0:1], 0x8
	s_load_b32 s13, s[0:1], 0x38
	v_dual_mov_b32 v3, 0 :: v_dual_lshlrev_b32 v2, 3, v0
	s_wait_kmcnt 0x0
	s_ashr_i32 s1, s4, 31
	s_mov_b32 s0, s4
	s_delay_alu instid0(SALU_CYCLE_1) | instskip(NEXT) | instid1(SALU_CYCLE_1)
	s_lshl_b64 s[0:1], s[0:1], 3
	s_add_nc_u64 s[0:1], s[10:11], s[0:1]
	s_ashr_i32 s11, s5, 31
	v_add_nc_u64_e32 v[4:5], s[0:1], v[2:3]
	s_mov_b32 s10, s5
	s_bitcmp0_b32 s13, 0
	s_delay_alu instid0(VALU_DEP_1)
	v_lshl_add_u64 v[6:7], s[10:11], 3, v[4:5]
	s_clause 0x1
	flat_load_b64 v[8:9], v0, s[0:1] scale_offset
	flat_load_b64 v[10:11], v[6:7]
	s_wait_xcnt 0x1
	s_mov_b32 s1, -1
	s_wait_loadcnt_dscnt 0x0
	scratch_store_b128 off, v[8:11], off
	s_cbranch_scc1 .LBB65_20
; %bb.4:
	v_cmp_eq_u32_e64 s0, 0, v0
	s_wait_xcnt 0x0
	s_and_saveexec_b32 s1, s0
; %bb.5:
	v_mov_b32_e32 v1, 0
	ds_store_b32 v1, v1 offset:32
; %bb.6:
	s_or_b32 exec_lo, exec_lo, s1
	s_wait_storecnt_dscnt 0x0
	s_barrier_signal -1
	s_barrier_wait -1
	scratch_load_b64 v[8:9], v0, off scale_offset
	s_wait_loadcnt 0x0
	v_cmp_eq_f32_e32 vcc_lo, 0, v8
	v_cmp_eq_f32_e64 s1, 0, v9
	s_and_b32 s1, vcc_lo, s1
	s_delay_alu instid0(SALU_CYCLE_1)
	s_and_saveexec_b32 s4, s1
	s_cbranch_execz .LBB65_10
; %bb.7:
	v_mov_b32_e32 v1, 0
	s_mov_b32 s5, 0
	ds_load_b32 v3, v1 offset:32
	s_wait_dscnt 0x0
	v_readfirstlane_b32 s1, v3
	v_add_nc_u32_e32 v3, 1, v0
	s_cmp_eq_u32 s1, 0
	s_delay_alu instid0(VALU_DEP_1) | instskip(SKIP_1) | instid1(SALU_CYCLE_1)
	v_cmp_gt_i32_e32 vcc_lo, s1, v3
	s_cselect_b32 s10, -1, 0
	s_or_b32 s10, s10, vcc_lo
	s_delay_alu instid0(SALU_CYCLE_1)
	s_and_b32 exec_lo, exec_lo, s10
	s_cbranch_execz .LBB65_10
; %bb.8:
	v_mov_b32_e32 v8, s1
.LBB65_9:                               ; =>This Inner Loop Header: Depth=1
	ds_cmpstore_rtn_b32 v8, v1, v3, v8 offset:32
	s_wait_dscnt 0x0
	v_cmp_ne_u32_e32 vcc_lo, 0, v8
	v_cmp_le_i32_e64 s1, v8, v3
	s_and_b32 s1, vcc_lo, s1
	s_delay_alu instid0(SALU_CYCLE_1) | instskip(NEXT) | instid1(SALU_CYCLE_1)
	s_and_b32 s1, exec_lo, s1
	s_or_b32 s5, s1, s5
	s_delay_alu instid0(SALU_CYCLE_1)
	s_and_not1_b32 exec_lo, exec_lo, s5
	s_cbranch_execnz .LBB65_9
.LBB65_10:
	s_or_b32 exec_lo, exec_lo, s4
	v_mov_b32_e32 v1, 0
	s_barrier_signal -1
	s_barrier_wait -1
	ds_load_b32 v3, v1 offset:32
	s_and_saveexec_b32 s1, s0
	s_cbranch_execz .LBB65_12
; %bb.11:
	s_lshl_b64 s[4:5], s[8:9], 2
	s_delay_alu instid0(SALU_CYCLE_1)
	s_add_nc_u64 s[4:5], s[6:7], s[4:5]
	s_wait_dscnt 0x0
	global_store_b32 v1, v3, s[4:5]
.LBB65_12:
	s_wait_xcnt 0x0
	s_or_b32 exec_lo, exec_lo, s1
	s_wait_dscnt 0x0
	v_cmp_ne_u32_e32 vcc_lo, 0, v3
	s_mov_b32 s1, 0
	s_cbranch_vccnz .LBB65_20
; %bb.13:
	v_lshl_add_u32 v1, v0, 3, 0
                                        ; implicit-def: $vgpr11
                                        ; implicit-def: $vgpr12
	scratch_load_b64 v[8:9], v1, off
	s_wait_loadcnt 0x0
	v_cmp_ngt_f32_e64 s1, |v8|, |v9|
	s_wait_xcnt 0x0
	s_and_saveexec_b32 s4, s1
	s_delay_alu instid0(SALU_CYCLE_1)
	s_xor_b32 s1, exec_lo, s4
	s_cbranch_execz .LBB65_15
; %bb.14:
	v_div_scale_f32 v3, null, v9, v9, v8
	v_div_scale_f32 v12, vcc_lo, v8, v9, v8
	s_delay_alu instid0(VALU_DEP_2) | instskip(SKIP_1) | instid1(TRANS32_DEP_1)
	v_rcp_f32_e32 v10, v3
	v_nop
	v_fma_f32 v11, -v3, v10, 1.0
	s_delay_alu instid0(VALU_DEP_1) | instskip(NEXT) | instid1(VALU_DEP_1)
	v_fmac_f32_e32 v10, v11, v10
	v_mul_f32_e32 v11, v12, v10
	s_delay_alu instid0(VALU_DEP_1) | instskip(NEXT) | instid1(VALU_DEP_1)
	v_fma_f32 v13, -v3, v11, v12
	v_fmac_f32_e32 v11, v13, v10
	s_delay_alu instid0(VALU_DEP_1) | instskip(NEXT) | instid1(VALU_DEP_1)
	v_fma_f32 v3, -v3, v11, v12
	v_div_fmas_f32 v3, v3, v10, v11
	s_delay_alu instid0(VALU_DEP_1) | instskip(NEXT) | instid1(VALU_DEP_1)
	v_div_fixup_f32 v3, v3, v9, v8
	v_fmac_f32_e32 v9, v8, v3
	s_delay_alu instid0(VALU_DEP_1) | instskip(NEXT) | instid1(VALU_DEP_1)
	v_div_scale_f32 v8, null, v9, v9, -1.0
	v_rcp_f32_e32 v10, v8
	v_nop
	s_delay_alu instid0(TRANS32_DEP_1) | instskip(NEXT) | instid1(VALU_DEP_1)
	v_fma_f32 v11, -v8, v10, 1.0
	v_fmac_f32_e32 v10, v11, v10
	v_div_scale_f32 v11, vcc_lo, -1.0, v9, -1.0
	s_delay_alu instid0(VALU_DEP_1) | instskip(NEXT) | instid1(VALU_DEP_1)
	v_mul_f32_e32 v12, v11, v10
	v_fma_f32 v13, -v8, v12, v11
	s_delay_alu instid0(VALU_DEP_1) | instskip(NEXT) | instid1(VALU_DEP_1)
	v_fmac_f32_e32 v12, v13, v10
	v_fma_f32 v8, -v8, v12, v11
	s_delay_alu instid0(VALU_DEP_1) | instskip(NEXT) | instid1(VALU_DEP_1)
	v_div_fmas_f32 v8, v8, v10, v12
	v_div_fixup_f32 v11, v8, v9, -1.0
                                        ; implicit-def: $vgpr8_vgpr9
	s_delay_alu instid0(VALU_DEP_1) | instskip(NEXT) | instid1(VALU_DEP_1)
	v_mul_f32_e32 v12, v3, v11
	v_xor_b32_e32 v10, 0x80000000, v12
.LBB65_15:
	s_and_not1_saveexec_b32 s1, s1
	s_cbranch_execz .LBB65_17
; %bb.16:
	v_div_scale_f32 v3, null, v8, v8, v9
	v_div_scale_f32 v12, vcc_lo, v9, v8, v9
	s_delay_alu instid0(VALU_DEP_2) | instskip(SKIP_1) | instid1(TRANS32_DEP_1)
	v_rcp_f32_e32 v10, v3
	v_nop
	v_fma_f32 v11, -v3, v10, 1.0
	s_delay_alu instid0(VALU_DEP_1) | instskip(NEXT) | instid1(VALU_DEP_1)
	v_fmac_f32_e32 v10, v11, v10
	v_mul_f32_e32 v11, v12, v10
	s_delay_alu instid0(VALU_DEP_1) | instskip(NEXT) | instid1(VALU_DEP_1)
	v_fma_f32 v13, -v3, v11, v12
	v_fmac_f32_e32 v11, v13, v10
	s_delay_alu instid0(VALU_DEP_1) | instskip(NEXT) | instid1(VALU_DEP_1)
	v_fma_f32 v3, -v3, v11, v12
	v_div_fmas_f32 v3, v3, v10, v11
	s_delay_alu instid0(VALU_DEP_1) | instskip(NEXT) | instid1(VALU_DEP_1)
	v_div_fixup_f32 v3, v3, v8, v9
	v_fmac_f32_e32 v8, v9, v3
	s_delay_alu instid0(VALU_DEP_1) | instskip(SKIP_1) | instid1(VALU_DEP_2)
	v_div_scale_f32 v9, null, v8, v8, 1.0
	v_div_scale_f32 v12, vcc_lo, 1.0, v8, 1.0
	v_rcp_f32_e32 v10, v9
	v_nop
	s_delay_alu instid0(TRANS32_DEP_1) | instskip(NEXT) | instid1(VALU_DEP_1)
	v_fma_f32 v11, -v9, v10, 1.0
	v_fmac_f32_e32 v10, v11, v10
	s_delay_alu instid0(VALU_DEP_1) | instskip(NEXT) | instid1(VALU_DEP_1)
	v_mul_f32_e32 v11, v12, v10
	v_fma_f32 v13, -v9, v11, v12
	s_delay_alu instid0(VALU_DEP_1) | instskip(NEXT) | instid1(VALU_DEP_1)
	v_fmac_f32_e32 v11, v13, v10
	v_fma_f32 v9, -v9, v11, v12
	s_delay_alu instid0(VALU_DEP_1) | instskip(NEXT) | instid1(VALU_DEP_1)
	v_div_fmas_f32 v9, v9, v10, v11
	v_div_fixup_f32 v10, v9, v8, 1.0
	s_delay_alu instid0(VALU_DEP_1)
	v_xor_b32_e32 v12, 0x80000000, v10
	v_mul_f32_e64 v11, v3, -v10
.LBB65_17:
	s_or_b32 exec_lo, exec_lo, s1
	scratch_store_b64 v1, v[10:11], off
	scratch_load_b64 v[8:9], off, off offset:8
	v_xor_b32_e32 v13, 0x80000000, v11
	s_wait_loadcnt 0x0
	ds_store_2addr_b64 v2, v[12:13], v[8:9] offset1:2
	s_wait_storecnt_dscnt 0x0
	s_barrier_signal -1
	s_barrier_wait -1
	s_wait_xcnt 0x0
	s_and_saveexec_b32 s1, s0
	s_cbranch_execz .LBB65_19
; %bb.18:
	scratch_load_b64 v[2:3], off, off
	v_mov_b32_e32 v1, 0
	ds_load_2addr_b64 v[8:11], v1 offset0:1 offset1:2
	s_wait_loadcnt_dscnt 0x0
	v_pk_mul_f32 v[12:13], v[10:11], v[2:3] op_sel:[1,1] op_sel_hi:[0,1]
	s_delay_alu instid0(VALU_DEP_1) | instskip(SKIP_1) | instid1(VALU_DEP_2)
	v_pk_fma_f32 v[14:15], v[10:11], v[2:3], v[12:13] op_sel_hi:[1,0,1]
	v_pk_fma_f32 v[2:3], v[10:11], v[2:3], v[12:13] neg_lo:[0,0,1] neg_hi:[0,0,1]
	v_mov_b32_e32 v3, v15
	s_delay_alu instid0(VALU_DEP_1) | instskip(NEXT) | instid1(VALU_DEP_1)
	v_pk_add_f32 v[2:3], v[2:3], 0 op_sel_hi:[1,0]
	v_pk_mul_f32 v[10:11], v[2:3], v[8:9] op_sel:[1,1] op_sel_hi:[0,1]
	s_delay_alu instid0(VALU_DEP_1) | instskip(SKIP_1) | instid1(VALU_DEP_2)
	v_pk_fma_f32 v[12:13], v[2:3], v[8:9], v[10:11] op_sel_hi:[1,0,1]
	v_pk_fma_f32 v[2:3], v[2:3], v[8:9], v[10:11] neg_lo:[0,0,1] neg_hi:[0,0,1]
	v_mov_b32_e32 v3, v13
	scratch_store_b64 off, v[2:3], off offset:8
.LBB65_19:
	s_wait_xcnt 0x0
	s_or_b32 exec_lo, exec_lo, s1
	s_mov_b32 s1, -1
	s_wait_storecnt 0x0
	s_barrier_signal -1
	s_barrier_wait -1
.LBB65_20:
	s_and_b32 vcc_lo, exec_lo, s1
	s_cbranch_vccz .LBB65_22
; %bb.21:
	v_mov_b32_e32 v1, 0
	s_lshl_b64 s[0:1], s[8:9], 2
	s_delay_alu instid0(SALU_CYCLE_1)
	s_add_nc_u64 s[0:1], s[6:7], s[0:1]
	global_load_b32 v1, v1, s[0:1]
	s_wait_loadcnt 0x0
	v_cmp_ne_u32_e32 vcc_lo, 0, v1
	s_cbranch_vccz .LBB65_23
.LBB65_22:
	s_endpgm
.LBB65_23:
	s_wait_xcnt 0x0
	s_mov_b32 s0, exec_lo
	v_cmpx_eq_u32_e32 1, v0
	s_cbranch_execz .LBB65_25
; %bb.24:
	scratch_load_b64 v[0:1], off, off
	v_mov_b64_e32 v[2:3], 0
	v_mov_b32_e32 v8, 0
	scratch_store_b64 off, v[2:3], off
	s_wait_loadcnt 0x0
	ds_store_b64 v8, v[0:1] offset:24
.LBB65_25:
	s_wait_xcnt 0x0
	s_or_b32 exec_lo, exec_lo, s0
	s_wait_storecnt_dscnt 0x0
	s_barrier_signal -1
	s_barrier_wait -1
	s_clause 0x1
	scratch_load_b64 v[2:3], off, off offset:8
	scratch_load_b64 v[0:1], off, off
	v_mov_b32_e32 v8, 0
	s_and_b32 vcc_lo, exec_lo, s12
	ds_load_b64 v[10:11], v8 offset:24
	s_wait_loadcnt_dscnt 0x100
	v_pk_mul_f32 v[12:13], v[10:11], v[2:3] op_sel:[1,1] op_sel_hi:[0,1]
	s_delay_alu instid0(VALU_DEP_1) | instskip(SKIP_1) | instid1(VALU_DEP_2)
	v_pk_fma_f32 v[14:15], v[10:11], v[2:3], v[12:13] op_sel_hi:[1,0,1]
	v_pk_fma_f32 v[10:11], v[10:11], v[2:3], v[12:13] neg_lo:[0,0,1] neg_hi:[0,0,1]
	v_mov_b32_e32 v11, v15
	s_delay_alu instid0(VALU_DEP_1) | instskip(SKIP_1) | instid1(VALU_DEP_1)
	v_pk_add_f32 v[10:11], v[10:11], 0 op_sel_hi:[1,0]
	s_wait_loadcnt 0x0
	v_pk_add_f32 v[0:1], v[0:1], v[10:11] neg_lo:[0,1] neg_hi:[0,1]
	scratch_store_b64 off, v[0:1], off
	s_cbranch_vccz .LBB65_28
; %bb.26:
	global_load_b32 v8, v8, s[2:3]
	s_wait_loadcnt 0x0
	v_cmp_ne_u32_e32 vcc_lo, 1, v8
	s_cbranch_vccz .LBB65_28
; %bb.27:
	v_lshlrev_b32_e32 v2, 3, v8
	s_wait_xcnt 0x0
	s_delay_alu instid0(VALU_DEP_1)
	v_mov_b32_e32 v8, v2
	scratch_load_b64 v[2:3], v8, off offset:-8
	s_wait_loadcnt 0x0
	scratch_store_b64 off, v[2:3], off
	scratch_store_b64 v8, v[0:1], off offset:-8
	scratch_load_b128 v[0:3], off, off
.LBB65_28:
	s_wait_loadcnt 0x0
	s_clause 0x1
	flat_store_b64 v[4:5], v[0:1]
	flat_store_b64 v[6:7], v[2:3]
	s_endpgm
	.section	.rodata,"a",@progbits
	.p2align	6, 0x0
	.amdhsa_kernel _ZN9rocsolver6v33100L18getri_kernel_smallILi2E19rocblas_complex_numIfEPKPS3_EEvT1_iilPiilS8_bb
		.amdhsa_group_segment_fixed_size 36
		.amdhsa_private_segment_fixed_size 32
		.amdhsa_kernarg_size 60
		.amdhsa_user_sgpr_count 2
		.amdhsa_user_sgpr_dispatch_ptr 0
		.amdhsa_user_sgpr_queue_ptr 0
		.amdhsa_user_sgpr_kernarg_segment_ptr 1
		.amdhsa_user_sgpr_dispatch_id 0
		.amdhsa_user_sgpr_kernarg_preload_length 0
		.amdhsa_user_sgpr_kernarg_preload_offset 0
		.amdhsa_user_sgpr_private_segment_size 0
		.amdhsa_wavefront_size32 1
		.amdhsa_uses_dynamic_stack 0
		.amdhsa_enable_private_segment 1
		.amdhsa_system_sgpr_workgroup_id_x 1
		.amdhsa_system_sgpr_workgroup_id_y 0
		.amdhsa_system_sgpr_workgroup_id_z 0
		.amdhsa_system_sgpr_workgroup_info 0
		.amdhsa_system_vgpr_workitem_id 0
		.amdhsa_next_free_vgpr 16
		.amdhsa_next_free_sgpr 19
		.amdhsa_named_barrier_count 0
		.amdhsa_reserve_vcc 1
		.amdhsa_float_round_mode_32 0
		.amdhsa_float_round_mode_16_64 0
		.amdhsa_float_denorm_mode_32 3
		.amdhsa_float_denorm_mode_16_64 3
		.amdhsa_fp16_overflow 0
		.amdhsa_memory_ordered 1
		.amdhsa_forward_progress 1
		.amdhsa_inst_pref_size 14
		.amdhsa_round_robin_scheduling 0
		.amdhsa_exception_fp_ieee_invalid_op 0
		.amdhsa_exception_fp_denorm_src 0
		.amdhsa_exception_fp_ieee_div_zero 0
		.amdhsa_exception_fp_ieee_overflow 0
		.amdhsa_exception_fp_ieee_underflow 0
		.amdhsa_exception_fp_ieee_inexact 0
		.amdhsa_exception_int_div_zero 0
	.end_amdhsa_kernel
	.section	.text._ZN9rocsolver6v33100L18getri_kernel_smallILi2E19rocblas_complex_numIfEPKPS3_EEvT1_iilPiilS8_bb,"axG",@progbits,_ZN9rocsolver6v33100L18getri_kernel_smallILi2E19rocblas_complex_numIfEPKPS3_EEvT1_iilPiilS8_bb,comdat
.Lfunc_end65:
	.size	_ZN9rocsolver6v33100L18getri_kernel_smallILi2E19rocblas_complex_numIfEPKPS3_EEvT1_iilPiilS8_bb, .Lfunc_end65-_ZN9rocsolver6v33100L18getri_kernel_smallILi2E19rocblas_complex_numIfEPKPS3_EEvT1_iilPiilS8_bb
                                        ; -- End function
	.set _ZN9rocsolver6v33100L18getri_kernel_smallILi2E19rocblas_complex_numIfEPKPS3_EEvT1_iilPiilS8_bb.num_vgpr, 16
	.set _ZN9rocsolver6v33100L18getri_kernel_smallILi2E19rocblas_complex_numIfEPKPS3_EEvT1_iilPiilS8_bb.num_agpr, 0
	.set _ZN9rocsolver6v33100L18getri_kernel_smallILi2E19rocblas_complex_numIfEPKPS3_EEvT1_iilPiilS8_bb.numbered_sgpr, 19
	.set _ZN9rocsolver6v33100L18getri_kernel_smallILi2E19rocblas_complex_numIfEPKPS3_EEvT1_iilPiilS8_bb.num_named_barrier, 0
	.set _ZN9rocsolver6v33100L18getri_kernel_smallILi2E19rocblas_complex_numIfEPKPS3_EEvT1_iilPiilS8_bb.private_seg_size, 32
	.set _ZN9rocsolver6v33100L18getri_kernel_smallILi2E19rocblas_complex_numIfEPKPS3_EEvT1_iilPiilS8_bb.uses_vcc, 1
	.set _ZN9rocsolver6v33100L18getri_kernel_smallILi2E19rocblas_complex_numIfEPKPS3_EEvT1_iilPiilS8_bb.uses_flat_scratch, 1
	.set _ZN9rocsolver6v33100L18getri_kernel_smallILi2E19rocblas_complex_numIfEPKPS3_EEvT1_iilPiilS8_bb.has_dyn_sized_stack, 0
	.set _ZN9rocsolver6v33100L18getri_kernel_smallILi2E19rocblas_complex_numIfEPKPS3_EEvT1_iilPiilS8_bb.has_recursion, 0
	.set _ZN9rocsolver6v33100L18getri_kernel_smallILi2E19rocblas_complex_numIfEPKPS3_EEvT1_iilPiilS8_bb.has_indirect_call, 0
	.section	.AMDGPU.csdata,"",@progbits
; Kernel info:
; codeLenInByte = 1692
; TotalNumSgprs: 21
; NumVgprs: 16
; ScratchSize: 32
; MemoryBound: 0
; FloatMode: 240
; IeeeMode: 1
; LDSByteSize: 36 bytes/workgroup (compile time only)
; SGPRBlocks: 0
; VGPRBlocks: 0
; NumSGPRsForWavesPerEU: 21
; NumVGPRsForWavesPerEU: 16
; NamedBarCnt: 0
; Occupancy: 16
; WaveLimiterHint : 1
; COMPUTE_PGM_RSRC2:SCRATCH_EN: 1
; COMPUTE_PGM_RSRC2:USER_SGPR: 2
; COMPUTE_PGM_RSRC2:TRAP_HANDLER: 0
; COMPUTE_PGM_RSRC2:TGID_X_EN: 1
; COMPUTE_PGM_RSRC2:TGID_Y_EN: 0
; COMPUTE_PGM_RSRC2:TGID_Z_EN: 0
; COMPUTE_PGM_RSRC2:TIDIG_COMP_CNT: 0
	.section	.text._ZN9rocsolver6v33100L18getri_kernel_smallILi3E19rocblas_complex_numIfEPKPS3_EEvT1_iilPiilS8_bb,"axG",@progbits,_ZN9rocsolver6v33100L18getri_kernel_smallILi3E19rocblas_complex_numIfEPKPS3_EEvT1_iilPiilS8_bb,comdat
	.globl	_ZN9rocsolver6v33100L18getri_kernel_smallILi3E19rocblas_complex_numIfEPKPS3_EEvT1_iilPiilS8_bb ; -- Begin function _ZN9rocsolver6v33100L18getri_kernel_smallILi3E19rocblas_complex_numIfEPKPS3_EEvT1_iilPiilS8_bb
	.p2align	8
	.type	_ZN9rocsolver6v33100L18getri_kernel_smallILi3E19rocblas_complex_numIfEPKPS3_EEvT1_iilPiilS8_bb,@function
_ZN9rocsolver6v33100L18getri_kernel_smallILi3E19rocblas_complex_numIfEPKPS3_EEvT1_iilPiilS8_bb: ; @_ZN9rocsolver6v33100L18getri_kernel_smallILi3E19rocblas_complex_numIfEPKPS3_EEvT1_iilPiilS8_bb
; %bb.0:
	s_mov_b32 s2, exec_lo
	v_cmpx_gt_u32_e32 3, v0
	s_cbranch_execz .LBB66_26
; %bb.1:
	s_clause 0x1
	s_load_b32 s13, s[0:1], 0x38
	s_load_b64 s[2:3], s[0:1], 0x0
	s_getreg_b32 s6, hwreg(HW_REG_IB_STS2, 6, 4)
	s_wait_kmcnt 0x0
	s_bitcmp1_b32 s13, 8
	s_cselect_b32 s12, -1, 0
	s_bfe_u32 s4, ttmp6, 0x4000c
	s_and_b32 s5, ttmp6, 15
	s_add_co_i32 s4, s4, 1
	s_delay_alu instid0(SALU_CYCLE_1) | instskip(NEXT) | instid1(SALU_CYCLE_1)
	s_mul_i32 s4, ttmp9, s4
	s_add_co_i32 s5, s5, s4
	s_cmp_eq_u32 s6, 0
	s_cselect_b32 s10, ttmp9, s5
	s_load_b128 s[4:7], s[0:1], 0x28
	s_ashr_i32 s11, s10, 31
	s_delay_alu instid0(SALU_CYCLE_1) | instskip(NEXT) | instid1(SALU_CYCLE_1)
	s_lshl_b64 s[8:9], s[10:11], 3
	s_add_nc_u64 s[2:3], s[2:3], s[8:9]
	s_bfe_u32 s8, s13, 0x10008
	s_load_b64 s[2:3], s[2:3], 0x0
	s_cmp_eq_u32 s8, 0
                                        ; implicit-def: $sgpr8_sgpr9
	s_cbranch_scc1 .LBB66_3
; %bb.2:
	s_load_b96 s[16:18], s[0:1], 0x18
	s_wait_kmcnt 0x0
	s_mul_u64 s[4:5], s[4:5], s[10:11]
	s_delay_alu instid0(SALU_CYCLE_1) | instskip(SKIP_4) | instid1(SALU_CYCLE_1)
	s_lshl_b64 s[4:5], s[4:5], 2
	s_ashr_i32 s9, s18, 31
	s_mov_b32 s8, s18
	s_add_nc_u64 s[4:5], s[16:17], s[4:5]
	s_lshl_b64 s[8:9], s[8:9], 2
	s_add_nc_u64 s[8:9], s[4:5], s[8:9]
.LBB66_3:
	s_wait_kmcnt 0x0
	s_clause 0x1
	s_load_b64 s[4:5], s[0:1], 0x8
	s_load_b32 s13, s[0:1], 0x38
	v_dual_mov_b32 v3, 0 :: v_dual_lshlrev_b32 v2, 3, v0
	s_wait_kmcnt 0x0
	s_ashr_i32 s1, s4, 31
	s_mov_b32 s0, s4
	v_add3_u32 v8, s5, s5, v0
	s_lshl_b64 s[0:1], s[0:1], 3
	s_delay_alu instid0(SALU_CYCLE_1) | instskip(SKIP_4) | instid1(VALU_DEP_1)
	s_add_nc_u64 s[2:3], s[2:3], s[0:1]
	s_ashr_i32 s1, s5, 31
	v_add_nc_u64_e32 v[4:5], s[2:3], v[2:3]
	s_mov_b32 s0, s5
	s_bitcmp0_b32 s13, 0
	v_lshl_add_u64 v[6:7], s[0:1], 3, v[4:5]
	s_mov_b32 s1, -1
	s_clause 0x2
	flat_load_b64 v[10:11], v0, s[2:3] scale_offset
	flat_load_b64 v[12:13], v[6:7]
	flat_load_b64 v[14:15], v8, s[2:3] scale_offset
	s_wait_loadcnt_dscnt 0x101
	scratch_store_b128 off, v[10:13], off
	s_wait_loadcnt_dscnt 0x0
	scratch_store_b64 off, v[14:15], off offset:16
	s_cbranch_scc1 .LBB66_24
; %bb.4:
	v_cmp_eq_u32_e64 s0, 0, v0
	s_wait_xcnt 0x0
	s_and_saveexec_b32 s1, s0
; %bb.5:
	v_mov_b32_e32 v1, 0
	ds_store_b32 v1, v1 offset:24
; %bb.6:
	s_or_b32 exec_lo, exec_lo, s1
	s_wait_storecnt_dscnt 0x0
	s_barrier_signal -1
	s_barrier_wait -1
	scratch_load_b64 v[10:11], v0, off scale_offset
	s_wait_loadcnt 0x0
	v_cmp_eq_f32_e32 vcc_lo, 0, v10
	v_cmp_eq_f32_e64 s1, 0, v11
	s_and_b32 s1, vcc_lo, s1
	s_delay_alu instid0(SALU_CYCLE_1)
	s_and_saveexec_b32 s4, s1
	s_cbranch_execz .LBB66_10
; %bb.7:
	v_mov_b32_e32 v1, 0
	s_mov_b32 s5, 0
	ds_load_b32 v3, v1 offset:24
	s_wait_dscnt 0x0
	v_readfirstlane_b32 s1, v3
	v_add_nc_u32_e32 v3, 1, v0
	s_cmp_eq_u32 s1, 0
	s_delay_alu instid0(VALU_DEP_1) | instskip(SKIP_1) | instid1(SALU_CYCLE_1)
	v_cmp_gt_i32_e32 vcc_lo, s1, v3
	s_cselect_b32 s13, -1, 0
	s_or_b32 s13, s13, vcc_lo
	s_delay_alu instid0(SALU_CYCLE_1)
	s_and_b32 exec_lo, exec_lo, s13
	s_cbranch_execz .LBB66_10
; %bb.8:
	v_mov_b32_e32 v9, s1
.LBB66_9:                               ; =>This Inner Loop Header: Depth=1
	ds_cmpstore_rtn_b32 v9, v1, v3, v9 offset:24
	s_wait_dscnt 0x0
	v_cmp_ne_u32_e32 vcc_lo, 0, v9
	v_cmp_le_i32_e64 s1, v9, v3
	s_and_b32 s1, vcc_lo, s1
	s_delay_alu instid0(SALU_CYCLE_1) | instskip(NEXT) | instid1(SALU_CYCLE_1)
	s_and_b32 s1, exec_lo, s1
	s_or_b32 s5, s1, s5
	s_delay_alu instid0(SALU_CYCLE_1)
	s_and_not1_b32 exec_lo, exec_lo, s5
	s_cbranch_execnz .LBB66_9
.LBB66_10:
	s_or_b32 exec_lo, exec_lo, s4
	v_mov_b32_e32 v1, 0
	s_barrier_signal -1
	s_barrier_wait -1
	ds_load_b32 v3, v1 offset:24
	s_and_saveexec_b32 s1, s0
	s_cbranch_execz .LBB66_12
; %bb.11:
	s_lshl_b64 s[4:5], s[10:11], 2
	s_delay_alu instid0(SALU_CYCLE_1)
	s_add_nc_u64 s[4:5], s[6:7], s[4:5]
	s_wait_dscnt 0x0
	global_store_b32 v1, v3, s[4:5]
.LBB66_12:
	s_wait_xcnt 0x0
	s_or_b32 exec_lo, exec_lo, s1
	s_wait_dscnt 0x0
	v_cmp_ne_u32_e32 vcc_lo, 0, v3
	s_mov_b32 s1, 0
	s_cbranch_vccnz .LBB66_24
; %bb.13:
	v_lshl_add_u32 v1, v0, 3, 0
                                        ; implicit-def: $vgpr13
                                        ; implicit-def: $vgpr14
	scratch_load_b64 v[10:11], v1, off
	s_wait_loadcnt 0x0
	v_cmp_ngt_f32_e64 s1, |v10|, |v11|
	s_wait_xcnt 0x0
	s_and_saveexec_b32 s4, s1
	s_delay_alu instid0(SALU_CYCLE_1)
	s_xor_b32 s1, exec_lo, s4
	s_cbranch_execz .LBB66_15
; %bb.14:
	v_div_scale_f32 v3, null, v11, v11, v10
	v_div_scale_f32 v13, vcc_lo, v10, v11, v10
	s_delay_alu instid0(VALU_DEP_2) | instskip(SKIP_1) | instid1(TRANS32_DEP_1)
	v_rcp_f32_e32 v9, v3
	v_nop
	v_fma_f32 v12, -v3, v9, 1.0
	s_delay_alu instid0(VALU_DEP_1) | instskip(NEXT) | instid1(VALU_DEP_1)
	v_fmac_f32_e32 v9, v12, v9
	v_mul_f32_e32 v12, v13, v9
	s_delay_alu instid0(VALU_DEP_1) | instskip(NEXT) | instid1(VALU_DEP_1)
	v_fma_f32 v14, -v3, v12, v13
	v_fmac_f32_e32 v12, v14, v9
	s_delay_alu instid0(VALU_DEP_1) | instskip(NEXT) | instid1(VALU_DEP_1)
	v_fma_f32 v3, -v3, v12, v13
	v_div_fmas_f32 v3, v3, v9, v12
	s_delay_alu instid0(VALU_DEP_1) | instskip(NEXT) | instid1(VALU_DEP_1)
	v_div_fixup_f32 v3, v3, v11, v10
	v_fmac_f32_e32 v11, v10, v3
	s_delay_alu instid0(VALU_DEP_1) | instskip(NEXT) | instid1(VALU_DEP_1)
	v_div_scale_f32 v9, null, v11, v11, -1.0
	v_rcp_f32_e32 v10, v9
	v_nop
	s_delay_alu instid0(TRANS32_DEP_1) | instskip(NEXT) | instid1(VALU_DEP_1)
	v_fma_f32 v12, -v9, v10, 1.0
	v_fmac_f32_e32 v10, v12, v10
	v_div_scale_f32 v12, vcc_lo, -1.0, v11, -1.0
	s_delay_alu instid0(VALU_DEP_1) | instskip(NEXT) | instid1(VALU_DEP_1)
	v_mul_f32_e32 v13, v12, v10
	v_fma_f32 v14, -v9, v13, v12
	s_delay_alu instid0(VALU_DEP_1) | instskip(NEXT) | instid1(VALU_DEP_1)
	v_fmac_f32_e32 v13, v14, v10
	v_fma_f32 v9, -v9, v13, v12
	s_delay_alu instid0(VALU_DEP_1) | instskip(NEXT) | instid1(VALU_DEP_1)
	v_div_fmas_f32 v9, v9, v10, v13
	v_div_fixup_f32 v13, v9, v11, -1.0
                                        ; implicit-def: $vgpr10_vgpr11
	s_delay_alu instid0(VALU_DEP_1) | instskip(NEXT) | instid1(VALU_DEP_1)
	v_mul_f32_e32 v14, v3, v13
	v_xor_b32_e32 v12, 0x80000000, v14
.LBB66_15:
	s_and_not1_saveexec_b32 s1, s1
	s_cbranch_execz .LBB66_17
; %bb.16:
	v_div_scale_f32 v3, null, v10, v10, v11
	v_div_scale_f32 v13, vcc_lo, v11, v10, v11
	s_delay_alu instid0(VALU_DEP_2) | instskip(SKIP_1) | instid1(TRANS32_DEP_1)
	v_rcp_f32_e32 v9, v3
	v_nop
	v_fma_f32 v12, -v3, v9, 1.0
	s_delay_alu instid0(VALU_DEP_1) | instskip(NEXT) | instid1(VALU_DEP_1)
	v_fmac_f32_e32 v9, v12, v9
	v_mul_f32_e32 v12, v13, v9
	s_delay_alu instid0(VALU_DEP_1) | instskip(NEXT) | instid1(VALU_DEP_1)
	v_fma_f32 v14, -v3, v12, v13
	v_fmac_f32_e32 v12, v14, v9
	s_delay_alu instid0(VALU_DEP_1) | instskip(NEXT) | instid1(VALU_DEP_1)
	v_fma_f32 v3, -v3, v12, v13
	v_div_fmas_f32 v3, v3, v9, v12
	s_delay_alu instid0(VALU_DEP_1) | instskip(NEXT) | instid1(VALU_DEP_1)
	v_div_fixup_f32 v3, v3, v10, v11
	v_fmac_f32_e32 v10, v11, v3
	s_delay_alu instid0(VALU_DEP_1) | instskip(SKIP_1) | instid1(VALU_DEP_2)
	v_div_scale_f32 v9, null, v10, v10, 1.0
	v_div_scale_f32 v13, vcc_lo, 1.0, v10, 1.0
	v_rcp_f32_e32 v11, v9
	v_nop
	s_delay_alu instid0(TRANS32_DEP_1) | instskip(NEXT) | instid1(VALU_DEP_1)
	v_fma_f32 v12, -v9, v11, 1.0
	v_fmac_f32_e32 v11, v12, v11
	s_delay_alu instid0(VALU_DEP_1) | instskip(NEXT) | instid1(VALU_DEP_1)
	v_mul_f32_e32 v12, v13, v11
	v_fma_f32 v14, -v9, v12, v13
	s_delay_alu instid0(VALU_DEP_1) | instskip(NEXT) | instid1(VALU_DEP_1)
	v_fmac_f32_e32 v12, v14, v11
	v_fma_f32 v9, -v9, v12, v13
	s_delay_alu instid0(VALU_DEP_1) | instskip(NEXT) | instid1(VALU_DEP_1)
	v_div_fmas_f32 v9, v9, v11, v12
	v_div_fixup_f32 v12, v9, v10, 1.0
	s_delay_alu instid0(VALU_DEP_1)
	v_xor_b32_e32 v14, 0x80000000, v12
	v_mul_f32_e64 v13, v3, -v12
.LBB66_17:
	s_or_b32 exec_lo, exec_lo, s1
	scratch_store_b64 v1, v[12:13], off
	scratch_load_b64 v[10:11], off, off offset:8
	v_xor_b32_e32 v15, 0x80000000, v13
	v_add_nc_u32_e32 v3, 32, v2
	s_wait_loadcnt 0x0
	ds_store_2addr_b64 v2, v[14:15], v[10:11] offset1:4
	s_wait_storecnt_dscnt 0x0
	s_barrier_signal -1
	s_barrier_wait -1
	s_wait_xcnt 0x0
	s_and_saveexec_b32 s1, s0
	s_cbranch_execz .LBB66_19
; %bb.18:
	scratch_load_b64 v[10:11], v1, off
	ds_load_b64 v[12:13], v3
	v_mov_b32_e32 v2, 0
	ds_load_b64 v[14:15], v2 offset:8
	s_wait_loadcnt_dscnt 0x1
	v_pk_mul_f32 v[16:17], v[12:13], v[10:11] op_sel:[1,1] op_sel_hi:[0,1]
	s_delay_alu instid0(VALU_DEP_1) | instskip(SKIP_1) | instid1(VALU_DEP_2)
	v_pk_fma_f32 v[18:19], v[12:13], v[10:11], v[16:17] op_sel_hi:[1,0,1]
	v_pk_fma_f32 v[10:11], v[12:13], v[10:11], v[16:17] neg_lo:[0,0,1] neg_hi:[0,0,1]
	v_mov_b32_e32 v11, v19
	s_delay_alu instid0(VALU_DEP_1) | instskip(SKIP_1) | instid1(VALU_DEP_1)
	v_pk_add_f32 v[10:11], v[10:11], 0 op_sel_hi:[1,0]
	s_wait_dscnt 0x0
	v_pk_mul_f32 v[12:13], v[10:11], v[14:15] op_sel:[1,1] op_sel_hi:[0,1]
	s_delay_alu instid0(VALU_DEP_1) | instskip(SKIP_1) | instid1(VALU_DEP_2)
	v_pk_fma_f32 v[16:17], v[10:11], v[14:15], v[12:13] op_sel_hi:[1,0,1]
	v_pk_fma_f32 v[10:11], v[10:11], v[14:15], v[12:13] neg_lo:[0,0,1] neg_hi:[0,0,1]
	v_mov_b32_e32 v11, v17
	scratch_store_b64 off, v[10:11], off offset:8
.LBB66_19:
	s_wait_xcnt 0x0
	s_or_b32 exec_lo, exec_lo, s1
	s_wait_storecnt 0x0
	s_barrier_signal -1
	s_barrier_wait -1
	scratch_load_b64 v[10:11], off, off offset:16
	s_mov_b32 s1, exec_lo
	s_wait_loadcnt 0x0
	ds_store_b64 v3, v[10:11]
	s_wait_dscnt 0x0
	s_barrier_signal -1
	s_barrier_wait -1
	v_cmpx_ne_u32_e32 2, v0
	s_cbranch_execz .LBB66_23
; %bb.20:
	scratch_load_b64 v[10:11], v1, off
	ds_load_b64 v[2:3], v3
	s_wait_loadcnt_dscnt 0x0
	v_pk_mul_f32 v[12:13], v[2:3], v[10:11] op_sel:[1,1] op_sel_hi:[0,1]
	s_delay_alu instid0(VALU_DEP_1) | instskip(SKIP_1) | instid1(VALU_DEP_2)
	v_pk_fma_f32 v[14:15], v[2:3], v[10:11], v[12:13] op_sel_hi:[1,0,1]
	v_pk_fma_f32 v[2:3], v[2:3], v[10:11], v[12:13] neg_lo:[0,0,1] neg_hi:[0,0,1]
	v_mov_b32_e32 v3, v15
	s_delay_alu instid0(VALU_DEP_1)
	v_pk_add_f32 v[2:3], v[2:3], 0 op_sel_hi:[1,0]
	s_and_saveexec_b32 s4, s0
	s_cbranch_execz .LBB66_22
; %bb.21:
	scratch_load_b64 v[10:11], off, off offset:8
	v_mov_b32_e32 v1, 0
	ds_load_b64 v[12:13], v1 offset:40
	s_wait_loadcnt_dscnt 0x0
	v_pk_mul_f32 v[14:15], v[12:13], v[10:11] op_sel:[1,1] op_sel_hi:[0,1]
	s_delay_alu instid0(VALU_DEP_1) | instskip(SKIP_1) | instid1(VALU_DEP_2)
	v_pk_fma_f32 v[16:17], v[12:13], v[10:11], v[14:15] op_sel_hi:[1,0,1]
	v_pk_fma_f32 v[10:11], v[12:13], v[10:11], v[14:15] neg_lo:[0,0,1] neg_hi:[0,0,1]
	v_mov_b32_e32 v11, v17
	s_delay_alu instid0(VALU_DEP_1)
	v_pk_add_f32 v[2:3], v[2:3], v[10:11]
.LBB66_22:
	s_or_b32 exec_lo, exec_lo, s4
	v_mov_b32_e32 v1, 0
	ds_load_b64 v[10:11], v1 offset:16
	s_wait_dscnt 0x0
	v_pk_mul_f32 v[12:13], v[2:3], v[10:11] op_sel:[1,1] op_sel_hi:[0,1]
	s_delay_alu instid0(VALU_DEP_1) | instskip(SKIP_1) | instid1(VALU_DEP_2)
	v_pk_fma_f32 v[14:15], v[2:3], v[10:11], v[12:13] op_sel_hi:[1,0,1]
	v_pk_fma_f32 v[2:3], v[2:3], v[10:11], v[12:13] neg_lo:[0,0,1] neg_hi:[0,0,1]
	v_mov_b32_e32 v3, v15
	scratch_store_b64 off, v[2:3], off offset:16
.LBB66_23:
	s_wait_xcnt 0x0
	s_or_b32 exec_lo, exec_lo, s1
	s_mov_b32 s1, -1
	s_wait_storecnt 0x0
	s_barrier_signal -1
	s_barrier_wait -1
.LBB66_24:
	s_and_b32 vcc_lo, exec_lo, s1
	s_cbranch_vccz .LBB66_26
; %bb.25:
	v_mov_b32_e32 v1, 0
	s_lshl_b64 s[0:1], s[10:11], 2
	s_delay_alu instid0(SALU_CYCLE_1)
	s_add_nc_u64 s[0:1], s[6:7], s[0:1]
	global_load_b32 v1, v1, s[0:1]
	s_wait_loadcnt 0x0
	v_cmp_ne_u32_e32 vcc_lo, 0, v1
	s_cbranch_vccz .LBB66_27
.LBB66_26:
	s_endpgm
.LBB66_27:
	s_wait_xcnt 0x0
	v_lshl_add_u32 v1, v0, 3, 32
	s_mov_b32 s0, exec_lo
	v_cmpx_eq_u32_e32 2, v0
	s_cbranch_execz .LBB66_29
; %bb.28:
	scratch_load_b64 v[2:3], off, off offset:8
	v_mov_b64_e32 v[10:11], 0
	scratch_store_b64 off, v[10:11], off offset:8
	s_wait_loadcnt 0x0
	ds_store_b64 v1, v[2:3]
.LBB66_29:
	s_wait_xcnt 0x0
	s_or_b32 exec_lo, exec_lo, s0
	s_wait_storecnt_dscnt 0x0
	s_barrier_signal -1
	s_barrier_wait -1
	s_clause 0x1
	scratch_load_b64 v[2:3], off, off offset:16
	scratch_load_b64 v[12:13], off, off offset:8
	v_dual_mov_b32 v10, 0 :: v_dual_ashrrev_i32 v9, 31, v8
	s_mov_b32 s0, exec_lo
	ds_load_b64 v[14:15], v10 offset:48
	s_wait_loadcnt_dscnt 0x100
	v_pk_mul_f32 v[16:17], v[14:15], v[2:3] op_sel:[1,1] op_sel_hi:[0,1]
	s_delay_alu instid0(VALU_DEP_1) | instskip(SKIP_1) | instid1(VALU_DEP_2)
	v_pk_fma_f32 v[18:19], v[14:15], v[2:3], v[16:17] op_sel_hi:[1,0,1]
	v_pk_fma_f32 v[2:3], v[14:15], v[2:3], v[16:17] neg_lo:[0,0,1] neg_hi:[0,0,1]
	v_mov_b32_e32 v3, v19
	s_delay_alu instid0(VALU_DEP_1) | instskip(SKIP_1) | instid1(VALU_DEP_1)
	v_pk_add_f32 v[2:3], v[2:3], 0 op_sel_hi:[1,0]
	s_wait_loadcnt 0x0
	v_pk_add_f32 v[2:3], v[12:13], v[2:3] neg_lo:[0,1] neg_hi:[0,1]
	scratch_store_b64 off, v[2:3], off offset:8
	s_wait_xcnt 0x0
	v_cmpx_ne_u32_e32 0, v0
	s_cbranch_execz .LBB66_31
; %bb.30:
	scratch_load_b64 v[2:3], off, off
	v_mov_b64_e32 v[12:13], 0
	scratch_store_b64 off, v[12:13], off
	s_wait_loadcnt 0x0
	ds_store_b64 v1, v[2:3]
.LBB66_31:
	s_wait_xcnt 0x0
	s_or_b32 exec_lo, exec_lo, s0
	s_wait_storecnt_dscnt 0x0
	s_barrier_signal -1
	s_barrier_wait -1
	s_clause 0x1
	scratch_load_b128 v[0:3], off, off offset:8
	scratch_load_b64 v[14:15], off, off
	ds_load_2addr_b64 v[10:13], v10 offset0:5 offset1:6
	s_and_b32 vcc_lo, exec_lo, s12
	s_wait_dscnt 0x0
	v_dual_mov_b32 v16, v13 :: v_dual_mov_b32 v17, v12
	s_wait_loadcnt 0x1
	v_pk_mul_f32 v[18:19], v[10:11], v[0:1] op_sel:[1,1] op_sel_hi:[0,1]
	s_delay_alu instid0(VALU_DEP_1) | instskip(SKIP_2) | instid1(VALU_DEP_3)
	v_pk_fma_f32 v[22:23], v[10:11], v[0:1], v[18:19] op_sel_hi:[1,0,1]
	v_mov_b32_e32 v20, v3
	v_pk_fma_f32 v[10:11], v[10:11], v[0:1], v[18:19] neg_lo:[0,0,1] neg_hi:[0,0,1]
	v_mov_b32_e32 v11, v23
	s_delay_alu instid0(VALU_DEP_3) | instskip(NEXT) | instid1(VALU_DEP_2)
	v_pk_mul_f32 v[16:17], v[16:17], v[20:21] op_sel_hi:[1,0]
	v_pk_add_f32 v[10:11], v[10:11], 0 op_sel_hi:[1,0]
	s_delay_alu instid0(VALU_DEP_2) | instskip(SKIP_1) | instid1(VALU_DEP_2)
	v_pk_fma_f32 v[18:19], v[12:13], v[2:3], v[16:17] op_sel_hi:[1,0,1]
	v_pk_fma_f32 v[2:3], v[12:13], v[2:3], v[16:17] neg_lo:[0,0,1] neg_hi:[0,0,1]
	v_mov_b32_e32 v3, v19
	s_delay_alu instid0(VALU_DEP_1) | instskip(SKIP_1) | instid1(VALU_DEP_1)
	v_pk_add_f32 v[2:3], v[10:11], v[2:3]
	s_wait_loadcnt 0x0
	v_pk_add_f32 v[2:3], v[14:15], v[2:3] neg_lo:[0,1] neg_hi:[0,1]
	scratch_store_b64 off, v[2:3], off
	s_cbranch_vccz .LBB66_36
; %bb.32:
	v_mov_b32_e32 v10, 0
	global_load_b32 v11, v10, s[8:9] offset:4
	s_wait_loadcnt 0x0
	v_cmp_ne_u32_e32 vcc_lo, 2, v11
	s_cbranch_vccz .LBB66_34
; %bb.33:
	s_wait_xcnt 0x1
	v_lshlrev_b32_e32 v2, 3, v11
	s_delay_alu instid0(VALU_DEP_1)
	v_mov_b32_e32 v11, v2
	scratch_load_b64 v[2:3], v11, off offset:-8
	s_wait_loadcnt 0x0
	scratch_store_b64 off, v[2:3], off offset:8
	scratch_store_b64 v11, v[0:1], off offset:-8
	scratch_load_b64 v[2:3], off, off
.LBB66_34:
	global_load_b32 v0, v10, s[8:9]
	s_wait_loadcnt 0x0
	v_cmp_eq_u32_e32 vcc_lo, 1, v0
	s_cbranch_vccnz .LBB66_36
; %bb.35:
	v_lshlrev_b32_e32 v0, 3, v0
	s_wait_xcnt 0x0
	s_delay_alu instid0(VALU_DEP_1)
	v_mov_b32_e32 v10, v0
	scratch_load_b64 v[0:1], v10, off offset:-8
	s_wait_loadcnt 0x0
	scratch_store_b64 off, v[0:1], off
	scratch_store_b64 v10, v[2:3], off offset:-8
	scratch_load_b64 v[2:3], off, off
.LBB66_36:
	v_lshl_add_u64 v[0:1], v[8:9], 3, s[2:3]
	scratch_load_b128 v[8:11], off, off offset:8
	s_wait_loadcnt 0x1
	flat_store_b64 v[4:5], v[2:3]
	s_wait_loadcnt 0x0
	s_clause 0x1
	flat_store_b64 v[6:7], v[8:9]
	flat_store_b64 v[0:1], v[10:11]
	s_endpgm
	.section	.rodata,"a",@progbits
	.p2align	6, 0x0
	.amdhsa_kernel _ZN9rocsolver6v33100L18getri_kernel_smallILi3E19rocblas_complex_numIfEPKPS3_EEvT1_iilPiilS8_bb
		.amdhsa_group_segment_fixed_size 56
		.amdhsa_private_segment_fixed_size 32
		.amdhsa_kernarg_size 60
		.amdhsa_user_sgpr_count 2
		.amdhsa_user_sgpr_dispatch_ptr 0
		.amdhsa_user_sgpr_queue_ptr 0
		.amdhsa_user_sgpr_kernarg_segment_ptr 1
		.amdhsa_user_sgpr_dispatch_id 0
		.amdhsa_user_sgpr_kernarg_preload_length 0
		.amdhsa_user_sgpr_kernarg_preload_offset 0
		.amdhsa_user_sgpr_private_segment_size 0
		.amdhsa_wavefront_size32 1
		.amdhsa_uses_dynamic_stack 0
		.amdhsa_enable_private_segment 1
		.amdhsa_system_sgpr_workgroup_id_x 1
		.amdhsa_system_sgpr_workgroup_id_y 0
		.amdhsa_system_sgpr_workgroup_id_z 0
		.amdhsa_system_sgpr_workgroup_info 0
		.amdhsa_system_vgpr_workitem_id 0
		.amdhsa_next_free_vgpr 24
		.amdhsa_next_free_sgpr 19
		.amdhsa_named_barrier_count 0
		.amdhsa_reserve_vcc 1
		.amdhsa_float_round_mode_32 0
		.amdhsa_float_round_mode_16_64 0
		.amdhsa_float_denorm_mode_32 3
		.amdhsa_float_denorm_mode_16_64 3
		.amdhsa_fp16_overflow 0
		.amdhsa_memory_ordered 1
		.amdhsa_forward_progress 1
		.amdhsa_inst_pref_size 19
		.amdhsa_round_robin_scheduling 0
		.amdhsa_exception_fp_ieee_invalid_op 0
		.amdhsa_exception_fp_denorm_src 0
		.amdhsa_exception_fp_ieee_div_zero 0
		.amdhsa_exception_fp_ieee_overflow 0
		.amdhsa_exception_fp_ieee_underflow 0
		.amdhsa_exception_fp_ieee_inexact 0
		.amdhsa_exception_int_div_zero 0
	.end_amdhsa_kernel
	.section	.text._ZN9rocsolver6v33100L18getri_kernel_smallILi3E19rocblas_complex_numIfEPKPS3_EEvT1_iilPiilS8_bb,"axG",@progbits,_ZN9rocsolver6v33100L18getri_kernel_smallILi3E19rocblas_complex_numIfEPKPS3_EEvT1_iilPiilS8_bb,comdat
.Lfunc_end66:
	.size	_ZN9rocsolver6v33100L18getri_kernel_smallILi3E19rocblas_complex_numIfEPKPS3_EEvT1_iilPiilS8_bb, .Lfunc_end66-_ZN9rocsolver6v33100L18getri_kernel_smallILi3E19rocblas_complex_numIfEPKPS3_EEvT1_iilPiilS8_bb
                                        ; -- End function
	.set _ZN9rocsolver6v33100L18getri_kernel_smallILi3E19rocblas_complex_numIfEPKPS3_EEvT1_iilPiilS8_bb.num_vgpr, 24
	.set _ZN9rocsolver6v33100L18getri_kernel_smallILi3E19rocblas_complex_numIfEPKPS3_EEvT1_iilPiilS8_bb.num_agpr, 0
	.set _ZN9rocsolver6v33100L18getri_kernel_smallILi3E19rocblas_complex_numIfEPKPS3_EEvT1_iilPiilS8_bb.numbered_sgpr, 19
	.set _ZN9rocsolver6v33100L18getri_kernel_smallILi3E19rocblas_complex_numIfEPKPS3_EEvT1_iilPiilS8_bb.num_named_barrier, 0
	.set _ZN9rocsolver6v33100L18getri_kernel_smallILi3E19rocblas_complex_numIfEPKPS3_EEvT1_iilPiilS8_bb.private_seg_size, 32
	.set _ZN9rocsolver6v33100L18getri_kernel_smallILi3E19rocblas_complex_numIfEPKPS3_EEvT1_iilPiilS8_bb.uses_vcc, 1
	.set _ZN9rocsolver6v33100L18getri_kernel_smallILi3E19rocblas_complex_numIfEPKPS3_EEvT1_iilPiilS8_bb.uses_flat_scratch, 1
	.set _ZN9rocsolver6v33100L18getri_kernel_smallILi3E19rocblas_complex_numIfEPKPS3_EEvT1_iilPiilS8_bb.has_dyn_sized_stack, 0
	.set _ZN9rocsolver6v33100L18getri_kernel_smallILi3E19rocblas_complex_numIfEPKPS3_EEvT1_iilPiilS8_bb.has_recursion, 0
	.set _ZN9rocsolver6v33100L18getri_kernel_smallILi3E19rocblas_complex_numIfEPKPS3_EEvT1_iilPiilS8_bb.has_indirect_call, 0
	.section	.AMDGPU.csdata,"",@progbits
; Kernel info:
; codeLenInByte = 2392
; TotalNumSgprs: 21
; NumVgprs: 24
; ScratchSize: 32
; MemoryBound: 0
; FloatMode: 240
; IeeeMode: 1
; LDSByteSize: 56 bytes/workgroup (compile time only)
; SGPRBlocks: 0
; VGPRBlocks: 1
; NumSGPRsForWavesPerEU: 21
; NumVGPRsForWavesPerEU: 24
; NamedBarCnt: 0
; Occupancy: 16
; WaveLimiterHint : 1
; COMPUTE_PGM_RSRC2:SCRATCH_EN: 1
; COMPUTE_PGM_RSRC2:USER_SGPR: 2
; COMPUTE_PGM_RSRC2:TRAP_HANDLER: 0
; COMPUTE_PGM_RSRC2:TGID_X_EN: 1
; COMPUTE_PGM_RSRC2:TGID_Y_EN: 0
; COMPUTE_PGM_RSRC2:TGID_Z_EN: 0
; COMPUTE_PGM_RSRC2:TIDIG_COMP_CNT: 0
	.section	.text._ZN9rocsolver6v33100L18getri_kernel_smallILi4E19rocblas_complex_numIfEPKPS3_EEvT1_iilPiilS8_bb,"axG",@progbits,_ZN9rocsolver6v33100L18getri_kernel_smallILi4E19rocblas_complex_numIfEPKPS3_EEvT1_iilPiilS8_bb,comdat
	.globl	_ZN9rocsolver6v33100L18getri_kernel_smallILi4E19rocblas_complex_numIfEPKPS3_EEvT1_iilPiilS8_bb ; -- Begin function _ZN9rocsolver6v33100L18getri_kernel_smallILi4E19rocblas_complex_numIfEPKPS3_EEvT1_iilPiilS8_bb
	.p2align	8
	.type	_ZN9rocsolver6v33100L18getri_kernel_smallILi4E19rocblas_complex_numIfEPKPS3_EEvT1_iilPiilS8_bb,@function
_ZN9rocsolver6v33100L18getri_kernel_smallILi4E19rocblas_complex_numIfEPKPS3_EEvT1_iilPiilS8_bb: ; @_ZN9rocsolver6v33100L18getri_kernel_smallILi4E19rocblas_complex_numIfEPKPS3_EEvT1_iilPiilS8_bb
; %bb.0:
	s_mov_b32 s2, exec_lo
	v_cmpx_gt_u32_e32 4, v0
	s_cbranch_execz .LBB67_30
; %bb.1:
	s_clause 0x1
	s_load_b32 s13, s[0:1], 0x38
	s_load_b64 s[2:3], s[0:1], 0x0
	s_getreg_b32 s6, hwreg(HW_REG_IB_STS2, 6, 4)
	s_wait_kmcnt 0x0
	s_bitcmp1_b32 s13, 8
	s_cselect_b32 s12, -1, 0
	s_bfe_u32 s4, ttmp6, 0x4000c
	s_and_b32 s5, ttmp6, 15
	s_add_co_i32 s4, s4, 1
	s_delay_alu instid0(SALU_CYCLE_1) | instskip(NEXT) | instid1(SALU_CYCLE_1)
	s_mul_i32 s4, ttmp9, s4
	s_add_co_i32 s5, s5, s4
	s_cmp_eq_u32 s6, 0
	s_cselect_b32 s10, ttmp9, s5
	s_load_b128 s[4:7], s[0:1], 0x28
	s_ashr_i32 s11, s10, 31
	s_delay_alu instid0(SALU_CYCLE_1) | instskip(NEXT) | instid1(SALU_CYCLE_1)
	s_lshl_b64 s[8:9], s[10:11], 3
	s_add_nc_u64 s[2:3], s[2:3], s[8:9]
	s_bfe_u32 s8, s13, 0x10008
	s_load_b64 s[2:3], s[2:3], 0x0
	s_cmp_eq_u32 s8, 0
                                        ; implicit-def: $sgpr8_sgpr9
	s_cbranch_scc1 .LBB67_3
; %bb.2:
	s_load_b96 s[16:18], s[0:1], 0x18
	s_wait_kmcnt 0x0
	s_mul_u64 s[4:5], s[4:5], s[10:11]
	s_delay_alu instid0(SALU_CYCLE_1) | instskip(SKIP_4) | instid1(SALU_CYCLE_1)
	s_lshl_b64 s[4:5], s[4:5], 2
	s_ashr_i32 s9, s18, 31
	s_mov_b32 s8, s18
	s_add_nc_u64 s[4:5], s[16:17], s[4:5]
	s_lshl_b64 s[8:9], s[8:9], 2
	s_add_nc_u64 s[8:9], s[4:5], s[8:9]
.LBB67_3:
	s_wait_kmcnt 0x0
	s_clause 0x1
	s_load_b64 s[4:5], s[0:1], 0x8
	s_load_b32 s13, s[0:1], 0x38
	v_dual_mov_b32 v3, 0 :: v_dual_lshlrev_b32 v2, 3, v0
	s_wait_kmcnt 0x0
	s_ashr_i32 s1, s4, 31
	s_mov_b32 s0, s4
	v_add3_u32 v8, s5, s5, v0
	s_lshl_b64 s[0:1], s[0:1], 3
	s_delay_alu instid0(SALU_CYCLE_1)
	s_add_nc_u64 s[2:3], s[2:3], s[0:1]
	s_ashr_i32 s1, s5, 31
	v_add_nc_u64_e32 v[4:5], s[2:3], v[2:3]
	s_mov_b32 s0, s5
	v_add_nc_u32_e32 v10, s5, v8
	s_bitcmp0_b32 s13, 0
	s_delay_alu instid0(VALU_DEP_2)
	v_lshl_add_u64 v[6:7], s[0:1], 3, v[4:5]
	s_mov_b32 s1, -1
	s_clause 0x3
	flat_load_b64 v[12:13], v0, s[2:3] scale_offset
	flat_load_b64 v[14:15], v[6:7]
	flat_load_b64 v[16:17], v8, s[2:3] scale_offset
	flat_load_b64 v[18:19], v10, s[2:3] scale_offset
	s_wait_loadcnt_dscnt 0x202
	scratch_store_b128 off, v[12:15], off
	s_wait_loadcnt_dscnt 0x0
	scratch_store_b128 off, v[16:19], off offset:16
	s_cbranch_scc1 .LBB67_28
; %bb.4:
	v_cmp_eq_u32_e64 s0, 0, v0
	s_wait_xcnt 0x0
	s_and_saveexec_b32 s1, s0
; %bb.5:
	v_mov_b32_e32 v1, 0
	ds_store_b32 v1, v1 offset:64
; %bb.6:
	s_or_b32 exec_lo, exec_lo, s1
	s_wait_storecnt_dscnt 0x0
	s_barrier_signal -1
	s_barrier_wait -1
	scratch_load_b64 v[12:13], v0, off scale_offset
	s_wait_loadcnt 0x0
	v_cmp_eq_f32_e32 vcc_lo, 0, v12
	v_cmp_eq_f32_e64 s1, 0, v13
	s_and_b32 s1, vcc_lo, s1
	s_delay_alu instid0(SALU_CYCLE_1)
	s_and_saveexec_b32 s4, s1
	s_cbranch_execz .LBB67_10
; %bb.7:
	v_mov_b32_e32 v1, 0
	s_mov_b32 s5, 0
	ds_load_b32 v3, v1 offset:64
	s_wait_dscnt 0x0
	v_readfirstlane_b32 s1, v3
	v_add_nc_u32_e32 v3, 1, v0
	s_cmp_eq_u32 s1, 0
	s_delay_alu instid0(VALU_DEP_1) | instskip(SKIP_1) | instid1(SALU_CYCLE_1)
	v_cmp_gt_i32_e32 vcc_lo, s1, v3
	s_cselect_b32 s13, -1, 0
	s_or_b32 s13, s13, vcc_lo
	s_delay_alu instid0(SALU_CYCLE_1)
	s_and_b32 exec_lo, exec_lo, s13
	s_cbranch_execz .LBB67_10
; %bb.8:
	v_mov_b32_e32 v9, s1
.LBB67_9:                               ; =>This Inner Loop Header: Depth=1
	ds_cmpstore_rtn_b32 v9, v1, v3, v9 offset:64
	s_wait_dscnt 0x0
	v_cmp_ne_u32_e32 vcc_lo, 0, v9
	v_cmp_le_i32_e64 s1, v9, v3
	s_and_b32 s1, vcc_lo, s1
	s_delay_alu instid0(SALU_CYCLE_1) | instskip(NEXT) | instid1(SALU_CYCLE_1)
	s_and_b32 s1, exec_lo, s1
	s_or_b32 s5, s1, s5
	s_delay_alu instid0(SALU_CYCLE_1)
	s_and_not1_b32 exec_lo, exec_lo, s5
	s_cbranch_execnz .LBB67_9
.LBB67_10:
	s_or_b32 exec_lo, exec_lo, s4
	v_mov_b32_e32 v1, 0
	s_barrier_signal -1
	s_barrier_wait -1
	ds_load_b32 v3, v1 offset:64
	s_and_saveexec_b32 s1, s0
	s_cbranch_execz .LBB67_12
; %bb.11:
	s_lshl_b64 s[4:5], s[10:11], 2
	s_delay_alu instid0(SALU_CYCLE_1)
	s_add_nc_u64 s[4:5], s[6:7], s[4:5]
	s_wait_dscnt 0x0
	global_store_b32 v1, v3, s[4:5]
.LBB67_12:
	s_wait_xcnt 0x0
	s_or_b32 exec_lo, exec_lo, s1
	s_wait_dscnt 0x0
	v_cmp_ne_u32_e32 vcc_lo, 0, v3
	s_mov_b32 s1, 0
	s_cbranch_vccnz .LBB67_28
; %bb.13:
	v_lshl_add_u32 v1, v0, 3, 0
                                        ; implicit-def: $vgpr15
                                        ; implicit-def: $vgpr16
	scratch_load_b64 v[12:13], v1, off
	s_wait_loadcnt 0x0
	v_cmp_ngt_f32_e64 s1, |v12|, |v13|
	s_wait_xcnt 0x0
	s_and_saveexec_b32 s4, s1
	s_delay_alu instid0(SALU_CYCLE_1)
	s_xor_b32 s1, exec_lo, s4
	s_cbranch_execz .LBB67_15
; %bb.14:
	v_div_scale_f32 v3, null, v13, v13, v12
	v_div_scale_f32 v14, vcc_lo, v12, v13, v12
	s_delay_alu instid0(VALU_DEP_2) | instskip(SKIP_1) | instid1(TRANS32_DEP_1)
	v_rcp_f32_e32 v9, v3
	v_nop
	v_fma_f32 v11, -v3, v9, 1.0
	s_delay_alu instid0(VALU_DEP_1) | instskip(NEXT) | instid1(VALU_DEP_1)
	v_fmac_f32_e32 v9, v11, v9
	v_mul_f32_e32 v11, v14, v9
	s_delay_alu instid0(VALU_DEP_1) | instskip(NEXT) | instid1(VALU_DEP_1)
	v_fma_f32 v15, -v3, v11, v14
	v_fmac_f32_e32 v11, v15, v9
	s_delay_alu instid0(VALU_DEP_1) | instskip(NEXT) | instid1(VALU_DEP_1)
	v_fma_f32 v3, -v3, v11, v14
	v_div_fmas_f32 v3, v3, v9, v11
	s_delay_alu instid0(VALU_DEP_1) | instskip(NEXT) | instid1(VALU_DEP_1)
	v_div_fixup_f32 v3, v3, v13, v12
	v_fmac_f32_e32 v13, v12, v3
	s_delay_alu instid0(VALU_DEP_1) | instskip(NEXT) | instid1(VALU_DEP_1)
	v_div_scale_f32 v9, null, v13, v13, -1.0
	v_rcp_f32_e32 v11, v9
	v_nop
	s_delay_alu instid0(TRANS32_DEP_1) | instskip(NEXT) | instid1(VALU_DEP_1)
	v_fma_f32 v12, -v9, v11, 1.0
	v_fmac_f32_e32 v11, v12, v11
	v_div_scale_f32 v12, vcc_lo, -1.0, v13, -1.0
	s_delay_alu instid0(VALU_DEP_1) | instskip(NEXT) | instid1(VALU_DEP_1)
	v_mul_f32_e32 v14, v12, v11
	v_fma_f32 v15, -v9, v14, v12
	s_delay_alu instid0(VALU_DEP_1) | instskip(NEXT) | instid1(VALU_DEP_1)
	v_fmac_f32_e32 v14, v15, v11
	v_fma_f32 v9, -v9, v14, v12
	s_delay_alu instid0(VALU_DEP_1) | instskip(NEXT) | instid1(VALU_DEP_1)
	v_div_fmas_f32 v9, v9, v11, v14
	v_div_fixup_f32 v15, v9, v13, -1.0
                                        ; implicit-def: $vgpr12_vgpr13
	s_delay_alu instid0(VALU_DEP_1) | instskip(NEXT) | instid1(VALU_DEP_1)
	v_mul_f32_e32 v16, v3, v15
	v_xor_b32_e32 v14, 0x80000000, v16
.LBB67_15:
	s_and_not1_saveexec_b32 s1, s1
	s_cbranch_execz .LBB67_17
; %bb.16:
	v_div_scale_f32 v3, null, v12, v12, v13
	v_div_scale_f32 v14, vcc_lo, v13, v12, v13
	s_delay_alu instid0(VALU_DEP_2) | instskip(SKIP_1) | instid1(TRANS32_DEP_1)
	v_rcp_f32_e32 v9, v3
	v_nop
	v_fma_f32 v11, -v3, v9, 1.0
	s_delay_alu instid0(VALU_DEP_1) | instskip(NEXT) | instid1(VALU_DEP_1)
	v_fmac_f32_e32 v9, v11, v9
	v_mul_f32_e32 v11, v14, v9
	s_delay_alu instid0(VALU_DEP_1) | instskip(NEXT) | instid1(VALU_DEP_1)
	v_fma_f32 v15, -v3, v11, v14
	v_fmac_f32_e32 v11, v15, v9
	s_delay_alu instid0(VALU_DEP_1) | instskip(NEXT) | instid1(VALU_DEP_1)
	v_fma_f32 v3, -v3, v11, v14
	v_div_fmas_f32 v3, v3, v9, v11
	s_delay_alu instid0(VALU_DEP_1) | instskip(NEXT) | instid1(VALU_DEP_1)
	v_div_fixup_f32 v3, v3, v12, v13
	v_fmac_f32_e32 v12, v13, v3
	s_delay_alu instid0(VALU_DEP_1) | instskip(SKIP_1) | instid1(VALU_DEP_2)
	v_div_scale_f32 v9, null, v12, v12, 1.0
	v_div_scale_f32 v14, vcc_lo, 1.0, v12, 1.0
	v_rcp_f32_e32 v11, v9
	v_nop
	s_delay_alu instid0(TRANS32_DEP_1) | instskip(NEXT) | instid1(VALU_DEP_1)
	v_fma_f32 v13, -v9, v11, 1.0
	v_fmac_f32_e32 v11, v13, v11
	s_delay_alu instid0(VALU_DEP_1) | instskip(NEXT) | instid1(VALU_DEP_1)
	v_mul_f32_e32 v13, v14, v11
	v_fma_f32 v15, -v9, v13, v14
	s_delay_alu instid0(VALU_DEP_1) | instskip(NEXT) | instid1(VALU_DEP_1)
	v_fmac_f32_e32 v13, v15, v11
	v_fma_f32 v9, -v9, v13, v14
	s_delay_alu instid0(VALU_DEP_1) | instskip(NEXT) | instid1(VALU_DEP_1)
	v_div_fmas_f32 v9, v9, v11, v13
	v_div_fixup_f32 v14, v9, v12, 1.0
	s_delay_alu instid0(VALU_DEP_1)
	v_xor_b32_e32 v16, 0x80000000, v14
	v_mul_f32_e64 v15, v3, -v14
.LBB67_17:
	s_or_b32 exec_lo, exec_lo, s1
	scratch_store_b64 v1, v[14:15], off
	scratch_load_b64 v[12:13], off, off offset:8
	v_xor_b32_e32 v17, 0x80000000, v15
	v_add_nc_u32_e32 v3, 32, v2
	s_wait_loadcnt 0x0
	ds_store_2addr_b64 v2, v[16:17], v[12:13] offset1:4
	s_wait_storecnt_dscnt 0x0
	s_barrier_signal -1
	s_barrier_wait -1
	s_wait_xcnt 0x0
	s_and_saveexec_b32 s1, s0
	s_cbranch_execz .LBB67_19
; %bb.18:
	scratch_load_b64 v[12:13], v1, off
	ds_load_b64 v[14:15], v3
	v_mov_b32_e32 v9, 0
	ds_load_b64 v[16:17], v9 offset:8
	s_wait_loadcnt_dscnt 0x1
	v_pk_mul_f32 v[18:19], v[14:15], v[12:13] op_sel:[1,1] op_sel_hi:[0,1]
	s_delay_alu instid0(VALU_DEP_1) | instskip(SKIP_1) | instid1(VALU_DEP_2)
	v_pk_fma_f32 v[20:21], v[14:15], v[12:13], v[18:19] op_sel_hi:[1,0,1]
	v_pk_fma_f32 v[12:13], v[14:15], v[12:13], v[18:19] neg_lo:[0,0,1] neg_hi:[0,0,1]
	v_mov_b32_e32 v13, v21
	s_delay_alu instid0(VALU_DEP_1) | instskip(SKIP_1) | instid1(VALU_DEP_1)
	v_pk_add_f32 v[12:13], v[12:13], 0 op_sel_hi:[1,0]
	s_wait_dscnt 0x0
	v_pk_mul_f32 v[14:15], v[12:13], v[16:17] op_sel:[1,1] op_sel_hi:[0,1]
	s_delay_alu instid0(VALU_DEP_1) | instskip(SKIP_1) | instid1(VALU_DEP_2)
	v_pk_fma_f32 v[18:19], v[12:13], v[16:17], v[14:15] op_sel_hi:[1,0,1]
	v_pk_fma_f32 v[12:13], v[12:13], v[16:17], v[14:15] neg_lo:[0,0,1] neg_hi:[0,0,1]
	v_mov_b32_e32 v13, v19
	scratch_store_b64 off, v[12:13], off offset:8
.LBB67_19:
	s_wait_xcnt 0x0
	s_or_b32 exec_lo, exec_lo, s1
	s_wait_storecnt 0x0
	s_barrier_signal -1
	s_barrier_wait -1
	scratch_load_b64 v[12:13], off, off offset:16
	s_mov_b32 s1, exec_lo
	s_wait_loadcnt 0x0
	ds_store_b64 v3, v[12:13]
	s_wait_dscnt 0x0
	s_barrier_signal -1
	s_barrier_wait -1
	v_cmpx_gt_u32_e32 2, v0
	s_cbranch_execz .LBB67_23
; %bb.20:
	scratch_load_b64 v[12:13], v1, off
	ds_load_b64 v[14:15], v3
	s_wait_loadcnt_dscnt 0x0
	v_pk_mul_f32 v[16:17], v[14:15], v[12:13] op_sel:[1,1] op_sel_hi:[0,1]
	s_delay_alu instid0(VALU_DEP_1) | instskip(SKIP_1) | instid1(VALU_DEP_2)
	v_pk_fma_f32 v[18:19], v[14:15], v[12:13], v[16:17] op_sel_hi:[1,0,1]
	v_pk_fma_f32 v[12:13], v[14:15], v[12:13], v[16:17] neg_lo:[0,0,1] neg_hi:[0,0,1]
	v_mov_b32_e32 v13, v19
	s_delay_alu instid0(VALU_DEP_1)
	v_pk_add_f32 v[12:13], v[12:13], 0 op_sel_hi:[1,0]
	s_and_saveexec_b32 s4, s0
	s_cbranch_execz .LBB67_22
; %bb.21:
	scratch_load_b64 v[14:15], off, off offset:8
	v_mov_b32_e32 v1, 0
	ds_load_b64 v[16:17], v1 offset:40
	s_wait_loadcnt_dscnt 0x0
	v_pk_mul_f32 v[18:19], v[16:17], v[14:15] op_sel:[1,1] op_sel_hi:[0,1]
	s_delay_alu instid0(VALU_DEP_1) | instskip(SKIP_1) | instid1(VALU_DEP_2)
	v_pk_fma_f32 v[20:21], v[16:17], v[14:15], v[18:19] op_sel_hi:[1,0,1]
	v_pk_fma_f32 v[14:15], v[16:17], v[14:15], v[18:19] neg_lo:[0,0,1] neg_hi:[0,0,1]
	v_mov_b32_e32 v15, v21
	s_delay_alu instid0(VALU_DEP_1)
	v_pk_add_f32 v[12:13], v[12:13], v[14:15]
.LBB67_22:
	s_or_b32 exec_lo, exec_lo, s4
	v_mov_b32_e32 v1, 0
	ds_load_b64 v[14:15], v1 offset:16
	s_wait_dscnt 0x0
	v_pk_mul_f32 v[16:17], v[12:13], v[14:15] op_sel:[1,1] op_sel_hi:[0,1]
	s_delay_alu instid0(VALU_DEP_1) | instskip(SKIP_1) | instid1(VALU_DEP_2)
	v_pk_fma_f32 v[18:19], v[12:13], v[14:15], v[16:17] op_sel_hi:[1,0,1]
	v_pk_fma_f32 v[12:13], v[12:13], v[14:15], v[16:17] neg_lo:[0,0,1] neg_hi:[0,0,1]
	v_mov_b32_e32 v13, v19
	scratch_store_b64 off, v[12:13], off offset:16
.LBB67_23:
	s_wait_xcnt 0x0
	s_or_b32 exec_lo, exec_lo, s1
	s_wait_storecnt 0x0
	s_barrier_signal -1
	s_barrier_wait -1
	scratch_load_b64 v[12:13], off, off offset:24
	s_mov_b32 s0, exec_lo
	s_wait_loadcnt 0x0
	ds_store_b64 v3, v[12:13]
	s_wait_dscnt 0x0
	s_barrier_signal -1
	s_barrier_wait -1
	v_cmpx_ne_u32_e32 3, v0
	s_cbranch_execz .LBB67_27
; %bb.24:
	v_dual_mov_b32 v12, 0 :: v_dual_add_nc_u32 v1, -1, v0
	s_mov_b32 s1, 0
	s_delay_alu instid0(VALU_DEP_1)
	v_mov_b32_e32 v13, v12
.LBB67_25:                              ; =>This Inner Loop Header: Depth=1
	scratch_load_b64 v[14:15], v2, off
	ds_load_b64 v[16:17], v3
	s_wait_xcnt 0x0
	v_dual_add_nc_u32 v3, 8, v3 :: v_dual_add_nc_u32 v2, 8, v2
	s_wait_loadcnt_dscnt 0x0
	v_pk_mul_f32 v[18:19], v[16:17], v[14:15] op_sel:[1,1] op_sel_hi:[0,1]
	s_delay_alu instid0(VALU_DEP_1) | instskip(SKIP_2) | instid1(VALU_DEP_3)
	v_pk_fma_f32 v[20:21], v[16:17], v[14:15], v[18:19] op_sel_hi:[1,0,1]
	v_add_nc_u32_e32 v1, 1, v1
	v_pk_fma_f32 v[14:15], v[16:17], v[14:15], v[18:19] neg_lo:[0,0,1] neg_hi:[0,0,1]
	v_mov_b32_e32 v15, v21
	s_delay_alu instid0(VALU_DEP_3) | instskip(NEXT) | instid1(VALU_DEP_2)
	v_cmp_lt_u32_e32 vcc_lo, 1, v1
	v_pk_add_f32 v[12:13], v[12:13], v[14:15]
	s_or_b32 s1, vcc_lo, s1
	s_delay_alu instid0(SALU_CYCLE_1)
	s_and_not1_b32 exec_lo, exec_lo, s1
	s_cbranch_execnz .LBB67_25
; %bb.26:
	s_or_b32 exec_lo, exec_lo, s1
	v_mov_b32_e32 v1, 0
	ds_load_b64 v[2:3], v1 offset:24
	s_wait_dscnt 0x0
	v_pk_mul_f32 v[14:15], v[12:13], v[2:3] op_sel:[1,1] op_sel_hi:[0,1]
	s_delay_alu instid0(VALU_DEP_1) | instskip(SKIP_1) | instid1(VALU_DEP_2)
	v_pk_fma_f32 v[16:17], v[12:13], v[2:3], v[14:15] op_sel_hi:[1,0,1]
	v_pk_fma_f32 v[2:3], v[12:13], v[2:3], v[14:15] neg_lo:[0,0,1] neg_hi:[0,0,1]
	v_mov_b32_e32 v3, v17
	scratch_store_b64 off, v[2:3], off offset:24
.LBB67_27:
	s_wait_xcnt 0x0
	s_or_b32 exec_lo, exec_lo, s0
	s_mov_b32 s1, -1
	s_wait_storecnt 0x0
	s_barrier_signal -1
	s_barrier_wait -1
.LBB67_28:
	s_and_b32 vcc_lo, exec_lo, s1
	s_cbranch_vccz .LBB67_30
; %bb.29:
	v_mov_b32_e32 v1, 0
	s_lshl_b64 s[0:1], s[10:11], 2
	s_delay_alu instid0(SALU_CYCLE_1)
	s_add_nc_u64 s[0:1], s[6:7], s[0:1]
	global_load_b32 v1, v1, s[0:1]
	s_wait_loadcnt 0x0
	v_cmp_ne_u32_e32 vcc_lo, 0, v1
	s_cbranch_vccz .LBB67_31
.LBB67_30:
	s_endpgm
.LBB67_31:
	s_wait_xcnt 0x0
	v_lshl_add_u32 v1, v0, 3, 32
	s_mov_b32 s0, exec_lo
	v_cmpx_eq_u32_e32 3, v0
	s_cbranch_execz .LBB67_33
; %bb.32:
	scratch_load_b64 v[2:3], off, off offset:16
	v_mov_b64_e32 v[12:13], 0
	scratch_store_b64 off, v[12:13], off offset:16
	s_wait_loadcnt 0x0
	ds_store_b64 v1, v[2:3]
.LBB67_33:
	s_wait_xcnt 0x0
	s_or_b32 exec_lo, exec_lo, s0
	s_wait_storecnt_dscnt 0x0
	s_barrier_signal -1
	s_barrier_wait -1
	s_clause 0x1
	scratch_load_b64 v[12:13], off, off offset:24
	scratch_load_b64 v[14:15], off, off offset:16
	v_mov_b32_e32 v2, 0
	s_mov_b32 s0, exec_lo
	ds_load_b64 v[16:17], v2 offset:56
	s_wait_loadcnt_dscnt 0x100
	v_pk_mul_f32 v[18:19], v[16:17], v[12:13] op_sel:[1,1] op_sel_hi:[0,1]
	s_delay_alu instid0(VALU_DEP_1) | instskip(SKIP_1) | instid1(VALU_DEP_2)
	v_pk_fma_f32 v[20:21], v[16:17], v[12:13], v[18:19] op_sel_hi:[1,0,1]
	v_pk_fma_f32 v[12:13], v[16:17], v[12:13], v[18:19] neg_lo:[0,0,1] neg_hi:[0,0,1]
	v_mov_b32_e32 v13, v21
	s_delay_alu instid0(VALU_DEP_1) | instskip(SKIP_1) | instid1(VALU_DEP_1)
	v_pk_add_f32 v[12:13], v[12:13], 0 op_sel_hi:[1,0]
	s_wait_loadcnt 0x0
	v_pk_add_f32 v[12:13], v[14:15], v[12:13] neg_lo:[0,1] neg_hi:[0,1]
	scratch_store_b64 off, v[12:13], off offset:16
	s_wait_xcnt 0x0
	v_cmpx_lt_u32_e32 1, v0
	s_cbranch_execz .LBB67_35
; %bb.34:
	scratch_load_b64 v[12:13], off, off offset:8
	v_mov_b64_e32 v[14:15], 0
	scratch_store_b64 off, v[14:15], off offset:8
	s_wait_loadcnt 0x0
	ds_store_b64 v1, v[12:13]
.LBB67_35:
	s_wait_xcnt 0x0
	s_or_b32 exec_lo, exec_lo, s0
	s_wait_storecnt_dscnt 0x0
	s_barrier_signal -1
	s_barrier_wait -1
	s_clause 0x1
	scratch_load_b128 v[12:15], off, off offset:16
	scratch_load_b64 v[20:21], off, off offset:8
	ds_load_b128 v[16:19], v2 offset:48
	v_ashrrev_i32_e32 v11, 31, v10
	s_mov_b32 s0, exec_lo
	s_wait_dscnt 0x0
	v_dual_mov_b32 v2, v19 :: v_dual_ashrrev_i32 v9, 31, v8
	v_mov_b32_e32 v3, v18
	s_wait_loadcnt 0x1
	v_pk_mul_f32 v[22:23], v[16:17], v[12:13] op_sel:[1,1] op_sel_hi:[0,1]
	s_delay_alu instid0(VALU_DEP_1) | instskip(SKIP_2) | instid1(VALU_DEP_3)
	v_pk_fma_f32 v[26:27], v[16:17], v[12:13], v[22:23] op_sel_hi:[1,0,1]
	v_mov_b32_e32 v24, v15
	v_pk_fma_f32 v[12:13], v[16:17], v[12:13], v[22:23] neg_lo:[0,0,1] neg_hi:[0,0,1]
	v_mov_b32_e32 v13, v27
	s_delay_alu instid0(VALU_DEP_3) | instskip(NEXT) | instid1(VALU_DEP_2)
	v_pk_mul_f32 v[2:3], v[2:3], v[24:25] op_sel_hi:[1,0]
	v_pk_add_f32 v[12:13], v[12:13], 0 op_sel_hi:[1,0]
	s_delay_alu instid0(VALU_DEP_2) | instskip(SKIP_1) | instid1(VALU_DEP_2)
	v_pk_fma_f32 v[16:17], v[18:19], v[14:15], v[2:3] op_sel_hi:[1,0,1]
	v_pk_fma_f32 v[2:3], v[18:19], v[14:15], v[2:3] neg_lo:[0,0,1] neg_hi:[0,0,1]
	v_mov_b32_e32 v3, v17
	s_delay_alu instid0(VALU_DEP_1) | instskip(SKIP_1) | instid1(VALU_DEP_1)
	v_pk_add_f32 v[2:3], v[12:13], v[2:3]
	s_wait_loadcnt 0x0
	v_pk_add_f32 v[2:3], v[20:21], v[2:3] neg_lo:[0,1] neg_hi:[0,1]
	scratch_store_b64 off, v[2:3], off offset:8
	s_wait_xcnt 0x0
	v_cmpx_ne_u32_e32 0, v0
	s_cbranch_execz .LBB67_37
; %bb.36:
	scratch_load_b64 v[2:3], off, off
	v_mov_b64_e32 v[12:13], 0
	scratch_store_b64 off, v[12:13], off
	s_wait_loadcnt 0x0
	ds_store_b64 v1, v[2:3]
.LBB67_37:
	s_wait_xcnt 0x0
	s_or_b32 exec_lo, exec_lo, s0
	s_wait_storecnt_dscnt 0x0
	s_barrier_signal -1
	s_barrier_wait -1
	s_clause 0x2
	scratch_load_b128 v[0:3], off, off offset:8
	scratch_load_b64 v[18:19], off, off offset:24
	scratch_load_b64 v[20:21], off, off
	v_mov_b32_e32 v12, 0
	ds_load_2addr_b64 v[14:17], v12 offset0:5 offset1:6
	ds_load_b64 v[22:23], v12 offset:56
	s_and_b32 vcc_lo, exec_lo, s12
	s_wait_dscnt 0x1
	v_dual_mov_b32 v24, v17 :: v_dual_mov_b32 v25, v16
	s_wait_loadcnt 0x2
	v_mov_b32_e32 v28, v3
	v_pk_mul_f32 v[26:27], v[14:15], v[0:1] op_sel:[1,1] op_sel_hi:[0,1]
	s_delay_alu instid0(VALU_DEP_2) | instskip(NEXT) | instid1(VALU_DEP_2)
	v_pk_mul_f32 v[24:25], v[24:25], v[28:29] op_sel_hi:[1,0]
	v_pk_fma_f32 v[30:31], v[14:15], v[0:1], v[26:27] op_sel_hi:[1,0,1]
	v_pk_fma_f32 v[0:1], v[14:15], v[0:1], v[26:27] neg_lo:[0,0,1] neg_hi:[0,0,1]
	s_wait_loadcnt_dscnt 0x100
	v_pk_mul_f32 v[28:29], v[22:23], v[18:19] op_sel:[1,1] op_sel_hi:[0,1]
	v_pk_fma_f32 v[14:15], v[16:17], v[2:3], v[24:25] op_sel_hi:[1,0,1]
	v_mov_b32_e32 v1, v31
	v_pk_fma_f32 v[16:17], v[16:17], v[2:3], v[24:25] neg_lo:[0,0,1] neg_hi:[0,0,1]
	s_delay_alu instid0(VALU_DEP_4) | instskip(NEXT) | instid1(VALU_DEP_4)
	v_pk_fma_f32 v[26:27], v[22:23], v[18:19], v[28:29] op_sel_hi:[1,0,1]
	v_mov_b32_e32 v17, v15
	s_delay_alu instid0(VALU_DEP_4) | instskip(SKIP_1) | instid1(VALU_DEP_4)
	v_pk_add_f32 v[0:1], v[0:1], 0 op_sel_hi:[1,0]
	v_pk_fma_f32 v[14:15], v[22:23], v[18:19], v[28:29] neg_lo:[0,0,1] neg_hi:[0,0,1]
	v_mov_b32_e32 v15, v27
	s_delay_alu instid0(VALU_DEP_3) | instskip(NEXT) | instid1(VALU_DEP_1)
	v_pk_add_f32 v[0:1], v[0:1], v[16:17]
	v_pk_add_f32 v[0:1], v[0:1], v[14:15]
	s_wait_loadcnt 0x0
	s_delay_alu instid0(VALU_DEP_1)
	v_pk_add_f32 v[0:1], v[20:21], v[0:1] neg_lo:[0,1] neg_hi:[0,1]
	scratch_store_b64 off, v[0:1], off
	s_cbranch_vccz .LBB67_44
; %bb.38:
	global_load_b32 v0, v12, s[8:9] offset:8
	s_wait_loadcnt 0x0
	v_cmp_ne_u32_e32 vcc_lo, 3, v0
	s_cbranch_vccz .LBB67_40
; %bb.39:
	v_lshlrev_b32_e32 v0, 3, v0
	s_wait_xcnt 0x0
	s_delay_alu instid0(VALU_DEP_1)
	v_mov_b32_e32 v12, v0
	scratch_load_b64 v[0:1], v12, off offset:-8
	s_wait_loadcnt 0x0
	scratch_store_b64 off, v[0:1], off offset:16
	scratch_store_b64 v12, v[2:3], off offset:-8
.LBB67_40:
	s_wait_xcnt 0x1
	v_mov_b32_e32 v0, 0
	global_load_b32 v1, v0, s[8:9] offset:4
	s_wait_loadcnt 0x0
	v_cmp_eq_u32_e32 vcc_lo, 2, v1
	s_cbranch_vccnz .LBB67_42
; %bb.41:
	v_lshlrev_b32_e32 v1, 3, v1
	scratch_load_b64 v[2:3], v1, off offset:-8
	scratch_load_b64 v[12:13], off, off offset:8
	s_wait_loadcnt 0x1
	scratch_store_b64 off, v[2:3], off offset:8
	s_wait_loadcnt 0x0
	scratch_store_b64 v1, v[12:13], off offset:-8
.LBB67_42:
	global_load_b32 v2, v0, s[8:9]
	scratch_load_b64 v[0:1], off, off
	s_wait_loadcnt 0x1
	v_cmp_eq_u32_e32 vcc_lo, 1, v2
	s_cbranch_vccnz .LBB67_44
; %bb.43:
	v_lshlrev_b32_e32 v2, 3, v2
	s_delay_alu instid0(VALU_DEP_1)
	v_mov_b32_e32 v12, v2
	scratch_load_b64 v[2:3], v12, off offset:-8
	s_wait_loadcnt 0x0
	scratch_store_b64 off, v[2:3], off
	scratch_store_b64 v12, v[0:1], off offset:-8
	scratch_load_b64 v[0:1], off, off
.LBB67_44:
	v_lshl_add_u64 v[2:3], v[8:9], 3, s[2:3]
	v_lshl_add_u64 v[8:9], v[10:11], 3, s[2:3]
	s_clause 0x1
	scratch_load_b128 v[10:13], off, off offset:8
	scratch_load_b64 v[14:15], off, off offset:24
	s_wait_loadcnt 0x2
	flat_store_b64 v[4:5], v[0:1]
	s_wait_loadcnt 0x1
	s_clause 0x1
	flat_store_b64 v[6:7], v[10:11]
	flat_store_b64 v[2:3], v[12:13]
	s_wait_loadcnt 0x0
	flat_store_b64 v[8:9], v[14:15]
	s_endpgm
	.section	.rodata,"a",@progbits
	.p2align	6, 0x0
	.amdhsa_kernel _ZN9rocsolver6v33100L18getri_kernel_smallILi4E19rocblas_complex_numIfEPKPS3_EEvT1_iilPiilS8_bb
		.amdhsa_group_segment_fixed_size 68
		.amdhsa_private_segment_fixed_size 48
		.amdhsa_kernarg_size 60
		.amdhsa_user_sgpr_count 2
		.amdhsa_user_sgpr_dispatch_ptr 0
		.amdhsa_user_sgpr_queue_ptr 0
		.amdhsa_user_sgpr_kernarg_segment_ptr 1
		.amdhsa_user_sgpr_dispatch_id 0
		.amdhsa_user_sgpr_kernarg_preload_length 0
		.amdhsa_user_sgpr_kernarg_preload_offset 0
		.amdhsa_user_sgpr_private_segment_size 0
		.amdhsa_wavefront_size32 1
		.amdhsa_uses_dynamic_stack 0
		.amdhsa_enable_private_segment 1
		.amdhsa_system_sgpr_workgroup_id_x 1
		.amdhsa_system_sgpr_workgroup_id_y 0
		.amdhsa_system_sgpr_workgroup_id_z 0
		.amdhsa_system_sgpr_workgroup_info 0
		.amdhsa_system_vgpr_workitem_id 0
		.amdhsa_next_free_vgpr 32
		.amdhsa_next_free_sgpr 19
		.amdhsa_named_barrier_count 0
		.amdhsa_reserve_vcc 1
		.amdhsa_float_round_mode_32 0
		.amdhsa_float_round_mode_16_64 0
		.amdhsa_float_denorm_mode_32 3
		.amdhsa_float_denorm_mode_16_64 3
		.amdhsa_fp16_overflow 0
		.amdhsa_memory_ordered 1
		.amdhsa_forward_progress 1
		.amdhsa_inst_pref_size 25
		.amdhsa_round_robin_scheduling 0
		.amdhsa_exception_fp_ieee_invalid_op 0
		.amdhsa_exception_fp_denorm_src 0
		.amdhsa_exception_fp_ieee_div_zero 0
		.amdhsa_exception_fp_ieee_overflow 0
		.amdhsa_exception_fp_ieee_underflow 0
		.amdhsa_exception_fp_ieee_inexact 0
		.amdhsa_exception_int_div_zero 0
	.end_amdhsa_kernel
	.section	.text._ZN9rocsolver6v33100L18getri_kernel_smallILi4E19rocblas_complex_numIfEPKPS3_EEvT1_iilPiilS8_bb,"axG",@progbits,_ZN9rocsolver6v33100L18getri_kernel_smallILi4E19rocblas_complex_numIfEPKPS3_EEvT1_iilPiilS8_bb,comdat
.Lfunc_end67:
	.size	_ZN9rocsolver6v33100L18getri_kernel_smallILi4E19rocblas_complex_numIfEPKPS3_EEvT1_iilPiilS8_bb, .Lfunc_end67-_ZN9rocsolver6v33100L18getri_kernel_smallILi4E19rocblas_complex_numIfEPKPS3_EEvT1_iilPiilS8_bb
                                        ; -- End function
	.set _ZN9rocsolver6v33100L18getri_kernel_smallILi4E19rocblas_complex_numIfEPKPS3_EEvT1_iilPiilS8_bb.num_vgpr, 32
	.set _ZN9rocsolver6v33100L18getri_kernel_smallILi4E19rocblas_complex_numIfEPKPS3_EEvT1_iilPiilS8_bb.num_agpr, 0
	.set _ZN9rocsolver6v33100L18getri_kernel_smallILi4E19rocblas_complex_numIfEPKPS3_EEvT1_iilPiilS8_bb.numbered_sgpr, 19
	.set _ZN9rocsolver6v33100L18getri_kernel_smallILi4E19rocblas_complex_numIfEPKPS3_EEvT1_iilPiilS8_bb.num_named_barrier, 0
	.set _ZN9rocsolver6v33100L18getri_kernel_smallILi4E19rocblas_complex_numIfEPKPS3_EEvT1_iilPiilS8_bb.private_seg_size, 48
	.set _ZN9rocsolver6v33100L18getri_kernel_smallILi4E19rocblas_complex_numIfEPKPS3_EEvT1_iilPiilS8_bb.uses_vcc, 1
	.set _ZN9rocsolver6v33100L18getri_kernel_smallILi4E19rocblas_complex_numIfEPKPS3_EEvT1_iilPiilS8_bb.uses_flat_scratch, 1
	.set _ZN9rocsolver6v33100L18getri_kernel_smallILi4E19rocblas_complex_numIfEPKPS3_EEvT1_iilPiilS8_bb.has_dyn_sized_stack, 0
	.set _ZN9rocsolver6v33100L18getri_kernel_smallILi4E19rocblas_complex_numIfEPKPS3_EEvT1_iilPiilS8_bb.has_recursion, 0
	.set _ZN9rocsolver6v33100L18getri_kernel_smallILi4E19rocblas_complex_numIfEPKPS3_EEvT1_iilPiilS8_bb.has_indirect_call, 0
	.section	.AMDGPU.csdata,"",@progbits
; Kernel info:
; codeLenInByte = 3112
; TotalNumSgprs: 21
; NumVgprs: 32
; ScratchSize: 48
; MemoryBound: 0
; FloatMode: 240
; IeeeMode: 1
; LDSByteSize: 68 bytes/workgroup (compile time only)
; SGPRBlocks: 0
; VGPRBlocks: 1
; NumSGPRsForWavesPerEU: 21
; NumVGPRsForWavesPerEU: 32
; NamedBarCnt: 0
; Occupancy: 16
; WaveLimiterHint : 1
; COMPUTE_PGM_RSRC2:SCRATCH_EN: 1
; COMPUTE_PGM_RSRC2:USER_SGPR: 2
; COMPUTE_PGM_RSRC2:TRAP_HANDLER: 0
; COMPUTE_PGM_RSRC2:TGID_X_EN: 1
; COMPUTE_PGM_RSRC2:TGID_Y_EN: 0
; COMPUTE_PGM_RSRC2:TGID_Z_EN: 0
; COMPUTE_PGM_RSRC2:TIDIG_COMP_CNT: 0
	.section	.text._ZN9rocsolver6v33100L18getri_kernel_smallILi5E19rocblas_complex_numIfEPKPS3_EEvT1_iilPiilS8_bb,"axG",@progbits,_ZN9rocsolver6v33100L18getri_kernel_smallILi5E19rocblas_complex_numIfEPKPS3_EEvT1_iilPiilS8_bb,comdat
	.globl	_ZN9rocsolver6v33100L18getri_kernel_smallILi5E19rocblas_complex_numIfEPKPS3_EEvT1_iilPiilS8_bb ; -- Begin function _ZN9rocsolver6v33100L18getri_kernel_smallILi5E19rocblas_complex_numIfEPKPS3_EEvT1_iilPiilS8_bb
	.p2align	8
	.type	_ZN9rocsolver6v33100L18getri_kernel_smallILi5E19rocblas_complex_numIfEPKPS3_EEvT1_iilPiilS8_bb,@function
_ZN9rocsolver6v33100L18getri_kernel_smallILi5E19rocblas_complex_numIfEPKPS3_EEvT1_iilPiilS8_bb: ; @_ZN9rocsolver6v33100L18getri_kernel_smallILi5E19rocblas_complex_numIfEPKPS3_EEvT1_iilPiilS8_bb
; %bb.0:
	s_mov_b32 s2, exec_lo
	v_cmpx_gt_u32_e32 5, v0
	s_cbranch_execz .LBB68_34
; %bb.1:
	s_clause 0x1
	s_load_b32 s13, s[0:1], 0x38
	s_load_b64 s[2:3], s[0:1], 0x0
	s_getreg_b32 s6, hwreg(HW_REG_IB_STS2, 6, 4)
	s_wait_kmcnt 0x0
	s_bitcmp1_b32 s13, 8
	s_cselect_b32 s12, -1, 0
	s_bfe_u32 s4, ttmp6, 0x4000c
	s_and_b32 s5, ttmp6, 15
	s_add_co_i32 s4, s4, 1
	s_delay_alu instid0(SALU_CYCLE_1) | instskip(NEXT) | instid1(SALU_CYCLE_1)
	s_mul_i32 s4, ttmp9, s4
	s_add_co_i32 s5, s5, s4
	s_cmp_eq_u32 s6, 0
	s_cselect_b32 s10, ttmp9, s5
	s_load_b128 s[4:7], s[0:1], 0x28
	s_ashr_i32 s11, s10, 31
	s_delay_alu instid0(SALU_CYCLE_1) | instskip(NEXT) | instid1(SALU_CYCLE_1)
	s_lshl_b64 s[8:9], s[10:11], 3
	s_add_nc_u64 s[2:3], s[2:3], s[8:9]
	s_bfe_u32 s8, s13, 0x10008
	s_load_b64 s[2:3], s[2:3], 0x0
	s_cmp_eq_u32 s8, 0
                                        ; implicit-def: $sgpr8_sgpr9
	s_cbranch_scc1 .LBB68_3
; %bb.2:
	s_load_b96 s[16:18], s[0:1], 0x18
	s_wait_kmcnt 0x0
	s_mul_u64 s[4:5], s[4:5], s[10:11]
	s_delay_alu instid0(SALU_CYCLE_1) | instskip(SKIP_4) | instid1(SALU_CYCLE_1)
	s_lshl_b64 s[4:5], s[4:5], 2
	s_ashr_i32 s9, s18, 31
	s_mov_b32 s8, s18
	s_add_nc_u64 s[4:5], s[16:17], s[4:5]
	s_lshl_b64 s[8:9], s[8:9], 2
	s_add_nc_u64 s[8:9], s[4:5], s[8:9]
.LBB68_3:
	s_wait_kmcnt 0x0
	s_clause 0x1
	s_load_b64 s[4:5], s[0:1], 0x8
	s_load_b32 s13, s[0:1], 0x38
	v_dual_mov_b32 v3, 0 :: v_dual_lshlrev_b32 v2, 3, v0
	s_wait_kmcnt 0x0
	s_ashr_i32 s1, s4, 31
	s_mov_b32 s0, s4
	s_delay_alu instid0(SALU_CYCLE_1) | instskip(NEXT) | instid1(SALU_CYCLE_1)
	s_lshl_b64 s[0:1], s[0:1], 3
	s_add_nc_u64 s[2:3], s[2:3], s[0:1]
	s_ashr_i32 s1, s5, 31
	flat_load_b64 v[8:9], v0, s[2:3] scale_offset
	v_add_nc_u64_e32 v[4:5], s[2:3], v[2:3]
	s_mov_b32 s0, s5
	s_bitcmp0_b32 s13, 0
	s_delay_alu instid0(VALU_DEP_1)
	v_lshl_add_u64 v[6:7], s[0:1], 3, v[4:5]
	s_mov_b32 s1, -1
	s_wait_loadcnt_dscnt 0x0
	scratch_store_b64 off, v[8:9], off
	flat_load_b64 v[10:11], v[6:7]
	s_wait_xcnt 0x1
	v_add3_u32 v8, s5, s5, v0
	s_wait_loadcnt_dscnt 0x0
	scratch_store_b64 off, v[10:11], off offset:8
	flat_load_b64 v[12:13], v8, s[2:3] scale_offset
	s_wait_xcnt 0x1
	v_add_nc_u32_e32 v10, s5, v8
	s_wait_loadcnt_dscnt 0x0
	scratch_store_b64 off, v[12:13], off offset:16
	flat_load_b64 v[14:15], v10, s[2:3] scale_offset
	s_wait_xcnt 0x1
	v_add_nc_u32_e32 v12, s5, v10
	s_wait_loadcnt_dscnt 0x0
	scratch_store_b64 off, v[14:15], off offset:24
	flat_load_b64 v[14:15], v12, s[2:3] scale_offset
	s_wait_loadcnt_dscnt 0x0
	scratch_store_b64 off, v[14:15], off offset:32
	s_cbranch_scc1 .LBB68_32
; %bb.4:
	v_cmp_eq_u32_e64 s0, 0, v0
	s_wait_xcnt 0x0
	s_and_saveexec_b32 s1, s0
; %bb.5:
	v_mov_b32_e32 v1, 0
	ds_store_b32 v1, v1 offset:40
; %bb.6:
	s_or_b32 exec_lo, exec_lo, s1
	s_wait_storecnt_dscnt 0x0
	s_barrier_signal -1
	s_barrier_wait -1
	scratch_load_b64 v[14:15], v0, off scale_offset
	s_wait_loadcnt 0x0
	v_cmp_eq_f32_e32 vcc_lo, 0, v14
	v_cmp_eq_f32_e64 s1, 0, v15
	s_and_b32 s1, vcc_lo, s1
	s_delay_alu instid0(SALU_CYCLE_1)
	s_and_saveexec_b32 s4, s1
	s_cbranch_execz .LBB68_10
; %bb.7:
	v_mov_b32_e32 v1, 0
	s_mov_b32 s5, 0
	ds_load_b32 v3, v1 offset:40
	s_wait_dscnt 0x0
	v_readfirstlane_b32 s1, v3
	v_add_nc_u32_e32 v3, 1, v0
	s_cmp_eq_u32 s1, 0
	s_delay_alu instid0(VALU_DEP_1) | instskip(SKIP_1) | instid1(SALU_CYCLE_1)
	v_cmp_gt_i32_e32 vcc_lo, s1, v3
	s_cselect_b32 s13, -1, 0
	s_or_b32 s13, s13, vcc_lo
	s_delay_alu instid0(SALU_CYCLE_1)
	s_and_b32 exec_lo, exec_lo, s13
	s_cbranch_execz .LBB68_10
; %bb.8:
	v_mov_b32_e32 v9, s1
.LBB68_9:                               ; =>This Inner Loop Header: Depth=1
	ds_cmpstore_rtn_b32 v9, v1, v3, v9 offset:40
	s_wait_dscnt 0x0
	v_cmp_ne_u32_e32 vcc_lo, 0, v9
	v_cmp_le_i32_e64 s1, v9, v3
	s_and_b32 s1, vcc_lo, s1
	s_delay_alu instid0(SALU_CYCLE_1) | instskip(NEXT) | instid1(SALU_CYCLE_1)
	s_and_b32 s1, exec_lo, s1
	s_or_b32 s5, s1, s5
	s_delay_alu instid0(SALU_CYCLE_1)
	s_and_not1_b32 exec_lo, exec_lo, s5
	s_cbranch_execnz .LBB68_9
.LBB68_10:
	s_or_b32 exec_lo, exec_lo, s4
	v_mov_b32_e32 v1, 0
	s_barrier_signal -1
	s_barrier_wait -1
	ds_load_b32 v3, v1 offset:40
	s_and_saveexec_b32 s1, s0
	s_cbranch_execz .LBB68_12
; %bb.11:
	s_lshl_b64 s[4:5], s[10:11], 2
	s_delay_alu instid0(SALU_CYCLE_1)
	s_add_nc_u64 s[4:5], s[6:7], s[4:5]
	s_wait_dscnt 0x0
	global_store_b32 v1, v3, s[4:5]
.LBB68_12:
	s_wait_xcnt 0x0
	s_or_b32 exec_lo, exec_lo, s1
	s_wait_dscnt 0x0
	v_cmp_ne_u32_e32 vcc_lo, 0, v3
	s_mov_b32 s1, 0
	s_cbranch_vccnz .LBB68_32
; %bb.13:
	v_lshl_add_u32 v3, v0, 3, 0
                                        ; implicit-def: $vgpr17
                                        ; implicit-def: $vgpr18
	scratch_load_b64 v[14:15], v3, off
	s_wait_loadcnt 0x0
	v_cmp_ngt_f32_e64 s1, |v14|, |v15|
	s_wait_xcnt 0x0
	s_and_saveexec_b32 s4, s1
	s_delay_alu instid0(SALU_CYCLE_1)
	s_xor_b32 s1, exec_lo, s4
	s_cbranch_execz .LBB68_15
; %bb.14:
	v_div_scale_f32 v1, null, v15, v15, v14
	v_div_scale_f32 v13, vcc_lo, v14, v15, v14
	s_delay_alu instid0(VALU_DEP_2) | instskip(SKIP_1) | instid1(TRANS32_DEP_1)
	v_rcp_f32_e32 v9, v1
	v_nop
	v_fma_f32 v11, -v1, v9, 1.0
	s_delay_alu instid0(VALU_DEP_1) | instskip(NEXT) | instid1(VALU_DEP_1)
	v_fmac_f32_e32 v9, v11, v9
	v_mul_f32_e32 v11, v13, v9
	s_delay_alu instid0(VALU_DEP_1) | instskip(NEXT) | instid1(VALU_DEP_1)
	v_fma_f32 v16, -v1, v11, v13
	v_fmac_f32_e32 v11, v16, v9
	s_delay_alu instid0(VALU_DEP_1) | instskip(NEXT) | instid1(VALU_DEP_1)
	v_fma_f32 v1, -v1, v11, v13
	v_div_fmas_f32 v1, v1, v9, v11
	s_delay_alu instid0(VALU_DEP_1) | instskip(NEXT) | instid1(VALU_DEP_1)
	v_div_fixup_f32 v1, v1, v15, v14
	v_fmac_f32_e32 v15, v14, v1
	s_delay_alu instid0(VALU_DEP_1) | instskip(NEXT) | instid1(VALU_DEP_1)
	v_div_scale_f32 v9, null, v15, v15, -1.0
	v_rcp_f32_e32 v11, v9
	v_nop
	s_delay_alu instid0(TRANS32_DEP_1) | instskip(NEXT) | instid1(VALU_DEP_1)
	v_fma_f32 v13, -v9, v11, 1.0
	v_fmac_f32_e32 v11, v13, v11
	v_div_scale_f32 v13, vcc_lo, -1.0, v15, -1.0
	s_delay_alu instid0(VALU_DEP_1) | instskip(NEXT) | instid1(VALU_DEP_1)
	v_mul_f32_e32 v14, v13, v11
	v_fma_f32 v16, -v9, v14, v13
	s_delay_alu instid0(VALU_DEP_1) | instskip(NEXT) | instid1(VALU_DEP_1)
	v_fmac_f32_e32 v14, v16, v11
	v_fma_f32 v9, -v9, v14, v13
	s_delay_alu instid0(VALU_DEP_1) | instskip(NEXT) | instid1(VALU_DEP_1)
	v_div_fmas_f32 v9, v9, v11, v14
	v_div_fixup_f32 v17, v9, v15, -1.0
                                        ; implicit-def: $vgpr14_vgpr15
	s_delay_alu instid0(VALU_DEP_1) | instskip(NEXT) | instid1(VALU_DEP_1)
	v_mul_f32_e32 v18, v1, v17
	v_xor_b32_e32 v16, 0x80000000, v18
.LBB68_15:
	s_and_not1_saveexec_b32 s1, s1
	s_cbranch_execz .LBB68_17
; %bb.16:
	v_div_scale_f32 v1, null, v14, v14, v15
	v_div_scale_f32 v13, vcc_lo, v15, v14, v15
	s_delay_alu instid0(VALU_DEP_2) | instskip(SKIP_1) | instid1(TRANS32_DEP_1)
	v_rcp_f32_e32 v9, v1
	v_nop
	v_fma_f32 v11, -v1, v9, 1.0
	s_delay_alu instid0(VALU_DEP_1) | instskip(NEXT) | instid1(VALU_DEP_1)
	v_fmac_f32_e32 v9, v11, v9
	v_mul_f32_e32 v11, v13, v9
	s_delay_alu instid0(VALU_DEP_1) | instskip(NEXT) | instid1(VALU_DEP_1)
	v_fma_f32 v16, -v1, v11, v13
	v_fmac_f32_e32 v11, v16, v9
	s_delay_alu instid0(VALU_DEP_1) | instskip(NEXT) | instid1(VALU_DEP_1)
	v_fma_f32 v1, -v1, v11, v13
	v_div_fmas_f32 v1, v1, v9, v11
	s_delay_alu instid0(VALU_DEP_1) | instskip(NEXT) | instid1(VALU_DEP_1)
	v_div_fixup_f32 v1, v1, v14, v15
	v_fmac_f32_e32 v14, v15, v1
	s_delay_alu instid0(VALU_DEP_1) | instskip(SKIP_1) | instid1(VALU_DEP_2)
	v_div_scale_f32 v9, null, v14, v14, 1.0
	v_div_scale_f32 v15, vcc_lo, 1.0, v14, 1.0
	v_rcp_f32_e32 v11, v9
	v_nop
	s_delay_alu instid0(TRANS32_DEP_1) | instskip(NEXT) | instid1(VALU_DEP_1)
	v_fma_f32 v13, -v9, v11, 1.0
	v_fmac_f32_e32 v11, v13, v11
	s_delay_alu instid0(VALU_DEP_1) | instskip(NEXT) | instid1(VALU_DEP_1)
	v_mul_f32_e32 v13, v15, v11
	v_fma_f32 v16, -v9, v13, v15
	s_delay_alu instid0(VALU_DEP_1) | instskip(NEXT) | instid1(VALU_DEP_1)
	v_fmac_f32_e32 v13, v16, v11
	v_fma_f32 v9, -v9, v13, v15
	s_delay_alu instid0(VALU_DEP_1) | instskip(NEXT) | instid1(VALU_DEP_1)
	v_div_fmas_f32 v9, v9, v11, v13
	v_div_fixup_f32 v16, v9, v14, 1.0
	s_delay_alu instid0(VALU_DEP_1)
	v_xor_b32_e32 v18, 0x80000000, v16
	v_mul_f32_e64 v17, v1, -v16
.LBB68_17:
	s_or_b32 exec_lo, exec_lo, s1
	scratch_store_b64 v3, v[16:17], off
	scratch_load_b64 v[14:15], off, off offset:8
	v_xor_b32_e32 v19, 0x80000000, v17
	v_add_nc_u32_e32 v1, 48, v2
	s_wait_loadcnt 0x0
	ds_store_2addr_b64 v2, v[18:19], v[14:15] offset1:6
	s_wait_storecnt_dscnt 0x0
	s_barrier_signal -1
	s_barrier_wait -1
	s_wait_xcnt 0x0
	s_and_saveexec_b32 s1, s0
	s_cbranch_execz .LBB68_19
; %bb.18:
	scratch_load_b64 v[14:15], v3, off
	ds_load_b64 v[16:17], v1
	s_wait_loadcnt_dscnt 0x0
	v_pk_mul_f32 v[20:21], v[16:17], v[14:15] op_sel:[1,1] op_sel_hi:[0,1]
	s_delay_alu instid0(VALU_DEP_1) | instskip(SKIP_2) | instid1(VALU_DEP_3)
	v_pk_fma_f32 v[22:23], v[16:17], v[14:15], v[20:21] op_sel_hi:[1,0,1]
	v_mov_b32_e32 v9, 0
	v_pk_fma_f32 v[14:15], v[16:17], v[14:15], v[20:21] neg_lo:[0,0,1] neg_hi:[0,0,1]
	v_mov_b32_e32 v15, v23
	ds_load_b64 v[18:19], v9 offset:8
	v_pk_add_f32 v[14:15], v[14:15], 0 op_sel_hi:[1,0]
	s_wait_dscnt 0x0
	s_delay_alu instid0(VALU_DEP_1) | instskip(NEXT) | instid1(VALU_DEP_1)
	v_pk_mul_f32 v[16:17], v[14:15], v[18:19] op_sel:[1,1] op_sel_hi:[0,1]
	v_pk_fma_f32 v[20:21], v[14:15], v[18:19], v[16:17] op_sel_hi:[1,0,1]
	v_pk_fma_f32 v[14:15], v[14:15], v[18:19], v[16:17] neg_lo:[0,0,1] neg_hi:[0,0,1]
	s_delay_alu instid0(VALU_DEP_2)
	v_mov_b32_e32 v15, v21
	scratch_store_b64 off, v[14:15], off offset:8
.LBB68_19:
	s_wait_xcnt 0x0
	s_or_b32 exec_lo, exec_lo, s1
	s_wait_storecnt 0x0
	s_barrier_signal -1
	s_barrier_wait -1
	scratch_load_b64 v[14:15], off, off offset:16
	s_mov_b32 s1, exec_lo
	s_wait_loadcnt 0x0
	ds_store_b64 v1, v[14:15]
	s_wait_dscnt 0x0
	s_barrier_signal -1
	s_barrier_wait -1
	v_cmpx_gt_u32_e32 2, v0
	s_cbranch_execz .LBB68_23
; %bb.20:
	scratch_load_b64 v[14:15], v3, off
	ds_load_b64 v[16:17], v1
	s_wait_loadcnt_dscnt 0x0
	v_pk_mul_f32 v[18:19], v[16:17], v[14:15] op_sel:[1,1] op_sel_hi:[0,1]
	s_delay_alu instid0(VALU_DEP_1) | instskip(SKIP_1) | instid1(VALU_DEP_2)
	v_pk_fma_f32 v[20:21], v[16:17], v[14:15], v[18:19] op_sel_hi:[1,0,1]
	v_pk_fma_f32 v[14:15], v[16:17], v[14:15], v[18:19] neg_lo:[0,0,1] neg_hi:[0,0,1]
	v_mov_b32_e32 v15, v21
	s_delay_alu instid0(VALU_DEP_1)
	v_pk_add_f32 v[14:15], v[14:15], 0 op_sel_hi:[1,0]
	s_and_saveexec_b32 s4, s0
	s_cbranch_execz .LBB68_22
; %bb.21:
	scratch_load_b64 v[16:17], off, off offset:8
	v_mov_b32_e32 v3, 0
	ds_load_b64 v[18:19], v3 offset:56
	s_wait_loadcnt_dscnt 0x0
	v_pk_mul_f32 v[20:21], v[18:19], v[16:17] op_sel:[1,1] op_sel_hi:[0,1]
	s_delay_alu instid0(VALU_DEP_1) | instskip(SKIP_1) | instid1(VALU_DEP_2)
	v_pk_fma_f32 v[22:23], v[18:19], v[16:17], v[20:21] op_sel_hi:[1,0,1]
	v_pk_fma_f32 v[16:17], v[18:19], v[16:17], v[20:21] neg_lo:[0,0,1] neg_hi:[0,0,1]
	v_mov_b32_e32 v17, v23
	s_delay_alu instid0(VALU_DEP_1)
	v_pk_add_f32 v[14:15], v[14:15], v[16:17]
.LBB68_22:
	s_or_b32 exec_lo, exec_lo, s4
	v_mov_b32_e32 v3, 0
	ds_load_b64 v[16:17], v3 offset:16
	s_wait_dscnt 0x0
	v_pk_mul_f32 v[18:19], v[14:15], v[16:17] op_sel:[1,1] op_sel_hi:[0,1]
	s_delay_alu instid0(VALU_DEP_1) | instskip(SKIP_1) | instid1(VALU_DEP_2)
	v_pk_fma_f32 v[20:21], v[14:15], v[16:17], v[18:19] op_sel_hi:[1,0,1]
	v_pk_fma_f32 v[14:15], v[14:15], v[16:17], v[18:19] neg_lo:[0,0,1] neg_hi:[0,0,1]
	v_mov_b32_e32 v15, v21
	scratch_store_b64 off, v[14:15], off offset:16
.LBB68_23:
	s_wait_xcnt 0x0
	s_or_b32 exec_lo, exec_lo, s1
	s_wait_storecnt 0x0
	s_barrier_signal -1
	s_barrier_wait -1
	scratch_load_b64 v[14:15], off, off offset:24
	v_add_nc_u32_e32 v3, -1, v0
	s_mov_b32 s0, exec_lo
	s_wait_loadcnt 0x0
	ds_store_b64 v1, v[14:15]
	s_wait_dscnt 0x0
	s_barrier_signal -1
	s_barrier_wait -1
	v_cmpx_gt_u32_e32 3, v0
	s_cbranch_execz .LBB68_27
; %bb.24:
	v_dual_mov_b32 v14, 0 :: v_dual_add_nc_u32 v9, -1, v0
	v_dual_add_nc_u32 v11, 48, v2 :: v_dual_mov_b32 v13, v2
	s_mov_b32 s1, 0
	s_delay_alu instid0(VALU_DEP_2)
	v_mov_b32_e32 v15, v14
.LBB68_25:                              ; =>This Inner Loop Header: Depth=1
	scratch_load_b64 v[16:17], v13, off
	ds_load_b64 v[18:19], v11
	s_wait_xcnt 0x0
	v_dual_add_nc_u32 v11, 8, v11 :: v_dual_add_nc_u32 v13, 8, v13
	s_wait_loadcnt_dscnt 0x0
	v_pk_mul_f32 v[20:21], v[18:19], v[16:17] op_sel:[1,1] op_sel_hi:[0,1]
	s_delay_alu instid0(VALU_DEP_1) | instskip(SKIP_2) | instid1(VALU_DEP_3)
	v_pk_fma_f32 v[22:23], v[18:19], v[16:17], v[20:21] op_sel_hi:[1,0,1]
	v_add_nc_u32_e32 v9, 1, v9
	v_pk_fma_f32 v[16:17], v[18:19], v[16:17], v[20:21] neg_lo:[0,0,1] neg_hi:[0,0,1]
	v_mov_b32_e32 v17, v23
	s_delay_alu instid0(VALU_DEP_3) | instskip(NEXT) | instid1(VALU_DEP_2)
	v_cmp_lt_u32_e32 vcc_lo, 1, v9
	v_pk_add_f32 v[14:15], v[14:15], v[16:17]
	s_or_b32 s1, vcc_lo, s1
	s_delay_alu instid0(SALU_CYCLE_1)
	s_and_not1_b32 exec_lo, exec_lo, s1
	s_cbranch_execnz .LBB68_25
; %bb.26:
	s_or_b32 exec_lo, exec_lo, s1
	v_mov_b32_e32 v9, 0
	ds_load_b64 v[16:17], v9 offset:24
	s_wait_dscnt 0x0
	v_pk_mul_f32 v[18:19], v[14:15], v[16:17] op_sel:[1,1] op_sel_hi:[0,1]
	s_delay_alu instid0(VALU_DEP_1) | instskip(SKIP_1) | instid1(VALU_DEP_2)
	v_pk_fma_f32 v[20:21], v[14:15], v[16:17], v[18:19] op_sel_hi:[1,0,1]
	v_pk_fma_f32 v[14:15], v[14:15], v[16:17], v[18:19] neg_lo:[0,0,1] neg_hi:[0,0,1]
	v_mov_b32_e32 v15, v21
	scratch_store_b64 off, v[14:15], off offset:24
.LBB68_27:
	s_wait_xcnt 0x0
	s_or_b32 exec_lo, exec_lo, s0
	s_wait_storecnt 0x0
	s_barrier_signal -1
	s_barrier_wait -1
	scratch_load_b64 v[14:15], off, off offset:32
	s_mov_b32 s0, exec_lo
	s_wait_loadcnt 0x0
	ds_store_b64 v1, v[14:15]
	s_wait_dscnt 0x0
	s_barrier_signal -1
	s_barrier_wait -1
	v_cmpx_ne_u32_e32 4, v0
	s_cbranch_execz .LBB68_31
; %bb.28:
	v_mov_b32_e32 v14, 0
	s_mov_b32 s1, 0
	s_delay_alu instid0(VALU_DEP_1)
	v_mov_b32_e32 v15, v14
.LBB68_29:                              ; =>This Inner Loop Header: Depth=1
	scratch_load_b64 v[16:17], v2, off
	ds_load_b64 v[18:19], v1
	s_wait_xcnt 0x0
	v_dual_add_nc_u32 v1, 8, v1 :: v_dual_add_nc_u32 v2, 8, v2
	s_wait_loadcnt_dscnt 0x0
	v_pk_mul_f32 v[20:21], v[18:19], v[16:17] op_sel:[1,1] op_sel_hi:[0,1]
	s_delay_alu instid0(VALU_DEP_1) | instskip(SKIP_2) | instid1(VALU_DEP_3)
	v_pk_fma_f32 v[22:23], v[18:19], v[16:17], v[20:21] op_sel_hi:[1,0,1]
	v_add_nc_u32_e32 v3, 1, v3
	v_pk_fma_f32 v[16:17], v[18:19], v[16:17], v[20:21] neg_lo:[0,0,1] neg_hi:[0,0,1]
	v_mov_b32_e32 v17, v23
	s_delay_alu instid0(VALU_DEP_3) | instskip(NEXT) | instid1(VALU_DEP_2)
	v_cmp_lt_u32_e32 vcc_lo, 2, v3
	v_pk_add_f32 v[14:15], v[14:15], v[16:17]
	s_or_b32 s1, vcc_lo, s1
	s_delay_alu instid0(SALU_CYCLE_1)
	s_and_not1_b32 exec_lo, exec_lo, s1
	s_cbranch_execnz .LBB68_29
; %bb.30:
	s_or_b32 exec_lo, exec_lo, s1
	v_mov_b32_e32 v1, 0
	ds_load_b64 v[2:3], v1 offset:32
	s_wait_dscnt 0x0
	v_pk_mul_f32 v[16:17], v[14:15], v[2:3] op_sel:[1,1] op_sel_hi:[0,1]
	s_delay_alu instid0(VALU_DEP_1) | instskip(SKIP_1) | instid1(VALU_DEP_2)
	v_pk_fma_f32 v[18:19], v[14:15], v[2:3], v[16:17] op_sel_hi:[1,0,1]
	v_pk_fma_f32 v[2:3], v[14:15], v[2:3], v[16:17] neg_lo:[0,0,1] neg_hi:[0,0,1]
	v_mov_b32_e32 v3, v19
	scratch_store_b64 off, v[2:3], off offset:32
.LBB68_31:
	s_wait_xcnt 0x0
	s_or_b32 exec_lo, exec_lo, s0
	s_mov_b32 s1, -1
	s_wait_storecnt 0x0
	s_barrier_signal -1
	s_barrier_wait -1
.LBB68_32:
	s_and_b32 vcc_lo, exec_lo, s1
	s_cbranch_vccz .LBB68_34
; %bb.33:
	v_mov_b32_e32 v1, 0
	s_lshl_b64 s[0:1], s[10:11], 2
	s_delay_alu instid0(SALU_CYCLE_1)
	s_add_nc_u64 s[0:1], s[6:7], s[0:1]
	global_load_b32 v1, v1, s[0:1]
	s_wait_loadcnt 0x0
	v_cmp_ne_u32_e32 vcc_lo, 0, v1
	s_cbranch_vccz .LBB68_35
.LBB68_34:
	s_endpgm
.LBB68_35:
	s_wait_xcnt 0x0
	v_lshl_add_u32 v1, v0, 3, 48
	s_mov_b32 s0, exec_lo
	v_cmpx_eq_u32_e32 4, v0
	s_cbranch_execz .LBB68_37
; %bb.36:
	scratch_load_b64 v[2:3], off, off offset:24
	v_mov_b64_e32 v[14:15], 0
	scratch_store_b64 off, v[14:15], off offset:24
	s_wait_loadcnt 0x0
	ds_store_b64 v1, v[2:3]
.LBB68_37:
	s_wait_xcnt 0x0
	s_or_b32 exec_lo, exec_lo, s0
	s_wait_storecnt_dscnt 0x0
	s_barrier_signal -1
	s_barrier_wait -1
	s_clause 0x1
	scratch_load_b64 v[14:15], off, off offset:32
	scratch_load_b64 v[16:17], off, off offset:24
	v_mov_b32_e32 v2, 0
	s_mov_b32 s0, exec_lo
	ds_load_b64 v[18:19], v2 offset:80
	s_wait_loadcnt_dscnt 0x100
	v_pk_mul_f32 v[20:21], v[18:19], v[14:15] op_sel:[1,1] op_sel_hi:[0,1]
	s_delay_alu instid0(VALU_DEP_1) | instskip(SKIP_1) | instid1(VALU_DEP_2)
	v_pk_fma_f32 v[22:23], v[18:19], v[14:15], v[20:21] op_sel_hi:[1,0,1]
	v_pk_fma_f32 v[14:15], v[18:19], v[14:15], v[20:21] neg_lo:[0,0,1] neg_hi:[0,0,1]
	v_mov_b32_e32 v15, v23
	s_delay_alu instid0(VALU_DEP_1) | instskip(SKIP_1) | instid1(VALU_DEP_1)
	v_pk_add_f32 v[14:15], v[14:15], 0 op_sel_hi:[1,0]
	s_wait_loadcnt 0x0
	v_pk_add_f32 v[14:15], v[16:17], v[14:15] neg_lo:[0,1] neg_hi:[0,1]
	scratch_store_b64 off, v[14:15], off offset:24
	s_wait_xcnt 0x0
	v_cmpx_lt_u32_e32 2, v0
	s_cbranch_execz .LBB68_39
; %bb.38:
	scratch_load_b64 v[14:15], off, off offset:16
	v_mov_b64_e32 v[16:17], 0
	scratch_store_b64 off, v[16:17], off offset:16
	s_wait_loadcnt 0x0
	ds_store_b64 v1, v[14:15]
.LBB68_39:
	s_wait_xcnt 0x0
	s_or_b32 exec_lo, exec_lo, s0
	s_wait_storecnt_dscnt 0x0
	s_barrier_signal -1
	s_barrier_wait -1
	s_clause 0x1
	scratch_load_b128 v[14:17], off, off offset:24
	scratch_load_b64 v[22:23], off, off offset:16
	ds_load_2addr_b64 v[18:21], v2 offset0:9 offset1:10
	s_mov_b32 s0, exec_lo
	s_wait_dscnt 0x0
	v_dual_mov_b32 v2, v21 :: v_dual_mov_b32 v3, v20
	s_wait_loadcnt 0x1
	v_pk_mul_f32 v[24:25], v[18:19], v[14:15] op_sel:[1,1] op_sel_hi:[0,1]
	s_delay_alu instid0(VALU_DEP_1) | instskip(SKIP_2) | instid1(VALU_DEP_3)
	v_pk_fma_f32 v[28:29], v[18:19], v[14:15], v[24:25] op_sel_hi:[1,0,1]
	v_mov_b32_e32 v26, v17
	v_pk_fma_f32 v[14:15], v[18:19], v[14:15], v[24:25] neg_lo:[0,0,1] neg_hi:[0,0,1]
	v_mov_b32_e32 v15, v29
	s_delay_alu instid0(VALU_DEP_3) | instskip(NEXT) | instid1(VALU_DEP_2)
	v_pk_mul_f32 v[2:3], v[2:3], v[26:27] op_sel_hi:[1,0]
	v_pk_add_f32 v[14:15], v[14:15], 0 op_sel_hi:[1,0]
	s_delay_alu instid0(VALU_DEP_2) | instskip(SKIP_1) | instid1(VALU_DEP_2)
	v_pk_fma_f32 v[18:19], v[20:21], v[16:17], v[2:3] op_sel_hi:[1,0,1]
	v_pk_fma_f32 v[2:3], v[20:21], v[16:17], v[2:3] neg_lo:[0,0,1] neg_hi:[0,0,1]
	v_mov_b32_e32 v3, v19
	s_delay_alu instid0(VALU_DEP_1) | instskip(SKIP_1) | instid1(VALU_DEP_1)
	v_pk_add_f32 v[2:3], v[14:15], v[2:3]
	s_wait_loadcnt 0x0
	v_pk_add_f32 v[2:3], v[22:23], v[2:3] neg_lo:[0,1] neg_hi:[0,1]
	scratch_store_b64 off, v[2:3], off offset:16
	s_wait_xcnt 0x0
	v_cmpx_lt_u32_e32 1, v0
	s_cbranch_execz .LBB68_41
; %bb.40:
	scratch_load_b64 v[2:3], off, off offset:8
	v_mov_b64_e32 v[14:15], 0
	scratch_store_b64 off, v[14:15], off offset:8
	s_wait_loadcnt 0x0
	ds_store_b64 v1, v[2:3]
.LBB68_41:
	s_wait_xcnt 0x0
	s_or_b32 exec_lo, exec_lo, s0
	s_wait_storecnt_dscnt 0x0
	s_barrier_signal -1
	s_barrier_wait -1
	s_clause 0x2
	scratch_load_b128 v[16:19], off, off offset:16
	scratch_load_b64 v[2:3], off, off offset:32
	scratch_load_b64 v[24:25], off, off offset:8
	v_mov_b32_e32 v14, 0
	ds_load_b128 v[20:23], v14 offset:64
	ds_load_b64 v[26:27], v14 offset:80
	v_dual_ashrrev_i32 v11, 31, v10 :: v_dual_ashrrev_i32 v13, 31, v12
	s_mov_b32 s0, exec_lo
	s_wait_dscnt 0x1
	v_dual_mov_b32 v28, v23 :: v_dual_ashrrev_i32 v9, 31, v8
	s_wait_loadcnt 0x2
	v_dual_mov_b32 v29, v22 :: v_dual_mov_b32 v32, v19
	v_pk_mul_f32 v[30:31], v[20:21], v[16:17] op_sel:[1,1] op_sel_hi:[0,1]
	s_delay_alu instid0(VALU_DEP_2) | instskip(NEXT) | instid1(VALU_DEP_2)
	v_pk_mul_f32 v[28:29], v[28:29], v[32:33] op_sel_hi:[1,0]
	v_pk_fma_f32 v[34:35], v[20:21], v[16:17], v[30:31] op_sel_hi:[1,0,1]
	v_pk_fma_f32 v[16:17], v[20:21], v[16:17], v[30:31] neg_lo:[0,0,1] neg_hi:[0,0,1]
	s_wait_loadcnt_dscnt 0x100
	v_pk_mul_f32 v[30:31], v[26:27], v[2:3] op_sel:[1,1] op_sel_hi:[0,1]
	v_pk_fma_f32 v[20:21], v[22:23], v[18:19], v[28:29] op_sel_hi:[1,0,1]
	v_mov_b32_e32 v17, v35
	v_pk_fma_f32 v[18:19], v[22:23], v[18:19], v[28:29] neg_lo:[0,0,1] neg_hi:[0,0,1]
	s_delay_alu instid0(VALU_DEP_3) | instskip(NEXT) | instid1(VALU_DEP_3)
	v_mov_b32_e32 v19, v21
	v_pk_add_f32 v[16:17], v[16:17], 0 op_sel_hi:[1,0]
	v_pk_fma_f32 v[20:21], v[26:27], v[2:3], v[30:31] op_sel_hi:[1,0,1]
	v_pk_fma_f32 v[2:3], v[26:27], v[2:3], v[30:31] neg_lo:[0,0,1] neg_hi:[0,0,1]
	s_delay_alu instid0(VALU_DEP_3) | instskip(NEXT) | instid1(VALU_DEP_3)
	v_pk_add_f32 v[16:17], v[16:17], v[18:19]
	v_mov_b32_e32 v3, v21
	s_delay_alu instid0(VALU_DEP_1) | instskip(SKIP_1) | instid1(VALU_DEP_1)
	v_pk_add_f32 v[2:3], v[16:17], v[2:3]
	s_wait_loadcnt 0x0
	v_pk_add_f32 v[2:3], v[24:25], v[2:3] neg_lo:[0,1] neg_hi:[0,1]
	scratch_store_b64 off, v[2:3], off offset:8
	s_wait_xcnt 0x0
	v_cmpx_ne_u32_e32 0, v0
	s_cbranch_execz .LBB68_43
; %bb.42:
	scratch_load_b64 v[2:3], off, off
	v_mov_b64_e32 v[16:17], 0
	scratch_store_b64 off, v[16:17], off
	s_wait_loadcnt 0x0
	ds_store_b64 v1, v[2:3]
.LBB68_43:
	s_wait_xcnt 0x0
	s_or_b32 exec_lo, exec_lo, s0
	s_wait_storecnt_dscnt 0x0
	s_barrier_signal -1
	s_barrier_wait -1
	s_clause 0x2
	scratch_load_b128 v[16:19], off, off offset:8
	scratch_load_b128 v[0:3], off, off offset:24
	scratch_load_b64 v[28:29], off, off
	ds_load_2addr_b64 v[20:23], v14 offset0:7 offset1:8
	ds_load_2addr_b64 v[24:27], v14 offset0:9 offset1:10
	s_and_b32 vcc_lo, exec_lo, s12
	s_wait_dscnt 0x1
	v_dual_mov_b32 v14, v23 :: v_dual_mov_b32 v15, v22
	s_wait_dscnt 0x0
	v_dual_mov_b32 v35, v26 :: v_dual_mov_b32 v34, v27
	s_wait_loadcnt 0x2
	v_mov_b32_e32 v32, v19
	v_pk_mul_f32 v[30:31], v[20:21], v[16:17] op_sel:[1,1] op_sel_hi:[0,1]
	s_delay_alu instid0(VALU_DEP_2) | instskip(NEXT) | instid1(VALU_DEP_2)
	v_pk_mul_f32 v[14:15], v[14:15], v[32:33] op_sel_hi:[1,0]
	v_pk_fma_f32 v[36:37], v[20:21], v[16:17], v[30:31] op_sel_hi:[1,0,1]
	v_pk_fma_f32 v[16:17], v[20:21], v[16:17], v[30:31] neg_lo:[0,0,1] neg_hi:[0,0,1]
	s_wait_loadcnt 0x1
	v_pk_mul_f32 v[32:33], v[24:25], v[0:1] op_sel:[1,1] op_sel_hi:[0,1]
	v_mov_b32_e32 v36, v3
	v_pk_fma_f32 v[20:21], v[22:23], v[18:19], v[14:15] op_sel_hi:[1,0,1]
	v_mov_b32_e32 v17, v37
	v_pk_fma_f32 v[14:15], v[22:23], v[18:19], v[14:15] neg_lo:[0,0,1] neg_hi:[0,0,1]
	v_pk_fma_f32 v[30:31], v[24:25], v[0:1], v[32:33] op_sel_hi:[1,0,1]
	v_pk_mul_f32 v[34:35], v[34:35], v[36:37] op_sel_hi:[1,0]
	v_mov_b32_e32 v15, v21
	v_pk_add_f32 v[16:17], v[16:17], 0 op_sel_hi:[1,0]
	v_pk_fma_f32 v[18:19], v[24:25], v[0:1], v[32:33] neg_lo:[0,0,1] neg_hi:[0,0,1]
	s_delay_alu instid0(VALU_DEP_4) | instskip(SKIP_1) | instid1(VALU_DEP_4)
	v_pk_fma_f32 v[20:21], v[26:27], v[2:3], v[34:35] op_sel_hi:[1,0,1]
	v_mov_b32_e32 v19, v31
	v_pk_add_f32 v[14:15], v[16:17], v[14:15]
	v_pk_fma_f32 v[2:3], v[26:27], v[2:3], v[34:35] neg_lo:[0,0,1] neg_hi:[0,0,1]
	s_delay_alu instid0(VALU_DEP_4) | instskip(NEXT) | instid1(VALU_DEP_3)
	v_mov_b32_e32 v3, v21
	v_pk_add_f32 v[14:15], v[14:15], v[18:19]
	s_delay_alu instid0(VALU_DEP_1) | instskip(SKIP_1) | instid1(VALU_DEP_1)
	v_pk_add_f32 v[2:3], v[14:15], v[2:3]
	s_wait_loadcnt 0x0
	v_pk_add_f32 v[2:3], v[28:29], v[2:3] neg_lo:[0,1] neg_hi:[0,1]
	scratch_store_b64 off, v[2:3], off
	s_cbranch_vccz .LBB68_52
; %bb.44:
	s_wait_xcnt 0x0
	v_mov_b32_e32 v2, 0
	global_load_b32 v3, v2, s[8:9] offset:12
	s_wait_loadcnt 0x0
	v_cmp_ne_u32_e32 vcc_lo, 4, v3
	s_cbranch_vccz .LBB68_46
; %bb.45:
	v_lshlrev_b32_e32 v3, 3, v3
	scratch_load_b64 v[14:15], v3, off offset:-8
	s_wait_loadcnt 0x0
	scratch_store_b64 off, v[14:15], off offset:24
	scratch_store_b64 v3, v[0:1], off offset:-8
.LBB68_46:
	global_load_b32 v0, v2, s[8:9] offset:8
	s_wait_loadcnt 0x0
	v_cmp_eq_u32_e32 vcc_lo, 3, v0
	s_cbranch_vccnz .LBB68_48
; %bb.47:
	v_lshlrev_b32_e32 v0, 3, v0
	s_delay_alu instid0(VALU_DEP_1)
	v_mov_b32_e32 v14, v0
	scratch_load_b64 v[0:1], v14, off offset:-8
	scratch_load_b64 v[2:3], off, off offset:16
	s_wait_loadcnt 0x1
	scratch_store_b64 off, v[0:1], off offset:16
	s_wait_loadcnt 0x0
	scratch_store_b64 v14, v[2:3], off offset:-8
.LBB68_48:
	s_wait_xcnt 0x1
	v_mov_b32_e32 v0, 0
	global_load_b32 v1, v0, s[8:9] offset:4
	s_wait_loadcnt 0x0
	v_cmp_eq_u32_e32 vcc_lo, 2, v1
	s_cbranch_vccnz .LBB68_50
; %bb.49:
	v_lshlrev_b32_e32 v1, 3, v1
	scratch_load_b64 v[2:3], v1, off offset:-8
	scratch_load_b64 v[14:15], off, off offset:8
	s_wait_loadcnt 0x1
	scratch_store_b64 off, v[2:3], off offset:8
	s_wait_loadcnt 0x0
	scratch_store_b64 v1, v[14:15], off offset:-8
.LBB68_50:
	global_load_b32 v0, v0, s[8:9]
	scratch_load_b64 v[2:3], off, off
	s_wait_loadcnt 0x1
	v_cmp_eq_u32_e32 vcc_lo, 1, v0
	s_cbranch_vccnz .LBB68_52
; %bb.51:
	s_wait_xcnt 0x1
	v_lshlrev_b32_e32 v0, 3, v0
	s_delay_alu instid0(VALU_DEP_1)
	v_mov_b32_e32 v14, v0
	scratch_load_b64 v[0:1], v14, off offset:-8
	s_wait_loadcnt 0x0
	scratch_store_b64 off, v[0:1], off
	scratch_store_b64 v14, v[2:3], off offset:-8
	scratch_load_b64 v[2:3], off, off
.LBB68_52:
	s_wait_loadcnt 0x0
	flat_store_b64 v[4:5], v[2:3]
	scratch_load_b64 v[2:3], off, off offset:8
	v_lshl_add_u64 v[14:15], v[8:9], 3, s[2:3]
	v_lshl_add_u64 v[8:9], v[10:11], 3, s[2:3]
	v_lshl_add_u64 v[0:1], v[12:13], 3, s[2:3]
	s_wait_loadcnt 0x0
	flat_store_b64 v[6:7], v[2:3]
	scratch_load_b64 v[2:3], off, off offset:16
	s_wait_loadcnt 0x0
	flat_store_b64 v[14:15], v[2:3]
	scratch_load_b64 v[2:3], off, off offset:24
	;; [unrolled: 3-line block ×3, first 2 shown]
	s_wait_loadcnt 0x0
	flat_store_b64 v[0:1], v[2:3]
	s_endpgm
	.section	.rodata,"a",@progbits
	.p2align	6, 0x0
	.amdhsa_kernel _ZN9rocsolver6v33100L18getri_kernel_smallILi5E19rocblas_complex_numIfEPKPS3_EEvT1_iilPiilS8_bb
		.amdhsa_group_segment_fixed_size 88
		.amdhsa_private_segment_fixed_size 48
		.amdhsa_kernarg_size 60
		.amdhsa_user_sgpr_count 2
		.amdhsa_user_sgpr_dispatch_ptr 0
		.amdhsa_user_sgpr_queue_ptr 0
		.amdhsa_user_sgpr_kernarg_segment_ptr 1
		.amdhsa_user_sgpr_dispatch_id 0
		.amdhsa_user_sgpr_kernarg_preload_length 0
		.amdhsa_user_sgpr_kernarg_preload_offset 0
		.amdhsa_user_sgpr_private_segment_size 0
		.amdhsa_wavefront_size32 1
		.amdhsa_uses_dynamic_stack 0
		.amdhsa_enable_private_segment 1
		.amdhsa_system_sgpr_workgroup_id_x 1
		.amdhsa_system_sgpr_workgroup_id_y 0
		.amdhsa_system_sgpr_workgroup_id_z 0
		.amdhsa_system_sgpr_workgroup_info 0
		.amdhsa_system_vgpr_workitem_id 0
		.amdhsa_next_free_vgpr 38
		.amdhsa_next_free_sgpr 19
		.amdhsa_named_barrier_count 0
		.amdhsa_reserve_vcc 1
		.amdhsa_float_round_mode_32 0
		.amdhsa_float_round_mode_16_64 0
		.amdhsa_float_denorm_mode_32 3
		.amdhsa_float_denorm_mode_16_64 3
		.amdhsa_fp16_overflow 0
		.amdhsa_memory_ordered 1
		.amdhsa_forward_progress 1
		.amdhsa_inst_pref_size 31
		.amdhsa_round_robin_scheduling 0
		.amdhsa_exception_fp_ieee_invalid_op 0
		.amdhsa_exception_fp_denorm_src 0
		.amdhsa_exception_fp_ieee_div_zero 0
		.amdhsa_exception_fp_ieee_overflow 0
		.amdhsa_exception_fp_ieee_underflow 0
		.amdhsa_exception_fp_ieee_inexact 0
		.amdhsa_exception_int_div_zero 0
	.end_amdhsa_kernel
	.section	.text._ZN9rocsolver6v33100L18getri_kernel_smallILi5E19rocblas_complex_numIfEPKPS3_EEvT1_iilPiilS8_bb,"axG",@progbits,_ZN9rocsolver6v33100L18getri_kernel_smallILi5E19rocblas_complex_numIfEPKPS3_EEvT1_iilPiilS8_bb,comdat
.Lfunc_end68:
	.size	_ZN9rocsolver6v33100L18getri_kernel_smallILi5E19rocblas_complex_numIfEPKPS3_EEvT1_iilPiilS8_bb, .Lfunc_end68-_ZN9rocsolver6v33100L18getri_kernel_smallILi5E19rocblas_complex_numIfEPKPS3_EEvT1_iilPiilS8_bb
                                        ; -- End function
	.set _ZN9rocsolver6v33100L18getri_kernel_smallILi5E19rocblas_complex_numIfEPKPS3_EEvT1_iilPiilS8_bb.num_vgpr, 38
	.set _ZN9rocsolver6v33100L18getri_kernel_smallILi5E19rocblas_complex_numIfEPKPS3_EEvT1_iilPiilS8_bb.num_agpr, 0
	.set _ZN9rocsolver6v33100L18getri_kernel_smallILi5E19rocblas_complex_numIfEPKPS3_EEvT1_iilPiilS8_bb.numbered_sgpr, 19
	.set _ZN9rocsolver6v33100L18getri_kernel_smallILi5E19rocblas_complex_numIfEPKPS3_EEvT1_iilPiilS8_bb.num_named_barrier, 0
	.set _ZN9rocsolver6v33100L18getri_kernel_smallILi5E19rocblas_complex_numIfEPKPS3_EEvT1_iilPiilS8_bb.private_seg_size, 48
	.set _ZN9rocsolver6v33100L18getri_kernel_smallILi5E19rocblas_complex_numIfEPKPS3_EEvT1_iilPiilS8_bb.uses_vcc, 1
	.set _ZN9rocsolver6v33100L18getri_kernel_smallILi5E19rocblas_complex_numIfEPKPS3_EEvT1_iilPiilS8_bb.uses_flat_scratch, 1
	.set _ZN9rocsolver6v33100L18getri_kernel_smallILi5E19rocblas_complex_numIfEPKPS3_EEvT1_iilPiilS8_bb.has_dyn_sized_stack, 0
	.set _ZN9rocsolver6v33100L18getri_kernel_smallILi5E19rocblas_complex_numIfEPKPS3_EEvT1_iilPiilS8_bb.has_recursion, 0
	.set _ZN9rocsolver6v33100L18getri_kernel_smallILi5E19rocblas_complex_numIfEPKPS3_EEvT1_iilPiilS8_bb.has_indirect_call, 0
	.section	.AMDGPU.csdata,"",@progbits
; Kernel info:
; codeLenInByte = 3952
; TotalNumSgprs: 21
; NumVgprs: 38
; ScratchSize: 48
; MemoryBound: 0
; FloatMode: 240
; IeeeMode: 1
; LDSByteSize: 88 bytes/workgroup (compile time only)
; SGPRBlocks: 0
; VGPRBlocks: 2
; NumSGPRsForWavesPerEU: 21
; NumVGPRsForWavesPerEU: 38
; NamedBarCnt: 0
; Occupancy: 16
; WaveLimiterHint : 1
; COMPUTE_PGM_RSRC2:SCRATCH_EN: 1
; COMPUTE_PGM_RSRC2:USER_SGPR: 2
; COMPUTE_PGM_RSRC2:TRAP_HANDLER: 0
; COMPUTE_PGM_RSRC2:TGID_X_EN: 1
; COMPUTE_PGM_RSRC2:TGID_Y_EN: 0
; COMPUTE_PGM_RSRC2:TGID_Z_EN: 0
; COMPUTE_PGM_RSRC2:TIDIG_COMP_CNT: 0
	.section	.text._ZN9rocsolver6v33100L18getri_kernel_smallILi6E19rocblas_complex_numIfEPKPS3_EEvT1_iilPiilS8_bb,"axG",@progbits,_ZN9rocsolver6v33100L18getri_kernel_smallILi6E19rocblas_complex_numIfEPKPS3_EEvT1_iilPiilS8_bb,comdat
	.globl	_ZN9rocsolver6v33100L18getri_kernel_smallILi6E19rocblas_complex_numIfEPKPS3_EEvT1_iilPiilS8_bb ; -- Begin function _ZN9rocsolver6v33100L18getri_kernel_smallILi6E19rocblas_complex_numIfEPKPS3_EEvT1_iilPiilS8_bb
	.p2align	8
	.type	_ZN9rocsolver6v33100L18getri_kernel_smallILi6E19rocblas_complex_numIfEPKPS3_EEvT1_iilPiilS8_bb,@function
_ZN9rocsolver6v33100L18getri_kernel_smallILi6E19rocblas_complex_numIfEPKPS3_EEvT1_iilPiilS8_bb: ; @_ZN9rocsolver6v33100L18getri_kernel_smallILi6E19rocblas_complex_numIfEPKPS3_EEvT1_iilPiilS8_bb
; %bb.0:
	s_mov_b32 s2, exec_lo
	v_cmpx_gt_u32_e32 6, v0
	s_cbranch_execz .LBB69_38
; %bb.1:
	s_clause 0x1
	s_load_b32 s13, s[0:1], 0x38
	s_load_b64 s[2:3], s[0:1], 0x0
	s_getreg_b32 s6, hwreg(HW_REG_IB_STS2, 6, 4)
	s_wait_kmcnt 0x0
	s_bitcmp1_b32 s13, 8
	s_cselect_b32 s12, -1, 0
	s_bfe_u32 s4, ttmp6, 0x4000c
	s_and_b32 s5, ttmp6, 15
	s_add_co_i32 s4, s4, 1
	s_delay_alu instid0(SALU_CYCLE_1) | instskip(NEXT) | instid1(SALU_CYCLE_1)
	s_mul_i32 s4, ttmp9, s4
	s_add_co_i32 s5, s5, s4
	s_cmp_eq_u32 s6, 0
	s_cselect_b32 s10, ttmp9, s5
	s_load_b128 s[4:7], s[0:1], 0x28
	s_ashr_i32 s11, s10, 31
	s_delay_alu instid0(SALU_CYCLE_1) | instskip(NEXT) | instid1(SALU_CYCLE_1)
	s_lshl_b64 s[8:9], s[10:11], 3
	s_add_nc_u64 s[2:3], s[2:3], s[8:9]
	s_bfe_u32 s8, s13, 0x10008
	s_load_b64 s[2:3], s[2:3], 0x0
	s_cmp_eq_u32 s8, 0
                                        ; implicit-def: $sgpr8_sgpr9
	s_cbranch_scc1 .LBB69_3
; %bb.2:
	s_load_b96 s[16:18], s[0:1], 0x18
	s_wait_kmcnt 0x0
	s_mul_u64 s[4:5], s[4:5], s[10:11]
	s_delay_alu instid0(SALU_CYCLE_1) | instskip(SKIP_4) | instid1(SALU_CYCLE_1)
	s_lshl_b64 s[4:5], s[4:5], 2
	s_ashr_i32 s9, s18, 31
	s_mov_b32 s8, s18
	s_add_nc_u64 s[4:5], s[16:17], s[4:5]
	s_lshl_b64 s[8:9], s[8:9], 2
	s_add_nc_u64 s[8:9], s[4:5], s[8:9]
.LBB69_3:
	s_wait_kmcnt 0x0
	s_clause 0x1
	s_load_b64 s[4:5], s[0:1], 0x8
	s_load_b32 s13, s[0:1], 0x38
	v_dual_mov_b32 v3, 0 :: v_dual_lshlrev_b32 v2, 3, v0
	s_wait_kmcnt 0x0
	s_ashr_i32 s1, s4, 31
	s_mov_b32 s0, s4
	s_delay_alu instid0(SALU_CYCLE_1) | instskip(NEXT) | instid1(SALU_CYCLE_1)
	s_lshl_b64 s[0:1], s[0:1], 3
	s_add_nc_u64 s[2:3], s[2:3], s[0:1]
	s_ashr_i32 s1, s5, 31
	flat_load_b64 v[8:9], v0, s[2:3] scale_offset
	v_add_nc_u64_e32 v[4:5], s[2:3], v[2:3]
	s_mov_b32 s0, s5
	s_bitcmp0_b32 s13, 0
	s_delay_alu instid0(VALU_DEP_1)
	v_lshl_add_u64 v[6:7], s[0:1], 3, v[4:5]
	s_mov_b32 s1, -1
	s_wait_loadcnt_dscnt 0x0
	scratch_store_b64 off, v[8:9], off
	flat_load_b64 v[10:11], v[6:7]
	s_wait_xcnt 0x1
	v_add3_u32 v8, s5, s5, v0
	s_wait_loadcnt_dscnt 0x0
	scratch_store_b64 off, v[10:11], off offset:8
	flat_load_b64 v[12:13], v8, s[2:3] scale_offset
	s_wait_xcnt 0x1
	v_add_nc_u32_e32 v10, s5, v8
	s_wait_loadcnt_dscnt 0x0
	scratch_store_b64 off, v[12:13], off offset:16
	flat_load_b64 v[14:15], v10, s[2:3] scale_offset
	s_wait_xcnt 0x1
	v_add_nc_u32_e32 v12, s5, v10
	;; [unrolled: 5-line block ×3, first 2 shown]
	s_wait_loadcnt_dscnt 0x0
	scratch_store_b64 off, v[16:17], off offset:32
	flat_load_b64 v[16:17], v14, s[2:3] scale_offset
	s_wait_loadcnt_dscnt 0x0
	scratch_store_b64 off, v[16:17], off offset:40
	s_cbranch_scc1 .LBB69_36
; %bb.4:
	v_cmp_eq_u32_e64 s0, 0, v0
	s_wait_xcnt 0x0
	s_and_saveexec_b32 s1, s0
; %bb.5:
	v_mov_b32_e32 v1, 0
	ds_store_b32 v1, v1 offset:96
; %bb.6:
	s_or_b32 exec_lo, exec_lo, s1
	s_wait_storecnt_dscnt 0x0
	s_barrier_signal -1
	s_barrier_wait -1
	scratch_load_b64 v[16:17], v0, off scale_offset
	s_wait_loadcnt 0x0
	v_cmp_eq_f32_e32 vcc_lo, 0, v16
	v_cmp_eq_f32_e64 s1, 0, v17
	s_and_b32 s1, vcc_lo, s1
	s_delay_alu instid0(SALU_CYCLE_1)
	s_and_saveexec_b32 s4, s1
	s_cbranch_execz .LBB69_10
; %bb.7:
	v_mov_b32_e32 v1, 0
	s_mov_b32 s5, 0
	ds_load_b32 v3, v1 offset:96
	s_wait_dscnt 0x0
	v_readfirstlane_b32 s1, v3
	v_add_nc_u32_e32 v3, 1, v0
	s_cmp_eq_u32 s1, 0
	s_delay_alu instid0(VALU_DEP_1) | instskip(SKIP_1) | instid1(SALU_CYCLE_1)
	v_cmp_gt_i32_e32 vcc_lo, s1, v3
	s_cselect_b32 s13, -1, 0
	s_or_b32 s13, s13, vcc_lo
	s_delay_alu instid0(SALU_CYCLE_1)
	s_and_b32 exec_lo, exec_lo, s13
	s_cbranch_execz .LBB69_10
; %bb.8:
	v_mov_b32_e32 v9, s1
.LBB69_9:                               ; =>This Inner Loop Header: Depth=1
	ds_cmpstore_rtn_b32 v9, v1, v3, v9 offset:96
	s_wait_dscnt 0x0
	v_cmp_ne_u32_e32 vcc_lo, 0, v9
	v_cmp_le_i32_e64 s1, v9, v3
	s_and_b32 s1, vcc_lo, s1
	s_delay_alu instid0(SALU_CYCLE_1) | instskip(NEXT) | instid1(SALU_CYCLE_1)
	s_and_b32 s1, exec_lo, s1
	s_or_b32 s5, s1, s5
	s_delay_alu instid0(SALU_CYCLE_1)
	s_and_not1_b32 exec_lo, exec_lo, s5
	s_cbranch_execnz .LBB69_9
.LBB69_10:
	s_or_b32 exec_lo, exec_lo, s4
	v_mov_b32_e32 v1, 0
	s_barrier_signal -1
	s_barrier_wait -1
	ds_load_b32 v3, v1 offset:96
	s_and_saveexec_b32 s1, s0
	s_cbranch_execz .LBB69_12
; %bb.11:
	s_lshl_b64 s[4:5], s[10:11], 2
	s_delay_alu instid0(SALU_CYCLE_1)
	s_add_nc_u64 s[4:5], s[6:7], s[4:5]
	s_wait_dscnt 0x0
	global_store_b32 v1, v3, s[4:5]
.LBB69_12:
	s_wait_xcnt 0x0
	s_or_b32 exec_lo, exec_lo, s1
	s_wait_dscnt 0x0
	v_cmp_ne_u32_e32 vcc_lo, 0, v3
	s_mov_b32 s1, 0
	s_cbranch_vccnz .LBB69_36
; %bb.13:
	v_lshl_add_u32 v3, v0, 3, 0
                                        ; implicit-def: $vgpr19
                                        ; implicit-def: $vgpr20
	scratch_load_b64 v[16:17], v3, off
	s_wait_loadcnt 0x0
	v_cmp_ngt_f32_e64 s1, |v16|, |v17|
	s_wait_xcnt 0x0
	s_and_saveexec_b32 s4, s1
	s_delay_alu instid0(SALU_CYCLE_1)
	s_xor_b32 s1, exec_lo, s4
	s_cbranch_execz .LBB69_15
; %bb.14:
	v_div_scale_f32 v1, null, v17, v17, v16
	v_div_scale_f32 v13, vcc_lo, v16, v17, v16
	s_delay_alu instid0(VALU_DEP_2) | instskip(SKIP_1) | instid1(TRANS32_DEP_1)
	v_rcp_f32_e32 v9, v1
	v_nop
	v_fma_f32 v11, -v1, v9, 1.0
	s_delay_alu instid0(VALU_DEP_1) | instskip(NEXT) | instid1(VALU_DEP_1)
	v_fmac_f32_e32 v9, v11, v9
	v_mul_f32_e32 v11, v13, v9
	s_delay_alu instid0(VALU_DEP_1) | instskip(NEXT) | instid1(VALU_DEP_1)
	v_fma_f32 v15, -v1, v11, v13
	v_fmac_f32_e32 v11, v15, v9
	s_delay_alu instid0(VALU_DEP_1) | instskip(NEXT) | instid1(VALU_DEP_1)
	v_fma_f32 v1, -v1, v11, v13
	v_div_fmas_f32 v1, v1, v9, v11
	s_delay_alu instid0(VALU_DEP_1) | instskip(NEXT) | instid1(VALU_DEP_1)
	v_div_fixup_f32 v1, v1, v17, v16
	v_fmac_f32_e32 v17, v16, v1
	s_delay_alu instid0(VALU_DEP_1) | instskip(NEXT) | instid1(VALU_DEP_1)
	v_div_scale_f32 v9, null, v17, v17, -1.0
	v_rcp_f32_e32 v11, v9
	v_nop
	s_delay_alu instid0(TRANS32_DEP_1) | instskip(NEXT) | instid1(VALU_DEP_1)
	v_fma_f32 v13, -v9, v11, 1.0
	v_fmac_f32_e32 v11, v13, v11
	v_div_scale_f32 v13, vcc_lo, -1.0, v17, -1.0
	s_delay_alu instid0(VALU_DEP_1) | instskip(NEXT) | instid1(VALU_DEP_1)
	v_mul_f32_e32 v15, v13, v11
	v_fma_f32 v16, -v9, v15, v13
	s_delay_alu instid0(VALU_DEP_1) | instskip(NEXT) | instid1(VALU_DEP_1)
	v_fmac_f32_e32 v15, v16, v11
	v_fma_f32 v9, -v9, v15, v13
	s_delay_alu instid0(VALU_DEP_1) | instskip(NEXT) | instid1(VALU_DEP_1)
	v_div_fmas_f32 v9, v9, v11, v15
	v_div_fixup_f32 v19, v9, v17, -1.0
                                        ; implicit-def: $vgpr16_vgpr17
	s_delay_alu instid0(VALU_DEP_1) | instskip(NEXT) | instid1(VALU_DEP_1)
	v_mul_f32_e32 v20, v1, v19
	v_xor_b32_e32 v18, 0x80000000, v20
.LBB69_15:
	s_and_not1_saveexec_b32 s1, s1
	s_cbranch_execz .LBB69_17
; %bb.16:
	v_div_scale_f32 v1, null, v16, v16, v17
	v_div_scale_f32 v13, vcc_lo, v17, v16, v17
	s_delay_alu instid0(VALU_DEP_2) | instskip(SKIP_1) | instid1(TRANS32_DEP_1)
	v_rcp_f32_e32 v9, v1
	v_nop
	v_fma_f32 v11, -v1, v9, 1.0
	s_delay_alu instid0(VALU_DEP_1) | instskip(NEXT) | instid1(VALU_DEP_1)
	v_fmac_f32_e32 v9, v11, v9
	v_mul_f32_e32 v11, v13, v9
	s_delay_alu instid0(VALU_DEP_1) | instskip(NEXT) | instid1(VALU_DEP_1)
	v_fma_f32 v15, -v1, v11, v13
	v_fmac_f32_e32 v11, v15, v9
	s_delay_alu instid0(VALU_DEP_1) | instskip(NEXT) | instid1(VALU_DEP_1)
	v_fma_f32 v1, -v1, v11, v13
	v_div_fmas_f32 v1, v1, v9, v11
	s_delay_alu instid0(VALU_DEP_1) | instskip(NEXT) | instid1(VALU_DEP_1)
	v_div_fixup_f32 v1, v1, v16, v17
	v_fmac_f32_e32 v16, v17, v1
	s_delay_alu instid0(VALU_DEP_1) | instskip(SKIP_1) | instid1(VALU_DEP_2)
	v_div_scale_f32 v9, null, v16, v16, 1.0
	v_div_scale_f32 v15, vcc_lo, 1.0, v16, 1.0
	v_rcp_f32_e32 v11, v9
	v_nop
	s_delay_alu instid0(TRANS32_DEP_1) | instskip(NEXT) | instid1(VALU_DEP_1)
	v_fma_f32 v13, -v9, v11, 1.0
	v_fmac_f32_e32 v11, v13, v11
	s_delay_alu instid0(VALU_DEP_1) | instskip(NEXT) | instid1(VALU_DEP_1)
	v_mul_f32_e32 v13, v15, v11
	v_fma_f32 v17, -v9, v13, v15
	s_delay_alu instid0(VALU_DEP_1) | instskip(NEXT) | instid1(VALU_DEP_1)
	v_fmac_f32_e32 v13, v17, v11
	v_fma_f32 v9, -v9, v13, v15
	s_delay_alu instid0(VALU_DEP_1) | instskip(NEXT) | instid1(VALU_DEP_1)
	v_div_fmas_f32 v9, v9, v11, v13
	v_div_fixup_f32 v18, v9, v16, 1.0
	s_delay_alu instid0(VALU_DEP_1)
	v_xor_b32_e32 v20, 0x80000000, v18
	v_mul_f32_e64 v19, v1, -v18
.LBB69_17:
	s_or_b32 exec_lo, exec_lo, s1
	scratch_store_b64 v3, v[18:19], off
	scratch_load_b64 v[16:17], off, off offset:8
	v_xor_b32_e32 v21, 0x80000000, v19
	v_add_nc_u32_e32 v1, 48, v2
	s_wait_loadcnt 0x0
	ds_store_2addr_b64 v2, v[20:21], v[16:17] offset1:6
	s_wait_storecnt_dscnt 0x0
	s_barrier_signal -1
	s_barrier_wait -1
	s_wait_xcnt 0x0
	s_and_saveexec_b32 s1, s0
	s_cbranch_execz .LBB69_19
; %bb.18:
	scratch_load_b64 v[16:17], v3, off
	ds_load_b64 v[18:19], v1
	s_wait_loadcnt_dscnt 0x0
	v_pk_mul_f32 v[22:23], v[18:19], v[16:17] op_sel:[1,1] op_sel_hi:[0,1]
	s_delay_alu instid0(VALU_DEP_1) | instskip(SKIP_2) | instid1(VALU_DEP_3)
	v_pk_fma_f32 v[24:25], v[18:19], v[16:17], v[22:23] op_sel_hi:[1,0,1]
	v_mov_b32_e32 v9, 0
	v_pk_fma_f32 v[16:17], v[18:19], v[16:17], v[22:23] neg_lo:[0,0,1] neg_hi:[0,0,1]
	v_mov_b32_e32 v17, v25
	ds_load_b64 v[20:21], v9 offset:8
	v_pk_add_f32 v[16:17], v[16:17], 0 op_sel_hi:[1,0]
	s_wait_dscnt 0x0
	s_delay_alu instid0(VALU_DEP_1) | instskip(NEXT) | instid1(VALU_DEP_1)
	v_pk_mul_f32 v[18:19], v[16:17], v[20:21] op_sel:[1,1] op_sel_hi:[0,1]
	v_pk_fma_f32 v[22:23], v[16:17], v[20:21], v[18:19] op_sel_hi:[1,0,1]
	v_pk_fma_f32 v[16:17], v[16:17], v[20:21], v[18:19] neg_lo:[0,0,1] neg_hi:[0,0,1]
	s_delay_alu instid0(VALU_DEP_2)
	v_mov_b32_e32 v17, v23
	scratch_store_b64 off, v[16:17], off offset:8
.LBB69_19:
	s_wait_xcnt 0x0
	s_or_b32 exec_lo, exec_lo, s1
	s_wait_storecnt 0x0
	s_barrier_signal -1
	s_barrier_wait -1
	scratch_load_b64 v[16:17], off, off offset:16
	s_mov_b32 s1, exec_lo
	s_wait_loadcnt 0x0
	ds_store_b64 v1, v[16:17]
	s_wait_dscnt 0x0
	s_barrier_signal -1
	s_barrier_wait -1
	v_cmpx_gt_u32_e32 2, v0
	s_cbranch_execz .LBB69_23
; %bb.20:
	scratch_load_b64 v[16:17], v3, off
	ds_load_b64 v[18:19], v1
	s_wait_loadcnt_dscnt 0x0
	v_pk_mul_f32 v[20:21], v[18:19], v[16:17] op_sel:[1,1] op_sel_hi:[0,1]
	s_delay_alu instid0(VALU_DEP_1) | instskip(SKIP_1) | instid1(VALU_DEP_2)
	v_pk_fma_f32 v[22:23], v[18:19], v[16:17], v[20:21] op_sel_hi:[1,0,1]
	v_pk_fma_f32 v[16:17], v[18:19], v[16:17], v[20:21] neg_lo:[0,0,1] neg_hi:[0,0,1]
	v_mov_b32_e32 v17, v23
	s_delay_alu instid0(VALU_DEP_1)
	v_pk_add_f32 v[16:17], v[16:17], 0 op_sel_hi:[1,0]
	s_and_saveexec_b32 s4, s0
	s_cbranch_execz .LBB69_22
; %bb.21:
	scratch_load_b64 v[18:19], off, off offset:8
	v_mov_b32_e32 v3, 0
	ds_load_b64 v[20:21], v3 offset:56
	s_wait_loadcnt_dscnt 0x0
	v_pk_mul_f32 v[22:23], v[20:21], v[18:19] op_sel:[1,1] op_sel_hi:[0,1]
	s_delay_alu instid0(VALU_DEP_1) | instskip(SKIP_1) | instid1(VALU_DEP_2)
	v_pk_fma_f32 v[24:25], v[20:21], v[18:19], v[22:23] op_sel_hi:[1,0,1]
	v_pk_fma_f32 v[18:19], v[20:21], v[18:19], v[22:23] neg_lo:[0,0,1] neg_hi:[0,0,1]
	v_mov_b32_e32 v19, v25
	s_delay_alu instid0(VALU_DEP_1)
	v_pk_add_f32 v[16:17], v[16:17], v[18:19]
.LBB69_22:
	s_or_b32 exec_lo, exec_lo, s4
	v_mov_b32_e32 v3, 0
	ds_load_b64 v[18:19], v3 offset:16
	s_wait_dscnt 0x0
	v_pk_mul_f32 v[20:21], v[16:17], v[18:19] op_sel:[1,1] op_sel_hi:[0,1]
	s_delay_alu instid0(VALU_DEP_1) | instskip(SKIP_1) | instid1(VALU_DEP_2)
	v_pk_fma_f32 v[22:23], v[16:17], v[18:19], v[20:21] op_sel_hi:[1,0,1]
	v_pk_fma_f32 v[16:17], v[16:17], v[18:19], v[20:21] neg_lo:[0,0,1] neg_hi:[0,0,1]
	v_mov_b32_e32 v17, v23
	scratch_store_b64 off, v[16:17], off offset:16
.LBB69_23:
	s_wait_xcnt 0x0
	s_or_b32 exec_lo, exec_lo, s1
	s_wait_storecnt 0x0
	s_barrier_signal -1
	s_barrier_wait -1
	scratch_load_b64 v[16:17], off, off offset:24
	v_add_nc_u32_e32 v3, -1, v0
	s_mov_b32 s0, exec_lo
	s_wait_loadcnt 0x0
	ds_store_b64 v1, v[16:17]
	s_wait_dscnt 0x0
	s_barrier_signal -1
	s_barrier_wait -1
	v_cmpx_gt_u32_e32 3, v0
	s_cbranch_execz .LBB69_27
; %bb.24:
	v_dual_mov_b32 v16, 0 :: v_dual_add_nc_u32 v9, -1, v0
	v_dual_add_nc_u32 v11, 48, v2 :: v_dual_mov_b32 v13, v2
	s_mov_b32 s1, 0
	s_delay_alu instid0(VALU_DEP_2)
	v_mov_b32_e32 v17, v16
.LBB69_25:                              ; =>This Inner Loop Header: Depth=1
	scratch_load_b64 v[18:19], v13, off
	ds_load_b64 v[20:21], v11
	s_wait_xcnt 0x0
	v_dual_add_nc_u32 v11, 8, v11 :: v_dual_add_nc_u32 v13, 8, v13
	s_wait_loadcnt_dscnt 0x0
	v_pk_mul_f32 v[22:23], v[20:21], v[18:19] op_sel:[1,1] op_sel_hi:[0,1]
	s_delay_alu instid0(VALU_DEP_1) | instskip(SKIP_2) | instid1(VALU_DEP_3)
	v_pk_fma_f32 v[24:25], v[20:21], v[18:19], v[22:23] op_sel_hi:[1,0,1]
	v_add_nc_u32_e32 v9, 1, v9
	v_pk_fma_f32 v[18:19], v[20:21], v[18:19], v[22:23] neg_lo:[0,0,1] neg_hi:[0,0,1]
	v_mov_b32_e32 v19, v25
	s_delay_alu instid0(VALU_DEP_3) | instskip(NEXT) | instid1(VALU_DEP_2)
	v_cmp_lt_u32_e32 vcc_lo, 1, v9
	v_pk_add_f32 v[16:17], v[16:17], v[18:19]
	s_or_b32 s1, vcc_lo, s1
	s_delay_alu instid0(SALU_CYCLE_1)
	s_and_not1_b32 exec_lo, exec_lo, s1
	s_cbranch_execnz .LBB69_25
; %bb.26:
	s_or_b32 exec_lo, exec_lo, s1
	v_mov_b32_e32 v9, 0
	ds_load_b64 v[18:19], v9 offset:24
	s_wait_dscnt 0x0
	v_pk_mul_f32 v[20:21], v[16:17], v[18:19] op_sel:[1,1] op_sel_hi:[0,1]
	s_delay_alu instid0(VALU_DEP_1) | instskip(SKIP_1) | instid1(VALU_DEP_2)
	v_pk_fma_f32 v[22:23], v[16:17], v[18:19], v[20:21] op_sel_hi:[1,0,1]
	v_pk_fma_f32 v[16:17], v[16:17], v[18:19], v[20:21] neg_lo:[0,0,1] neg_hi:[0,0,1]
	v_mov_b32_e32 v17, v23
	scratch_store_b64 off, v[16:17], off offset:24
.LBB69_27:
	s_wait_xcnt 0x0
	s_or_b32 exec_lo, exec_lo, s0
	s_wait_storecnt 0x0
	s_barrier_signal -1
	s_barrier_wait -1
	scratch_load_b64 v[16:17], off, off offset:32
	s_mov_b32 s0, exec_lo
	s_wait_loadcnt 0x0
	ds_store_b64 v1, v[16:17]
	s_wait_dscnt 0x0
	s_barrier_signal -1
	s_barrier_wait -1
	v_cmpx_gt_u32_e32 4, v0
	s_cbranch_execz .LBB69_31
; %bb.28:
	v_dual_mov_b32 v16, 0 :: v_dual_add_nc_u32 v9, -1, v0
	v_dual_add_nc_u32 v11, 48, v2 :: v_dual_mov_b32 v13, v2
	s_mov_b32 s1, 0
	s_delay_alu instid0(VALU_DEP_2)
	v_mov_b32_e32 v17, v16
.LBB69_29:                              ; =>This Inner Loop Header: Depth=1
	scratch_load_b64 v[18:19], v13, off
	ds_load_b64 v[20:21], v11
	s_wait_xcnt 0x0
	v_dual_add_nc_u32 v11, 8, v11 :: v_dual_add_nc_u32 v13, 8, v13
	s_wait_loadcnt_dscnt 0x0
	v_pk_mul_f32 v[22:23], v[20:21], v[18:19] op_sel:[1,1] op_sel_hi:[0,1]
	s_delay_alu instid0(VALU_DEP_1) | instskip(SKIP_2) | instid1(VALU_DEP_3)
	v_pk_fma_f32 v[24:25], v[20:21], v[18:19], v[22:23] op_sel_hi:[1,0,1]
	v_add_nc_u32_e32 v9, 1, v9
	v_pk_fma_f32 v[18:19], v[20:21], v[18:19], v[22:23] neg_lo:[0,0,1] neg_hi:[0,0,1]
	v_mov_b32_e32 v19, v25
	s_delay_alu instid0(VALU_DEP_3) | instskip(NEXT) | instid1(VALU_DEP_2)
	v_cmp_lt_u32_e32 vcc_lo, 2, v9
	v_pk_add_f32 v[16:17], v[16:17], v[18:19]
	s_or_b32 s1, vcc_lo, s1
	s_delay_alu instid0(SALU_CYCLE_1)
	s_and_not1_b32 exec_lo, exec_lo, s1
	s_cbranch_execnz .LBB69_29
; %bb.30:
	s_or_b32 exec_lo, exec_lo, s1
	v_mov_b32_e32 v9, 0
	ds_load_b64 v[18:19], v9 offset:32
	s_wait_dscnt 0x0
	v_pk_mul_f32 v[20:21], v[16:17], v[18:19] op_sel:[1,1] op_sel_hi:[0,1]
	s_delay_alu instid0(VALU_DEP_1) | instskip(SKIP_1) | instid1(VALU_DEP_2)
	v_pk_fma_f32 v[22:23], v[16:17], v[18:19], v[20:21] op_sel_hi:[1,0,1]
	v_pk_fma_f32 v[16:17], v[16:17], v[18:19], v[20:21] neg_lo:[0,0,1] neg_hi:[0,0,1]
	v_mov_b32_e32 v17, v23
	scratch_store_b64 off, v[16:17], off offset:32
.LBB69_31:
	s_wait_xcnt 0x0
	s_or_b32 exec_lo, exec_lo, s0
	s_wait_storecnt 0x0
	s_barrier_signal -1
	s_barrier_wait -1
	scratch_load_b64 v[16:17], off, off offset:40
	s_mov_b32 s0, exec_lo
	s_wait_loadcnt 0x0
	ds_store_b64 v1, v[16:17]
	s_wait_dscnt 0x0
	s_barrier_signal -1
	s_barrier_wait -1
	v_cmpx_ne_u32_e32 5, v0
	s_cbranch_execz .LBB69_35
; %bb.32:
	v_mov_b32_e32 v16, 0
	s_mov_b32 s1, 0
	s_delay_alu instid0(VALU_DEP_1)
	v_mov_b32_e32 v17, v16
.LBB69_33:                              ; =>This Inner Loop Header: Depth=1
	scratch_load_b64 v[18:19], v2, off
	ds_load_b64 v[20:21], v1
	s_wait_xcnt 0x0
	v_dual_add_nc_u32 v1, 8, v1 :: v_dual_add_nc_u32 v2, 8, v2
	s_wait_loadcnt_dscnt 0x0
	v_pk_mul_f32 v[22:23], v[20:21], v[18:19] op_sel:[1,1] op_sel_hi:[0,1]
	s_delay_alu instid0(VALU_DEP_1) | instskip(SKIP_2) | instid1(VALU_DEP_3)
	v_pk_fma_f32 v[24:25], v[20:21], v[18:19], v[22:23] op_sel_hi:[1,0,1]
	v_add_nc_u32_e32 v3, 1, v3
	v_pk_fma_f32 v[18:19], v[20:21], v[18:19], v[22:23] neg_lo:[0,0,1] neg_hi:[0,0,1]
	v_mov_b32_e32 v19, v25
	s_delay_alu instid0(VALU_DEP_3) | instskip(NEXT) | instid1(VALU_DEP_2)
	v_cmp_lt_u32_e32 vcc_lo, 3, v3
	v_pk_add_f32 v[16:17], v[16:17], v[18:19]
	s_or_b32 s1, vcc_lo, s1
	s_delay_alu instid0(SALU_CYCLE_1)
	s_and_not1_b32 exec_lo, exec_lo, s1
	s_cbranch_execnz .LBB69_33
; %bb.34:
	s_or_b32 exec_lo, exec_lo, s1
	v_mov_b32_e32 v1, 0
	ds_load_b64 v[2:3], v1 offset:40
	s_wait_dscnt 0x0
	v_pk_mul_f32 v[18:19], v[16:17], v[2:3] op_sel:[1,1] op_sel_hi:[0,1]
	s_delay_alu instid0(VALU_DEP_1) | instskip(SKIP_1) | instid1(VALU_DEP_2)
	v_pk_fma_f32 v[20:21], v[16:17], v[2:3], v[18:19] op_sel_hi:[1,0,1]
	v_pk_fma_f32 v[2:3], v[16:17], v[2:3], v[18:19] neg_lo:[0,0,1] neg_hi:[0,0,1]
	v_mov_b32_e32 v3, v21
	scratch_store_b64 off, v[2:3], off offset:40
.LBB69_35:
	s_wait_xcnt 0x0
	s_or_b32 exec_lo, exec_lo, s0
	s_mov_b32 s1, -1
	s_wait_storecnt 0x0
	s_barrier_signal -1
	s_barrier_wait -1
.LBB69_36:
	s_and_b32 vcc_lo, exec_lo, s1
	s_cbranch_vccz .LBB69_38
; %bb.37:
	v_mov_b32_e32 v1, 0
	s_lshl_b64 s[0:1], s[10:11], 2
	s_delay_alu instid0(SALU_CYCLE_1)
	s_add_nc_u64 s[0:1], s[6:7], s[0:1]
	global_load_b32 v1, v1, s[0:1]
	s_wait_loadcnt 0x0
	v_cmp_ne_u32_e32 vcc_lo, 0, v1
	s_cbranch_vccz .LBB69_39
.LBB69_38:
	s_endpgm
.LBB69_39:
	s_wait_xcnt 0x0
	v_lshl_add_u32 v1, v0, 3, 48
	s_mov_b32 s0, exec_lo
	v_cmpx_eq_u32_e32 5, v0
	s_cbranch_execz .LBB69_41
; %bb.40:
	scratch_load_b64 v[2:3], off, off offset:32
	v_mov_b64_e32 v[16:17], 0
	scratch_store_b64 off, v[16:17], off offset:32
	s_wait_loadcnt 0x0
	ds_store_b64 v1, v[2:3]
.LBB69_41:
	s_wait_xcnt 0x0
	s_or_b32 exec_lo, exec_lo, s0
	s_wait_storecnt_dscnt 0x0
	s_barrier_signal -1
	s_barrier_wait -1
	s_clause 0x1
	scratch_load_b64 v[16:17], off, off offset:40
	scratch_load_b64 v[18:19], off, off offset:32
	v_mov_b32_e32 v2, 0
	s_mov_b32 s0, exec_lo
	ds_load_b64 v[20:21], v2 offset:88
	s_wait_loadcnt_dscnt 0x100
	v_pk_mul_f32 v[22:23], v[20:21], v[16:17] op_sel:[1,1] op_sel_hi:[0,1]
	s_delay_alu instid0(VALU_DEP_1) | instskip(SKIP_1) | instid1(VALU_DEP_2)
	v_pk_fma_f32 v[24:25], v[20:21], v[16:17], v[22:23] op_sel_hi:[1,0,1]
	v_pk_fma_f32 v[16:17], v[20:21], v[16:17], v[22:23] neg_lo:[0,0,1] neg_hi:[0,0,1]
	v_mov_b32_e32 v17, v25
	s_delay_alu instid0(VALU_DEP_1) | instskip(SKIP_1) | instid1(VALU_DEP_1)
	v_pk_add_f32 v[16:17], v[16:17], 0 op_sel_hi:[1,0]
	s_wait_loadcnt 0x0
	v_pk_add_f32 v[16:17], v[18:19], v[16:17] neg_lo:[0,1] neg_hi:[0,1]
	scratch_store_b64 off, v[16:17], off offset:32
	s_wait_xcnt 0x0
	v_cmpx_lt_u32_e32 3, v0
	s_cbranch_execz .LBB69_43
; %bb.42:
	scratch_load_b64 v[16:17], off, off offset:24
	v_mov_b64_e32 v[18:19], 0
	scratch_store_b64 off, v[18:19], off offset:24
	s_wait_loadcnt 0x0
	ds_store_b64 v1, v[16:17]
.LBB69_43:
	s_wait_xcnt 0x0
	s_or_b32 exec_lo, exec_lo, s0
	s_wait_storecnt_dscnt 0x0
	s_barrier_signal -1
	s_barrier_wait -1
	s_clause 0x1
	scratch_load_b128 v[16:19], off, off offset:32
	scratch_load_b64 v[24:25], off, off offset:24
	ds_load_b128 v[20:23], v2 offset:80
	s_mov_b32 s0, exec_lo
	s_wait_dscnt 0x0
	v_dual_mov_b32 v2, v23 :: v_dual_mov_b32 v3, v22
	s_wait_loadcnt 0x1
	v_pk_mul_f32 v[26:27], v[20:21], v[16:17] op_sel:[1,1] op_sel_hi:[0,1]
	s_delay_alu instid0(VALU_DEP_1) | instskip(SKIP_2) | instid1(VALU_DEP_3)
	v_pk_fma_f32 v[30:31], v[20:21], v[16:17], v[26:27] op_sel_hi:[1,0,1]
	v_mov_b32_e32 v28, v19
	v_pk_fma_f32 v[16:17], v[20:21], v[16:17], v[26:27] neg_lo:[0,0,1] neg_hi:[0,0,1]
	v_mov_b32_e32 v17, v31
	s_delay_alu instid0(VALU_DEP_3) | instskip(NEXT) | instid1(VALU_DEP_2)
	v_pk_mul_f32 v[2:3], v[2:3], v[28:29] op_sel_hi:[1,0]
	v_pk_add_f32 v[16:17], v[16:17], 0 op_sel_hi:[1,0]
	s_delay_alu instid0(VALU_DEP_2) | instskip(SKIP_1) | instid1(VALU_DEP_2)
	v_pk_fma_f32 v[20:21], v[22:23], v[18:19], v[2:3] op_sel_hi:[1,0,1]
	v_pk_fma_f32 v[2:3], v[22:23], v[18:19], v[2:3] neg_lo:[0,0,1] neg_hi:[0,0,1]
	v_mov_b32_e32 v3, v21
	s_delay_alu instid0(VALU_DEP_1) | instskip(SKIP_1) | instid1(VALU_DEP_1)
	v_pk_add_f32 v[2:3], v[16:17], v[2:3]
	s_wait_loadcnt 0x0
	v_pk_add_f32 v[2:3], v[24:25], v[2:3] neg_lo:[0,1] neg_hi:[0,1]
	scratch_store_b64 off, v[2:3], off offset:24
	s_wait_xcnt 0x0
	v_cmpx_lt_u32_e32 2, v0
	s_cbranch_execz .LBB69_45
; %bb.44:
	scratch_load_b64 v[2:3], off, off offset:16
	v_mov_b64_e32 v[16:17], 0
	scratch_store_b64 off, v[16:17], off offset:16
	s_wait_loadcnt 0x0
	ds_store_b64 v1, v[2:3]
.LBB69_45:
	s_wait_xcnt 0x0
	s_or_b32 exec_lo, exec_lo, s0
	s_wait_storecnt_dscnt 0x0
	s_barrier_signal -1
	s_barrier_wait -1
	s_clause 0x2
	scratch_load_b128 v[16:19], off, off offset:24
	scratch_load_b64 v[24:25], off, off offset:40
	scratch_load_b64 v[26:27], off, off offset:16
	v_mov_b32_e32 v2, 0
	ds_load_2addr_b64 v[20:23], v2 offset0:9 offset1:10
	ds_load_b64 v[28:29], v2 offset:88
	s_mov_b32 s0, exec_lo
	s_wait_dscnt 0x1
	v_dual_mov_b32 v30, v23 :: v_dual_mov_b32 v31, v22
	s_wait_loadcnt 0x2
	v_mov_b32_e32 v34, v19
	v_pk_mul_f32 v[32:33], v[20:21], v[16:17] op_sel:[1,1] op_sel_hi:[0,1]
	s_delay_alu instid0(VALU_DEP_2) | instskip(NEXT) | instid1(VALU_DEP_2)
	v_pk_mul_f32 v[30:31], v[30:31], v[34:35] op_sel_hi:[1,0]
	v_pk_fma_f32 v[36:37], v[20:21], v[16:17], v[32:33] op_sel_hi:[1,0,1]
	v_pk_fma_f32 v[16:17], v[20:21], v[16:17], v[32:33] neg_lo:[0,0,1] neg_hi:[0,0,1]
	s_wait_loadcnt_dscnt 0x100
	v_pk_mul_f32 v[32:33], v[28:29], v[24:25] op_sel:[1,1] op_sel_hi:[0,1]
	v_pk_fma_f32 v[20:21], v[22:23], v[18:19], v[30:31] op_sel_hi:[1,0,1]
	v_mov_b32_e32 v17, v37
	v_pk_fma_f32 v[18:19], v[22:23], v[18:19], v[30:31] neg_lo:[0,0,1] neg_hi:[0,0,1]
	s_delay_alu instid0(VALU_DEP_4) | instskip(NEXT) | instid1(VALU_DEP_4)
	v_pk_fma_f32 v[22:23], v[28:29], v[24:25], v[32:33] neg_lo:[0,0,1] neg_hi:[0,0,1]
	v_mov_b32_e32 v19, v21
	s_delay_alu instid0(VALU_DEP_4) | instskip(SKIP_1) | instid1(VALU_DEP_2)
	v_pk_add_f32 v[16:17], v[16:17], 0 op_sel_hi:[1,0]
	v_pk_fma_f32 v[20:21], v[28:29], v[24:25], v[32:33] op_sel_hi:[1,0,1]
	v_pk_add_f32 v[16:17], v[16:17], v[18:19]
	s_delay_alu instid0(VALU_DEP_2) | instskip(NEXT) | instid1(VALU_DEP_1)
	v_mov_b32_e32 v23, v21
	v_pk_add_f32 v[16:17], v[16:17], v[22:23]
	s_wait_loadcnt 0x0
	s_delay_alu instid0(VALU_DEP_1)
	v_pk_add_f32 v[16:17], v[26:27], v[16:17] neg_lo:[0,1] neg_hi:[0,1]
	scratch_store_b64 off, v[16:17], off offset:16
	s_wait_xcnt 0x0
	v_cmpx_lt_u32_e32 1, v0
	s_cbranch_execz .LBB69_47
; %bb.46:
	scratch_load_b64 v[16:17], off, off offset:8
	v_mov_b64_e32 v[18:19], 0
	scratch_store_b64 off, v[18:19], off offset:8
	s_wait_loadcnt 0x0
	ds_store_b64 v1, v[16:17]
.LBB69_47:
	s_wait_xcnt 0x0
	s_or_b32 exec_lo, exec_lo, s0
	s_wait_storecnt_dscnt 0x0
	s_barrier_signal -1
	s_barrier_wait -1
	s_clause 0x2
	scratch_load_b128 v[16:19], off, off offset:16
	scratch_load_b128 v[20:23], off, off offset:32
	scratch_load_b64 v[32:33], off, off offset:8
	ds_load_b128 v[24:27], v2 offset:64
	ds_load_b128 v[28:31], v2 offset:80
	v_dual_ashrrev_i32 v9, 31, v8 :: v_dual_ashrrev_i32 v11, 31, v10
	v_dual_ashrrev_i32 v13, 31, v12 :: v_dual_ashrrev_i32 v15, 31, v14
	s_mov_b32 s0, exec_lo
	s_wait_dscnt 0x1
	v_dual_mov_b32 v2, v27 :: v_dual_mov_b32 v3, v26
	s_wait_loadcnt_dscnt 0x200
	v_dual_mov_b32 v38, v31 :: v_dual_mov_b32 v36, v19
	v_pk_mul_f32 v[34:35], v[24:25], v[16:17] op_sel:[1,1] op_sel_hi:[0,1]
	s_delay_alu instid0(VALU_DEP_2) | instskip(NEXT) | instid1(VALU_DEP_2)
	v_pk_mul_f32 v[2:3], v[2:3], v[36:37] op_sel_hi:[1,0]
	v_pk_fma_f32 v[40:41], v[24:25], v[16:17], v[34:35] op_sel_hi:[1,0,1]
	v_pk_fma_f32 v[16:17], v[24:25], v[16:17], v[34:35] neg_lo:[0,0,1] neg_hi:[0,0,1]
	v_mov_b32_e32 v39, v30
	s_wait_loadcnt 0x1
	v_pk_mul_f32 v[36:37], v[28:29], v[20:21] op_sel:[1,1] op_sel_hi:[0,1]
	v_pk_fma_f32 v[24:25], v[26:27], v[18:19], v[2:3] op_sel_hi:[1,0,1]
	v_dual_mov_b32 v17, v41 :: v_dual_mov_b32 v24, v23
	v_pk_fma_f32 v[2:3], v[26:27], v[18:19], v[2:3] neg_lo:[0,0,1] neg_hi:[0,0,1]
	s_delay_alu instid0(VALU_DEP_4) | instskip(NEXT) | instid1(VALU_DEP_4)
	v_pk_fma_f32 v[34:35], v[28:29], v[20:21], v[36:37] op_sel_hi:[1,0,1]
	v_mov_b32_e32 v3, v25
	s_delay_alu instid0(VALU_DEP_4) | instskip(SKIP_2) | instid1(VALU_DEP_3)
	v_pk_add_f32 v[16:17], v[16:17], 0 op_sel_hi:[1,0]
	v_pk_mul_f32 v[18:19], v[38:39], v[24:25] op_sel_hi:[1,0]
	v_pk_fma_f32 v[20:21], v[28:29], v[20:21], v[36:37] neg_lo:[0,0,1] neg_hi:[0,0,1]
	v_pk_add_f32 v[2:3], v[16:17], v[2:3]
	s_delay_alu instid0(VALU_DEP_3) | instskip(SKIP_2) | instid1(VALU_DEP_3)
	v_pk_fma_f32 v[16:17], v[30:31], v[22:23], v[18:19] op_sel_hi:[1,0,1]
	v_mov_b32_e32 v21, v35
	v_pk_fma_f32 v[18:19], v[30:31], v[22:23], v[18:19] neg_lo:[0,0,1] neg_hi:[0,0,1]
	v_mov_b32_e32 v19, v17
	s_delay_alu instid0(VALU_DEP_3) | instskip(NEXT) | instid1(VALU_DEP_1)
	v_pk_add_f32 v[2:3], v[2:3], v[20:21]
	v_pk_add_f32 v[2:3], v[2:3], v[18:19]
	s_wait_loadcnt 0x0
	s_delay_alu instid0(VALU_DEP_1)
	v_pk_add_f32 v[2:3], v[32:33], v[2:3] neg_lo:[0,1] neg_hi:[0,1]
	scratch_store_b64 off, v[2:3], off offset:8
	s_wait_xcnt 0x0
	v_cmpx_ne_u32_e32 0, v0
	s_cbranch_execz .LBB69_49
; %bb.48:
	scratch_load_b64 v[2:3], off, off
	v_mov_b64_e32 v[16:17], 0
	scratch_store_b64 off, v[16:17], off
	s_wait_loadcnt 0x0
	ds_store_b64 v1, v[2:3]
.LBB69_49:
	s_wait_xcnt 0x0
	s_or_b32 exec_lo, exec_lo, s0
	s_wait_storecnt_dscnt 0x0
	s_barrier_signal -1
	s_barrier_wait -1
	s_clause 0x3
	scratch_load_b128 v[18:21], off, off offset:8
	scratch_load_b128 v[0:3], off, off offset:24
	scratch_load_b64 v[30:31], off, off offset:40
	scratch_load_b64 v[32:33], off, off
	v_mov_b32_e32 v16, 0
	ds_load_2addr_b64 v[22:25], v16 offset0:7 offset1:8
	ds_load_2addr_b64 v[26:29], v16 offset0:9 offset1:10
	ds_load_b64 v[34:35], v16 offset:88
	s_and_b32 vcc_lo, exec_lo, s12
	s_wait_dscnt 0x2
	v_dual_mov_b32 v36, v25 :: v_dual_mov_b32 v37, v24
	s_wait_dscnt 0x1
	v_dual_mov_b32 v42, v29 :: v_dual_mov_b32 v43, v28
	s_wait_loadcnt 0x3
	v_pk_mul_f32 v[38:39], v[22:23], v[18:19] op_sel:[1,1] op_sel_hi:[0,1]
	v_mov_b32_e32 v40, v21
	s_delay_alu instid0(VALU_DEP_2) | instskip(NEXT) | instid1(VALU_DEP_2)
	v_pk_fma_f32 v[44:45], v[22:23], v[18:19], v[38:39] op_sel_hi:[1,0,1]
	v_pk_mul_f32 v[36:37], v[36:37], v[40:41] op_sel_hi:[1,0]
	v_pk_fma_f32 v[18:19], v[22:23], v[18:19], v[38:39] neg_lo:[0,0,1] neg_hi:[0,0,1]
	s_wait_loadcnt 0x2
	v_pk_mul_f32 v[40:41], v[26:27], v[0:1] op_sel:[1,1] op_sel_hi:[0,1]
	v_dual_mov_b32 v44, v3 :: v_dual_mov_b32 v19, v45
	v_pk_fma_f32 v[22:23], v[24:25], v[20:21], v[36:37] op_sel_hi:[1,0,1]
	v_pk_fma_f32 v[20:21], v[24:25], v[20:21], v[36:37] neg_lo:[0,0,1] neg_hi:[0,0,1]
	s_delay_alu instid0(VALU_DEP_4) | instskip(NEXT) | instid1(VALU_DEP_4)
	v_pk_fma_f32 v[38:39], v[26:27], v[0:1], v[40:41] op_sel_hi:[1,0,1]
	v_pk_mul_f32 v[42:43], v[42:43], v[44:45] op_sel_hi:[1,0]
	v_pk_add_f32 v[18:19], v[18:19], 0 op_sel_hi:[1,0]
	v_mov_b32_e32 v21, v23
	v_pk_fma_f32 v[0:1], v[26:27], v[0:1], v[40:41] neg_lo:[0,0,1] neg_hi:[0,0,1]
	s_wait_loadcnt_dscnt 0x100
	v_pk_mul_f32 v[22:23], v[34:35], v[30:31] op_sel:[1,1] op_sel_hi:[0,1]
	v_mov_b32_e32 v1, v39
	v_pk_fma_f32 v[24:25], v[28:29], v[2:3], v[42:43] op_sel_hi:[1,0,1]
	v_pk_add_f32 v[18:19], v[18:19], v[20:21]
	v_pk_fma_f32 v[26:27], v[28:29], v[2:3], v[42:43] neg_lo:[0,0,1] neg_hi:[0,0,1]
	v_pk_fma_f32 v[20:21], v[34:35], v[30:31], v[22:23] op_sel_hi:[1,0,1]
	s_delay_alu instid0(VALU_DEP_4) | instskip(NEXT) | instid1(VALU_DEP_4)
	v_mov_b32_e32 v27, v25
	v_pk_add_f32 v[0:1], v[18:19], v[0:1]
	v_pk_fma_f32 v[18:19], v[34:35], v[30:31], v[22:23] neg_lo:[0,0,1] neg_hi:[0,0,1]
	s_delay_alu instid0(VALU_DEP_4) | instskip(NEXT) | instid1(VALU_DEP_3)
	v_mov_b32_e32 v19, v21
	v_pk_add_f32 v[0:1], v[0:1], v[26:27]
	s_delay_alu instid0(VALU_DEP_1) | instskip(SKIP_1) | instid1(VALU_DEP_1)
	v_pk_add_f32 v[0:1], v[0:1], v[18:19]
	s_wait_loadcnt 0x0
	v_pk_add_f32 v[0:1], v[32:33], v[0:1] neg_lo:[0,1] neg_hi:[0,1]
	scratch_store_b64 off, v[0:1], off
	s_cbranch_vccz .LBB69_60
; %bb.50:
	global_load_b32 v0, v16, s[8:9] offset:16
	s_wait_loadcnt 0x0
	v_cmp_ne_u32_e32 vcc_lo, 5, v0
	s_cbranch_vccz .LBB69_52
; %bb.51:
	v_lshlrev_b32_e32 v0, 3, v0
	s_wait_xcnt 0x0
	s_delay_alu instid0(VALU_DEP_1)
	v_mov_b32_e32 v16, v0
	scratch_load_b64 v[0:1], v16, off offset:-8
	s_wait_loadcnt 0x0
	scratch_store_b64 off, v[0:1], off offset:32
	scratch_store_b64 v16, v[2:3], off offset:-8
.LBB69_52:
	s_wait_xcnt 0x1
	v_mov_b32_e32 v0, 0
	global_load_b32 v1, v0, s[8:9] offset:12
	s_wait_loadcnt 0x0
	v_cmp_eq_u32_e32 vcc_lo, 4, v1
	s_cbranch_vccnz .LBB69_54
; %bb.53:
	v_lshlrev_b32_e32 v1, 3, v1
	scratch_load_b64 v[2:3], v1, off offset:-8
	scratch_load_b64 v[16:17], off, off offset:24
	s_wait_loadcnt 0x1
	scratch_store_b64 off, v[2:3], off offset:24
	s_wait_loadcnt 0x0
	scratch_store_b64 v1, v[16:17], off offset:-8
.LBB69_54:
	global_load_b32 v0, v0, s[8:9] offset:8
	s_wait_loadcnt 0x0
	v_cmp_eq_u32_e32 vcc_lo, 3, v0
	s_cbranch_vccnz .LBB69_56
; %bb.55:
	s_wait_xcnt 0x0
	v_lshlrev_b32_e32 v0, 3, v0
	s_delay_alu instid0(VALU_DEP_1)
	v_mov_b32_e32 v16, v0
	scratch_load_b64 v[0:1], v16, off offset:-8
	scratch_load_b64 v[2:3], off, off offset:16
	s_wait_loadcnt 0x1
	scratch_store_b64 off, v[0:1], off offset:16
	s_wait_loadcnt 0x0
	scratch_store_b64 v16, v[2:3], off offset:-8
.LBB69_56:
	s_wait_xcnt 0x0
	v_mov_b32_e32 v0, 0
	global_load_b32 v1, v0, s[8:9] offset:4
	s_wait_loadcnt 0x0
	v_cmp_eq_u32_e32 vcc_lo, 2, v1
	s_cbranch_vccnz .LBB69_58
; %bb.57:
	v_lshlrev_b32_e32 v1, 3, v1
	scratch_load_b64 v[2:3], v1, off offset:-8
	scratch_load_b64 v[16:17], off, off offset:8
	s_wait_loadcnt 0x1
	scratch_store_b64 off, v[2:3], off offset:8
	s_wait_loadcnt 0x0
	scratch_store_b64 v1, v[16:17], off offset:-8
.LBB69_58:
	global_load_b32 v2, v0, s[8:9]
	scratch_load_b64 v[0:1], off, off
	s_wait_loadcnt 0x1
	v_cmp_eq_u32_e32 vcc_lo, 1, v2
	s_cbranch_vccnz .LBB69_60
; %bb.59:
	v_lshlrev_b32_e32 v2, 3, v2
	s_delay_alu instid0(VALU_DEP_1)
	v_mov_b32_e32 v16, v2
	scratch_load_b64 v[2:3], v16, off offset:-8
	s_wait_loadcnt 0x0
	scratch_store_b64 off, v[2:3], off
	scratch_store_b64 v16, v[0:1], off offset:-8
	scratch_load_b64 v[0:1], off, off
.LBB69_60:
	s_wait_loadcnt 0x0
	flat_store_b64 v[4:5], v[0:1]
	scratch_load_b64 v[0:1], off, off offset:8
	v_lshl_add_u64 v[16:17], v[8:9], 3, s[2:3]
	v_lshl_add_u64 v[10:11], v[10:11], 3, s[2:3]
	;; [unrolled: 1-line block ×4, first 2 shown]
	s_wait_loadcnt 0x0
	flat_store_b64 v[6:7], v[0:1]
	scratch_load_b64 v[0:1], off, off offset:16
	s_wait_loadcnt 0x0
	flat_store_b64 v[16:17], v[0:1]
	scratch_load_b64 v[0:1], off, off offset:24
	s_wait_loadcnt 0x0
	flat_store_b64 v[10:11], v[0:1]
	scratch_load_b64 v[0:1], off, off offset:32
	s_wait_loadcnt 0x0
	flat_store_b64 v[8:9], v[0:1]
	scratch_load_b64 v[0:1], off, off offset:40
	s_wait_loadcnt 0x0
	flat_store_b64 v[2:3], v[0:1]
	s_endpgm
	.section	.rodata,"a",@progbits
	.p2align	6, 0x0
	.amdhsa_kernel _ZN9rocsolver6v33100L18getri_kernel_smallILi6E19rocblas_complex_numIfEPKPS3_EEvT1_iilPiilS8_bb
		.amdhsa_group_segment_fixed_size 100
		.amdhsa_private_segment_fixed_size 64
		.amdhsa_kernarg_size 60
		.amdhsa_user_sgpr_count 2
		.amdhsa_user_sgpr_dispatch_ptr 0
		.amdhsa_user_sgpr_queue_ptr 0
		.amdhsa_user_sgpr_kernarg_segment_ptr 1
		.amdhsa_user_sgpr_dispatch_id 0
		.amdhsa_user_sgpr_kernarg_preload_length 0
		.amdhsa_user_sgpr_kernarg_preload_offset 0
		.amdhsa_user_sgpr_private_segment_size 0
		.amdhsa_wavefront_size32 1
		.amdhsa_uses_dynamic_stack 0
		.amdhsa_enable_private_segment 1
		.amdhsa_system_sgpr_workgroup_id_x 1
		.amdhsa_system_sgpr_workgroup_id_y 0
		.amdhsa_system_sgpr_workgroup_id_z 0
		.amdhsa_system_sgpr_workgroup_info 0
		.amdhsa_system_vgpr_workitem_id 0
		.amdhsa_next_free_vgpr 46
		.amdhsa_next_free_sgpr 19
		.amdhsa_named_barrier_count 0
		.amdhsa_reserve_vcc 1
		.amdhsa_float_round_mode_32 0
		.amdhsa_float_round_mode_16_64 0
		.amdhsa_float_denorm_mode_32 3
		.amdhsa_float_denorm_mode_16_64 3
		.amdhsa_fp16_overflow 0
		.amdhsa_memory_ordered 1
		.amdhsa_forward_progress 1
		.amdhsa_inst_pref_size 38
		.amdhsa_round_robin_scheduling 0
		.amdhsa_exception_fp_ieee_invalid_op 0
		.amdhsa_exception_fp_denorm_src 0
		.amdhsa_exception_fp_ieee_div_zero 0
		.amdhsa_exception_fp_ieee_overflow 0
		.amdhsa_exception_fp_ieee_underflow 0
		.amdhsa_exception_fp_ieee_inexact 0
		.amdhsa_exception_int_div_zero 0
	.end_amdhsa_kernel
	.section	.text._ZN9rocsolver6v33100L18getri_kernel_smallILi6E19rocblas_complex_numIfEPKPS3_EEvT1_iilPiilS8_bb,"axG",@progbits,_ZN9rocsolver6v33100L18getri_kernel_smallILi6E19rocblas_complex_numIfEPKPS3_EEvT1_iilPiilS8_bb,comdat
.Lfunc_end69:
	.size	_ZN9rocsolver6v33100L18getri_kernel_smallILi6E19rocblas_complex_numIfEPKPS3_EEvT1_iilPiilS8_bb, .Lfunc_end69-_ZN9rocsolver6v33100L18getri_kernel_smallILi6E19rocblas_complex_numIfEPKPS3_EEvT1_iilPiilS8_bb
                                        ; -- End function
	.set _ZN9rocsolver6v33100L18getri_kernel_smallILi6E19rocblas_complex_numIfEPKPS3_EEvT1_iilPiilS8_bb.num_vgpr, 46
	.set _ZN9rocsolver6v33100L18getri_kernel_smallILi6E19rocblas_complex_numIfEPKPS3_EEvT1_iilPiilS8_bb.num_agpr, 0
	.set _ZN9rocsolver6v33100L18getri_kernel_smallILi6E19rocblas_complex_numIfEPKPS3_EEvT1_iilPiilS8_bb.numbered_sgpr, 19
	.set _ZN9rocsolver6v33100L18getri_kernel_smallILi6E19rocblas_complex_numIfEPKPS3_EEvT1_iilPiilS8_bb.num_named_barrier, 0
	.set _ZN9rocsolver6v33100L18getri_kernel_smallILi6E19rocblas_complex_numIfEPKPS3_EEvT1_iilPiilS8_bb.private_seg_size, 64
	.set _ZN9rocsolver6v33100L18getri_kernel_smallILi6E19rocblas_complex_numIfEPKPS3_EEvT1_iilPiilS8_bb.uses_vcc, 1
	.set _ZN9rocsolver6v33100L18getri_kernel_smallILi6E19rocblas_complex_numIfEPKPS3_EEvT1_iilPiilS8_bb.uses_flat_scratch, 1
	.set _ZN9rocsolver6v33100L18getri_kernel_smallILi6E19rocblas_complex_numIfEPKPS3_EEvT1_iilPiilS8_bb.has_dyn_sized_stack, 0
	.set _ZN9rocsolver6v33100L18getri_kernel_smallILi6E19rocblas_complex_numIfEPKPS3_EEvT1_iilPiilS8_bb.has_recursion, 0
	.set _ZN9rocsolver6v33100L18getri_kernel_smallILi6E19rocblas_complex_numIfEPKPS3_EEvT1_iilPiilS8_bb.has_indirect_call, 0
	.section	.AMDGPU.csdata,"",@progbits
; Kernel info:
; codeLenInByte = 4836
; TotalNumSgprs: 21
; NumVgprs: 46
; ScratchSize: 64
; MemoryBound: 0
; FloatMode: 240
; IeeeMode: 1
; LDSByteSize: 100 bytes/workgroup (compile time only)
; SGPRBlocks: 0
; VGPRBlocks: 2
; NumSGPRsForWavesPerEU: 21
; NumVGPRsForWavesPerEU: 46
; NamedBarCnt: 0
; Occupancy: 16
; WaveLimiterHint : 1
; COMPUTE_PGM_RSRC2:SCRATCH_EN: 1
; COMPUTE_PGM_RSRC2:USER_SGPR: 2
; COMPUTE_PGM_RSRC2:TRAP_HANDLER: 0
; COMPUTE_PGM_RSRC2:TGID_X_EN: 1
; COMPUTE_PGM_RSRC2:TGID_Y_EN: 0
; COMPUTE_PGM_RSRC2:TGID_Z_EN: 0
; COMPUTE_PGM_RSRC2:TIDIG_COMP_CNT: 0
	.section	.text._ZN9rocsolver6v33100L18getri_kernel_smallILi7E19rocblas_complex_numIfEPKPS3_EEvT1_iilPiilS8_bb,"axG",@progbits,_ZN9rocsolver6v33100L18getri_kernel_smallILi7E19rocblas_complex_numIfEPKPS3_EEvT1_iilPiilS8_bb,comdat
	.globl	_ZN9rocsolver6v33100L18getri_kernel_smallILi7E19rocblas_complex_numIfEPKPS3_EEvT1_iilPiilS8_bb ; -- Begin function _ZN9rocsolver6v33100L18getri_kernel_smallILi7E19rocblas_complex_numIfEPKPS3_EEvT1_iilPiilS8_bb
	.p2align	8
	.type	_ZN9rocsolver6v33100L18getri_kernel_smallILi7E19rocblas_complex_numIfEPKPS3_EEvT1_iilPiilS8_bb,@function
_ZN9rocsolver6v33100L18getri_kernel_smallILi7E19rocblas_complex_numIfEPKPS3_EEvT1_iilPiilS8_bb: ; @_ZN9rocsolver6v33100L18getri_kernel_smallILi7E19rocblas_complex_numIfEPKPS3_EEvT1_iilPiilS8_bb
; %bb.0:
	s_mov_b32 s2, exec_lo
	v_cmpx_gt_u32_e32 7, v0
	s_cbranch_execz .LBB70_42
; %bb.1:
	s_clause 0x1
	s_load_b32 s13, s[0:1], 0x38
	s_load_b64 s[2:3], s[0:1], 0x0
	s_getreg_b32 s6, hwreg(HW_REG_IB_STS2, 6, 4)
	s_wait_kmcnt 0x0
	s_bitcmp1_b32 s13, 8
	s_cselect_b32 s12, -1, 0
	s_bfe_u32 s4, ttmp6, 0x4000c
	s_and_b32 s5, ttmp6, 15
	s_add_co_i32 s4, s4, 1
	s_delay_alu instid0(SALU_CYCLE_1) | instskip(NEXT) | instid1(SALU_CYCLE_1)
	s_mul_i32 s4, ttmp9, s4
	s_add_co_i32 s5, s5, s4
	s_cmp_eq_u32 s6, 0
	s_cselect_b32 s10, ttmp9, s5
	s_load_b128 s[4:7], s[0:1], 0x28
	s_ashr_i32 s11, s10, 31
	s_delay_alu instid0(SALU_CYCLE_1) | instskip(NEXT) | instid1(SALU_CYCLE_1)
	s_lshl_b64 s[8:9], s[10:11], 3
	s_add_nc_u64 s[2:3], s[2:3], s[8:9]
	s_bfe_u32 s8, s13, 0x10008
	s_load_b64 s[2:3], s[2:3], 0x0
	s_cmp_eq_u32 s8, 0
                                        ; implicit-def: $sgpr8_sgpr9
	s_cbranch_scc1 .LBB70_3
; %bb.2:
	s_load_b96 s[16:18], s[0:1], 0x18
	s_wait_kmcnt 0x0
	s_mul_u64 s[4:5], s[4:5], s[10:11]
	s_delay_alu instid0(SALU_CYCLE_1) | instskip(SKIP_4) | instid1(SALU_CYCLE_1)
	s_lshl_b64 s[4:5], s[4:5], 2
	s_ashr_i32 s9, s18, 31
	s_mov_b32 s8, s18
	s_add_nc_u64 s[4:5], s[16:17], s[4:5]
	s_lshl_b64 s[8:9], s[8:9], 2
	s_add_nc_u64 s[8:9], s[4:5], s[8:9]
.LBB70_3:
	s_wait_kmcnt 0x0
	s_clause 0x1
	s_load_b64 s[4:5], s[0:1], 0x8
	s_load_b32 s13, s[0:1], 0x38
	v_dual_mov_b32 v3, 0 :: v_dual_lshlrev_b32 v2, 3, v0
	s_wait_kmcnt 0x0
	s_ashr_i32 s1, s4, 31
	s_mov_b32 s0, s4
	s_delay_alu instid0(SALU_CYCLE_1) | instskip(NEXT) | instid1(SALU_CYCLE_1)
	s_lshl_b64 s[0:1], s[0:1], 3
	s_add_nc_u64 s[2:3], s[2:3], s[0:1]
	s_ashr_i32 s1, s5, 31
	flat_load_b64 v[8:9], v0, s[2:3] scale_offset
	v_add_nc_u64_e32 v[4:5], s[2:3], v[2:3]
	s_mov_b32 s0, s5
	s_bitcmp0_b32 s13, 0
	s_delay_alu instid0(VALU_DEP_1)
	v_lshl_add_u64 v[6:7], s[0:1], 3, v[4:5]
	s_mov_b32 s1, -1
	s_wait_loadcnt_dscnt 0x0
	scratch_store_b64 off, v[8:9], off
	flat_load_b64 v[10:11], v[6:7]
	s_wait_xcnt 0x1
	v_add3_u32 v8, s5, s5, v0
	s_wait_loadcnt_dscnt 0x0
	scratch_store_b64 off, v[10:11], off offset:8
	flat_load_b64 v[12:13], v8, s[2:3] scale_offset
	s_wait_xcnt 0x1
	v_add_nc_u32_e32 v10, s5, v8
	s_wait_loadcnt_dscnt 0x0
	scratch_store_b64 off, v[12:13], off offset:16
	flat_load_b64 v[14:15], v10, s[2:3] scale_offset
	s_wait_xcnt 0x1
	v_add_nc_u32_e32 v12, s5, v10
	;; [unrolled: 5-line block ×4, first 2 shown]
	s_wait_loadcnt_dscnt 0x0
	scratch_store_b64 off, v[18:19], off offset:40
	flat_load_b64 v[18:19], v16, s[2:3] scale_offset
	s_wait_loadcnt_dscnt 0x0
	scratch_store_b64 off, v[18:19], off offset:48
	s_cbranch_scc1 .LBB70_40
; %bb.4:
	v_cmp_eq_u32_e64 s0, 0, v0
	s_wait_xcnt 0x0
	s_and_saveexec_b32 s1, s0
; %bb.5:
	v_mov_b32_e32 v1, 0
	ds_store_b32 v1, v1 offset:56
; %bb.6:
	s_or_b32 exec_lo, exec_lo, s1
	s_wait_storecnt_dscnt 0x0
	s_barrier_signal -1
	s_barrier_wait -1
	scratch_load_b64 v[18:19], v0, off scale_offset
	s_wait_loadcnt 0x0
	v_cmp_eq_f32_e32 vcc_lo, 0, v18
	v_cmp_eq_f32_e64 s1, 0, v19
	s_and_b32 s1, vcc_lo, s1
	s_delay_alu instid0(SALU_CYCLE_1)
	s_and_saveexec_b32 s4, s1
	s_cbranch_execz .LBB70_10
; %bb.7:
	v_mov_b32_e32 v1, 0
	s_mov_b32 s5, 0
	ds_load_b32 v3, v1 offset:56
	s_wait_dscnt 0x0
	v_readfirstlane_b32 s1, v3
	v_add_nc_u32_e32 v3, 1, v0
	s_cmp_eq_u32 s1, 0
	s_delay_alu instid0(VALU_DEP_1) | instskip(SKIP_1) | instid1(SALU_CYCLE_1)
	v_cmp_gt_i32_e32 vcc_lo, s1, v3
	s_cselect_b32 s13, -1, 0
	s_or_b32 s13, s13, vcc_lo
	s_delay_alu instid0(SALU_CYCLE_1)
	s_and_b32 exec_lo, exec_lo, s13
	s_cbranch_execz .LBB70_10
; %bb.8:
	v_mov_b32_e32 v9, s1
.LBB70_9:                               ; =>This Inner Loop Header: Depth=1
	ds_cmpstore_rtn_b32 v9, v1, v3, v9 offset:56
	s_wait_dscnt 0x0
	v_cmp_ne_u32_e32 vcc_lo, 0, v9
	v_cmp_le_i32_e64 s1, v9, v3
	s_and_b32 s1, vcc_lo, s1
	s_delay_alu instid0(SALU_CYCLE_1) | instskip(NEXT) | instid1(SALU_CYCLE_1)
	s_and_b32 s1, exec_lo, s1
	s_or_b32 s5, s1, s5
	s_delay_alu instid0(SALU_CYCLE_1)
	s_and_not1_b32 exec_lo, exec_lo, s5
	s_cbranch_execnz .LBB70_9
.LBB70_10:
	s_or_b32 exec_lo, exec_lo, s4
	v_mov_b32_e32 v1, 0
	s_barrier_signal -1
	s_barrier_wait -1
	ds_load_b32 v3, v1 offset:56
	s_and_saveexec_b32 s1, s0
	s_cbranch_execz .LBB70_12
; %bb.11:
	s_lshl_b64 s[4:5], s[10:11], 2
	s_delay_alu instid0(SALU_CYCLE_1)
	s_add_nc_u64 s[4:5], s[6:7], s[4:5]
	s_wait_dscnt 0x0
	global_store_b32 v1, v3, s[4:5]
.LBB70_12:
	s_wait_xcnt 0x0
	s_or_b32 exec_lo, exec_lo, s1
	s_wait_dscnt 0x0
	v_cmp_ne_u32_e32 vcc_lo, 0, v3
	s_mov_b32 s1, 0
	s_cbranch_vccnz .LBB70_40
; %bb.13:
	v_lshl_add_u32 v3, v0, 3, 0
                                        ; implicit-def: $vgpr21
                                        ; implicit-def: $vgpr22
	scratch_load_b64 v[18:19], v3, off
	s_wait_loadcnt 0x0
	v_cmp_ngt_f32_e64 s1, |v18|, |v19|
	s_wait_xcnt 0x0
	s_and_saveexec_b32 s4, s1
	s_delay_alu instid0(SALU_CYCLE_1)
	s_xor_b32 s1, exec_lo, s4
	s_cbranch_execz .LBB70_15
; %bb.14:
	v_div_scale_f32 v1, null, v19, v19, v18
	v_div_scale_f32 v13, vcc_lo, v18, v19, v18
	s_delay_alu instid0(VALU_DEP_2) | instskip(SKIP_1) | instid1(TRANS32_DEP_1)
	v_rcp_f32_e32 v9, v1
	v_nop
	v_fma_f32 v11, -v1, v9, 1.0
	s_delay_alu instid0(VALU_DEP_1) | instskip(NEXT) | instid1(VALU_DEP_1)
	v_fmac_f32_e32 v9, v11, v9
	v_mul_f32_e32 v11, v13, v9
	s_delay_alu instid0(VALU_DEP_1) | instskip(NEXT) | instid1(VALU_DEP_1)
	v_fma_f32 v15, -v1, v11, v13
	v_fmac_f32_e32 v11, v15, v9
	s_delay_alu instid0(VALU_DEP_1) | instskip(NEXT) | instid1(VALU_DEP_1)
	v_fma_f32 v1, -v1, v11, v13
	v_div_fmas_f32 v1, v1, v9, v11
	s_delay_alu instid0(VALU_DEP_1) | instskip(NEXT) | instid1(VALU_DEP_1)
	v_div_fixup_f32 v1, v1, v19, v18
	v_fmac_f32_e32 v19, v18, v1
	s_delay_alu instid0(VALU_DEP_1) | instskip(NEXT) | instid1(VALU_DEP_1)
	v_div_scale_f32 v9, null, v19, v19, -1.0
	v_rcp_f32_e32 v11, v9
	v_nop
	s_delay_alu instid0(TRANS32_DEP_1) | instskip(NEXT) | instid1(VALU_DEP_1)
	v_fma_f32 v13, -v9, v11, 1.0
	v_fmac_f32_e32 v11, v13, v11
	v_div_scale_f32 v13, vcc_lo, -1.0, v19, -1.0
	s_delay_alu instid0(VALU_DEP_1) | instskip(NEXT) | instid1(VALU_DEP_1)
	v_mul_f32_e32 v15, v13, v11
	v_fma_f32 v17, -v9, v15, v13
	s_delay_alu instid0(VALU_DEP_1) | instskip(NEXT) | instid1(VALU_DEP_1)
	v_fmac_f32_e32 v15, v17, v11
	v_fma_f32 v9, -v9, v15, v13
	s_delay_alu instid0(VALU_DEP_1) | instskip(NEXT) | instid1(VALU_DEP_1)
	v_div_fmas_f32 v9, v9, v11, v15
	v_div_fixup_f32 v21, v9, v19, -1.0
                                        ; implicit-def: $vgpr18_vgpr19
	s_delay_alu instid0(VALU_DEP_1) | instskip(NEXT) | instid1(VALU_DEP_1)
	v_mul_f32_e32 v22, v1, v21
	v_xor_b32_e32 v20, 0x80000000, v22
.LBB70_15:
	s_and_not1_saveexec_b32 s1, s1
	s_cbranch_execz .LBB70_17
; %bb.16:
	v_div_scale_f32 v1, null, v18, v18, v19
	v_div_scale_f32 v13, vcc_lo, v19, v18, v19
	s_delay_alu instid0(VALU_DEP_2) | instskip(SKIP_1) | instid1(TRANS32_DEP_1)
	v_rcp_f32_e32 v9, v1
	v_nop
	v_fma_f32 v11, -v1, v9, 1.0
	s_delay_alu instid0(VALU_DEP_1) | instskip(NEXT) | instid1(VALU_DEP_1)
	v_fmac_f32_e32 v9, v11, v9
	v_mul_f32_e32 v11, v13, v9
	s_delay_alu instid0(VALU_DEP_1) | instskip(NEXT) | instid1(VALU_DEP_1)
	v_fma_f32 v15, -v1, v11, v13
	v_fmac_f32_e32 v11, v15, v9
	s_delay_alu instid0(VALU_DEP_1) | instskip(NEXT) | instid1(VALU_DEP_1)
	v_fma_f32 v1, -v1, v11, v13
	v_div_fmas_f32 v1, v1, v9, v11
	s_delay_alu instid0(VALU_DEP_1) | instskip(NEXT) | instid1(VALU_DEP_1)
	v_div_fixup_f32 v1, v1, v18, v19
	v_fmac_f32_e32 v18, v19, v1
	s_delay_alu instid0(VALU_DEP_1) | instskip(SKIP_1) | instid1(VALU_DEP_2)
	v_div_scale_f32 v9, null, v18, v18, 1.0
	v_div_scale_f32 v15, vcc_lo, 1.0, v18, 1.0
	v_rcp_f32_e32 v11, v9
	v_nop
	s_delay_alu instid0(TRANS32_DEP_1) | instskip(NEXT) | instid1(VALU_DEP_1)
	v_fma_f32 v13, -v9, v11, 1.0
	v_fmac_f32_e32 v11, v13, v11
	s_delay_alu instid0(VALU_DEP_1) | instskip(NEXT) | instid1(VALU_DEP_1)
	v_mul_f32_e32 v13, v15, v11
	v_fma_f32 v17, -v9, v13, v15
	s_delay_alu instid0(VALU_DEP_1) | instskip(NEXT) | instid1(VALU_DEP_1)
	v_fmac_f32_e32 v13, v17, v11
	v_fma_f32 v9, -v9, v13, v15
	s_delay_alu instid0(VALU_DEP_1) | instskip(NEXT) | instid1(VALU_DEP_1)
	v_div_fmas_f32 v9, v9, v11, v13
	v_div_fixup_f32 v20, v9, v18, 1.0
	s_delay_alu instid0(VALU_DEP_1)
	v_xor_b32_e32 v22, 0x80000000, v20
	v_mul_f32_e64 v21, v1, -v20
.LBB70_17:
	s_or_b32 exec_lo, exec_lo, s1
	scratch_store_b64 v3, v[20:21], off
	scratch_load_b64 v[18:19], off, off offset:8
	v_xor_b32_e32 v23, 0x80000000, v21
	v_add_nc_u32_e32 v1, 64, v2
	s_wait_loadcnt 0x0
	ds_store_2addr_b64 v2, v[22:23], v[18:19] offset1:8
	s_wait_storecnt_dscnt 0x0
	s_barrier_signal -1
	s_barrier_wait -1
	s_wait_xcnt 0x0
	s_and_saveexec_b32 s1, s0
	s_cbranch_execz .LBB70_19
; %bb.18:
	scratch_load_b64 v[18:19], v3, off
	ds_load_b64 v[20:21], v1
	s_wait_loadcnt_dscnt 0x0
	v_pk_mul_f32 v[24:25], v[20:21], v[18:19] op_sel:[1,1] op_sel_hi:[0,1]
	s_delay_alu instid0(VALU_DEP_1) | instskip(SKIP_2) | instid1(VALU_DEP_3)
	v_pk_fma_f32 v[26:27], v[20:21], v[18:19], v[24:25] op_sel_hi:[1,0,1]
	v_mov_b32_e32 v9, 0
	v_pk_fma_f32 v[18:19], v[20:21], v[18:19], v[24:25] neg_lo:[0,0,1] neg_hi:[0,0,1]
	v_mov_b32_e32 v19, v27
	ds_load_b64 v[22:23], v9 offset:8
	v_pk_add_f32 v[18:19], v[18:19], 0 op_sel_hi:[1,0]
	s_wait_dscnt 0x0
	s_delay_alu instid0(VALU_DEP_1) | instskip(NEXT) | instid1(VALU_DEP_1)
	v_pk_mul_f32 v[20:21], v[18:19], v[22:23] op_sel:[1,1] op_sel_hi:[0,1]
	v_pk_fma_f32 v[24:25], v[18:19], v[22:23], v[20:21] op_sel_hi:[1,0,1]
	v_pk_fma_f32 v[18:19], v[18:19], v[22:23], v[20:21] neg_lo:[0,0,1] neg_hi:[0,0,1]
	s_delay_alu instid0(VALU_DEP_2)
	v_mov_b32_e32 v19, v25
	scratch_store_b64 off, v[18:19], off offset:8
.LBB70_19:
	s_wait_xcnt 0x0
	s_or_b32 exec_lo, exec_lo, s1
	s_wait_storecnt 0x0
	s_barrier_signal -1
	s_barrier_wait -1
	scratch_load_b64 v[18:19], off, off offset:16
	s_mov_b32 s1, exec_lo
	s_wait_loadcnt 0x0
	ds_store_b64 v1, v[18:19]
	s_wait_dscnt 0x0
	s_barrier_signal -1
	s_barrier_wait -1
	v_cmpx_gt_u32_e32 2, v0
	s_cbranch_execz .LBB70_23
; %bb.20:
	scratch_load_b64 v[18:19], v3, off
	ds_load_b64 v[20:21], v1
	s_wait_loadcnt_dscnt 0x0
	v_pk_mul_f32 v[22:23], v[20:21], v[18:19] op_sel:[1,1] op_sel_hi:[0,1]
	s_delay_alu instid0(VALU_DEP_1) | instskip(SKIP_1) | instid1(VALU_DEP_2)
	v_pk_fma_f32 v[24:25], v[20:21], v[18:19], v[22:23] op_sel_hi:[1,0,1]
	v_pk_fma_f32 v[18:19], v[20:21], v[18:19], v[22:23] neg_lo:[0,0,1] neg_hi:[0,0,1]
	v_mov_b32_e32 v19, v25
	s_delay_alu instid0(VALU_DEP_1)
	v_pk_add_f32 v[18:19], v[18:19], 0 op_sel_hi:[1,0]
	s_and_saveexec_b32 s4, s0
	s_cbranch_execz .LBB70_22
; %bb.21:
	scratch_load_b64 v[20:21], off, off offset:8
	v_mov_b32_e32 v3, 0
	ds_load_b64 v[22:23], v3 offset:72
	s_wait_loadcnt_dscnt 0x0
	v_pk_mul_f32 v[24:25], v[22:23], v[20:21] op_sel:[1,1] op_sel_hi:[0,1]
	s_delay_alu instid0(VALU_DEP_1) | instskip(SKIP_1) | instid1(VALU_DEP_2)
	v_pk_fma_f32 v[26:27], v[22:23], v[20:21], v[24:25] op_sel_hi:[1,0,1]
	v_pk_fma_f32 v[20:21], v[22:23], v[20:21], v[24:25] neg_lo:[0,0,1] neg_hi:[0,0,1]
	v_mov_b32_e32 v21, v27
	s_delay_alu instid0(VALU_DEP_1)
	v_pk_add_f32 v[18:19], v[18:19], v[20:21]
.LBB70_22:
	s_or_b32 exec_lo, exec_lo, s4
	v_mov_b32_e32 v3, 0
	ds_load_b64 v[20:21], v3 offset:16
	s_wait_dscnt 0x0
	v_pk_mul_f32 v[22:23], v[18:19], v[20:21] op_sel:[1,1] op_sel_hi:[0,1]
	s_delay_alu instid0(VALU_DEP_1) | instskip(SKIP_1) | instid1(VALU_DEP_2)
	v_pk_fma_f32 v[24:25], v[18:19], v[20:21], v[22:23] op_sel_hi:[1,0,1]
	v_pk_fma_f32 v[18:19], v[18:19], v[20:21], v[22:23] neg_lo:[0,0,1] neg_hi:[0,0,1]
	v_mov_b32_e32 v19, v25
	scratch_store_b64 off, v[18:19], off offset:16
.LBB70_23:
	s_wait_xcnt 0x0
	s_or_b32 exec_lo, exec_lo, s1
	s_wait_storecnt 0x0
	s_barrier_signal -1
	s_barrier_wait -1
	scratch_load_b64 v[18:19], off, off offset:24
	v_add_nc_u32_e32 v3, -1, v0
	s_mov_b32 s0, exec_lo
	s_wait_loadcnt 0x0
	ds_store_b64 v1, v[18:19]
	s_wait_dscnt 0x0
	s_barrier_signal -1
	s_barrier_wait -1
	v_cmpx_gt_u32_e32 3, v0
	s_cbranch_execz .LBB70_27
; %bb.24:
	v_dual_mov_b32 v18, 0 :: v_dual_add_nc_u32 v9, -1, v0
	v_dual_add_nc_u32 v11, 64, v2 :: v_dual_mov_b32 v13, v2
	s_mov_b32 s1, 0
	s_delay_alu instid0(VALU_DEP_2)
	v_mov_b32_e32 v19, v18
.LBB70_25:                              ; =>This Inner Loop Header: Depth=1
	scratch_load_b64 v[20:21], v13, off
	ds_load_b64 v[22:23], v11
	s_wait_xcnt 0x0
	v_dual_add_nc_u32 v11, 8, v11 :: v_dual_add_nc_u32 v13, 8, v13
	s_wait_loadcnt_dscnt 0x0
	v_pk_mul_f32 v[24:25], v[22:23], v[20:21] op_sel:[1,1] op_sel_hi:[0,1]
	s_delay_alu instid0(VALU_DEP_1) | instskip(SKIP_2) | instid1(VALU_DEP_3)
	v_pk_fma_f32 v[26:27], v[22:23], v[20:21], v[24:25] op_sel_hi:[1,0,1]
	v_add_nc_u32_e32 v9, 1, v9
	v_pk_fma_f32 v[20:21], v[22:23], v[20:21], v[24:25] neg_lo:[0,0,1] neg_hi:[0,0,1]
	v_mov_b32_e32 v21, v27
	s_delay_alu instid0(VALU_DEP_3) | instskip(NEXT) | instid1(VALU_DEP_2)
	v_cmp_lt_u32_e32 vcc_lo, 1, v9
	v_pk_add_f32 v[18:19], v[18:19], v[20:21]
	s_or_b32 s1, vcc_lo, s1
	s_delay_alu instid0(SALU_CYCLE_1)
	s_and_not1_b32 exec_lo, exec_lo, s1
	s_cbranch_execnz .LBB70_25
; %bb.26:
	s_or_b32 exec_lo, exec_lo, s1
	v_mov_b32_e32 v9, 0
	ds_load_b64 v[20:21], v9 offset:24
	s_wait_dscnt 0x0
	v_pk_mul_f32 v[22:23], v[18:19], v[20:21] op_sel:[1,1] op_sel_hi:[0,1]
	s_delay_alu instid0(VALU_DEP_1) | instskip(SKIP_1) | instid1(VALU_DEP_2)
	v_pk_fma_f32 v[24:25], v[18:19], v[20:21], v[22:23] op_sel_hi:[1,0,1]
	v_pk_fma_f32 v[18:19], v[18:19], v[20:21], v[22:23] neg_lo:[0,0,1] neg_hi:[0,0,1]
	v_mov_b32_e32 v19, v25
	scratch_store_b64 off, v[18:19], off offset:24
.LBB70_27:
	s_wait_xcnt 0x0
	s_or_b32 exec_lo, exec_lo, s0
	s_wait_storecnt 0x0
	s_barrier_signal -1
	s_barrier_wait -1
	scratch_load_b64 v[18:19], off, off offset:32
	s_mov_b32 s0, exec_lo
	s_wait_loadcnt 0x0
	ds_store_b64 v1, v[18:19]
	s_wait_dscnt 0x0
	s_barrier_signal -1
	s_barrier_wait -1
	v_cmpx_gt_u32_e32 4, v0
	s_cbranch_execz .LBB70_31
; %bb.28:
	v_dual_mov_b32 v18, 0 :: v_dual_add_nc_u32 v9, -1, v0
	v_dual_add_nc_u32 v11, 64, v2 :: v_dual_mov_b32 v13, v2
	s_mov_b32 s1, 0
	s_delay_alu instid0(VALU_DEP_2)
	v_mov_b32_e32 v19, v18
.LBB70_29:                              ; =>This Inner Loop Header: Depth=1
	scratch_load_b64 v[20:21], v13, off
	ds_load_b64 v[22:23], v11
	s_wait_xcnt 0x0
	v_dual_add_nc_u32 v11, 8, v11 :: v_dual_add_nc_u32 v13, 8, v13
	s_wait_loadcnt_dscnt 0x0
	v_pk_mul_f32 v[24:25], v[22:23], v[20:21] op_sel:[1,1] op_sel_hi:[0,1]
	s_delay_alu instid0(VALU_DEP_1) | instskip(SKIP_2) | instid1(VALU_DEP_3)
	v_pk_fma_f32 v[26:27], v[22:23], v[20:21], v[24:25] op_sel_hi:[1,0,1]
	v_add_nc_u32_e32 v9, 1, v9
	v_pk_fma_f32 v[20:21], v[22:23], v[20:21], v[24:25] neg_lo:[0,0,1] neg_hi:[0,0,1]
	v_mov_b32_e32 v21, v27
	s_delay_alu instid0(VALU_DEP_3) | instskip(NEXT) | instid1(VALU_DEP_2)
	v_cmp_lt_u32_e32 vcc_lo, 2, v9
	v_pk_add_f32 v[18:19], v[18:19], v[20:21]
	s_or_b32 s1, vcc_lo, s1
	s_delay_alu instid0(SALU_CYCLE_1)
	s_and_not1_b32 exec_lo, exec_lo, s1
	s_cbranch_execnz .LBB70_29
; %bb.30:
	s_or_b32 exec_lo, exec_lo, s1
	v_mov_b32_e32 v9, 0
	ds_load_b64 v[20:21], v9 offset:32
	s_wait_dscnt 0x0
	v_pk_mul_f32 v[22:23], v[18:19], v[20:21] op_sel:[1,1] op_sel_hi:[0,1]
	s_delay_alu instid0(VALU_DEP_1) | instskip(SKIP_1) | instid1(VALU_DEP_2)
	v_pk_fma_f32 v[24:25], v[18:19], v[20:21], v[22:23] op_sel_hi:[1,0,1]
	v_pk_fma_f32 v[18:19], v[18:19], v[20:21], v[22:23] neg_lo:[0,0,1] neg_hi:[0,0,1]
	v_mov_b32_e32 v19, v25
	scratch_store_b64 off, v[18:19], off offset:32
.LBB70_31:
	s_wait_xcnt 0x0
	s_or_b32 exec_lo, exec_lo, s0
	s_wait_storecnt 0x0
	s_barrier_signal -1
	s_barrier_wait -1
	scratch_load_b64 v[18:19], off, off offset:40
	s_mov_b32 s0, exec_lo
	s_wait_loadcnt 0x0
	ds_store_b64 v1, v[18:19]
	s_wait_dscnt 0x0
	s_barrier_signal -1
	s_barrier_wait -1
	v_cmpx_gt_u32_e32 5, v0
	s_cbranch_execz .LBB70_35
; %bb.32:
	v_dual_mov_b32 v18, 0 :: v_dual_add_nc_u32 v9, -1, v0
	v_dual_add_nc_u32 v11, 64, v2 :: v_dual_mov_b32 v13, v2
	s_mov_b32 s1, 0
	s_delay_alu instid0(VALU_DEP_2)
	v_mov_b32_e32 v19, v18
.LBB70_33:                              ; =>This Inner Loop Header: Depth=1
	scratch_load_b64 v[20:21], v13, off
	ds_load_b64 v[22:23], v11
	s_wait_xcnt 0x0
	v_dual_add_nc_u32 v11, 8, v11 :: v_dual_add_nc_u32 v13, 8, v13
	s_wait_loadcnt_dscnt 0x0
	v_pk_mul_f32 v[24:25], v[22:23], v[20:21] op_sel:[1,1] op_sel_hi:[0,1]
	s_delay_alu instid0(VALU_DEP_1) | instskip(SKIP_2) | instid1(VALU_DEP_3)
	v_pk_fma_f32 v[26:27], v[22:23], v[20:21], v[24:25] op_sel_hi:[1,0,1]
	v_add_nc_u32_e32 v9, 1, v9
	v_pk_fma_f32 v[20:21], v[22:23], v[20:21], v[24:25] neg_lo:[0,0,1] neg_hi:[0,0,1]
	v_mov_b32_e32 v21, v27
	s_delay_alu instid0(VALU_DEP_3) | instskip(NEXT) | instid1(VALU_DEP_2)
	v_cmp_lt_u32_e32 vcc_lo, 3, v9
	v_pk_add_f32 v[18:19], v[18:19], v[20:21]
	s_or_b32 s1, vcc_lo, s1
	s_delay_alu instid0(SALU_CYCLE_1)
	s_and_not1_b32 exec_lo, exec_lo, s1
	s_cbranch_execnz .LBB70_33
; %bb.34:
	s_or_b32 exec_lo, exec_lo, s1
	v_mov_b32_e32 v9, 0
	ds_load_b64 v[20:21], v9 offset:40
	s_wait_dscnt 0x0
	v_pk_mul_f32 v[22:23], v[18:19], v[20:21] op_sel:[1,1] op_sel_hi:[0,1]
	s_delay_alu instid0(VALU_DEP_1) | instskip(SKIP_1) | instid1(VALU_DEP_2)
	v_pk_fma_f32 v[24:25], v[18:19], v[20:21], v[22:23] op_sel_hi:[1,0,1]
	v_pk_fma_f32 v[18:19], v[18:19], v[20:21], v[22:23] neg_lo:[0,0,1] neg_hi:[0,0,1]
	v_mov_b32_e32 v19, v25
	scratch_store_b64 off, v[18:19], off offset:40
.LBB70_35:
	s_wait_xcnt 0x0
	s_or_b32 exec_lo, exec_lo, s0
	s_wait_storecnt 0x0
	s_barrier_signal -1
	s_barrier_wait -1
	scratch_load_b64 v[18:19], off, off offset:48
	s_mov_b32 s0, exec_lo
	s_wait_loadcnt 0x0
	ds_store_b64 v1, v[18:19]
	s_wait_dscnt 0x0
	s_barrier_signal -1
	s_barrier_wait -1
	v_cmpx_ne_u32_e32 6, v0
	s_cbranch_execz .LBB70_39
; %bb.36:
	v_mov_b32_e32 v18, 0
	s_mov_b32 s1, 0
	s_delay_alu instid0(VALU_DEP_1)
	v_mov_b32_e32 v19, v18
.LBB70_37:                              ; =>This Inner Loop Header: Depth=1
	scratch_load_b64 v[20:21], v2, off
	ds_load_b64 v[22:23], v1
	s_wait_xcnt 0x0
	v_dual_add_nc_u32 v1, 8, v1 :: v_dual_add_nc_u32 v2, 8, v2
	s_wait_loadcnt_dscnt 0x0
	v_pk_mul_f32 v[24:25], v[22:23], v[20:21] op_sel:[1,1] op_sel_hi:[0,1]
	s_delay_alu instid0(VALU_DEP_1) | instskip(SKIP_2) | instid1(VALU_DEP_3)
	v_pk_fma_f32 v[26:27], v[22:23], v[20:21], v[24:25] op_sel_hi:[1,0,1]
	v_add_nc_u32_e32 v3, 1, v3
	v_pk_fma_f32 v[20:21], v[22:23], v[20:21], v[24:25] neg_lo:[0,0,1] neg_hi:[0,0,1]
	v_mov_b32_e32 v21, v27
	s_delay_alu instid0(VALU_DEP_3) | instskip(NEXT) | instid1(VALU_DEP_2)
	v_cmp_lt_u32_e32 vcc_lo, 4, v3
	v_pk_add_f32 v[18:19], v[18:19], v[20:21]
	s_or_b32 s1, vcc_lo, s1
	s_delay_alu instid0(SALU_CYCLE_1)
	s_and_not1_b32 exec_lo, exec_lo, s1
	s_cbranch_execnz .LBB70_37
; %bb.38:
	s_or_b32 exec_lo, exec_lo, s1
	v_mov_b32_e32 v1, 0
	ds_load_b64 v[2:3], v1 offset:48
	s_wait_dscnt 0x0
	v_pk_mul_f32 v[20:21], v[18:19], v[2:3] op_sel:[1,1] op_sel_hi:[0,1]
	s_delay_alu instid0(VALU_DEP_1) | instskip(SKIP_1) | instid1(VALU_DEP_2)
	v_pk_fma_f32 v[22:23], v[18:19], v[2:3], v[20:21] op_sel_hi:[1,0,1]
	v_pk_fma_f32 v[2:3], v[18:19], v[2:3], v[20:21] neg_lo:[0,0,1] neg_hi:[0,0,1]
	v_mov_b32_e32 v3, v23
	scratch_store_b64 off, v[2:3], off offset:48
.LBB70_39:
	s_wait_xcnt 0x0
	s_or_b32 exec_lo, exec_lo, s0
	s_mov_b32 s1, -1
	s_wait_storecnt 0x0
	s_barrier_signal -1
	s_barrier_wait -1
.LBB70_40:
	s_and_b32 vcc_lo, exec_lo, s1
	s_cbranch_vccz .LBB70_42
; %bb.41:
	v_mov_b32_e32 v1, 0
	s_lshl_b64 s[0:1], s[10:11], 2
	s_delay_alu instid0(SALU_CYCLE_1)
	s_add_nc_u64 s[0:1], s[6:7], s[0:1]
	global_load_b32 v1, v1, s[0:1]
	s_wait_loadcnt 0x0
	v_cmp_ne_u32_e32 vcc_lo, 0, v1
	s_cbranch_vccz .LBB70_43
.LBB70_42:
	s_endpgm
.LBB70_43:
	s_wait_xcnt 0x0
	v_lshl_add_u32 v1, v0, 3, 64
	s_mov_b32 s0, exec_lo
	v_cmpx_eq_u32_e32 6, v0
	s_cbranch_execz .LBB70_45
; %bb.44:
	scratch_load_b64 v[2:3], off, off offset:40
	v_mov_b64_e32 v[18:19], 0
	scratch_store_b64 off, v[18:19], off offset:40
	s_wait_loadcnt 0x0
	ds_store_b64 v1, v[2:3]
.LBB70_45:
	s_wait_xcnt 0x0
	s_or_b32 exec_lo, exec_lo, s0
	s_wait_storecnt_dscnt 0x0
	s_barrier_signal -1
	s_barrier_wait -1
	s_clause 0x1
	scratch_load_b64 v[18:19], off, off offset:48
	scratch_load_b64 v[20:21], off, off offset:40
	v_mov_b32_e32 v2, 0
	s_mov_b32 s0, exec_lo
	ds_load_b64 v[22:23], v2 offset:112
	s_wait_loadcnt_dscnt 0x100
	v_pk_mul_f32 v[24:25], v[22:23], v[18:19] op_sel:[1,1] op_sel_hi:[0,1]
	s_delay_alu instid0(VALU_DEP_1) | instskip(SKIP_1) | instid1(VALU_DEP_2)
	v_pk_fma_f32 v[26:27], v[22:23], v[18:19], v[24:25] op_sel_hi:[1,0,1]
	v_pk_fma_f32 v[18:19], v[22:23], v[18:19], v[24:25] neg_lo:[0,0,1] neg_hi:[0,0,1]
	v_mov_b32_e32 v19, v27
	s_delay_alu instid0(VALU_DEP_1) | instskip(SKIP_1) | instid1(VALU_DEP_1)
	v_pk_add_f32 v[18:19], v[18:19], 0 op_sel_hi:[1,0]
	s_wait_loadcnt 0x0
	v_pk_add_f32 v[18:19], v[20:21], v[18:19] neg_lo:[0,1] neg_hi:[0,1]
	scratch_store_b64 off, v[18:19], off offset:40
	s_wait_xcnt 0x0
	v_cmpx_lt_u32_e32 4, v0
	s_cbranch_execz .LBB70_47
; %bb.46:
	scratch_load_b64 v[18:19], off, off offset:32
	v_mov_b64_e32 v[20:21], 0
	scratch_store_b64 off, v[20:21], off offset:32
	s_wait_loadcnt 0x0
	ds_store_b64 v1, v[18:19]
.LBB70_47:
	s_wait_xcnt 0x0
	s_or_b32 exec_lo, exec_lo, s0
	s_wait_storecnt_dscnt 0x0
	s_barrier_signal -1
	s_barrier_wait -1
	s_clause 0x1
	scratch_load_b128 v[18:21], off, off offset:40
	scratch_load_b64 v[26:27], off, off offset:32
	ds_load_2addr_b64 v[22:25], v2 offset0:13 offset1:14
	s_mov_b32 s0, exec_lo
	s_wait_dscnt 0x0
	v_dual_mov_b32 v2, v25 :: v_dual_mov_b32 v3, v24
	s_wait_loadcnt 0x1
	v_pk_mul_f32 v[28:29], v[22:23], v[18:19] op_sel:[1,1] op_sel_hi:[0,1]
	s_delay_alu instid0(VALU_DEP_1) | instskip(SKIP_2) | instid1(VALU_DEP_3)
	v_pk_fma_f32 v[32:33], v[22:23], v[18:19], v[28:29] op_sel_hi:[1,0,1]
	v_mov_b32_e32 v30, v21
	v_pk_fma_f32 v[18:19], v[22:23], v[18:19], v[28:29] neg_lo:[0,0,1] neg_hi:[0,0,1]
	v_mov_b32_e32 v19, v33
	s_delay_alu instid0(VALU_DEP_3) | instskip(NEXT) | instid1(VALU_DEP_2)
	v_pk_mul_f32 v[2:3], v[2:3], v[30:31] op_sel_hi:[1,0]
	v_pk_add_f32 v[18:19], v[18:19], 0 op_sel_hi:[1,0]
	s_delay_alu instid0(VALU_DEP_2) | instskip(SKIP_1) | instid1(VALU_DEP_2)
	v_pk_fma_f32 v[22:23], v[24:25], v[20:21], v[2:3] op_sel_hi:[1,0,1]
	v_pk_fma_f32 v[2:3], v[24:25], v[20:21], v[2:3] neg_lo:[0,0,1] neg_hi:[0,0,1]
	v_mov_b32_e32 v3, v23
	s_delay_alu instid0(VALU_DEP_1) | instskip(SKIP_1) | instid1(VALU_DEP_1)
	v_pk_add_f32 v[2:3], v[18:19], v[2:3]
	s_wait_loadcnt 0x0
	v_pk_add_f32 v[2:3], v[26:27], v[2:3] neg_lo:[0,1] neg_hi:[0,1]
	scratch_store_b64 off, v[2:3], off offset:32
	s_wait_xcnt 0x0
	v_cmpx_lt_u32_e32 3, v0
	s_cbranch_execz .LBB70_49
; %bb.48:
	scratch_load_b64 v[2:3], off, off offset:24
	v_mov_b64_e32 v[18:19], 0
	scratch_store_b64 off, v[18:19], off offset:24
	s_wait_loadcnt 0x0
	ds_store_b64 v1, v[2:3]
.LBB70_49:
	s_wait_xcnt 0x0
	s_or_b32 exec_lo, exec_lo, s0
	s_wait_storecnt_dscnt 0x0
	s_barrier_signal -1
	s_barrier_wait -1
	s_clause 0x2
	scratch_load_b128 v[18:21], off, off offset:32
	scratch_load_b64 v[26:27], off, off offset:48
	scratch_load_b64 v[28:29], off, off offset:24
	v_mov_b32_e32 v2, 0
	ds_load_b128 v[22:25], v2 offset:96
	ds_load_b64 v[30:31], v2 offset:112
	s_mov_b32 s0, exec_lo
	s_wait_dscnt 0x1
	v_dual_mov_b32 v32, v25 :: v_dual_mov_b32 v33, v24
	s_wait_loadcnt 0x2
	v_mov_b32_e32 v36, v21
	v_pk_mul_f32 v[34:35], v[22:23], v[18:19] op_sel:[1,1] op_sel_hi:[0,1]
	s_delay_alu instid0(VALU_DEP_2) | instskip(NEXT) | instid1(VALU_DEP_2)
	v_pk_mul_f32 v[32:33], v[32:33], v[36:37] op_sel_hi:[1,0]
	v_pk_fma_f32 v[38:39], v[22:23], v[18:19], v[34:35] op_sel_hi:[1,0,1]
	v_pk_fma_f32 v[18:19], v[22:23], v[18:19], v[34:35] neg_lo:[0,0,1] neg_hi:[0,0,1]
	s_wait_loadcnt_dscnt 0x100
	v_pk_mul_f32 v[34:35], v[30:31], v[26:27] op_sel:[1,1] op_sel_hi:[0,1]
	v_pk_fma_f32 v[22:23], v[24:25], v[20:21], v[32:33] op_sel_hi:[1,0,1]
	v_mov_b32_e32 v19, v39
	v_pk_fma_f32 v[20:21], v[24:25], v[20:21], v[32:33] neg_lo:[0,0,1] neg_hi:[0,0,1]
	s_delay_alu instid0(VALU_DEP_4) | instskip(NEXT) | instid1(VALU_DEP_4)
	v_pk_fma_f32 v[24:25], v[30:31], v[26:27], v[34:35] neg_lo:[0,0,1] neg_hi:[0,0,1]
	v_mov_b32_e32 v21, v23
	s_delay_alu instid0(VALU_DEP_4) | instskip(SKIP_1) | instid1(VALU_DEP_2)
	v_pk_add_f32 v[18:19], v[18:19], 0 op_sel_hi:[1,0]
	v_pk_fma_f32 v[22:23], v[30:31], v[26:27], v[34:35] op_sel_hi:[1,0,1]
	v_pk_add_f32 v[18:19], v[18:19], v[20:21]
	s_delay_alu instid0(VALU_DEP_2) | instskip(NEXT) | instid1(VALU_DEP_1)
	v_mov_b32_e32 v25, v23
	v_pk_add_f32 v[18:19], v[18:19], v[24:25]
	s_wait_loadcnt 0x0
	s_delay_alu instid0(VALU_DEP_1)
	v_pk_add_f32 v[18:19], v[28:29], v[18:19] neg_lo:[0,1] neg_hi:[0,1]
	scratch_store_b64 off, v[18:19], off offset:24
	s_wait_xcnt 0x0
	v_cmpx_lt_u32_e32 2, v0
	s_cbranch_execz .LBB70_51
; %bb.50:
	scratch_load_b64 v[18:19], off, off offset:16
	v_mov_b64_e32 v[20:21], 0
	scratch_store_b64 off, v[20:21], off offset:16
	s_wait_loadcnt 0x0
	ds_store_b64 v1, v[18:19]
.LBB70_51:
	s_wait_xcnt 0x0
	s_or_b32 exec_lo, exec_lo, s0
	s_wait_storecnt_dscnt 0x0
	s_barrier_signal -1
	s_barrier_wait -1
	s_clause 0x2
	scratch_load_b128 v[18:21], off, off offset:24
	scratch_load_b128 v[22:25], off, off offset:40
	scratch_load_b64 v[34:35], off, off offset:16
	ds_load_2addr_b64 v[26:29], v2 offset0:11 offset1:12
	ds_load_2addr_b64 v[30:33], v2 offset0:13 offset1:14
	s_mov_b32 s0, exec_lo
	s_wait_dscnt 0x1
	v_dual_mov_b32 v2, v29 :: v_dual_mov_b32 v3, v28
	s_wait_loadcnt_dscnt 0x200
	v_dual_mov_b32 v40, v33 :: v_dual_mov_b32 v38, v21
	v_pk_mul_f32 v[36:37], v[26:27], v[18:19] op_sel:[1,1] op_sel_hi:[0,1]
	s_delay_alu instid0(VALU_DEP_2) | instskip(NEXT) | instid1(VALU_DEP_2)
	v_pk_mul_f32 v[2:3], v[2:3], v[38:39] op_sel_hi:[1,0]
	v_pk_fma_f32 v[42:43], v[26:27], v[18:19], v[36:37] op_sel_hi:[1,0,1]
	v_pk_fma_f32 v[18:19], v[26:27], v[18:19], v[36:37] neg_lo:[0,0,1] neg_hi:[0,0,1]
	v_mov_b32_e32 v41, v32
	s_wait_loadcnt 0x1
	v_pk_mul_f32 v[38:39], v[30:31], v[22:23] op_sel:[1,1] op_sel_hi:[0,1]
	v_pk_fma_f32 v[26:27], v[28:29], v[20:21], v[2:3] op_sel_hi:[1,0,1]
	v_dual_mov_b32 v19, v43 :: v_dual_mov_b32 v26, v25
	v_pk_fma_f32 v[2:3], v[28:29], v[20:21], v[2:3] neg_lo:[0,0,1] neg_hi:[0,0,1]
	s_delay_alu instid0(VALU_DEP_4) | instskip(NEXT) | instid1(VALU_DEP_4)
	v_pk_fma_f32 v[36:37], v[30:31], v[22:23], v[38:39] op_sel_hi:[1,0,1]
	v_mov_b32_e32 v3, v27
	s_delay_alu instid0(VALU_DEP_4) | instskip(SKIP_2) | instid1(VALU_DEP_3)
	v_pk_add_f32 v[18:19], v[18:19], 0 op_sel_hi:[1,0]
	v_pk_mul_f32 v[20:21], v[40:41], v[26:27] op_sel_hi:[1,0]
	v_pk_fma_f32 v[22:23], v[30:31], v[22:23], v[38:39] neg_lo:[0,0,1] neg_hi:[0,0,1]
	v_pk_add_f32 v[2:3], v[18:19], v[2:3]
	s_delay_alu instid0(VALU_DEP_3) | instskip(SKIP_2) | instid1(VALU_DEP_3)
	v_pk_fma_f32 v[18:19], v[32:33], v[24:25], v[20:21] op_sel_hi:[1,0,1]
	v_mov_b32_e32 v23, v37
	v_pk_fma_f32 v[20:21], v[32:33], v[24:25], v[20:21] neg_lo:[0,0,1] neg_hi:[0,0,1]
	v_mov_b32_e32 v21, v19
	s_delay_alu instid0(VALU_DEP_3) | instskip(NEXT) | instid1(VALU_DEP_1)
	v_pk_add_f32 v[2:3], v[2:3], v[22:23]
	v_pk_add_f32 v[2:3], v[2:3], v[20:21]
	s_wait_loadcnt 0x0
	s_delay_alu instid0(VALU_DEP_1)
	v_pk_add_f32 v[2:3], v[34:35], v[2:3] neg_lo:[0,1] neg_hi:[0,1]
	scratch_store_b64 off, v[2:3], off offset:16
	s_wait_xcnt 0x0
	v_cmpx_lt_u32_e32 1, v0
	s_cbranch_execz .LBB70_53
; %bb.52:
	scratch_load_b64 v[2:3], off, off offset:8
	v_mov_b64_e32 v[18:19], 0
	scratch_store_b64 off, v[18:19], off offset:8
	s_wait_loadcnt 0x0
	ds_store_b64 v1, v[2:3]
.LBB70_53:
	s_wait_xcnt 0x0
	s_or_b32 exec_lo, exec_lo, s0
	s_wait_storecnt_dscnt 0x0
	s_barrier_signal -1
	s_barrier_wait -1
	s_clause 0x3
	scratch_load_b128 v[20:23], off, off offset:16
	scratch_load_b128 v[24:27], off, off offset:32
	scratch_load_b64 v[2:3], off, off offset:48
	scratch_load_b64 v[36:37], off, off offset:8
	v_mov_b32_e32 v18, 0
	ds_load_b128 v[28:31], v18 offset:80
	ds_load_b128 v[32:35], v18 offset:96
	v_dual_ashrrev_i32 v9, 31, v8 :: v_dual_ashrrev_i32 v11, 31, v10
	v_dual_ashrrev_i32 v13, 31, v12 :: v_dual_ashrrev_i32 v15, 31, v14
	v_ashrrev_i32_e32 v17, 31, v16
	s_mov_b32 s0, exec_lo
	s_wait_dscnt 0x1
	v_dual_mov_b32 v38, v31 :: v_dual_mov_b32 v39, v30
	ds_load_b64 v[44:45], v18 offset:112
	s_wait_dscnt 0x1
	v_dual_mov_b32 v46, v35 :: v_dual_mov_b32 v47, v34
	s_wait_loadcnt 0x3
	v_pk_mul_f32 v[40:41], v[28:29], v[20:21] op_sel:[1,1] op_sel_hi:[0,1]
	v_mov_b32_e32 v42, v23
	s_delay_alu instid0(VALU_DEP_2) | instskip(NEXT) | instid1(VALU_DEP_2)
	v_pk_fma_f32 v[48:49], v[28:29], v[20:21], v[40:41] op_sel_hi:[1,0,1]
	v_pk_mul_f32 v[38:39], v[38:39], v[42:43] op_sel_hi:[1,0]
	v_pk_fma_f32 v[20:21], v[28:29], v[20:21], v[40:41] neg_lo:[0,0,1] neg_hi:[0,0,1]
	s_wait_loadcnt 0x2
	v_pk_mul_f32 v[42:43], v[32:33], v[24:25] op_sel:[1,1] op_sel_hi:[0,1]
	v_dual_mov_b32 v48, v27 :: v_dual_mov_b32 v21, v49
	v_pk_fma_f32 v[28:29], v[30:31], v[22:23], v[38:39] op_sel_hi:[1,0,1]
	v_pk_fma_f32 v[22:23], v[30:31], v[22:23], v[38:39] neg_lo:[0,0,1] neg_hi:[0,0,1]
	s_delay_alu instid0(VALU_DEP_4) | instskip(NEXT) | instid1(VALU_DEP_4)
	v_pk_fma_f32 v[40:41], v[32:33], v[24:25], v[42:43] op_sel_hi:[1,0,1]
	v_pk_mul_f32 v[46:47], v[46:47], v[48:49] op_sel_hi:[1,0]
	v_pk_add_f32 v[20:21], v[20:21], 0 op_sel_hi:[1,0]
	v_mov_b32_e32 v23, v29
	v_pk_fma_f32 v[24:25], v[32:33], v[24:25], v[42:43] neg_lo:[0,0,1] neg_hi:[0,0,1]
	v_mov_b32_e32 v25, v41
	v_pk_fma_f32 v[28:29], v[34:35], v[26:27], v[46:47] op_sel_hi:[1,0,1]
	v_pk_fma_f32 v[26:27], v[34:35], v[26:27], v[46:47] neg_lo:[0,0,1] neg_hi:[0,0,1]
	v_pk_add_f32 v[20:21], v[20:21], v[22:23]
	s_wait_loadcnt_dscnt 0x100
	v_pk_mul_f32 v[22:23], v[44:45], v[2:3] op_sel:[1,1] op_sel_hi:[0,1]
	s_delay_alu instid0(VALU_DEP_2) | instskip(NEXT) | instid1(VALU_DEP_2)
	v_pk_add_f32 v[20:21], v[20:21], v[24:25]
	v_pk_fma_f32 v[24:25], v[44:45], v[2:3], v[22:23] op_sel_hi:[1,0,1]
	v_mov_b32_e32 v27, v29
	v_pk_fma_f32 v[2:3], v[44:45], v[2:3], v[22:23] neg_lo:[0,0,1] neg_hi:[0,0,1]
	s_delay_alu instid0(VALU_DEP_3) | instskip(NEXT) | instid1(VALU_DEP_3)
	v_mov_b32_e32 v3, v25
	v_pk_add_f32 v[20:21], v[20:21], v[26:27]
	s_delay_alu instid0(VALU_DEP_1) | instskip(SKIP_1) | instid1(VALU_DEP_1)
	v_pk_add_f32 v[2:3], v[20:21], v[2:3]
	s_wait_loadcnt 0x0
	v_pk_add_f32 v[2:3], v[36:37], v[2:3] neg_lo:[0,1] neg_hi:[0,1]
	scratch_store_b64 off, v[2:3], off offset:8
	s_wait_xcnt 0x0
	v_cmpx_ne_u32_e32 0, v0
	s_cbranch_execz .LBB70_55
; %bb.54:
	scratch_load_b64 v[2:3], off, off
	v_mov_b64_e32 v[20:21], 0
	scratch_store_b64 off, v[20:21], off
	s_wait_loadcnt 0x0
	ds_store_b64 v1, v[2:3]
.LBB70_55:
	s_wait_xcnt 0x0
	s_or_b32 exec_lo, exec_lo, s0
	s_wait_storecnt_dscnt 0x0
	s_barrier_signal -1
	s_barrier_wait -1
	s_clause 0x3
	scratch_load_b128 v[20:23], off, off offset:8
	scratch_load_b128 v[24:27], off, off offset:24
	;; [unrolled: 1-line block ×3, first 2 shown]
	scratch_load_b64 v[40:41], off, off
	ds_load_2addr_b64 v[28:31], v18 offset0:9 offset1:10
	ds_load_2addr_b64 v[32:35], v18 offset0:11 offset1:12
	;; [unrolled: 1-line block ×3, first 2 shown]
	s_and_b32 vcc_lo, exec_lo, s12
	s_wait_dscnt 0x2
	v_dual_mov_b32 v18, v31 :: v_dual_mov_b32 v19, v30
	s_wait_dscnt 0x1
	v_dual_mov_b32 v42, v35 :: v_dual_mov_b32 v43, v34
	;; [unrolled: 2-line block ×3, first 2 shown]
	s_wait_loadcnt 0x3
	v_mov_b32_e32 v46, v23
	v_pk_mul_f32 v[44:45], v[28:29], v[20:21] op_sel:[1,1] op_sel_hi:[0,1]
	s_wait_loadcnt 0x2
	v_pk_mul_f32 v[50:51], v[32:33], v[24:25] op_sel:[1,1] op_sel_hi:[0,1]
	s_wait_loadcnt 0x1
	v_pk_mul_f32 v[54:55], v[36:37], v[0:1] op_sel:[1,1] op_sel_hi:[0,1]
	v_pk_mul_f32 v[18:19], v[18:19], v[46:47] op_sel_hi:[1,0]
	v_pk_fma_f32 v[52:53], v[28:29], v[20:21], v[44:45] op_sel_hi:[1,0,1]
	v_pk_fma_f32 v[20:21], v[28:29], v[20:21], v[44:45] neg_lo:[0,0,1] neg_hi:[0,0,1]
	v_mov_b32_e32 v46, v27
	v_pk_fma_f32 v[44:45], v[32:33], v[24:25], v[50:51] op_sel_hi:[1,0,1]
	v_pk_fma_f32 v[28:29], v[30:31], v[22:23], v[18:19] op_sel_hi:[1,0,1]
	v_mov_b32_e32 v21, v53
	v_pk_fma_f32 v[18:19], v[30:31], v[22:23], v[18:19] neg_lo:[0,0,1] neg_hi:[0,0,1]
	v_pk_mul_f32 v[42:43], v[42:43], v[46:47] op_sel_hi:[1,0]
	v_pk_fma_f32 v[24:25], v[32:33], v[24:25], v[50:51] neg_lo:[0,0,1] neg_hi:[0,0,1]
	v_mov_b32_e32 v19, v29
	v_pk_add_f32 v[20:21], v[20:21], 0 op_sel_hi:[1,0]
	v_dual_mov_b32 v22, v3 :: v_dual_mov_b32 v25, v45
	v_pk_fma_f32 v[28:29], v[34:35], v[26:27], v[42:43] op_sel_hi:[1,0,1]
	v_pk_fma_f32 v[26:27], v[34:35], v[26:27], v[42:43] neg_lo:[0,0,1] neg_hi:[0,0,1]
	s_delay_alu instid0(VALU_DEP_4) | instskip(SKIP_3) | instid1(VALU_DEP_4)
	v_pk_add_f32 v[18:19], v[20:21], v[18:19]
	v_pk_fma_f32 v[20:21], v[36:37], v[0:1], v[54:55] op_sel_hi:[1,0,1]
	v_pk_mul_f32 v[22:23], v[48:49], v[22:23] op_sel_hi:[1,0]
	v_mov_b32_e32 v27, v29
	v_pk_add_f32 v[18:19], v[18:19], v[24:25]
	v_pk_fma_f32 v[24:25], v[36:37], v[0:1], v[54:55] neg_lo:[0,0,1] neg_hi:[0,0,1]
	v_mov_b32_e32 v25, v21
	v_pk_fma_f32 v[20:21], v[38:39], v[2:3], v[22:23] op_sel_hi:[1,0,1]
	v_pk_fma_f32 v[2:3], v[38:39], v[2:3], v[22:23] neg_lo:[0,0,1] neg_hi:[0,0,1]
	v_pk_add_f32 v[18:19], v[18:19], v[26:27]
	s_delay_alu instid0(VALU_DEP_3) | instskip(NEXT) | instid1(VALU_DEP_2)
	v_mov_b32_e32 v3, v21
	v_pk_add_f32 v[18:19], v[18:19], v[24:25]
	s_delay_alu instid0(VALU_DEP_1) | instskip(SKIP_1) | instid1(VALU_DEP_1)
	v_pk_add_f32 v[2:3], v[18:19], v[2:3]
	s_wait_loadcnt 0x0
	v_pk_add_f32 v[2:3], v[40:41], v[2:3] neg_lo:[0,1] neg_hi:[0,1]
	scratch_store_b64 off, v[2:3], off
	s_cbranch_vccz .LBB70_68
; %bb.56:
	s_wait_xcnt 0x0
	v_mov_b32_e32 v2, 0
	global_load_b32 v3, v2, s[8:9] offset:20
	s_wait_loadcnt 0x0
	v_cmp_ne_u32_e32 vcc_lo, 6, v3
	s_cbranch_vccz .LBB70_58
; %bb.57:
	v_lshlrev_b32_e32 v3, 3, v3
	scratch_load_b64 v[18:19], v3, off offset:-8
	s_wait_loadcnt 0x0
	scratch_store_b64 off, v[18:19], off offset:40
	scratch_store_b64 v3, v[0:1], off offset:-8
.LBB70_58:
	global_load_b32 v0, v2, s[8:9] offset:16
	s_wait_loadcnt 0x0
	v_cmp_eq_u32_e32 vcc_lo, 5, v0
	s_cbranch_vccnz .LBB70_60
; %bb.59:
	v_lshlrev_b32_e32 v0, 3, v0
	s_delay_alu instid0(VALU_DEP_1)
	v_mov_b32_e32 v18, v0
	scratch_load_b64 v[0:1], v18, off offset:-8
	scratch_load_b64 v[2:3], off, off offset:32
	s_wait_loadcnt 0x1
	scratch_store_b64 off, v[0:1], off offset:32
	s_wait_loadcnt 0x0
	scratch_store_b64 v18, v[2:3], off offset:-8
.LBB70_60:
	s_wait_xcnt 0x1
	v_mov_b32_e32 v0, 0
	global_load_b32 v1, v0, s[8:9] offset:12
	s_wait_loadcnt 0x0
	v_cmp_eq_u32_e32 vcc_lo, 4, v1
	s_cbranch_vccnz .LBB70_62
; %bb.61:
	v_lshlrev_b32_e32 v1, 3, v1
	scratch_load_b64 v[2:3], v1, off offset:-8
	scratch_load_b64 v[18:19], off, off offset:24
	s_wait_loadcnt 0x1
	scratch_store_b64 off, v[2:3], off offset:24
	s_wait_loadcnt 0x0
	scratch_store_b64 v1, v[18:19], off offset:-8
.LBB70_62:
	global_load_b32 v0, v0, s[8:9] offset:8
	s_wait_loadcnt 0x0
	v_cmp_eq_u32_e32 vcc_lo, 3, v0
	s_cbranch_vccnz .LBB70_64
; %bb.63:
	s_wait_xcnt 0x0
	v_lshlrev_b32_e32 v0, 3, v0
	s_delay_alu instid0(VALU_DEP_1)
	v_mov_b32_e32 v18, v0
	scratch_load_b64 v[0:1], v18, off offset:-8
	scratch_load_b64 v[2:3], off, off offset:16
	s_wait_loadcnt 0x1
	scratch_store_b64 off, v[0:1], off offset:16
	s_wait_loadcnt 0x0
	scratch_store_b64 v18, v[2:3], off offset:-8
.LBB70_64:
	s_wait_xcnt 0x0
	v_mov_b32_e32 v0, 0
	global_load_b32 v1, v0, s[8:9] offset:4
	s_wait_loadcnt 0x0
	v_cmp_eq_u32_e32 vcc_lo, 2, v1
	s_cbranch_vccnz .LBB70_66
; %bb.65:
	v_lshlrev_b32_e32 v1, 3, v1
	scratch_load_b64 v[2:3], v1, off offset:-8
	scratch_load_b64 v[18:19], off, off offset:8
	s_wait_loadcnt 0x1
	scratch_store_b64 off, v[2:3], off offset:8
	s_wait_loadcnt 0x0
	scratch_store_b64 v1, v[18:19], off offset:-8
.LBB70_66:
	global_load_b32 v0, v0, s[8:9]
	scratch_load_b64 v[2:3], off, off
	s_wait_loadcnt 0x1
	v_cmp_eq_u32_e32 vcc_lo, 1, v0
	s_cbranch_vccnz .LBB70_68
; %bb.67:
	s_wait_xcnt 0x1
	v_lshlrev_b32_e32 v0, 3, v0
	s_delay_alu instid0(VALU_DEP_1)
	v_mov_b32_e32 v18, v0
	scratch_load_b64 v[0:1], v18, off offset:-8
	s_wait_loadcnt 0x0
	scratch_store_b64 off, v[0:1], off
	scratch_store_b64 v18, v[2:3], off offset:-8
	scratch_load_b64 v[2:3], off, off
.LBB70_68:
	s_wait_loadcnt 0x0
	flat_store_b64 v[4:5], v[2:3]
	scratch_load_b64 v[2:3], off, off offset:8
	v_lshl_add_u64 v[20:21], v[8:9], 3, s[2:3]
	v_lshl_add_u64 v[18:19], v[10:11], 3, s[2:3]
	;; [unrolled: 1-line block ×5, first 2 shown]
	s_wait_loadcnt 0x0
	flat_store_b64 v[6:7], v[2:3]
	scratch_load_b64 v[2:3], off, off offset:16
	s_wait_loadcnt 0x0
	flat_store_b64 v[20:21], v[2:3]
	scratch_load_b64 v[2:3], off, off offset:24
	;; [unrolled: 3-line block ×5, first 2 shown]
	s_wait_loadcnt 0x0
	flat_store_b64 v[0:1], v[2:3]
	s_endpgm
	.section	.rodata,"a",@progbits
	.p2align	6, 0x0
	.amdhsa_kernel _ZN9rocsolver6v33100L18getri_kernel_smallILi7E19rocblas_complex_numIfEPKPS3_EEvT1_iilPiilS8_bb
		.amdhsa_group_segment_fixed_size 120
		.amdhsa_private_segment_fixed_size 64
		.amdhsa_kernarg_size 60
		.amdhsa_user_sgpr_count 2
		.amdhsa_user_sgpr_dispatch_ptr 0
		.amdhsa_user_sgpr_queue_ptr 0
		.amdhsa_user_sgpr_kernarg_segment_ptr 1
		.amdhsa_user_sgpr_dispatch_id 0
		.amdhsa_user_sgpr_kernarg_preload_length 0
		.amdhsa_user_sgpr_kernarg_preload_offset 0
		.amdhsa_user_sgpr_private_segment_size 0
		.amdhsa_wavefront_size32 1
		.amdhsa_uses_dynamic_stack 0
		.amdhsa_enable_private_segment 1
		.amdhsa_system_sgpr_workgroup_id_x 1
		.amdhsa_system_sgpr_workgroup_id_y 0
		.amdhsa_system_sgpr_workgroup_id_z 0
		.amdhsa_system_sgpr_workgroup_info 0
		.amdhsa_system_vgpr_workitem_id 0
		.amdhsa_next_free_vgpr 56
		.amdhsa_next_free_sgpr 19
		.amdhsa_named_barrier_count 0
		.amdhsa_reserve_vcc 1
		.amdhsa_float_round_mode_32 0
		.amdhsa_float_round_mode_16_64 0
		.amdhsa_float_denorm_mode_32 3
		.amdhsa_float_denorm_mode_16_64 3
		.amdhsa_fp16_overflow 0
		.amdhsa_memory_ordered 1
		.amdhsa_forward_progress 1
		.amdhsa_inst_pref_size 45
		.amdhsa_round_robin_scheduling 0
		.amdhsa_exception_fp_ieee_invalid_op 0
		.amdhsa_exception_fp_denorm_src 0
		.amdhsa_exception_fp_ieee_div_zero 0
		.amdhsa_exception_fp_ieee_overflow 0
		.amdhsa_exception_fp_ieee_underflow 0
		.amdhsa_exception_fp_ieee_inexact 0
		.amdhsa_exception_int_div_zero 0
	.end_amdhsa_kernel
	.section	.text._ZN9rocsolver6v33100L18getri_kernel_smallILi7E19rocblas_complex_numIfEPKPS3_EEvT1_iilPiilS8_bb,"axG",@progbits,_ZN9rocsolver6v33100L18getri_kernel_smallILi7E19rocblas_complex_numIfEPKPS3_EEvT1_iilPiilS8_bb,comdat
.Lfunc_end70:
	.size	_ZN9rocsolver6v33100L18getri_kernel_smallILi7E19rocblas_complex_numIfEPKPS3_EEvT1_iilPiilS8_bb, .Lfunc_end70-_ZN9rocsolver6v33100L18getri_kernel_smallILi7E19rocblas_complex_numIfEPKPS3_EEvT1_iilPiilS8_bb
                                        ; -- End function
	.set _ZN9rocsolver6v33100L18getri_kernel_smallILi7E19rocblas_complex_numIfEPKPS3_EEvT1_iilPiilS8_bb.num_vgpr, 56
	.set _ZN9rocsolver6v33100L18getri_kernel_smallILi7E19rocblas_complex_numIfEPKPS3_EEvT1_iilPiilS8_bb.num_agpr, 0
	.set _ZN9rocsolver6v33100L18getri_kernel_smallILi7E19rocblas_complex_numIfEPKPS3_EEvT1_iilPiilS8_bb.numbered_sgpr, 19
	.set _ZN9rocsolver6v33100L18getri_kernel_smallILi7E19rocblas_complex_numIfEPKPS3_EEvT1_iilPiilS8_bb.num_named_barrier, 0
	.set _ZN9rocsolver6v33100L18getri_kernel_smallILi7E19rocblas_complex_numIfEPKPS3_EEvT1_iilPiilS8_bb.private_seg_size, 64
	.set _ZN9rocsolver6v33100L18getri_kernel_smallILi7E19rocblas_complex_numIfEPKPS3_EEvT1_iilPiilS8_bb.uses_vcc, 1
	.set _ZN9rocsolver6v33100L18getri_kernel_smallILi7E19rocblas_complex_numIfEPKPS3_EEvT1_iilPiilS8_bb.uses_flat_scratch, 1
	.set _ZN9rocsolver6v33100L18getri_kernel_smallILi7E19rocblas_complex_numIfEPKPS3_EEvT1_iilPiilS8_bb.has_dyn_sized_stack, 0
	.set _ZN9rocsolver6v33100L18getri_kernel_smallILi7E19rocblas_complex_numIfEPKPS3_EEvT1_iilPiilS8_bb.has_recursion, 0
	.set _ZN9rocsolver6v33100L18getri_kernel_smallILi7E19rocblas_complex_numIfEPKPS3_EEvT1_iilPiilS8_bb.has_indirect_call, 0
	.section	.AMDGPU.csdata,"",@progbits
; Kernel info:
; codeLenInByte = 5740
; TotalNumSgprs: 21
; NumVgprs: 56
; ScratchSize: 64
; MemoryBound: 0
; FloatMode: 240
; IeeeMode: 1
; LDSByteSize: 120 bytes/workgroup (compile time only)
; SGPRBlocks: 0
; VGPRBlocks: 3
; NumSGPRsForWavesPerEU: 21
; NumVGPRsForWavesPerEU: 56
; NamedBarCnt: 0
; Occupancy: 16
; WaveLimiterHint : 1
; COMPUTE_PGM_RSRC2:SCRATCH_EN: 1
; COMPUTE_PGM_RSRC2:USER_SGPR: 2
; COMPUTE_PGM_RSRC2:TRAP_HANDLER: 0
; COMPUTE_PGM_RSRC2:TGID_X_EN: 1
; COMPUTE_PGM_RSRC2:TGID_Y_EN: 0
; COMPUTE_PGM_RSRC2:TGID_Z_EN: 0
; COMPUTE_PGM_RSRC2:TIDIG_COMP_CNT: 0
	.section	.text._ZN9rocsolver6v33100L18getri_kernel_smallILi8E19rocblas_complex_numIfEPKPS3_EEvT1_iilPiilS8_bb,"axG",@progbits,_ZN9rocsolver6v33100L18getri_kernel_smallILi8E19rocblas_complex_numIfEPKPS3_EEvT1_iilPiilS8_bb,comdat
	.globl	_ZN9rocsolver6v33100L18getri_kernel_smallILi8E19rocblas_complex_numIfEPKPS3_EEvT1_iilPiilS8_bb ; -- Begin function _ZN9rocsolver6v33100L18getri_kernel_smallILi8E19rocblas_complex_numIfEPKPS3_EEvT1_iilPiilS8_bb
	.p2align	8
	.type	_ZN9rocsolver6v33100L18getri_kernel_smallILi8E19rocblas_complex_numIfEPKPS3_EEvT1_iilPiilS8_bb,@function
_ZN9rocsolver6v33100L18getri_kernel_smallILi8E19rocblas_complex_numIfEPKPS3_EEvT1_iilPiilS8_bb: ; @_ZN9rocsolver6v33100L18getri_kernel_smallILi8E19rocblas_complex_numIfEPKPS3_EEvT1_iilPiilS8_bb
; %bb.0:
	s_mov_b32 s2, exec_lo
	v_cmpx_gt_u32_e32 8, v0
	s_cbranch_execz .LBB71_46
; %bb.1:
	s_clause 0x1
	s_load_b32 s13, s[0:1], 0x38
	s_load_b64 s[2:3], s[0:1], 0x0
	s_getreg_b32 s6, hwreg(HW_REG_IB_STS2, 6, 4)
	s_wait_kmcnt 0x0
	s_bitcmp1_b32 s13, 8
	s_cselect_b32 s12, -1, 0
	s_bfe_u32 s4, ttmp6, 0x4000c
	s_and_b32 s5, ttmp6, 15
	s_add_co_i32 s4, s4, 1
	s_delay_alu instid0(SALU_CYCLE_1) | instskip(NEXT) | instid1(SALU_CYCLE_1)
	s_mul_i32 s4, ttmp9, s4
	s_add_co_i32 s5, s5, s4
	s_cmp_eq_u32 s6, 0
	s_cselect_b32 s10, ttmp9, s5
	s_load_b128 s[4:7], s[0:1], 0x28
	s_ashr_i32 s11, s10, 31
	s_delay_alu instid0(SALU_CYCLE_1) | instskip(NEXT) | instid1(SALU_CYCLE_1)
	s_lshl_b64 s[8:9], s[10:11], 3
	s_add_nc_u64 s[2:3], s[2:3], s[8:9]
	s_bfe_u32 s8, s13, 0x10008
	s_load_b64 s[2:3], s[2:3], 0x0
	s_cmp_eq_u32 s8, 0
                                        ; implicit-def: $sgpr8_sgpr9
	s_cbranch_scc1 .LBB71_3
; %bb.2:
	s_load_b96 s[16:18], s[0:1], 0x18
	s_wait_kmcnt 0x0
	s_mul_u64 s[4:5], s[4:5], s[10:11]
	s_delay_alu instid0(SALU_CYCLE_1) | instskip(SKIP_4) | instid1(SALU_CYCLE_1)
	s_lshl_b64 s[4:5], s[4:5], 2
	s_ashr_i32 s9, s18, 31
	s_mov_b32 s8, s18
	s_add_nc_u64 s[4:5], s[16:17], s[4:5]
	s_lshl_b64 s[8:9], s[8:9], 2
	s_add_nc_u64 s[8:9], s[4:5], s[8:9]
.LBB71_3:
	s_wait_kmcnt 0x0
	s_clause 0x1
	s_load_b64 s[4:5], s[0:1], 0x8
	s_load_b32 s13, s[0:1], 0x38
	v_dual_mov_b32 v19, 0 :: v_dual_lshlrev_b32 v18, 3, v0
	s_wait_kmcnt 0x0
	s_ashr_i32 s1, s4, 31
	s_mov_b32 s0, s4
	s_delay_alu instid0(SALU_CYCLE_1) | instskip(NEXT) | instid1(SALU_CYCLE_1)
	s_lshl_b64 s[0:1], s[0:1], 3
	s_add_nc_u64 s[2:3], s[2:3], s[0:1]
	s_ashr_i32 s1, s5, 31
	flat_load_b64 v[6:7], v0, s[2:3] scale_offset
	v_add_nc_u64_e32 v[2:3], s[2:3], v[18:19]
	s_mov_b32 s0, s5
	s_bitcmp0_b32 s13, 0
	s_delay_alu instid0(VALU_DEP_1)
	v_lshl_add_u64 v[4:5], s[0:1], 3, v[2:3]
	s_mov_b32 s1, -1
	s_wait_loadcnt_dscnt 0x0
	scratch_store_b64 off, v[6:7], off
	flat_load_b64 v[8:9], v[4:5]
	s_wait_xcnt 0x1
	v_add3_u32 v6, s5, s5, v0
	s_wait_loadcnt_dscnt 0x0
	scratch_store_b64 off, v[8:9], off offset:8
	flat_load_b64 v[10:11], v6, s[2:3] scale_offset
	s_wait_xcnt 0x1
	v_add_nc_u32_e32 v8, s5, v6
	s_wait_loadcnt_dscnt 0x0
	scratch_store_b64 off, v[10:11], off offset:16
	flat_load_b64 v[12:13], v8, s[2:3] scale_offset
	s_wait_xcnt 0x1
	v_add_nc_u32_e32 v10, s5, v8
	;; [unrolled: 5-line block ×5, first 2 shown]
	s_wait_loadcnt_dscnt 0x0
	scratch_store_b64 off, v[20:21], off offset:48
	flat_load_b64 v[20:21], v16, s[2:3] scale_offset
	s_wait_loadcnt_dscnt 0x0
	scratch_store_b64 off, v[20:21], off offset:56
	s_cbranch_scc1 .LBB71_44
; %bb.4:
	v_cmp_eq_u32_e64 s0, 0, v0
	s_wait_xcnt 0x0
	s_and_saveexec_b32 s1, s0
; %bb.5:
	v_mov_b32_e32 v1, 0
	ds_store_b32 v1, v1 offset:128
; %bb.6:
	s_or_b32 exec_lo, exec_lo, s1
	s_wait_storecnt_dscnt 0x0
	s_barrier_signal -1
	s_barrier_wait -1
	scratch_load_b64 v[20:21], v0, off scale_offset
	s_wait_loadcnt 0x0
	v_cmp_eq_f32_e32 vcc_lo, 0, v20
	v_cmp_eq_f32_e64 s1, 0, v21
	s_and_b32 s1, vcc_lo, s1
	s_delay_alu instid0(SALU_CYCLE_1)
	s_and_saveexec_b32 s4, s1
	s_cbranch_execz .LBB71_10
; %bb.7:
	v_mov_b32_e32 v1, 0
	s_mov_b32 s5, 0
	ds_load_b32 v7, v1 offset:128
	s_wait_dscnt 0x0
	v_readfirstlane_b32 s1, v7
	v_add_nc_u32_e32 v7, 1, v0
	s_cmp_eq_u32 s1, 0
	s_delay_alu instid0(VALU_DEP_1) | instskip(SKIP_1) | instid1(SALU_CYCLE_1)
	v_cmp_gt_i32_e32 vcc_lo, s1, v7
	s_cselect_b32 s13, -1, 0
	s_or_b32 s13, s13, vcc_lo
	s_delay_alu instid0(SALU_CYCLE_1)
	s_and_b32 exec_lo, exec_lo, s13
	s_cbranch_execz .LBB71_10
; %bb.8:
	v_mov_b32_e32 v9, s1
.LBB71_9:                               ; =>This Inner Loop Header: Depth=1
	ds_cmpstore_rtn_b32 v9, v1, v7, v9 offset:128
	s_wait_dscnt 0x0
	v_cmp_ne_u32_e32 vcc_lo, 0, v9
	v_cmp_le_i32_e64 s1, v9, v7
	s_and_b32 s1, vcc_lo, s1
	s_delay_alu instid0(SALU_CYCLE_1) | instskip(NEXT) | instid1(SALU_CYCLE_1)
	s_and_b32 s1, exec_lo, s1
	s_or_b32 s5, s1, s5
	s_delay_alu instid0(SALU_CYCLE_1)
	s_and_not1_b32 exec_lo, exec_lo, s5
	s_cbranch_execnz .LBB71_9
.LBB71_10:
	s_or_b32 exec_lo, exec_lo, s4
	v_mov_b32_e32 v1, 0
	s_barrier_signal -1
	s_barrier_wait -1
	ds_load_b32 v7, v1 offset:128
	s_and_saveexec_b32 s1, s0
	s_cbranch_execz .LBB71_12
; %bb.11:
	s_lshl_b64 s[4:5], s[10:11], 2
	s_delay_alu instid0(SALU_CYCLE_1)
	s_add_nc_u64 s[4:5], s[6:7], s[4:5]
	s_wait_dscnt 0x0
	global_store_b32 v1, v7, s[4:5]
.LBB71_12:
	s_wait_xcnt 0x0
	s_or_b32 exec_lo, exec_lo, s1
	s_wait_dscnt 0x0
	v_cmp_ne_u32_e32 vcc_lo, 0, v7
	s_mov_b32 s1, 0
	s_cbranch_vccnz .LBB71_44
; %bb.13:
	v_lshl_add_u32 v7, v0, 3, 0
                                        ; implicit-def: $vgpr23
                                        ; implicit-def: $vgpr24
	scratch_load_b64 v[20:21], v7, off
	s_wait_loadcnt 0x0
	v_cmp_ngt_f32_e64 s1, |v20|, |v21|
	s_wait_xcnt 0x0
	s_and_saveexec_b32 s4, s1
	s_delay_alu instid0(SALU_CYCLE_1)
	s_xor_b32 s1, exec_lo, s4
	s_cbranch_execz .LBB71_15
; %bb.14:
	v_div_scale_f32 v1, null, v21, v21, v20
	v_div_scale_f32 v13, vcc_lo, v20, v21, v20
	s_delay_alu instid0(VALU_DEP_2) | instskip(SKIP_1) | instid1(TRANS32_DEP_1)
	v_rcp_f32_e32 v9, v1
	v_nop
	v_fma_f32 v11, -v1, v9, 1.0
	s_delay_alu instid0(VALU_DEP_1) | instskip(NEXT) | instid1(VALU_DEP_1)
	v_fmac_f32_e32 v9, v11, v9
	v_mul_f32_e32 v11, v13, v9
	s_delay_alu instid0(VALU_DEP_1) | instskip(NEXT) | instid1(VALU_DEP_1)
	v_fma_f32 v15, -v1, v11, v13
	v_fmac_f32_e32 v11, v15, v9
	s_delay_alu instid0(VALU_DEP_1) | instskip(NEXT) | instid1(VALU_DEP_1)
	v_fma_f32 v1, -v1, v11, v13
	v_div_fmas_f32 v1, v1, v9, v11
	s_delay_alu instid0(VALU_DEP_1) | instskip(NEXT) | instid1(VALU_DEP_1)
	v_div_fixup_f32 v1, v1, v21, v20
	v_fmac_f32_e32 v21, v20, v1
	s_delay_alu instid0(VALU_DEP_1) | instskip(NEXT) | instid1(VALU_DEP_1)
	v_div_scale_f32 v9, null, v21, v21, -1.0
	v_rcp_f32_e32 v11, v9
	v_nop
	s_delay_alu instid0(TRANS32_DEP_1) | instskip(NEXT) | instid1(VALU_DEP_1)
	v_fma_f32 v13, -v9, v11, 1.0
	v_fmac_f32_e32 v11, v13, v11
	v_div_scale_f32 v13, vcc_lo, -1.0, v21, -1.0
	s_delay_alu instid0(VALU_DEP_1) | instskip(NEXT) | instid1(VALU_DEP_1)
	v_mul_f32_e32 v15, v13, v11
	v_fma_f32 v17, -v9, v15, v13
	s_delay_alu instid0(VALU_DEP_1) | instskip(NEXT) | instid1(VALU_DEP_1)
	v_fmac_f32_e32 v15, v17, v11
	v_fma_f32 v9, -v9, v15, v13
	s_delay_alu instid0(VALU_DEP_1) | instskip(NEXT) | instid1(VALU_DEP_1)
	v_div_fmas_f32 v9, v9, v11, v15
	v_div_fixup_f32 v23, v9, v21, -1.0
                                        ; implicit-def: $vgpr20_vgpr21
	s_delay_alu instid0(VALU_DEP_1) | instskip(NEXT) | instid1(VALU_DEP_1)
	v_mul_f32_e32 v24, v1, v23
	v_xor_b32_e32 v22, 0x80000000, v24
.LBB71_15:
	s_and_not1_saveexec_b32 s1, s1
	s_cbranch_execz .LBB71_17
; %bb.16:
	v_div_scale_f32 v1, null, v20, v20, v21
	v_div_scale_f32 v13, vcc_lo, v21, v20, v21
	s_delay_alu instid0(VALU_DEP_2) | instskip(SKIP_1) | instid1(TRANS32_DEP_1)
	v_rcp_f32_e32 v9, v1
	v_nop
	v_fma_f32 v11, -v1, v9, 1.0
	s_delay_alu instid0(VALU_DEP_1) | instskip(NEXT) | instid1(VALU_DEP_1)
	v_fmac_f32_e32 v9, v11, v9
	v_mul_f32_e32 v11, v13, v9
	s_delay_alu instid0(VALU_DEP_1) | instskip(NEXT) | instid1(VALU_DEP_1)
	v_fma_f32 v15, -v1, v11, v13
	v_fmac_f32_e32 v11, v15, v9
	s_delay_alu instid0(VALU_DEP_1) | instskip(NEXT) | instid1(VALU_DEP_1)
	v_fma_f32 v1, -v1, v11, v13
	v_div_fmas_f32 v1, v1, v9, v11
	s_delay_alu instid0(VALU_DEP_1) | instskip(NEXT) | instid1(VALU_DEP_1)
	v_div_fixup_f32 v1, v1, v20, v21
	v_fmac_f32_e32 v20, v21, v1
	s_delay_alu instid0(VALU_DEP_1) | instskip(SKIP_1) | instid1(VALU_DEP_2)
	v_div_scale_f32 v9, null, v20, v20, 1.0
	v_div_scale_f32 v15, vcc_lo, 1.0, v20, 1.0
	v_rcp_f32_e32 v11, v9
	v_nop
	s_delay_alu instid0(TRANS32_DEP_1) | instskip(NEXT) | instid1(VALU_DEP_1)
	v_fma_f32 v13, -v9, v11, 1.0
	v_fmac_f32_e32 v11, v13, v11
	s_delay_alu instid0(VALU_DEP_1) | instskip(NEXT) | instid1(VALU_DEP_1)
	v_mul_f32_e32 v13, v15, v11
	v_fma_f32 v17, -v9, v13, v15
	s_delay_alu instid0(VALU_DEP_1) | instskip(NEXT) | instid1(VALU_DEP_1)
	v_fmac_f32_e32 v13, v17, v11
	v_fma_f32 v9, -v9, v13, v15
	s_delay_alu instid0(VALU_DEP_1) | instskip(NEXT) | instid1(VALU_DEP_1)
	v_div_fmas_f32 v9, v9, v11, v13
	v_div_fixup_f32 v22, v9, v20, 1.0
	s_delay_alu instid0(VALU_DEP_1)
	v_xor_b32_e32 v24, 0x80000000, v22
	v_mul_f32_e64 v23, v1, -v22
.LBB71_17:
	s_or_b32 exec_lo, exec_lo, s1
	scratch_store_b64 v7, v[22:23], off
	scratch_load_b64 v[20:21], off, off offset:8
	v_xor_b32_e32 v25, 0x80000000, v23
	v_add_nc_u32_e32 v1, 64, v18
	s_wait_loadcnt 0x0
	ds_store_2addr_b64 v18, v[24:25], v[20:21] offset1:8
	s_wait_storecnt_dscnt 0x0
	s_barrier_signal -1
	s_barrier_wait -1
	s_wait_xcnt 0x0
	s_and_saveexec_b32 s1, s0
	s_cbranch_execz .LBB71_19
; %bb.18:
	scratch_load_b64 v[20:21], v7, off
	ds_load_b64 v[22:23], v1
	s_wait_loadcnt_dscnt 0x0
	v_pk_mul_f32 v[26:27], v[22:23], v[20:21] op_sel:[1,1] op_sel_hi:[0,1]
	s_delay_alu instid0(VALU_DEP_1) | instskip(SKIP_2) | instid1(VALU_DEP_3)
	v_pk_fma_f32 v[28:29], v[22:23], v[20:21], v[26:27] op_sel_hi:[1,0,1]
	v_mov_b32_e32 v9, 0
	v_pk_fma_f32 v[20:21], v[22:23], v[20:21], v[26:27] neg_lo:[0,0,1] neg_hi:[0,0,1]
	v_mov_b32_e32 v21, v29
	ds_load_b64 v[24:25], v9 offset:8
	v_pk_add_f32 v[20:21], v[20:21], 0 op_sel_hi:[1,0]
	s_wait_dscnt 0x0
	s_delay_alu instid0(VALU_DEP_1) | instskip(NEXT) | instid1(VALU_DEP_1)
	v_pk_mul_f32 v[22:23], v[20:21], v[24:25] op_sel:[1,1] op_sel_hi:[0,1]
	v_pk_fma_f32 v[26:27], v[20:21], v[24:25], v[22:23] op_sel_hi:[1,0,1]
	v_pk_fma_f32 v[20:21], v[20:21], v[24:25], v[22:23] neg_lo:[0,0,1] neg_hi:[0,0,1]
	s_delay_alu instid0(VALU_DEP_2)
	v_mov_b32_e32 v21, v27
	scratch_store_b64 off, v[20:21], off offset:8
.LBB71_19:
	s_wait_xcnt 0x0
	s_or_b32 exec_lo, exec_lo, s1
	s_wait_storecnt 0x0
	s_barrier_signal -1
	s_barrier_wait -1
	scratch_load_b64 v[20:21], off, off offset:16
	s_mov_b32 s1, exec_lo
	s_wait_loadcnt 0x0
	ds_store_b64 v1, v[20:21]
	s_wait_dscnt 0x0
	s_barrier_signal -1
	s_barrier_wait -1
	v_cmpx_gt_u32_e32 2, v0
	s_cbranch_execz .LBB71_23
; %bb.20:
	scratch_load_b64 v[20:21], v7, off
	ds_load_b64 v[22:23], v1
	s_wait_loadcnt_dscnt 0x0
	v_pk_mul_f32 v[24:25], v[22:23], v[20:21] op_sel:[1,1] op_sel_hi:[0,1]
	s_delay_alu instid0(VALU_DEP_1) | instskip(SKIP_1) | instid1(VALU_DEP_2)
	v_pk_fma_f32 v[26:27], v[22:23], v[20:21], v[24:25] op_sel_hi:[1,0,1]
	v_pk_fma_f32 v[20:21], v[22:23], v[20:21], v[24:25] neg_lo:[0,0,1] neg_hi:[0,0,1]
	v_mov_b32_e32 v21, v27
	s_delay_alu instid0(VALU_DEP_1)
	v_pk_add_f32 v[20:21], v[20:21], 0 op_sel_hi:[1,0]
	s_and_saveexec_b32 s4, s0
	s_cbranch_execz .LBB71_22
; %bb.21:
	scratch_load_b64 v[22:23], off, off offset:8
	v_mov_b32_e32 v7, 0
	ds_load_b64 v[24:25], v7 offset:72
	s_wait_loadcnt_dscnt 0x0
	v_pk_mul_f32 v[26:27], v[24:25], v[22:23] op_sel:[1,1] op_sel_hi:[0,1]
	s_delay_alu instid0(VALU_DEP_1) | instskip(SKIP_1) | instid1(VALU_DEP_2)
	v_pk_fma_f32 v[28:29], v[24:25], v[22:23], v[26:27] op_sel_hi:[1,0,1]
	v_pk_fma_f32 v[22:23], v[24:25], v[22:23], v[26:27] neg_lo:[0,0,1] neg_hi:[0,0,1]
	v_mov_b32_e32 v23, v29
	s_delay_alu instid0(VALU_DEP_1)
	v_pk_add_f32 v[20:21], v[20:21], v[22:23]
.LBB71_22:
	s_or_b32 exec_lo, exec_lo, s4
	v_mov_b32_e32 v7, 0
	ds_load_b64 v[22:23], v7 offset:16
	s_wait_dscnt 0x0
	v_pk_mul_f32 v[24:25], v[20:21], v[22:23] op_sel:[1,1] op_sel_hi:[0,1]
	s_delay_alu instid0(VALU_DEP_1) | instskip(SKIP_1) | instid1(VALU_DEP_2)
	v_pk_fma_f32 v[26:27], v[20:21], v[22:23], v[24:25] op_sel_hi:[1,0,1]
	v_pk_fma_f32 v[20:21], v[20:21], v[22:23], v[24:25] neg_lo:[0,0,1] neg_hi:[0,0,1]
	v_mov_b32_e32 v21, v27
	scratch_store_b64 off, v[20:21], off offset:16
.LBB71_23:
	s_wait_xcnt 0x0
	s_or_b32 exec_lo, exec_lo, s1
	s_wait_storecnt 0x0
	s_barrier_signal -1
	s_barrier_wait -1
	scratch_load_b64 v[20:21], off, off offset:24
	v_add_nc_u32_e32 v7, -1, v0
	s_mov_b32 s0, exec_lo
	s_wait_loadcnt 0x0
	ds_store_b64 v1, v[20:21]
	s_wait_dscnt 0x0
	s_barrier_signal -1
	s_barrier_wait -1
	v_cmpx_gt_u32_e32 3, v0
	s_cbranch_execz .LBB71_27
; %bb.24:
	v_dual_mov_b32 v20, 0 :: v_dual_add_nc_u32 v9, -1, v0
	v_dual_add_nc_u32 v11, 64, v18 :: v_dual_mov_b32 v13, v18
	s_mov_b32 s1, 0
	s_delay_alu instid0(VALU_DEP_2)
	v_mov_b32_e32 v21, v20
.LBB71_25:                              ; =>This Inner Loop Header: Depth=1
	scratch_load_b64 v[22:23], v13, off
	ds_load_b64 v[24:25], v11
	s_wait_xcnt 0x0
	v_dual_add_nc_u32 v11, 8, v11 :: v_dual_add_nc_u32 v13, 8, v13
	s_wait_loadcnt_dscnt 0x0
	v_pk_mul_f32 v[26:27], v[24:25], v[22:23] op_sel:[1,1] op_sel_hi:[0,1]
	s_delay_alu instid0(VALU_DEP_1) | instskip(SKIP_2) | instid1(VALU_DEP_3)
	v_pk_fma_f32 v[28:29], v[24:25], v[22:23], v[26:27] op_sel_hi:[1,0,1]
	v_add_nc_u32_e32 v9, 1, v9
	v_pk_fma_f32 v[22:23], v[24:25], v[22:23], v[26:27] neg_lo:[0,0,1] neg_hi:[0,0,1]
	v_mov_b32_e32 v23, v29
	s_delay_alu instid0(VALU_DEP_3) | instskip(NEXT) | instid1(VALU_DEP_2)
	v_cmp_lt_u32_e32 vcc_lo, 1, v9
	v_pk_add_f32 v[20:21], v[20:21], v[22:23]
	s_or_b32 s1, vcc_lo, s1
	s_delay_alu instid0(SALU_CYCLE_1)
	s_and_not1_b32 exec_lo, exec_lo, s1
	s_cbranch_execnz .LBB71_25
; %bb.26:
	s_or_b32 exec_lo, exec_lo, s1
	v_mov_b32_e32 v9, 0
	ds_load_b64 v[22:23], v9 offset:24
	s_wait_dscnt 0x0
	v_pk_mul_f32 v[24:25], v[20:21], v[22:23] op_sel:[1,1] op_sel_hi:[0,1]
	s_delay_alu instid0(VALU_DEP_1) | instskip(SKIP_1) | instid1(VALU_DEP_2)
	v_pk_fma_f32 v[26:27], v[20:21], v[22:23], v[24:25] op_sel_hi:[1,0,1]
	v_pk_fma_f32 v[20:21], v[20:21], v[22:23], v[24:25] neg_lo:[0,0,1] neg_hi:[0,0,1]
	v_mov_b32_e32 v21, v27
	scratch_store_b64 off, v[20:21], off offset:24
.LBB71_27:
	s_wait_xcnt 0x0
	s_or_b32 exec_lo, exec_lo, s0
	s_wait_storecnt 0x0
	s_barrier_signal -1
	s_barrier_wait -1
	scratch_load_b64 v[20:21], off, off offset:32
	s_mov_b32 s0, exec_lo
	s_wait_loadcnt 0x0
	ds_store_b64 v1, v[20:21]
	s_wait_dscnt 0x0
	s_barrier_signal -1
	s_barrier_wait -1
	v_cmpx_gt_u32_e32 4, v0
	s_cbranch_execz .LBB71_31
; %bb.28:
	v_dual_mov_b32 v20, 0 :: v_dual_add_nc_u32 v9, -1, v0
	v_dual_add_nc_u32 v11, 64, v18 :: v_dual_mov_b32 v13, v18
	s_mov_b32 s1, 0
	s_delay_alu instid0(VALU_DEP_2)
	v_mov_b32_e32 v21, v20
.LBB71_29:                              ; =>This Inner Loop Header: Depth=1
	scratch_load_b64 v[22:23], v13, off
	ds_load_b64 v[24:25], v11
	s_wait_xcnt 0x0
	v_dual_add_nc_u32 v11, 8, v11 :: v_dual_add_nc_u32 v13, 8, v13
	s_wait_loadcnt_dscnt 0x0
	v_pk_mul_f32 v[26:27], v[24:25], v[22:23] op_sel:[1,1] op_sel_hi:[0,1]
	s_delay_alu instid0(VALU_DEP_1) | instskip(SKIP_2) | instid1(VALU_DEP_3)
	v_pk_fma_f32 v[28:29], v[24:25], v[22:23], v[26:27] op_sel_hi:[1,0,1]
	v_add_nc_u32_e32 v9, 1, v9
	v_pk_fma_f32 v[22:23], v[24:25], v[22:23], v[26:27] neg_lo:[0,0,1] neg_hi:[0,0,1]
	v_mov_b32_e32 v23, v29
	s_delay_alu instid0(VALU_DEP_3) | instskip(NEXT) | instid1(VALU_DEP_2)
	v_cmp_lt_u32_e32 vcc_lo, 2, v9
	v_pk_add_f32 v[20:21], v[20:21], v[22:23]
	s_or_b32 s1, vcc_lo, s1
	s_delay_alu instid0(SALU_CYCLE_1)
	s_and_not1_b32 exec_lo, exec_lo, s1
	s_cbranch_execnz .LBB71_29
; %bb.30:
	s_or_b32 exec_lo, exec_lo, s1
	v_mov_b32_e32 v9, 0
	ds_load_b64 v[22:23], v9 offset:32
	s_wait_dscnt 0x0
	v_pk_mul_f32 v[24:25], v[20:21], v[22:23] op_sel:[1,1] op_sel_hi:[0,1]
	s_delay_alu instid0(VALU_DEP_1) | instskip(SKIP_1) | instid1(VALU_DEP_2)
	v_pk_fma_f32 v[26:27], v[20:21], v[22:23], v[24:25] op_sel_hi:[1,0,1]
	v_pk_fma_f32 v[20:21], v[20:21], v[22:23], v[24:25] neg_lo:[0,0,1] neg_hi:[0,0,1]
	v_mov_b32_e32 v21, v27
	scratch_store_b64 off, v[20:21], off offset:32
.LBB71_31:
	s_wait_xcnt 0x0
	s_or_b32 exec_lo, exec_lo, s0
	s_wait_storecnt 0x0
	s_barrier_signal -1
	s_barrier_wait -1
	scratch_load_b64 v[20:21], off, off offset:40
	;; [unrolled: 51-line block ×4, first 2 shown]
	s_mov_b32 s0, exec_lo
	s_wait_loadcnt 0x0
	ds_store_b64 v1, v[20:21]
	s_wait_dscnt 0x0
	s_barrier_signal -1
	s_barrier_wait -1
	v_cmpx_ne_u32_e32 7, v0
	s_cbranch_execz .LBB71_43
; %bb.40:
	v_dual_mov_b32 v20, 0 :: v_dual_mov_b32 v9, v18
	s_mov_b32 s1, 0
	s_delay_alu instid0(VALU_DEP_1)
	v_mov_b32_e32 v21, v20
.LBB71_41:                              ; =>This Inner Loop Header: Depth=1
	scratch_load_b64 v[18:19], v9, off
	ds_load_b64 v[22:23], v1
	v_add_nc_u32_e32 v1, 8, v1
	s_wait_xcnt 0x0
	v_add_nc_u32_e32 v9, 8, v9
	s_wait_loadcnt_dscnt 0x0
	v_pk_mul_f32 v[24:25], v[22:23], v[18:19] op_sel:[1,1] op_sel_hi:[0,1]
	s_delay_alu instid0(VALU_DEP_1) | instskip(SKIP_2) | instid1(VALU_DEP_3)
	v_pk_fma_f32 v[26:27], v[22:23], v[18:19], v[24:25] op_sel_hi:[1,0,1]
	v_add_nc_u32_e32 v7, 1, v7
	v_pk_fma_f32 v[18:19], v[22:23], v[18:19], v[24:25] neg_lo:[0,0,1] neg_hi:[0,0,1]
	v_mov_b32_e32 v19, v27
	s_delay_alu instid0(VALU_DEP_3) | instskip(NEXT) | instid1(VALU_DEP_2)
	v_cmp_lt_u32_e32 vcc_lo, 5, v7
	v_pk_add_f32 v[20:21], v[20:21], v[18:19]
	s_or_b32 s1, vcc_lo, s1
	s_delay_alu instid0(SALU_CYCLE_1)
	s_and_not1_b32 exec_lo, exec_lo, s1
	s_cbranch_execnz .LBB71_41
; %bb.42:
	s_or_b32 exec_lo, exec_lo, s1
	v_mov_b32_e32 v1, 0
	ds_load_b64 v[18:19], v1 offset:56
	s_wait_dscnt 0x0
	v_pk_mul_f32 v[22:23], v[20:21], v[18:19] op_sel:[1,1] op_sel_hi:[0,1]
	s_delay_alu instid0(VALU_DEP_1) | instskip(SKIP_1) | instid1(VALU_DEP_2)
	v_pk_fma_f32 v[24:25], v[20:21], v[18:19], v[22:23] op_sel_hi:[1,0,1]
	v_pk_fma_f32 v[18:19], v[20:21], v[18:19], v[22:23] neg_lo:[0,0,1] neg_hi:[0,0,1]
	v_mov_b32_e32 v19, v25
	scratch_store_b64 off, v[18:19], off offset:56
.LBB71_43:
	s_wait_xcnt 0x0
	s_or_b32 exec_lo, exec_lo, s0
	s_mov_b32 s1, -1
	s_wait_storecnt 0x0
	s_barrier_signal -1
	s_barrier_wait -1
.LBB71_44:
	s_and_b32 vcc_lo, exec_lo, s1
	s_cbranch_vccz .LBB71_46
; %bb.45:
	v_mov_b32_e32 v1, 0
	s_lshl_b64 s[0:1], s[10:11], 2
	s_delay_alu instid0(SALU_CYCLE_1)
	s_add_nc_u64 s[0:1], s[6:7], s[0:1]
	global_load_b32 v1, v1, s[0:1]
	s_wait_loadcnt 0x0
	v_cmp_ne_u32_e32 vcc_lo, 0, v1
	s_cbranch_vccz .LBB71_47
.LBB71_46:
	s_endpgm
.LBB71_47:
	s_wait_xcnt 0x0
	v_lshl_add_u32 v1, v0, 3, 64
	s_mov_b32 s0, exec_lo
	v_cmpx_eq_u32_e32 7, v0
	s_cbranch_execz .LBB71_49
; %bb.48:
	scratch_load_b64 v[18:19], off, off offset:48
	v_mov_b64_e32 v[20:21], 0
	scratch_store_b64 off, v[20:21], off offset:48
	s_wait_loadcnt 0x0
	ds_store_b64 v1, v[18:19]
.LBB71_49:
	s_wait_xcnt 0x0
	s_or_b32 exec_lo, exec_lo, s0
	s_wait_storecnt_dscnt 0x0
	s_barrier_signal -1
	s_barrier_wait -1
	s_clause 0x1
	scratch_load_b64 v[18:19], off, off offset:56
	scratch_load_b64 v[20:21], off, off offset:48
	v_mov_b32_e32 v7, 0
	s_mov_b32 s0, exec_lo
	ds_load_b64 v[22:23], v7 offset:120
	s_wait_loadcnt_dscnt 0x100
	v_pk_mul_f32 v[24:25], v[22:23], v[18:19] op_sel:[1,1] op_sel_hi:[0,1]
	s_delay_alu instid0(VALU_DEP_1) | instskip(SKIP_1) | instid1(VALU_DEP_2)
	v_pk_fma_f32 v[26:27], v[22:23], v[18:19], v[24:25] op_sel_hi:[1,0,1]
	v_pk_fma_f32 v[18:19], v[22:23], v[18:19], v[24:25] neg_lo:[0,0,1] neg_hi:[0,0,1]
	v_mov_b32_e32 v19, v27
	s_delay_alu instid0(VALU_DEP_1) | instskip(SKIP_1) | instid1(VALU_DEP_1)
	v_pk_add_f32 v[18:19], v[18:19], 0 op_sel_hi:[1,0]
	s_wait_loadcnt 0x0
	v_pk_add_f32 v[18:19], v[20:21], v[18:19] neg_lo:[0,1] neg_hi:[0,1]
	scratch_store_b64 off, v[18:19], off offset:48
	s_wait_xcnt 0x0
	v_cmpx_lt_u32_e32 5, v0
	s_cbranch_execz .LBB71_51
; %bb.50:
	scratch_load_b64 v[18:19], off, off offset:40
	v_mov_b64_e32 v[20:21], 0
	scratch_store_b64 off, v[20:21], off offset:40
	s_wait_loadcnt 0x0
	ds_store_b64 v1, v[18:19]
.LBB71_51:
	s_wait_xcnt 0x0
	s_or_b32 exec_lo, exec_lo, s0
	s_wait_storecnt_dscnt 0x0
	s_barrier_signal -1
	s_barrier_wait -1
	s_clause 0x1
	scratch_load_b128 v[18:21], off, off offset:48
	scratch_load_b64 v[26:27], off, off offset:40
	ds_load_b128 v[22:25], v7 offset:112
	s_mov_b32 s0, exec_lo
	s_wait_dscnt 0x0
	v_dual_mov_b32 v28, v25 :: v_dual_mov_b32 v29, v24
	s_wait_loadcnt 0x1
	v_pk_mul_f32 v[30:31], v[22:23], v[18:19] op_sel:[1,1] op_sel_hi:[0,1]
	s_delay_alu instid0(VALU_DEP_1) | instskip(SKIP_2) | instid1(VALU_DEP_3)
	v_pk_fma_f32 v[34:35], v[22:23], v[18:19], v[30:31] op_sel_hi:[1,0,1]
	v_mov_b32_e32 v32, v21
	v_pk_fma_f32 v[18:19], v[22:23], v[18:19], v[30:31] neg_lo:[0,0,1] neg_hi:[0,0,1]
	v_mov_b32_e32 v19, v35
	s_delay_alu instid0(VALU_DEP_3) | instskip(NEXT) | instid1(VALU_DEP_2)
	v_pk_mul_f32 v[28:29], v[28:29], v[32:33] op_sel_hi:[1,0]
	v_pk_add_f32 v[18:19], v[18:19], 0 op_sel_hi:[1,0]
	s_delay_alu instid0(VALU_DEP_2) | instskip(SKIP_1) | instid1(VALU_DEP_2)
	v_pk_fma_f32 v[22:23], v[24:25], v[20:21], v[28:29] op_sel_hi:[1,0,1]
	v_pk_fma_f32 v[20:21], v[24:25], v[20:21], v[28:29] neg_lo:[0,0,1] neg_hi:[0,0,1]
	v_mov_b32_e32 v21, v23
	s_delay_alu instid0(VALU_DEP_1) | instskip(SKIP_1) | instid1(VALU_DEP_1)
	v_pk_add_f32 v[18:19], v[18:19], v[20:21]
	s_wait_loadcnt 0x0
	v_pk_add_f32 v[18:19], v[26:27], v[18:19] neg_lo:[0,1] neg_hi:[0,1]
	scratch_store_b64 off, v[18:19], off offset:40
	s_wait_xcnt 0x0
	v_cmpx_lt_u32_e32 4, v0
	s_cbranch_execz .LBB71_53
; %bb.52:
	scratch_load_b64 v[18:19], off, off offset:32
	v_mov_b64_e32 v[20:21], 0
	scratch_store_b64 off, v[20:21], off offset:32
	s_wait_loadcnt 0x0
	ds_store_b64 v1, v[18:19]
.LBB71_53:
	s_wait_xcnt 0x0
	s_or_b32 exec_lo, exec_lo, s0
	s_wait_storecnt_dscnt 0x0
	s_barrier_signal -1
	s_barrier_wait -1
	s_clause 0x2
	scratch_load_b128 v[18:21], off, off offset:40
	scratch_load_b64 v[26:27], off, off offset:56
	scratch_load_b64 v[28:29], off, off offset:32
	v_mov_b32_e32 v7, 0
	ds_load_2addr_b64 v[22:25], v7 offset0:13 offset1:14
	ds_load_b64 v[30:31], v7 offset:120
	s_mov_b32 s0, exec_lo
	s_wait_dscnt 0x1
	v_dual_mov_b32 v32, v25 :: v_dual_mov_b32 v33, v24
	s_wait_loadcnt 0x2
	v_mov_b32_e32 v36, v21
	v_pk_mul_f32 v[34:35], v[22:23], v[18:19] op_sel:[1,1] op_sel_hi:[0,1]
	s_delay_alu instid0(VALU_DEP_2) | instskip(NEXT) | instid1(VALU_DEP_2)
	v_pk_mul_f32 v[32:33], v[32:33], v[36:37] op_sel_hi:[1,0]
	v_pk_fma_f32 v[38:39], v[22:23], v[18:19], v[34:35] op_sel_hi:[1,0,1]
	v_pk_fma_f32 v[18:19], v[22:23], v[18:19], v[34:35] neg_lo:[0,0,1] neg_hi:[0,0,1]
	s_wait_loadcnt_dscnt 0x100
	v_pk_mul_f32 v[34:35], v[30:31], v[26:27] op_sel:[1,1] op_sel_hi:[0,1]
	v_pk_fma_f32 v[22:23], v[24:25], v[20:21], v[32:33] op_sel_hi:[1,0,1]
	v_mov_b32_e32 v19, v39
	v_pk_fma_f32 v[20:21], v[24:25], v[20:21], v[32:33] neg_lo:[0,0,1] neg_hi:[0,0,1]
	s_delay_alu instid0(VALU_DEP_4) | instskip(NEXT) | instid1(VALU_DEP_4)
	v_pk_fma_f32 v[24:25], v[30:31], v[26:27], v[34:35] neg_lo:[0,0,1] neg_hi:[0,0,1]
	v_mov_b32_e32 v21, v23
	s_delay_alu instid0(VALU_DEP_4) | instskip(SKIP_1) | instid1(VALU_DEP_2)
	v_pk_add_f32 v[18:19], v[18:19], 0 op_sel_hi:[1,0]
	v_pk_fma_f32 v[22:23], v[30:31], v[26:27], v[34:35] op_sel_hi:[1,0,1]
	v_pk_add_f32 v[18:19], v[18:19], v[20:21]
	s_delay_alu instid0(VALU_DEP_2) | instskip(NEXT) | instid1(VALU_DEP_1)
	v_mov_b32_e32 v25, v23
	v_pk_add_f32 v[18:19], v[18:19], v[24:25]
	s_wait_loadcnt 0x0
	s_delay_alu instid0(VALU_DEP_1)
	v_pk_add_f32 v[18:19], v[28:29], v[18:19] neg_lo:[0,1] neg_hi:[0,1]
	scratch_store_b64 off, v[18:19], off offset:32
	s_wait_xcnt 0x0
	v_cmpx_lt_u32_e32 3, v0
	s_cbranch_execz .LBB71_55
; %bb.54:
	scratch_load_b64 v[18:19], off, off offset:24
	v_mov_b64_e32 v[20:21], 0
	scratch_store_b64 off, v[20:21], off offset:24
	s_wait_loadcnt 0x0
	ds_store_b64 v1, v[18:19]
.LBB71_55:
	s_wait_xcnt 0x0
	s_or_b32 exec_lo, exec_lo, s0
	s_wait_storecnt_dscnt 0x0
	s_barrier_signal -1
	s_barrier_wait -1
	s_clause 0x2
	scratch_load_b128 v[18:21], off, off offset:32
	scratch_load_b128 v[22:25], off, off offset:48
	scratch_load_b64 v[34:35], off, off offset:24
	ds_load_b128 v[26:29], v7 offset:96
	ds_load_b128 v[30:33], v7 offset:112
	s_mov_b32 s0, exec_lo
	s_wait_dscnt 0x1
	v_dual_mov_b32 v36, v29 :: v_dual_mov_b32 v37, v28
	s_wait_loadcnt_dscnt 0x200
	v_dual_mov_b32 v42, v33 :: v_dual_mov_b32 v40, v21
	v_pk_mul_f32 v[38:39], v[26:27], v[18:19] op_sel:[1,1] op_sel_hi:[0,1]
	s_delay_alu instid0(VALU_DEP_2) | instskip(NEXT) | instid1(VALU_DEP_2)
	v_pk_mul_f32 v[36:37], v[36:37], v[40:41] op_sel_hi:[1,0]
	v_pk_fma_f32 v[44:45], v[26:27], v[18:19], v[38:39] op_sel_hi:[1,0,1]
	v_pk_fma_f32 v[18:19], v[26:27], v[18:19], v[38:39] neg_lo:[0,0,1] neg_hi:[0,0,1]
	v_mov_b32_e32 v43, v32
	s_wait_loadcnt 0x1
	v_pk_mul_f32 v[40:41], v[30:31], v[22:23] op_sel:[1,1] op_sel_hi:[0,1]
	v_pk_fma_f32 v[26:27], v[28:29], v[20:21], v[36:37] op_sel_hi:[1,0,1]
	v_dual_mov_b32 v19, v45 :: v_dual_mov_b32 v26, v25
	v_pk_fma_f32 v[20:21], v[28:29], v[20:21], v[36:37] neg_lo:[0,0,1] neg_hi:[0,0,1]
	s_delay_alu instid0(VALU_DEP_4) | instskip(NEXT) | instid1(VALU_DEP_4)
	v_pk_fma_f32 v[38:39], v[30:31], v[22:23], v[40:41] op_sel_hi:[1,0,1]
	v_mov_b32_e32 v21, v27
	s_delay_alu instid0(VALU_DEP_4) | instskip(SKIP_2) | instid1(VALU_DEP_3)
	v_pk_add_f32 v[18:19], v[18:19], 0 op_sel_hi:[1,0]
	v_pk_mul_f32 v[26:27], v[42:43], v[26:27] op_sel_hi:[1,0]
	v_pk_fma_f32 v[22:23], v[30:31], v[22:23], v[40:41] neg_lo:[0,0,1] neg_hi:[0,0,1]
	v_pk_add_f32 v[18:19], v[18:19], v[20:21]
	s_delay_alu instid0(VALU_DEP_3) | instskip(SKIP_2) | instid1(VALU_DEP_3)
	v_pk_fma_f32 v[20:21], v[32:33], v[24:25], v[26:27] op_sel_hi:[1,0,1]
	v_mov_b32_e32 v23, v39
	v_pk_fma_f32 v[24:25], v[32:33], v[24:25], v[26:27] neg_lo:[0,0,1] neg_hi:[0,0,1]
	v_mov_b32_e32 v25, v21
	s_delay_alu instid0(VALU_DEP_3) | instskip(NEXT) | instid1(VALU_DEP_1)
	v_pk_add_f32 v[18:19], v[18:19], v[22:23]
	v_pk_add_f32 v[18:19], v[18:19], v[24:25]
	s_wait_loadcnt 0x0
	s_delay_alu instid0(VALU_DEP_1)
	v_pk_add_f32 v[18:19], v[34:35], v[18:19] neg_lo:[0,1] neg_hi:[0,1]
	scratch_store_b64 off, v[18:19], off offset:24
	s_wait_xcnt 0x0
	v_cmpx_lt_u32_e32 2, v0
	s_cbranch_execz .LBB71_57
; %bb.56:
	scratch_load_b64 v[18:19], off, off offset:16
	v_mov_b64_e32 v[20:21], 0
	scratch_store_b64 off, v[20:21], off offset:16
	s_wait_loadcnt 0x0
	ds_store_b64 v1, v[18:19]
.LBB71_57:
	s_wait_xcnt 0x0
	s_or_b32 exec_lo, exec_lo, s0
	s_wait_storecnt_dscnt 0x0
	s_barrier_signal -1
	s_barrier_wait -1
	s_clause 0x3
	scratch_load_b128 v[18:21], off, off offset:24
	scratch_load_b128 v[22:25], off, off offset:40
	scratch_load_b64 v[34:35], off, off offset:56
	scratch_load_b64 v[36:37], off, off offset:16
	v_mov_b32_e32 v7, 0
	ds_load_2addr_b64 v[26:29], v7 offset0:11 offset1:12
	ds_load_2addr_b64 v[30:33], v7 offset0:13 offset1:14
	s_mov_b32 s0, exec_lo
	s_wait_dscnt 0x1
	v_dual_mov_b32 v38, v29 :: v_dual_mov_b32 v39, v28
	ds_load_b64 v[44:45], v7 offset:120
	s_wait_dscnt 0x1
	v_dual_mov_b32 v46, v33 :: v_dual_mov_b32 v47, v32
	s_wait_loadcnt 0x3
	v_pk_mul_f32 v[40:41], v[26:27], v[18:19] op_sel:[1,1] op_sel_hi:[0,1]
	v_mov_b32_e32 v42, v21
	s_delay_alu instid0(VALU_DEP_2) | instskip(NEXT) | instid1(VALU_DEP_2)
	v_pk_fma_f32 v[48:49], v[26:27], v[18:19], v[40:41] op_sel_hi:[1,0,1]
	v_pk_mul_f32 v[38:39], v[38:39], v[42:43] op_sel_hi:[1,0]
	v_pk_fma_f32 v[18:19], v[26:27], v[18:19], v[40:41] neg_lo:[0,0,1] neg_hi:[0,0,1]
	s_wait_loadcnt 0x2
	v_pk_mul_f32 v[42:43], v[30:31], v[22:23] op_sel:[1,1] op_sel_hi:[0,1]
	v_dual_mov_b32 v48, v25 :: v_dual_mov_b32 v19, v49
	v_pk_fma_f32 v[26:27], v[28:29], v[20:21], v[38:39] op_sel_hi:[1,0,1]
	v_pk_fma_f32 v[20:21], v[28:29], v[20:21], v[38:39] neg_lo:[0,0,1] neg_hi:[0,0,1]
	s_delay_alu instid0(VALU_DEP_4) | instskip(NEXT) | instid1(VALU_DEP_4)
	v_pk_fma_f32 v[40:41], v[30:31], v[22:23], v[42:43] op_sel_hi:[1,0,1]
	v_pk_mul_f32 v[46:47], v[46:47], v[48:49] op_sel_hi:[1,0]
	v_pk_add_f32 v[18:19], v[18:19], 0 op_sel_hi:[1,0]
	v_mov_b32_e32 v21, v27
	v_pk_fma_f32 v[22:23], v[30:31], v[22:23], v[42:43] neg_lo:[0,0,1] neg_hi:[0,0,1]
	v_mov_b32_e32 v23, v41
	v_pk_fma_f32 v[26:27], v[32:33], v[24:25], v[46:47] op_sel_hi:[1,0,1]
	v_pk_fma_f32 v[24:25], v[32:33], v[24:25], v[46:47] neg_lo:[0,0,1] neg_hi:[0,0,1]
	v_pk_add_f32 v[18:19], v[18:19], v[20:21]
	s_wait_loadcnt_dscnt 0x100
	v_pk_mul_f32 v[20:21], v[44:45], v[34:35] op_sel:[1,1] op_sel_hi:[0,1]
	s_delay_alu instid0(VALU_DEP_2) | instskip(NEXT) | instid1(VALU_DEP_2)
	v_pk_add_f32 v[18:19], v[18:19], v[22:23]
	v_pk_fma_f32 v[22:23], v[44:45], v[34:35], v[20:21] op_sel_hi:[1,0,1]
	v_mov_b32_e32 v25, v27
	v_pk_fma_f32 v[20:21], v[44:45], v[34:35], v[20:21] neg_lo:[0,0,1] neg_hi:[0,0,1]
	s_delay_alu instid0(VALU_DEP_3) | instskip(NEXT) | instid1(VALU_DEP_3)
	v_mov_b32_e32 v21, v23
	v_pk_add_f32 v[18:19], v[18:19], v[24:25]
	s_delay_alu instid0(VALU_DEP_1) | instskip(SKIP_1) | instid1(VALU_DEP_1)
	v_pk_add_f32 v[18:19], v[18:19], v[20:21]
	s_wait_loadcnt 0x0
	v_pk_add_f32 v[18:19], v[36:37], v[18:19] neg_lo:[0,1] neg_hi:[0,1]
	scratch_store_b64 off, v[18:19], off offset:16
	s_wait_xcnt 0x0
	v_cmpx_lt_u32_e32 1, v0
	s_cbranch_execz .LBB71_59
; %bb.58:
	scratch_load_b64 v[18:19], off, off offset:8
	v_mov_b64_e32 v[20:21], 0
	scratch_store_b64 off, v[20:21], off offset:8
	s_wait_loadcnt 0x0
	ds_store_b64 v1, v[18:19]
.LBB71_59:
	s_wait_xcnt 0x0
	s_or_b32 exec_lo, exec_lo, s0
	s_wait_storecnt_dscnt 0x0
	s_barrier_signal -1
	s_barrier_wait -1
	s_clause 0x3
	scratch_load_b128 v[18:21], off, off offset:16
	scratch_load_b128 v[22:25], off, off offset:32
	;; [unrolled: 1-line block ×3, first 2 shown]
	scratch_load_b64 v[42:43], off, off offset:8
	ds_load_b128 v[30:33], v7 offset:80
	ds_load_b128 v[34:37], v7 offset:96
	;; [unrolled: 1-line block ×3, first 2 shown]
	v_dual_ashrrev_i32 v9, 31, v8 :: v_dual_ashrrev_i32 v11, 31, v10
	v_dual_ashrrev_i32 v13, 31, v12 :: v_dual_ashrrev_i32 v15, 31, v14
	v_ashrrev_i32_e32 v17, 31, v16
	s_mov_b32 s0, exec_lo
	s_wait_dscnt 0x2
	v_dual_mov_b32 v44, v33 :: v_dual_ashrrev_i32 v7, 31, v6
	s_wait_dscnt 0x1
	v_dual_mov_b32 v45, v32 :: v_dual_mov_b32 v46, v37
	s_wait_dscnt 0x0
	v_dual_mov_b32 v47, v36 :: v_dual_mov_b32 v52, v41
	v_mov_b32_e32 v53, v40
	s_wait_loadcnt 0x3
	v_pk_mul_f32 v[48:49], v[30:31], v[18:19] op_sel:[1,1] op_sel_hi:[0,1]
	v_mov_b32_e32 v50, v21
	s_delay_alu instid0(VALU_DEP_2) | instskip(NEXT) | instid1(VALU_DEP_2)
	v_pk_fma_f32 v[54:55], v[30:31], v[18:19], v[48:49] op_sel_hi:[1,0,1]
	v_pk_mul_f32 v[44:45], v[44:45], v[50:51] op_sel_hi:[1,0]
	v_pk_fma_f32 v[18:19], v[30:31], v[18:19], v[48:49] neg_lo:[0,0,1] neg_hi:[0,0,1]
	s_wait_loadcnt 0x2
	v_pk_mul_f32 v[50:51], v[34:35], v[22:23] op_sel:[1,1] op_sel_hi:[0,1]
	v_mov_b32_e32 v54, v25
	v_pk_fma_f32 v[30:31], v[32:33], v[20:21], v[44:45] op_sel_hi:[1,0,1]
	v_mov_b32_e32 v19, v55
	v_pk_fma_f32 v[20:21], v[32:33], v[20:21], v[44:45] neg_lo:[0,0,1] neg_hi:[0,0,1]
	v_pk_fma_f32 v[48:49], v[34:35], v[22:23], v[50:51] op_sel_hi:[1,0,1]
	v_pk_mul_f32 v[46:47], v[46:47], v[54:55] op_sel_hi:[1,0]
	v_mov_b32_e32 v21, v31
	v_pk_add_f32 v[18:19], v[18:19], 0 op_sel_hi:[1,0]
	v_pk_fma_f32 v[22:23], v[34:35], v[22:23], v[50:51] neg_lo:[0,0,1] neg_hi:[0,0,1]
	s_wait_loadcnt 0x1
	v_pk_mul_f32 v[30:31], v[38:39], v[26:27] op_sel:[1,1] op_sel_hi:[0,1]
	v_mov_b32_e32 v23, v49
	v_pk_fma_f32 v[32:33], v[36:37], v[24:25], v[46:47] op_sel_hi:[1,0,1]
	v_pk_add_f32 v[18:19], v[18:19], v[20:21]
	v_mov_b32_e32 v20, v29
	v_pk_fma_f32 v[24:25], v[36:37], v[24:25], v[46:47] neg_lo:[0,0,1] neg_hi:[0,0,1]
	v_pk_fma_f32 v[34:35], v[38:39], v[26:27], v[30:31] op_sel_hi:[1,0,1]
	v_mov_b32_e32 v25, v33
	v_pk_add_f32 v[18:19], v[18:19], v[22:23]
	v_pk_mul_f32 v[20:21], v[52:53], v[20:21] op_sel_hi:[1,0]
	v_pk_fma_f32 v[22:23], v[38:39], v[26:27], v[30:31] neg_lo:[0,0,1] neg_hi:[0,0,1]
	v_mov_b32_e32 v23, v35
	s_delay_alu instid0(VALU_DEP_4) | instskip(NEXT) | instid1(VALU_DEP_4)
	v_pk_add_f32 v[18:19], v[18:19], v[24:25]
	v_pk_fma_f32 v[24:25], v[40:41], v[28:29], v[20:21] op_sel_hi:[1,0,1]
	v_pk_fma_f32 v[20:21], v[40:41], v[28:29], v[20:21] neg_lo:[0,0,1] neg_hi:[0,0,1]
	s_delay_alu instid0(VALU_DEP_3) | instskip(NEXT) | instid1(VALU_DEP_3)
	v_pk_add_f32 v[18:19], v[18:19], v[22:23]
	v_mov_b32_e32 v21, v25
	s_delay_alu instid0(VALU_DEP_1) | instskip(SKIP_1) | instid1(VALU_DEP_1)
	v_pk_add_f32 v[18:19], v[18:19], v[20:21]
	s_wait_loadcnt 0x0
	v_pk_add_f32 v[18:19], v[42:43], v[18:19] neg_lo:[0,1] neg_hi:[0,1]
	scratch_store_b64 off, v[18:19], off offset:8
	s_wait_xcnt 0x0
	v_cmpx_ne_u32_e32 0, v0
	s_cbranch_execz .LBB71_61
; %bb.60:
	scratch_load_b64 v[18:19], off, off
	v_mov_b64_e32 v[20:21], 0
	scratch_store_b64 off, v[20:21], off
	s_wait_loadcnt 0x0
	ds_store_b64 v1, v[18:19]
.LBB71_61:
	s_wait_xcnt 0x0
	s_or_b32 exec_lo, exec_lo, s0
	s_wait_storecnt_dscnt 0x0
	s_barrier_signal -1
	s_barrier_wait -1
	s_clause 0x4
	scratch_load_b128 v[20:23], off, off offset:8
	scratch_load_b128 v[24:27], off, off offset:24
	;; [unrolled: 1-line block ×3, first 2 shown]
	scratch_load_b64 v[0:1], off, off offset:56
	scratch_load_b64 v[44:45], off, off
	v_mov_b32_e32 v18, 0
	ds_load_2addr_b64 v[32:35], v18 offset0:9 offset1:10
	ds_load_2addr_b64 v[36:39], v18 offset0:11 offset1:12
	;; [unrolled: 1-line block ×3, first 2 shown]
	ds_load_b64 v[46:47], v18 offset:120
	s_and_b32 vcc_lo, exec_lo, s12
	s_wait_dscnt 0x3
	v_dual_mov_b32 v48, v35 :: v_dual_mov_b32 v49, v34
	s_wait_dscnt 0x2
	v_dual_mov_b32 v50, v39 :: v_dual_mov_b32 v51, v38
	;; [unrolled: 2-line block ×3, first 2 shown]
	s_wait_loadcnt 0x4
	v_pk_mul_f32 v[52:53], v[32:33], v[20:21] op_sel:[1,1] op_sel_hi:[0,1]
	v_mov_b32_e32 v54, v23
	s_wait_loadcnt 0x3
	v_pk_mul_f32 v[58:59], v[36:37], v[24:25] op_sel:[1,1] op_sel_hi:[0,1]
	s_wait_loadcnt 0x2
	v_pk_mul_f32 v[62:63], v[40:41], v[28:29] op_sel:[1,1] op_sel_hi:[0,1]
	v_pk_fma_f32 v[60:61], v[32:33], v[20:21], v[52:53] op_sel_hi:[1,0,1]
	v_pk_mul_f32 v[48:49], v[48:49], v[54:55] op_sel_hi:[1,0]
	v_pk_fma_f32 v[20:21], v[32:33], v[20:21], v[52:53] neg_lo:[0,0,1] neg_hi:[0,0,1]
	v_mov_b32_e32 v54, v27
	v_pk_fma_f32 v[52:53], v[36:37], v[24:25], v[58:59] op_sel_hi:[1,0,1]
	v_mov_b32_e32 v21, v61
	v_pk_fma_f32 v[32:33], v[34:35], v[22:23], v[48:49] op_sel_hi:[1,0,1]
	v_pk_fma_f32 v[22:23], v[34:35], v[22:23], v[48:49] neg_lo:[0,0,1] neg_hi:[0,0,1]
	v_pk_mul_f32 v[50:51], v[50:51], v[54:55] op_sel_hi:[1,0]
	v_pk_fma_f32 v[24:25], v[36:37], v[24:25], v[58:59] neg_lo:[0,0,1] neg_hi:[0,0,1]
	v_pk_add_f32 v[20:21], v[20:21], 0 op_sel_hi:[1,0]
	v_dual_mov_b32 v23, v33 :: v_dual_mov_b32 v32, v31
	s_delay_alu instid0(VALU_DEP_4) | instskip(SKIP_2) | instid1(VALU_DEP_4)
	v_pk_fma_f32 v[34:35], v[38:39], v[26:27], v[50:51] op_sel_hi:[1,0,1]
	v_mov_b32_e32 v25, v53
	v_pk_fma_f32 v[26:27], v[38:39], v[26:27], v[50:51] neg_lo:[0,0,1] neg_hi:[0,0,1]
	v_pk_add_f32 v[20:21], v[20:21], v[22:23]
	v_pk_fma_f32 v[22:23], v[40:41], v[28:29], v[62:63] op_sel_hi:[1,0,1]
	v_pk_mul_f32 v[32:33], v[56:57], v[32:33] op_sel_hi:[1,0]
	v_mov_b32_e32 v27, v35
	v_pk_fma_f32 v[28:29], v[40:41], v[28:29], v[62:63] neg_lo:[0,0,1] neg_hi:[0,0,1]
	v_pk_add_f32 v[20:21], v[20:21], v[24:25]
	s_wait_loadcnt_dscnt 0x100
	v_pk_mul_f32 v[24:25], v[46:47], v[0:1] op_sel:[1,1] op_sel_hi:[0,1]
	v_mov_b32_e32 v29, v23
	v_pk_fma_f32 v[22:23], v[42:43], v[30:31], v[32:33] op_sel_hi:[1,0,1]
	v_pk_fma_f32 v[30:31], v[42:43], v[30:31], v[32:33] neg_lo:[0,0,1] neg_hi:[0,0,1]
	v_pk_add_f32 v[20:21], v[20:21], v[26:27]
	v_pk_fma_f32 v[26:27], v[46:47], v[0:1], v[24:25] op_sel_hi:[1,0,1]
	v_pk_fma_f32 v[0:1], v[46:47], v[0:1], v[24:25] neg_lo:[0,0,1] neg_hi:[0,0,1]
	v_mov_b32_e32 v31, v23
	s_delay_alu instid0(VALU_DEP_4) | instskip(NEXT) | instid1(VALU_DEP_4)
	v_pk_add_f32 v[20:21], v[20:21], v[28:29]
	v_mov_b32_e32 v1, v27
	s_delay_alu instid0(VALU_DEP_2) | instskip(NEXT) | instid1(VALU_DEP_1)
	v_pk_add_f32 v[20:21], v[20:21], v[30:31]
	v_pk_add_f32 v[0:1], v[20:21], v[0:1]
	s_wait_loadcnt 0x0
	s_delay_alu instid0(VALU_DEP_1)
	v_pk_add_f32 v[0:1], v[44:45], v[0:1] neg_lo:[0,1] neg_hi:[0,1]
	scratch_store_b64 off, v[0:1], off
	s_cbranch_vccz .LBB71_76
; %bb.62:
	global_load_b32 v0, v18, s[8:9] offset:24
	s_wait_loadcnt 0x0
	v_cmp_ne_u32_e32 vcc_lo, 7, v0
	s_cbranch_vccz .LBB71_64
; %bb.63:
	v_lshlrev_b32_e32 v0, 3, v0
	s_delay_alu instid0(VALU_DEP_1)
	v_mov_b32_e32 v20, v0
	scratch_load_b64 v[0:1], v20, off offset:-8
	scratch_load_b64 v[18:19], off, off offset:48
	s_wait_loadcnt 0x1
	scratch_store_b64 off, v[0:1], off offset:48
	s_wait_loadcnt 0x0
	scratch_store_b64 v20, v[18:19], off offset:-8
.LBB71_64:
	s_wait_xcnt 0x1
	v_mov_b32_e32 v0, 0
	global_load_b32 v1, v0, s[8:9] offset:20
	s_wait_loadcnt 0x0
	v_cmp_eq_u32_e32 vcc_lo, 6, v1
	s_cbranch_vccnz .LBB71_66
; %bb.65:
	v_lshlrev_b32_e32 v1, 3, v1
	scratch_load_b64 v[18:19], v1, off offset:-8
	scratch_load_b64 v[20:21], off, off offset:40
	s_wait_loadcnt 0x1
	scratch_store_b64 off, v[18:19], off offset:40
	s_wait_loadcnt 0x0
	scratch_store_b64 v1, v[20:21], off offset:-8
.LBB71_66:
	global_load_b32 v0, v0, s[8:9] offset:16
	s_wait_loadcnt 0x0
	v_cmp_eq_u32_e32 vcc_lo, 5, v0
	s_cbranch_vccnz .LBB71_68
; %bb.67:
	s_wait_xcnt 0x0
	v_lshlrev_b32_e32 v0, 3, v0
	s_delay_alu instid0(VALU_DEP_1)
	v_mov_b32_e32 v20, v0
	scratch_load_b64 v[0:1], v20, off offset:-8
	scratch_load_b64 v[18:19], off, off offset:32
	s_wait_loadcnt 0x1
	scratch_store_b64 off, v[0:1], off offset:32
	s_wait_loadcnt 0x0
	scratch_store_b64 v20, v[18:19], off offset:-8
.LBB71_68:
	s_wait_xcnt 0x0
	v_mov_b32_e32 v0, 0
	global_load_b32 v1, v0, s[8:9] offset:12
	s_wait_loadcnt 0x0
	v_cmp_eq_u32_e32 vcc_lo, 4, v1
	s_cbranch_vccnz .LBB71_70
; %bb.69:
	v_lshlrev_b32_e32 v1, 3, v1
	scratch_load_b64 v[18:19], v1, off offset:-8
	scratch_load_b64 v[20:21], off, off offset:24
	s_wait_loadcnt 0x1
	scratch_store_b64 off, v[18:19], off offset:24
	s_wait_loadcnt 0x0
	scratch_store_b64 v1, v[20:21], off offset:-8
.LBB71_70:
	global_load_b32 v0, v0, s[8:9] offset:8
	s_wait_loadcnt 0x0
	v_cmp_eq_u32_e32 vcc_lo, 3, v0
	s_cbranch_vccnz .LBB71_72
; %bb.71:
	s_wait_xcnt 0x0
	v_lshlrev_b32_e32 v0, 3, v0
	s_delay_alu instid0(VALU_DEP_1)
	v_mov_b32_e32 v20, v0
	scratch_load_b64 v[0:1], v20, off offset:-8
	scratch_load_b64 v[18:19], off, off offset:16
	s_wait_loadcnt 0x1
	scratch_store_b64 off, v[0:1], off offset:16
	s_wait_loadcnt 0x0
	scratch_store_b64 v20, v[18:19], off offset:-8
.LBB71_72:
	s_wait_xcnt 0x0
	v_mov_b32_e32 v0, 0
	global_load_b32 v1, v0, s[8:9] offset:4
	s_wait_loadcnt 0x0
	v_cmp_eq_u32_e32 vcc_lo, 2, v1
	s_cbranch_vccnz .LBB71_74
; %bb.73:
	v_lshlrev_b32_e32 v1, 3, v1
	scratch_load_b64 v[18:19], v1, off offset:-8
	scratch_load_b64 v[20:21], off, off offset:8
	s_wait_loadcnt 0x1
	scratch_store_b64 off, v[18:19], off offset:8
	s_wait_loadcnt 0x0
	scratch_store_b64 v1, v[20:21], off offset:-8
.LBB71_74:
	global_load_b32 v18, v0, s[8:9]
	scratch_load_b64 v[0:1], off, off
	s_wait_loadcnt 0x1
	v_cmp_eq_u32_e32 vcc_lo, 1, v18
	s_cbranch_vccnz .LBB71_76
; %bb.75:
	v_lshlrev_b32_e32 v18, 3, v18
	s_delay_alu instid0(VALU_DEP_1)
	v_mov_b32_e32 v20, v18
	scratch_load_b64 v[18:19], v20, off offset:-8
	s_wait_loadcnt 0x0
	scratch_store_b64 off, v[18:19], off
	scratch_store_b64 v20, v[0:1], off offset:-8
	scratch_load_b64 v[0:1], off, off
.LBB71_76:
	s_wait_loadcnt 0x0
	flat_store_b64 v[2:3], v[0:1]
	scratch_load_b64 v[0:1], off, off offset:8
	v_lshl_add_u64 v[22:23], v[6:7], 3, s[2:3]
	v_lshl_add_u64 v[20:21], v[8:9], 3, s[2:3]
	;; [unrolled: 1-line block ×6, first 2 shown]
	s_wait_loadcnt 0x0
	flat_store_b64 v[4:5], v[0:1]
	scratch_load_b64 v[0:1], off, off offset:16
	s_wait_loadcnt 0x0
	flat_store_b64 v[22:23], v[0:1]
	scratch_load_b64 v[0:1], off, off offset:24
	;; [unrolled: 3-line block ×6, first 2 shown]
	s_wait_loadcnt 0x0
	flat_store_b64 v[6:7], v[0:1]
	s_endpgm
	.section	.rodata,"a",@progbits
	.p2align	6, 0x0
	.amdhsa_kernel _ZN9rocsolver6v33100L18getri_kernel_smallILi8E19rocblas_complex_numIfEPKPS3_EEvT1_iilPiilS8_bb
		.amdhsa_group_segment_fixed_size 132
		.amdhsa_private_segment_fixed_size 80
		.amdhsa_kernarg_size 60
		.amdhsa_user_sgpr_count 2
		.amdhsa_user_sgpr_dispatch_ptr 0
		.amdhsa_user_sgpr_queue_ptr 0
		.amdhsa_user_sgpr_kernarg_segment_ptr 1
		.amdhsa_user_sgpr_dispatch_id 0
		.amdhsa_user_sgpr_kernarg_preload_length 0
		.amdhsa_user_sgpr_kernarg_preload_offset 0
		.amdhsa_user_sgpr_private_segment_size 0
		.amdhsa_wavefront_size32 1
		.amdhsa_uses_dynamic_stack 0
		.amdhsa_enable_private_segment 1
		.amdhsa_system_sgpr_workgroup_id_x 1
		.amdhsa_system_sgpr_workgroup_id_y 0
		.amdhsa_system_sgpr_workgroup_id_z 0
		.amdhsa_system_sgpr_workgroup_info 0
		.amdhsa_system_vgpr_workitem_id 0
		.amdhsa_next_free_vgpr 64
		.amdhsa_next_free_sgpr 19
		.amdhsa_named_barrier_count 0
		.amdhsa_reserve_vcc 1
		.amdhsa_float_round_mode_32 0
		.amdhsa_float_round_mode_16_64 0
		.amdhsa_float_denorm_mode_32 3
		.amdhsa_float_denorm_mode_16_64 3
		.amdhsa_fp16_overflow 0
		.amdhsa_memory_ordered 1
		.amdhsa_forward_progress 1
		.amdhsa_inst_pref_size 53
		.amdhsa_round_robin_scheduling 0
		.amdhsa_exception_fp_ieee_invalid_op 0
		.amdhsa_exception_fp_denorm_src 0
		.amdhsa_exception_fp_ieee_div_zero 0
		.amdhsa_exception_fp_ieee_overflow 0
		.amdhsa_exception_fp_ieee_underflow 0
		.amdhsa_exception_fp_ieee_inexact 0
		.amdhsa_exception_int_div_zero 0
	.end_amdhsa_kernel
	.section	.text._ZN9rocsolver6v33100L18getri_kernel_smallILi8E19rocblas_complex_numIfEPKPS3_EEvT1_iilPiilS8_bb,"axG",@progbits,_ZN9rocsolver6v33100L18getri_kernel_smallILi8E19rocblas_complex_numIfEPKPS3_EEvT1_iilPiilS8_bb,comdat
.Lfunc_end71:
	.size	_ZN9rocsolver6v33100L18getri_kernel_smallILi8E19rocblas_complex_numIfEPKPS3_EEvT1_iilPiilS8_bb, .Lfunc_end71-_ZN9rocsolver6v33100L18getri_kernel_smallILi8E19rocblas_complex_numIfEPKPS3_EEvT1_iilPiilS8_bb
                                        ; -- End function
	.set _ZN9rocsolver6v33100L18getri_kernel_smallILi8E19rocblas_complex_numIfEPKPS3_EEvT1_iilPiilS8_bb.num_vgpr, 64
	.set _ZN9rocsolver6v33100L18getri_kernel_smallILi8E19rocblas_complex_numIfEPKPS3_EEvT1_iilPiilS8_bb.num_agpr, 0
	.set _ZN9rocsolver6v33100L18getri_kernel_smallILi8E19rocblas_complex_numIfEPKPS3_EEvT1_iilPiilS8_bb.numbered_sgpr, 19
	.set _ZN9rocsolver6v33100L18getri_kernel_smallILi8E19rocblas_complex_numIfEPKPS3_EEvT1_iilPiilS8_bb.num_named_barrier, 0
	.set _ZN9rocsolver6v33100L18getri_kernel_smallILi8E19rocblas_complex_numIfEPKPS3_EEvT1_iilPiilS8_bb.private_seg_size, 80
	.set _ZN9rocsolver6v33100L18getri_kernel_smallILi8E19rocblas_complex_numIfEPKPS3_EEvT1_iilPiilS8_bb.uses_vcc, 1
	.set _ZN9rocsolver6v33100L18getri_kernel_smallILi8E19rocblas_complex_numIfEPKPS3_EEvT1_iilPiilS8_bb.uses_flat_scratch, 1
	.set _ZN9rocsolver6v33100L18getri_kernel_smallILi8E19rocblas_complex_numIfEPKPS3_EEvT1_iilPiilS8_bb.has_dyn_sized_stack, 0
	.set _ZN9rocsolver6v33100L18getri_kernel_smallILi8E19rocblas_complex_numIfEPKPS3_EEvT1_iilPiilS8_bb.has_recursion, 0
	.set _ZN9rocsolver6v33100L18getri_kernel_smallILi8E19rocblas_complex_numIfEPKPS3_EEvT1_iilPiilS8_bb.has_indirect_call, 0
	.section	.AMDGPU.csdata,"",@progbits
; Kernel info:
; codeLenInByte = 6732
; TotalNumSgprs: 21
; NumVgprs: 64
; ScratchSize: 80
; MemoryBound: 0
; FloatMode: 240
; IeeeMode: 1
; LDSByteSize: 132 bytes/workgroup (compile time only)
; SGPRBlocks: 0
; VGPRBlocks: 3
; NumSGPRsForWavesPerEU: 21
; NumVGPRsForWavesPerEU: 64
; NamedBarCnt: 0
; Occupancy: 16
; WaveLimiterHint : 1
; COMPUTE_PGM_RSRC2:SCRATCH_EN: 1
; COMPUTE_PGM_RSRC2:USER_SGPR: 2
; COMPUTE_PGM_RSRC2:TRAP_HANDLER: 0
; COMPUTE_PGM_RSRC2:TGID_X_EN: 1
; COMPUTE_PGM_RSRC2:TGID_Y_EN: 0
; COMPUTE_PGM_RSRC2:TGID_Z_EN: 0
; COMPUTE_PGM_RSRC2:TIDIG_COMP_CNT: 0
	.section	.text._ZN9rocsolver6v33100L18getri_kernel_smallILi9E19rocblas_complex_numIfEPKPS3_EEvT1_iilPiilS8_bb,"axG",@progbits,_ZN9rocsolver6v33100L18getri_kernel_smallILi9E19rocblas_complex_numIfEPKPS3_EEvT1_iilPiilS8_bb,comdat
	.globl	_ZN9rocsolver6v33100L18getri_kernel_smallILi9E19rocblas_complex_numIfEPKPS3_EEvT1_iilPiilS8_bb ; -- Begin function _ZN9rocsolver6v33100L18getri_kernel_smallILi9E19rocblas_complex_numIfEPKPS3_EEvT1_iilPiilS8_bb
	.p2align	8
	.type	_ZN9rocsolver6v33100L18getri_kernel_smallILi9E19rocblas_complex_numIfEPKPS3_EEvT1_iilPiilS8_bb,@function
_ZN9rocsolver6v33100L18getri_kernel_smallILi9E19rocblas_complex_numIfEPKPS3_EEvT1_iilPiilS8_bb: ; @_ZN9rocsolver6v33100L18getri_kernel_smallILi9E19rocblas_complex_numIfEPKPS3_EEvT1_iilPiilS8_bb
; %bb.0:
	s_mov_b32 s2, exec_lo
	v_cmpx_gt_u32_e32 9, v0
	s_cbranch_execz .LBB72_50
; %bb.1:
	s_clause 0x1
	s_load_b32 s13, s[0:1], 0x38
	s_load_b64 s[2:3], s[0:1], 0x0
	s_getreg_b32 s6, hwreg(HW_REG_IB_STS2, 6, 4)
	s_wait_kmcnt 0x0
	s_bitcmp1_b32 s13, 8
	s_cselect_b32 s12, -1, 0
	s_bfe_u32 s4, ttmp6, 0x4000c
	s_and_b32 s5, ttmp6, 15
	s_add_co_i32 s4, s4, 1
	s_delay_alu instid0(SALU_CYCLE_1) | instskip(NEXT) | instid1(SALU_CYCLE_1)
	s_mul_i32 s4, ttmp9, s4
	s_add_co_i32 s5, s5, s4
	s_cmp_eq_u32 s6, 0
	s_cselect_b32 s10, ttmp9, s5
	s_load_b128 s[4:7], s[0:1], 0x28
	s_ashr_i32 s11, s10, 31
	s_delay_alu instid0(SALU_CYCLE_1) | instskip(NEXT) | instid1(SALU_CYCLE_1)
	s_lshl_b64 s[8:9], s[10:11], 3
	s_add_nc_u64 s[2:3], s[2:3], s[8:9]
	s_bfe_u32 s8, s13, 0x10008
	s_load_b64 s[2:3], s[2:3], 0x0
	s_cmp_eq_u32 s8, 0
                                        ; implicit-def: $sgpr8_sgpr9
	s_cbranch_scc1 .LBB72_3
; %bb.2:
	s_load_b96 s[16:18], s[0:1], 0x18
	s_wait_kmcnt 0x0
	s_mul_u64 s[4:5], s[4:5], s[10:11]
	s_delay_alu instid0(SALU_CYCLE_1) | instskip(SKIP_4) | instid1(SALU_CYCLE_1)
	s_lshl_b64 s[4:5], s[4:5], 2
	s_ashr_i32 s9, s18, 31
	s_mov_b32 s8, s18
	s_add_nc_u64 s[4:5], s[16:17], s[4:5]
	s_lshl_b64 s[8:9], s[8:9], 2
	s_add_nc_u64 s[8:9], s[4:5], s[8:9]
.LBB72_3:
	s_wait_kmcnt 0x0
	s_clause 0x1
	s_load_b64 s[4:5], s[0:1], 0x8
	s_load_b32 s13, s[0:1], 0x38
	v_dual_mov_b32 v21, 0 :: v_dual_lshlrev_b32 v20, 3, v0
	s_wait_kmcnt 0x0
	s_ashr_i32 s1, s4, 31
	s_mov_b32 s0, s4
	s_delay_alu instid0(SALU_CYCLE_1) | instskip(NEXT) | instid1(SALU_CYCLE_1)
	s_lshl_b64 s[0:1], s[0:1], 3
	s_add_nc_u64 s[2:3], s[2:3], s[0:1]
	s_ashr_i32 s1, s5, 31
	flat_load_b64 v[6:7], v0, s[2:3] scale_offset
	v_add_nc_u64_e32 v[2:3], s[2:3], v[20:21]
	s_mov_b32 s0, s5
	s_bitcmp0_b32 s13, 0
	s_delay_alu instid0(VALU_DEP_1)
	v_lshl_add_u64 v[4:5], s[0:1], 3, v[2:3]
	s_mov_b32 s1, -1
	s_wait_loadcnt_dscnt 0x0
	scratch_store_b64 off, v[6:7], off
	flat_load_b64 v[8:9], v[4:5]
	s_wait_xcnt 0x1
	v_add3_u32 v6, s5, s5, v0
	s_wait_loadcnt_dscnt 0x0
	scratch_store_b64 off, v[8:9], off offset:8
	flat_load_b64 v[10:11], v6, s[2:3] scale_offset
	s_wait_xcnt 0x1
	v_add_nc_u32_e32 v8, s5, v6
	s_wait_loadcnt_dscnt 0x0
	scratch_store_b64 off, v[10:11], off offset:16
	flat_load_b64 v[12:13], v8, s[2:3] scale_offset
	s_wait_xcnt 0x1
	v_add_nc_u32_e32 v10, s5, v8
	;; [unrolled: 5-line block ×6, first 2 shown]
	s_wait_loadcnt_dscnt 0x0
	scratch_store_b64 off, v[22:23], off offset:56
	flat_load_b64 v[22:23], v18, s[2:3] scale_offset
	s_wait_loadcnt_dscnt 0x0
	scratch_store_b64 off, v[22:23], off offset:64
	s_cbranch_scc1 .LBB72_48
; %bb.4:
	v_cmp_eq_u32_e64 s0, 0, v0
	s_wait_xcnt 0x0
	s_and_saveexec_b32 s1, s0
; %bb.5:
	v_mov_b32_e32 v1, 0
	ds_store_b32 v1, v1 offset:72
; %bb.6:
	s_or_b32 exec_lo, exec_lo, s1
	s_wait_storecnt_dscnt 0x0
	s_barrier_signal -1
	s_barrier_wait -1
	scratch_load_b64 v[22:23], v0, off scale_offset
	s_wait_loadcnt 0x0
	v_cmp_eq_f32_e32 vcc_lo, 0, v22
	v_cmp_eq_f32_e64 s1, 0, v23
	s_and_b32 s1, vcc_lo, s1
	s_delay_alu instid0(SALU_CYCLE_1)
	s_and_saveexec_b32 s4, s1
	s_cbranch_execz .LBB72_10
; %bb.7:
	v_mov_b32_e32 v1, 0
	s_mov_b32 s5, 0
	ds_load_b32 v7, v1 offset:72
	s_wait_dscnt 0x0
	v_readfirstlane_b32 s1, v7
	v_add_nc_u32_e32 v7, 1, v0
	s_cmp_eq_u32 s1, 0
	s_delay_alu instid0(VALU_DEP_1) | instskip(SKIP_1) | instid1(SALU_CYCLE_1)
	v_cmp_gt_i32_e32 vcc_lo, s1, v7
	s_cselect_b32 s13, -1, 0
	s_or_b32 s13, s13, vcc_lo
	s_delay_alu instid0(SALU_CYCLE_1)
	s_and_b32 exec_lo, exec_lo, s13
	s_cbranch_execz .LBB72_10
; %bb.8:
	v_mov_b32_e32 v9, s1
.LBB72_9:                               ; =>This Inner Loop Header: Depth=1
	ds_cmpstore_rtn_b32 v9, v1, v7, v9 offset:72
	s_wait_dscnt 0x0
	v_cmp_ne_u32_e32 vcc_lo, 0, v9
	v_cmp_le_i32_e64 s1, v9, v7
	s_and_b32 s1, vcc_lo, s1
	s_delay_alu instid0(SALU_CYCLE_1) | instskip(NEXT) | instid1(SALU_CYCLE_1)
	s_and_b32 s1, exec_lo, s1
	s_or_b32 s5, s1, s5
	s_delay_alu instid0(SALU_CYCLE_1)
	s_and_not1_b32 exec_lo, exec_lo, s5
	s_cbranch_execnz .LBB72_9
.LBB72_10:
	s_or_b32 exec_lo, exec_lo, s4
	v_mov_b32_e32 v1, 0
	s_barrier_signal -1
	s_barrier_wait -1
	ds_load_b32 v7, v1 offset:72
	s_and_saveexec_b32 s1, s0
	s_cbranch_execz .LBB72_12
; %bb.11:
	s_lshl_b64 s[4:5], s[10:11], 2
	s_delay_alu instid0(SALU_CYCLE_1)
	s_add_nc_u64 s[4:5], s[6:7], s[4:5]
	s_wait_dscnt 0x0
	global_store_b32 v1, v7, s[4:5]
.LBB72_12:
	s_wait_xcnt 0x0
	s_or_b32 exec_lo, exec_lo, s1
	s_wait_dscnt 0x0
	v_cmp_ne_u32_e32 vcc_lo, 0, v7
	s_mov_b32 s1, 0
	s_cbranch_vccnz .LBB72_48
; %bb.13:
	v_lshl_add_u32 v7, v0, 3, 0
                                        ; implicit-def: $vgpr25
                                        ; implicit-def: $vgpr26
	scratch_load_b64 v[22:23], v7, off
	s_wait_loadcnt 0x0
	v_cmp_ngt_f32_e64 s1, |v22|, |v23|
	s_wait_xcnt 0x0
	s_and_saveexec_b32 s4, s1
	s_delay_alu instid0(SALU_CYCLE_1)
	s_xor_b32 s1, exec_lo, s4
	s_cbranch_execz .LBB72_15
; %bb.14:
	v_div_scale_f32 v1, null, v23, v23, v22
	v_div_scale_f32 v13, vcc_lo, v22, v23, v22
	s_delay_alu instid0(VALU_DEP_2) | instskip(SKIP_1) | instid1(TRANS32_DEP_1)
	v_rcp_f32_e32 v9, v1
	v_nop
	v_fma_f32 v11, -v1, v9, 1.0
	s_delay_alu instid0(VALU_DEP_1) | instskip(NEXT) | instid1(VALU_DEP_1)
	v_fmac_f32_e32 v9, v11, v9
	v_mul_f32_e32 v11, v13, v9
	s_delay_alu instid0(VALU_DEP_1) | instskip(NEXT) | instid1(VALU_DEP_1)
	v_fma_f32 v15, -v1, v11, v13
	v_fmac_f32_e32 v11, v15, v9
	s_delay_alu instid0(VALU_DEP_1) | instskip(NEXT) | instid1(VALU_DEP_1)
	v_fma_f32 v1, -v1, v11, v13
	v_div_fmas_f32 v1, v1, v9, v11
	s_delay_alu instid0(VALU_DEP_1) | instskip(NEXT) | instid1(VALU_DEP_1)
	v_div_fixup_f32 v1, v1, v23, v22
	v_fmac_f32_e32 v23, v22, v1
	s_delay_alu instid0(VALU_DEP_1) | instskip(NEXT) | instid1(VALU_DEP_1)
	v_div_scale_f32 v9, null, v23, v23, -1.0
	v_rcp_f32_e32 v11, v9
	v_nop
	s_delay_alu instid0(TRANS32_DEP_1) | instskip(NEXT) | instid1(VALU_DEP_1)
	v_fma_f32 v13, -v9, v11, 1.0
	v_fmac_f32_e32 v11, v13, v11
	v_div_scale_f32 v13, vcc_lo, -1.0, v23, -1.0
	s_delay_alu instid0(VALU_DEP_1) | instskip(NEXT) | instid1(VALU_DEP_1)
	v_mul_f32_e32 v15, v13, v11
	v_fma_f32 v17, -v9, v15, v13
	s_delay_alu instid0(VALU_DEP_1) | instskip(NEXT) | instid1(VALU_DEP_1)
	v_fmac_f32_e32 v15, v17, v11
	v_fma_f32 v9, -v9, v15, v13
	s_delay_alu instid0(VALU_DEP_1) | instskip(NEXT) | instid1(VALU_DEP_1)
	v_div_fmas_f32 v9, v9, v11, v15
	v_div_fixup_f32 v25, v9, v23, -1.0
                                        ; implicit-def: $vgpr22_vgpr23
	s_delay_alu instid0(VALU_DEP_1) | instskip(NEXT) | instid1(VALU_DEP_1)
	v_mul_f32_e32 v26, v1, v25
	v_xor_b32_e32 v24, 0x80000000, v26
.LBB72_15:
	s_and_not1_saveexec_b32 s1, s1
	s_cbranch_execz .LBB72_17
; %bb.16:
	v_div_scale_f32 v1, null, v22, v22, v23
	v_div_scale_f32 v13, vcc_lo, v23, v22, v23
	s_delay_alu instid0(VALU_DEP_2) | instskip(SKIP_1) | instid1(TRANS32_DEP_1)
	v_rcp_f32_e32 v9, v1
	v_nop
	v_fma_f32 v11, -v1, v9, 1.0
	s_delay_alu instid0(VALU_DEP_1) | instskip(NEXT) | instid1(VALU_DEP_1)
	v_fmac_f32_e32 v9, v11, v9
	v_mul_f32_e32 v11, v13, v9
	s_delay_alu instid0(VALU_DEP_1) | instskip(NEXT) | instid1(VALU_DEP_1)
	v_fma_f32 v15, -v1, v11, v13
	v_fmac_f32_e32 v11, v15, v9
	s_delay_alu instid0(VALU_DEP_1) | instskip(NEXT) | instid1(VALU_DEP_1)
	v_fma_f32 v1, -v1, v11, v13
	v_div_fmas_f32 v1, v1, v9, v11
	s_delay_alu instid0(VALU_DEP_1) | instskip(NEXT) | instid1(VALU_DEP_1)
	v_div_fixup_f32 v1, v1, v22, v23
	v_fmac_f32_e32 v22, v23, v1
	s_delay_alu instid0(VALU_DEP_1) | instskip(SKIP_1) | instid1(VALU_DEP_2)
	v_div_scale_f32 v9, null, v22, v22, 1.0
	v_div_scale_f32 v15, vcc_lo, 1.0, v22, 1.0
	v_rcp_f32_e32 v11, v9
	v_nop
	s_delay_alu instid0(TRANS32_DEP_1) | instskip(NEXT) | instid1(VALU_DEP_1)
	v_fma_f32 v13, -v9, v11, 1.0
	v_fmac_f32_e32 v11, v13, v11
	s_delay_alu instid0(VALU_DEP_1) | instskip(NEXT) | instid1(VALU_DEP_1)
	v_mul_f32_e32 v13, v15, v11
	v_fma_f32 v17, -v9, v13, v15
	s_delay_alu instid0(VALU_DEP_1) | instskip(NEXT) | instid1(VALU_DEP_1)
	v_fmac_f32_e32 v13, v17, v11
	v_fma_f32 v9, -v9, v13, v15
	s_delay_alu instid0(VALU_DEP_1) | instskip(NEXT) | instid1(VALU_DEP_1)
	v_div_fmas_f32 v9, v9, v11, v13
	v_div_fixup_f32 v24, v9, v22, 1.0
	s_delay_alu instid0(VALU_DEP_1)
	v_xor_b32_e32 v26, 0x80000000, v24
	v_mul_f32_e64 v25, v1, -v24
.LBB72_17:
	s_or_b32 exec_lo, exec_lo, s1
	scratch_store_b64 v7, v[24:25], off
	scratch_load_b64 v[22:23], off, off offset:8
	v_xor_b32_e32 v27, 0x80000000, v25
	v_add_nc_u32_e32 v1, 0x50, v20
	s_wait_loadcnt 0x0
	ds_store_2addr_b64 v20, v[26:27], v[22:23] offset1:10
	s_wait_storecnt_dscnt 0x0
	s_barrier_signal -1
	s_barrier_wait -1
	s_wait_xcnt 0x0
	s_and_saveexec_b32 s1, s0
	s_cbranch_execz .LBB72_19
; %bb.18:
	scratch_load_b64 v[22:23], v7, off
	ds_load_b64 v[24:25], v1
	s_wait_loadcnt_dscnt 0x0
	v_pk_mul_f32 v[28:29], v[24:25], v[22:23] op_sel:[1,1] op_sel_hi:[0,1]
	s_delay_alu instid0(VALU_DEP_1) | instskip(SKIP_2) | instid1(VALU_DEP_3)
	v_pk_fma_f32 v[30:31], v[24:25], v[22:23], v[28:29] op_sel_hi:[1,0,1]
	v_mov_b32_e32 v9, 0
	v_pk_fma_f32 v[22:23], v[24:25], v[22:23], v[28:29] neg_lo:[0,0,1] neg_hi:[0,0,1]
	v_mov_b32_e32 v23, v31
	ds_load_b64 v[26:27], v9 offset:8
	v_pk_add_f32 v[22:23], v[22:23], 0 op_sel_hi:[1,0]
	s_wait_dscnt 0x0
	s_delay_alu instid0(VALU_DEP_1) | instskip(NEXT) | instid1(VALU_DEP_1)
	v_pk_mul_f32 v[24:25], v[22:23], v[26:27] op_sel:[1,1] op_sel_hi:[0,1]
	v_pk_fma_f32 v[28:29], v[22:23], v[26:27], v[24:25] op_sel_hi:[1,0,1]
	v_pk_fma_f32 v[22:23], v[22:23], v[26:27], v[24:25] neg_lo:[0,0,1] neg_hi:[0,0,1]
	s_delay_alu instid0(VALU_DEP_2)
	v_mov_b32_e32 v23, v29
	scratch_store_b64 off, v[22:23], off offset:8
.LBB72_19:
	s_wait_xcnt 0x0
	s_or_b32 exec_lo, exec_lo, s1
	s_wait_storecnt 0x0
	s_barrier_signal -1
	s_barrier_wait -1
	scratch_load_b64 v[22:23], off, off offset:16
	s_mov_b32 s1, exec_lo
	s_wait_loadcnt 0x0
	ds_store_b64 v1, v[22:23]
	s_wait_dscnt 0x0
	s_barrier_signal -1
	s_barrier_wait -1
	v_cmpx_gt_u32_e32 2, v0
	s_cbranch_execz .LBB72_23
; %bb.20:
	scratch_load_b64 v[22:23], v7, off
	ds_load_b64 v[24:25], v1
	s_wait_loadcnt_dscnt 0x0
	v_pk_mul_f32 v[26:27], v[24:25], v[22:23] op_sel:[1,1] op_sel_hi:[0,1]
	s_delay_alu instid0(VALU_DEP_1) | instskip(SKIP_1) | instid1(VALU_DEP_2)
	v_pk_fma_f32 v[28:29], v[24:25], v[22:23], v[26:27] op_sel_hi:[1,0,1]
	v_pk_fma_f32 v[22:23], v[24:25], v[22:23], v[26:27] neg_lo:[0,0,1] neg_hi:[0,0,1]
	v_mov_b32_e32 v23, v29
	s_delay_alu instid0(VALU_DEP_1)
	v_pk_add_f32 v[22:23], v[22:23], 0 op_sel_hi:[1,0]
	s_and_saveexec_b32 s4, s0
	s_cbranch_execz .LBB72_22
; %bb.21:
	scratch_load_b64 v[24:25], off, off offset:8
	v_mov_b32_e32 v7, 0
	ds_load_b64 v[26:27], v7 offset:88
	s_wait_loadcnt_dscnt 0x0
	v_pk_mul_f32 v[28:29], v[26:27], v[24:25] op_sel:[1,1] op_sel_hi:[0,1]
	s_delay_alu instid0(VALU_DEP_1) | instskip(SKIP_1) | instid1(VALU_DEP_2)
	v_pk_fma_f32 v[30:31], v[26:27], v[24:25], v[28:29] op_sel_hi:[1,0,1]
	v_pk_fma_f32 v[24:25], v[26:27], v[24:25], v[28:29] neg_lo:[0,0,1] neg_hi:[0,0,1]
	v_mov_b32_e32 v25, v31
	s_delay_alu instid0(VALU_DEP_1)
	v_pk_add_f32 v[22:23], v[22:23], v[24:25]
.LBB72_22:
	s_or_b32 exec_lo, exec_lo, s4
	v_mov_b32_e32 v7, 0
	ds_load_b64 v[24:25], v7 offset:16
	s_wait_dscnt 0x0
	v_pk_mul_f32 v[26:27], v[22:23], v[24:25] op_sel:[1,1] op_sel_hi:[0,1]
	s_delay_alu instid0(VALU_DEP_1) | instskip(SKIP_1) | instid1(VALU_DEP_2)
	v_pk_fma_f32 v[28:29], v[22:23], v[24:25], v[26:27] op_sel_hi:[1,0,1]
	v_pk_fma_f32 v[22:23], v[22:23], v[24:25], v[26:27] neg_lo:[0,0,1] neg_hi:[0,0,1]
	v_mov_b32_e32 v23, v29
	scratch_store_b64 off, v[22:23], off offset:16
.LBB72_23:
	s_wait_xcnt 0x0
	s_or_b32 exec_lo, exec_lo, s1
	s_wait_storecnt 0x0
	s_barrier_signal -1
	s_barrier_wait -1
	scratch_load_b64 v[22:23], off, off offset:24
	v_add_nc_u32_e32 v7, -1, v0
	s_mov_b32 s0, exec_lo
	s_wait_loadcnt 0x0
	ds_store_b64 v1, v[22:23]
	s_wait_dscnt 0x0
	s_barrier_signal -1
	s_barrier_wait -1
	v_cmpx_gt_u32_e32 3, v0
	s_cbranch_execz .LBB72_27
; %bb.24:
	v_dual_mov_b32 v22, 0 :: v_dual_add_nc_u32 v9, -1, v0
	v_add_nc_u32_e32 v11, 0x50, v20
	v_mov_b32_e32 v13, v20
	s_mov_b32 s1, 0
	s_delay_alu instid0(VALU_DEP_3)
	v_mov_b32_e32 v23, v22
.LBB72_25:                              ; =>This Inner Loop Header: Depth=1
	scratch_load_b64 v[24:25], v13, off
	ds_load_b64 v[26:27], v11
	s_wait_xcnt 0x0
	v_dual_add_nc_u32 v11, 8, v11 :: v_dual_add_nc_u32 v13, 8, v13
	s_wait_loadcnt_dscnt 0x0
	v_pk_mul_f32 v[28:29], v[26:27], v[24:25] op_sel:[1,1] op_sel_hi:[0,1]
	s_delay_alu instid0(VALU_DEP_1) | instskip(SKIP_2) | instid1(VALU_DEP_3)
	v_pk_fma_f32 v[30:31], v[26:27], v[24:25], v[28:29] op_sel_hi:[1,0,1]
	v_add_nc_u32_e32 v9, 1, v9
	v_pk_fma_f32 v[24:25], v[26:27], v[24:25], v[28:29] neg_lo:[0,0,1] neg_hi:[0,0,1]
	v_mov_b32_e32 v25, v31
	s_delay_alu instid0(VALU_DEP_3) | instskip(NEXT) | instid1(VALU_DEP_2)
	v_cmp_lt_u32_e32 vcc_lo, 1, v9
	v_pk_add_f32 v[22:23], v[22:23], v[24:25]
	s_or_b32 s1, vcc_lo, s1
	s_delay_alu instid0(SALU_CYCLE_1)
	s_and_not1_b32 exec_lo, exec_lo, s1
	s_cbranch_execnz .LBB72_25
; %bb.26:
	s_or_b32 exec_lo, exec_lo, s1
	v_mov_b32_e32 v9, 0
	ds_load_b64 v[24:25], v9 offset:24
	s_wait_dscnt 0x0
	v_pk_mul_f32 v[26:27], v[22:23], v[24:25] op_sel:[1,1] op_sel_hi:[0,1]
	s_delay_alu instid0(VALU_DEP_1) | instskip(SKIP_1) | instid1(VALU_DEP_2)
	v_pk_fma_f32 v[28:29], v[22:23], v[24:25], v[26:27] op_sel_hi:[1,0,1]
	v_pk_fma_f32 v[22:23], v[22:23], v[24:25], v[26:27] neg_lo:[0,0,1] neg_hi:[0,0,1]
	v_mov_b32_e32 v23, v29
	scratch_store_b64 off, v[22:23], off offset:24
.LBB72_27:
	s_wait_xcnt 0x0
	s_or_b32 exec_lo, exec_lo, s0
	s_wait_storecnt 0x0
	s_barrier_signal -1
	s_barrier_wait -1
	scratch_load_b64 v[22:23], off, off offset:32
	s_mov_b32 s0, exec_lo
	s_wait_loadcnt 0x0
	ds_store_b64 v1, v[22:23]
	s_wait_dscnt 0x0
	s_barrier_signal -1
	s_barrier_wait -1
	v_cmpx_gt_u32_e32 4, v0
	s_cbranch_execz .LBB72_31
; %bb.28:
	v_dual_mov_b32 v22, 0 :: v_dual_add_nc_u32 v9, -1, v0
	v_add_nc_u32_e32 v11, 0x50, v20
	v_mov_b32_e32 v13, v20
	s_mov_b32 s1, 0
	s_delay_alu instid0(VALU_DEP_3)
	v_mov_b32_e32 v23, v22
.LBB72_29:                              ; =>This Inner Loop Header: Depth=1
	scratch_load_b64 v[24:25], v13, off
	ds_load_b64 v[26:27], v11
	s_wait_xcnt 0x0
	v_dual_add_nc_u32 v11, 8, v11 :: v_dual_add_nc_u32 v13, 8, v13
	s_wait_loadcnt_dscnt 0x0
	v_pk_mul_f32 v[28:29], v[26:27], v[24:25] op_sel:[1,1] op_sel_hi:[0,1]
	s_delay_alu instid0(VALU_DEP_1) | instskip(SKIP_2) | instid1(VALU_DEP_3)
	v_pk_fma_f32 v[30:31], v[26:27], v[24:25], v[28:29] op_sel_hi:[1,0,1]
	v_add_nc_u32_e32 v9, 1, v9
	v_pk_fma_f32 v[24:25], v[26:27], v[24:25], v[28:29] neg_lo:[0,0,1] neg_hi:[0,0,1]
	v_mov_b32_e32 v25, v31
	s_delay_alu instid0(VALU_DEP_3) | instskip(NEXT) | instid1(VALU_DEP_2)
	v_cmp_lt_u32_e32 vcc_lo, 2, v9
	v_pk_add_f32 v[22:23], v[22:23], v[24:25]
	s_or_b32 s1, vcc_lo, s1
	s_delay_alu instid0(SALU_CYCLE_1)
	s_and_not1_b32 exec_lo, exec_lo, s1
	s_cbranch_execnz .LBB72_29
; %bb.30:
	s_or_b32 exec_lo, exec_lo, s1
	v_mov_b32_e32 v9, 0
	ds_load_b64 v[24:25], v9 offset:32
	s_wait_dscnt 0x0
	v_pk_mul_f32 v[26:27], v[22:23], v[24:25] op_sel:[1,1] op_sel_hi:[0,1]
	s_delay_alu instid0(VALU_DEP_1) | instskip(SKIP_1) | instid1(VALU_DEP_2)
	v_pk_fma_f32 v[28:29], v[22:23], v[24:25], v[26:27] op_sel_hi:[1,0,1]
	v_pk_fma_f32 v[22:23], v[22:23], v[24:25], v[26:27] neg_lo:[0,0,1] neg_hi:[0,0,1]
	v_mov_b32_e32 v23, v29
	scratch_store_b64 off, v[22:23], off offset:32
.LBB72_31:
	s_wait_xcnt 0x0
	s_or_b32 exec_lo, exec_lo, s0
	s_wait_storecnt 0x0
	s_barrier_signal -1
	s_barrier_wait -1
	scratch_load_b64 v[22:23], off, off offset:40
	s_mov_b32 s0, exec_lo
	s_wait_loadcnt 0x0
	ds_store_b64 v1, v[22:23]
	s_wait_dscnt 0x0
	s_barrier_signal -1
	s_barrier_wait -1
	v_cmpx_gt_u32_e32 5, v0
	s_cbranch_execz .LBB72_35
; %bb.32:
	v_dual_mov_b32 v22, 0 :: v_dual_add_nc_u32 v9, -1, v0
	v_add_nc_u32_e32 v11, 0x50, v20
	v_mov_b32_e32 v13, v20
	s_mov_b32 s1, 0
	s_delay_alu instid0(VALU_DEP_3)
	v_mov_b32_e32 v23, v22
.LBB72_33:                              ; =>This Inner Loop Header: Depth=1
	scratch_load_b64 v[24:25], v13, off
	ds_load_b64 v[26:27], v11
	s_wait_xcnt 0x0
	v_dual_add_nc_u32 v11, 8, v11 :: v_dual_add_nc_u32 v13, 8, v13
	s_wait_loadcnt_dscnt 0x0
	v_pk_mul_f32 v[28:29], v[26:27], v[24:25] op_sel:[1,1] op_sel_hi:[0,1]
	s_delay_alu instid0(VALU_DEP_1) | instskip(SKIP_2) | instid1(VALU_DEP_3)
	v_pk_fma_f32 v[30:31], v[26:27], v[24:25], v[28:29] op_sel_hi:[1,0,1]
	v_add_nc_u32_e32 v9, 1, v9
	v_pk_fma_f32 v[24:25], v[26:27], v[24:25], v[28:29] neg_lo:[0,0,1] neg_hi:[0,0,1]
	v_mov_b32_e32 v25, v31
	s_delay_alu instid0(VALU_DEP_3) | instskip(NEXT) | instid1(VALU_DEP_2)
	v_cmp_lt_u32_e32 vcc_lo, 3, v9
	v_pk_add_f32 v[22:23], v[22:23], v[24:25]
	s_or_b32 s1, vcc_lo, s1
	s_delay_alu instid0(SALU_CYCLE_1)
	s_and_not1_b32 exec_lo, exec_lo, s1
	s_cbranch_execnz .LBB72_33
; %bb.34:
	s_or_b32 exec_lo, exec_lo, s1
	v_mov_b32_e32 v9, 0
	ds_load_b64 v[24:25], v9 offset:40
	s_wait_dscnt 0x0
	v_pk_mul_f32 v[26:27], v[22:23], v[24:25] op_sel:[1,1] op_sel_hi:[0,1]
	s_delay_alu instid0(VALU_DEP_1) | instskip(SKIP_1) | instid1(VALU_DEP_2)
	v_pk_fma_f32 v[28:29], v[22:23], v[24:25], v[26:27] op_sel_hi:[1,0,1]
	v_pk_fma_f32 v[22:23], v[22:23], v[24:25], v[26:27] neg_lo:[0,0,1] neg_hi:[0,0,1]
	v_mov_b32_e32 v23, v29
	scratch_store_b64 off, v[22:23], off offset:40
.LBB72_35:
	s_wait_xcnt 0x0
	s_or_b32 exec_lo, exec_lo, s0
	s_wait_storecnt 0x0
	s_barrier_signal -1
	s_barrier_wait -1
	scratch_load_b64 v[22:23], off, off offset:48
	s_mov_b32 s0, exec_lo
	s_wait_loadcnt 0x0
	ds_store_b64 v1, v[22:23]
	s_wait_dscnt 0x0
	s_barrier_signal -1
	s_barrier_wait -1
	v_cmpx_gt_u32_e32 6, v0
	s_cbranch_execz .LBB72_39
; %bb.36:
	v_dual_mov_b32 v22, 0 :: v_dual_add_nc_u32 v9, -1, v0
	v_add_nc_u32_e32 v11, 0x50, v20
	v_mov_b32_e32 v13, v20
	s_mov_b32 s1, 0
	s_delay_alu instid0(VALU_DEP_3)
	v_mov_b32_e32 v23, v22
.LBB72_37:                              ; =>This Inner Loop Header: Depth=1
	scratch_load_b64 v[24:25], v13, off
	ds_load_b64 v[26:27], v11
	s_wait_xcnt 0x0
	v_dual_add_nc_u32 v11, 8, v11 :: v_dual_add_nc_u32 v13, 8, v13
	s_wait_loadcnt_dscnt 0x0
	v_pk_mul_f32 v[28:29], v[26:27], v[24:25] op_sel:[1,1] op_sel_hi:[0,1]
	s_delay_alu instid0(VALU_DEP_1) | instskip(SKIP_2) | instid1(VALU_DEP_3)
	v_pk_fma_f32 v[30:31], v[26:27], v[24:25], v[28:29] op_sel_hi:[1,0,1]
	v_add_nc_u32_e32 v9, 1, v9
	v_pk_fma_f32 v[24:25], v[26:27], v[24:25], v[28:29] neg_lo:[0,0,1] neg_hi:[0,0,1]
	v_mov_b32_e32 v25, v31
	s_delay_alu instid0(VALU_DEP_3) | instskip(NEXT) | instid1(VALU_DEP_2)
	v_cmp_lt_u32_e32 vcc_lo, 4, v9
	v_pk_add_f32 v[22:23], v[22:23], v[24:25]
	s_or_b32 s1, vcc_lo, s1
	s_delay_alu instid0(SALU_CYCLE_1)
	s_and_not1_b32 exec_lo, exec_lo, s1
	s_cbranch_execnz .LBB72_37
; %bb.38:
	s_or_b32 exec_lo, exec_lo, s1
	v_mov_b32_e32 v9, 0
	ds_load_b64 v[24:25], v9 offset:48
	s_wait_dscnt 0x0
	v_pk_mul_f32 v[26:27], v[22:23], v[24:25] op_sel:[1,1] op_sel_hi:[0,1]
	s_delay_alu instid0(VALU_DEP_1) | instskip(SKIP_1) | instid1(VALU_DEP_2)
	v_pk_fma_f32 v[28:29], v[22:23], v[24:25], v[26:27] op_sel_hi:[1,0,1]
	v_pk_fma_f32 v[22:23], v[22:23], v[24:25], v[26:27] neg_lo:[0,0,1] neg_hi:[0,0,1]
	v_mov_b32_e32 v23, v29
	scratch_store_b64 off, v[22:23], off offset:48
.LBB72_39:
	s_wait_xcnt 0x0
	s_or_b32 exec_lo, exec_lo, s0
	s_wait_storecnt 0x0
	s_barrier_signal -1
	s_barrier_wait -1
	scratch_load_b64 v[22:23], off, off offset:56
	s_mov_b32 s0, exec_lo
	s_wait_loadcnt 0x0
	ds_store_b64 v1, v[22:23]
	s_wait_dscnt 0x0
	s_barrier_signal -1
	s_barrier_wait -1
	v_cmpx_gt_u32_e32 7, v0
	s_cbranch_execz .LBB72_43
; %bb.40:
	v_dual_mov_b32 v22, 0 :: v_dual_add_nc_u32 v9, -1, v0
	v_add_nc_u32_e32 v11, 0x50, v20
	v_mov_b32_e32 v13, v20
	s_mov_b32 s1, 0
	s_delay_alu instid0(VALU_DEP_3)
	v_mov_b32_e32 v23, v22
.LBB72_41:                              ; =>This Inner Loop Header: Depth=1
	scratch_load_b64 v[24:25], v13, off
	ds_load_b64 v[26:27], v11
	s_wait_xcnt 0x0
	v_dual_add_nc_u32 v11, 8, v11 :: v_dual_add_nc_u32 v13, 8, v13
	s_wait_loadcnt_dscnt 0x0
	v_pk_mul_f32 v[28:29], v[26:27], v[24:25] op_sel:[1,1] op_sel_hi:[0,1]
	s_delay_alu instid0(VALU_DEP_1) | instskip(SKIP_2) | instid1(VALU_DEP_3)
	v_pk_fma_f32 v[30:31], v[26:27], v[24:25], v[28:29] op_sel_hi:[1,0,1]
	v_add_nc_u32_e32 v9, 1, v9
	v_pk_fma_f32 v[24:25], v[26:27], v[24:25], v[28:29] neg_lo:[0,0,1] neg_hi:[0,0,1]
	v_mov_b32_e32 v25, v31
	s_delay_alu instid0(VALU_DEP_3) | instskip(NEXT) | instid1(VALU_DEP_2)
	v_cmp_lt_u32_e32 vcc_lo, 5, v9
	v_pk_add_f32 v[22:23], v[22:23], v[24:25]
	s_or_b32 s1, vcc_lo, s1
	s_delay_alu instid0(SALU_CYCLE_1)
	s_and_not1_b32 exec_lo, exec_lo, s1
	s_cbranch_execnz .LBB72_41
; %bb.42:
	s_or_b32 exec_lo, exec_lo, s1
	v_mov_b32_e32 v9, 0
	ds_load_b64 v[24:25], v9 offset:56
	s_wait_dscnt 0x0
	v_pk_mul_f32 v[26:27], v[22:23], v[24:25] op_sel:[1,1] op_sel_hi:[0,1]
	s_delay_alu instid0(VALU_DEP_1) | instskip(SKIP_1) | instid1(VALU_DEP_2)
	v_pk_fma_f32 v[28:29], v[22:23], v[24:25], v[26:27] op_sel_hi:[1,0,1]
	v_pk_fma_f32 v[22:23], v[22:23], v[24:25], v[26:27] neg_lo:[0,0,1] neg_hi:[0,0,1]
	v_mov_b32_e32 v23, v29
	scratch_store_b64 off, v[22:23], off offset:56
.LBB72_43:
	s_wait_xcnt 0x0
	s_or_b32 exec_lo, exec_lo, s0
	s_wait_storecnt 0x0
	s_barrier_signal -1
	s_barrier_wait -1
	scratch_load_b64 v[22:23], off, off offset:64
	s_mov_b32 s0, exec_lo
	s_wait_loadcnt 0x0
	ds_store_b64 v1, v[22:23]
	s_wait_dscnt 0x0
	s_barrier_signal -1
	s_barrier_wait -1
	v_cmpx_ne_u32_e32 8, v0
	s_cbranch_execz .LBB72_47
; %bb.44:
	v_dual_mov_b32 v22, 0 :: v_dual_mov_b32 v9, v20
	s_mov_b32 s1, 0
	s_delay_alu instid0(VALU_DEP_1)
	v_mov_b32_e32 v23, v22
.LBB72_45:                              ; =>This Inner Loop Header: Depth=1
	scratch_load_b64 v[20:21], v9, off
	ds_load_b64 v[24:25], v1
	v_add_nc_u32_e32 v1, 8, v1
	s_wait_xcnt 0x0
	v_add_nc_u32_e32 v9, 8, v9
	s_wait_loadcnt_dscnt 0x0
	v_pk_mul_f32 v[26:27], v[24:25], v[20:21] op_sel:[1,1] op_sel_hi:[0,1]
	s_delay_alu instid0(VALU_DEP_1) | instskip(SKIP_2) | instid1(VALU_DEP_3)
	v_pk_fma_f32 v[28:29], v[24:25], v[20:21], v[26:27] op_sel_hi:[1,0,1]
	v_add_nc_u32_e32 v7, 1, v7
	v_pk_fma_f32 v[20:21], v[24:25], v[20:21], v[26:27] neg_lo:[0,0,1] neg_hi:[0,0,1]
	v_mov_b32_e32 v21, v29
	s_delay_alu instid0(VALU_DEP_3) | instskip(NEXT) | instid1(VALU_DEP_2)
	v_cmp_lt_u32_e32 vcc_lo, 6, v7
	v_pk_add_f32 v[22:23], v[22:23], v[20:21]
	s_or_b32 s1, vcc_lo, s1
	s_delay_alu instid0(SALU_CYCLE_1)
	s_and_not1_b32 exec_lo, exec_lo, s1
	s_cbranch_execnz .LBB72_45
; %bb.46:
	s_or_b32 exec_lo, exec_lo, s1
	v_mov_b32_e32 v1, 0
	ds_load_b64 v[20:21], v1 offset:64
	s_wait_dscnt 0x0
	v_pk_mul_f32 v[24:25], v[22:23], v[20:21] op_sel:[1,1] op_sel_hi:[0,1]
	s_delay_alu instid0(VALU_DEP_1) | instskip(SKIP_1) | instid1(VALU_DEP_2)
	v_pk_fma_f32 v[26:27], v[22:23], v[20:21], v[24:25] op_sel_hi:[1,0,1]
	v_pk_fma_f32 v[20:21], v[22:23], v[20:21], v[24:25] neg_lo:[0,0,1] neg_hi:[0,0,1]
	v_mov_b32_e32 v21, v27
	scratch_store_b64 off, v[20:21], off offset:64
.LBB72_47:
	s_wait_xcnt 0x0
	s_or_b32 exec_lo, exec_lo, s0
	s_mov_b32 s1, -1
	s_wait_storecnt 0x0
	s_barrier_signal -1
	s_barrier_wait -1
.LBB72_48:
	s_and_b32 vcc_lo, exec_lo, s1
	s_cbranch_vccz .LBB72_50
; %bb.49:
	v_mov_b32_e32 v1, 0
	s_lshl_b64 s[0:1], s[10:11], 2
	s_delay_alu instid0(SALU_CYCLE_1)
	s_add_nc_u64 s[0:1], s[6:7], s[0:1]
	global_load_b32 v1, v1, s[0:1]
	s_wait_loadcnt 0x0
	v_cmp_ne_u32_e32 vcc_lo, 0, v1
	s_cbranch_vccz .LBB72_51
.LBB72_50:
	s_sendmsg sendmsg(MSG_DEALLOC_VGPRS)
	s_endpgm
.LBB72_51:
	s_wait_xcnt 0x0
	v_lshl_add_u32 v1, v0, 3, 0x50
	s_mov_b32 s0, exec_lo
	v_cmpx_eq_u32_e32 8, v0
	s_cbranch_execz .LBB72_53
; %bb.52:
	scratch_load_b64 v[20:21], off, off offset:56
	v_mov_b64_e32 v[22:23], 0
	scratch_store_b64 off, v[22:23], off offset:56
	s_wait_loadcnt 0x0
	ds_store_b64 v1, v[20:21]
.LBB72_53:
	s_wait_xcnt 0x0
	s_or_b32 exec_lo, exec_lo, s0
	s_wait_storecnt_dscnt 0x0
	s_barrier_signal -1
	s_barrier_wait -1
	s_clause 0x1
	scratch_load_b64 v[20:21], off, off offset:64
	scratch_load_b64 v[22:23], off, off offset:56
	v_mov_b32_e32 v7, 0
	s_mov_b32 s0, exec_lo
	ds_load_b64 v[24:25], v7 offset:144
	s_wait_loadcnt_dscnt 0x100
	v_pk_mul_f32 v[26:27], v[24:25], v[20:21] op_sel:[1,1] op_sel_hi:[0,1]
	s_delay_alu instid0(VALU_DEP_1) | instskip(SKIP_1) | instid1(VALU_DEP_2)
	v_pk_fma_f32 v[28:29], v[24:25], v[20:21], v[26:27] op_sel_hi:[1,0,1]
	v_pk_fma_f32 v[20:21], v[24:25], v[20:21], v[26:27] neg_lo:[0,0,1] neg_hi:[0,0,1]
	v_mov_b32_e32 v21, v29
	s_delay_alu instid0(VALU_DEP_1) | instskip(SKIP_1) | instid1(VALU_DEP_1)
	v_pk_add_f32 v[20:21], v[20:21], 0 op_sel_hi:[1,0]
	s_wait_loadcnt 0x0
	v_pk_add_f32 v[20:21], v[22:23], v[20:21] neg_lo:[0,1] neg_hi:[0,1]
	scratch_store_b64 off, v[20:21], off offset:56
	s_wait_xcnt 0x0
	v_cmpx_lt_u32_e32 6, v0
	s_cbranch_execz .LBB72_55
; %bb.54:
	scratch_load_b64 v[20:21], off, off offset:48
	v_mov_b64_e32 v[22:23], 0
	scratch_store_b64 off, v[22:23], off offset:48
	s_wait_loadcnt 0x0
	ds_store_b64 v1, v[20:21]
.LBB72_55:
	s_wait_xcnt 0x0
	s_or_b32 exec_lo, exec_lo, s0
	s_wait_storecnt_dscnt 0x0
	s_barrier_signal -1
	s_barrier_wait -1
	s_clause 0x1
	scratch_load_b128 v[20:23], off, off offset:56
	scratch_load_b64 v[28:29], off, off offset:48
	ds_load_2addr_b64 v[24:27], v7 offset0:17 offset1:18
	s_mov_b32 s0, exec_lo
	s_wait_dscnt 0x0
	v_dual_mov_b32 v30, v27 :: v_dual_mov_b32 v31, v26
	s_wait_loadcnt 0x1
	v_pk_mul_f32 v[32:33], v[24:25], v[20:21] op_sel:[1,1] op_sel_hi:[0,1]
	s_delay_alu instid0(VALU_DEP_1) | instskip(SKIP_2) | instid1(VALU_DEP_3)
	v_pk_fma_f32 v[36:37], v[24:25], v[20:21], v[32:33] op_sel_hi:[1,0,1]
	v_mov_b32_e32 v34, v23
	v_pk_fma_f32 v[20:21], v[24:25], v[20:21], v[32:33] neg_lo:[0,0,1] neg_hi:[0,0,1]
	v_mov_b32_e32 v21, v37
	s_delay_alu instid0(VALU_DEP_3) | instskip(NEXT) | instid1(VALU_DEP_2)
	v_pk_mul_f32 v[30:31], v[30:31], v[34:35] op_sel_hi:[1,0]
	v_pk_add_f32 v[20:21], v[20:21], 0 op_sel_hi:[1,0]
	s_delay_alu instid0(VALU_DEP_2) | instskip(SKIP_1) | instid1(VALU_DEP_2)
	v_pk_fma_f32 v[24:25], v[26:27], v[22:23], v[30:31] op_sel_hi:[1,0,1]
	v_pk_fma_f32 v[22:23], v[26:27], v[22:23], v[30:31] neg_lo:[0,0,1] neg_hi:[0,0,1]
	v_mov_b32_e32 v23, v25
	s_delay_alu instid0(VALU_DEP_1) | instskip(SKIP_1) | instid1(VALU_DEP_1)
	v_pk_add_f32 v[20:21], v[20:21], v[22:23]
	s_wait_loadcnt 0x0
	v_pk_add_f32 v[20:21], v[28:29], v[20:21] neg_lo:[0,1] neg_hi:[0,1]
	scratch_store_b64 off, v[20:21], off offset:48
	s_wait_xcnt 0x0
	v_cmpx_lt_u32_e32 5, v0
	s_cbranch_execz .LBB72_57
; %bb.56:
	scratch_load_b64 v[20:21], off, off offset:40
	v_mov_b64_e32 v[22:23], 0
	scratch_store_b64 off, v[22:23], off offset:40
	s_wait_loadcnt 0x0
	ds_store_b64 v1, v[20:21]
.LBB72_57:
	s_wait_xcnt 0x0
	s_or_b32 exec_lo, exec_lo, s0
	s_wait_storecnt_dscnt 0x0
	s_barrier_signal -1
	s_barrier_wait -1
	s_clause 0x2
	scratch_load_b128 v[20:23], off, off offset:48
	scratch_load_b64 v[28:29], off, off offset:64
	scratch_load_b64 v[30:31], off, off offset:40
	v_mov_b32_e32 v7, 0
	ds_load_b128 v[24:27], v7 offset:128
	ds_load_b64 v[32:33], v7 offset:144
	s_mov_b32 s0, exec_lo
	s_wait_dscnt 0x1
	v_dual_mov_b32 v34, v27 :: v_dual_mov_b32 v35, v26
	s_wait_loadcnt 0x2
	v_mov_b32_e32 v38, v23
	v_pk_mul_f32 v[36:37], v[24:25], v[20:21] op_sel:[1,1] op_sel_hi:[0,1]
	s_delay_alu instid0(VALU_DEP_2) | instskip(NEXT) | instid1(VALU_DEP_2)
	v_pk_mul_f32 v[34:35], v[34:35], v[38:39] op_sel_hi:[1,0]
	v_pk_fma_f32 v[40:41], v[24:25], v[20:21], v[36:37] op_sel_hi:[1,0,1]
	v_pk_fma_f32 v[20:21], v[24:25], v[20:21], v[36:37] neg_lo:[0,0,1] neg_hi:[0,0,1]
	s_wait_loadcnt_dscnt 0x100
	v_pk_mul_f32 v[36:37], v[32:33], v[28:29] op_sel:[1,1] op_sel_hi:[0,1]
	v_pk_fma_f32 v[24:25], v[26:27], v[22:23], v[34:35] op_sel_hi:[1,0,1]
	v_mov_b32_e32 v21, v41
	v_pk_fma_f32 v[22:23], v[26:27], v[22:23], v[34:35] neg_lo:[0,0,1] neg_hi:[0,0,1]
	s_delay_alu instid0(VALU_DEP_4) | instskip(NEXT) | instid1(VALU_DEP_4)
	v_pk_fma_f32 v[26:27], v[32:33], v[28:29], v[36:37] neg_lo:[0,0,1] neg_hi:[0,0,1]
	v_mov_b32_e32 v23, v25
	s_delay_alu instid0(VALU_DEP_4) | instskip(SKIP_1) | instid1(VALU_DEP_2)
	v_pk_add_f32 v[20:21], v[20:21], 0 op_sel_hi:[1,0]
	v_pk_fma_f32 v[24:25], v[32:33], v[28:29], v[36:37] op_sel_hi:[1,0,1]
	v_pk_add_f32 v[20:21], v[20:21], v[22:23]
	s_delay_alu instid0(VALU_DEP_2) | instskip(NEXT) | instid1(VALU_DEP_1)
	v_mov_b32_e32 v27, v25
	v_pk_add_f32 v[20:21], v[20:21], v[26:27]
	s_wait_loadcnt 0x0
	s_delay_alu instid0(VALU_DEP_1)
	v_pk_add_f32 v[20:21], v[30:31], v[20:21] neg_lo:[0,1] neg_hi:[0,1]
	scratch_store_b64 off, v[20:21], off offset:40
	s_wait_xcnt 0x0
	v_cmpx_lt_u32_e32 4, v0
	s_cbranch_execz .LBB72_59
; %bb.58:
	scratch_load_b64 v[20:21], off, off offset:32
	v_mov_b64_e32 v[22:23], 0
	scratch_store_b64 off, v[22:23], off offset:32
	s_wait_loadcnt 0x0
	ds_store_b64 v1, v[20:21]
.LBB72_59:
	s_wait_xcnt 0x0
	s_or_b32 exec_lo, exec_lo, s0
	s_wait_storecnt_dscnt 0x0
	s_barrier_signal -1
	s_barrier_wait -1
	s_clause 0x2
	scratch_load_b128 v[20:23], off, off offset:40
	scratch_load_b128 v[24:27], off, off offset:56
	scratch_load_b64 v[36:37], off, off offset:32
	ds_load_2addr_b64 v[28:31], v7 offset0:15 offset1:16
	ds_load_2addr_b64 v[32:35], v7 offset0:17 offset1:18
	s_mov_b32 s0, exec_lo
	s_wait_dscnt 0x1
	v_dual_mov_b32 v38, v31 :: v_dual_mov_b32 v39, v30
	s_wait_loadcnt_dscnt 0x200
	v_dual_mov_b32 v44, v35 :: v_dual_mov_b32 v42, v23
	v_pk_mul_f32 v[40:41], v[28:29], v[20:21] op_sel:[1,1] op_sel_hi:[0,1]
	s_delay_alu instid0(VALU_DEP_2) | instskip(NEXT) | instid1(VALU_DEP_2)
	v_pk_mul_f32 v[38:39], v[38:39], v[42:43] op_sel_hi:[1,0]
	v_pk_fma_f32 v[46:47], v[28:29], v[20:21], v[40:41] op_sel_hi:[1,0,1]
	v_pk_fma_f32 v[20:21], v[28:29], v[20:21], v[40:41] neg_lo:[0,0,1] neg_hi:[0,0,1]
	v_mov_b32_e32 v45, v34
	s_wait_loadcnt 0x1
	v_pk_mul_f32 v[42:43], v[32:33], v[24:25] op_sel:[1,1] op_sel_hi:[0,1]
	v_pk_fma_f32 v[28:29], v[30:31], v[22:23], v[38:39] op_sel_hi:[1,0,1]
	v_dual_mov_b32 v21, v47 :: v_dual_mov_b32 v28, v27
	v_pk_fma_f32 v[22:23], v[30:31], v[22:23], v[38:39] neg_lo:[0,0,1] neg_hi:[0,0,1]
	s_delay_alu instid0(VALU_DEP_4) | instskip(NEXT) | instid1(VALU_DEP_4)
	v_pk_fma_f32 v[40:41], v[32:33], v[24:25], v[42:43] op_sel_hi:[1,0,1]
	v_mov_b32_e32 v23, v29
	s_delay_alu instid0(VALU_DEP_4) | instskip(SKIP_2) | instid1(VALU_DEP_3)
	v_pk_add_f32 v[20:21], v[20:21], 0 op_sel_hi:[1,0]
	v_pk_mul_f32 v[28:29], v[44:45], v[28:29] op_sel_hi:[1,0]
	v_pk_fma_f32 v[24:25], v[32:33], v[24:25], v[42:43] neg_lo:[0,0,1] neg_hi:[0,0,1]
	v_pk_add_f32 v[20:21], v[20:21], v[22:23]
	s_delay_alu instid0(VALU_DEP_3) | instskip(SKIP_2) | instid1(VALU_DEP_3)
	v_pk_fma_f32 v[22:23], v[34:35], v[26:27], v[28:29] op_sel_hi:[1,0,1]
	v_mov_b32_e32 v25, v41
	v_pk_fma_f32 v[26:27], v[34:35], v[26:27], v[28:29] neg_lo:[0,0,1] neg_hi:[0,0,1]
	v_mov_b32_e32 v27, v23
	s_delay_alu instid0(VALU_DEP_3) | instskip(NEXT) | instid1(VALU_DEP_1)
	v_pk_add_f32 v[20:21], v[20:21], v[24:25]
	v_pk_add_f32 v[20:21], v[20:21], v[26:27]
	s_wait_loadcnt 0x0
	s_delay_alu instid0(VALU_DEP_1)
	v_pk_add_f32 v[20:21], v[36:37], v[20:21] neg_lo:[0,1] neg_hi:[0,1]
	scratch_store_b64 off, v[20:21], off offset:32
	s_wait_xcnt 0x0
	v_cmpx_lt_u32_e32 3, v0
	s_cbranch_execz .LBB72_61
; %bb.60:
	scratch_load_b64 v[20:21], off, off offset:24
	v_mov_b64_e32 v[22:23], 0
	scratch_store_b64 off, v[22:23], off offset:24
	s_wait_loadcnt 0x0
	ds_store_b64 v1, v[20:21]
.LBB72_61:
	s_wait_xcnt 0x0
	s_or_b32 exec_lo, exec_lo, s0
	s_wait_storecnt_dscnt 0x0
	s_barrier_signal -1
	s_barrier_wait -1
	s_clause 0x3
	scratch_load_b128 v[20:23], off, off offset:32
	scratch_load_b128 v[24:27], off, off offset:48
	scratch_load_b64 v[36:37], off, off offset:64
	scratch_load_b64 v[38:39], off, off offset:24
	v_mov_b32_e32 v7, 0
	ds_load_b128 v[28:31], v7 offset:112
	ds_load_b128 v[32:35], v7 offset:128
	s_mov_b32 s0, exec_lo
	s_wait_dscnt 0x1
	v_dual_mov_b32 v40, v31 :: v_dual_mov_b32 v41, v30
	ds_load_b64 v[46:47], v7 offset:144
	s_wait_dscnt 0x1
	v_dual_mov_b32 v48, v35 :: v_dual_mov_b32 v49, v34
	s_wait_loadcnt 0x3
	v_pk_mul_f32 v[42:43], v[28:29], v[20:21] op_sel:[1,1] op_sel_hi:[0,1]
	v_mov_b32_e32 v44, v23
	s_delay_alu instid0(VALU_DEP_2) | instskip(NEXT) | instid1(VALU_DEP_2)
	v_pk_fma_f32 v[50:51], v[28:29], v[20:21], v[42:43] op_sel_hi:[1,0,1]
	v_pk_mul_f32 v[40:41], v[40:41], v[44:45] op_sel_hi:[1,0]
	v_pk_fma_f32 v[20:21], v[28:29], v[20:21], v[42:43] neg_lo:[0,0,1] neg_hi:[0,0,1]
	s_wait_loadcnt 0x2
	v_pk_mul_f32 v[44:45], v[32:33], v[24:25] op_sel:[1,1] op_sel_hi:[0,1]
	v_dual_mov_b32 v50, v27 :: v_dual_mov_b32 v21, v51
	v_pk_fma_f32 v[28:29], v[30:31], v[22:23], v[40:41] op_sel_hi:[1,0,1]
	v_pk_fma_f32 v[22:23], v[30:31], v[22:23], v[40:41] neg_lo:[0,0,1] neg_hi:[0,0,1]
	s_delay_alu instid0(VALU_DEP_4) | instskip(NEXT) | instid1(VALU_DEP_4)
	v_pk_fma_f32 v[42:43], v[32:33], v[24:25], v[44:45] op_sel_hi:[1,0,1]
	v_pk_mul_f32 v[48:49], v[48:49], v[50:51] op_sel_hi:[1,0]
	v_pk_add_f32 v[20:21], v[20:21], 0 op_sel_hi:[1,0]
	v_mov_b32_e32 v23, v29
	v_pk_fma_f32 v[24:25], v[32:33], v[24:25], v[44:45] neg_lo:[0,0,1] neg_hi:[0,0,1]
	v_mov_b32_e32 v25, v43
	v_pk_fma_f32 v[28:29], v[34:35], v[26:27], v[48:49] op_sel_hi:[1,0,1]
	v_pk_fma_f32 v[26:27], v[34:35], v[26:27], v[48:49] neg_lo:[0,0,1] neg_hi:[0,0,1]
	v_pk_add_f32 v[20:21], v[20:21], v[22:23]
	s_wait_loadcnt_dscnt 0x100
	v_pk_mul_f32 v[22:23], v[46:47], v[36:37] op_sel:[1,1] op_sel_hi:[0,1]
	s_delay_alu instid0(VALU_DEP_2) | instskip(NEXT) | instid1(VALU_DEP_2)
	v_pk_add_f32 v[20:21], v[20:21], v[24:25]
	v_pk_fma_f32 v[24:25], v[46:47], v[36:37], v[22:23] op_sel_hi:[1,0,1]
	v_mov_b32_e32 v27, v29
	v_pk_fma_f32 v[22:23], v[46:47], v[36:37], v[22:23] neg_lo:[0,0,1] neg_hi:[0,0,1]
	s_delay_alu instid0(VALU_DEP_3) | instskip(NEXT) | instid1(VALU_DEP_3)
	v_mov_b32_e32 v23, v25
	v_pk_add_f32 v[20:21], v[20:21], v[26:27]
	s_delay_alu instid0(VALU_DEP_1) | instskip(SKIP_1) | instid1(VALU_DEP_1)
	v_pk_add_f32 v[20:21], v[20:21], v[22:23]
	s_wait_loadcnt 0x0
	v_pk_add_f32 v[20:21], v[38:39], v[20:21] neg_lo:[0,1] neg_hi:[0,1]
	scratch_store_b64 off, v[20:21], off offset:24
	s_wait_xcnt 0x0
	v_cmpx_lt_u32_e32 2, v0
	s_cbranch_execz .LBB72_63
; %bb.62:
	scratch_load_b64 v[20:21], off, off offset:16
	v_mov_b64_e32 v[22:23], 0
	scratch_store_b64 off, v[22:23], off offset:16
	s_wait_loadcnt 0x0
	ds_store_b64 v1, v[20:21]
.LBB72_63:
	s_wait_xcnt 0x0
	s_or_b32 exec_lo, exec_lo, s0
	s_wait_storecnt_dscnt 0x0
	s_barrier_signal -1
	s_barrier_wait -1
	s_clause 0x3
	scratch_load_b128 v[20:23], off, off offset:24
	scratch_load_b128 v[24:27], off, off offset:40
	;; [unrolled: 1-line block ×3, first 2 shown]
	scratch_load_b64 v[44:45], off, off offset:16
	ds_load_2addr_b64 v[32:35], v7 offset0:13 offset1:14
	ds_load_2addr_b64 v[36:39], v7 offset0:15 offset1:16
	;; [unrolled: 1-line block ×3, first 2 shown]
	s_mov_b32 s0, exec_lo
	s_wait_dscnt 0x2
	v_dual_mov_b32 v46, v35 :: v_dual_mov_b32 v47, v34
	s_wait_dscnt 0x1
	v_dual_mov_b32 v48, v39 :: v_dual_mov_b32 v49, v38
	;; [unrolled: 2-line block ×3, first 2 shown]
	s_wait_loadcnt 0x3
	v_pk_mul_f32 v[50:51], v[32:33], v[20:21] op_sel:[1,1] op_sel_hi:[0,1]
	v_mov_b32_e32 v52, v23
	s_delay_alu instid0(VALU_DEP_2) | instskip(NEXT) | instid1(VALU_DEP_2)
	v_pk_fma_f32 v[56:57], v[32:33], v[20:21], v[50:51] op_sel_hi:[1,0,1]
	v_pk_mul_f32 v[46:47], v[46:47], v[52:53] op_sel_hi:[1,0]
	v_pk_fma_f32 v[20:21], v[32:33], v[20:21], v[50:51] neg_lo:[0,0,1] neg_hi:[0,0,1]
	s_wait_loadcnt 0x2
	v_pk_mul_f32 v[52:53], v[36:37], v[24:25] op_sel:[1,1] op_sel_hi:[0,1]
	v_mov_b32_e32 v56, v27
	v_pk_fma_f32 v[32:33], v[34:35], v[22:23], v[46:47] op_sel_hi:[1,0,1]
	v_mov_b32_e32 v21, v57
	v_pk_fma_f32 v[22:23], v[34:35], v[22:23], v[46:47] neg_lo:[0,0,1] neg_hi:[0,0,1]
	v_pk_fma_f32 v[50:51], v[36:37], v[24:25], v[52:53] op_sel_hi:[1,0,1]
	v_pk_mul_f32 v[48:49], v[48:49], v[56:57] op_sel_hi:[1,0]
	v_mov_b32_e32 v23, v33
	v_pk_add_f32 v[20:21], v[20:21], 0 op_sel_hi:[1,0]
	v_pk_fma_f32 v[24:25], v[36:37], v[24:25], v[52:53] neg_lo:[0,0,1] neg_hi:[0,0,1]
	s_wait_loadcnt 0x1
	v_pk_mul_f32 v[32:33], v[40:41], v[28:29] op_sel:[1,1] op_sel_hi:[0,1]
	v_mov_b32_e32 v25, v51
	v_pk_fma_f32 v[34:35], v[38:39], v[26:27], v[48:49] op_sel_hi:[1,0,1]
	v_pk_add_f32 v[20:21], v[20:21], v[22:23]
	v_mov_b32_e32 v22, v31
	v_pk_fma_f32 v[26:27], v[38:39], v[26:27], v[48:49] neg_lo:[0,0,1] neg_hi:[0,0,1]
	v_pk_fma_f32 v[36:37], v[40:41], v[28:29], v[32:33] op_sel_hi:[1,0,1]
	v_mov_b32_e32 v27, v35
	v_pk_add_f32 v[20:21], v[20:21], v[24:25]
	v_pk_mul_f32 v[22:23], v[54:55], v[22:23] op_sel_hi:[1,0]
	v_pk_fma_f32 v[24:25], v[40:41], v[28:29], v[32:33] neg_lo:[0,0,1] neg_hi:[0,0,1]
	v_mov_b32_e32 v25, v37
	s_delay_alu instid0(VALU_DEP_4) | instskip(NEXT) | instid1(VALU_DEP_4)
	v_pk_add_f32 v[20:21], v[20:21], v[26:27]
	v_pk_fma_f32 v[26:27], v[42:43], v[30:31], v[22:23] op_sel_hi:[1,0,1]
	v_pk_fma_f32 v[22:23], v[42:43], v[30:31], v[22:23] neg_lo:[0,0,1] neg_hi:[0,0,1]
	s_delay_alu instid0(VALU_DEP_3) | instskip(NEXT) | instid1(VALU_DEP_3)
	v_pk_add_f32 v[20:21], v[20:21], v[24:25]
	v_mov_b32_e32 v23, v27
	s_delay_alu instid0(VALU_DEP_1) | instskip(SKIP_1) | instid1(VALU_DEP_1)
	v_pk_add_f32 v[20:21], v[20:21], v[22:23]
	s_wait_loadcnt 0x0
	v_pk_add_f32 v[20:21], v[44:45], v[20:21] neg_lo:[0,1] neg_hi:[0,1]
	scratch_store_b64 off, v[20:21], off offset:16
	s_wait_xcnt 0x0
	v_cmpx_lt_u32_e32 1, v0
	s_cbranch_execz .LBB72_65
; %bb.64:
	scratch_load_b64 v[20:21], off, off offset:8
	v_mov_b64_e32 v[22:23], 0
	scratch_store_b64 off, v[22:23], off offset:8
	s_wait_loadcnt 0x0
	ds_store_b64 v1, v[20:21]
.LBB72_65:
	s_wait_xcnt 0x0
	s_or_b32 exec_lo, exec_lo, s0
	s_wait_storecnt_dscnt 0x0
	s_barrier_signal -1
	s_barrier_wait -1
	s_clause 0x4
	scratch_load_b128 v[22:25], off, off offset:16
	scratch_load_b128 v[26:29], off, off offset:32
	;; [unrolled: 1-line block ×3, first 2 shown]
	scratch_load_b64 v[46:47], off, off offset:64
	scratch_load_b64 v[48:49], off, off offset:8
	v_mov_b32_e32 v20, 0
	ds_load_b128 v[34:37], v20 offset:96
	ds_load_b128 v[38:41], v20 offset:112
	;; [unrolled: 1-line block ×3, first 2 shown]
	ds_load_b64 v[50:51], v20 offset:144
	v_dual_ashrrev_i32 v9, 31, v8 :: v_dual_ashrrev_i32 v11, 31, v10
	v_dual_ashrrev_i32 v13, 31, v12 :: v_dual_ashrrev_i32 v15, 31, v14
	;; [unrolled: 1-line block ×3, first 2 shown]
	s_mov_b32 s0, exec_lo
	s_wait_dscnt 0x3
	v_dual_mov_b32 v52, v37 :: v_dual_ashrrev_i32 v7, 31, v6
	s_wait_dscnt 0x2
	v_dual_mov_b32 v53, v36 :: v_dual_mov_b32 v54, v41
	s_wait_dscnt 0x1
	v_dual_mov_b32 v55, v40 :: v_dual_mov_b32 v60, v45
	v_mov_b32_e32 v61, v44
	s_wait_loadcnt 0x4
	v_pk_mul_f32 v[56:57], v[34:35], v[22:23] op_sel:[1,1] op_sel_hi:[0,1]
	v_mov_b32_e32 v58, v25
	s_wait_loadcnt 0x3
	v_pk_mul_f32 v[62:63], v[38:39], v[26:27] op_sel:[1,1] op_sel_hi:[0,1]
	s_wait_loadcnt 0x2
	v_pk_mul_f32 v[66:67], v[42:43], v[30:31] op_sel:[1,1] op_sel_hi:[0,1]
	v_pk_fma_f32 v[64:65], v[34:35], v[22:23], v[56:57] op_sel_hi:[1,0,1]
	v_pk_mul_f32 v[52:53], v[52:53], v[58:59] op_sel_hi:[1,0]
	v_pk_fma_f32 v[22:23], v[34:35], v[22:23], v[56:57] neg_lo:[0,0,1] neg_hi:[0,0,1]
	v_mov_b32_e32 v58, v29
	v_pk_fma_f32 v[56:57], v[38:39], v[26:27], v[62:63] op_sel_hi:[1,0,1]
	v_mov_b32_e32 v23, v65
	v_pk_fma_f32 v[34:35], v[36:37], v[24:25], v[52:53] op_sel_hi:[1,0,1]
	v_pk_fma_f32 v[24:25], v[36:37], v[24:25], v[52:53] neg_lo:[0,0,1] neg_hi:[0,0,1]
	v_pk_mul_f32 v[54:55], v[54:55], v[58:59] op_sel_hi:[1,0]
	v_pk_fma_f32 v[26:27], v[38:39], v[26:27], v[62:63] neg_lo:[0,0,1] neg_hi:[0,0,1]
	v_pk_add_f32 v[22:23], v[22:23], 0 op_sel_hi:[1,0]
	v_dual_mov_b32 v25, v35 :: v_dual_mov_b32 v34, v33
	s_delay_alu instid0(VALU_DEP_4) | instskip(SKIP_2) | instid1(VALU_DEP_4)
	v_pk_fma_f32 v[36:37], v[40:41], v[28:29], v[54:55] op_sel_hi:[1,0,1]
	v_mov_b32_e32 v27, v57
	v_pk_fma_f32 v[28:29], v[40:41], v[28:29], v[54:55] neg_lo:[0,0,1] neg_hi:[0,0,1]
	v_pk_add_f32 v[22:23], v[22:23], v[24:25]
	v_pk_fma_f32 v[24:25], v[42:43], v[30:31], v[66:67] op_sel_hi:[1,0,1]
	v_pk_mul_f32 v[34:35], v[60:61], v[34:35] op_sel_hi:[1,0]
	v_mov_b32_e32 v29, v37
	s_delay_alu instid0(VALU_DEP_4)
	v_pk_add_f32 v[22:23], v[22:23], v[26:27]
	v_pk_fma_f32 v[26:27], v[42:43], v[30:31], v[66:67] neg_lo:[0,0,1] neg_hi:[0,0,1]
	v_mov_b32_e32 v27, v25
	v_pk_fma_f32 v[24:25], v[44:45], v[32:33], v[34:35] op_sel_hi:[1,0,1]
	v_pk_fma_f32 v[30:31], v[44:45], v[32:33], v[34:35] neg_lo:[0,0,1] neg_hi:[0,0,1]
	v_pk_add_f32 v[22:23], v[22:23], v[28:29]
	s_wait_loadcnt_dscnt 0x100
	v_pk_mul_f32 v[28:29], v[50:51], v[46:47] op_sel:[1,1] op_sel_hi:[0,1]
	v_mov_b32_e32 v31, v25
	s_delay_alu instid0(VALU_DEP_3) | instskip(NEXT) | instid1(VALU_DEP_3)
	v_pk_add_f32 v[22:23], v[22:23], v[26:27]
	v_pk_fma_f32 v[24:25], v[50:51], v[46:47], v[28:29] op_sel_hi:[1,0,1]
	v_pk_fma_f32 v[26:27], v[50:51], v[46:47], v[28:29] neg_lo:[0,0,1] neg_hi:[0,0,1]
	s_delay_alu instid0(VALU_DEP_3) | instskip(NEXT) | instid1(VALU_DEP_3)
	v_pk_add_f32 v[22:23], v[22:23], v[30:31]
	v_mov_b32_e32 v27, v25
	s_delay_alu instid0(VALU_DEP_1) | instskip(SKIP_1) | instid1(VALU_DEP_1)
	v_pk_add_f32 v[22:23], v[22:23], v[26:27]
	s_wait_loadcnt 0x0
	v_pk_add_f32 v[22:23], v[48:49], v[22:23] neg_lo:[0,1] neg_hi:[0,1]
	scratch_store_b64 off, v[22:23], off offset:8
	s_wait_xcnt 0x0
	v_cmpx_ne_u32_e32 0, v0
	s_cbranch_execz .LBB72_67
; %bb.66:
	scratch_load_b64 v[22:23], off, off
	v_mov_b64_e32 v[24:25], 0
	scratch_store_b64 off, v[24:25], off
	s_wait_loadcnt 0x0
	ds_store_b64 v1, v[22:23]
.LBB72_67:
	s_wait_xcnt 0x0
	s_or_b32 exec_lo, exec_lo, s0
	s_wait_storecnt_dscnt 0x0
	s_barrier_signal -1
	s_barrier_wait -1
	s_clause 0x4
	scratch_load_b128 v[22:25], off, off offset:8
	scratch_load_b128 v[26:29], off, off offset:24
	;; [unrolled: 1-line block ×4, first 2 shown]
	scratch_load_b64 v[0:1], off, off
	ds_load_2addr_b64 v[38:41], v20 offset0:11 offset1:12
	ds_load_2addr_b64 v[42:45], v20 offset0:13 offset1:14
	ds_load_2addr_b64 v[46:49], v20 offset0:15 offset1:16
	ds_load_2addr_b64 v[50:53], v20 offset0:17 offset1:18
	s_and_b32 vcc_lo, exec_lo, s12
	s_wait_dscnt 0x3
	v_dual_mov_b32 v20, v41 :: v_dual_mov_b32 v21, v40
	s_wait_dscnt 0x2
	v_dual_mov_b32 v54, v45 :: v_dual_mov_b32 v55, v44
	;; [unrolled: 2-line block ×3, first 2 shown]
	v_dual_mov_b32 v56, v49 :: v_dual_mov_b32 v57, v48
	s_wait_loadcnt 0x4
	v_pk_mul_f32 v[60:61], v[38:39], v[22:23] op_sel:[1,1] op_sel_hi:[0,1]
	v_mov_b32_e32 v62, v25
	s_wait_loadcnt 0x3
	v_pk_mul_f32 v[64:65], v[42:43], v[26:27] op_sel:[1,1] op_sel_hi:[0,1]
	v_mov_b32_e32 v66, v29
	v_pk_fma_f32 v[68:69], v[38:39], v[22:23], v[60:61] op_sel_hi:[1,0,1]
	v_pk_mul_f32 v[20:21], v[20:21], v[62:63] op_sel_hi:[1,0]
	v_pk_fma_f32 v[22:23], v[38:39], v[22:23], v[60:61] neg_lo:[0,0,1] neg_hi:[0,0,1]
	s_wait_loadcnt 0x2
	v_mov_b32_e32 v68, v33
	v_pk_fma_f32 v[60:61], v[42:43], v[26:27], v[64:65] op_sel_hi:[1,0,1]
	v_mov_b32_e32 v23, v69
	v_pk_fma_f32 v[38:39], v[40:41], v[24:25], v[20:21] op_sel_hi:[1,0,1]
	v_pk_fma_f32 v[20:21], v[40:41], v[24:25], v[20:21] neg_lo:[0,0,1] neg_hi:[0,0,1]
	v_pk_mul_f32 v[54:55], v[54:55], v[66:67] op_sel_hi:[1,0]
	v_pk_fma_f32 v[26:27], v[42:43], v[26:27], v[64:65] neg_lo:[0,0,1] neg_hi:[0,0,1]
	v_pk_add_f32 v[22:23], v[22:23], 0 op_sel_hi:[1,0]
	v_dual_mov_b32 v21, v39 :: v_dual_mov_b32 v27, v61
	v_pk_mul_f32 v[62:63], v[46:47], v[30:31] op_sel:[1,1] op_sel_hi:[0,1]
	v_pk_fma_f32 v[38:39], v[44:45], v[28:29], v[54:55] op_sel_hi:[1,0,1]
	v_pk_fma_f32 v[28:29], v[44:45], v[28:29], v[54:55] neg_lo:[0,0,1] neg_hi:[0,0,1]
	s_delay_alu instid0(VALU_DEP_4)
	v_pk_add_f32 v[20:21], v[22:23], v[20:21]
	v_pk_mul_f32 v[40:41], v[56:57], v[68:69] op_sel_hi:[1,0]
	v_pk_fma_f32 v[22:23], v[46:47], v[30:31], v[62:63] op_sel_hi:[1,0,1]
	s_wait_loadcnt 0x1
	v_dual_mov_b32 v29, v39 :: v_dual_mov_b32 v22, v37
	v_pk_add_f32 v[20:21], v[20:21], v[26:27]
	v_pk_fma_f32 v[26:27], v[46:47], v[30:31], v[62:63] neg_lo:[0,0,1] neg_hi:[0,0,1]
	v_pk_mul_f32 v[24:25], v[50:51], v[34:35] op_sel:[1,1] op_sel_hi:[0,1]
	v_pk_fma_f32 v[30:31], v[48:49], v[32:33], v[40:41] op_sel_hi:[1,0,1]
	v_mov_b32_e32 v27, v23
	v_pk_add_f32 v[20:21], v[20:21], v[28:29]
	v_pk_fma_f32 v[32:33], v[48:49], v[32:33], v[40:41] neg_lo:[0,0,1] neg_hi:[0,0,1]
	v_pk_fma_f32 v[28:29], v[50:51], v[34:35], v[24:25] op_sel_hi:[1,0,1]
	v_pk_mul_f32 v[22:23], v[58:59], v[22:23] op_sel_hi:[1,0]
	v_mov_b32_e32 v33, v31
	v_pk_add_f32 v[20:21], v[20:21], v[26:27]
	v_pk_fma_f32 v[24:25], v[50:51], v[34:35], v[24:25] neg_lo:[0,0,1] neg_hi:[0,0,1]
	s_delay_alu instid0(VALU_DEP_4) | instskip(SKIP_1) | instid1(VALU_DEP_4)
	v_pk_fma_f32 v[26:27], v[52:53], v[36:37], v[22:23] op_sel_hi:[1,0,1]
	v_mov_b32_e32 v25, v29
	v_pk_add_f32 v[20:21], v[20:21], v[32:33]
	v_pk_fma_f32 v[22:23], v[52:53], v[36:37], v[22:23] neg_lo:[0,0,1] neg_hi:[0,0,1]
	s_delay_alu instid0(VALU_DEP_4) | instskip(NEXT) | instid1(VALU_DEP_3)
	v_mov_b32_e32 v23, v27
	v_pk_add_f32 v[20:21], v[20:21], v[24:25]
	s_delay_alu instid0(VALU_DEP_1) | instskip(SKIP_1) | instid1(VALU_DEP_1)
	v_pk_add_f32 v[20:21], v[20:21], v[22:23]
	s_wait_loadcnt 0x0
	v_pk_add_f32 v[0:1], v[0:1], v[20:21] neg_lo:[0,1] neg_hi:[0,1]
	scratch_store_b64 off, v[0:1], off
	s_cbranch_vccz .LBB72_84
; %bb.68:
	s_wait_xcnt 0x0
	v_mov_b32_e32 v0, 0
	global_load_b32 v1, v0, s[8:9] offset:28
	s_wait_loadcnt 0x0
	v_cmp_ne_u32_e32 vcc_lo, 8, v1
	s_cbranch_vccz .LBB72_70
; %bb.69:
	v_lshlrev_b32_e32 v1, 3, v1
	scratch_load_b64 v[20:21], v1, off offset:-8
	scratch_load_b64 v[22:23], off, off offset:56
	s_wait_loadcnt 0x1
	scratch_store_b64 off, v[20:21], off offset:56
	s_wait_loadcnt 0x0
	scratch_store_b64 v1, v[22:23], off offset:-8
.LBB72_70:
	global_load_b32 v0, v0, s[8:9] offset:24
	s_wait_loadcnt 0x0
	v_cmp_eq_u32_e32 vcc_lo, 7, v0
	s_cbranch_vccnz .LBB72_72
; %bb.71:
	s_wait_xcnt 0x0
	v_lshlrev_b32_e32 v0, 3, v0
	s_delay_alu instid0(VALU_DEP_1)
	v_mov_b32_e32 v22, v0
	scratch_load_b64 v[0:1], v22, off offset:-8
	scratch_load_b64 v[20:21], off, off offset:48
	s_wait_loadcnt 0x1
	scratch_store_b64 off, v[0:1], off offset:48
	s_wait_loadcnt 0x0
	scratch_store_b64 v22, v[20:21], off offset:-8
.LBB72_72:
	s_wait_xcnt 0x0
	v_mov_b32_e32 v0, 0
	global_load_b32 v1, v0, s[8:9] offset:20
	s_wait_loadcnt 0x0
	v_cmp_eq_u32_e32 vcc_lo, 6, v1
	s_cbranch_vccnz .LBB72_74
; %bb.73:
	v_lshlrev_b32_e32 v1, 3, v1
	scratch_load_b64 v[20:21], v1, off offset:-8
	scratch_load_b64 v[22:23], off, off offset:40
	s_wait_loadcnt 0x1
	scratch_store_b64 off, v[20:21], off offset:40
	s_wait_loadcnt 0x0
	scratch_store_b64 v1, v[22:23], off offset:-8
.LBB72_74:
	global_load_b32 v0, v0, s[8:9] offset:16
	s_wait_loadcnt 0x0
	v_cmp_eq_u32_e32 vcc_lo, 5, v0
	s_cbranch_vccnz .LBB72_76
; %bb.75:
	s_wait_xcnt 0x0
	v_lshlrev_b32_e32 v0, 3, v0
	s_delay_alu instid0(VALU_DEP_1)
	v_mov_b32_e32 v22, v0
	scratch_load_b64 v[0:1], v22, off offset:-8
	scratch_load_b64 v[20:21], off, off offset:32
	s_wait_loadcnt 0x1
	scratch_store_b64 off, v[0:1], off offset:32
	s_wait_loadcnt 0x0
	scratch_store_b64 v22, v[20:21], off offset:-8
.LBB72_76:
	s_wait_xcnt 0x0
	v_mov_b32_e32 v0, 0
	global_load_b32 v1, v0, s[8:9] offset:12
	s_wait_loadcnt 0x0
	v_cmp_eq_u32_e32 vcc_lo, 4, v1
	s_cbranch_vccnz .LBB72_78
; %bb.77:
	v_lshlrev_b32_e32 v1, 3, v1
	scratch_load_b64 v[20:21], v1, off offset:-8
	scratch_load_b64 v[22:23], off, off offset:24
	s_wait_loadcnt 0x1
	scratch_store_b64 off, v[20:21], off offset:24
	s_wait_loadcnt 0x0
	scratch_store_b64 v1, v[22:23], off offset:-8
.LBB72_78:
	;; [unrolled: 31-line block ×3, first 2 shown]
	global_load_b32 v20, v0, s[8:9]
	scratch_load_b64 v[0:1], off, off
	s_wait_loadcnt 0x1
	v_cmp_eq_u32_e32 vcc_lo, 1, v20
	s_cbranch_vccnz .LBB72_84
; %bb.83:
	v_lshlrev_b32_e32 v20, 3, v20
	s_delay_alu instid0(VALU_DEP_1)
	v_mov_b32_e32 v22, v20
	scratch_load_b64 v[20:21], v22, off offset:-8
	s_wait_loadcnt 0x0
	scratch_store_b64 off, v[20:21], off
	scratch_store_b64 v22, v[0:1], off offset:-8
	scratch_load_b64 v[0:1], off, off
.LBB72_84:
	s_wait_loadcnt 0x0
	flat_store_b64 v[2:3], v[0:1]
	scratch_load_b64 v[0:1], off, off offset:8
	v_lshl_add_u64 v[24:25], v[6:7], 3, s[2:3]
	v_lshl_add_u64 v[22:23], v[8:9], 3, s[2:3]
	;; [unrolled: 1-line block ×7, first 2 shown]
	s_wait_loadcnt 0x0
	flat_store_b64 v[4:5], v[0:1]
	scratch_load_b64 v[0:1], off, off offset:16
	s_wait_loadcnt 0x0
	flat_store_b64 v[24:25], v[0:1]
	scratch_load_b64 v[0:1], off, off offset:24
	;; [unrolled: 3-line block ×7, first 2 shown]
	s_wait_loadcnt 0x0
	flat_store_b64 v[6:7], v[0:1]
	s_sendmsg sendmsg(MSG_DEALLOC_VGPRS)
	s_endpgm
	.section	.rodata,"a",@progbits
	.p2align	6, 0x0
	.amdhsa_kernel _ZN9rocsolver6v33100L18getri_kernel_smallILi9E19rocblas_complex_numIfEPKPS3_EEvT1_iilPiilS8_bb
		.amdhsa_group_segment_fixed_size 152
		.amdhsa_private_segment_fixed_size 80
		.amdhsa_kernarg_size 60
		.amdhsa_user_sgpr_count 2
		.amdhsa_user_sgpr_dispatch_ptr 0
		.amdhsa_user_sgpr_queue_ptr 0
		.amdhsa_user_sgpr_kernarg_segment_ptr 1
		.amdhsa_user_sgpr_dispatch_id 0
		.amdhsa_user_sgpr_kernarg_preload_length 0
		.amdhsa_user_sgpr_kernarg_preload_offset 0
		.amdhsa_user_sgpr_private_segment_size 0
		.amdhsa_wavefront_size32 1
		.amdhsa_uses_dynamic_stack 0
		.amdhsa_enable_private_segment 1
		.amdhsa_system_sgpr_workgroup_id_x 1
		.amdhsa_system_sgpr_workgroup_id_y 0
		.amdhsa_system_sgpr_workgroup_id_z 0
		.amdhsa_system_sgpr_workgroup_info 0
		.amdhsa_system_vgpr_workitem_id 0
		.amdhsa_next_free_vgpr 70
		.amdhsa_next_free_sgpr 19
		.amdhsa_named_barrier_count 0
		.amdhsa_reserve_vcc 1
		.amdhsa_float_round_mode_32 0
		.amdhsa_float_round_mode_16_64 0
		.amdhsa_float_denorm_mode_32 3
		.amdhsa_float_denorm_mode_16_64 3
		.amdhsa_fp16_overflow 0
		.amdhsa_memory_ordered 1
		.amdhsa_forward_progress 1
		.amdhsa_inst_pref_size 61
		.amdhsa_round_robin_scheduling 0
		.amdhsa_exception_fp_ieee_invalid_op 0
		.amdhsa_exception_fp_denorm_src 0
		.amdhsa_exception_fp_ieee_div_zero 0
		.amdhsa_exception_fp_ieee_overflow 0
		.amdhsa_exception_fp_ieee_underflow 0
		.amdhsa_exception_fp_ieee_inexact 0
		.amdhsa_exception_int_div_zero 0
	.end_amdhsa_kernel
	.section	.text._ZN9rocsolver6v33100L18getri_kernel_smallILi9E19rocblas_complex_numIfEPKPS3_EEvT1_iilPiilS8_bb,"axG",@progbits,_ZN9rocsolver6v33100L18getri_kernel_smallILi9E19rocblas_complex_numIfEPKPS3_EEvT1_iilPiilS8_bb,comdat
.Lfunc_end72:
	.size	_ZN9rocsolver6v33100L18getri_kernel_smallILi9E19rocblas_complex_numIfEPKPS3_EEvT1_iilPiilS8_bb, .Lfunc_end72-_ZN9rocsolver6v33100L18getri_kernel_smallILi9E19rocblas_complex_numIfEPKPS3_EEvT1_iilPiilS8_bb
                                        ; -- End function
	.set _ZN9rocsolver6v33100L18getri_kernel_smallILi9E19rocblas_complex_numIfEPKPS3_EEvT1_iilPiilS8_bb.num_vgpr, 70
	.set _ZN9rocsolver6v33100L18getri_kernel_smallILi9E19rocblas_complex_numIfEPKPS3_EEvT1_iilPiilS8_bb.num_agpr, 0
	.set _ZN9rocsolver6v33100L18getri_kernel_smallILi9E19rocblas_complex_numIfEPKPS3_EEvT1_iilPiilS8_bb.numbered_sgpr, 19
	.set _ZN9rocsolver6v33100L18getri_kernel_smallILi9E19rocblas_complex_numIfEPKPS3_EEvT1_iilPiilS8_bb.num_named_barrier, 0
	.set _ZN9rocsolver6v33100L18getri_kernel_smallILi9E19rocblas_complex_numIfEPKPS3_EEvT1_iilPiilS8_bb.private_seg_size, 80
	.set _ZN9rocsolver6v33100L18getri_kernel_smallILi9E19rocblas_complex_numIfEPKPS3_EEvT1_iilPiilS8_bb.uses_vcc, 1
	.set _ZN9rocsolver6v33100L18getri_kernel_smallILi9E19rocblas_complex_numIfEPKPS3_EEvT1_iilPiilS8_bb.uses_flat_scratch, 1
	.set _ZN9rocsolver6v33100L18getri_kernel_smallILi9E19rocblas_complex_numIfEPKPS3_EEvT1_iilPiilS8_bb.has_dyn_sized_stack, 0
	.set _ZN9rocsolver6v33100L18getri_kernel_smallILi9E19rocblas_complex_numIfEPKPS3_EEvT1_iilPiilS8_bb.has_recursion, 0
	.set _ZN9rocsolver6v33100L18getri_kernel_smallILi9E19rocblas_complex_numIfEPKPS3_EEvT1_iilPiilS8_bb.has_indirect_call, 0
	.section	.AMDGPU.csdata,"",@progbits
; Kernel info:
; codeLenInByte = 7780
; TotalNumSgprs: 21
; NumVgprs: 70
; ScratchSize: 80
; MemoryBound: 0
; FloatMode: 240
; IeeeMode: 1
; LDSByteSize: 152 bytes/workgroup (compile time only)
; SGPRBlocks: 0
; VGPRBlocks: 4
; NumSGPRsForWavesPerEU: 21
; NumVGPRsForWavesPerEU: 70
; NamedBarCnt: 0
; Occupancy: 12
; WaveLimiterHint : 1
; COMPUTE_PGM_RSRC2:SCRATCH_EN: 1
; COMPUTE_PGM_RSRC2:USER_SGPR: 2
; COMPUTE_PGM_RSRC2:TRAP_HANDLER: 0
; COMPUTE_PGM_RSRC2:TGID_X_EN: 1
; COMPUTE_PGM_RSRC2:TGID_Y_EN: 0
; COMPUTE_PGM_RSRC2:TGID_Z_EN: 0
; COMPUTE_PGM_RSRC2:TIDIG_COMP_CNT: 0
	.section	.text._ZN9rocsolver6v33100L18getri_kernel_smallILi10E19rocblas_complex_numIfEPKPS3_EEvT1_iilPiilS8_bb,"axG",@progbits,_ZN9rocsolver6v33100L18getri_kernel_smallILi10E19rocblas_complex_numIfEPKPS3_EEvT1_iilPiilS8_bb,comdat
	.globl	_ZN9rocsolver6v33100L18getri_kernel_smallILi10E19rocblas_complex_numIfEPKPS3_EEvT1_iilPiilS8_bb ; -- Begin function _ZN9rocsolver6v33100L18getri_kernel_smallILi10E19rocblas_complex_numIfEPKPS3_EEvT1_iilPiilS8_bb
	.p2align	8
	.type	_ZN9rocsolver6v33100L18getri_kernel_smallILi10E19rocblas_complex_numIfEPKPS3_EEvT1_iilPiilS8_bb,@function
_ZN9rocsolver6v33100L18getri_kernel_smallILi10E19rocblas_complex_numIfEPKPS3_EEvT1_iilPiilS8_bb: ; @_ZN9rocsolver6v33100L18getri_kernel_smallILi10E19rocblas_complex_numIfEPKPS3_EEvT1_iilPiilS8_bb
; %bb.0:
	s_mov_b32 s2, exec_lo
	v_cmpx_gt_u32_e32 10, v0
	s_cbranch_execz .LBB73_54
; %bb.1:
	s_clause 0x1
	s_load_b32 s13, s[0:1], 0x38
	s_load_b64 s[2:3], s[0:1], 0x0
	s_getreg_b32 s6, hwreg(HW_REG_IB_STS2, 6, 4)
	s_wait_kmcnt 0x0
	s_bitcmp1_b32 s13, 8
	s_cselect_b32 s12, -1, 0
	s_bfe_u32 s4, ttmp6, 0x4000c
	s_and_b32 s5, ttmp6, 15
	s_add_co_i32 s4, s4, 1
	s_delay_alu instid0(SALU_CYCLE_1) | instskip(NEXT) | instid1(SALU_CYCLE_1)
	s_mul_i32 s4, ttmp9, s4
	s_add_co_i32 s5, s5, s4
	s_cmp_eq_u32 s6, 0
	s_cselect_b32 s10, ttmp9, s5
	s_load_b128 s[4:7], s[0:1], 0x28
	s_ashr_i32 s11, s10, 31
	s_delay_alu instid0(SALU_CYCLE_1) | instskip(NEXT) | instid1(SALU_CYCLE_1)
	s_lshl_b64 s[8:9], s[10:11], 3
	s_add_nc_u64 s[2:3], s[2:3], s[8:9]
	s_bfe_u32 s8, s13, 0x10008
	s_load_b64 s[2:3], s[2:3], 0x0
	s_cmp_eq_u32 s8, 0
                                        ; implicit-def: $sgpr8_sgpr9
	s_cbranch_scc1 .LBB73_3
; %bb.2:
	s_load_b96 s[16:18], s[0:1], 0x18
	s_wait_kmcnt 0x0
	s_mul_u64 s[4:5], s[4:5], s[10:11]
	s_delay_alu instid0(SALU_CYCLE_1) | instskip(SKIP_4) | instid1(SALU_CYCLE_1)
	s_lshl_b64 s[4:5], s[4:5], 2
	s_ashr_i32 s9, s18, 31
	s_mov_b32 s8, s18
	s_add_nc_u64 s[4:5], s[16:17], s[4:5]
	s_lshl_b64 s[8:9], s[8:9], 2
	s_add_nc_u64 s[8:9], s[4:5], s[8:9]
.LBB73_3:
	s_wait_kmcnt 0x0
	s_clause 0x1
	s_load_b64 s[4:5], s[0:1], 0x8
	s_load_b32 s13, s[0:1], 0x38
	v_dual_mov_b32 v23, 0 :: v_dual_lshlrev_b32 v22, 3, v0
	s_wait_kmcnt 0x0
	s_ashr_i32 s1, s4, 31
	s_mov_b32 s0, s4
	s_delay_alu instid0(SALU_CYCLE_1) | instskip(NEXT) | instid1(SALU_CYCLE_1)
	s_lshl_b64 s[0:1], s[0:1], 3
	s_add_nc_u64 s[2:3], s[2:3], s[0:1]
	s_ashr_i32 s1, s5, 31
	flat_load_b64 v[6:7], v0, s[2:3] scale_offset
	v_add_nc_u64_e32 v[2:3], s[2:3], v[22:23]
	s_mov_b32 s0, s5
	s_bitcmp0_b32 s13, 0
	s_delay_alu instid0(VALU_DEP_1)
	v_lshl_add_u64 v[4:5], s[0:1], 3, v[2:3]
	s_mov_b32 s1, -1
	s_wait_loadcnt_dscnt 0x0
	scratch_store_b64 off, v[6:7], off
	flat_load_b64 v[8:9], v[4:5]
	s_wait_xcnt 0x1
	v_add3_u32 v6, s5, s5, v0
	s_wait_loadcnt_dscnt 0x0
	scratch_store_b64 off, v[8:9], off offset:8
	flat_load_b64 v[10:11], v6, s[2:3] scale_offset
	s_wait_xcnt 0x1
	v_add_nc_u32_e32 v8, s5, v6
	s_wait_loadcnt_dscnt 0x0
	scratch_store_b64 off, v[10:11], off offset:16
	flat_load_b64 v[12:13], v8, s[2:3] scale_offset
	s_wait_xcnt 0x1
	v_add_nc_u32_e32 v10, s5, v8
	;; [unrolled: 5-line block ×7, first 2 shown]
	s_wait_loadcnt_dscnt 0x0
	scratch_store_b64 off, v[24:25], off offset:64
	flat_load_b64 v[24:25], v20, s[2:3] scale_offset
	s_wait_loadcnt_dscnt 0x0
	scratch_store_b64 off, v[24:25], off offset:72
	s_cbranch_scc1 .LBB73_52
; %bb.4:
	v_cmp_eq_u32_e64 s0, 0, v0
	s_wait_xcnt 0x0
	s_and_saveexec_b32 s1, s0
; %bb.5:
	v_mov_b32_e32 v1, 0
	ds_store_b32 v1, v1 offset:160
; %bb.6:
	s_or_b32 exec_lo, exec_lo, s1
	s_wait_storecnt_dscnt 0x0
	s_barrier_signal -1
	s_barrier_wait -1
	scratch_load_b64 v[24:25], v0, off scale_offset
	s_wait_loadcnt 0x0
	v_cmp_eq_f32_e32 vcc_lo, 0, v24
	v_cmp_eq_f32_e64 s1, 0, v25
	s_and_b32 s1, vcc_lo, s1
	s_delay_alu instid0(SALU_CYCLE_1)
	s_and_saveexec_b32 s4, s1
	s_cbranch_execz .LBB73_10
; %bb.7:
	v_mov_b32_e32 v1, 0
	s_mov_b32 s5, 0
	ds_load_b32 v7, v1 offset:160
	s_wait_dscnt 0x0
	v_readfirstlane_b32 s1, v7
	v_add_nc_u32_e32 v7, 1, v0
	s_cmp_eq_u32 s1, 0
	s_delay_alu instid0(VALU_DEP_1) | instskip(SKIP_1) | instid1(SALU_CYCLE_1)
	v_cmp_gt_i32_e32 vcc_lo, s1, v7
	s_cselect_b32 s13, -1, 0
	s_or_b32 s13, s13, vcc_lo
	s_delay_alu instid0(SALU_CYCLE_1)
	s_and_b32 exec_lo, exec_lo, s13
	s_cbranch_execz .LBB73_10
; %bb.8:
	v_mov_b32_e32 v9, s1
.LBB73_9:                               ; =>This Inner Loop Header: Depth=1
	ds_cmpstore_rtn_b32 v9, v1, v7, v9 offset:160
	s_wait_dscnt 0x0
	v_cmp_ne_u32_e32 vcc_lo, 0, v9
	v_cmp_le_i32_e64 s1, v9, v7
	s_and_b32 s1, vcc_lo, s1
	s_delay_alu instid0(SALU_CYCLE_1) | instskip(NEXT) | instid1(SALU_CYCLE_1)
	s_and_b32 s1, exec_lo, s1
	s_or_b32 s5, s1, s5
	s_delay_alu instid0(SALU_CYCLE_1)
	s_and_not1_b32 exec_lo, exec_lo, s5
	s_cbranch_execnz .LBB73_9
.LBB73_10:
	s_or_b32 exec_lo, exec_lo, s4
	v_mov_b32_e32 v1, 0
	s_barrier_signal -1
	s_barrier_wait -1
	ds_load_b32 v7, v1 offset:160
	s_and_saveexec_b32 s1, s0
	s_cbranch_execz .LBB73_12
; %bb.11:
	s_lshl_b64 s[4:5], s[10:11], 2
	s_delay_alu instid0(SALU_CYCLE_1)
	s_add_nc_u64 s[4:5], s[6:7], s[4:5]
	s_wait_dscnt 0x0
	global_store_b32 v1, v7, s[4:5]
.LBB73_12:
	s_wait_xcnt 0x0
	s_or_b32 exec_lo, exec_lo, s1
	s_wait_dscnt 0x0
	v_cmp_ne_u32_e32 vcc_lo, 0, v7
	s_mov_b32 s1, 0
	s_cbranch_vccnz .LBB73_52
; %bb.13:
	v_lshl_add_u32 v7, v0, 3, 0
                                        ; implicit-def: $vgpr27
                                        ; implicit-def: $vgpr28
	scratch_load_b64 v[24:25], v7, off
	s_wait_loadcnt 0x0
	v_cmp_ngt_f32_e64 s1, |v24|, |v25|
	s_wait_xcnt 0x0
	s_and_saveexec_b32 s4, s1
	s_delay_alu instid0(SALU_CYCLE_1)
	s_xor_b32 s1, exec_lo, s4
	s_cbranch_execz .LBB73_15
; %bb.14:
	v_div_scale_f32 v1, null, v25, v25, v24
	v_div_scale_f32 v13, vcc_lo, v24, v25, v24
	s_delay_alu instid0(VALU_DEP_2) | instskip(SKIP_1) | instid1(TRANS32_DEP_1)
	v_rcp_f32_e32 v9, v1
	v_nop
	v_fma_f32 v11, -v1, v9, 1.0
	s_delay_alu instid0(VALU_DEP_1) | instskip(NEXT) | instid1(VALU_DEP_1)
	v_fmac_f32_e32 v9, v11, v9
	v_mul_f32_e32 v11, v13, v9
	s_delay_alu instid0(VALU_DEP_1) | instskip(NEXT) | instid1(VALU_DEP_1)
	v_fma_f32 v15, -v1, v11, v13
	v_fmac_f32_e32 v11, v15, v9
	s_delay_alu instid0(VALU_DEP_1) | instskip(NEXT) | instid1(VALU_DEP_1)
	v_fma_f32 v1, -v1, v11, v13
	v_div_fmas_f32 v1, v1, v9, v11
	s_delay_alu instid0(VALU_DEP_1) | instskip(NEXT) | instid1(VALU_DEP_1)
	v_div_fixup_f32 v1, v1, v25, v24
	v_fmac_f32_e32 v25, v24, v1
	s_delay_alu instid0(VALU_DEP_1) | instskip(NEXT) | instid1(VALU_DEP_1)
	v_div_scale_f32 v9, null, v25, v25, -1.0
	v_rcp_f32_e32 v11, v9
	v_nop
	s_delay_alu instid0(TRANS32_DEP_1) | instskip(NEXT) | instid1(VALU_DEP_1)
	v_fma_f32 v13, -v9, v11, 1.0
	v_fmac_f32_e32 v11, v13, v11
	v_div_scale_f32 v13, vcc_lo, -1.0, v25, -1.0
	s_delay_alu instid0(VALU_DEP_1) | instskip(NEXT) | instid1(VALU_DEP_1)
	v_mul_f32_e32 v15, v13, v11
	v_fma_f32 v17, -v9, v15, v13
	s_delay_alu instid0(VALU_DEP_1) | instskip(NEXT) | instid1(VALU_DEP_1)
	v_fmac_f32_e32 v15, v17, v11
	v_fma_f32 v9, -v9, v15, v13
	s_delay_alu instid0(VALU_DEP_1) | instskip(NEXT) | instid1(VALU_DEP_1)
	v_div_fmas_f32 v9, v9, v11, v15
	v_div_fixup_f32 v27, v9, v25, -1.0
                                        ; implicit-def: $vgpr24_vgpr25
	s_delay_alu instid0(VALU_DEP_1) | instskip(NEXT) | instid1(VALU_DEP_1)
	v_mul_f32_e32 v28, v1, v27
	v_xor_b32_e32 v26, 0x80000000, v28
.LBB73_15:
	s_and_not1_saveexec_b32 s1, s1
	s_cbranch_execz .LBB73_17
; %bb.16:
	v_div_scale_f32 v1, null, v24, v24, v25
	v_div_scale_f32 v13, vcc_lo, v25, v24, v25
	s_delay_alu instid0(VALU_DEP_2) | instskip(SKIP_1) | instid1(TRANS32_DEP_1)
	v_rcp_f32_e32 v9, v1
	v_nop
	v_fma_f32 v11, -v1, v9, 1.0
	s_delay_alu instid0(VALU_DEP_1) | instskip(NEXT) | instid1(VALU_DEP_1)
	v_fmac_f32_e32 v9, v11, v9
	v_mul_f32_e32 v11, v13, v9
	s_delay_alu instid0(VALU_DEP_1) | instskip(NEXT) | instid1(VALU_DEP_1)
	v_fma_f32 v15, -v1, v11, v13
	v_fmac_f32_e32 v11, v15, v9
	s_delay_alu instid0(VALU_DEP_1) | instskip(NEXT) | instid1(VALU_DEP_1)
	v_fma_f32 v1, -v1, v11, v13
	v_div_fmas_f32 v1, v1, v9, v11
	s_delay_alu instid0(VALU_DEP_1) | instskip(NEXT) | instid1(VALU_DEP_1)
	v_div_fixup_f32 v1, v1, v24, v25
	v_fmac_f32_e32 v24, v25, v1
	s_delay_alu instid0(VALU_DEP_1) | instskip(SKIP_1) | instid1(VALU_DEP_2)
	v_div_scale_f32 v9, null, v24, v24, 1.0
	v_div_scale_f32 v15, vcc_lo, 1.0, v24, 1.0
	v_rcp_f32_e32 v11, v9
	v_nop
	s_delay_alu instid0(TRANS32_DEP_1) | instskip(NEXT) | instid1(VALU_DEP_1)
	v_fma_f32 v13, -v9, v11, 1.0
	v_fmac_f32_e32 v11, v13, v11
	s_delay_alu instid0(VALU_DEP_1) | instskip(NEXT) | instid1(VALU_DEP_1)
	v_mul_f32_e32 v13, v15, v11
	v_fma_f32 v17, -v9, v13, v15
	s_delay_alu instid0(VALU_DEP_1) | instskip(NEXT) | instid1(VALU_DEP_1)
	v_fmac_f32_e32 v13, v17, v11
	v_fma_f32 v9, -v9, v13, v15
	s_delay_alu instid0(VALU_DEP_1) | instskip(NEXT) | instid1(VALU_DEP_1)
	v_div_fmas_f32 v9, v9, v11, v13
	v_div_fixup_f32 v26, v9, v24, 1.0
	s_delay_alu instid0(VALU_DEP_1)
	v_xor_b32_e32 v28, 0x80000000, v26
	v_mul_f32_e64 v27, v1, -v26
.LBB73_17:
	s_or_b32 exec_lo, exec_lo, s1
	scratch_store_b64 v7, v[26:27], off
	scratch_load_b64 v[24:25], off, off offset:8
	v_xor_b32_e32 v29, 0x80000000, v27
	v_add_nc_u32_e32 v1, 0x50, v22
	s_wait_loadcnt 0x0
	ds_store_2addr_b64 v22, v[28:29], v[24:25] offset1:10
	s_wait_storecnt_dscnt 0x0
	s_barrier_signal -1
	s_barrier_wait -1
	s_wait_xcnt 0x0
	s_and_saveexec_b32 s1, s0
	s_cbranch_execz .LBB73_19
; %bb.18:
	scratch_load_b64 v[24:25], v7, off
	ds_load_b64 v[26:27], v1
	s_wait_loadcnt_dscnt 0x0
	v_pk_mul_f32 v[30:31], v[26:27], v[24:25] op_sel:[1,1] op_sel_hi:[0,1]
	s_delay_alu instid0(VALU_DEP_1) | instskip(SKIP_2) | instid1(VALU_DEP_3)
	v_pk_fma_f32 v[32:33], v[26:27], v[24:25], v[30:31] op_sel_hi:[1,0,1]
	v_mov_b32_e32 v9, 0
	v_pk_fma_f32 v[24:25], v[26:27], v[24:25], v[30:31] neg_lo:[0,0,1] neg_hi:[0,0,1]
	v_mov_b32_e32 v25, v33
	ds_load_b64 v[28:29], v9 offset:8
	v_pk_add_f32 v[24:25], v[24:25], 0 op_sel_hi:[1,0]
	s_wait_dscnt 0x0
	s_delay_alu instid0(VALU_DEP_1) | instskip(NEXT) | instid1(VALU_DEP_1)
	v_pk_mul_f32 v[26:27], v[24:25], v[28:29] op_sel:[1,1] op_sel_hi:[0,1]
	v_pk_fma_f32 v[30:31], v[24:25], v[28:29], v[26:27] op_sel_hi:[1,0,1]
	v_pk_fma_f32 v[24:25], v[24:25], v[28:29], v[26:27] neg_lo:[0,0,1] neg_hi:[0,0,1]
	s_delay_alu instid0(VALU_DEP_2)
	v_mov_b32_e32 v25, v31
	scratch_store_b64 off, v[24:25], off offset:8
.LBB73_19:
	s_wait_xcnt 0x0
	s_or_b32 exec_lo, exec_lo, s1
	s_wait_storecnt 0x0
	s_barrier_signal -1
	s_barrier_wait -1
	scratch_load_b64 v[24:25], off, off offset:16
	s_mov_b32 s1, exec_lo
	s_wait_loadcnt 0x0
	ds_store_b64 v1, v[24:25]
	s_wait_dscnt 0x0
	s_barrier_signal -1
	s_barrier_wait -1
	v_cmpx_gt_u32_e32 2, v0
	s_cbranch_execz .LBB73_23
; %bb.20:
	scratch_load_b64 v[24:25], v7, off
	ds_load_b64 v[26:27], v1
	s_wait_loadcnt_dscnt 0x0
	v_pk_mul_f32 v[28:29], v[26:27], v[24:25] op_sel:[1,1] op_sel_hi:[0,1]
	s_delay_alu instid0(VALU_DEP_1) | instskip(SKIP_1) | instid1(VALU_DEP_2)
	v_pk_fma_f32 v[30:31], v[26:27], v[24:25], v[28:29] op_sel_hi:[1,0,1]
	v_pk_fma_f32 v[24:25], v[26:27], v[24:25], v[28:29] neg_lo:[0,0,1] neg_hi:[0,0,1]
	v_mov_b32_e32 v25, v31
	s_delay_alu instid0(VALU_DEP_1)
	v_pk_add_f32 v[24:25], v[24:25], 0 op_sel_hi:[1,0]
	s_and_saveexec_b32 s4, s0
	s_cbranch_execz .LBB73_22
; %bb.21:
	scratch_load_b64 v[26:27], off, off offset:8
	v_mov_b32_e32 v7, 0
	ds_load_b64 v[28:29], v7 offset:88
	s_wait_loadcnt_dscnt 0x0
	v_pk_mul_f32 v[30:31], v[28:29], v[26:27] op_sel:[1,1] op_sel_hi:[0,1]
	s_delay_alu instid0(VALU_DEP_1) | instskip(SKIP_1) | instid1(VALU_DEP_2)
	v_pk_fma_f32 v[32:33], v[28:29], v[26:27], v[30:31] op_sel_hi:[1,0,1]
	v_pk_fma_f32 v[26:27], v[28:29], v[26:27], v[30:31] neg_lo:[0,0,1] neg_hi:[0,0,1]
	v_mov_b32_e32 v27, v33
	s_delay_alu instid0(VALU_DEP_1)
	v_pk_add_f32 v[24:25], v[24:25], v[26:27]
.LBB73_22:
	s_or_b32 exec_lo, exec_lo, s4
	v_mov_b32_e32 v7, 0
	ds_load_b64 v[26:27], v7 offset:16
	s_wait_dscnt 0x0
	v_pk_mul_f32 v[28:29], v[24:25], v[26:27] op_sel:[1,1] op_sel_hi:[0,1]
	s_delay_alu instid0(VALU_DEP_1) | instskip(SKIP_1) | instid1(VALU_DEP_2)
	v_pk_fma_f32 v[30:31], v[24:25], v[26:27], v[28:29] op_sel_hi:[1,0,1]
	v_pk_fma_f32 v[24:25], v[24:25], v[26:27], v[28:29] neg_lo:[0,0,1] neg_hi:[0,0,1]
	v_mov_b32_e32 v25, v31
	scratch_store_b64 off, v[24:25], off offset:16
.LBB73_23:
	s_wait_xcnt 0x0
	s_or_b32 exec_lo, exec_lo, s1
	s_wait_storecnt 0x0
	s_barrier_signal -1
	s_barrier_wait -1
	scratch_load_b64 v[24:25], off, off offset:24
	v_add_nc_u32_e32 v7, -1, v0
	s_mov_b32 s0, exec_lo
	s_wait_loadcnt 0x0
	ds_store_b64 v1, v[24:25]
	s_wait_dscnt 0x0
	s_barrier_signal -1
	s_barrier_wait -1
	v_cmpx_gt_u32_e32 3, v0
	s_cbranch_execz .LBB73_27
; %bb.24:
	v_dual_mov_b32 v24, 0 :: v_dual_add_nc_u32 v9, -1, v0
	v_add_nc_u32_e32 v11, 0x50, v22
	v_mov_b32_e32 v13, v22
	s_mov_b32 s1, 0
	s_delay_alu instid0(VALU_DEP_3)
	v_mov_b32_e32 v25, v24
.LBB73_25:                              ; =>This Inner Loop Header: Depth=1
	scratch_load_b64 v[26:27], v13, off
	ds_load_b64 v[28:29], v11
	s_wait_xcnt 0x0
	v_dual_add_nc_u32 v11, 8, v11 :: v_dual_add_nc_u32 v13, 8, v13
	s_wait_loadcnt_dscnt 0x0
	v_pk_mul_f32 v[30:31], v[28:29], v[26:27] op_sel:[1,1] op_sel_hi:[0,1]
	s_delay_alu instid0(VALU_DEP_1) | instskip(SKIP_2) | instid1(VALU_DEP_3)
	v_pk_fma_f32 v[32:33], v[28:29], v[26:27], v[30:31] op_sel_hi:[1,0,1]
	v_add_nc_u32_e32 v9, 1, v9
	v_pk_fma_f32 v[26:27], v[28:29], v[26:27], v[30:31] neg_lo:[0,0,1] neg_hi:[0,0,1]
	v_mov_b32_e32 v27, v33
	s_delay_alu instid0(VALU_DEP_3) | instskip(NEXT) | instid1(VALU_DEP_2)
	v_cmp_lt_u32_e32 vcc_lo, 1, v9
	v_pk_add_f32 v[24:25], v[24:25], v[26:27]
	s_or_b32 s1, vcc_lo, s1
	s_delay_alu instid0(SALU_CYCLE_1)
	s_and_not1_b32 exec_lo, exec_lo, s1
	s_cbranch_execnz .LBB73_25
; %bb.26:
	s_or_b32 exec_lo, exec_lo, s1
	v_mov_b32_e32 v9, 0
	ds_load_b64 v[26:27], v9 offset:24
	s_wait_dscnt 0x0
	v_pk_mul_f32 v[28:29], v[24:25], v[26:27] op_sel:[1,1] op_sel_hi:[0,1]
	s_delay_alu instid0(VALU_DEP_1) | instskip(SKIP_1) | instid1(VALU_DEP_2)
	v_pk_fma_f32 v[30:31], v[24:25], v[26:27], v[28:29] op_sel_hi:[1,0,1]
	v_pk_fma_f32 v[24:25], v[24:25], v[26:27], v[28:29] neg_lo:[0,0,1] neg_hi:[0,0,1]
	v_mov_b32_e32 v25, v31
	scratch_store_b64 off, v[24:25], off offset:24
.LBB73_27:
	s_wait_xcnt 0x0
	s_or_b32 exec_lo, exec_lo, s0
	s_wait_storecnt 0x0
	s_barrier_signal -1
	s_barrier_wait -1
	scratch_load_b64 v[24:25], off, off offset:32
	s_mov_b32 s0, exec_lo
	s_wait_loadcnt 0x0
	ds_store_b64 v1, v[24:25]
	s_wait_dscnt 0x0
	s_barrier_signal -1
	s_barrier_wait -1
	v_cmpx_gt_u32_e32 4, v0
	s_cbranch_execz .LBB73_31
; %bb.28:
	v_dual_mov_b32 v24, 0 :: v_dual_add_nc_u32 v9, -1, v0
	v_add_nc_u32_e32 v11, 0x50, v22
	v_mov_b32_e32 v13, v22
	s_mov_b32 s1, 0
	s_delay_alu instid0(VALU_DEP_3)
	v_mov_b32_e32 v25, v24
.LBB73_29:                              ; =>This Inner Loop Header: Depth=1
	scratch_load_b64 v[26:27], v13, off
	ds_load_b64 v[28:29], v11
	s_wait_xcnt 0x0
	v_dual_add_nc_u32 v11, 8, v11 :: v_dual_add_nc_u32 v13, 8, v13
	s_wait_loadcnt_dscnt 0x0
	v_pk_mul_f32 v[30:31], v[28:29], v[26:27] op_sel:[1,1] op_sel_hi:[0,1]
	s_delay_alu instid0(VALU_DEP_1) | instskip(SKIP_2) | instid1(VALU_DEP_3)
	v_pk_fma_f32 v[32:33], v[28:29], v[26:27], v[30:31] op_sel_hi:[1,0,1]
	v_add_nc_u32_e32 v9, 1, v9
	v_pk_fma_f32 v[26:27], v[28:29], v[26:27], v[30:31] neg_lo:[0,0,1] neg_hi:[0,0,1]
	v_mov_b32_e32 v27, v33
	s_delay_alu instid0(VALU_DEP_3) | instskip(NEXT) | instid1(VALU_DEP_2)
	v_cmp_lt_u32_e32 vcc_lo, 2, v9
	v_pk_add_f32 v[24:25], v[24:25], v[26:27]
	s_or_b32 s1, vcc_lo, s1
	s_delay_alu instid0(SALU_CYCLE_1)
	s_and_not1_b32 exec_lo, exec_lo, s1
	s_cbranch_execnz .LBB73_29
; %bb.30:
	s_or_b32 exec_lo, exec_lo, s1
	v_mov_b32_e32 v9, 0
	ds_load_b64 v[26:27], v9 offset:32
	s_wait_dscnt 0x0
	v_pk_mul_f32 v[28:29], v[24:25], v[26:27] op_sel:[1,1] op_sel_hi:[0,1]
	s_delay_alu instid0(VALU_DEP_1) | instskip(SKIP_1) | instid1(VALU_DEP_2)
	v_pk_fma_f32 v[30:31], v[24:25], v[26:27], v[28:29] op_sel_hi:[1,0,1]
	v_pk_fma_f32 v[24:25], v[24:25], v[26:27], v[28:29] neg_lo:[0,0,1] neg_hi:[0,0,1]
	v_mov_b32_e32 v25, v31
	scratch_store_b64 off, v[24:25], off offset:32
.LBB73_31:
	s_wait_xcnt 0x0
	s_or_b32 exec_lo, exec_lo, s0
	s_wait_storecnt 0x0
	s_barrier_signal -1
	s_barrier_wait -1
	scratch_load_b64 v[24:25], off, off offset:40
	;; [unrolled: 52-line block ×6, first 2 shown]
	s_mov_b32 s0, exec_lo
	s_wait_loadcnt 0x0
	ds_store_b64 v1, v[24:25]
	s_wait_dscnt 0x0
	s_barrier_signal -1
	s_barrier_wait -1
	v_cmpx_ne_u32_e32 9, v0
	s_cbranch_execz .LBB73_51
; %bb.48:
	v_dual_mov_b32 v24, 0 :: v_dual_mov_b32 v9, v22
	s_mov_b32 s1, 0
	s_delay_alu instid0(VALU_DEP_1)
	v_mov_b32_e32 v25, v24
.LBB73_49:                              ; =>This Inner Loop Header: Depth=1
	scratch_load_b64 v[22:23], v9, off
	ds_load_b64 v[26:27], v1
	v_add_nc_u32_e32 v1, 8, v1
	s_wait_xcnt 0x0
	v_add_nc_u32_e32 v9, 8, v9
	s_wait_loadcnt_dscnt 0x0
	v_pk_mul_f32 v[28:29], v[26:27], v[22:23] op_sel:[1,1] op_sel_hi:[0,1]
	s_delay_alu instid0(VALU_DEP_1) | instskip(SKIP_2) | instid1(VALU_DEP_3)
	v_pk_fma_f32 v[30:31], v[26:27], v[22:23], v[28:29] op_sel_hi:[1,0,1]
	v_add_nc_u32_e32 v7, 1, v7
	v_pk_fma_f32 v[22:23], v[26:27], v[22:23], v[28:29] neg_lo:[0,0,1] neg_hi:[0,0,1]
	v_mov_b32_e32 v23, v31
	s_delay_alu instid0(VALU_DEP_3) | instskip(NEXT) | instid1(VALU_DEP_2)
	v_cmp_lt_u32_e32 vcc_lo, 7, v7
	v_pk_add_f32 v[24:25], v[24:25], v[22:23]
	s_or_b32 s1, vcc_lo, s1
	s_delay_alu instid0(SALU_CYCLE_1)
	s_and_not1_b32 exec_lo, exec_lo, s1
	s_cbranch_execnz .LBB73_49
; %bb.50:
	s_or_b32 exec_lo, exec_lo, s1
	v_mov_b32_e32 v1, 0
	ds_load_b64 v[22:23], v1 offset:72
	s_wait_dscnt 0x0
	v_pk_mul_f32 v[26:27], v[24:25], v[22:23] op_sel:[1,1] op_sel_hi:[0,1]
	s_delay_alu instid0(VALU_DEP_1) | instskip(SKIP_1) | instid1(VALU_DEP_2)
	v_pk_fma_f32 v[28:29], v[24:25], v[22:23], v[26:27] op_sel_hi:[1,0,1]
	v_pk_fma_f32 v[22:23], v[24:25], v[22:23], v[26:27] neg_lo:[0,0,1] neg_hi:[0,0,1]
	v_mov_b32_e32 v23, v29
	scratch_store_b64 off, v[22:23], off offset:72
.LBB73_51:
	s_wait_xcnt 0x0
	s_or_b32 exec_lo, exec_lo, s0
	s_mov_b32 s1, -1
	s_wait_storecnt 0x0
	s_barrier_signal -1
	s_barrier_wait -1
.LBB73_52:
	s_and_b32 vcc_lo, exec_lo, s1
	s_cbranch_vccz .LBB73_54
; %bb.53:
	v_mov_b32_e32 v1, 0
	s_lshl_b64 s[0:1], s[10:11], 2
	s_delay_alu instid0(SALU_CYCLE_1)
	s_add_nc_u64 s[0:1], s[6:7], s[0:1]
	global_load_b32 v1, v1, s[0:1]
	s_wait_loadcnt 0x0
	v_cmp_ne_u32_e32 vcc_lo, 0, v1
	s_cbranch_vccz .LBB73_55
.LBB73_54:
	s_sendmsg sendmsg(MSG_DEALLOC_VGPRS)
	s_endpgm
.LBB73_55:
	s_wait_xcnt 0x0
	v_lshl_add_u32 v1, v0, 3, 0x50
	s_mov_b32 s0, exec_lo
	v_cmpx_eq_u32_e32 9, v0
	s_cbranch_execz .LBB73_57
; %bb.56:
	scratch_load_b64 v[22:23], off, off offset:64
	v_mov_b64_e32 v[24:25], 0
	scratch_store_b64 off, v[24:25], off offset:64
	s_wait_loadcnt 0x0
	ds_store_b64 v1, v[22:23]
.LBB73_57:
	s_wait_xcnt 0x0
	s_or_b32 exec_lo, exec_lo, s0
	s_wait_storecnt_dscnt 0x0
	s_barrier_signal -1
	s_barrier_wait -1
	s_clause 0x1
	scratch_load_b64 v[22:23], off, off offset:72
	scratch_load_b64 v[24:25], off, off offset:64
	v_mov_b32_e32 v7, 0
	s_mov_b32 s0, exec_lo
	ds_load_b64 v[26:27], v7 offset:152
	s_wait_loadcnt_dscnt 0x100
	v_pk_mul_f32 v[28:29], v[26:27], v[22:23] op_sel:[1,1] op_sel_hi:[0,1]
	s_delay_alu instid0(VALU_DEP_1) | instskip(SKIP_1) | instid1(VALU_DEP_2)
	v_pk_fma_f32 v[30:31], v[26:27], v[22:23], v[28:29] op_sel_hi:[1,0,1]
	v_pk_fma_f32 v[22:23], v[26:27], v[22:23], v[28:29] neg_lo:[0,0,1] neg_hi:[0,0,1]
	v_mov_b32_e32 v23, v31
	s_delay_alu instid0(VALU_DEP_1) | instskip(SKIP_1) | instid1(VALU_DEP_1)
	v_pk_add_f32 v[22:23], v[22:23], 0 op_sel_hi:[1,0]
	s_wait_loadcnt 0x0
	v_pk_add_f32 v[22:23], v[24:25], v[22:23] neg_lo:[0,1] neg_hi:[0,1]
	scratch_store_b64 off, v[22:23], off offset:64
	s_wait_xcnt 0x0
	v_cmpx_lt_u32_e32 7, v0
	s_cbranch_execz .LBB73_59
; %bb.58:
	scratch_load_b64 v[22:23], off, off offset:56
	v_mov_b64_e32 v[24:25], 0
	scratch_store_b64 off, v[24:25], off offset:56
	s_wait_loadcnt 0x0
	ds_store_b64 v1, v[22:23]
.LBB73_59:
	s_wait_xcnt 0x0
	s_or_b32 exec_lo, exec_lo, s0
	s_wait_storecnt_dscnt 0x0
	s_barrier_signal -1
	s_barrier_wait -1
	s_clause 0x1
	scratch_load_b128 v[22:25], off, off offset:64
	scratch_load_b64 v[30:31], off, off offset:56
	ds_load_b128 v[26:29], v7 offset:144
	s_mov_b32 s0, exec_lo
	s_wait_dscnt 0x0
	v_dual_mov_b32 v32, v29 :: v_dual_mov_b32 v33, v28
	s_wait_loadcnt 0x1
	v_pk_mul_f32 v[34:35], v[26:27], v[22:23] op_sel:[1,1] op_sel_hi:[0,1]
	s_delay_alu instid0(VALU_DEP_1) | instskip(SKIP_2) | instid1(VALU_DEP_3)
	v_pk_fma_f32 v[38:39], v[26:27], v[22:23], v[34:35] op_sel_hi:[1,0,1]
	v_mov_b32_e32 v36, v25
	v_pk_fma_f32 v[22:23], v[26:27], v[22:23], v[34:35] neg_lo:[0,0,1] neg_hi:[0,0,1]
	v_mov_b32_e32 v23, v39
	s_delay_alu instid0(VALU_DEP_3) | instskip(NEXT) | instid1(VALU_DEP_2)
	v_pk_mul_f32 v[32:33], v[32:33], v[36:37] op_sel_hi:[1,0]
	v_pk_add_f32 v[22:23], v[22:23], 0 op_sel_hi:[1,0]
	s_delay_alu instid0(VALU_DEP_2) | instskip(SKIP_1) | instid1(VALU_DEP_2)
	v_pk_fma_f32 v[26:27], v[28:29], v[24:25], v[32:33] op_sel_hi:[1,0,1]
	v_pk_fma_f32 v[24:25], v[28:29], v[24:25], v[32:33] neg_lo:[0,0,1] neg_hi:[0,0,1]
	v_mov_b32_e32 v25, v27
	s_delay_alu instid0(VALU_DEP_1) | instskip(SKIP_1) | instid1(VALU_DEP_1)
	v_pk_add_f32 v[22:23], v[22:23], v[24:25]
	s_wait_loadcnt 0x0
	v_pk_add_f32 v[22:23], v[30:31], v[22:23] neg_lo:[0,1] neg_hi:[0,1]
	scratch_store_b64 off, v[22:23], off offset:56
	s_wait_xcnt 0x0
	v_cmpx_lt_u32_e32 6, v0
	s_cbranch_execz .LBB73_61
; %bb.60:
	scratch_load_b64 v[22:23], off, off offset:48
	v_mov_b64_e32 v[24:25], 0
	scratch_store_b64 off, v[24:25], off offset:48
	s_wait_loadcnt 0x0
	ds_store_b64 v1, v[22:23]
.LBB73_61:
	s_wait_xcnt 0x0
	s_or_b32 exec_lo, exec_lo, s0
	s_wait_storecnt_dscnt 0x0
	s_barrier_signal -1
	s_barrier_wait -1
	s_clause 0x2
	scratch_load_b128 v[22:25], off, off offset:56
	scratch_load_b64 v[30:31], off, off offset:72
	scratch_load_b64 v[32:33], off, off offset:48
	v_mov_b32_e32 v7, 0
	ds_load_2addr_b64 v[26:29], v7 offset0:17 offset1:18
	ds_load_b64 v[34:35], v7 offset:152
	s_mov_b32 s0, exec_lo
	s_wait_dscnt 0x1
	v_dual_mov_b32 v36, v29 :: v_dual_mov_b32 v37, v28
	s_wait_loadcnt 0x2
	v_mov_b32_e32 v40, v25
	v_pk_mul_f32 v[38:39], v[26:27], v[22:23] op_sel:[1,1] op_sel_hi:[0,1]
	s_delay_alu instid0(VALU_DEP_2) | instskip(NEXT) | instid1(VALU_DEP_2)
	v_pk_mul_f32 v[36:37], v[36:37], v[40:41] op_sel_hi:[1,0]
	v_pk_fma_f32 v[42:43], v[26:27], v[22:23], v[38:39] op_sel_hi:[1,0,1]
	v_pk_fma_f32 v[22:23], v[26:27], v[22:23], v[38:39] neg_lo:[0,0,1] neg_hi:[0,0,1]
	s_wait_loadcnt_dscnt 0x100
	v_pk_mul_f32 v[38:39], v[34:35], v[30:31] op_sel:[1,1] op_sel_hi:[0,1]
	v_pk_fma_f32 v[26:27], v[28:29], v[24:25], v[36:37] op_sel_hi:[1,0,1]
	v_mov_b32_e32 v23, v43
	v_pk_fma_f32 v[24:25], v[28:29], v[24:25], v[36:37] neg_lo:[0,0,1] neg_hi:[0,0,1]
	s_delay_alu instid0(VALU_DEP_4) | instskip(NEXT) | instid1(VALU_DEP_4)
	v_pk_fma_f32 v[28:29], v[34:35], v[30:31], v[38:39] neg_lo:[0,0,1] neg_hi:[0,0,1]
	v_mov_b32_e32 v25, v27
	s_delay_alu instid0(VALU_DEP_4) | instskip(SKIP_1) | instid1(VALU_DEP_2)
	v_pk_add_f32 v[22:23], v[22:23], 0 op_sel_hi:[1,0]
	v_pk_fma_f32 v[26:27], v[34:35], v[30:31], v[38:39] op_sel_hi:[1,0,1]
	v_pk_add_f32 v[22:23], v[22:23], v[24:25]
	s_delay_alu instid0(VALU_DEP_2) | instskip(NEXT) | instid1(VALU_DEP_1)
	v_mov_b32_e32 v29, v27
	v_pk_add_f32 v[22:23], v[22:23], v[28:29]
	s_wait_loadcnt 0x0
	s_delay_alu instid0(VALU_DEP_1)
	v_pk_add_f32 v[22:23], v[32:33], v[22:23] neg_lo:[0,1] neg_hi:[0,1]
	scratch_store_b64 off, v[22:23], off offset:48
	s_wait_xcnt 0x0
	v_cmpx_lt_u32_e32 5, v0
	s_cbranch_execz .LBB73_63
; %bb.62:
	scratch_load_b64 v[22:23], off, off offset:40
	v_mov_b64_e32 v[24:25], 0
	scratch_store_b64 off, v[24:25], off offset:40
	s_wait_loadcnt 0x0
	ds_store_b64 v1, v[22:23]
.LBB73_63:
	s_wait_xcnt 0x0
	s_or_b32 exec_lo, exec_lo, s0
	s_wait_storecnt_dscnt 0x0
	s_barrier_signal -1
	s_barrier_wait -1
	s_clause 0x2
	scratch_load_b128 v[22:25], off, off offset:48
	scratch_load_b128 v[26:29], off, off offset:64
	scratch_load_b64 v[38:39], off, off offset:40
	ds_load_b128 v[30:33], v7 offset:128
	ds_load_b128 v[34:37], v7 offset:144
	s_mov_b32 s0, exec_lo
	s_wait_dscnt 0x1
	v_dual_mov_b32 v40, v33 :: v_dual_mov_b32 v41, v32
	s_wait_loadcnt_dscnt 0x200
	v_dual_mov_b32 v46, v37 :: v_dual_mov_b32 v44, v25
	v_pk_mul_f32 v[42:43], v[30:31], v[22:23] op_sel:[1,1] op_sel_hi:[0,1]
	s_delay_alu instid0(VALU_DEP_2) | instskip(NEXT) | instid1(VALU_DEP_2)
	v_pk_mul_f32 v[40:41], v[40:41], v[44:45] op_sel_hi:[1,0]
	v_pk_fma_f32 v[48:49], v[30:31], v[22:23], v[42:43] op_sel_hi:[1,0,1]
	v_pk_fma_f32 v[22:23], v[30:31], v[22:23], v[42:43] neg_lo:[0,0,1] neg_hi:[0,0,1]
	v_mov_b32_e32 v47, v36
	s_wait_loadcnt 0x1
	v_pk_mul_f32 v[44:45], v[34:35], v[26:27] op_sel:[1,1] op_sel_hi:[0,1]
	v_pk_fma_f32 v[30:31], v[32:33], v[24:25], v[40:41] op_sel_hi:[1,0,1]
	v_dual_mov_b32 v23, v49 :: v_dual_mov_b32 v30, v29
	v_pk_fma_f32 v[24:25], v[32:33], v[24:25], v[40:41] neg_lo:[0,0,1] neg_hi:[0,0,1]
	s_delay_alu instid0(VALU_DEP_4) | instskip(NEXT) | instid1(VALU_DEP_4)
	v_pk_fma_f32 v[42:43], v[34:35], v[26:27], v[44:45] op_sel_hi:[1,0,1]
	v_mov_b32_e32 v25, v31
	s_delay_alu instid0(VALU_DEP_4) | instskip(SKIP_2) | instid1(VALU_DEP_3)
	v_pk_add_f32 v[22:23], v[22:23], 0 op_sel_hi:[1,0]
	v_pk_mul_f32 v[30:31], v[46:47], v[30:31] op_sel_hi:[1,0]
	v_pk_fma_f32 v[26:27], v[34:35], v[26:27], v[44:45] neg_lo:[0,0,1] neg_hi:[0,0,1]
	v_pk_add_f32 v[22:23], v[22:23], v[24:25]
	s_delay_alu instid0(VALU_DEP_3) | instskip(SKIP_2) | instid1(VALU_DEP_3)
	v_pk_fma_f32 v[24:25], v[36:37], v[28:29], v[30:31] op_sel_hi:[1,0,1]
	v_mov_b32_e32 v27, v43
	v_pk_fma_f32 v[28:29], v[36:37], v[28:29], v[30:31] neg_lo:[0,0,1] neg_hi:[0,0,1]
	v_mov_b32_e32 v29, v25
	s_delay_alu instid0(VALU_DEP_3) | instskip(NEXT) | instid1(VALU_DEP_1)
	v_pk_add_f32 v[22:23], v[22:23], v[26:27]
	v_pk_add_f32 v[22:23], v[22:23], v[28:29]
	s_wait_loadcnt 0x0
	s_delay_alu instid0(VALU_DEP_1)
	v_pk_add_f32 v[22:23], v[38:39], v[22:23] neg_lo:[0,1] neg_hi:[0,1]
	scratch_store_b64 off, v[22:23], off offset:40
	s_wait_xcnt 0x0
	v_cmpx_lt_u32_e32 4, v0
	s_cbranch_execz .LBB73_65
; %bb.64:
	scratch_load_b64 v[22:23], off, off offset:32
	v_mov_b64_e32 v[24:25], 0
	scratch_store_b64 off, v[24:25], off offset:32
	s_wait_loadcnt 0x0
	ds_store_b64 v1, v[22:23]
.LBB73_65:
	s_wait_xcnt 0x0
	s_or_b32 exec_lo, exec_lo, s0
	s_wait_storecnt_dscnt 0x0
	s_barrier_signal -1
	s_barrier_wait -1
	s_clause 0x3
	scratch_load_b128 v[22:25], off, off offset:40
	scratch_load_b128 v[26:29], off, off offset:56
	scratch_load_b64 v[38:39], off, off offset:72
	scratch_load_b64 v[40:41], off, off offset:32
	v_mov_b32_e32 v7, 0
	ds_load_2addr_b64 v[30:33], v7 offset0:15 offset1:16
	ds_load_2addr_b64 v[34:37], v7 offset0:17 offset1:18
	s_mov_b32 s0, exec_lo
	s_wait_dscnt 0x1
	v_dual_mov_b32 v42, v33 :: v_dual_mov_b32 v43, v32
	ds_load_b64 v[48:49], v7 offset:152
	s_wait_dscnt 0x1
	v_dual_mov_b32 v50, v37 :: v_dual_mov_b32 v51, v36
	s_wait_loadcnt 0x3
	v_pk_mul_f32 v[44:45], v[30:31], v[22:23] op_sel:[1,1] op_sel_hi:[0,1]
	v_mov_b32_e32 v46, v25
	s_delay_alu instid0(VALU_DEP_2) | instskip(NEXT) | instid1(VALU_DEP_2)
	v_pk_fma_f32 v[52:53], v[30:31], v[22:23], v[44:45] op_sel_hi:[1,0,1]
	v_pk_mul_f32 v[42:43], v[42:43], v[46:47] op_sel_hi:[1,0]
	v_pk_fma_f32 v[22:23], v[30:31], v[22:23], v[44:45] neg_lo:[0,0,1] neg_hi:[0,0,1]
	s_wait_loadcnt 0x2
	v_pk_mul_f32 v[46:47], v[34:35], v[26:27] op_sel:[1,1] op_sel_hi:[0,1]
	v_dual_mov_b32 v52, v29 :: v_dual_mov_b32 v23, v53
	v_pk_fma_f32 v[30:31], v[32:33], v[24:25], v[42:43] op_sel_hi:[1,0,1]
	v_pk_fma_f32 v[24:25], v[32:33], v[24:25], v[42:43] neg_lo:[0,0,1] neg_hi:[0,0,1]
	s_delay_alu instid0(VALU_DEP_4) | instskip(NEXT) | instid1(VALU_DEP_4)
	v_pk_fma_f32 v[44:45], v[34:35], v[26:27], v[46:47] op_sel_hi:[1,0,1]
	v_pk_mul_f32 v[50:51], v[50:51], v[52:53] op_sel_hi:[1,0]
	v_pk_add_f32 v[22:23], v[22:23], 0 op_sel_hi:[1,0]
	v_mov_b32_e32 v25, v31
	v_pk_fma_f32 v[26:27], v[34:35], v[26:27], v[46:47] neg_lo:[0,0,1] neg_hi:[0,0,1]
	v_mov_b32_e32 v27, v45
	v_pk_fma_f32 v[30:31], v[36:37], v[28:29], v[50:51] op_sel_hi:[1,0,1]
	v_pk_fma_f32 v[28:29], v[36:37], v[28:29], v[50:51] neg_lo:[0,0,1] neg_hi:[0,0,1]
	v_pk_add_f32 v[22:23], v[22:23], v[24:25]
	s_wait_loadcnt_dscnt 0x100
	v_pk_mul_f32 v[24:25], v[48:49], v[38:39] op_sel:[1,1] op_sel_hi:[0,1]
	s_delay_alu instid0(VALU_DEP_2) | instskip(NEXT) | instid1(VALU_DEP_2)
	v_pk_add_f32 v[22:23], v[22:23], v[26:27]
	v_pk_fma_f32 v[26:27], v[48:49], v[38:39], v[24:25] op_sel_hi:[1,0,1]
	v_mov_b32_e32 v29, v31
	v_pk_fma_f32 v[24:25], v[48:49], v[38:39], v[24:25] neg_lo:[0,0,1] neg_hi:[0,0,1]
	s_delay_alu instid0(VALU_DEP_3) | instskip(NEXT) | instid1(VALU_DEP_3)
	v_mov_b32_e32 v25, v27
	v_pk_add_f32 v[22:23], v[22:23], v[28:29]
	s_delay_alu instid0(VALU_DEP_1) | instskip(SKIP_1) | instid1(VALU_DEP_1)
	v_pk_add_f32 v[22:23], v[22:23], v[24:25]
	s_wait_loadcnt 0x0
	v_pk_add_f32 v[22:23], v[40:41], v[22:23] neg_lo:[0,1] neg_hi:[0,1]
	scratch_store_b64 off, v[22:23], off offset:32
	s_wait_xcnt 0x0
	v_cmpx_lt_u32_e32 3, v0
	s_cbranch_execz .LBB73_67
; %bb.66:
	scratch_load_b64 v[22:23], off, off offset:24
	v_mov_b64_e32 v[24:25], 0
	scratch_store_b64 off, v[24:25], off offset:24
	s_wait_loadcnt 0x0
	ds_store_b64 v1, v[22:23]
.LBB73_67:
	s_wait_xcnt 0x0
	s_or_b32 exec_lo, exec_lo, s0
	s_wait_storecnt_dscnt 0x0
	s_barrier_signal -1
	s_barrier_wait -1
	s_clause 0x3
	scratch_load_b128 v[22:25], off, off offset:32
	scratch_load_b128 v[26:29], off, off offset:48
	;; [unrolled: 1-line block ×3, first 2 shown]
	scratch_load_b64 v[46:47], off, off offset:24
	ds_load_b128 v[34:37], v7 offset:112
	ds_load_b128 v[38:41], v7 offset:128
	;; [unrolled: 1-line block ×3, first 2 shown]
	s_mov_b32 s0, exec_lo
	s_wait_dscnt 0x2
	v_dual_mov_b32 v48, v37 :: v_dual_mov_b32 v49, v36
	s_wait_dscnt 0x1
	v_dual_mov_b32 v50, v41 :: v_dual_mov_b32 v51, v40
	;; [unrolled: 2-line block ×3, first 2 shown]
	s_wait_loadcnt 0x3
	v_pk_mul_f32 v[52:53], v[34:35], v[22:23] op_sel:[1,1] op_sel_hi:[0,1]
	v_mov_b32_e32 v54, v25
	s_delay_alu instid0(VALU_DEP_2) | instskip(NEXT) | instid1(VALU_DEP_2)
	v_pk_fma_f32 v[58:59], v[34:35], v[22:23], v[52:53] op_sel_hi:[1,0,1]
	v_pk_mul_f32 v[48:49], v[48:49], v[54:55] op_sel_hi:[1,0]
	v_pk_fma_f32 v[22:23], v[34:35], v[22:23], v[52:53] neg_lo:[0,0,1] neg_hi:[0,0,1]
	s_wait_loadcnt 0x2
	v_pk_mul_f32 v[54:55], v[38:39], v[26:27] op_sel:[1,1] op_sel_hi:[0,1]
	v_mov_b32_e32 v58, v29
	v_pk_fma_f32 v[34:35], v[36:37], v[24:25], v[48:49] op_sel_hi:[1,0,1]
	v_mov_b32_e32 v23, v59
	v_pk_fma_f32 v[24:25], v[36:37], v[24:25], v[48:49] neg_lo:[0,0,1] neg_hi:[0,0,1]
	v_pk_fma_f32 v[52:53], v[38:39], v[26:27], v[54:55] op_sel_hi:[1,0,1]
	v_pk_mul_f32 v[50:51], v[50:51], v[58:59] op_sel_hi:[1,0]
	v_mov_b32_e32 v25, v35
	v_pk_add_f32 v[22:23], v[22:23], 0 op_sel_hi:[1,0]
	v_pk_fma_f32 v[26:27], v[38:39], v[26:27], v[54:55] neg_lo:[0,0,1] neg_hi:[0,0,1]
	s_wait_loadcnt 0x1
	v_pk_mul_f32 v[34:35], v[42:43], v[30:31] op_sel:[1,1] op_sel_hi:[0,1]
	v_mov_b32_e32 v27, v53
	v_pk_fma_f32 v[36:37], v[40:41], v[28:29], v[50:51] op_sel_hi:[1,0,1]
	v_pk_add_f32 v[22:23], v[22:23], v[24:25]
	v_mov_b32_e32 v24, v33
	v_pk_fma_f32 v[28:29], v[40:41], v[28:29], v[50:51] neg_lo:[0,0,1] neg_hi:[0,0,1]
	v_pk_fma_f32 v[38:39], v[42:43], v[30:31], v[34:35] op_sel_hi:[1,0,1]
	v_mov_b32_e32 v29, v37
	v_pk_add_f32 v[22:23], v[22:23], v[26:27]
	v_pk_mul_f32 v[24:25], v[56:57], v[24:25] op_sel_hi:[1,0]
	v_pk_fma_f32 v[26:27], v[42:43], v[30:31], v[34:35] neg_lo:[0,0,1] neg_hi:[0,0,1]
	v_mov_b32_e32 v27, v39
	s_delay_alu instid0(VALU_DEP_4) | instskip(NEXT) | instid1(VALU_DEP_4)
	v_pk_add_f32 v[22:23], v[22:23], v[28:29]
	v_pk_fma_f32 v[28:29], v[44:45], v[32:33], v[24:25] op_sel_hi:[1,0,1]
	v_pk_fma_f32 v[24:25], v[44:45], v[32:33], v[24:25] neg_lo:[0,0,1] neg_hi:[0,0,1]
	s_delay_alu instid0(VALU_DEP_3) | instskip(NEXT) | instid1(VALU_DEP_3)
	v_pk_add_f32 v[22:23], v[22:23], v[26:27]
	v_mov_b32_e32 v25, v29
	s_delay_alu instid0(VALU_DEP_1) | instskip(SKIP_1) | instid1(VALU_DEP_1)
	v_pk_add_f32 v[22:23], v[22:23], v[24:25]
	s_wait_loadcnt 0x0
	v_pk_add_f32 v[22:23], v[46:47], v[22:23] neg_lo:[0,1] neg_hi:[0,1]
	scratch_store_b64 off, v[22:23], off offset:24
	s_wait_xcnt 0x0
	v_cmpx_lt_u32_e32 2, v0
	s_cbranch_execz .LBB73_69
; %bb.68:
	scratch_load_b64 v[22:23], off, off offset:16
	v_mov_b64_e32 v[24:25], 0
	scratch_store_b64 off, v[24:25], off offset:16
	s_wait_loadcnt 0x0
	ds_store_b64 v1, v[22:23]
.LBB73_69:
	s_wait_xcnt 0x0
	s_or_b32 exec_lo, exec_lo, s0
	s_wait_storecnt_dscnt 0x0
	s_barrier_signal -1
	s_barrier_wait -1
	s_clause 0x4
	scratch_load_b128 v[22:25], off, off offset:24
	scratch_load_b128 v[26:29], off, off offset:40
	;; [unrolled: 1-line block ×3, first 2 shown]
	scratch_load_b64 v[46:47], off, off offset:72
	scratch_load_b64 v[48:49], off, off offset:16
	v_mov_b32_e32 v7, 0
	ds_load_2addr_b64 v[34:37], v7 offset0:13 offset1:14
	ds_load_2addr_b64 v[38:41], v7 offset0:15 offset1:16
	;; [unrolled: 1-line block ×3, first 2 shown]
	ds_load_b64 v[50:51], v7 offset:152
	s_mov_b32 s0, exec_lo
	s_wait_dscnt 0x3
	v_dual_mov_b32 v52, v37 :: v_dual_mov_b32 v53, v36
	s_wait_dscnt 0x2
	v_dual_mov_b32 v54, v41 :: v_dual_mov_b32 v55, v40
	;; [unrolled: 2-line block ×3, first 2 shown]
	s_wait_loadcnt 0x4
	v_pk_mul_f32 v[56:57], v[34:35], v[22:23] op_sel:[1,1] op_sel_hi:[0,1]
	v_mov_b32_e32 v58, v25
	s_wait_loadcnt 0x3
	v_pk_mul_f32 v[62:63], v[38:39], v[26:27] op_sel:[1,1] op_sel_hi:[0,1]
	s_wait_loadcnt 0x2
	v_pk_mul_f32 v[66:67], v[42:43], v[30:31] op_sel:[1,1] op_sel_hi:[0,1]
	v_pk_fma_f32 v[64:65], v[34:35], v[22:23], v[56:57] op_sel_hi:[1,0,1]
	v_pk_mul_f32 v[52:53], v[52:53], v[58:59] op_sel_hi:[1,0]
	v_pk_fma_f32 v[22:23], v[34:35], v[22:23], v[56:57] neg_lo:[0,0,1] neg_hi:[0,0,1]
	v_mov_b32_e32 v58, v29
	v_pk_fma_f32 v[56:57], v[38:39], v[26:27], v[62:63] op_sel_hi:[1,0,1]
	v_mov_b32_e32 v23, v65
	v_pk_fma_f32 v[34:35], v[36:37], v[24:25], v[52:53] op_sel_hi:[1,0,1]
	v_pk_fma_f32 v[24:25], v[36:37], v[24:25], v[52:53] neg_lo:[0,0,1] neg_hi:[0,0,1]
	v_pk_mul_f32 v[54:55], v[54:55], v[58:59] op_sel_hi:[1,0]
	v_pk_fma_f32 v[26:27], v[38:39], v[26:27], v[62:63] neg_lo:[0,0,1] neg_hi:[0,0,1]
	v_pk_add_f32 v[22:23], v[22:23], 0 op_sel_hi:[1,0]
	v_dual_mov_b32 v25, v35 :: v_dual_mov_b32 v34, v33
	s_delay_alu instid0(VALU_DEP_4) | instskip(SKIP_2) | instid1(VALU_DEP_4)
	v_pk_fma_f32 v[36:37], v[40:41], v[28:29], v[54:55] op_sel_hi:[1,0,1]
	v_mov_b32_e32 v27, v57
	v_pk_fma_f32 v[28:29], v[40:41], v[28:29], v[54:55] neg_lo:[0,0,1] neg_hi:[0,0,1]
	v_pk_add_f32 v[22:23], v[22:23], v[24:25]
	v_pk_fma_f32 v[24:25], v[42:43], v[30:31], v[66:67] op_sel_hi:[1,0,1]
	v_pk_mul_f32 v[34:35], v[60:61], v[34:35] op_sel_hi:[1,0]
	v_mov_b32_e32 v29, v37
	s_delay_alu instid0(VALU_DEP_4)
	v_pk_add_f32 v[22:23], v[22:23], v[26:27]
	v_pk_fma_f32 v[26:27], v[42:43], v[30:31], v[66:67] neg_lo:[0,0,1] neg_hi:[0,0,1]
	v_mov_b32_e32 v27, v25
	v_pk_fma_f32 v[24:25], v[44:45], v[32:33], v[34:35] op_sel_hi:[1,0,1]
	v_pk_fma_f32 v[30:31], v[44:45], v[32:33], v[34:35] neg_lo:[0,0,1] neg_hi:[0,0,1]
	v_pk_add_f32 v[22:23], v[22:23], v[28:29]
	s_wait_loadcnt_dscnt 0x100
	v_pk_mul_f32 v[28:29], v[50:51], v[46:47] op_sel:[1,1] op_sel_hi:[0,1]
	v_mov_b32_e32 v31, v25
	s_delay_alu instid0(VALU_DEP_3) | instskip(NEXT) | instid1(VALU_DEP_3)
	v_pk_add_f32 v[22:23], v[22:23], v[26:27]
	v_pk_fma_f32 v[24:25], v[50:51], v[46:47], v[28:29] op_sel_hi:[1,0,1]
	v_pk_fma_f32 v[26:27], v[50:51], v[46:47], v[28:29] neg_lo:[0,0,1] neg_hi:[0,0,1]
	s_delay_alu instid0(VALU_DEP_3) | instskip(NEXT) | instid1(VALU_DEP_3)
	v_pk_add_f32 v[22:23], v[22:23], v[30:31]
	v_mov_b32_e32 v27, v25
	s_delay_alu instid0(VALU_DEP_1) | instskip(SKIP_1) | instid1(VALU_DEP_1)
	v_pk_add_f32 v[22:23], v[22:23], v[26:27]
	s_wait_loadcnt 0x0
	v_pk_add_f32 v[22:23], v[48:49], v[22:23] neg_lo:[0,1] neg_hi:[0,1]
	scratch_store_b64 off, v[22:23], off offset:16
	s_wait_xcnt 0x0
	v_cmpx_lt_u32_e32 1, v0
	s_cbranch_execz .LBB73_71
; %bb.70:
	scratch_load_b64 v[22:23], off, off offset:8
	v_mov_b64_e32 v[24:25], 0
	scratch_store_b64 off, v[24:25], off offset:8
	s_wait_loadcnt 0x0
	ds_store_b64 v1, v[22:23]
.LBB73_71:
	s_wait_xcnt 0x0
	s_or_b32 exec_lo, exec_lo, s0
	s_wait_storecnt_dscnt 0x0
	s_barrier_signal -1
	s_barrier_wait -1
	s_clause 0x4
	scratch_load_b128 v[22:25], off, off offset:16
	scratch_load_b128 v[26:29], off, off offset:32
	;; [unrolled: 1-line block ×4, first 2 shown]
	scratch_load_b64 v[54:55], off, off offset:8
	ds_load_b128 v[38:41], v7 offset:96
	ds_load_b128 v[42:45], v7 offset:112
	;; [unrolled: 1-line block ×4, first 2 shown]
	v_dual_ashrrev_i32 v7, 31, v6 :: v_dual_ashrrev_i32 v9, 31, v8
	v_dual_ashrrev_i32 v11, 31, v10 :: v_dual_ashrrev_i32 v13, 31, v12
	v_dual_ashrrev_i32 v15, 31, v14 :: v_dual_ashrrev_i32 v17, 31, v16
	v_dual_ashrrev_i32 v19, 31, v18 :: v_dual_ashrrev_i32 v21, 31, v20
	s_mov_b32 s0, exec_lo
	s_wait_dscnt 0x3
	v_dual_mov_b32 v56, v41 :: v_dual_mov_b32 v57, v40
	s_wait_dscnt 0x2
	v_dual_mov_b32 v58, v45 :: v_dual_mov_b32 v59, v44
	;; [unrolled: 2-line block ×3, first 2 shown]
	v_dual_mov_b32 v61, v48 :: v_dual_mov_b32 v66, v53
	s_wait_loadcnt 0x4
	v_mov_b32_e32 v64, v25
	v_pk_mul_f32 v[62:63], v[38:39], v[22:23] op_sel:[1,1] op_sel_hi:[0,1]
	s_wait_loadcnt 0x3
	v_mov_b32_e32 v68, v29
	s_delay_alu instid0(VALU_DEP_3) | instskip(NEXT) | instid1(VALU_DEP_3)
	v_pk_mul_f32 v[56:57], v[56:57], v[64:65] op_sel_hi:[1,0]
	v_pk_fma_f32 v[70:71], v[38:39], v[22:23], v[62:63] op_sel_hi:[1,0,1]
	v_pk_fma_f32 v[22:23], v[38:39], v[22:23], v[62:63] neg_lo:[0,0,1] neg_hi:[0,0,1]
	v_pk_mul_f32 v[64:65], v[42:43], v[26:27] op_sel:[1,1] op_sel_hi:[0,1]
	s_wait_loadcnt 0x2
	v_mov_b32_e32 v70, v33
	v_pk_fma_f32 v[38:39], v[40:41], v[24:25], v[56:57] op_sel_hi:[1,0,1]
	v_mov_b32_e32 v23, v71
	v_pk_fma_f32 v[24:25], v[40:41], v[24:25], v[56:57] neg_lo:[0,0,1] neg_hi:[0,0,1]
	v_pk_mul_f32 v[58:59], v[58:59], v[68:69] op_sel_hi:[1,0]
	v_pk_fma_f32 v[62:63], v[42:43], v[26:27], v[64:65] op_sel_hi:[1,0,1]
	v_mov_b32_e32 v25, v39
	v_pk_add_f32 v[22:23], v[22:23], 0 op_sel_hi:[1,0]
	v_pk_fma_f32 v[26:27], v[42:43], v[26:27], v[64:65] neg_lo:[0,0,1] neg_hi:[0,0,1]
	v_pk_mul_f32 v[38:39], v[46:47], v[30:31] op_sel:[1,1] op_sel_hi:[0,1]
	v_mov_b32_e32 v27, v63
	v_pk_fma_f32 v[40:41], v[44:45], v[28:29], v[58:59] op_sel_hi:[1,0,1]
	v_pk_add_f32 v[22:23], v[22:23], v[24:25]
	v_pk_fma_f32 v[28:29], v[44:45], v[28:29], v[58:59] neg_lo:[0,0,1] neg_hi:[0,0,1]
	v_pk_mul_f32 v[24:25], v[60:61], v[70:71] op_sel_hi:[1,0]
	v_pk_fma_f32 v[42:43], v[46:47], v[30:31], v[38:39] op_sel_hi:[1,0,1]
	v_mov_b32_e32 v29, v41
	v_pk_add_f32 v[22:23], v[22:23], v[26:27]
	v_pk_fma_f32 v[30:31], v[46:47], v[30:31], v[38:39] neg_lo:[0,0,1] neg_hi:[0,0,1]
	s_wait_loadcnt 0x1
	v_pk_mul_f32 v[26:27], v[50:51], v[34:35] op_sel:[1,1] op_sel_hi:[0,1]
	v_mov_b32_e32 v31, v43
	v_pk_fma_f32 v[38:39], v[48:49], v[32:33], v[24:25] op_sel_hi:[1,0,1]
	v_pk_add_f32 v[22:23], v[22:23], v[28:29]
	v_mov_b32_e32 v28, v37
	v_pk_fma_f32 v[24:25], v[48:49], v[32:33], v[24:25] neg_lo:[0,0,1] neg_hi:[0,0,1]
	v_pk_fma_f32 v[40:41], v[50:51], v[34:35], v[26:27] op_sel_hi:[1,0,1]
	v_mov_b32_e32 v25, v39
	v_pk_add_f32 v[22:23], v[22:23], v[30:31]
	v_pk_mul_f32 v[28:29], v[66:67], v[28:29] op_sel_hi:[1,0]
	v_pk_fma_f32 v[26:27], v[50:51], v[34:35], v[26:27] neg_lo:[0,0,1] neg_hi:[0,0,1]
	s_delay_alu instid0(VALU_DEP_3) | instskip(NEXT) | instid1(VALU_DEP_3)
	v_pk_add_f32 v[22:23], v[22:23], v[24:25]
	v_pk_fma_f32 v[24:25], v[52:53], v[36:37], v[28:29] op_sel_hi:[1,0,1]
	v_mov_b32_e32 v27, v41
	v_pk_fma_f32 v[28:29], v[52:53], v[36:37], v[28:29] neg_lo:[0,0,1] neg_hi:[0,0,1]
	s_delay_alu instid0(VALU_DEP_3) | instskip(NEXT) | instid1(VALU_DEP_3)
	v_mov_b32_e32 v29, v25
	v_pk_add_f32 v[22:23], v[22:23], v[26:27]
	s_delay_alu instid0(VALU_DEP_1) | instskip(SKIP_1) | instid1(VALU_DEP_1)
	v_pk_add_f32 v[22:23], v[22:23], v[28:29]
	s_wait_loadcnt 0x0
	v_pk_add_f32 v[22:23], v[54:55], v[22:23] neg_lo:[0,1] neg_hi:[0,1]
	scratch_store_b64 off, v[22:23], off offset:8
	s_wait_xcnt 0x0
	v_cmpx_ne_u32_e32 0, v0
	s_cbranch_execz .LBB73_73
; %bb.72:
	scratch_load_b64 v[22:23], off, off
	v_mov_b64_e32 v[24:25], 0
	scratch_store_b64 off, v[24:25], off
	s_wait_loadcnt 0x0
	ds_store_b64 v1, v[22:23]
.LBB73_73:
	s_wait_xcnt 0x0
	s_or_b32 exec_lo, exec_lo, s0
	s_wait_storecnt_dscnt 0x0
	s_barrier_signal -1
	s_barrier_wait -1
	s_clause 0x5
	scratch_load_b128 v[24:27], off, off offset:8
	scratch_load_b128 v[28:31], off, off offset:24
	;; [unrolled: 1-line block ×4, first 2 shown]
	scratch_load_b64 v[0:1], off, off offset:72
	scratch_load_b64 v[56:57], off, off
	v_mov_b32_e32 v22, 0
	ds_load_2addr_b64 v[40:43], v22 offset0:11 offset1:12
	ds_load_2addr_b64 v[44:47], v22 offset0:13 offset1:14
	;; [unrolled: 1-line block ×4, first 2 shown]
	ds_load_b64 v[58:59], v22 offset:152
	s_and_b32 vcc_lo, exec_lo, s12
	s_wait_dscnt 0x4
	v_dual_mov_b32 v60, v43 :: v_dual_mov_b32 v61, v42
	s_wait_dscnt 0x1
	v_dual_mov_b32 v62, v47 :: v_dual_mov_b32 v67, v54
	v_dual_mov_b32 v63, v46 :: v_dual_mov_b32 v64, v51
	;; [unrolled: 1-line block ×3, first 2 shown]
	s_wait_loadcnt 0x5
	v_dual_mov_b32 v68, v27 :: v_dual_mul_f32 v69, v40, v25
	s_wait_loadcnt 0x4
	v_dual_mul_f32 v23, v41, v25 :: v_dual_mov_b32 v70, v31
	s_wait_loadcnt 0x3
	v_mov_b32_e32 v76, v35
	v_pk_mul_f32 v[72:73], v[44:45], v[28:29] op_sel:[1,1] op_sel_hi:[0,1]
	v_pk_mul_f32 v[60:61], v[60:61], v[68:69] op_sel_hi:[1,0]
	v_dual_fmac_f32 v69, v41, v24 :: v_dual_fma_f32 v68, v40, v24, -v23
	v_pk_mul_f32 v[40:41], v[62:63], v[70:71] op_sel_hi:[1,0]
	s_delay_alu instid0(VALU_DEP_4) | instskip(NEXT) | instid1(VALU_DEP_4)
	v_pk_fma_f32 v[62:63], v[44:45], v[28:29], v[72:73] op_sel_hi:[1,0,1]
	v_pk_fma_f32 v[24:25], v[42:43], v[26:27], v[60:61] op_sel_hi:[1,0,1]
	v_pk_fma_f32 v[26:27], v[42:43], v[26:27], v[60:61] neg_lo:[0,0,1] neg_hi:[0,0,1]
	v_pk_add_f32 v[42:43], v[68:69], 0 op_sel_hi:[1,0]
	v_pk_fma_f32 v[28:29], v[44:45], v[28:29], v[72:73] neg_lo:[0,0,1] neg_hi:[0,0,1]
	v_pk_mul_f32 v[74:75], v[48:49], v[32:33] op_sel:[1,1] op_sel_hi:[0,1]
	v_dual_mov_b32 v27, v25 :: v_dual_mov_b32 v29, v63
	v_pk_fma_f32 v[44:45], v[46:47], v[30:31], v[40:41] op_sel_hi:[1,0,1]
	v_pk_fma_f32 v[30:31], v[46:47], v[30:31], v[40:41] neg_lo:[0,0,1] neg_hi:[0,0,1]
	v_pk_mul_f32 v[60:61], v[64:65], v[76:77] op_sel_hi:[1,0]
	s_delay_alu instid0(VALU_DEP_4)
	v_pk_add_f32 v[26:27], v[42:43], v[26:27]
	v_pk_fma_f32 v[42:43], v[48:49], v[32:33], v[74:75] op_sel_hi:[1,0,1]
	v_mov_b32_e32 v31, v45
	v_pk_fma_f32 v[32:33], v[48:49], v[32:33], v[74:75] neg_lo:[0,0,1] neg_hi:[0,0,1]
	s_wait_loadcnt 0x2
	v_pk_mul_f32 v[24:25], v[52:53], v[36:37] op_sel:[1,1] op_sel_hi:[0,1]
	v_pk_add_f32 v[26:27], v[26:27], v[28:29]
	v_mov_b32_e32 v28, v39
	v_pk_fma_f32 v[40:41], v[50:51], v[34:35], v[60:61] op_sel_hi:[1,0,1]
	v_mov_b32_e32 v33, v43
	v_pk_fma_f32 v[34:35], v[50:51], v[34:35], v[60:61] neg_lo:[0,0,1] neg_hi:[0,0,1]
	v_pk_add_f32 v[26:27], v[26:27], v[30:31]
	v_pk_fma_f32 v[30:31], v[52:53], v[36:37], v[24:25] op_sel_hi:[1,0,1]
	v_pk_mul_f32 v[28:29], v[66:67], v[28:29] op_sel_hi:[1,0]
	v_mov_b32_e32 v35, v41
	v_pk_fma_f32 v[24:25], v[52:53], v[36:37], v[24:25] neg_lo:[0,0,1] neg_hi:[0,0,1]
	v_pk_add_f32 v[26:27], v[26:27], v[32:33]
	s_wait_loadcnt_dscnt 0x100
	v_pk_mul_f32 v[32:33], v[58:59], v[0:1] op_sel:[1,1] op_sel_hi:[0,1]
	v_mov_b32_e32 v25, v31
	v_pk_fma_f32 v[30:31], v[54:55], v[38:39], v[28:29] op_sel_hi:[1,0,1]
	v_pk_fma_f32 v[28:29], v[54:55], v[38:39], v[28:29] neg_lo:[0,0,1] neg_hi:[0,0,1]
	v_pk_add_f32 v[26:27], v[26:27], v[34:35]
	v_pk_fma_f32 v[34:35], v[58:59], v[0:1], v[32:33] op_sel_hi:[1,0,1]
	v_pk_fma_f32 v[0:1], v[58:59], v[0:1], v[32:33] neg_lo:[0,0,1] neg_hi:[0,0,1]
	v_mov_b32_e32 v29, v31
	s_delay_alu instid0(VALU_DEP_4) | instskip(NEXT) | instid1(VALU_DEP_4)
	v_pk_add_f32 v[24:25], v[26:27], v[24:25]
	v_mov_b32_e32 v1, v35
	s_delay_alu instid0(VALU_DEP_2) | instskip(NEXT) | instid1(VALU_DEP_1)
	v_pk_add_f32 v[24:25], v[24:25], v[28:29]
	v_pk_add_f32 v[0:1], v[24:25], v[0:1]
	s_wait_loadcnt 0x0
	s_delay_alu instid0(VALU_DEP_1)
	v_pk_add_f32 v[0:1], v[56:57], v[0:1] neg_lo:[0,1] neg_hi:[0,1]
	scratch_store_b64 off, v[0:1], off
	s_cbranch_vccz .LBB73_92
; %bb.74:
	global_load_b32 v0, v22, s[8:9] offset:32
	s_wait_loadcnt 0x0
	v_cmp_ne_u32_e32 vcc_lo, 9, v0
	s_cbranch_vccz .LBB73_76
; %bb.75:
	v_lshlrev_b32_e32 v0, 3, v0
	s_delay_alu instid0(VALU_DEP_1)
	v_mov_b32_e32 v24, v0
	scratch_load_b64 v[0:1], v24, off offset:-8
	scratch_load_b64 v[22:23], off, off offset:64
	s_wait_loadcnt 0x1
	scratch_store_b64 off, v[0:1], off offset:64
	s_wait_loadcnt 0x0
	scratch_store_b64 v24, v[22:23], off offset:-8
.LBB73_76:
	s_wait_xcnt 0x1
	v_mov_b32_e32 v0, 0
	global_load_b32 v1, v0, s[8:9] offset:28
	s_wait_loadcnt 0x0
	v_cmp_eq_u32_e32 vcc_lo, 8, v1
	s_cbranch_vccnz .LBB73_78
; %bb.77:
	v_lshlrev_b32_e32 v1, 3, v1
	scratch_load_b64 v[22:23], v1, off offset:-8
	scratch_load_b64 v[24:25], off, off offset:56
	s_wait_loadcnt 0x1
	scratch_store_b64 off, v[22:23], off offset:56
	s_wait_loadcnt 0x0
	scratch_store_b64 v1, v[24:25], off offset:-8
.LBB73_78:
	global_load_b32 v0, v0, s[8:9] offset:24
	s_wait_loadcnt 0x0
	v_cmp_eq_u32_e32 vcc_lo, 7, v0
	s_cbranch_vccnz .LBB73_80
; %bb.79:
	s_wait_xcnt 0x0
	v_lshlrev_b32_e32 v0, 3, v0
	s_delay_alu instid0(VALU_DEP_1)
	v_mov_b32_e32 v24, v0
	scratch_load_b64 v[0:1], v24, off offset:-8
	scratch_load_b64 v[22:23], off, off offset:48
	s_wait_loadcnt 0x1
	scratch_store_b64 off, v[0:1], off offset:48
	s_wait_loadcnt 0x0
	scratch_store_b64 v24, v[22:23], off offset:-8
.LBB73_80:
	s_wait_xcnt 0x0
	v_mov_b32_e32 v0, 0
	global_load_b32 v1, v0, s[8:9] offset:20
	s_wait_loadcnt 0x0
	v_cmp_eq_u32_e32 vcc_lo, 6, v1
	s_cbranch_vccnz .LBB73_82
; %bb.81:
	v_lshlrev_b32_e32 v1, 3, v1
	scratch_load_b64 v[22:23], v1, off offset:-8
	scratch_load_b64 v[24:25], off, off offset:40
	s_wait_loadcnt 0x1
	scratch_store_b64 off, v[22:23], off offset:40
	s_wait_loadcnt 0x0
	scratch_store_b64 v1, v[24:25], off offset:-8
.LBB73_82:
	global_load_b32 v0, v0, s[8:9] offset:16
	s_wait_loadcnt 0x0
	v_cmp_eq_u32_e32 vcc_lo, 5, v0
	s_cbranch_vccnz .LBB73_84
; %bb.83:
	s_wait_xcnt 0x0
	v_lshlrev_b32_e32 v0, 3, v0
	s_delay_alu instid0(VALU_DEP_1)
	v_mov_b32_e32 v24, v0
	scratch_load_b64 v[0:1], v24, off offset:-8
	scratch_load_b64 v[22:23], off, off offset:32
	s_wait_loadcnt 0x1
	scratch_store_b64 off, v[0:1], off offset:32
	s_wait_loadcnt 0x0
	scratch_store_b64 v24, v[22:23], off offset:-8
.LBB73_84:
	;; [unrolled: 31-line block ×3, first 2 shown]
	s_wait_xcnt 0x0
	v_mov_b32_e32 v0, 0
	global_load_b32 v1, v0, s[8:9] offset:4
	s_wait_loadcnt 0x0
	v_cmp_eq_u32_e32 vcc_lo, 2, v1
	s_cbranch_vccnz .LBB73_90
; %bb.89:
	v_lshlrev_b32_e32 v1, 3, v1
	scratch_load_b64 v[22:23], v1, off offset:-8
	scratch_load_b64 v[24:25], off, off offset:8
	s_wait_loadcnt 0x1
	scratch_store_b64 off, v[22:23], off offset:8
	s_wait_loadcnt 0x0
	scratch_store_b64 v1, v[24:25], off offset:-8
.LBB73_90:
	global_load_b32 v22, v0, s[8:9]
	scratch_load_b64 v[0:1], off, off
	s_wait_loadcnt 0x1
	v_cmp_eq_u32_e32 vcc_lo, 1, v22
	s_cbranch_vccnz .LBB73_92
; %bb.91:
	v_lshlrev_b32_e32 v22, 3, v22
	s_delay_alu instid0(VALU_DEP_1)
	v_mov_b32_e32 v24, v22
	scratch_load_b64 v[22:23], v24, off offset:-8
	s_wait_loadcnt 0x0
	scratch_store_b64 off, v[22:23], off
	scratch_store_b64 v24, v[0:1], off offset:-8
	scratch_load_b64 v[0:1], off, off
.LBB73_92:
	s_wait_loadcnt 0x0
	flat_store_b64 v[2:3], v[0:1]
	scratch_load_b64 v[0:1], off, off offset:8
	v_lshl_add_u64 v[28:29], v[6:7], 3, s[2:3]
	v_lshl_add_u64 v[26:27], v[8:9], 3, s[2:3]
	;; [unrolled: 1-line block ×8, first 2 shown]
	s_wait_loadcnt 0x0
	flat_store_b64 v[4:5], v[0:1]
	scratch_load_b64 v[0:1], off, off offset:16
	s_wait_loadcnt 0x0
	flat_store_b64 v[28:29], v[0:1]
	scratch_load_b64 v[0:1], off, off offset:24
	;; [unrolled: 3-line block ×8, first 2 shown]
	s_wait_loadcnt 0x0
	flat_store_b64 v[6:7], v[0:1]
	s_sendmsg sendmsg(MSG_DEALLOC_VGPRS)
	s_endpgm
	.section	.rodata,"a",@progbits
	.p2align	6, 0x0
	.amdhsa_kernel _ZN9rocsolver6v33100L18getri_kernel_smallILi10E19rocblas_complex_numIfEPKPS3_EEvT1_iilPiilS8_bb
		.amdhsa_group_segment_fixed_size 164
		.amdhsa_private_segment_fixed_size 96
		.amdhsa_kernarg_size 60
		.amdhsa_user_sgpr_count 2
		.amdhsa_user_sgpr_dispatch_ptr 0
		.amdhsa_user_sgpr_queue_ptr 0
		.amdhsa_user_sgpr_kernarg_segment_ptr 1
		.amdhsa_user_sgpr_dispatch_id 0
		.amdhsa_user_sgpr_kernarg_preload_length 0
		.amdhsa_user_sgpr_kernarg_preload_offset 0
		.amdhsa_user_sgpr_private_segment_size 0
		.amdhsa_wavefront_size32 1
		.amdhsa_uses_dynamic_stack 0
		.amdhsa_enable_private_segment 1
		.amdhsa_system_sgpr_workgroup_id_x 1
		.amdhsa_system_sgpr_workgroup_id_y 0
		.amdhsa_system_sgpr_workgroup_id_z 0
		.amdhsa_system_sgpr_workgroup_info 0
		.amdhsa_system_vgpr_workitem_id 0
		.amdhsa_next_free_vgpr 78
		.amdhsa_next_free_sgpr 19
		.amdhsa_named_barrier_count 0
		.amdhsa_reserve_vcc 1
		.amdhsa_float_round_mode_32 0
		.amdhsa_float_round_mode_16_64 0
		.amdhsa_float_denorm_mode_32 3
		.amdhsa_float_denorm_mode_16_64 3
		.amdhsa_fp16_overflow 0
		.amdhsa_memory_ordered 1
		.amdhsa_forward_progress 1
		.amdhsa_inst_pref_size 70
		.amdhsa_round_robin_scheduling 0
		.amdhsa_exception_fp_ieee_invalid_op 0
		.amdhsa_exception_fp_denorm_src 0
		.amdhsa_exception_fp_ieee_div_zero 0
		.amdhsa_exception_fp_ieee_overflow 0
		.amdhsa_exception_fp_ieee_underflow 0
		.amdhsa_exception_fp_ieee_inexact 0
		.amdhsa_exception_int_div_zero 0
	.end_amdhsa_kernel
	.section	.text._ZN9rocsolver6v33100L18getri_kernel_smallILi10E19rocblas_complex_numIfEPKPS3_EEvT1_iilPiilS8_bb,"axG",@progbits,_ZN9rocsolver6v33100L18getri_kernel_smallILi10E19rocblas_complex_numIfEPKPS3_EEvT1_iilPiilS8_bb,comdat
.Lfunc_end73:
	.size	_ZN9rocsolver6v33100L18getri_kernel_smallILi10E19rocblas_complex_numIfEPKPS3_EEvT1_iilPiilS8_bb, .Lfunc_end73-_ZN9rocsolver6v33100L18getri_kernel_smallILi10E19rocblas_complex_numIfEPKPS3_EEvT1_iilPiilS8_bb
                                        ; -- End function
	.set _ZN9rocsolver6v33100L18getri_kernel_smallILi10E19rocblas_complex_numIfEPKPS3_EEvT1_iilPiilS8_bb.num_vgpr, 78
	.set _ZN9rocsolver6v33100L18getri_kernel_smallILi10E19rocblas_complex_numIfEPKPS3_EEvT1_iilPiilS8_bb.num_agpr, 0
	.set _ZN9rocsolver6v33100L18getri_kernel_smallILi10E19rocblas_complex_numIfEPKPS3_EEvT1_iilPiilS8_bb.numbered_sgpr, 19
	.set _ZN9rocsolver6v33100L18getri_kernel_smallILi10E19rocblas_complex_numIfEPKPS3_EEvT1_iilPiilS8_bb.num_named_barrier, 0
	.set _ZN9rocsolver6v33100L18getri_kernel_smallILi10E19rocblas_complex_numIfEPKPS3_EEvT1_iilPiilS8_bb.private_seg_size, 96
	.set _ZN9rocsolver6v33100L18getri_kernel_smallILi10E19rocblas_complex_numIfEPKPS3_EEvT1_iilPiilS8_bb.uses_vcc, 1
	.set _ZN9rocsolver6v33100L18getri_kernel_smallILi10E19rocblas_complex_numIfEPKPS3_EEvT1_iilPiilS8_bb.uses_flat_scratch, 1
	.set _ZN9rocsolver6v33100L18getri_kernel_smallILi10E19rocblas_complex_numIfEPKPS3_EEvT1_iilPiilS8_bb.has_dyn_sized_stack, 0
	.set _ZN9rocsolver6v33100L18getri_kernel_smallILi10E19rocblas_complex_numIfEPKPS3_EEvT1_iilPiilS8_bb.has_recursion, 0
	.set _ZN9rocsolver6v33100L18getri_kernel_smallILi10E19rocblas_complex_numIfEPKPS3_EEvT1_iilPiilS8_bb.has_indirect_call, 0
	.section	.AMDGPU.csdata,"",@progbits
; Kernel info:
; codeLenInByte = 8856
; TotalNumSgprs: 21
; NumVgprs: 78
; ScratchSize: 96
; MemoryBound: 0
; FloatMode: 240
; IeeeMode: 1
; LDSByteSize: 164 bytes/workgroup (compile time only)
; SGPRBlocks: 0
; VGPRBlocks: 4
; NumSGPRsForWavesPerEU: 21
; NumVGPRsForWavesPerEU: 78
; NamedBarCnt: 0
; Occupancy: 12
; WaveLimiterHint : 1
; COMPUTE_PGM_RSRC2:SCRATCH_EN: 1
; COMPUTE_PGM_RSRC2:USER_SGPR: 2
; COMPUTE_PGM_RSRC2:TRAP_HANDLER: 0
; COMPUTE_PGM_RSRC2:TGID_X_EN: 1
; COMPUTE_PGM_RSRC2:TGID_Y_EN: 0
; COMPUTE_PGM_RSRC2:TGID_Z_EN: 0
; COMPUTE_PGM_RSRC2:TIDIG_COMP_CNT: 0
	.section	.text._ZN9rocsolver6v33100L18getri_kernel_smallILi11E19rocblas_complex_numIfEPKPS3_EEvT1_iilPiilS8_bb,"axG",@progbits,_ZN9rocsolver6v33100L18getri_kernel_smallILi11E19rocblas_complex_numIfEPKPS3_EEvT1_iilPiilS8_bb,comdat
	.globl	_ZN9rocsolver6v33100L18getri_kernel_smallILi11E19rocblas_complex_numIfEPKPS3_EEvT1_iilPiilS8_bb ; -- Begin function _ZN9rocsolver6v33100L18getri_kernel_smallILi11E19rocblas_complex_numIfEPKPS3_EEvT1_iilPiilS8_bb
	.p2align	8
	.type	_ZN9rocsolver6v33100L18getri_kernel_smallILi11E19rocblas_complex_numIfEPKPS3_EEvT1_iilPiilS8_bb,@function
_ZN9rocsolver6v33100L18getri_kernel_smallILi11E19rocblas_complex_numIfEPKPS3_EEvT1_iilPiilS8_bb: ; @_ZN9rocsolver6v33100L18getri_kernel_smallILi11E19rocblas_complex_numIfEPKPS3_EEvT1_iilPiilS8_bb
; %bb.0:
	s_mov_b32 s2, exec_lo
	v_cmpx_gt_u32_e32 11, v0
	s_cbranch_execz .LBB74_58
; %bb.1:
	s_clause 0x1
	s_load_b32 s13, s[0:1], 0x38
	s_load_b64 s[2:3], s[0:1], 0x0
	s_getreg_b32 s6, hwreg(HW_REG_IB_STS2, 6, 4)
	s_wait_kmcnt 0x0
	s_bitcmp1_b32 s13, 8
	s_cselect_b32 s12, -1, 0
	s_bfe_u32 s4, ttmp6, 0x4000c
	s_and_b32 s5, ttmp6, 15
	s_add_co_i32 s4, s4, 1
	s_delay_alu instid0(SALU_CYCLE_1) | instskip(NEXT) | instid1(SALU_CYCLE_1)
	s_mul_i32 s4, ttmp9, s4
	s_add_co_i32 s5, s5, s4
	s_cmp_eq_u32 s6, 0
	s_cselect_b32 s10, ttmp9, s5
	s_load_b128 s[4:7], s[0:1], 0x28
	s_ashr_i32 s11, s10, 31
	s_delay_alu instid0(SALU_CYCLE_1) | instskip(NEXT) | instid1(SALU_CYCLE_1)
	s_lshl_b64 s[8:9], s[10:11], 3
	s_add_nc_u64 s[2:3], s[2:3], s[8:9]
	s_bfe_u32 s8, s13, 0x10008
	s_load_b64 s[2:3], s[2:3], 0x0
	s_cmp_eq_u32 s8, 0
                                        ; implicit-def: $sgpr8_sgpr9
	s_cbranch_scc1 .LBB74_3
; %bb.2:
	s_load_b96 s[16:18], s[0:1], 0x18
	s_wait_kmcnt 0x0
	s_mul_u64 s[4:5], s[4:5], s[10:11]
	s_delay_alu instid0(SALU_CYCLE_1) | instskip(SKIP_4) | instid1(SALU_CYCLE_1)
	s_lshl_b64 s[4:5], s[4:5], 2
	s_ashr_i32 s9, s18, 31
	s_mov_b32 s8, s18
	s_add_nc_u64 s[4:5], s[16:17], s[4:5]
	s_lshl_b64 s[8:9], s[8:9], 2
	s_add_nc_u64 s[8:9], s[4:5], s[8:9]
.LBB74_3:
	s_wait_kmcnt 0x0
	s_clause 0x1
	s_load_b64 s[4:5], s[0:1], 0x8
	s_load_b32 s13, s[0:1], 0x38
	v_dual_mov_b32 v25, 0 :: v_dual_lshlrev_b32 v24, 3, v0
	s_wait_kmcnt 0x0
	s_ashr_i32 s1, s4, 31
	s_mov_b32 s0, s4
	s_delay_alu instid0(SALU_CYCLE_1) | instskip(NEXT) | instid1(SALU_CYCLE_1)
	s_lshl_b64 s[0:1], s[0:1], 3
	s_add_nc_u64 s[2:3], s[2:3], s[0:1]
	s_ashr_i32 s1, s5, 31
	flat_load_b64 v[6:7], v0, s[2:3] scale_offset
	v_add_nc_u64_e32 v[2:3], s[2:3], v[24:25]
	s_mov_b32 s0, s5
	s_bitcmp0_b32 s13, 0
	s_delay_alu instid0(VALU_DEP_1)
	v_lshl_add_u64 v[4:5], s[0:1], 3, v[2:3]
	s_mov_b32 s1, -1
	s_wait_loadcnt_dscnt 0x0
	scratch_store_b64 off, v[6:7], off
	flat_load_b64 v[8:9], v[4:5]
	s_wait_xcnt 0x1
	v_add3_u32 v6, s5, s5, v0
	s_wait_loadcnt_dscnt 0x0
	scratch_store_b64 off, v[8:9], off offset:8
	flat_load_b64 v[10:11], v6, s[2:3] scale_offset
	s_wait_xcnt 0x1
	v_add_nc_u32_e32 v8, s5, v6
	s_wait_loadcnt_dscnt 0x0
	scratch_store_b64 off, v[10:11], off offset:16
	flat_load_b64 v[12:13], v8, s[2:3] scale_offset
	s_wait_xcnt 0x1
	v_add_nc_u32_e32 v10, s5, v8
	;; [unrolled: 5-line block ×8, first 2 shown]
	s_wait_loadcnt_dscnt 0x0
	scratch_store_b64 off, v[26:27], off offset:72
	flat_load_b64 v[26:27], v22, s[2:3] scale_offset
	s_wait_loadcnt_dscnt 0x0
	scratch_store_b64 off, v[26:27], off offset:80
	s_cbranch_scc1 .LBB74_56
; %bb.4:
	v_cmp_eq_u32_e64 s0, 0, v0
	s_wait_xcnt 0x0
	s_and_saveexec_b32 s1, s0
; %bb.5:
	v_mov_b32_e32 v1, 0
	ds_store_b32 v1, v1 offset:88
; %bb.6:
	s_or_b32 exec_lo, exec_lo, s1
	s_wait_storecnt_dscnt 0x0
	s_barrier_signal -1
	s_barrier_wait -1
	scratch_load_b64 v[26:27], v0, off scale_offset
	s_wait_loadcnt 0x0
	v_cmp_eq_f32_e32 vcc_lo, 0, v26
	v_cmp_eq_f32_e64 s1, 0, v27
	s_and_b32 s1, vcc_lo, s1
	s_delay_alu instid0(SALU_CYCLE_1)
	s_and_saveexec_b32 s4, s1
	s_cbranch_execz .LBB74_10
; %bb.7:
	v_mov_b32_e32 v1, 0
	s_mov_b32 s5, 0
	ds_load_b32 v7, v1 offset:88
	s_wait_dscnt 0x0
	v_readfirstlane_b32 s1, v7
	v_add_nc_u32_e32 v7, 1, v0
	s_cmp_eq_u32 s1, 0
	s_delay_alu instid0(VALU_DEP_1) | instskip(SKIP_1) | instid1(SALU_CYCLE_1)
	v_cmp_gt_i32_e32 vcc_lo, s1, v7
	s_cselect_b32 s13, -1, 0
	s_or_b32 s13, s13, vcc_lo
	s_delay_alu instid0(SALU_CYCLE_1)
	s_and_b32 exec_lo, exec_lo, s13
	s_cbranch_execz .LBB74_10
; %bb.8:
	v_mov_b32_e32 v9, s1
.LBB74_9:                               ; =>This Inner Loop Header: Depth=1
	ds_cmpstore_rtn_b32 v9, v1, v7, v9 offset:88
	s_wait_dscnt 0x0
	v_cmp_ne_u32_e32 vcc_lo, 0, v9
	v_cmp_le_i32_e64 s1, v9, v7
	s_and_b32 s1, vcc_lo, s1
	s_delay_alu instid0(SALU_CYCLE_1) | instskip(NEXT) | instid1(SALU_CYCLE_1)
	s_and_b32 s1, exec_lo, s1
	s_or_b32 s5, s1, s5
	s_delay_alu instid0(SALU_CYCLE_1)
	s_and_not1_b32 exec_lo, exec_lo, s5
	s_cbranch_execnz .LBB74_9
.LBB74_10:
	s_or_b32 exec_lo, exec_lo, s4
	v_mov_b32_e32 v1, 0
	s_barrier_signal -1
	s_barrier_wait -1
	ds_load_b32 v7, v1 offset:88
	s_and_saveexec_b32 s1, s0
	s_cbranch_execz .LBB74_12
; %bb.11:
	s_lshl_b64 s[4:5], s[10:11], 2
	s_delay_alu instid0(SALU_CYCLE_1)
	s_add_nc_u64 s[4:5], s[6:7], s[4:5]
	s_wait_dscnt 0x0
	global_store_b32 v1, v7, s[4:5]
.LBB74_12:
	s_wait_xcnt 0x0
	s_or_b32 exec_lo, exec_lo, s1
	s_wait_dscnt 0x0
	v_cmp_ne_u32_e32 vcc_lo, 0, v7
	s_mov_b32 s1, 0
	s_cbranch_vccnz .LBB74_56
; %bb.13:
	v_lshl_add_u32 v7, v0, 3, 0
                                        ; implicit-def: $vgpr29
                                        ; implicit-def: $vgpr30
	scratch_load_b64 v[26:27], v7, off
	s_wait_loadcnt 0x0
	v_cmp_ngt_f32_e64 s1, |v26|, |v27|
	s_wait_xcnt 0x0
	s_and_saveexec_b32 s4, s1
	s_delay_alu instid0(SALU_CYCLE_1)
	s_xor_b32 s1, exec_lo, s4
	s_cbranch_execz .LBB74_15
; %bb.14:
	v_div_scale_f32 v1, null, v27, v27, v26
	v_div_scale_f32 v13, vcc_lo, v26, v27, v26
	s_delay_alu instid0(VALU_DEP_2) | instskip(SKIP_1) | instid1(TRANS32_DEP_1)
	v_rcp_f32_e32 v9, v1
	v_nop
	v_fma_f32 v11, -v1, v9, 1.0
	s_delay_alu instid0(VALU_DEP_1) | instskip(NEXT) | instid1(VALU_DEP_1)
	v_fmac_f32_e32 v9, v11, v9
	v_mul_f32_e32 v11, v13, v9
	s_delay_alu instid0(VALU_DEP_1) | instskip(NEXT) | instid1(VALU_DEP_1)
	v_fma_f32 v15, -v1, v11, v13
	v_fmac_f32_e32 v11, v15, v9
	s_delay_alu instid0(VALU_DEP_1) | instskip(NEXT) | instid1(VALU_DEP_1)
	v_fma_f32 v1, -v1, v11, v13
	v_div_fmas_f32 v1, v1, v9, v11
	s_delay_alu instid0(VALU_DEP_1) | instskip(NEXT) | instid1(VALU_DEP_1)
	v_div_fixup_f32 v1, v1, v27, v26
	v_fmac_f32_e32 v27, v26, v1
	s_delay_alu instid0(VALU_DEP_1) | instskip(NEXT) | instid1(VALU_DEP_1)
	v_div_scale_f32 v9, null, v27, v27, -1.0
	v_rcp_f32_e32 v11, v9
	v_nop
	s_delay_alu instid0(TRANS32_DEP_1) | instskip(NEXT) | instid1(VALU_DEP_1)
	v_fma_f32 v13, -v9, v11, 1.0
	v_fmac_f32_e32 v11, v13, v11
	v_div_scale_f32 v13, vcc_lo, -1.0, v27, -1.0
	s_delay_alu instid0(VALU_DEP_1) | instskip(NEXT) | instid1(VALU_DEP_1)
	v_mul_f32_e32 v15, v13, v11
	v_fma_f32 v17, -v9, v15, v13
	s_delay_alu instid0(VALU_DEP_1) | instskip(NEXT) | instid1(VALU_DEP_1)
	v_fmac_f32_e32 v15, v17, v11
	v_fma_f32 v9, -v9, v15, v13
	s_delay_alu instid0(VALU_DEP_1) | instskip(NEXT) | instid1(VALU_DEP_1)
	v_div_fmas_f32 v9, v9, v11, v15
	v_div_fixup_f32 v29, v9, v27, -1.0
                                        ; implicit-def: $vgpr26_vgpr27
	s_delay_alu instid0(VALU_DEP_1) | instskip(NEXT) | instid1(VALU_DEP_1)
	v_mul_f32_e32 v30, v1, v29
	v_xor_b32_e32 v28, 0x80000000, v30
.LBB74_15:
	s_and_not1_saveexec_b32 s1, s1
	s_cbranch_execz .LBB74_17
; %bb.16:
	v_div_scale_f32 v1, null, v26, v26, v27
	v_div_scale_f32 v13, vcc_lo, v27, v26, v27
	s_delay_alu instid0(VALU_DEP_2) | instskip(SKIP_1) | instid1(TRANS32_DEP_1)
	v_rcp_f32_e32 v9, v1
	v_nop
	v_fma_f32 v11, -v1, v9, 1.0
	s_delay_alu instid0(VALU_DEP_1) | instskip(NEXT) | instid1(VALU_DEP_1)
	v_fmac_f32_e32 v9, v11, v9
	v_mul_f32_e32 v11, v13, v9
	s_delay_alu instid0(VALU_DEP_1) | instskip(NEXT) | instid1(VALU_DEP_1)
	v_fma_f32 v15, -v1, v11, v13
	v_fmac_f32_e32 v11, v15, v9
	s_delay_alu instid0(VALU_DEP_1) | instskip(NEXT) | instid1(VALU_DEP_1)
	v_fma_f32 v1, -v1, v11, v13
	v_div_fmas_f32 v1, v1, v9, v11
	s_delay_alu instid0(VALU_DEP_1) | instskip(NEXT) | instid1(VALU_DEP_1)
	v_div_fixup_f32 v1, v1, v26, v27
	v_fmac_f32_e32 v26, v27, v1
	s_delay_alu instid0(VALU_DEP_1) | instskip(SKIP_1) | instid1(VALU_DEP_2)
	v_div_scale_f32 v9, null, v26, v26, 1.0
	v_div_scale_f32 v15, vcc_lo, 1.0, v26, 1.0
	v_rcp_f32_e32 v11, v9
	v_nop
	s_delay_alu instid0(TRANS32_DEP_1) | instskip(NEXT) | instid1(VALU_DEP_1)
	v_fma_f32 v13, -v9, v11, 1.0
	v_fmac_f32_e32 v11, v13, v11
	s_delay_alu instid0(VALU_DEP_1) | instskip(NEXT) | instid1(VALU_DEP_1)
	v_mul_f32_e32 v13, v15, v11
	v_fma_f32 v17, -v9, v13, v15
	s_delay_alu instid0(VALU_DEP_1) | instskip(NEXT) | instid1(VALU_DEP_1)
	v_fmac_f32_e32 v13, v17, v11
	v_fma_f32 v9, -v9, v13, v15
	s_delay_alu instid0(VALU_DEP_1) | instskip(NEXT) | instid1(VALU_DEP_1)
	v_div_fmas_f32 v9, v9, v11, v13
	v_div_fixup_f32 v28, v9, v26, 1.0
	s_delay_alu instid0(VALU_DEP_1)
	v_xor_b32_e32 v30, 0x80000000, v28
	v_mul_f32_e64 v29, v1, -v28
.LBB74_17:
	s_or_b32 exec_lo, exec_lo, s1
	scratch_store_b64 v7, v[28:29], off
	scratch_load_b64 v[26:27], off, off offset:8
	v_xor_b32_e32 v31, 0x80000000, v29
	v_add_nc_u32_e32 v1, 0x60, v24
	s_wait_loadcnt 0x0
	ds_store_2addr_b64 v24, v[30:31], v[26:27] offset1:12
	s_wait_storecnt_dscnt 0x0
	s_barrier_signal -1
	s_barrier_wait -1
	s_wait_xcnt 0x0
	s_and_saveexec_b32 s1, s0
	s_cbranch_execz .LBB74_19
; %bb.18:
	scratch_load_b64 v[26:27], v7, off
	ds_load_b64 v[28:29], v1
	s_wait_loadcnt_dscnt 0x0
	v_pk_mul_f32 v[32:33], v[28:29], v[26:27] op_sel:[1,1] op_sel_hi:[0,1]
	s_delay_alu instid0(VALU_DEP_1) | instskip(SKIP_2) | instid1(VALU_DEP_3)
	v_pk_fma_f32 v[34:35], v[28:29], v[26:27], v[32:33] op_sel_hi:[1,0,1]
	v_mov_b32_e32 v9, 0
	v_pk_fma_f32 v[26:27], v[28:29], v[26:27], v[32:33] neg_lo:[0,0,1] neg_hi:[0,0,1]
	v_mov_b32_e32 v27, v35
	ds_load_b64 v[30:31], v9 offset:8
	v_pk_add_f32 v[26:27], v[26:27], 0 op_sel_hi:[1,0]
	s_wait_dscnt 0x0
	s_delay_alu instid0(VALU_DEP_1) | instskip(NEXT) | instid1(VALU_DEP_1)
	v_pk_mul_f32 v[28:29], v[26:27], v[30:31] op_sel:[1,1] op_sel_hi:[0,1]
	v_pk_fma_f32 v[32:33], v[26:27], v[30:31], v[28:29] op_sel_hi:[1,0,1]
	v_pk_fma_f32 v[26:27], v[26:27], v[30:31], v[28:29] neg_lo:[0,0,1] neg_hi:[0,0,1]
	s_delay_alu instid0(VALU_DEP_2)
	v_mov_b32_e32 v27, v33
	scratch_store_b64 off, v[26:27], off offset:8
.LBB74_19:
	s_wait_xcnt 0x0
	s_or_b32 exec_lo, exec_lo, s1
	s_wait_storecnt 0x0
	s_barrier_signal -1
	s_barrier_wait -1
	scratch_load_b64 v[26:27], off, off offset:16
	s_mov_b32 s1, exec_lo
	s_wait_loadcnt 0x0
	ds_store_b64 v1, v[26:27]
	s_wait_dscnt 0x0
	s_barrier_signal -1
	s_barrier_wait -1
	v_cmpx_gt_u32_e32 2, v0
	s_cbranch_execz .LBB74_23
; %bb.20:
	scratch_load_b64 v[26:27], v7, off
	ds_load_b64 v[28:29], v1
	s_wait_loadcnt_dscnt 0x0
	v_pk_mul_f32 v[30:31], v[28:29], v[26:27] op_sel:[1,1] op_sel_hi:[0,1]
	s_delay_alu instid0(VALU_DEP_1) | instskip(SKIP_1) | instid1(VALU_DEP_2)
	v_pk_fma_f32 v[32:33], v[28:29], v[26:27], v[30:31] op_sel_hi:[1,0,1]
	v_pk_fma_f32 v[26:27], v[28:29], v[26:27], v[30:31] neg_lo:[0,0,1] neg_hi:[0,0,1]
	v_mov_b32_e32 v27, v33
	s_delay_alu instid0(VALU_DEP_1)
	v_pk_add_f32 v[26:27], v[26:27], 0 op_sel_hi:[1,0]
	s_and_saveexec_b32 s4, s0
	s_cbranch_execz .LBB74_22
; %bb.21:
	scratch_load_b64 v[28:29], off, off offset:8
	v_mov_b32_e32 v7, 0
	ds_load_b64 v[30:31], v7 offset:104
	s_wait_loadcnt_dscnt 0x0
	v_pk_mul_f32 v[32:33], v[30:31], v[28:29] op_sel:[1,1] op_sel_hi:[0,1]
	s_delay_alu instid0(VALU_DEP_1) | instskip(SKIP_1) | instid1(VALU_DEP_2)
	v_pk_fma_f32 v[34:35], v[30:31], v[28:29], v[32:33] op_sel_hi:[1,0,1]
	v_pk_fma_f32 v[28:29], v[30:31], v[28:29], v[32:33] neg_lo:[0,0,1] neg_hi:[0,0,1]
	v_mov_b32_e32 v29, v35
	s_delay_alu instid0(VALU_DEP_1)
	v_pk_add_f32 v[26:27], v[26:27], v[28:29]
.LBB74_22:
	s_or_b32 exec_lo, exec_lo, s4
	v_mov_b32_e32 v7, 0
	ds_load_b64 v[28:29], v7 offset:16
	s_wait_dscnt 0x0
	v_pk_mul_f32 v[30:31], v[26:27], v[28:29] op_sel:[1,1] op_sel_hi:[0,1]
	s_delay_alu instid0(VALU_DEP_1) | instskip(SKIP_1) | instid1(VALU_DEP_2)
	v_pk_fma_f32 v[32:33], v[26:27], v[28:29], v[30:31] op_sel_hi:[1,0,1]
	v_pk_fma_f32 v[26:27], v[26:27], v[28:29], v[30:31] neg_lo:[0,0,1] neg_hi:[0,0,1]
	v_mov_b32_e32 v27, v33
	scratch_store_b64 off, v[26:27], off offset:16
.LBB74_23:
	s_wait_xcnt 0x0
	s_or_b32 exec_lo, exec_lo, s1
	s_wait_storecnt 0x0
	s_barrier_signal -1
	s_barrier_wait -1
	scratch_load_b64 v[26:27], off, off offset:24
	v_add_nc_u32_e32 v7, -1, v0
	s_mov_b32 s0, exec_lo
	s_wait_loadcnt 0x0
	ds_store_b64 v1, v[26:27]
	s_wait_dscnt 0x0
	s_barrier_signal -1
	s_barrier_wait -1
	v_cmpx_gt_u32_e32 3, v0
	s_cbranch_execz .LBB74_27
; %bb.24:
	v_dual_mov_b32 v26, 0 :: v_dual_add_nc_u32 v9, -1, v0
	v_add_nc_u32_e32 v11, 0x60, v24
	v_mov_b32_e32 v13, v24
	s_mov_b32 s1, 0
	s_delay_alu instid0(VALU_DEP_3)
	v_mov_b32_e32 v27, v26
.LBB74_25:                              ; =>This Inner Loop Header: Depth=1
	scratch_load_b64 v[28:29], v13, off
	ds_load_b64 v[30:31], v11
	s_wait_xcnt 0x0
	v_dual_add_nc_u32 v11, 8, v11 :: v_dual_add_nc_u32 v13, 8, v13
	s_wait_loadcnt_dscnt 0x0
	v_pk_mul_f32 v[32:33], v[30:31], v[28:29] op_sel:[1,1] op_sel_hi:[0,1]
	s_delay_alu instid0(VALU_DEP_1) | instskip(SKIP_2) | instid1(VALU_DEP_3)
	v_pk_fma_f32 v[34:35], v[30:31], v[28:29], v[32:33] op_sel_hi:[1,0,1]
	v_add_nc_u32_e32 v9, 1, v9
	v_pk_fma_f32 v[28:29], v[30:31], v[28:29], v[32:33] neg_lo:[0,0,1] neg_hi:[0,0,1]
	v_mov_b32_e32 v29, v35
	s_delay_alu instid0(VALU_DEP_3) | instskip(NEXT) | instid1(VALU_DEP_2)
	v_cmp_lt_u32_e32 vcc_lo, 1, v9
	v_pk_add_f32 v[26:27], v[26:27], v[28:29]
	s_or_b32 s1, vcc_lo, s1
	s_delay_alu instid0(SALU_CYCLE_1)
	s_and_not1_b32 exec_lo, exec_lo, s1
	s_cbranch_execnz .LBB74_25
; %bb.26:
	s_or_b32 exec_lo, exec_lo, s1
	v_mov_b32_e32 v9, 0
	ds_load_b64 v[28:29], v9 offset:24
	s_wait_dscnt 0x0
	v_pk_mul_f32 v[30:31], v[26:27], v[28:29] op_sel:[1,1] op_sel_hi:[0,1]
	s_delay_alu instid0(VALU_DEP_1) | instskip(SKIP_1) | instid1(VALU_DEP_2)
	v_pk_fma_f32 v[32:33], v[26:27], v[28:29], v[30:31] op_sel_hi:[1,0,1]
	v_pk_fma_f32 v[26:27], v[26:27], v[28:29], v[30:31] neg_lo:[0,0,1] neg_hi:[0,0,1]
	v_mov_b32_e32 v27, v33
	scratch_store_b64 off, v[26:27], off offset:24
.LBB74_27:
	s_wait_xcnt 0x0
	s_or_b32 exec_lo, exec_lo, s0
	s_wait_storecnt 0x0
	s_barrier_signal -1
	s_barrier_wait -1
	scratch_load_b64 v[26:27], off, off offset:32
	s_mov_b32 s0, exec_lo
	s_wait_loadcnt 0x0
	ds_store_b64 v1, v[26:27]
	s_wait_dscnt 0x0
	s_barrier_signal -1
	s_barrier_wait -1
	v_cmpx_gt_u32_e32 4, v0
	s_cbranch_execz .LBB74_31
; %bb.28:
	v_dual_mov_b32 v26, 0 :: v_dual_add_nc_u32 v9, -1, v0
	v_add_nc_u32_e32 v11, 0x60, v24
	v_mov_b32_e32 v13, v24
	s_mov_b32 s1, 0
	s_delay_alu instid0(VALU_DEP_3)
	v_mov_b32_e32 v27, v26
.LBB74_29:                              ; =>This Inner Loop Header: Depth=1
	scratch_load_b64 v[28:29], v13, off
	ds_load_b64 v[30:31], v11
	s_wait_xcnt 0x0
	v_dual_add_nc_u32 v11, 8, v11 :: v_dual_add_nc_u32 v13, 8, v13
	s_wait_loadcnt_dscnt 0x0
	v_pk_mul_f32 v[32:33], v[30:31], v[28:29] op_sel:[1,1] op_sel_hi:[0,1]
	s_delay_alu instid0(VALU_DEP_1) | instskip(SKIP_2) | instid1(VALU_DEP_3)
	v_pk_fma_f32 v[34:35], v[30:31], v[28:29], v[32:33] op_sel_hi:[1,0,1]
	v_add_nc_u32_e32 v9, 1, v9
	v_pk_fma_f32 v[28:29], v[30:31], v[28:29], v[32:33] neg_lo:[0,0,1] neg_hi:[0,0,1]
	v_mov_b32_e32 v29, v35
	s_delay_alu instid0(VALU_DEP_3) | instskip(NEXT) | instid1(VALU_DEP_2)
	v_cmp_lt_u32_e32 vcc_lo, 2, v9
	v_pk_add_f32 v[26:27], v[26:27], v[28:29]
	s_or_b32 s1, vcc_lo, s1
	s_delay_alu instid0(SALU_CYCLE_1)
	s_and_not1_b32 exec_lo, exec_lo, s1
	s_cbranch_execnz .LBB74_29
; %bb.30:
	s_or_b32 exec_lo, exec_lo, s1
	v_mov_b32_e32 v9, 0
	ds_load_b64 v[28:29], v9 offset:32
	s_wait_dscnt 0x0
	v_pk_mul_f32 v[30:31], v[26:27], v[28:29] op_sel:[1,1] op_sel_hi:[0,1]
	s_delay_alu instid0(VALU_DEP_1) | instskip(SKIP_1) | instid1(VALU_DEP_2)
	v_pk_fma_f32 v[32:33], v[26:27], v[28:29], v[30:31] op_sel_hi:[1,0,1]
	v_pk_fma_f32 v[26:27], v[26:27], v[28:29], v[30:31] neg_lo:[0,0,1] neg_hi:[0,0,1]
	v_mov_b32_e32 v27, v33
	scratch_store_b64 off, v[26:27], off offset:32
.LBB74_31:
	s_wait_xcnt 0x0
	s_or_b32 exec_lo, exec_lo, s0
	s_wait_storecnt 0x0
	s_barrier_signal -1
	s_barrier_wait -1
	scratch_load_b64 v[26:27], off, off offset:40
	;; [unrolled: 52-line block ×7, first 2 shown]
	s_mov_b32 s0, exec_lo
	s_wait_loadcnt 0x0
	ds_store_b64 v1, v[26:27]
	s_wait_dscnt 0x0
	s_barrier_signal -1
	s_barrier_wait -1
	v_cmpx_ne_u32_e32 10, v0
	s_cbranch_execz .LBB74_55
; %bb.52:
	v_dual_mov_b32 v26, 0 :: v_dual_mov_b32 v9, v24
	s_mov_b32 s1, 0
	s_delay_alu instid0(VALU_DEP_1)
	v_mov_b32_e32 v27, v26
.LBB74_53:                              ; =>This Inner Loop Header: Depth=1
	scratch_load_b64 v[24:25], v9, off
	ds_load_b64 v[28:29], v1
	v_add_nc_u32_e32 v1, 8, v1
	s_wait_xcnt 0x0
	v_add_nc_u32_e32 v9, 8, v9
	s_wait_loadcnt_dscnt 0x0
	v_pk_mul_f32 v[30:31], v[28:29], v[24:25] op_sel:[1,1] op_sel_hi:[0,1]
	s_delay_alu instid0(VALU_DEP_1) | instskip(SKIP_2) | instid1(VALU_DEP_3)
	v_pk_fma_f32 v[32:33], v[28:29], v[24:25], v[30:31] op_sel_hi:[1,0,1]
	v_add_nc_u32_e32 v7, 1, v7
	v_pk_fma_f32 v[24:25], v[28:29], v[24:25], v[30:31] neg_lo:[0,0,1] neg_hi:[0,0,1]
	v_mov_b32_e32 v25, v33
	s_delay_alu instid0(VALU_DEP_3) | instskip(NEXT) | instid1(VALU_DEP_2)
	v_cmp_lt_u32_e32 vcc_lo, 8, v7
	v_pk_add_f32 v[26:27], v[26:27], v[24:25]
	s_or_b32 s1, vcc_lo, s1
	s_delay_alu instid0(SALU_CYCLE_1)
	s_and_not1_b32 exec_lo, exec_lo, s1
	s_cbranch_execnz .LBB74_53
; %bb.54:
	s_or_b32 exec_lo, exec_lo, s1
	v_mov_b32_e32 v1, 0
	ds_load_b64 v[24:25], v1 offset:80
	s_wait_dscnt 0x0
	v_pk_mul_f32 v[28:29], v[26:27], v[24:25] op_sel:[1,1] op_sel_hi:[0,1]
	s_delay_alu instid0(VALU_DEP_1) | instskip(SKIP_1) | instid1(VALU_DEP_2)
	v_pk_fma_f32 v[30:31], v[26:27], v[24:25], v[28:29] op_sel_hi:[1,0,1]
	v_pk_fma_f32 v[24:25], v[26:27], v[24:25], v[28:29] neg_lo:[0,0,1] neg_hi:[0,0,1]
	v_mov_b32_e32 v25, v31
	scratch_store_b64 off, v[24:25], off offset:80
.LBB74_55:
	s_wait_xcnt 0x0
	s_or_b32 exec_lo, exec_lo, s0
	s_mov_b32 s1, -1
	s_wait_storecnt 0x0
	s_barrier_signal -1
	s_barrier_wait -1
.LBB74_56:
	s_and_b32 vcc_lo, exec_lo, s1
	s_cbranch_vccz .LBB74_58
; %bb.57:
	v_mov_b32_e32 v1, 0
	s_lshl_b64 s[0:1], s[10:11], 2
	s_delay_alu instid0(SALU_CYCLE_1)
	s_add_nc_u64 s[0:1], s[6:7], s[0:1]
	global_load_b32 v1, v1, s[0:1]
	s_wait_loadcnt 0x0
	v_cmp_ne_u32_e32 vcc_lo, 0, v1
	s_cbranch_vccz .LBB74_59
.LBB74_58:
	s_sendmsg sendmsg(MSG_DEALLOC_VGPRS)
	s_endpgm
.LBB74_59:
	s_wait_xcnt 0x0
	v_lshl_add_u32 v1, v0, 3, 0x60
	s_mov_b32 s0, exec_lo
	v_cmpx_eq_u32_e32 10, v0
	s_cbranch_execz .LBB74_61
; %bb.60:
	scratch_load_b64 v[24:25], off, off offset:72
	v_mov_b64_e32 v[26:27], 0
	scratch_store_b64 off, v[26:27], off offset:72
	s_wait_loadcnt 0x0
	ds_store_b64 v1, v[24:25]
.LBB74_61:
	s_wait_xcnt 0x0
	s_or_b32 exec_lo, exec_lo, s0
	s_wait_storecnt_dscnt 0x0
	s_barrier_signal -1
	s_barrier_wait -1
	s_clause 0x1
	scratch_load_b64 v[24:25], off, off offset:80
	scratch_load_b64 v[26:27], off, off offset:72
	v_mov_b32_e32 v7, 0
	s_mov_b32 s0, exec_lo
	ds_load_b64 v[28:29], v7 offset:176
	s_wait_loadcnt_dscnt 0x100
	v_pk_mul_f32 v[30:31], v[28:29], v[24:25] op_sel:[1,1] op_sel_hi:[0,1]
	s_delay_alu instid0(VALU_DEP_1) | instskip(SKIP_1) | instid1(VALU_DEP_2)
	v_pk_fma_f32 v[32:33], v[28:29], v[24:25], v[30:31] op_sel_hi:[1,0,1]
	v_pk_fma_f32 v[24:25], v[28:29], v[24:25], v[30:31] neg_lo:[0,0,1] neg_hi:[0,0,1]
	v_mov_b32_e32 v25, v33
	s_delay_alu instid0(VALU_DEP_1) | instskip(SKIP_1) | instid1(VALU_DEP_1)
	v_pk_add_f32 v[24:25], v[24:25], 0 op_sel_hi:[1,0]
	s_wait_loadcnt 0x0
	v_pk_add_f32 v[24:25], v[26:27], v[24:25] neg_lo:[0,1] neg_hi:[0,1]
	scratch_store_b64 off, v[24:25], off offset:72
	s_wait_xcnt 0x0
	v_cmpx_lt_u32_e32 8, v0
	s_cbranch_execz .LBB74_63
; %bb.62:
	scratch_load_b64 v[24:25], off, off offset:64
	v_mov_b64_e32 v[26:27], 0
	scratch_store_b64 off, v[26:27], off offset:64
	s_wait_loadcnt 0x0
	ds_store_b64 v1, v[24:25]
.LBB74_63:
	s_wait_xcnt 0x0
	s_or_b32 exec_lo, exec_lo, s0
	s_wait_storecnt_dscnt 0x0
	s_barrier_signal -1
	s_barrier_wait -1
	s_clause 0x1
	scratch_load_b128 v[24:27], off, off offset:72
	scratch_load_b64 v[32:33], off, off offset:64
	ds_load_2addr_b64 v[28:31], v7 offset0:21 offset1:22
	s_mov_b32 s0, exec_lo
	s_wait_dscnt 0x0
	v_dual_mov_b32 v34, v31 :: v_dual_mov_b32 v35, v30
	s_wait_loadcnt 0x1
	v_pk_mul_f32 v[36:37], v[28:29], v[24:25] op_sel:[1,1] op_sel_hi:[0,1]
	s_delay_alu instid0(VALU_DEP_1) | instskip(SKIP_2) | instid1(VALU_DEP_3)
	v_pk_fma_f32 v[40:41], v[28:29], v[24:25], v[36:37] op_sel_hi:[1,0,1]
	v_mov_b32_e32 v38, v27
	v_pk_fma_f32 v[24:25], v[28:29], v[24:25], v[36:37] neg_lo:[0,0,1] neg_hi:[0,0,1]
	v_mov_b32_e32 v25, v41
	s_delay_alu instid0(VALU_DEP_3) | instskip(NEXT) | instid1(VALU_DEP_2)
	v_pk_mul_f32 v[34:35], v[34:35], v[38:39] op_sel_hi:[1,0]
	v_pk_add_f32 v[24:25], v[24:25], 0 op_sel_hi:[1,0]
	s_delay_alu instid0(VALU_DEP_2) | instskip(SKIP_1) | instid1(VALU_DEP_2)
	v_pk_fma_f32 v[28:29], v[30:31], v[26:27], v[34:35] op_sel_hi:[1,0,1]
	v_pk_fma_f32 v[26:27], v[30:31], v[26:27], v[34:35] neg_lo:[0,0,1] neg_hi:[0,0,1]
	v_mov_b32_e32 v27, v29
	s_delay_alu instid0(VALU_DEP_1) | instskip(SKIP_1) | instid1(VALU_DEP_1)
	v_pk_add_f32 v[24:25], v[24:25], v[26:27]
	s_wait_loadcnt 0x0
	v_pk_add_f32 v[24:25], v[32:33], v[24:25] neg_lo:[0,1] neg_hi:[0,1]
	scratch_store_b64 off, v[24:25], off offset:64
	s_wait_xcnt 0x0
	v_cmpx_lt_u32_e32 7, v0
	s_cbranch_execz .LBB74_65
; %bb.64:
	scratch_load_b64 v[24:25], off, off offset:56
	v_mov_b64_e32 v[26:27], 0
	scratch_store_b64 off, v[26:27], off offset:56
	s_wait_loadcnt 0x0
	ds_store_b64 v1, v[24:25]
.LBB74_65:
	s_wait_xcnt 0x0
	s_or_b32 exec_lo, exec_lo, s0
	s_wait_storecnt_dscnt 0x0
	s_barrier_signal -1
	s_barrier_wait -1
	s_clause 0x2
	scratch_load_b128 v[24:27], off, off offset:64
	scratch_load_b64 v[32:33], off, off offset:80
	scratch_load_b64 v[34:35], off, off offset:56
	v_mov_b32_e32 v7, 0
	ds_load_b128 v[28:31], v7 offset:160
	ds_load_b64 v[36:37], v7 offset:176
	s_mov_b32 s0, exec_lo
	s_wait_dscnt 0x1
	v_dual_mov_b32 v38, v31 :: v_dual_mov_b32 v39, v30
	s_wait_loadcnt 0x2
	v_mov_b32_e32 v42, v27
	v_pk_mul_f32 v[40:41], v[28:29], v[24:25] op_sel:[1,1] op_sel_hi:[0,1]
	s_delay_alu instid0(VALU_DEP_2) | instskip(NEXT) | instid1(VALU_DEP_2)
	v_pk_mul_f32 v[38:39], v[38:39], v[42:43] op_sel_hi:[1,0]
	v_pk_fma_f32 v[44:45], v[28:29], v[24:25], v[40:41] op_sel_hi:[1,0,1]
	v_pk_fma_f32 v[24:25], v[28:29], v[24:25], v[40:41] neg_lo:[0,0,1] neg_hi:[0,0,1]
	s_wait_loadcnt_dscnt 0x100
	v_pk_mul_f32 v[40:41], v[36:37], v[32:33] op_sel:[1,1] op_sel_hi:[0,1]
	v_pk_fma_f32 v[28:29], v[30:31], v[26:27], v[38:39] op_sel_hi:[1,0,1]
	v_mov_b32_e32 v25, v45
	v_pk_fma_f32 v[26:27], v[30:31], v[26:27], v[38:39] neg_lo:[0,0,1] neg_hi:[0,0,1]
	s_delay_alu instid0(VALU_DEP_4) | instskip(NEXT) | instid1(VALU_DEP_4)
	v_pk_fma_f32 v[30:31], v[36:37], v[32:33], v[40:41] neg_lo:[0,0,1] neg_hi:[0,0,1]
	v_mov_b32_e32 v27, v29
	s_delay_alu instid0(VALU_DEP_4) | instskip(SKIP_1) | instid1(VALU_DEP_2)
	v_pk_add_f32 v[24:25], v[24:25], 0 op_sel_hi:[1,0]
	v_pk_fma_f32 v[28:29], v[36:37], v[32:33], v[40:41] op_sel_hi:[1,0,1]
	v_pk_add_f32 v[24:25], v[24:25], v[26:27]
	s_delay_alu instid0(VALU_DEP_2) | instskip(NEXT) | instid1(VALU_DEP_1)
	v_mov_b32_e32 v31, v29
	v_pk_add_f32 v[24:25], v[24:25], v[30:31]
	s_wait_loadcnt 0x0
	s_delay_alu instid0(VALU_DEP_1)
	v_pk_add_f32 v[24:25], v[34:35], v[24:25] neg_lo:[0,1] neg_hi:[0,1]
	scratch_store_b64 off, v[24:25], off offset:56
	s_wait_xcnt 0x0
	v_cmpx_lt_u32_e32 6, v0
	s_cbranch_execz .LBB74_67
; %bb.66:
	scratch_load_b64 v[24:25], off, off offset:48
	v_mov_b64_e32 v[26:27], 0
	scratch_store_b64 off, v[26:27], off offset:48
	s_wait_loadcnt 0x0
	ds_store_b64 v1, v[24:25]
.LBB74_67:
	s_wait_xcnt 0x0
	s_or_b32 exec_lo, exec_lo, s0
	s_wait_storecnt_dscnt 0x0
	s_barrier_signal -1
	s_barrier_wait -1
	s_clause 0x2
	scratch_load_b128 v[24:27], off, off offset:56
	scratch_load_b128 v[28:31], off, off offset:72
	scratch_load_b64 v[40:41], off, off offset:48
	ds_load_2addr_b64 v[32:35], v7 offset0:19 offset1:20
	ds_load_2addr_b64 v[36:39], v7 offset0:21 offset1:22
	s_mov_b32 s0, exec_lo
	s_wait_dscnt 0x1
	v_dual_mov_b32 v42, v35 :: v_dual_mov_b32 v43, v34
	s_wait_loadcnt_dscnt 0x200
	v_dual_mov_b32 v48, v39 :: v_dual_mov_b32 v46, v27
	v_pk_mul_f32 v[44:45], v[32:33], v[24:25] op_sel:[1,1] op_sel_hi:[0,1]
	s_delay_alu instid0(VALU_DEP_2) | instskip(NEXT) | instid1(VALU_DEP_2)
	v_pk_mul_f32 v[42:43], v[42:43], v[46:47] op_sel_hi:[1,0]
	v_pk_fma_f32 v[50:51], v[32:33], v[24:25], v[44:45] op_sel_hi:[1,0,1]
	v_pk_fma_f32 v[24:25], v[32:33], v[24:25], v[44:45] neg_lo:[0,0,1] neg_hi:[0,0,1]
	v_mov_b32_e32 v49, v38
	s_wait_loadcnt 0x1
	v_pk_mul_f32 v[46:47], v[36:37], v[28:29] op_sel:[1,1] op_sel_hi:[0,1]
	v_pk_fma_f32 v[32:33], v[34:35], v[26:27], v[42:43] op_sel_hi:[1,0,1]
	v_dual_mov_b32 v25, v51 :: v_dual_mov_b32 v32, v31
	v_pk_fma_f32 v[26:27], v[34:35], v[26:27], v[42:43] neg_lo:[0,0,1] neg_hi:[0,0,1]
	s_delay_alu instid0(VALU_DEP_4) | instskip(NEXT) | instid1(VALU_DEP_4)
	v_pk_fma_f32 v[44:45], v[36:37], v[28:29], v[46:47] op_sel_hi:[1,0,1]
	v_mov_b32_e32 v27, v33
	s_delay_alu instid0(VALU_DEP_4) | instskip(SKIP_2) | instid1(VALU_DEP_3)
	v_pk_add_f32 v[24:25], v[24:25], 0 op_sel_hi:[1,0]
	v_pk_mul_f32 v[32:33], v[48:49], v[32:33] op_sel_hi:[1,0]
	v_pk_fma_f32 v[28:29], v[36:37], v[28:29], v[46:47] neg_lo:[0,0,1] neg_hi:[0,0,1]
	v_pk_add_f32 v[24:25], v[24:25], v[26:27]
	s_delay_alu instid0(VALU_DEP_3) | instskip(SKIP_2) | instid1(VALU_DEP_3)
	v_pk_fma_f32 v[26:27], v[38:39], v[30:31], v[32:33] op_sel_hi:[1,0,1]
	v_mov_b32_e32 v29, v45
	v_pk_fma_f32 v[30:31], v[38:39], v[30:31], v[32:33] neg_lo:[0,0,1] neg_hi:[0,0,1]
	v_mov_b32_e32 v31, v27
	s_delay_alu instid0(VALU_DEP_3) | instskip(NEXT) | instid1(VALU_DEP_1)
	v_pk_add_f32 v[24:25], v[24:25], v[28:29]
	v_pk_add_f32 v[24:25], v[24:25], v[30:31]
	s_wait_loadcnt 0x0
	s_delay_alu instid0(VALU_DEP_1)
	v_pk_add_f32 v[24:25], v[40:41], v[24:25] neg_lo:[0,1] neg_hi:[0,1]
	scratch_store_b64 off, v[24:25], off offset:48
	s_wait_xcnt 0x0
	v_cmpx_lt_u32_e32 5, v0
	s_cbranch_execz .LBB74_69
; %bb.68:
	scratch_load_b64 v[24:25], off, off offset:40
	v_mov_b64_e32 v[26:27], 0
	scratch_store_b64 off, v[26:27], off offset:40
	s_wait_loadcnt 0x0
	ds_store_b64 v1, v[24:25]
.LBB74_69:
	s_wait_xcnt 0x0
	s_or_b32 exec_lo, exec_lo, s0
	s_wait_storecnt_dscnt 0x0
	s_barrier_signal -1
	s_barrier_wait -1
	s_clause 0x3
	scratch_load_b128 v[24:27], off, off offset:48
	scratch_load_b128 v[28:31], off, off offset:64
	scratch_load_b64 v[40:41], off, off offset:80
	scratch_load_b64 v[42:43], off, off offset:40
	v_mov_b32_e32 v7, 0
	ds_load_b128 v[32:35], v7 offset:144
	ds_load_b128 v[36:39], v7 offset:160
	s_mov_b32 s0, exec_lo
	s_wait_dscnt 0x1
	v_dual_mov_b32 v44, v35 :: v_dual_mov_b32 v45, v34
	ds_load_b64 v[50:51], v7 offset:176
	s_wait_dscnt 0x1
	v_dual_mov_b32 v52, v39 :: v_dual_mov_b32 v53, v38
	s_wait_loadcnt 0x3
	v_pk_mul_f32 v[46:47], v[32:33], v[24:25] op_sel:[1,1] op_sel_hi:[0,1]
	v_mov_b32_e32 v48, v27
	s_delay_alu instid0(VALU_DEP_2) | instskip(NEXT) | instid1(VALU_DEP_2)
	v_pk_fma_f32 v[54:55], v[32:33], v[24:25], v[46:47] op_sel_hi:[1,0,1]
	v_pk_mul_f32 v[44:45], v[44:45], v[48:49] op_sel_hi:[1,0]
	v_pk_fma_f32 v[24:25], v[32:33], v[24:25], v[46:47] neg_lo:[0,0,1] neg_hi:[0,0,1]
	s_wait_loadcnt 0x2
	v_pk_mul_f32 v[48:49], v[36:37], v[28:29] op_sel:[1,1] op_sel_hi:[0,1]
	v_dual_mov_b32 v54, v31 :: v_dual_mov_b32 v25, v55
	v_pk_fma_f32 v[32:33], v[34:35], v[26:27], v[44:45] op_sel_hi:[1,0,1]
	v_pk_fma_f32 v[26:27], v[34:35], v[26:27], v[44:45] neg_lo:[0,0,1] neg_hi:[0,0,1]
	s_delay_alu instid0(VALU_DEP_4) | instskip(NEXT) | instid1(VALU_DEP_4)
	v_pk_fma_f32 v[46:47], v[36:37], v[28:29], v[48:49] op_sel_hi:[1,0,1]
	v_pk_mul_f32 v[52:53], v[52:53], v[54:55] op_sel_hi:[1,0]
	v_pk_add_f32 v[24:25], v[24:25], 0 op_sel_hi:[1,0]
	v_mov_b32_e32 v27, v33
	v_pk_fma_f32 v[28:29], v[36:37], v[28:29], v[48:49] neg_lo:[0,0,1] neg_hi:[0,0,1]
	v_mov_b32_e32 v29, v47
	v_pk_fma_f32 v[32:33], v[38:39], v[30:31], v[52:53] op_sel_hi:[1,0,1]
	v_pk_fma_f32 v[30:31], v[38:39], v[30:31], v[52:53] neg_lo:[0,0,1] neg_hi:[0,0,1]
	v_pk_add_f32 v[24:25], v[24:25], v[26:27]
	s_wait_loadcnt_dscnt 0x100
	v_pk_mul_f32 v[26:27], v[50:51], v[40:41] op_sel:[1,1] op_sel_hi:[0,1]
	s_delay_alu instid0(VALU_DEP_2) | instskip(NEXT) | instid1(VALU_DEP_2)
	v_pk_add_f32 v[24:25], v[24:25], v[28:29]
	v_pk_fma_f32 v[28:29], v[50:51], v[40:41], v[26:27] op_sel_hi:[1,0,1]
	v_mov_b32_e32 v31, v33
	v_pk_fma_f32 v[26:27], v[50:51], v[40:41], v[26:27] neg_lo:[0,0,1] neg_hi:[0,0,1]
	s_delay_alu instid0(VALU_DEP_3) | instskip(NEXT) | instid1(VALU_DEP_3)
	v_mov_b32_e32 v27, v29
	v_pk_add_f32 v[24:25], v[24:25], v[30:31]
	s_delay_alu instid0(VALU_DEP_1) | instskip(SKIP_1) | instid1(VALU_DEP_1)
	v_pk_add_f32 v[24:25], v[24:25], v[26:27]
	s_wait_loadcnt 0x0
	v_pk_add_f32 v[24:25], v[42:43], v[24:25] neg_lo:[0,1] neg_hi:[0,1]
	scratch_store_b64 off, v[24:25], off offset:40
	s_wait_xcnt 0x0
	v_cmpx_lt_u32_e32 4, v0
	s_cbranch_execz .LBB74_71
; %bb.70:
	scratch_load_b64 v[24:25], off, off offset:32
	v_mov_b64_e32 v[26:27], 0
	scratch_store_b64 off, v[26:27], off offset:32
	s_wait_loadcnt 0x0
	ds_store_b64 v1, v[24:25]
.LBB74_71:
	s_wait_xcnt 0x0
	s_or_b32 exec_lo, exec_lo, s0
	s_wait_storecnt_dscnt 0x0
	s_barrier_signal -1
	s_barrier_wait -1
	s_clause 0x3
	scratch_load_b128 v[24:27], off, off offset:40
	scratch_load_b128 v[28:31], off, off offset:56
	;; [unrolled: 1-line block ×3, first 2 shown]
	scratch_load_b64 v[48:49], off, off offset:32
	ds_load_2addr_b64 v[36:39], v7 offset0:17 offset1:18
	ds_load_2addr_b64 v[40:43], v7 offset0:19 offset1:20
	;; [unrolled: 1-line block ×3, first 2 shown]
	s_mov_b32 s0, exec_lo
	s_wait_dscnt 0x2
	v_dual_mov_b32 v50, v39 :: v_dual_mov_b32 v51, v38
	s_wait_dscnt 0x1
	v_dual_mov_b32 v52, v43 :: v_dual_mov_b32 v53, v42
	;; [unrolled: 2-line block ×3, first 2 shown]
	s_wait_loadcnt 0x3
	v_pk_mul_f32 v[54:55], v[36:37], v[24:25] op_sel:[1,1] op_sel_hi:[0,1]
	v_mov_b32_e32 v56, v27
	s_delay_alu instid0(VALU_DEP_2) | instskip(NEXT) | instid1(VALU_DEP_2)
	v_pk_fma_f32 v[60:61], v[36:37], v[24:25], v[54:55] op_sel_hi:[1,0,1]
	v_pk_mul_f32 v[50:51], v[50:51], v[56:57] op_sel_hi:[1,0]
	v_pk_fma_f32 v[24:25], v[36:37], v[24:25], v[54:55] neg_lo:[0,0,1] neg_hi:[0,0,1]
	s_wait_loadcnt 0x2
	v_pk_mul_f32 v[56:57], v[40:41], v[28:29] op_sel:[1,1] op_sel_hi:[0,1]
	v_mov_b32_e32 v60, v31
	v_pk_fma_f32 v[36:37], v[38:39], v[26:27], v[50:51] op_sel_hi:[1,0,1]
	v_mov_b32_e32 v25, v61
	v_pk_fma_f32 v[26:27], v[38:39], v[26:27], v[50:51] neg_lo:[0,0,1] neg_hi:[0,0,1]
	v_pk_fma_f32 v[54:55], v[40:41], v[28:29], v[56:57] op_sel_hi:[1,0,1]
	v_pk_mul_f32 v[52:53], v[52:53], v[60:61] op_sel_hi:[1,0]
	v_mov_b32_e32 v27, v37
	v_pk_add_f32 v[24:25], v[24:25], 0 op_sel_hi:[1,0]
	v_pk_fma_f32 v[28:29], v[40:41], v[28:29], v[56:57] neg_lo:[0,0,1] neg_hi:[0,0,1]
	s_wait_loadcnt 0x1
	v_pk_mul_f32 v[36:37], v[44:45], v[32:33] op_sel:[1,1] op_sel_hi:[0,1]
	v_mov_b32_e32 v29, v55
	v_pk_fma_f32 v[38:39], v[42:43], v[30:31], v[52:53] op_sel_hi:[1,0,1]
	v_pk_add_f32 v[24:25], v[24:25], v[26:27]
	v_mov_b32_e32 v26, v35
	v_pk_fma_f32 v[30:31], v[42:43], v[30:31], v[52:53] neg_lo:[0,0,1] neg_hi:[0,0,1]
	v_pk_fma_f32 v[40:41], v[44:45], v[32:33], v[36:37] op_sel_hi:[1,0,1]
	v_mov_b32_e32 v31, v39
	v_pk_add_f32 v[24:25], v[24:25], v[28:29]
	v_pk_mul_f32 v[26:27], v[58:59], v[26:27] op_sel_hi:[1,0]
	v_pk_fma_f32 v[28:29], v[44:45], v[32:33], v[36:37] neg_lo:[0,0,1] neg_hi:[0,0,1]
	v_mov_b32_e32 v29, v41
	s_delay_alu instid0(VALU_DEP_4) | instskip(NEXT) | instid1(VALU_DEP_4)
	v_pk_add_f32 v[24:25], v[24:25], v[30:31]
	v_pk_fma_f32 v[30:31], v[46:47], v[34:35], v[26:27] op_sel_hi:[1,0,1]
	v_pk_fma_f32 v[26:27], v[46:47], v[34:35], v[26:27] neg_lo:[0,0,1] neg_hi:[0,0,1]
	s_delay_alu instid0(VALU_DEP_3) | instskip(NEXT) | instid1(VALU_DEP_3)
	v_pk_add_f32 v[24:25], v[24:25], v[28:29]
	v_mov_b32_e32 v27, v31
	s_delay_alu instid0(VALU_DEP_1) | instskip(SKIP_1) | instid1(VALU_DEP_1)
	v_pk_add_f32 v[24:25], v[24:25], v[26:27]
	s_wait_loadcnt 0x0
	v_pk_add_f32 v[24:25], v[48:49], v[24:25] neg_lo:[0,1] neg_hi:[0,1]
	scratch_store_b64 off, v[24:25], off offset:32
	s_wait_xcnt 0x0
	v_cmpx_lt_u32_e32 3, v0
	s_cbranch_execz .LBB74_73
; %bb.72:
	scratch_load_b64 v[24:25], off, off offset:24
	v_mov_b64_e32 v[26:27], 0
	scratch_store_b64 off, v[26:27], off offset:24
	s_wait_loadcnt 0x0
	ds_store_b64 v1, v[24:25]
.LBB74_73:
	s_wait_xcnt 0x0
	s_or_b32 exec_lo, exec_lo, s0
	s_wait_storecnt_dscnt 0x0
	s_barrier_signal -1
	s_barrier_wait -1
	s_clause 0x4
	scratch_load_b128 v[24:27], off, off offset:32
	scratch_load_b128 v[28:31], off, off offset:48
	;; [unrolled: 1-line block ×3, first 2 shown]
	scratch_load_b64 v[48:49], off, off offset:80
	scratch_load_b64 v[50:51], off, off offset:24
	v_mov_b32_e32 v7, 0
	ds_load_b128 v[36:39], v7 offset:128
	ds_load_b128 v[40:43], v7 offset:144
	;; [unrolled: 1-line block ×3, first 2 shown]
	ds_load_b64 v[52:53], v7 offset:176
	s_mov_b32 s0, exec_lo
	s_wait_dscnt 0x3
	v_dual_mov_b32 v54, v39 :: v_dual_mov_b32 v55, v38
	s_wait_dscnt 0x2
	v_dual_mov_b32 v56, v43 :: v_dual_mov_b32 v57, v42
	;; [unrolled: 2-line block ×3, first 2 shown]
	s_wait_loadcnt 0x4
	v_pk_mul_f32 v[58:59], v[36:37], v[24:25] op_sel:[1,1] op_sel_hi:[0,1]
	v_mov_b32_e32 v60, v27
	s_wait_loadcnt 0x3
	v_pk_mul_f32 v[64:65], v[40:41], v[28:29] op_sel:[1,1] op_sel_hi:[0,1]
	s_wait_loadcnt 0x2
	v_pk_mul_f32 v[68:69], v[44:45], v[32:33] op_sel:[1,1] op_sel_hi:[0,1]
	v_pk_fma_f32 v[66:67], v[36:37], v[24:25], v[58:59] op_sel_hi:[1,0,1]
	v_pk_mul_f32 v[54:55], v[54:55], v[60:61] op_sel_hi:[1,0]
	v_pk_fma_f32 v[24:25], v[36:37], v[24:25], v[58:59] neg_lo:[0,0,1] neg_hi:[0,0,1]
	v_mov_b32_e32 v60, v31
	v_pk_fma_f32 v[58:59], v[40:41], v[28:29], v[64:65] op_sel_hi:[1,0,1]
	v_mov_b32_e32 v25, v67
	v_pk_fma_f32 v[36:37], v[38:39], v[26:27], v[54:55] op_sel_hi:[1,0,1]
	v_pk_fma_f32 v[26:27], v[38:39], v[26:27], v[54:55] neg_lo:[0,0,1] neg_hi:[0,0,1]
	v_pk_mul_f32 v[56:57], v[56:57], v[60:61] op_sel_hi:[1,0]
	v_pk_fma_f32 v[28:29], v[40:41], v[28:29], v[64:65] neg_lo:[0,0,1] neg_hi:[0,0,1]
	v_pk_add_f32 v[24:25], v[24:25], 0 op_sel_hi:[1,0]
	v_dual_mov_b32 v27, v37 :: v_dual_mov_b32 v36, v35
	s_delay_alu instid0(VALU_DEP_4) | instskip(SKIP_2) | instid1(VALU_DEP_4)
	v_pk_fma_f32 v[38:39], v[42:43], v[30:31], v[56:57] op_sel_hi:[1,0,1]
	v_mov_b32_e32 v29, v59
	v_pk_fma_f32 v[30:31], v[42:43], v[30:31], v[56:57] neg_lo:[0,0,1] neg_hi:[0,0,1]
	v_pk_add_f32 v[24:25], v[24:25], v[26:27]
	v_pk_fma_f32 v[26:27], v[44:45], v[32:33], v[68:69] op_sel_hi:[1,0,1]
	v_pk_mul_f32 v[36:37], v[62:63], v[36:37] op_sel_hi:[1,0]
	v_mov_b32_e32 v31, v39
	s_delay_alu instid0(VALU_DEP_4)
	v_pk_add_f32 v[24:25], v[24:25], v[28:29]
	v_pk_fma_f32 v[28:29], v[44:45], v[32:33], v[68:69] neg_lo:[0,0,1] neg_hi:[0,0,1]
	v_mov_b32_e32 v29, v27
	v_pk_fma_f32 v[26:27], v[46:47], v[34:35], v[36:37] op_sel_hi:[1,0,1]
	v_pk_fma_f32 v[32:33], v[46:47], v[34:35], v[36:37] neg_lo:[0,0,1] neg_hi:[0,0,1]
	v_pk_add_f32 v[24:25], v[24:25], v[30:31]
	s_wait_loadcnt_dscnt 0x100
	v_pk_mul_f32 v[30:31], v[52:53], v[48:49] op_sel:[1,1] op_sel_hi:[0,1]
	v_mov_b32_e32 v33, v27
	s_delay_alu instid0(VALU_DEP_3) | instskip(NEXT) | instid1(VALU_DEP_3)
	v_pk_add_f32 v[24:25], v[24:25], v[28:29]
	v_pk_fma_f32 v[26:27], v[52:53], v[48:49], v[30:31] op_sel_hi:[1,0,1]
	v_pk_fma_f32 v[28:29], v[52:53], v[48:49], v[30:31] neg_lo:[0,0,1] neg_hi:[0,0,1]
	s_delay_alu instid0(VALU_DEP_3) | instskip(NEXT) | instid1(VALU_DEP_3)
	v_pk_add_f32 v[24:25], v[24:25], v[32:33]
	v_mov_b32_e32 v29, v27
	s_delay_alu instid0(VALU_DEP_1) | instskip(SKIP_1) | instid1(VALU_DEP_1)
	v_pk_add_f32 v[24:25], v[24:25], v[28:29]
	s_wait_loadcnt 0x0
	v_pk_add_f32 v[24:25], v[50:51], v[24:25] neg_lo:[0,1] neg_hi:[0,1]
	scratch_store_b64 off, v[24:25], off offset:24
	s_wait_xcnt 0x0
	v_cmpx_lt_u32_e32 2, v0
	s_cbranch_execz .LBB74_75
; %bb.74:
	scratch_load_b64 v[24:25], off, off offset:16
	v_mov_b64_e32 v[26:27], 0
	scratch_store_b64 off, v[26:27], off offset:16
	s_wait_loadcnt 0x0
	ds_store_b64 v1, v[24:25]
.LBB74_75:
	s_wait_xcnt 0x0
	s_or_b32 exec_lo, exec_lo, s0
	s_wait_storecnt_dscnt 0x0
	s_barrier_signal -1
	s_barrier_wait -1
	s_clause 0x4
	scratch_load_b128 v[24:27], off, off offset:24
	scratch_load_b128 v[28:31], off, off offset:40
	scratch_load_b128 v[32:35], off, off offset:56
	scratch_load_b128 v[36:39], off, off offset:72
	scratch_load_b64 v[56:57], off, off offset:16
	ds_load_2addr_b64 v[40:43], v7 offset0:15 offset1:16
	ds_load_2addr_b64 v[44:47], v7 offset0:17 offset1:18
	;; [unrolled: 1-line block ×4, first 2 shown]
	s_mov_b32 s0, exec_lo
	s_wait_dscnt 0x3
	v_dual_mov_b32 v58, v43 :: v_dual_mov_b32 v59, v42
	s_wait_dscnt 0x2
	v_dual_mov_b32 v60, v47 :: v_dual_mov_b32 v61, v46
	;; [unrolled: 2-line block ×3, first 2 shown]
	v_dual_mov_b32 v63, v50 :: v_dual_mov_b32 v68, v55
	s_wait_loadcnt 0x4
	v_mov_b32_e32 v66, v27
	v_pk_mul_f32 v[64:65], v[40:41], v[24:25] op_sel:[1,1] op_sel_hi:[0,1]
	s_wait_loadcnt 0x3
	v_pk_mul_f32 v[70:71], v[44:45], v[28:29] op_sel:[1,1] op_sel_hi:[0,1]
	s_wait_loadcnt 0x2
	v_pk_mul_f32 v[74:75], v[48:49], v[32:33] op_sel:[1,1] op_sel_hi:[0,1]
	v_pk_mul_f32 v[58:59], v[58:59], v[66:67] op_sel_hi:[1,0]
	v_pk_fma_f32 v[72:73], v[40:41], v[24:25], v[64:65] op_sel_hi:[1,0,1]
	v_pk_fma_f32 v[24:25], v[40:41], v[24:25], v[64:65] neg_lo:[0,0,1] neg_hi:[0,0,1]
	v_mov_b32_e32 v66, v31
	v_pk_fma_f32 v[64:65], v[44:45], v[28:29], v[70:71] op_sel_hi:[1,0,1]
	v_pk_fma_f32 v[40:41], v[42:43], v[26:27], v[58:59] op_sel_hi:[1,0,1]
	v_mov_b32_e32 v25, v73
	v_pk_fma_f32 v[26:27], v[42:43], v[26:27], v[58:59] neg_lo:[0,0,1] neg_hi:[0,0,1]
	v_pk_mul_f32 v[60:61], v[60:61], v[66:67] op_sel_hi:[1,0]
	s_delay_alu instid0(VALU_DEP_4) | instskip(NEXT) | instid1(VALU_DEP_4)
	v_dual_mov_b32 v40, v35 :: v_dual_mov_b32 v27, v41
	v_pk_add_f32 v[24:25], v[24:25], 0 op_sel_hi:[1,0]
	v_pk_fma_f32 v[28:29], v[44:45], v[28:29], v[70:71] neg_lo:[0,0,1] neg_hi:[0,0,1]
	v_mov_b32_e32 v29, v65
	v_pk_fma_f32 v[42:43], v[46:47], v[30:31], v[60:61] op_sel_hi:[1,0,1]
	v_pk_mul_f32 v[40:41], v[62:63], v[40:41] op_sel_hi:[1,0]
	v_pk_add_f32 v[24:25], v[24:25], v[26:27]
	v_pk_fma_f32 v[26:27], v[48:49], v[32:33], v[74:75] op_sel_hi:[1,0,1]
	v_pk_fma_f32 v[30:31], v[46:47], v[30:31], v[60:61] neg_lo:[0,0,1] neg_hi:[0,0,1]
	v_mov_b32_e32 v31, v43
	v_pk_fma_f32 v[32:33], v[48:49], v[32:33], v[74:75] neg_lo:[0,0,1] neg_hi:[0,0,1]
	v_pk_add_f32 v[24:25], v[24:25], v[28:29]
	v_mov_b32_e32 v33, v27
	v_pk_fma_f32 v[26:27], v[50:51], v[34:35], v[40:41] op_sel_hi:[1,0,1]
	s_wait_loadcnt 0x1
	v_pk_mul_f32 v[28:29], v[52:53], v[36:37] op_sel:[1,1] op_sel_hi:[0,1]
	v_mov_b32_e32 v26, v39
	v_pk_add_f32 v[24:25], v[24:25], v[30:31]
	v_pk_fma_f32 v[34:35], v[50:51], v[34:35], v[40:41] neg_lo:[0,0,1] neg_hi:[0,0,1]
	v_mov_b32_e32 v35, v27
	v_pk_fma_f32 v[30:31], v[52:53], v[36:37], v[28:29] op_sel_hi:[1,0,1]
	v_pk_mul_f32 v[26:27], v[68:69], v[26:27] op_sel_hi:[1,0]
	v_pk_add_f32 v[24:25], v[24:25], v[32:33]
	v_pk_fma_f32 v[28:29], v[52:53], v[36:37], v[28:29] neg_lo:[0,0,1] neg_hi:[0,0,1]
	s_delay_alu instid0(VALU_DEP_4) | instskip(NEXT) | instid1(VALU_DEP_4)
	v_mov_b32_e32 v29, v31
	v_pk_fma_f32 v[30:31], v[54:55], v[38:39], v[26:27] op_sel_hi:[1,0,1]
	s_delay_alu instid0(VALU_DEP_4) | instskip(SKIP_1) | instid1(VALU_DEP_3)
	v_pk_add_f32 v[24:25], v[24:25], v[34:35]
	v_pk_fma_f32 v[26:27], v[54:55], v[38:39], v[26:27] neg_lo:[0,0,1] neg_hi:[0,0,1]
	v_mov_b32_e32 v27, v31
	s_delay_alu instid0(VALU_DEP_3) | instskip(NEXT) | instid1(VALU_DEP_1)
	v_pk_add_f32 v[24:25], v[24:25], v[28:29]
	v_pk_add_f32 v[24:25], v[24:25], v[26:27]
	s_wait_loadcnt 0x0
	s_delay_alu instid0(VALU_DEP_1)
	v_pk_add_f32 v[24:25], v[56:57], v[24:25] neg_lo:[0,1] neg_hi:[0,1]
	scratch_store_b64 off, v[24:25], off offset:16
	s_wait_xcnt 0x0
	v_cmpx_lt_u32_e32 1, v0
	s_cbranch_execz .LBB74_77
; %bb.76:
	scratch_load_b64 v[24:25], off, off offset:8
	v_mov_b64_e32 v[26:27], 0
	scratch_store_b64 off, v[26:27], off offset:8
	s_wait_loadcnt 0x0
	ds_store_b64 v1, v[24:25]
.LBB74_77:
	s_wait_xcnt 0x0
	s_or_b32 exec_lo, exec_lo, s0
	s_wait_storecnt_dscnt 0x0
	s_barrier_signal -1
	s_barrier_wait -1
	s_clause 0x5
	scratch_load_b128 v[26:29], off, off offset:16
	scratch_load_b128 v[30:33], off, off offset:32
	;; [unrolled: 1-line block ×4, first 2 shown]
	scratch_load_b64 v[58:59], off, off offset:80
	scratch_load_b64 v[60:61], off, off offset:8
	v_mov_b32_e32 v24, 0
	ds_load_b128 v[42:45], v24 offset:112
	ds_load_b128 v[46:49], v24 offset:128
	;; [unrolled: 1-line block ×4, first 2 shown]
	ds_load_b64 v[62:63], v24 offset:176
	v_dual_ashrrev_i32 v9, 31, v8 :: v_dual_ashrrev_i32 v11, 31, v10
	v_dual_ashrrev_i32 v13, 31, v12 :: v_dual_ashrrev_i32 v15, 31, v14
	;; [unrolled: 1-line block ×4, first 2 shown]
	s_mov_b32 s0, exec_lo
	s_wait_dscnt 0x4
	v_dual_mov_b32 v64, v45 :: v_dual_mov_b32 v65, v44
	s_wait_dscnt 0x1
	v_dual_mov_b32 v66, v49 :: v_dual_mov_b32 v71, v56
	v_dual_mov_b32 v67, v48 :: v_dual_mov_b32 v68, v53
	;; [unrolled: 1-line block ×3, first 2 shown]
	s_wait_loadcnt 0x5
	v_dual_mov_b32 v72, v29 :: v_dual_mul_f32 v73, v42, v27
	v_mul_f32_e32 v7, v43, v27
	s_wait_loadcnt 0x4
	v_pk_mul_f32 v[74:75], v[46:47], v[30:31] op_sel:[1,1] op_sel_hi:[0,1]
	s_wait_loadcnt 0x3
	v_dual_mov_b32 v76, v33 :: v_dual_mov_b32 v80, v37
	v_pk_mul_f32 v[64:65], v[64:65], v[72:73] op_sel_hi:[1,0]
	v_dual_fmac_f32 v73, v43, v26 :: v_dual_fma_f32 v72, v42, v26, -v7
	v_pk_fma_f32 v[42:43], v[46:47], v[30:31], v[74:75] op_sel_hi:[1,0,1]
	s_delay_alu instid0(VALU_DEP_4) | instskip(NEXT) | instid1(VALU_DEP_4)
	v_pk_mul_f32 v[66:67], v[66:67], v[76:77] op_sel_hi:[1,0]
	v_pk_fma_f32 v[26:27], v[44:45], v[28:29], v[64:65] op_sel_hi:[1,0,1]
	v_pk_fma_f32 v[28:29], v[44:45], v[28:29], v[64:65] neg_lo:[0,0,1] neg_hi:[0,0,1]
	v_pk_add_f32 v[44:45], v[72:73], 0 op_sel_hi:[1,0]
	v_pk_fma_f32 v[30:31], v[46:47], v[30:31], v[74:75] neg_lo:[0,0,1] neg_hi:[0,0,1]
	v_pk_mul_f32 v[78:79], v[50:51], v[34:35] op_sel:[1,1] op_sel_hi:[0,1]
	v_dual_mov_b32 v29, v27 :: v_dual_mov_b32 v31, v43
	v_pk_fma_f32 v[42:43], v[48:49], v[32:33], v[66:67] op_sel_hi:[1,0,1]
	v_pk_fma_f32 v[32:33], v[48:49], v[32:33], v[66:67] neg_lo:[0,0,1] neg_hi:[0,0,1]
	v_pk_mul_f32 v[46:47], v[68:69], v[80:81] op_sel_hi:[1,0]
	s_delay_alu instid0(VALU_DEP_4)
	v_pk_add_f32 v[28:29], v[44:45], v[28:29]
	v_pk_fma_f32 v[44:45], v[50:51], v[34:35], v[78:79] op_sel_hi:[1,0,1]
	v_mov_b32_e32 v33, v43
	v_pk_fma_f32 v[34:35], v[50:51], v[34:35], v[78:79] neg_lo:[0,0,1] neg_hi:[0,0,1]
	s_wait_loadcnt 0x2
	v_pk_mul_f32 v[26:27], v[54:55], v[38:39] op_sel:[1,1] op_sel_hi:[0,1]
	v_pk_add_f32 v[28:29], v[28:29], v[30:31]
	v_mov_b32_e32 v30, v41
	v_pk_fma_f32 v[42:43], v[52:53], v[36:37], v[46:47] op_sel_hi:[1,0,1]
	v_mov_b32_e32 v35, v45
	v_pk_fma_f32 v[36:37], v[52:53], v[36:37], v[46:47] neg_lo:[0,0,1] neg_hi:[0,0,1]
	v_pk_add_f32 v[28:29], v[28:29], v[32:33]
	v_pk_fma_f32 v[32:33], v[54:55], v[38:39], v[26:27] op_sel_hi:[1,0,1]
	v_pk_mul_f32 v[30:31], v[70:71], v[30:31] op_sel_hi:[1,0]
	v_mov_b32_e32 v37, v43
	v_pk_fma_f32 v[26:27], v[54:55], v[38:39], v[26:27] neg_lo:[0,0,1] neg_hi:[0,0,1]
	v_pk_add_f32 v[28:29], v[28:29], v[34:35]
	v_mov_b32_e32 v27, v33
	v_pk_fma_f32 v[32:33], v[56:57], v[40:41], v[30:31] op_sel_hi:[1,0,1]
	s_wait_loadcnt_dscnt 0x100
	v_pk_mul_f32 v[34:35], v[62:63], v[58:59] op_sel:[1,1] op_sel_hi:[0,1]
	v_pk_fma_f32 v[30:31], v[56:57], v[40:41], v[30:31] neg_lo:[0,0,1] neg_hi:[0,0,1]
	v_pk_add_f32 v[28:29], v[28:29], v[36:37]
	v_mov_b32_e32 v31, v33
	s_delay_alu instid0(VALU_DEP_4) | instskip(NEXT) | instid1(VALU_DEP_3)
	v_pk_fma_f32 v[32:33], v[62:63], v[58:59], v[34:35] neg_lo:[0,0,1] neg_hi:[0,0,1]
	v_pk_add_f32 v[26:27], v[28:29], v[26:27]
	v_pk_fma_f32 v[28:29], v[62:63], v[58:59], v[34:35] op_sel_hi:[1,0,1]
	v_ashrrev_i32_e32 v7, 31, v6
	s_delay_alu instid0(VALU_DEP_3) | instskip(NEXT) | instid1(VALU_DEP_3)
	v_pk_add_f32 v[26:27], v[26:27], v[30:31]
	v_mov_b32_e32 v33, v29
	s_delay_alu instid0(VALU_DEP_1) | instskip(SKIP_1) | instid1(VALU_DEP_1)
	v_pk_add_f32 v[26:27], v[26:27], v[32:33]
	s_wait_loadcnt 0x0
	v_pk_add_f32 v[26:27], v[60:61], v[26:27] neg_lo:[0,1] neg_hi:[0,1]
	scratch_store_b64 off, v[26:27], off offset:8
	s_wait_xcnt 0x0
	v_cmpx_ne_u32_e32 0, v0
	s_cbranch_execz .LBB74_79
; %bb.78:
	scratch_load_b64 v[26:27], off, off
	v_mov_b64_e32 v[28:29], 0
	scratch_store_b64 off, v[28:29], off
	s_wait_loadcnt 0x0
	ds_store_b64 v1, v[26:27]
.LBB74_79:
	s_wait_xcnt 0x0
	s_or_b32 exec_lo, exec_lo, s0
	s_wait_storecnt_dscnt 0x0
	s_barrier_signal -1
	s_barrier_wait -1
	s_clause 0x5
	scratch_load_b128 v[26:29], off, off offset:8
	scratch_load_b128 v[30:33], off, off offset:24
	;; [unrolled: 1-line block ×5, first 2 shown]
	scratch_load_b64 v[0:1], off, off
	ds_load_2addr_b64 v[46:49], v24 offset0:15 offset1:16
	ds_load_2addr_b64 v[50:53], v24 offset0:17 offset1:18
	;; [unrolled: 1-line block ×5, first 2 shown]
	s_and_b32 vcc_lo, exec_lo, s12
	s_wait_dscnt 0x4
	v_dual_mov_b32 v24, v49 :: v_dual_mov_b32 v25, v48
	s_wait_dscnt 0x3
	v_dual_mov_b32 v66, v53 :: v_dual_mov_b32 v67, v52
	;; [unrolled: 2-line block ×4, first 2 shown]
	s_wait_loadcnt_dscnt 0x500
	v_dual_mul_f32 v73, v62, v27 :: v_dual_mul_f32 v75, v64, v29
	v_dual_mul_f32 v27, v63, v27 :: v_dual_mul_f32 v29, v65, v29
	s_wait_loadcnt 0x4
	v_pk_mul_f32 v[76:77], v[46:47], v[30:31] op_sel:[1,1] op_sel_hi:[0,1]
	s_wait_loadcnt 0x3
	v_dual_mov_b32 v78, v33 :: v_dual_mov_b32 v82, v37
	v_dual_fmac_f32 v73, v63, v26 :: v_dual_fma_f32 v72, v62, v26, -v27
	v_dual_fmac_f32 v75, v65, v28 :: v_dual_fma_f32 v74, v64, v28, -v29
	v_pk_fma_f32 v[26:27], v[46:47], v[30:31], v[76:77] op_sel_hi:[1,0,1]
	s_delay_alu instid0(VALU_DEP_4) | instskip(NEXT) | instid1(VALU_DEP_4)
	v_pk_mul_f32 v[24:25], v[24:25], v[78:79] op_sel_hi:[1,0]
	v_pk_add_f32 v[28:29], v[72:73], 0 op_sel_hi:[1,0]
	v_pk_fma_f32 v[30:31], v[46:47], v[30:31], v[76:77] neg_lo:[0,0,1] neg_hi:[0,0,1]
	v_pk_mul_f32 v[80:81], v[50:51], v[34:35] op_sel:[1,1] op_sel_hi:[0,1]
	s_wait_loadcnt 0x2
	v_dual_mov_b32 v26, v41 :: v_dual_mov_b32 v31, v27
	v_pk_fma_f32 v[46:47], v[48:49], v[32:33], v[24:25] op_sel_hi:[1,0,1]
	v_pk_add_f32 v[28:29], v[28:29], v[74:75]
	v_pk_fma_f32 v[24:25], v[48:49], v[32:33], v[24:25] neg_lo:[0,0,1] neg_hi:[0,0,1]
	v_pk_fma_f32 v[62:63], v[50:51], v[34:35], v[80:81] op_sel_hi:[1,0,1]
	v_pk_mul_f32 v[64:65], v[66:67], v[82:83] op_sel_hi:[1,0]
	v_mov_b32_e32 v25, v47
	v_pk_add_f32 v[28:29], v[28:29], v[30:31]
	v_pk_fma_f32 v[32:33], v[50:51], v[34:35], v[80:81] neg_lo:[0,0,1] neg_hi:[0,0,1]
	v_pk_mul_f32 v[84:85], v[54:55], v[38:39] op_sel:[1,1] op_sel_hi:[0,1]
	v_mov_b32_e32 v33, v63
	v_pk_fma_f32 v[34:35], v[52:53], v[36:37], v[64:65] op_sel_hi:[1,0,1]
	v_pk_add_f32 v[24:25], v[28:29], v[24:25]
	v_pk_fma_f32 v[36:37], v[52:53], v[36:37], v[64:65] neg_lo:[0,0,1] neg_hi:[0,0,1]
	v_pk_fma_f32 v[28:29], v[54:55], v[38:39], v[84:85] op_sel_hi:[1,0,1]
	v_pk_mul_f32 v[26:27], v[68:69], v[26:27] op_sel_hi:[1,0]
	s_wait_loadcnt 0x1
	v_dual_mov_b32 v37, v35 :: v_dual_mov_b32 v28, v45
	v_pk_add_f32 v[24:25], v[24:25], v[32:33]
	v_pk_fma_f32 v[32:33], v[54:55], v[38:39], v[84:85] neg_lo:[0,0,1] neg_hi:[0,0,1]
	v_pk_mul_f32 v[30:31], v[58:59], v[42:43] op_sel:[1,1] op_sel_hi:[0,1]
	v_pk_fma_f32 v[34:35], v[56:57], v[40:41], v[26:27] op_sel_hi:[1,0,1]
	v_mov_b32_e32 v33, v29
	v_pk_add_f32 v[24:25], v[24:25], v[36:37]
	v_pk_fma_f32 v[26:27], v[56:57], v[40:41], v[26:27] neg_lo:[0,0,1] neg_hi:[0,0,1]
	v_pk_fma_f32 v[36:37], v[58:59], v[42:43], v[30:31] op_sel_hi:[1,0,1]
	v_pk_mul_f32 v[28:29], v[70:71], v[28:29] op_sel_hi:[1,0]
	v_mov_b32_e32 v27, v35
	v_pk_add_f32 v[24:25], v[24:25], v[32:33]
	v_pk_fma_f32 v[30:31], v[58:59], v[42:43], v[30:31] neg_lo:[0,0,1] neg_hi:[0,0,1]
	s_delay_alu instid0(VALU_DEP_4) | instskip(SKIP_1) | instid1(VALU_DEP_4)
	v_pk_fma_f32 v[32:33], v[60:61], v[44:45], v[28:29] op_sel_hi:[1,0,1]
	v_mov_b32_e32 v31, v37
	v_pk_add_f32 v[24:25], v[24:25], v[26:27]
	v_pk_fma_f32 v[26:27], v[60:61], v[44:45], v[28:29] neg_lo:[0,0,1] neg_hi:[0,0,1]
	s_delay_alu instid0(VALU_DEP_4) | instskip(NEXT) | instid1(VALU_DEP_3)
	v_mov_b32_e32 v27, v33
	v_pk_add_f32 v[24:25], v[24:25], v[30:31]
	s_delay_alu instid0(VALU_DEP_1) | instskip(SKIP_1) | instid1(VALU_DEP_1)
	v_pk_add_f32 v[24:25], v[24:25], v[26:27]
	s_wait_loadcnt 0x0
	v_pk_add_f32 v[0:1], v[0:1], v[24:25] neg_lo:[0,1] neg_hi:[0,1]
	scratch_store_b64 off, v[0:1], off
	s_cbranch_vccz .LBB74_100
; %bb.80:
	s_wait_xcnt 0x0
	v_mov_b32_e32 v0, 0
	global_load_b32 v1, v0, s[8:9] offset:36
	s_wait_loadcnt 0x0
	v_cmp_ne_u32_e32 vcc_lo, 10, v1
	s_cbranch_vccz .LBB74_82
; %bb.81:
	v_lshlrev_b32_e32 v1, 3, v1
	scratch_load_b64 v[24:25], v1, off offset:-8
	scratch_load_b64 v[26:27], off, off offset:72
	s_wait_loadcnt 0x1
	scratch_store_b64 off, v[24:25], off offset:72
	s_wait_loadcnt 0x0
	scratch_store_b64 v1, v[26:27], off offset:-8
.LBB74_82:
	global_load_b32 v0, v0, s[8:9] offset:32
	s_wait_loadcnt 0x0
	v_cmp_eq_u32_e32 vcc_lo, 9, v0
	s_cbranch_vccnz .LBB74_84
; %bb.83:
	s_wait_xcnt 0x0
	v_lshlrev_b32_e32 v0, 3, v0
	s_delay_alu instid0(VALU_DEP_1)
	v_mov_b32_e32 v26, v0
	scratch_load_b64 v[0:1], v26, off offset:-8
	scratch_load_b64 v[24:25], off, off offset:64
	s_wait_loadcnt 0x1
	scratch_store_b64 off, v[0:1], off offset:64
	s_wait_loadcnt 0x0
	scratch_store_b64 v26, v[24:25], off offset:-8
.LBB74_84:
	s_wait_xcnt 0x0
	v_mov_b32_e32 v0, 0
	global_load_b32 v1, v0, s[8:9] offset:28
	s_wait_loadcnt 0x0
	v_cmp_eq_u32_e32 vcc_lo, 8, v1
	s_cbranch_vccnz .LBB74_86
; %bb.85:
	v_lshlrev_b32_e32 v1, 3, v1
	scratch_load_b64 v[24:25], v1, off offset:-8
	scratch_load_b64 v[26:27], off, off offset:56
	s_wait_loadcnt 0x1
	scratch_store_b64 off, v[24:25], off offset:56
	s_wait_loadcnt 0x0
	scratch_store_b64 v1, v[26:27], off offset:-8
.LBB74_86:
	global_load_b32 v0, v0, s[8:9] offset:24
	s_wait_loadcnt 0x0
	v_cmp_eq_u32_e32 vcc_lo, 7, v0
	s_cbranch_vccnz .LBB74_88
; %bb.87:
	s_wait_xcnt 0x0
	v_lshlrev_b32_e32 v0, 3, v0
	s_delay_alu instid0(VALU_DEP_1)
	v_mov_b32_e32 v26, v0
	scratch_load_b64 v[0:1], v26, off offset:-8
	scratch_load_b64 v[24:25], off, off offset:48
	s_wait_loadcnt 0x1
	scratch_store_b64 off, v[0:1], off offset:48
	s_wait_loadcnt 0x0
	scratch_store_b64 v26, v[24:25], off offset:-8
.LBB74_88:
	s_wait_xcnt 0x0
	v_mov_b32_e32 v0, 0
	global_load_b32 v1, v0, s[8:9] offset:20
	s_wait_loadcnt 0x0
	v_cmp_eq_u32_e32 vcc_lo, 6, v1
	s_cbranch_vccnz .LBB74_90
; %bb.89:
	v_lshlrev_b32_e32 v1, 3, v1
	scratch_load_b64 v[24:25], v1, off offset:-8
	scratch_load_b64 v[26:27], off, off offset:40
	s_wait_loadcnt 0x1
	scratch_store_b64 off, v[24:25], off offset:40
	s_wait_loadcnt 0x0
	scratch_store_b64 v1, v[26:27], off offset:-8
.LBB74_90:
	;; [unrolled: 31-line block ×4, first 2 shown]
	global_load_b32 v24, v0, s[8:9]
	scratch_load_b64 v[0:1], off, off
	s_wait_loadcnt 0x1
	v_cmp_eq_u32_e32 vcc_lo, 1, v24
	s_cbranch_vccnz .LBB74_100
; %bb.99:
	v_lshlrev_b32_e32 v24, 3, v24
	s_delay_alu instid0(VALU_DEP_1)
	v_mov_b32_e32 v26, v24
	scratch_load_b64 v[24:25], v26, off offset:-8
	s_wait_loadcnt 0x0
	scratch_store_b64 off, v[24:25], off
	scratch_store_b64 v26, v[0:1], off offset:-8
	scratch_load_b64 v[0:1], off, off
.LBB74_100:
	s_wait_loadcnt 0x0
	flat_store_b64 v[2:3], v[0:1]
	scratch_load_b64 v[0:1], off, off offset:8
	v_lshl_add_u64 v[30:31], v[6:7], 3, s[2:3]
	v_lshl_add_u64 v[28:29], v[8:9], 3, s[2:3]
	;; [unrolled: 1-line block ×9, first 2 shown]
	s_wait_loadcnt 0x0
	flat_store_b64 v[4:5], v[0:1]
	scratch_load_b64 v[0:1], off, off offset:16
	s_wait_loadcnt 0x0
	flat_store_b64 v[30:31], v[0:1]
	scratch_load_b64 v[0:1], off, off offset:24
	;; [unrolled: 3-line block ×9, first 2 shown]
	s_wait_loadcnt 0x0
	flat_store_b64 v[6:7], v[0:1]
	s_sendmsg sendmsg(MSG_DEALLOC_VGPRS)
	s_endpgm
	.section	.rodata,"a",@progbits
	.p2align	6, 0x0
	.amdhsa_kernel _ZN9rocsolver6v33100L18getri_kernel_smallILi11E19rocblas_complex_numIfEPKPS3_EEvT1_iilPiilS8_bb
		.amdhsa_group_segment_fixed_size 184
		.amdhsa_private_segment_fixed_size 96
		.amdhsa_kernarg_size 60
		.amdhsa_user_sgpr_count 2
		.amdhsa_user_sgpr_dispatch_ptr 0
		.amdhsa_user_sgpr_queue_ptr 0
		.amdhsa_user_sgpr_kernarg_segment_ptr 1
		.amdhsa_user_sgpr_dispatch_id 0
		.amdhsa_user_sgpr_kernarg_preload_length 0
		.amdhsa_user_sgpr_kernarg_preload_offset 0
		.amdhsa_user_sgpr_private_segment_size 0
		.amdhsa_wavefront_size32 1
		.amdhsa_uses_dynamic_stack 0
		.amdhsa_enable_private_segment 1
		.amdhsa_system_sgpr_workgroup_id_x 1
		.amdhsa_system_sgpr_workgroup_id_y 0
		.amdhsa_system_sgpr_workgroup_id_z 0
		.amdhsa_system_sgpr_workgroup_info 0
		.amdhsa_system_vgpr_workitem_id 0
		.amdhsa_next_free_vgpr 86
		.amdhsa_next_free_sgpr 19
		.amdhsa_named_barrier_count 0
		.amdhsa_reserve_vcc 1
		.amdhsa_float_round_mode_32 0
		.amdhsa_float_round_mode_16_64 0
		.amdhsa_float_denorm_mode_32 3
		.amdhsa_float_denorm_mode_16_64 3
		.amdhsa_fp16_overflow 0
		.amdhsa_memory_ordered 1
		.amdhsa_forward_progress 1
		.amdhsa_inst_pref_size 78
		.amdhsa_round_robin_scheduling 0
		.amdhsa_exception_fp_ieee_invalid_op 0
		.amdhsa_exception_fp_denorm_src 0
		.amdhsa_exception_fp_ieee_div_zero 0
		.amdhsa_exception_fp_ieee_overflow 0
		.amdhsa_exception_fp_ieee_underflow 0
		.amdhsa_exception_fp_ieee_inexact 0
		.amdhsa_exception_int_div_zero 0
	.end_amdhsa_kernel
	.section	.text._ZN9rocsolver6v33100L18getri_kernel_smallILi11E19rocblas_complex_numIfEPKPS3_EEvT1_iilPiilS8_bb,"axG",@progbits,_ZN9rocsolver6v33100L18getri_kernel_smallILi11E19rocblas_complex_numIfEPKPS3_EEvT1_iilPiilS8_bb,comdat
.Lfunc_end74:
	.size	_ZN9rocsolver6v33100L18getri_kernel_smallILi11E19rocblas_complex_numIfEPKPS3_EEvT1_iilPiilS8_bb, .Lfunc_end74-_ZN9rocsolver6v33100L18getri_kernel_smallILi11E19rocblas_complex_numIfEPKPS3_EEvT1_iilPiilS8_bb
                                        ; -- End function
	.set _ZN9rocsolver6v33100L18getri_kernel_smallILi11E19rocblas_complex_numIfEPKPS3_EEvT1_iilPiilS8_bb.num_vgpr, 86
	.set _ZN9rocsolver6v33100L18getri_kernel_smallILi11E19rocblas_complex_numIfEPKPS3_EEvT1_iilPiilS8_bb.num_agpr, 0
	.set _ZN9rocsolver6v33100L18getri_kernel_smallILi11E19rocblas_complex_numIfEPKPS3_EEvT1_iilPiilS8_bb.numbered_sgpr, 19
	.set _ZN9rocsolver6v33100L18getri_kernel_smallILi11E19rocblas_complex_numIfEPKPS3_EEvT1_iilPiilS8_bb.num_named_barrier, 0
	.set _ZN9rocsolver6v33100L18getri_kernel_smallILi11E19rocblas_complex_numIfEPKPS3_EEvT1_iilPiilS8_bb.private_seg_size, 96
	.set _ZN9rocsolver6v33100L18getri_kernel_smallILi11E19rocblas_complex_numIfEPKPS3_EEvT1_iilPiilS8_bb.uses_vcc, 1
	.set _ZN9rocsolver6v33100L18getri_kernel_smallILi11E19rocblas_complex_numIfEPKPS3_EEvT1_iilPiilS8_bb.uses_flat_scratch, 1
	.set _ZN9rocsolver6v33100L18getri_kernel_smallILi11E19rocblas_complex_numIfEPKPS3_EEvT1_iilPiilS8_bb.has_dyn_sized_stack, 0
	.set _ZN9rocsolver6v33100L18getri_kernel_smallILi11E19rocblas_complex_numIfEPKPS3_EEvT1_iilPiilS8_bb.has_recursion, 0
	.set _ZN9rocsolver6v33100L18getri_kernel_smallILi11E19rocblas_complex_numIfEPKPS3_EEvT1_iilPiilS8_bb.has_indirect_call, 0
	.section	.AMDGPU.csdata,"",@progbits
; Kernel info:
; codeLenInByte = 9980
; TotalNumSgprs: 21
; NumVgprs: 86
; ScratchSize: 96
; MemoryBound: 0
; FloatMode: 240
; IeeeMode: 1
; LDSByteSize: 184 bytes/workgroup (compile time only)
; SGPRBlocks: 0
; VGPRBlocks: 5
; NumSGPRsForWavesPerEU: 21
; NumVGPRsForWavesPerEU: 86
; NamedBarCnt: 0
; Occupancy: 10
; WaveLimiterHint : 1
; COMPUTE_PGM_RSRC2:SCRATCH_EN: 1
; COMPUTE_PGM_RSRC2:USER_SGPR: 2
; COMPUTE_PGM_RSRC2:TRAP_HANDLER: 0
; COMPUTE_PGM_RSRC2:TGID_X_EN: 1
; COMPUTE_PGM_RSRC2:TGID_Y_EN: 0
; COMPUTE_PGM_RSRC2:TGID_Z_EN: 0
; COMPUTE_PGM_RSRC2:TIDIG_COMP_CNT: 0
	.section	.text._ZN9rocsolver6v33100L18getri_kernel_smallILi12E19rocblas_complex_numIfEPKPS3_EEvT1_iilPiilS8_bb,"axG",@progbits,_ZN9rocsolver6v33100L18getri_kernel_smallILi12E19rocblas_complex_numIfEPKPS3_EEvT1_iilPiilS8_bb,comdat
	.globl	_ZN9rocsolver6v33100L18getri_kernel_smallILi12E19rocblas_complex_numIfEPKPS3_EEvT1_iilPiilS8_bb ; -- Begin function _ZN9rocsolver6v33100L18getri_kernel_smallILi12E19rocblas_complex_numIfEPKPS3_EEvT1_iilPiilS8_bb
	.p2align	8
	.type	_ZN9rocsolver6v33100L18getri_kernel_smallILi12E19rocblas_complex_numIfEPKPS3_EEvT1_iilPiilS8_bb,@function
_ZN9rocsolver6v33100L18getri_kernel_smallILi12E19rocblas_complex_numIfEPKPS3_EEvT1_iilPiilS8_bb: ; @_ZN9rocsolver6v33100L18getri_kernel_smallILi12E19rocblas_complex_numIfEPKPS3_EEvT1_iilPiilS8_bb
; %bb.0:
	s_mov_b32 s2, exec_lo
	v_cmpx_gt_u32_e32 12, v0
	s_cbranch_execz .LBB75_62
; %bb.1:
	s_clause 0x1
	s_load_b32 s13, s[0:1], 0x38
	s_load_b64 s[2:3], s[0:1], 0x0
	s_getreg_b32 s6, hwreg(HW_REG_IB_STS2, 6, 4)
	s_wait_kmcnt 0x0
	s_bitcmp1_b32 s13, 8
	s_cselect_b32 s12, -1, 0
	s_bfe_u32 s4, ttmp6, 0x4000c
	s_and_b32 s5, ttmp6, 15
	s_add_co_i32 s4, s4, 1
	s_delay_alu instid0(SALU_CYCLE_1) | instskip(NEXT) | instid1(SALU_CYCLE_1)
	s_mul_i32 s4, ttmp9, s4
	s_add_co_i32 s5, s5, s4
	s_cmp_eq_u32 s6, 0
	s_cselect_b32 s10, ttmp9, s5
	s_load_b128 s[4:7], s[0:1], 0x28
	s_ashr_i32 s11, s10, 31
	s_delay_alu instid0(SALU_CYCLE_1) | instskip(NEXT) | instid1(SALU_CYCLE_1)
	s_lshl_b64 s[8:9], s[10:11], 3
	s_add_nc_u64 s[2:3], s[2:3], s[8:9]
	s_bfe_u32 s8, s13, 0x10008
	s_load_b64 s[2:3], s[2:3], 0x0
	s_cmp_eq_u32 s8, 0
                                        ; implicit-def: $sgpr8_sgpr9
	s_cbranch_scc1 .LBB75_3
; %bb.2:
	s_load_b96 s[16:18], s[0:1], 0x18
	s_wait_kmcnt 0x0
	s_mul_u64 s[4:5], s[4:5], s[10:11]
	s_delay_alu instid0(SALU_CYCLE_1) | instskip(SKIP_4) | instid1(SALU_CYCLE_1)
	s_lshl_b64 s[4:5], s[4:5], 2
	s_ashr_i32 s9, s18, 31
	s_mov_b32 s8, s18
	s_add_nc_u64 s[4:5], s[16:17], s[4:5]
	s_lshl_b64 s[8:9], s[8:9], 2
	s_add_nc_u64 s[8:9], s[4:5], s[8:9]
.LBB75_3:
	s_wait_kmcnt 0x0
	s_clause 0x1
	s_load_b64 s[4:5], s[0:1], 0x8
	s_load_b32 s13, s[0:1], 0x38
	v_dual_mov_b32 v27, 0 :: v_dual_lshlrev_b32 v26, 3, v0
	s_wait_kmcnt 0x0
	s_ashr_i32 s1, s4, 31
	s_mov_b32 s0, s4
	s_delay_alu instid0(SALU_CYCLE_1) | instskip(NEXT) | instid1(SALU_CYCLE_1)
	s_lshl_b64 s[0:1], s[0:1], 3
	s_add_nc_u64 s[2:3], s[2:3], s[0:1]
	s_ashr_i32 s1, s5, 31
	flat_load_b64 v[6:7], v0, s[2:3] scale_offset
	v_add_nc_u64_e32 v[2:3], s[2:3], v[26:27]
	s_mov_b32 s0, s5
	s_bitcmp0_b32 s13, 0
	s_delay_alu instid0(VALU_DEP_1)
	v_lshl_add_u64 v[4:5], s[0:1], 3, v[2:3]
	s_mov_b32 s1, -1
	s_wait_loadcnt_dscnt 0x0
	scratch_store_b64 off, v[6:7], off
	flat_load_b64 v[8:9], v[4:5]
	s_wait_xcnt 0x1
	v_add3_u32 v6, s5, s5, v0
	s_wait_loadcnt_dscnt 0x0
	scratch_store_b64 off, v[8:9], off offset:8
	flat_load_b64 v[10:11], v6, s[2:3] scale_offset
	s_wait_xcnt 0x1
	v_add_nc_u32_e32 v8, s5, v6
	s_wait_loadcnt_dscnt 0x0
	scratch_store_b64 off, v[10:11], off offset:16
	flat_load_b64 v[12:13], v8, s[2:3] scale_offset
	s_wait_xcnt 0x1
	v_add_nc_u32_e32 v10, s5, v8
	;; [unrolled: 5-line block ×9, first 2 shown]
	s_wait_loadcnt_dscnt 0x0
	scratch_store_b64 off, v[28:29], off offset:80
	flat_load_b64 v[28:29], v24, s[2:3] scale_offset
	s_wait_loadcnt_dscnt 0x0
	scratch_store_b64 off, v[28:29], off offset:88
	s_cbranch_scc1 .LBB75_60
; %bb.4:
	v_cmp_eq_u32_e64 s0, 0, v0
	s_wait_xcnt 0x0
	s_and_saveexec_b32 s1, s0
; %bb.5:
	v_mov_b32_e32 v1, 0
	ds_store_b32 v1, v1 offset:192
; %bb.6:
	s_or_b32 exec_lo, exec_lo, s1
	s_wait_storecnt_dscnt 0x0
	s_barrier_signal -1
	s_barrier_wait -1
	scratch_load_b64 v[28:29], v0, off scale_offset
	s_wait_loadcnt 0x0
	v_cmp_eq_f32_e32 vcc_lo, 0, v28
	v_cmp_eq_f32_e64 s1, 0, v29
	s_and_b32 s1, vcc_lo, s1
	s_delay_alu instid0(SALU_CYCLE_1)
	s_and_saveexec_b32 s4, s1
	s_cbranch_execz .LBB75_10
; %bb.7:
	v_mov_b32_e32 v1, 0
	s_mov_b32 s5, 0
	ds_load_b32 v7, v1 offset:192
	s_wait_dscnt 0x0
	v_readfirstlane_b32 s1, v7
	v_add_nc_u32_e32 v7, 1, v0
	s_cmp_eq_u32 s1, 0
	s_delay_alu instid0(VALU_DEP_1) | instskip(SKIP_1) | instid1(SALU_CYCLE_1)
	v_cmp_gt_i32_e32 vcc_lo, s1, v7
	s_cselect_b32 s13, -1, 0
	s_or_b32 s13, s13, vcc_lo
	s_delay_alu instid0(SALU_CYCLE_1)
	s_and_b32 exec_lo, exec_lo, s13
	s_cbranch_execz .LBB75_10
; %bb.8:
	v_mov_b32_e32 v9, s1
.LBB75_9:                               ; =>This Inner Loop Header: Depth=1
	ds_cmpstore_rtn_b32 v9, v1, v7, v9 offset:192
	s_wait_dscnt 0x0
	v_cmp_ne_u32_e32 vcc_lo, 0, v9
	v_cmp_le_i32_e64 s1, v9, v7
	s_and_b32 s1, vcc_lo, s1
	s_delay_alu instid0(SALU_CYCLE_1) | instskip(NEXT) | instid1(SALU_CYCLE_1)
	s_and_b32 s1, exec_lo, s1
	s_or_b32 s5, s1, s5
	s_delay_alu instid0(SALU_CYCLE_1)
	s_and_not1_b32 exec_lo, exec_lo, s5
	s_cbranch_execnz .LBB75_9
.LBB75_10:
	s_or_b32 exec_lo, exec_lo, s4
	v_mov_b32_e32 v1, 0
	s_barrier_signal -1
	s_barrier_wait -1
	ds_load_b32 v7, v1 offset:192
	s_and_saveexec_b32 s1, s0
	s_cbranch_execz .LBB75_12
; %bb.11:
	s_lshl_b64 s[4:5], s[10:11], 2
	s_delay_alu instid0(SALU_CYCLE_1)
	s_add_nc_u64 s[4:5], s[6:7], s[4:5]
	s_wait_dscnt 0x0
	global_store_b32 v1, v7, s[4:5]
.LBB75_12:
	s_wait_xcnt 0x0
	s_or_b32 exec_lo, exec_lo, s1
	s_wait_dscnt 0x0
	v_cmp_ne_u32_e32 vcc_lo, 0, v7
	s_mov_b32 s1, 0
	s_cbranch_vccnz .LBB75_60
; %bb.13:
	v_lshl_add_u32 v7, v0, 3, 0
                                        ; implicit-def: $vgpr31
                                        ; implicit-def: $vgpr32
	scratch_load_b64 v[28:29], v7, off
	s_wait_loadcnt 0x0
	v_cmp_ngt_f32_e64 s1, |v28|, |v29|
	s_wait_xcnt 0x0
	s_and_saveexec_b32 s4, s1
	s_delay_alu instid0(SALU_CYCLE_1)
	s_xor_b32 s1, exec_lo, s4
	s_cbranch_execz .LBB75_15
; %bb.14:
	v_div_scale_f32 v1, null, v29, v29, v28
	v_div_scale_f32 v13, vcc_lo, v28, v29, v28
	s_delay_alu instid0(VALU_DEP_2) | instskip(SKIP_1) | instid1(TRANS32_DEP_1)
	v_rcp_f32_e32 v9, v1
	v_nop
	v_fma_f32 v11, -v1, v9, 1.0
	s_delay_alu instid0(VALU_DEP_1) | instskip(NEXT) | instid1(VALU_DEP_1)
	v_fmac_f32_e32 v9, v11, v9
	v_mul_f32_e32 v11, v13, v9
	s_delay_alu instid0(VALU_DEP_1) | instskip(NEXT) | instid1(VALU_DEP_1)
	v_fma_f32 v15, -v1, v11, v13
	v_fmac_f32_e32 v11, v15, v9
	s_delay_alu instid0(VALU_DEP_1) | instskip(NEXT) | instid1(VALU_DEP_1)
	v_fma_f32 v1, -v1, v11, v13
	v_div_fmas_f32 v1, v1, v9, v11
	s_delay_alu instid0(VALU_DEP_1) | instskip(NEXT) | instid1(VALU_DEP_1)
	v_div_fixup_f32 v1, v1, v29, v28
	v_fmac_f32_e32 v29, v28, v1
	s_delay_alu instid0(VALU_DEP_1) | instskip(NEXT) | instid1(VALU_DEP_1)
	v_div_scale_f32 v9, null, v29, v29, -1.0
	v_rcp_f32_e32 v11, v9
	v_nop
	s_delay_alu instid0(TRANS32_DEP_1) | instskip(NEXT) | instid1(VALU_DEP_1)
	v_fma_f32 v13, -v9, v11, 1.0
	v_fmac_f32_e32 v11, v13, v11
	v_div_scale_f32 v13, vcc_lo, -1.0, v29, -1.0
	s_delay_alu instid0(VALU_DEP_1) | instskip(NEXT) | instid1(VALU_DEP_1)
	v_mul_f32_e32 v15, v13, v11
	v_fma_f32 v17, -v9, v15, v13
	s_delay_alu instid0(VALU_DEP_1) | instskip(NEXT) | instid1(VALU_DEP_1)
	v_fmac_f32_e32 v15, v17, v11
	v_fma_f32 v9, -v9, v15, v13
	s_delay_alu instid0(VALU_DEP_1) | instskip(NEXT) | instid1(VALU_DEP_1)
	v_div_fmas_f32 v9, v9, v11, v15
	v_div_fixup_f32 v31, v9, v29, -1.0
                                        ; implicit-def: $vgpr28_vgpr29
	s_delay_alu instid0(VALU_DEP_1) | instskip(NEXT) | instid1(VALU_DEP_1)
	v_mul_f32_e32 v32, v1, v31
	v_xor_b32_e32 v30, 0x80000000, v32
.LBB75_15:
	s_and_not1_saveexec_b32 s1, s1
	s_cbranch_execz .LBB75_17
; %bb.16:
	v_div_scale_f32 v1, null, v28, v28, v29
	v_div_scale_f32 v13, vcc_lo, v29, v28, v29
	s_delay_alu instid0(VALU_DEP_2) | instskip(SKIP_1) | instid1(TRANS32_DEP_1)
	v_rcp_f32_e32 v9, v1
	v_nop
	v_fma_f32 v11, -v1, v9, 1.0
	s_delay_alu instid0(VALU_DEP_1) | instskip(NEXT) | instid1(VALU_DEP_1)
	v_fmac_f32_e32 v9, v11, v9
	v_mul_f32_e32 v11, v13, v9
	s_delay_alu instid0(VALU_DEP_1) | instskip(NEXT) | instid1(VALU_DEP_1)
	v_fma_f32 v15, -v1, v11, v13
	v_fmac_f32_e32 v11, v15, v9
	s_delay_alu instid0(VALU_DEP_1) | instskip(NEXT) | instid1(VALU_DEP_1)
	v_fma_f32 v1, -v1, v11, v13
	v_div_fmas_f32 v1, v1, v9, v11
	s_delay_alu instid0(VALU_DEP_1) | instskip(NEXT) | instid1(VALU_DEP_1)
	v_div_fixup_f32 v1, v1, v28, v29
	v_fmac_f32_e32 v28, v29, v1
	s_delay_alu instid0(VALU_DEP_1) | instskip(SKIP_1) | instid1(VALU_DEP_2)
	v_div_scale_f32 v9, null, v28, v28, 1.0
	v_div_scale_f32 v15, vcc_lo, 1.0, v28, 1.0
	v_rcp_f32_e32 v11, v9
	v_nop
	s_delay_alu instid0(TRANS32_DEP_1) | instskip(NEXT) | instid1(VALU_DEP_1)
	v_fma_f32 v13, -v9, v11, 1.0
	v_fmac_f32_e32 v11, v13, v11
	s_delay_alu instid0(VALU_DEP_1) | instskip(NEXT) | instid1(VALU_DEP_1)
	v_mul_f32_e32 v13, v15, v11
	v_fma_f32 v17, -v9, v13, v15
	s_delay_alu instid0(VALU_DEP_1) | instskip(NEXT) | instid1(VALU_DEP_1)
	v_fmac_f32_e32 v13, v17, v11
	v_fma_f32 v9, -v9, v13, v15
	s_delay_alu instid0(VALU_DEP_1) | instskip(NEXT) | instid1(VALU_DEP_1)
	v_div_fmas_f32 v9, v9, v11, v13
	v_div_fixup_f32 v30, v9, v28, 1.0
	s_delay_alu instid0(VALU_DEP_1)
	v_xor_b32_e32 v32, 0x80000000, v30
	v_mul_f32_e64 v31, v1, -v30
.LBB75_17:
	s_or_b32 exec_lo, exec_lo, s1
	scratch_store_b64 v7, v[30:31], off
	scratch_load_b64 v[28:29], off, off offset:8
	v_xor_b32_e32 v33, 0x80000000, v31
	v_add_nc_u32_e32 v1, 0x60, v26
	s_wait_loadcnt 0x0
	ds_store_2addr_b64 v26, v[32:33], v[28:29] offset1:12
	s_wait_storecnt_dscnt 0x0
	s_barrier_signal -1
	s_barrier_wait -1
	s_wait_xcnt 0x0
	s_and_saveexec_b32 s1, s0
	s_cbranch_execz .LBB75_19
; %bb.18:
	scratch_load_b64 v[28:29], v7, off
	ds_load_b64 v[30:31], v1
	s_wait_loadcnt_dscnt 0x0
	v_pk_mul_f32 v[34:35], v[30:31], v[28:29] op_sel:[1,1] op_sel_hi:[0,1]
	s_delay_alu instid0(VALU_DEP_1) | instskip(SKIP_2) | instid1(VALU_DEP_3)
	v_pk_fma_f32 v[36:37], v[30:31], v[28:29], v[34:35] op_sel_hi:[1,0,1]
	v_mov_b32_e32 v9, 0
	v_pk_fma_f32 v[28:29], v[30:31], v[28:29], v[34:35] neg_lo:[0,0,1] neg_hi:[0,0,1]
	v_mov_b32_e32 v29, v37
	ds_load_b64 v[32:33], v9 offset:8
	v_pk_add_f32 v[28:29], v[28:29], 0 op_sel_hi:[1,0]
	s_wait_dscnt 0x0
	s_delay_alu instid0(VALU_DEP_1) | instskip(NEXT) | instid1(VALU_DEP_1)
	v_pk_mul_f32 v[30:31], v[28:29], v[32:33] op_sel:[1,1] op_sel_hi:[0,1]
	v_pk_fma_f32 v[34:35], v[28:29], v[32:33], v[30:31] op_sel_hi:[1,0,1]
	v_pk_fma_f32 v[28:29], v[28:29], v[32:33], v[30:31] neg_lo:[0,0,1] neg_hi:[0,0,1]
	s_delay_alu instid0(VALU_DEP_2)
	v_mov_b32_e32 v29, v35
	scratch_store_b64 off, v[28:29], off offset:8
.LBB75_19:
	s_wait_xcnt 0x0
	s_or_b32 exec_lo, exec_lo, s1
	s_wait_storecnt 0x0
	s_barrier_signal -1
	s_barrier_wait -1
	scratch_load_b64 v[28:29], off, off offset:16
	s_mov_b32 s1, exec_lo
	s_wait_loadcnt 0x0
	ds_store_b64 v1, v[28:29]
	s_wait_dscnt 0x0
	s_barrier_signal -1
	s_barrier_wait -1
	v_cmpx_gt_u32_e32 2, v0
	s_cbranch_execz .LBB75_23
; %bb.20:
	scratch_load_b64 v[28:29], v7, off
	ds_load_b64 v[30:31], v1
	s_wait_loadcnt_dscnt 0x0
	v_pk_mul_f32 v[32:33], v[30:31], v[28:29] op_sel:[1,1] op_sel_hi:[0,1]
	s_delay_alu instid0(VALU_DEP_1) | instskip(SKIP_1) | instid1(VALU_DEP_2)
	v_pk_fma_f32 v[34:35], v[30:31], v[28:29], v[32:33] op_sel_hi:[1,0,1]
	v_pk_fma_f32 v[28:29], v[30:31], v[28:29], v[32:33] neg_lo:[0,0,1] neg_hi:[0,0,1]
	v_mov_b32_e32 v29, v35
	s_delay_alu instid0(VALU_DEP_1)
	v_pk_add_f32 v[28:29], v[28:29], 0 op_sel_hi:[1,0]
	s_and_saveexec_b32 s4, s0
	s_cbranch_execz .LBB75_22
; %bb.21:
	scratch_load_b64 v[30:31], off, off offset:8
	v_mov_b32_e32 v7, 0
	ds_load_b64 v[32:33], v7 offset:104
	s_wait_loadcnt_dscnt 0x0
	v_pk_mul_f32 v[34:35], v[32:33], v[30:31] op_sel:[1,1] op_sel_hi:[0,1]
	s_delay_alu instid0(VALU_DEP_1) | instskip(SKIP_1) | instid1(VALU_DEP_2)
	v_pk_fma_f32 v[36:37], v[32:33], v[30:31], v[34:35] op_sel_hi:[1,0,1]
	v_pk_fma_f32 v[30:31], v[32:33], v[30:31], v[34:35] neg_lo:[0,0,1] neg_hi:[0,0,1]
	v_mov_b32_e32 v31, v37
	s_delay_alu instid0(VALU_DEP_1)
	v_pk_add_f32 v[28:29], v[28:29], v[30:31]
.LBB75_22:
	s_or_b32 exec_lo, exec_lo, s4
	v_mov_b32_e32 v7, 0
	ds_load_b64 v[30:31], v7 offset:16
	s_wait_dscnt 0x0
	v_pk_mul_f32 v[32:33], v[28:29], v[30:31] op_sel:[1,1] op_sel_hi:[0,1]
	s_delay_alu instid0(VALU_DEP_1) | instskip(SKIP_1) | instid1(VALU_DEP_2)
	v_pk_fma_f32 v[34:35], v[28:29], v[30:31], v[32:33] op_sel_hi:[1,0,1]
	v_pk_fma_f32 v[28:29], v[28:29], v[30:31], v[32:33] neg_lo:[0,0,1] neg_hi:[0,0,1]
	v_mov_b32_e32 v29, v35
	scratch_store_b64 off, v[28:29], off offset:16
.LBB75_23:
	s_wait_xcnt 0x0
	s_or_b32 exec_lo, exec_lo, s1
	s_wait_storecnt 0x0
	s_barrier_signal -1
	s_barrier_wait -1
	scratch_load_b64 v[28:29], off, off offset:24
	v_add_nc_u32_e32 v7, -1, v0
	s_mov_b32 s0, exec_lo
	s_wait_loadcnt 0x0
	ds_store_b64 v1, v[28:29]
	s_wait_dscnt 0x0
	s_barrier_signal -1
	s_barrier_wait -1
	v_cmpx_gt_u32_e32 3, v0
	s_cbranch_execz .LBB75_27
; %bb.24:
	v_dual_mov_b32 v28, 0 :: v_dual_add_nc_u32 v9, -1, v0
	v_add_nc_u32_e32 v11, 0x60, v26
	v_mov_b32_e32 v13, v26
	s_mov_b32 s1, 0
	s_delay_alu instid0(VALU_DEP_3)
	v_mov_b32_e32 v29, v28
.LBB75_25:                              ; =>This Inner Loop Header: Depth=1
	scratch_load_b64 v[30:31], v13, off
	ds_load_b64 v[32:33], v11
	s_wait_xcnt 0x0
	v_dual_add_nc_u32 v11, 8, v11 :: v_dual_add_nc_u32 v13, 8, v13
	s_wait_loadcnt_dscnt 0x0
	v_pk_mul_f32 v[34:35], v[32:33], v[30:31] op_sel:[1,1] op_sel_hi:[0,1]
	s_delay_alu instid0(VALU_DEP_1) | instskip(SKIP_2) | instid1(VALU_DEP_3)
	v_pk_fma_f32 v[36:37], v[32:33], v[30:31], v[34:35] op_sel_hi:[1,0,1]
	v_add_nc_u32_e32 v9, 1, v9
	v_pk_fma_f32 v[30:31], v[32:33], v[30:31], v[34:35] neg_lo:[0,0,1] neg_hi:[0,0,1]
	v_mov_b32_e32 v31, v37
	s_delay_alu instid0(VALU_DEP_3) | instskip(NEXT) | instid1(VALU_DEP_2)
	v_cmp_lt_u32_e32 vcc_lo, 1, v9
	v_pk_add_f32 v[28:29], v[28:29], v[30:31]
	s_or_b32 s1, vcc_lo, s1
	s_delay_alu instid0(SALU_CYCLE_1)
	s_and_not1_b32 exec_lo, exec_lo, s1
	s_cbranch_execnz .LBB75_25
; %bb.26:
	s_or_b32 exec_lo, exec_lo, s1
	v_mov_b32_e32 v9, 0
	ds_load_b64 v[30:31], v9 offset:24
	s_wait_dscnt 0x0
	v_pk_mul_f32 v[32:33], v[28:29], v[30:31] op_sel:[1,1] op_sel_hi:[0,1]
	s_delay_alu instid0(VALU_DEP_1) | instskip(SKIP_1) | instid1(VALU_DEP_2)
	v_pk_fma_f32 v[34:35], v[28:29], v[30:31], v[32:33] op_sel_hi:[1,0,1]
	v_pk_fma_f32 v[28:29], v[28:29], v[30:31], v[32:33] neg_lo:[0,0,1] neg_hi:[0,0,1]
	v_mov_b32_e32 v29, v35
	scratch_store_b64 off, v[28:29], off offset:24
.LBB75_27:
	s_wait_xcnt 0x0
	s_or_b32 exec_lo, exec_lo, s0
	s_wait_storecnt 0x0
	s_barrier_signal -1
	s_barrier_wait -1
	scratch_load_b64 v[28:29], off, off offset:32
	s_mov_b32 s0, exec_lo
	s_wait_loadcnt 0x0
	ds_store_b64 v1, v[28:29]
	s_wait_dscnt 0x0
	s_barrier_signal -1
	s_barrier_wait -1
	v_cmpx_gt_u32_e32 4, v0
	s_cbranch_execz .LBB75_31
; %bb.28:
	v_dual_mov_b32 v28, 0 :: v_dual_add_nc_u32 v9, -1, v0
	v_add_nc_u32_e32 v11, 0x60, v26
	v_mov_b32_e32 v13, v26
	s_mov_b32 s1, 0
	s_delay_alu instid0(VALU_DEP_3)
	v_mov_b32_e32 v29, v28
.LBB75_29:                              ; =>This Inner Loop Header: Depth=1
	scratch_load_b64 v[30:31], v13, off
	ds_load_b64 v[32:33], v11
	s_wait_xcnt 0x0
	v_dual_add_nc_u32 v11, 8, v11 :: v_dual_add_nc_u32 v13, 8, v13
	s_wait_loadcnt_dscnt 0x0
	v_pk_mul_f32 v[34:35], v[32:33], v[30:31] op_sel:[1,1] op_sel_hi:[0,1]
	s_delay_alu instid0(VALU_DEP_1) | instskip(SKIP_2) | instid1(VALU_DEP_3)
	v_pk_fma_f32 v[36:37], v[32:33], v[30:31], v[34:35] op_sel_hi:[1,0,1]
	v_add_nc_u32_e32 v9, 1, v9
	v_pk_fma_f32 v[30:31], v[32:33], v[30:31], v[34:35] neg_lo:[0,0,1] neg_hi:[0,0,1]
	v_mov_b32_e32 v31, v37
	s_delay_alu instid0(VALU_DEP_3) | instskip(NEXT) | instid1(VALU_DEP_2)
	v_cmp_lt_u32_e32 vcc_lo, 2, v9
	v_pk_add_f32 v[28:29], v[28:29], v[30:31]
	s_or_b32 s1, vcc_lo, s1
	s_delay_alu instid0(SALU_CYCLE_1)
	s_and_not1_b32 exec_lo, exec_lo, s1
	s_cbranch_execnz .LBB75_29
; %bb.30:
	s_or_b32 exec_lo, exec_lo, s1
	v_mov_b32_e32 v9, 0
	ds_load_b64 v[30:31], v9 offset:32
	s_wait_dscnt 0x0
	v_pk_mul_f32 v[32:33], v[28:29], v[30:31] op_sel:[1,1] op_sel_hi:[0,1]
	s_delay_alu instid0(VALU_DEP_1) | instskip(SKIP_1) | instid1(VALU_DEP_2)
	v_pk_fma_f32 v[34:35], v[28:29], v[30:31], v[32:33] op_sel_hi:[1,0,1]
	v_pk_fma_f32 v[28:29], v[28:29], v[30:31], v[32:33] neg_lo:[0,0,1] neg_hi:[0,0,1]
	v_mov_b32_e32 v29, v35
	scratch_store_b64 off, v[28:29], off offset:32
.LBB75_31:
	s_wait_xcnt 0x0
	s_or_b32 exec_lo, exec_lo, s0
	s_wait_storecnt 0x0
	s_barrier_signal -1
	s_barrier_wait -1
	scratch_load_b64 v[28:29], off, off offset:40
	;; [unrolled: 52-line block ×8, first 2 shown]
	s_mov_b32 s0, exec_lo
	s_wait_loadcnt 0x0
	ds_store_b64 v1, v[28:29]
	s_wait_dscnt 0x0
	s_barrier_signal -1
	s_barrier_wait -1
	v_cmpx_ne_u32_e32 11, v0
	s_cbranch_execz .LBB75_59
; %bb.56:
	v_dual_mov_b32 v28, 0 :: v_dual_mov_b32 v9, v26
	s_mov_b32 s1, 0
	s_delay_alu instid0(VALU_DEP_1)
	v_mov_b32_e32 v29, v28
.LBB75_57:                              ; =>This Inner Loop Header: Depth=1
	scratch_load_b64 v[26:27], v9, off
	ds_load_b64 v[30:31], v1
	v_add_nc_u32_e32 v1, 8, v1
	s_wait_xcnt 0x0
	v_add_nc_u32_e32 v9, 8, v9
	s_wait_loadcnt_dscnt 0x0
	v_pk_mul_f32 v[32:33], v[30:31], v[26:27] op_sel:[1,1] op_sel_hi:[0,1]
	s_delay_alu instid0(VALU_DEP_1) | instskip(SKIP_2) | instid1(VALU_DEP_3)
	v_pk_fma_f32 v[34:35], v[30:31], v[26:27], v[32:33] op_sel_hi:[1,0,1]
	v_add_nc_u32_e32 v7, 1, v7
	v_pk_fma_f32 v[26:27], v[30:31], v[26:27], v[32:33] neg_lo:[0,0,1] neg_hi:[0,0,1]
	v_mov_b32_e32 v27, v35
	s_delay_alu instid0(VALU_DEP_3) | instskip(NEXT) | instid1(VALU_DEP_2)
	v_cmp_lt_u32_e32 vcc_lo, 9, v7
	v_pk_add_f32 v[28:29], v[28:29], v[26:27]
	s_or_b32 s1, vcc_lo, s1
	s_delay_alu instid0(SALU_CYCLE_1)
	s_and_not1_b32 exec_lo, exec_lo, s1
	s_cbranch_execnz .LBB75_57
; %bb.58:
	s_or_b32 exec_lo, exec_lo, s1
	v_mov_b32_e32 v1, 0
	ds_load_b64 v[26:27], v1 offset:88
	s_wait_dscnt 0x0
	v_pk_mul_f32 v[30:31], v[28:29], v[26:27] op_sel:[1,1] op_sel_hi:[0,1]
	s_delay_alu instid0(VALU_DEP_1) | instskip(SKIP_1) | instid1(VALU_DEP_2)
	v_pk_fma_f32 v[32:33], v[28:29], v[26:27], v[30:31] op_sel_hi:[1,0,1]
	v_pk_fma_f32 v[26:27], v[28:29], v[26:27], v[30:31] neg_lo:[0,0,1] neg_hi:[0,0,1]
	v_mov_b32_e32 v27, v33
	scratch_store_b64 off, v[26:27], off offset:88
.LBB75_59:
	s_wait_xcnt 0x0
	s_or_b32 exec_lo, exec_lo, s0
	s_mov_b32 s1, -1
	s_wait_storecnt 0x0
	s_barrier_signal -1
	s_barrier_wait -1
.LBB75_60:
	s_and_b32 vcc_lo, exec_lo, s1
	s_cbranch_vccz .LBB75_62
; %bb.61:
	v_mov_b32_e32 v1, 0
	s_lshl_b64 s[0:1], s[10:11], 2
	s_delay_alu instid0(SALU_CYCLE_1)
	s_add_nc_u64 s[0:1], s[6:7], s[0:1]
	global_load_b32 v1, v1, s[0:1]
	s_wait_loadcnt 0x0
	v_cmp_ne_u32_e32 vcc_lo, 0, v1
	s_cbranch_vccz .LBB75_63
.LBB75_62:
	s_sendmsg sendmsg(MSG_DEALLOC_VGPRS)
	s_endpgm
.LBB75_63:
	s_wait_xcnt 0x0
	v_lshl_add_u32 v1, v0, 3, 0x60
	s_mov_b32 s0, exec_lo
	v_cmpx_eq_u32_e32 11, v0
	s_cbranch_execz .LBB75_65
; %bb.64:
	scratch_load_b64 v[26:27], off, off offset:80
	v_mov_b64_e32 v[28:29], 0
	scratch_store_b64 off, v[28:29], off offset:80
	s_wait_loadcnt 0x0
	ds_store_b64 v1, v[26:27]
.LBB75_65:
	s_wait_xcnt 0x0
	s_or_b32 exec_lo, exec_lo, s0
	s_wait_storecnt_dscnt 0x0
	s_barrier_signal -1
	s_barrier_wait -1
	s_clause 0x1
	scratch_load_b64 v[26:27], off, off offset:88
	scratch_load_b64 v[28:29], off, off offset:80
	v_mov_b32_e32 v7, 0
	s_mov_b32 s0, exec_lo
	ds_load_b64 v[30:31], v7 offset:184
	s_wait_loadcnt_dscnt 0x100
	v_pk_mul_f32 v[32:33], v[30:31], v[26:27] op_sel:[1,1] op_sel_hi:[0,1]
	s_delay_alu instid0(VALU_DEP_1) | instskip(SKIP_1) | instid1(VALU_DEP_2)
	v_pk_fma_f32 v[34:35], v[30:31], v[26:27], v[32:33] op_sel_hi:[1,0,1]
	v_pk_fma_f32 v[26:27], v[30:31], v[26:27], v[32:33] neg_lo:[0,0,1] neg_hi:[0,0,1]
	v_mov_b32_e32 v27, v35
	s_delay_alu instid0(VALU_DEP_1) | instskip(SKIP_1) | instid1(VALU_DEP_1)
	v_pk_add_f32 v[26:27], v[26:27], 0 op_sel_hi:[1,0]
	s_wait_loadcnt 0x0
	v_pk_add_f32 v[26:27], v[28:29], v[26:27] neg_lo:[0,1] neg_hi:[0,1]
	scratch_store_b64 off, v[26:27], off offset:80
	s_wait_xcnt 0x0
	v_cmpx_lt_u32_e32 9, v0
	s_cbranch_execz .LBB75_67
; %bb.66:
	scratch_load_b64 v[26:27], off, off offset:72
	v_mov_b64_e32 v[28:29], 0
	scratch_store_b64 off, v[28:29], off offset:72
	s_wait_loadcnt 0x0
	ds_store_b64 v1, v[26:27]
.LBB75_67:
	s_wait_xcnt 0x0
	s_or_b32 exec_lo, exec_lo, s0
	s_wait_storecnt_dscnt 0x0
	s_barrier_signal -1
	s_barrier_wait -1
	s_clause 0x1
	scratch_load_b128 v[26:29], off, off offset:80
	scratch_load_b64 v[34:35], off, off offset:72
	ds_load_b128 v[30:33], v7 offset:176
	s_mov_b32 s0, exec_lo
	s_wait_dscnt 0x0
	v_dual_mov_b32 v36, v33 :: v_dual_mov_b32 v37, v32
	s_wait_loadcnt 0x1
	v_pk_mul_f32 v[38:39], v[30:31], v[26:27] op_sel:[1,1] op_sel_hi:[0,1]
	s_delay_alu instid0(VALU_DEP_1) | instskip(SKIP_2) | instid1(VALU_DEP_3)
	v_pk_fma_f32 v[42:43], v[30:31], v[26:27], v[38:39] op_sel_hi:[1,0,1]
	v_mov_b32_e32 v40, v29
	v_pk_fma_f32 v[26:27], v[30:31], v[26:27], v[38:39] neg_lo:[0,0,1] neg_hi:[0,0,1]
	v_mov_b32_e32 v27, v43
	s_delay_alu instid0(VALU_DEP_3) | instskip(NEXT) | instid1(VALU_DEP_2)
	v_pk_mul_f32 v[36:37], v[36:37], v[40:41] op_sel_hi:[1,0]
	v_pk_add_f32 v[26:27], v[26:27], 0 op_sel_hi:[1,0]
	s_delay_alu instid0(VALU_DEP_2) | instskip(SKIP_1) | instid1(VALU_DEP_2)
	v_pk_fma_f32 v[30:31], v[32:33], v[28:29], v[36:37] op_sel_hi:[1,0,1]
	v_pk_fma_f32 v[28:29], v[32:33], v[28:29], v[36:37] neg_lo:[0,0,1] neg_hi:[0,0,1]
	v_mov_b32_e32 v29, v31
	s_delay_alu instid0(VALU_DEP_1) | instskip(SKIP_1) | instid1(VALU_DEP_1)
	v_pk_add_f32 v[26:27], v[26:27], v[28:29]
	s_wait_loadcnt 0x0
	v_pk_add_f32 v[26:27], v[34:35], v[26:27] neg_lo:[0,1] neg_hi:[0,1]
	scratch_store_b64 off, v[26:27], off offset:72
	s_wait_xcnt 0x0
	v_cmpx_lt_u32_e32 8, v0
	s_cbranch_execz .LBB75_69
; %bb.68:
	scratch_load_b64 v[26:27], off, off offset:64
	v_mov_b64_e32 v[28:29], 0
	scratch_store_b64 off, v[28:29], off offset:64
	s_wait_loadcnt 0x0
	ds_store_b64 v1, v[26:27]
.LBB75_69:
	s_wait_xcnt 0x0
	s_or_b32 exec_lo, exec_lo, s0
	s_wait_storecnt_dscnt 0x0
	s_barrier_signal -1
	s_barrier_wait -1
	s_clause 0x2
	scratch_load_b128 v[26:29], off, off offset:72
	scratch_load_b64 v[34:35], off, off offset:88
	scratch_load_b64 v[36:37], off, off offset:64
	v_mov_b32_e32 v7, 0
	ds_load_2addr_b64 v[30:33], v7 offset0:21 offset1:22
	ds_load_b64 v[38:39], v7 offset:184
	s_mov_b32 s0, exec_lo
	s_wait_dscnt 0x1
	v_dual_mov_b32 v40, v33 :: v_dual_mov_b32 v41, v32
	s_wait_loadcnt 0x2
	v_mov_b32_e32 v44, v29
	v_pk_mul_f32 v[42:43], v[30:31], v[26:27] op_sel:[1,1] op_sel_hi:[0,1]
	s_delay_alu instid0(VALU_DEP_2) | instskip(NEXT) | instid1(VALU_DEP_2)
	v_pk_mul_f32 v[40:41], v[40:41], v[44:45] op_sel_hi:[1,0]
	v_pk_fma_f32 v[46:47], v[30:31], v[26:27], v[42:43] op_sel_hi:[1,0,1]
	v_pk_fma_f32 v[26:27], v[30:31], v[26:27], v[42:43] neg_lo:[0,0,1] neg_hi:[0,0,1]
	s_wait_loadcnt_dscnt 0x100
	v_pk_mul_f32 v[42:43], v[38:39], v[34:35] op_sel:[1,1] op_sel_hi:[0,1]
	v_pk_fma_f32 v[30:31], v[32:33], v[28:29], v[40:41] op_sel_hi:[1,0,1]
	v_mov_b32_e32 v27, v47
	v_pk_fma_f32 v[28:29], v[32:33], v[28:29], v[40:41] neg_lo:[0,0,1] neg_hi:[0,0,1]
	s_delay_alu instid0(VALU_DEP_4) | instskip(NEXT) | instid1(VALU_DEP_4)
	v_pk_fma_f32 v[32:33], v[38:39], v[34:35], v[42:43] neg_lo:[0,0,1] neg_hi:[0,0,1]
	v_mov_b32_e32 v29, v31
	s_delay_alu instid0(VALU_DEP_4) | instskip(SKIP_1) | instid1(VALU_DEP_2)
	v_pk_add_f32 v[26:27], v[26:27], 0 op_sel_hi:[1,0]
	v_pk_fma_f32 v[30:31], v[38:39], v[34:35], v[42:43] op_sel_hi:[1,0,1]
	v_pk_add_f32 v[26:27], v[26:27], v[28:29]
	s_delay_alu instid0(VALU_DEP_2) | instskip(NEXT) | instid1(VALU_DEP_1)
	v_mov_b32_e32 v33, v31
	v_pk_add_f32 v[26:27], v[26:27], v[32:33]
	s_wait_loadcnt 0x0
	s_delay_alu instid0(VALU_DEP_1)
	v_pk_add_f32 v[26:27], v[36:37], v[26:27] neg_lo:[0,1] neg_hi:[0,1]
	scratch_store_b64 off, v[26:27], off offset:64
	s_wait_xcnt 0x0
	v_cmpx_lt_u32_e32 7, v0
	s_cbranch_execz .LBB75_71
; %bb.70:
	scratch_load_b64 v[26:27], off, off offset:56
	v_mov_b64_e32 v[28:29], 0
	scratch_store_b64 off, v[28:29], off offset:56
	s_wait_loadcnt 0x0
	ds_store_b64 v1, v[26:27]
.LBB75_71:
	s_wait_xcnt 0x0
	s_or_b32 exec_lo, exec_lo, s0
	s_wait_storecnt_dscnt 0x0
	s_barrier_signal -1
	s_barrier_wait -1
	s_clause 0x2
	scratch_load_b128 v[26:29], off, off offset:64
	scratch_load_b128 v[30:33], off, off offset:80
	scratch_load_b64 v[42:43], off, off offset:56
	ds_load_b128 v[34:37], v7 offset:160
	ds_load_b128 v[38:41], v7 offset:176
	s_mov_b32 s0, exec_lo
	s_wait_dscnt 0x1
	v_dual_mov_b32 v44, v37 :: v_dual_mov_b32 v45, v36
	s_wait_loadcnt_dscnt 0x200
	v_dual_mov_b32 v50, v41 :: v_dual_mov_b32 v48, v29
	v_pk_mul_f32 v[46:47], v[34:35], v[26:27] op_sel:[1,1] op_sel_hi:[0,1]
	s_delay_alu instid0(VALU_DEP_2) | instskip(NEXT) | instid1(VALU_DEP_2)
	v_pk_mul_f32 v[44:45], v[44:45], v[48:49] op_sel_hi:[1,0]
	v_pk_fma_f32 v[52:53], v[34:35], v[26:27], v[46:47] op_sel_hi:[1,0,1]
	v_pk_fma_f32 v[26:27], v[34:35], v[26:27], v[46:47] neg_lo:[0,0,1] neg_hi:[0,0,1]
	v_mov_b32_e32 v51, v40
	s_wait_loadcnt 0x1
	v_pk_mul_f32 v[48:49], v[38:39], v[30:31] op_sel:[1,1] op_sel_hi:[0,1]
	v_pk_fma_f32 v[34:35], v[36:37], v[28:29], v[44:45] op_sel_hi:[1,0,1]
	v_dual_mov_b32 v27, v53 :: v_dual_mov_b32 v34, v33
	v_pk_fma_f32 v[28:29], v[36:37], v[28:29], v[44:45] neg_lo:[0,0,1] neg_hi:[0,0,1]
	s_delay_alu instid0(VALU_DEP_4) | instskip(NEXT) | instid1(VALU_DEP_4)
	v_pk_fma_f32 v[46:47], v[38:39], v[30:31], v[48:49] op_sel_hi:[1,0,1]
	v_mov_b32_e32 v29, v35
	s_delay_alu instid0(VALU_DEP_4) | instskip(SKIP_2) | instid1(VALU_DEP_3)
	v_pk_add_f32 v[26:27], v[26:27], 0 op_sel_hi:[1,0]
	v_pk_mul_f32 v[34:35], v[50:51], v[34:35] op_sel_hi:[1,0]
	v_pk_fma_f32 v[30:31], v[38:39], v[30:31], v[48:49] neg_lo:[0,0,1] neg_hi:[0,0,1]
	v_pk_add_f32 v[26:27], v[26:27], v[28:29]
	s_delay_alu instid0(VALU_DEP_3) | instskip(SKIP_2) | instid1(VALU_DEP_3)
	v_pk_fma_f32 v[28:29], v[40:41], v[32:33], v[34:35] op_sel_hi:[1,0,1]
	v_mov_b32_e32 v31, v47
	v_pk_fma_f32 v[32:33], v[40:41], v[32:33], v[34:35] neg_lo:[0,0,1] neg_hi:[0,0,1]
	v_mov_b32_e32 v33, v29
	s_delay_alu instid0(VALU_DEP_3) | instskip(NEXT) | instid1(VALU_DEP_1)
	v_pk_add_f32 v[26:27], v[26:27], v[30:31]
	v_pk_add_f32 v[26:27], v[26:27], v[32:33]
	s_wait_loadcnt 0x0
	s_delay_alu instid0(VALU_DEP_1)
	v_pk_add_f32 v[26:27], v[42:43], v[26:27] neg_lo:[0,1] neg_hi:[0,1]
	scratch_store_b64 off, v[26:27], off offset:56
	s_wait_xcnt 0x0
	v_cmpx_lt_u32_e32 6, v0
	s_cbranch_execz .LBB75_73
; %bb.72:
	scratch_load_b64 v[26:27], off, off offset:48
	v_mov_b64_e32 v[28:29], 0
	scratch_store_b64 off, v[28:29], off offset:48
	s_wait_loadcnt 0x0
	ds_store_b64 v1, v[26:27]
.LBB75_73:
	s_wait_xcnt 0x0
	s_or_b32 exec_lo, exec_lo, s0
	s_wait_storecnt_dscnt 0x0
	s_barrier_signal -1
	s_barrier_wait -1
	s_clause 0x3
	scratch_load_b128 v[26:29], off, off offset:56
	scratch_load_b128 v[30:33], off, off offset:72
	scratch_load_b64 v[42:43], off, off offset:88
	scratch_load_b64 v[44:45], off, off offset:48
	v_mov_b32_e32 v7, 0
	ds_load_2addr_b64 v[34:37], v7 offset0:19 offset1:20
	ds_load_2addr_b64 v[38:41], v7 offset0:21 offset1:22
	s_mov_b32 s0, exec_lo
	s_wait_dscnt 0x1
	v_dual_mov_b32 v46, v37 :: v_dual_mov_b32 v47, v36
	ds_load_b64 v[52:53], v7 offset:184
	s_wait_dscnt 0x1
	v_dual_mov_b32 v54, v41 :: v_dual_mov_b32 v55, v40
	s_wait_loadcnt 0x3
	v_pk_mul_f32 v[48:49], v[34:35], v[26:27] op_sel:[1,1] op_sel_hi:[0,1]
	v_mov_b32_e32 v50, v29
	s_delay_alu instid0(VALU_DEP_2) | instskip(NEXT) | instid1(VALU_DEP_2)
	v_pk_fma_f32 v[56:57], v[34:35], v[26:27], v[48:49] op_sel_hi:[1,0,1]
	v_pk_mul_f32 v[46:47], v[46:47], v[50:51] op_sel_hi:[1,0]
	v_pk_fma_f32 v[26:27], v[34:35], v[26:27], v[48:49] neg_lo:[0,0,1] neg_hi:[0,0,1]
	s_wait_loadcnt 0x2
	v_pk_mul_f32 v[50:51], v[38:39], v[30:31] op_sel:[1,1] op_sel_hi:[0,1]
	v_dual_mov_b32 v56, v33 :: v_dual_mov_b32 v27, v57
	v_pk_fma_f32 v[34:35], v[36:37], v[28:29], v[46:47] op_sel_hi:[1,0,1]
	v_pk_fma_f32 v[28:29], v[36:37], v[28:29], v[46:47] neg_lo:[0,0,1] neg_hi:[0,0,1]
	s_delay_alu instid0(VALU_DEP_4) | instskip(NEXT) | instid1(VALU_DEP_4)
	v_pk_fma_f32 v[48:49], v[38:39], v[30:31], v[50:51] op_sel_hi:[1,0,1]
	v_pk_mul_f32 v[54:55], v[54:55], v[56:57] op_sel_hi:[1,0]
	v_pk_add_f32 v[26:27], v[26:27], 0 op_sel_hi:[1,0]
	v_mov_b32_e32 v29, v35
	v_pk_fma_f32 v[30:31], v[38:39], v[30:31], v[50:51] neg_lo:[0,0,1] neg_hi:[0,0,1]
	v_mov_b32_e32 v31, v49
	v_pk_fma_f32 v[34:35], v[40:41], v[32:33], v[54:55] op_sel_hi:[1,0,1]
	v_pk_fma_f32 v[32:33], v[40:41], v[32:33], v[54:55] neg_lo:[0,0,1] neg_hi:[0,0,1]
	v_pk_add_f32 v[26:27], v[26:27], v[28:29]
	s_wait_loadcnt_dscnt 0x100
	v_pk_mul_f32 v[28:29], v[52:53], v[42:43] op_sel:[1,1] op_sel_hi:[0,1]
	s_delay_alu instid0(VALU_DEP_2) | instskip(NEXT) | instid1(VALU_DEP_2)
	v_pk_add_f32 v[26:27], v[26:27], v[30:31]
	v_pk_fma_f32 v[30:31], v[52:53], v[42:43], v[28:29] op_sel_hi:[1,0,1]
	v_mov_b32_e32 v33, v35
	v_pk_fma_f32 v[28:29], v[52:53], v[42:43], v[28:29] neg_lo:[0,0,1] neg_hi:[0,0,1]
	s_delay_alu instid0(VALU_DEP_3) | instskip(NEXT) | instid1(VALU_DEP_3)
	v_mov_b32_e32 v29, v31
	v_pk_add_f32 v[26:27], v[26:27], v[32:33]
	s_delay_alu instid0(VALU_DEP_1) | instskip(SKIP_1) | instid1(VALU_DEP_1)
	v_pk_add_f32 v[26:27], v[26:27], v[28:29]
	s_wait_loadcnt 0x0
	v_pk_add_f32 v[26:27], v[44:45], v[26:27] neg_lo:[0,1] neg_hi:[0,1]
	scratch_store_b64 off, v[26:27], off offset:48
	s_wait_xcnt 0x0
	v_cmpx_lt_u32_e32 5, v0
	s_cbranch_execz .LBB75_75
; %bb.74:
	scratch_load_b64 v[26:27], off, off offset:40
	v_mov_b64_e32 v[28:29], 0
	scratch_store_b64 off, v[28:29], off offset:40
	s_wait_loadcnt 0x0
	ds_store_b64 v1, v[26:27]
.LBB75_75:
	s_wait_xcnt 0x0
	s_or_b32 exec_lo, exec_lo, s0
	s_wait_storecnt_dscnt 0x0
	s_barrier_signal -1
	s_barrier_wait -1
	s_clause 0x3
	scratch_load_b128 v[26:29], off, off offset:48
	scratch_load_b128 v[30:33], off, off offset:64
	;; [unrolled: 1-line block ×3, first 2 shown]
	scratch_load_b64 v[50:51], off, off offset:40
	ds_load_b128 v[38:41], v7 offset:144
	ds_load_b128 v[42:45], v7 offset:160
	;; [unrolled: 1-line block ×3, first 2 shown]
	s_mov_b32 s0, exec_lo
	s_wait_dscnt 0x2
	v_dual_mov_b32 v52, v41 :: v_dual_mov_b32 v53, v40
	s_wait_dscnt 0x1
	v_dual_mov_b32 v54, v45 :: v_dual_mov_b32 v55, v44
	;; [unrolled: 2-line block ×3, first 2 shown]
	s_wait_loadcnt 0x3
	v_pk_mul_f32 v[56:57], v[38:39], v[26:27] op_sel:[1,1] op_sel_hi:[0,1]
	v_mov_b32_e32 v58, v29
	s_delay_alu instid0(VALU_DEP_2) | instskip(NEXT) | instid1(VALU_DEP_2)
	v_pk_fma_f32 v[62:63], v[38:39], v[26:27], v[56:57] op_sel_hi:[1,0,1]
	v_pk_mul_f32 v[52:53], v[52:53], v[58:59] op_sel_hi:[1,0]
	v_pk_fma_f32 v[26:27], v[38:39], v[26:27], v[56:57] neg_lo:[0,0,1] neg_hi:[0,0,1]
	s_wait_loadcnt 0x2
	v_pk_mul_f32 v[58:59], v[42:43], v[30:31] op_sel:[1,1] op_sel_hi:[0,1]
	v_mov_b32_e32 v62, v33
	v_pk_fma_f32 v[38:39], v[40:41], v[28:29], v[52:53] op_sel_hi:[1,0,1]
	v_mov_b32_e32 v27, v63
	v_pk_fma_f32 v[28:29], v[40:41], v[28:29], v[52:53] neg_lo:[0,0,1] neg_hi:[0,0,1]
	v_pk_fma_f32 v[56:57], v[42:43], v[30:31], v[58:59] op_sel_hi:[1,0,1]
	v_pk_mul_f32 v[54:55], v[54:55], v[62:63] op_sel_hi:[1,0]
	v_mov_b32_e32 v29, v39
	v_pk_add_f32 v[26:27], v[26:27], 0 op_sel_hi:[1,0]
	v_pk_fma_f32 v[30:31], v[42:43], v[30:31], v[58:59] neg_lo:[0,0,1] neg_hi:[0,0,1]
	s_wait_loadcnt 0x1
	v_pk_mul_f32 v[38:39], v[46:47], v[34:35] op_sel:[1,1] op_sel_hi:[0,1]
	v_mov_b32_e32 v31, v57
	v_pk_fma_f32 v[40:41], v[44:45], v[32:33], v[54:55] op_sel_hi:[1,0,1]
	v_pk_add_f32 v[26:27], v[26:27], v[28:29]
	v_mov_b32_e32 v28, v37
	v_pk_fma_f32 v[32:33], v[44:45], v[32:33], v[54:55] neg_lo:[0,0,1] neg_hi:[0,0,1]
	v_pk_fma_f32 v[42:43], v[46:47], v[34:35], v[38:39] op_sel_hi:[1,0,1]
	v_mov_b32_e32 v33, v41
	v_pk_add_f32 v[26:27], v[26:27], v[30:31]
	v_pk_mul_f32 v[28:29], v[60:61], v[28:29] op_sel_hi:[1,0]
	v_pk_fma_f32 v[30:31], v[46:47], v[34:35], v[38:39] neg_lo:[0,0,1] neg_hi:[0,0,1]
	v_mov_b32_e32 v31, v43
	s_delay_alu instid0(VALU_DEP_4) | instskip(NEXT) | instid1(VALU_DEP_4)
	v_pk_add_f32 v[26:27], v[26:27], v[32:33]
	v_pk_fma_f32 v[32:33], v[48:49], v[36:37], v[28:29] op_sel_hi:[1,0,1]
	v_pk_fma_f32 v[28:29], v[48:49], v[36:37], v[28:29] neg_lo:[0,0,1] neg_hi:[0,0,1]
	s_delay_alu instid0(VALU_DEP_3) | instskip(NEXT) | instid1(VALU_DEP_3)
	v_pk_add_f32 v[26:27], v[26:27], v[30:31]
	v_mov_b32_e32 v29, v33
	s_delay_alu instid0(VALU_DEP_1) | instskip(SKIP_1) | instid1(VALU_DEP_1)
	v_pk_add_f32 v[26:27], v[26:27], v[28:29]
	s_wait_loadcnt 0x0
	v_pk_add_f32 v[26:27], v[50:51], v[26:27] neg_lo:[0,1] neg_hi:[0,1]
	scratch_store_b64 off, v[26:27], off offset:40
	s_wait_xcnt 0x0
	v_cmpx_lt_u32_e32 4, v0
	s_cbranch_execz .LBB75_77
; %bb.76:
	scratch_load_b64 v[26:27], off, off offset:32
	v_mov_b64_e32 v[28:29], 0
	scratch_store_b64 off, v[28:29], off offset:32
	s_wait_loadcnt 0x0
	ds_store_b64 v1, v[26:27]
.LBB75_77:
	s_wait_xcnt 0x0
	s_or_b32 exec_lo, exec_lo, s0
	s_wait_storecnt_dscnt 0x0
	s_barrier_signal -1
	s_barrier_wait -1
	s_clause 0x4
	scratch_load_b128 v[26:29], off, off offset:40
	scratch_load_b128 v[30:33], off, off offset:56
	;; [unrolled: 1-line block ×3, first 2 shown]
	scratch_load_b64 v[50:51], off, off offset:88
	scratch_load_b64 v[52:53], off, off offset:32
	v_mov_b32_e32 v7, 0
	ds_load_2addr_b64 v[38:41], v7 offset0:17 offset1:18
	ds_load_2addr_b64 v[42:45], v7 offset0:19 offset1:20
	;; [unrolled: 1-line block ×3, first 2 shown]
	ds_load_b64 v[54:55], v7 offset:184
	s_mov_b32 s0, exec_lo
	s_wait_dscnt 0x3
	v_dual_mov_b32 v56, v41 :: v_dual_mov_b32 v57, v40
	s_wait_dscnt 0x2
	v_dual_mov_b32 v58, v45 :: v_dual_mov_b32 v59, v44
	;; [unrolled: 2-line block ×3, first 2 shown]
	s_wait_loadcnt 0x4
	v_pk_mul_f32 v[60:61], v[38:39], v[26:27] op_sel:[1,1] op_sel_hi:[0,1]
	v_mov_b32_e32 v62, v29
	s_wait_loadcnt 0x3
	v_pk_mul_f32 v[66:67], v[42:43], v[30:31] op_sel:[1,1] op_sel_hi:[0,1]
	s_wait_loadcnt 0x2
	v_pk_mul_f32 v[70:71], v[46:47], v[34:35] op_sel:[1,1] op_sel_hi:[0,1]
	v_pk_fma_f32 v[68:69], v[38:39], v[26:27], v[60:61] op_sel_hi:[1,0,1]
	v_pk_mul_f32 v[56:57], v[56:57], v[62:63] op_sel_hi:[1,0]
	v_pk_fma_f32 v[26:27], v[38:39], v[26:27], v[60:61] neg_lo:[0,0,1] neg_hi:[0,0,1]
	v_mov_b32_e32 v62, v33
	v_pk_fma_f32 v[60:61], v[42:43], v[30:31], v[66:67] op_sel_hi:[1,0,1]
	v_mov_b32_e32 v27, v69
	v_pk_fma_f32 v[38:39], v[40:41], v[28:29], v[56:57] op_sel_hi:[1,0,1]
	v_pk_fma_f32 v[28:29], v[40:41], v[28:29], v[56:57] neg_lo:[0,0,1] neg_hi:[0,0,1]
	v_pk_mul_f32 v[58:59], v[58:59], v[62:63] op_sel_hi:[1,0]
	v_pk_fma_f32 v[30:31], v[42:43], v[30:31], v[66:67] neg_lo:[0,0,1] neg_hi:[0,0,1]
	v_pk_add_f32 v[26:27], v[26:27], 0 op_sel_hi:[1,0]
	v_dual_mov_b32 v29, v39 :: v_dual_mov_b32 v38, v37
	s_delay_alu instid0(VALU_DEP_4) | instskip(SKIP_2) | instid1(VALU_DEP_4)
	v_pk_fma_f32 v[40:41], v[44:45], v[32:33], v[58:59] op_sel_hi:[1,0,1]
	v_mov_b32_e32 v31, v61
	v_pk_fma_f32 v[32:33], v[44:45], v[32:33], v[58:59] neg_lo:[0,0,1] neg_hi:[0,0,1]
	v_pk_add_f32 v[26:27], v[26:27], v[28:29]
	v_pk_fma_f32 v[28:29], v[46:47], v[34:35], v[70:71] op_sel_hi:[1,0,1]
	v_pk_mul_f32 v[38:39], v[64:65], v[38:39] op_sel_hi:[1,0]
	v_mov_b32_e32 v33, v41
	s_delay_alu instid0(VALU_DEP_4)
	v_pk_add_f32 v[26:27], v[26:27], v[30:31]
	v_pk_fma_f32 v[30:31], v[46:47], v[34:35], v[70:71] neg_lo:[0,0,1] neg_hi:[0,0,1]
	v_mov_b32_e32 v31, v29
	v_pk_fma_f32 v[28:29], v[48:49], v[36:37], v[38:39] op_sel_hi:[1,0,1]
	v_pk_fma_f32 v[34:35], v[48:49], v[36:37], v[38:39] neg_lo:[0,0,1] neg_hi:[0,0,1]
	v_pk_add_f32 v[26:27], v[26:27], v[32:33]
	s_wait_loadcnt_dscnt 0x100
	v_pk_mul_f32 v[32:33], v[54:55], v[50:51] op_sel:[1,1] op_sel_hi:[0,1]
	v_mov_b32_e32 v35, v29
	s_delay_alu instid0(VALU_DEP_3) | instskip(NEXT) | instid1(VALU_DEP_3)
	v_pk_add_f32 v[26:27], v[26:27], v[30:31]
	v_pk_fma_f32 v[28:29], v[54:55], v[50:51], v[32:33] op_sel_hi:[1,0,1]
	v_pk_fma_f32 v[30:31], v[54:55], v[50:51], v[32:33] neg_lo:[0,0,1] neg_hi:[0,0,1]
	s_delay_alu instid0(VALU_DEP_3) | instskip(NEXT) | instid1(VALU_DEP_3)
	v_pk_add_f32 v[26:27], v[26:27], v[34:35]
	v_mov_b32_e32 v31, v29
	s_delay_alu instid0(VALU_DEP_1) | instskip(SKIP_1) | instid1(VALU_DEP_1)
	v_pk_add_f32 v[26:27], v[26:27], v[30:31]
	s_wait_loadcnt 0x0
	v_pk_add_f32 v[26:27], v[52:53], v[26:27] neg_lo:[0,1] neg_hi:[0,1]
	scratch_store_b64 off, v[26:27], off offset:32
	s_wait_xcnt 0x0
	v_cmpx_lt_u32_e32 3, v0
	s_cbranch_execz .LBB75_79
; %bb.78:
	scratch_load_b64 v[26:27], off, off offset:24
	v_mov_b64_e32 v[28:29], 0
	scratch_store_b64 off, v[28:29], off offset:24
	s_wait_loadcnt 0x0
	ds_store_b64 v1, v[26:27]
.LBB75_79:
	s_wait_xcnt 0x0
	s_or_b32 exec_lo, exec_lo, s0
	s_wait_storecnt_dscnt 0x0
	s_barrier_signal -1
	s_barrier_wait -1
	s_clause 0x4
	scratch_load_b128 v[26:29], off, off offset:32
	scratch_load_b128 v[30:33], off, off offset:48
	;; [unrolled: 1-line block ×4, first 2 shown]
	scratch_load_b64 v[58:59], off, off offset:24
	ds_load_b128 v[42:45], v7 offset:128
	ds_load_b128 v[46:49], v7 offset:144
	;; [unrolled: 1-line block ×4, first 2 shown]
	s_mov_b32 s0, exec_lo
	s_wait_dscnt 0x3
	v_dual_mov_b32 v60, v45 :: v_dual_mov_b32 v61, v44
	s_wait_dscnt 0x2
	v_dual_mov_b32 v62, v49 :: v_dual_mov_b32 v63, v48
	;; [unrolled: 2-line block ×3, first 2 shown]
	v_dual_mov_b32 v65, v52 :: v_dual_mov_b32 v70, v57
	s_wait_loadcnt 0x4
	v_mov_b32_e32 v68, v29
	v_pk_mul_f32 v[66:67], v[42:43], v[26:27] op_sel:[1,1] op_sel_hi:[0,1]
	s_wait_loadcnt 0x3
	v_pk_mul_f32 v[72:73], v[46:47], v[30:31] op_sel:[1,1] op_sel_hi:[0,1]
	s_wait_loadcnt 0x2
	v_pk_mul_f32 v[76:77], v[50:51], v[34:35] op_sel:[1,1] op_sel_hi:[0,1]
	v_pk_mul_f32 v[60:61], v[60:61], v[68:69] op_sel_hi:[1,0]
	v_pk_fma_f32 v[74:75], v[42:43], v[26:27], v[66:67] op_sel_hi:[1,0,1]
	v_pk_fma_f32 v[26:27], v[42:43], v[26:27], v[66:67] neg_lo:[0,0,1] neg_hi:[0,0,1]
	v_mov_b32_e32 v68, v33
	v_pk_fma_f32 v[66:67], v[46:47], v[30:31], v[72:73] op_sel_hi:[1,0,1]
	v_pk_fma_f32 v[42:43], v[44:45], v[28:29], v[60:61] op_sel_hi:[1,0,1]
	v_mov_b32_e32 v27, v75
	v_pk_fma_f32 v[28:29], v[44:45], v[28:29], v[60:61] neg_lo:[0,0,1] neg_hi:[0,0,1]
	v_pk_mul_f32 v[62:63], v[62:63], v[68:69] op_sel_hi:[1,0]
	s_delay_alu instid0(VALU_DEP_4) | instskip(NEXT) | instid1(VALU_DEP_4)
	v_dual_mov_b32 v42, v37 :: v_dual_mov_b32 v29, v43
	v_pk_add_f32 v[26:27], v[26:27], 0 op_sel_hi:[1,0]
	v_pk_fma_f32 v[30:31], v[46:47], v[30:31], v[72:73] neg_lo:[0,0,1] neg_hi:[0,0,1]
	v_mov_b32_e32 v31, v67
	v_pk_fma_f32 v[44:45], v[48:49], v[32:33], v[62:63] op_sel_hi:[1,0,1]
	v_pk_mul_f32 v[42:43], v[64:65], v[42:43] op_sel_hi:[1,0]
	v_pk_add_f32 v[26:27], v[26:27], v[28:29]
	v_pk_fma_f32 v[28:29], v[50:51], v[34:35], v[76:77] op_sel_hi:[1,0,1]
	v_pk_fma_f32 v[32:33], v[48:49], v[32:33], v[62:63] neg_lo:[0,0,1] neg_hi:[0,0,1]
	v_mov_b32_e32 v33, v45
	v_pk_fma_f32 v[34:35], v[50:51], v[34:35], v[76:77] neg_lo:[0,0,1] neg_hi:[0,0,1]
	v_pk_add_f32 v[26:27], v[26:27], v[30:31]
	v_mov_b32_e32 v35, v29
	v_pk_fma_f32 v[28:29], v[52:53], v[36:37], v[42:43] op_sel_hi:[1,0,1]
	s_wait_loadcnt 0x1
	v_pk_mul_f32 v[30:31], v[54:55], v[38:39] op_sel:[1,1] op_sel_hi:[0,1]
	v_mov_b32_e32 v28, v41
	v_pk_add_f32 v[26:27], v[26:27], v[32:33]
	v_pk_fma_f32 v[36:37], v[52:53], v[36:37], v[42:43] neg_lo:[0,0,1] neg_hi:[0,0,1]
	v_mov_b32_e32 v37, v29
	v_pk_fma_f32 v[32:33], v[54:55], v[38:39], v[30:31] op_sel_hi:[1,0,1]
	v_pk_mul_f32 v[28:29], v[70:71], v[28:29] op_sel_hi:[1,0]
	v_pk_add_f32 v[26:27], v[26:27], v[34:35]
	v_pk_fma_f32 v[30:31], v[54:55], v[38:39], v[30:31] neg_lo:[0,0,1] neg_hi:[0,0,1]
	s_delay_alu instid0(VALU_DEP_4) | instskip(NEXT) | instid1(VALU_DEP_4)
	v_mov_b32_e32 v31, v33
	v_pk_fma_f32 v[32:33], v[56:57], v[40:41], v[28:29] op_sel_hi:[1,0,1]
	s_delay_alu instid0(VALU_DEP_4) | instskip(SKIP_1) | instid1(VALU_DEP_3)
	v_pk_add_f32 v[26:27], v[26:27], v[36:37]
	v_pk_fma_f32 v[28:29], v[56:57], v[40:41], v[28:29] neg_lo:[0,0,1] neg_hi:[0,0,1]
	v_mov_b32_e32 v29, v33
	s_delay_alu instid0(VALU_DEP_3) | instskip(NEXT) | instid1(VALU_DEP_1)
	v_pk_add_f32 v[26:27], v[26:27], v[30:31]
	v_pk_add_f32 v[26:27], v[26:27], v[28:29]
	s_wait_loadcnt 0x0
	s_delay_alu instid0(VALU_DEP_1)
	v_pk_add_f32 v[26:27], v[58:59], v[26:27] neg_lo:[0,1] neg_hi:[0,1]
	scratch_store_b64 off, v[26:27], off offset:24
	s_wait_xcnt 0x0
	v_cmpx_lt_u32_e32 2, v0
	s_cbranch_execz .LBB75_81
; %bb.80:
	scratch_load_b64 v[26:27], off, off offset:16
	v_mov_b64_e32 v[28:29], 0
	scratch_store_b64 off, v[28:29], off offset:16
	s_wait_loadcnt 0x0
	ds_store_b64 v1, v[26:27]
.LBB75_81:
	s_wait_xcnt 0x0
	s_or_b32 exec_lo, exec_lo, s0
	s_wait_storecnt_dscnt 0x0
	s_barrier_signal -1
	s_barrier_wait -1
	s_clause 0x5
	scratch_load_b128 v[26:29], off, off offset:24
	scratch_load_b128 v[30:33], off, off offset:40
	;; [unrolled: 1-line block ×4, first 2 shown]
	scratch_load_b64 v[58:59], off, off offset:88
	scratch_load_b64 v[60:61], off, off offset:16
	v_mov_b32_e32 v7, 0
	ds_load_2addr_b64 v[42:45], v7 offset0:15 offset1:16
	ds_load_2addr_b64 v[46:49], v7 offset0:17 offset1:18
	;; [unrolled: 1-line block ×4, first 2 shown]
	ds_load_b64 v[62:63], v7 offset:184
	s_mov_b32 s0, exec_lo
	s_wait_dscnt 0x4
	v_dual_mov_b32 v64, v45 :: v_dual_mov_b32 v65, v44
	s_wait_dscnt 0x1
	v_dual_mov_b32 v66, v49 :: v_dual_mov_b32 v71, v56
	v_dual_mov_b32 v67, v48 :: v_dual_mov_b32 v68, v53
	;; [unrolled: 1-line block ×3, first 2 shown]
	s_wait_loadcnt 0x5
	v_dual_mov_b32 v72, v29 :: v_dual_mul_f32 v73, v42, v27
	v_mul_f32_e32 v9, v43, v27
	s_wait_loadcnt 0x4
	v_pk_mul_f32 v[74:75], v[46:47], v[30:31] op_sel:[1,1] op_sel_hi:[0,1]
	v_mov_b32_e32 v76, v33
	s_wait_loadcnt 0x3
	v_pk_mul_f32 v[78:79], v[50:51], v[34:35] op_sel:[1,1] op_sel_hi:[0,1]
	v_pk_mul_f32 v[64:65], v[64:65], v[72:73] op_sel_hi:[1,0]
	v_fmac_f32_e32 v73, v43, v26
	v_dual_fma_f32 v72, v42, v26, -v9 :: v_dual_mov_b32 v26, v37
	v_pk_fma_f32 v[80:81], v[46:47], v[30:31], v[74:75] op_sel_hi:[1,0,1]
	s_delay_alu instid0(VALU_DEP_4)
	v_pk_fma_f32 v[42:43], v[44:45], v[28:29], v[64:65] op_sel_hi:[1,0,1]
	v_pk_fma_f32 v[28:29], v[44:45], v[28:29], v[64:65] neg_lo:[0,0,1] neg_hi:[0,0,1]
	v_pk_mul_f32 v[66:67], v[66:67], v[76:77] op_sel_hi:[1,0]
	v_pk_add_f32 v[72:73], v[72:73], 0 op_sel_hi:[1,0]
	v_pk_fma_f32 v[30:31], v[46:47], v[30:31], v[74:75] neg_lo:[0,0,1] neg_hi:[0,0,1]
	v_dual_mov_b32 v29, v43 :: v_dual_mov_b32 v31, v81
	s_delay_alu instid0(VALU_DEP_4) | instskip(SKIP_2) | instid1(VALU_DEP_4)
	v_pk_fma_f32 v[44:45], v[48:49], v[32:33], v[66:67] op_sel_hi:[1,0,1]
	v_pk_fma_f32 v[32:33], v[48:49], v[32:33], v[66:67] neg_lo:[0,0,1] neg_hi:[0,0,1]
	v_pk_fma_f32 v[46:47], v[50:51], v[34:35], v[78:79] op_sel_hi:[1,0,1]
	v_pk_add_f32 v[28:29], v[72:73], v[28:29]
	v_pk_mul_f32 v[26:27], v[68:69], v[26:27] op_sel_hi:[1,0]
	v_mov_b32_e32 v33, v45
	v_pk_fma_f32 v[34:35], v[50:51], v[34:35], v[78:79] neg_lo:[0,0,1] neg_hi:[0,0,1]
	s_wait_loadcnt 0x2
	v_pk_mul_f32 v[42:43], v[54:55], v[38:39] op_sel:[1,1] op_sel_hi:[0,1]
	v_pk_add_f32 v[28:29], v[28:29], v[30:31]
	v_mov_b32_e32 v30, v41
	v_pk_fma_f32 v[44:45], v[52:53], v[36:37], v[26:27] op_sel_hi:[1,0,1]
	v_mov_b32_e32 v35, v47
	v_pk_fma_f32 v[26:27], v[52:53], v[36:37], v[26:27] neg_lo:[0,0,1] neg_hi:[0,0,1]
	v_pk_add_f32 v[28:29], v[28:29], v[32:33]
	v_pk_fma_f32 v[32:33], v[54:55], v[38:39], v[42:43] op_sel_hi:[1,0,1]
	v_pk_mul_f32 v[30:31], v[70:71], v[30:31] op_sel_hi:[1,0]
	v_mov_b32_e32 v27, v45
	s_delay_alu instid0(VALU_DEP_4)
	v_pk_add_f32 v[28:29], v[28:29], v[34:35]
	v_pk_fma_f32 v[34:35], v[54:55], v[38:39], v[42:43] neg_lo:[0,0,1] neg_hi:[0,0,1]
	v_mov_b32_e32 v35, v33
	v_pk_fma_f32 v[32:33], v[56:57], v[40:41], v[30:31] op_sel_hi:[1,0,1]
	v_pk_fma_f32 v[30:31], v[56:57], v[40:41], v[30:31] neg_lo:[0,0,1] neg_hi:[0,0,1]
	v_pk_add_f32 v[26:27], v[28:29], v[26:27]
	s_wait_loadcnt_dscnt 0x100
	v_pk_mul_f32 v[28:29], v[62:63], v[58:59] op_sel:[1,1] op_sel_hi:[0,1]
	v_mov_b32_e32 v31, v33
	s_delay_alu instid0(VALU_DEP_3) | instskip(NEXT) | instid1(VALU_DEP_3)
	v_pk_add_f32 v[26:27], v[26:27], v[34:35]
	v_pk_fma_f32 v[32:33], v[62:63], v[58:59], v[28:29] op_sel_hi:[1,0,1]
	v_pk_fma_f32 v[28:29], v[62:63], v[58:59], v[28:29] neg_lo:[0,0,1] neg_hi:[0,0,1]
	s_delay_alu instid0(VALU_DEP_3) | instskip(NEXT) | instid1(VALU_DEP_3)
	v_pk_add_f32 v[26:27], v[26:27], v[30:31]
	v_mov_b32_e32 v29, v33
	s_delay_alu instid0(VALU_DEP_1) | instskip(SKIP_1) | instid1(VALU_DEP_1)
	v_pk_add_f32 v[26:27], v[26:27], v[28:29]
	s_wait_loadcnt 0x0
	v_pk_add_f32 v[26:27], v[60:61], v[26:27] neg_lo:[0,1] neg_hi:[0,1]
	scratch_store_b64 off, v[26:27], off offset:16
	s_wait_xcnt 0x0
	v_cmpx_lt_u32_e32 1, v0
	s_cbranch_execz .LBB75_83
; %bb.82:
	scratch_load_b64 v[26:27], off, off offset:8
	v_mov_b64_e32 v[28:29], 0
	scratch_store_b64 off, v[28:29], off offset:8
	s_wait_loadcnt 0x0
	ds_store_b64 v1, v[26:27]
.LBB75_83:
	s_wait_xcnt 0x0
	s_or_b32 exec_lo, exec_lo, s0
	s_wait_storecnt_dscnt 0x0
	s_barrier_signal -1
	s_barrier_wait -1
	s_clause 0x5
	scratch_load_b128 v[26:29], off, off offset:16
	scratch_load_b128 v[30:33], off, off offset:32
	;; [unrolled: 1-line block ×5, first 2 shown]
	scratch_load_b64 v[66:67], off, off offset:8
	ds_load_b128 v[46:49], v7 offset:128
	ds_load_b128 v[50:53], v7 offset:144
	;; [unrolled: 1-line block ×5, first 2 shown]
	v_dual_ashrrev_i32 v11, 31, v10 :: v_dual_ashrrev_i32 v13, 31, v12
	v_dual_ashrrev_i32 v15, 31, v14 :: v_dual_ashrrev_i32 v17, 31, v16
	;; [unrolled: 1-line block ×4, first 2 shown]
	s_mov_b32 s0, exec_lo
	s_wait_dscnt 0x4
	v_dual_mov_b32 v68, v49 :: v_dual_mov_b32 v69, v48
	s_wait_dscnt 0x3
	v_dual_mov_b32 v70, v53 :: v_dual_mov_b32 v71, v52
	;; [unrolled: 2-line block ×4, first 2 shown]
	s_wait_loadcnt_dscnt 0x500
	v_dual_mul_f32 v7, v63, v27 :: v_dual_mul_f32 v77, v62, v27
	v_dual_mul_f32 v27, v64, v29 :: v_dual_mul_f32 v9, v65, v29
	s_wait_loadcnt 0x4
	v_pk_mul_f32 v[78:79], v[46:47], v[30:31] op_sel:[1,1] op_sel_hi:[0,1]
	s_wait_loadcnt 0x3
	v_dual_mov_b32 v80, v33 :: v_dual_mov_b32 v84, v37
	v_dual_fma_f32 v76, v62, v26, -v7 :: v_dual_fmac_f32 v77, v63, v26
	v_dual_fmac_f32 v27, v65, v28 :: v_dual_fma_f32 v26, v64, v28, -v9
	v_pk_fma_f32 v[28:29], v[46:47], v[30:31], v[78:79] op_sel_hi:[1,0,1]
	s_delay_alu instid0(VALU_DEP_4) | instskip(NEXT) | instid1(VALU_DEP_4)
	v_pk_mul_f32 v[62:63], v[68:69], v[80:81] op_sel_hi:[1,0]
	v_pk_add_f32 v[64:65], v[76:77], 0 op_sel_hi:[1,0]
	v_pk_fma_f32 v[30:31], v[46:47], v[30:31], v[78:79] neg_lo:[0,0,1] neg_hi:[0,0,1]
	v_pk_mul_f32 v[82:83], v[50:51], v[34:35] op_sel:[1,1] op_sel_hi:[0,1]
	v_mov_b32_e32 v31, v29
	v_pk_fma_f32 v[28:29], v[48:49], v[32:33], v[62:63] op_sel_hi:[1,0,1]
	v_pk_add_f32 v[26:27], v[64:65], v[26:27]
	v_pk_fma_f32 v[32:33], v[48:49], v[32:33], v[62:63] neg_lo:[0,0,1] neg_hi:[0,0,1]
	v_pk_mul_f32 v[46:47], v[70:71], v[84:85] op_sel_hi:[1,0]
	v_pk_fma_f32 v[64:65], v[50:51], v[34:35], v[82:83] op_sel_hi:[1,0,1]
	v_mov_b32_e32 v33, v29
	v_pk_add_f32 v[26:27], v[26:27], v[30:31]
	s_wait_loadcnt 0x2
	v_pk_mul_f32 v[68:69], v[54:55], v[38:39] op_sel:[1,1] op_sel_hi:[0,1]
	v_mov_b32_e32 v28, v41
	v_pk_fma_f32 v[30:31], v[50:51], v[34:35], v[82:83] neg_lo:[0,0,1] neg_hi:[0,0,1]
	v_mov_b32_e32 v31, v65
	v_pk_fma_f32 v[34:35], v[52:53], v[36:37], v[46:47] op_sel_hi:[1,0,1]
	v_pk_add_f32 v[26:27], v[26:27], v[32:33]
	v_pk_fma_f32 v[32:33], v[54:55], v[38:39], v[68:69] op_sel_hi:[1,0,1]
	v_pk_mul_f32 v[28:29], v[72:73], v[28:29] op_sel_hi:[1,0]
	v_pk_fma_f32 v[36:37], v[52:53], v[36:37], v[46:47] neg_lo:[0,0,1] neg_hi:[0,0,1]
	v_mov_b32_e32 v37, v35
	v_pk_add_f32 v[26:27], v[26:27], v[30:31]
	v_pk_fma_f32 v[34:35], v[54:55], v[38:39], v[68:69] neg_lo:[0,0,1] neg_hi:[0,0,1]
	v_mov_b32_e32 v35, v33
	v_pk_fma_f32 v[32:33], v[56:57], v[40:41], v[28:29] op_sel_hi:[1,0,1]
	s_wait_loadcnt 0x1
	v_pk_mul_f32 v[30:31], v[58:59], v[42:43] op_sel:[1,1] op_sel_hi:[0,1]
	v_pk_add_f32 v[26:27], v[26:27], v[36:37]
	v_mov_b32_e32 v32, v45
	v_pk_fma_f32 v[28:29], v[56:57], v[40:41], v[28:29] neg_lo:[0,0,1] neg_hi:[0,0,1]
	v_mov_b32_e32 v29, v33
	v_pk_fma_f32 v[36:37], v[58:59], v[42:43], v[30:31] op_sel_hi:[1,0,1]
	v_pk_add_f32 v[26:27], v[26:27], v[34:35]
	v_pk_mul_f32 v[32:33], v[74:75], v[32:33] op_sel_hi:[1,0]
	v_pk_fma_f32 v[30:31], v[58:59], v[42:43], v[30:31] neg_lo:[0,0,1] neg_hi:[0,0,1]
	s_delay_alu instid0(VALU_DEP_4) | instskip(NEXT) | instid1(VALU_DEP_4)
	v_dual_ashrrev_i32 v7, 31, v6 :: v_dual_mov_b32 v31, v37
	v_pk_add_f32 v[26:27], v[26:27], v[28:29]
	s_delay_alu instid0(VALU_DEP_4) | instskip(SKIP_2) | instid1(VALU_DEP_4)
	v_pk_fma_f32 v[28:29], v[60:61], v[44:45], v[32:33] op_sel_hi:[1,0,1]
	v_pk_fma_f32 v[32:33], v[60:61], v[44:45], v[32:33] neg_lo:[0,0,1] neg_hi:[0,0,1]
	v_ashrrev_i32_e32 v9, 31, v8
	v_pk_add_f32 v[26:27], v[26:27], v[30:31]
	s_delay_alu instid0(VALU_DEP_4) | instskip(NEXT) | instid1(VALU_DEP_1)
	v_mov_b32_e32 v33, v29
	v_pk_add_f32 v[26:27], v[26:27], v[32:33]
	s_wait_loadcnt 0x0
	s_delay_alu instid0(VALU_DEP_1)
	v_pk_add_f32 v[26:27], v[66:67], v[26:27] neg_lo:[0,1] neg_hi:[0,1]
	scratch_store_b64 off, v[26:27], off offset:8
	s_wait_xcnt 0x0
	v_cmpx_ne_u32_e32 0, v0
	s_cbranch_execz .LBB75_85
; %bb.84:
	scratch_load_b64 v[26:27], off, off
	v_mov_b64_e32 v[28:29], 0
	scratch_store_b64 off, v[28:29], off
	s_wait_loadcnt 0x0
	ds_store_b64 v1, v[26:27]
.LBB75_85:
	s_wait_xcnt 0x0
	s_or_b32 exec_lo, exec_lo, s0
	s_wait_storecnt_dscnt 0x0
	s_barrier_signal -1
	s_barrier_wait -1
	s_clause 0x6
	scratch_load_b128 v[28:31], off, off offset:8
	scratch_load_b128 v[32:35], off, off offset:24
	scratch_load_b128 v[36:39], off, off offset:40
	scratch_load_b128 v[40:43], off, off offset:56
	scratch_load_b128 v[44:47], off, off offset:72
	scratch_load_b64 v[0:1], off, off offset:88
	scratch_load_b64 v[68:69], off, off
	v_mov_b32_e32 v26, 0
	ds_load_2addr_b64 v[48:51], v26 offset0:15 offset1:16
	ds_load_2addr_b64 v[52:55], v26 offset0:17 offset1:18
	ds_load_2addr_b64 v[56:59], v26 offset0:19 offset1:20
	ds_load_2addr_b64 v[60:63], v26 offset0:21 offset1:22
	ds_load_2addr_b64 v[64:67], v26 offset0:13 offset1:14
	ds_load_b64 v[70:71], v26 offset:184
	s_and_b32 vcc_lo, exec_lo, s12
	s_wait_dscnt 0x5
	v_dual_mov_b32 v72, v51 :: v_dual_mov_b32 v73, v50
	s_wait_dscnt 0x2
	v_dual_mov_b32 v74, v55 :: v_dual_mov_b32 v79, v62
	v_dual_mov_b32 v75, v54 :: v_dual_mov_b32 v76, v59
	v_dual_mov_b32 v77, v58 :: v_dual_mov_b32 v78, v63
	s_wait_loadcnt_dscnt 0x601
	v_dual_mul_f32 v27, v64, v29 :: v_dual_mul_f32 v29, v65, v29
	s_wait_loadcnt 0x5
	v_dual_mul_f32 v81, v66, v31 :: v_dual_mul_f32 v83, v48, v33
	v_dual_mul_f32 v31, v67, v31 :: v_dual_mul_f32 v33, v49, v33
	s_wait_loadcnt 0x4
	v_dual_mov_b32 v82, v35 :: v_dual_mov_b32 v86, v39
	v_dual_fmac_f32 v27, v65, v28 :: v_dual_fma_f32 v64, v64, v28, -v29
	s_delay_alu instid0(VALU_DEP_3) | instskip(NEXT) | instid1(VALU_DEP_3)
	v_dual_fma_f32 v80, v66, v30, -v31 :: v_dual_fmac_f32 v81, v67, v30
	v_pk_mul_f32 v[28:29], v[72:73], v[82:83] op_sel_hi:[1,0]
	s_delay_alu instid0(VALU_DEP_3)
	v_dual_add_f32 v31, 0, v27 :: v_dual_add_f32 v30, 0, v64
	s_wait_loadcnt 0x3
	v_mov_b32_e32 v64, v43
	v_pk_mul_f32 v[84:85], v[52:53], v[36:37] op_sel:[1,1] op_sel_hi:[0,1]
	v_dual_fmac_f32 v83, v49, v32 :: v_dual_fma_f32 v82, v48, v32, -v33
	v_pk_fma_f32 v[32:33], v[50:51], v[34:35], v[28:29] op_sel_hi:[1,0,1]
	v_pk_add_f32 v[30:31], v[30:31], v[80:81]
	v_pk_fma_f32 v[28:29], v[50:51], v[34:35], v[28:29] neg_lo:[0,0,1] neg_hi:[0,0,1]
	v_pk_fma_f32 v[48:49], v[52:53], v[36:37], v[84:85] op_sel_hi:[1,0,1]
	v_pk_mul_f32 v[66:67], v[74:75], v[86:87] op_sel_hi:[1,0]
	v_mov_b32_e32 v29, v33
	v_pk_add_f32 v[30:31], v[30:31], v[82:83]
	v_pk_fma_f32 v[34:35], v[52:53], v[36:37], v[84:85] neg_lo:[0,0,1] neg_hi:[0,0,1]
	v_pk_mul_f32 v[88:89], v[56:57], v[40:41] op_sel:[1,1] op_sel_hi:[0,1]
	v_mov_b32_e32 v35, v49
	v_pk_fma_f32 v[36:37], v[54:55], v[38:39], v[66:67] op_sel_hi:[1,0,1]
	v_pk_add_f32 v[28:29], v[30:31], v[28:29]
	v_pk_fma_f32 v[38:39], v[54:55], v[38:39], v[66:67] neg_lo:[0,0,1] neg_hi:[0,0,1]
	v_pk_fma_f32 v[30:31], v[56:57], v[40:41], v[88:89] op_sel_hi:[1,0,1]
	v_pk_mul_f32 v[48:49], v[76:77], v[64:65] op_sel_hi:[1,0]
	s_wait_loadcnt 0x2
	v_dual_mov_b32 v39, v37 :: v_dual_mov_b32 v30, v47
	v_pk_add_f32 v[28:29], v[28:29], v[34:35]
	v_pk_fma_f32 v[34:35], v[56:57], v[40:41], v[88:89] neg_lo:[0,0,1] neg_hi:[0,0,1]
	v_pk_mul_f32 v[32:33], v[60:61], v[44:45] op_sel:[1,1] op_sel_hi:[0,1]
	v_pk_fma_f32 v[36:37], v[58:59], v[42:43], v[48:49] op_sel_hi:[1,0,1]
	v_mov_b32_e32 v35, v31
	v_pk_add_f32 v[28:29], v[28:29], v[38:39]
	v_pk_fma_f32 v[40:41], v[58:59], v[42:43], v[48:49] neg_lo:[0,0,1] neg_hi:[0,0,1]
	v_pk_fma_f32 v[38:39], v[60:61], v[44:45], v[32:33] op_sel_hi:[1,0,1]
	v_pk_mul_f32 v[30:31], v[78:79], v[30:31] op_sel_hi:[1,0]
	v_mov_b32_e32 v41, v37
	v_pk_add_f32 v[28:29], v[28:29], v[34:35]
	v_pk_fma_f32 v[32:33], v[60:61], v[44:45], v[32:33] neg_lo:[0,0,1] neg_hi:[0,0,1]
	s_wait_loadcnt_dscnt 0x100
	v_pk_mul_f32 v[34:35], v[70:71], v[0:1] op_sel:[1,1] op_sel_hi:[0,1]
	v_pk_fma_f32 v[36:37], v[62:63], v[46:47], v[30:31] op_sel_hi:[1,0,1]
	v_mov_b32_e32 v33, v39
	v_pk_add_f32 v[28:29], v[28:29], v[40:41]
	v_pk_fma_f32 v[30:31], v[62:63], v[46:47], v[30:31] neg_lo:[0,0,1] neg_hi:[0,0,1]
	v_pk_fma_f32 v[38:39], v[70:71], v[0:1], v[34:35] op_sel_hi:[1,0,1]
	v_mov_b32_e32 v31, v37
	v_pk_fma_f32 v[0:1], v[70:71], v[0:1], v[34:35] neg_lo:[0,0,1] neg_hi:[0,0,1]
	v_pk_add_f32 v[28:29], v[28:29], v[32:33]
	s_delay_alu instid0(VALU_DEP_4) | instskip(NEXT) | instid1(VALU_DEP_2)
	v_mov_b32_e32 v1, v39
	v_pk_add_f32 v[28:29], v[28:29], v[30:31]
	s_delay_alu instid0(VALU_DEP_1) | instskip(SKIP_1) | instid1(VALU_DEP_1)
	v_pk_add_f32 v[0:1], v[28:29], v[0:1]
	s_wait_loadcnt 0x0
	v_pk_add_f32 v[0:1], v[68:69], v[0:1] neg_lo:[0,1] neg_hi:[0,1]
	scratch_store_b64 off, v[0:1], off
	s_cbranch_vccz .LBB75_108
; %bb.86:
	global_load_b32 v0, v26, s[8:9] offset:40
	s_wait_loadcnt 0x0
	v_cmp_ne_u32_e32 vcc_lo, 11, v0
	s_cbranch_vccz .LBB75_88
; %bb.87:
	v_lshlrev_b32_e32 v0, 3, v0
	s_delay_alu instid0(VALU_DEP_1)
	v_mov_b32_e32 v28, v0
	scratch_load_b64 v[0:1], v28, off offset:-8
	scratch_load_b64 v[26:27], off, off offset:80
	s_wait_loadcnt 0x1
	scratch_store_b64 off, v[0:1], off offset:80
	s_wait_loadcnt 0x0
	scratch_store_b64 v28, v[26:27], off offset:-8
.LBB75_88:
	s_wait_xcnt 0x1
	v_mov_b32_e32 v0, 0
	global_load_b32 v1, v0, s[8:9] offset:36
	s_wait_loadcnt 0x0
	v_cmp_eq_u32_e32 vcc_lo, 10, v1
	s_cbranch_vccnz .LBB75_90
; %bb.89:
	v_lshlrev_b32_e32 v1, 3, v1
	scratch_load_b64 v[26:27], v1, off offset:-8
	scratch_load_b64 v[28:29], off, off offset:72
	s_wait_loadcnt 0x1
	scratch_store_b64 off, v[26:27], off offset:72
	s_wait_loadcnt 0x0
	scratch_store_b64 v1, v[28:29], off offset:-8
.LBB75_90:
	global_load_b32 v0, v0, s[8:9] offset:32
	s_wait_loadcnt 0x0
	v_cmp_eq_u32_e32 vcc_lo, 9, v0
	s_cbranch_vccnz .LBB75_92
; %bb.91:
	s_wait_xcnt 0x0
	v_lshlrev_b32_e32 v0, 3, v0
	s_delay_alu instid0(VALU_DEP_1)
	v_mov_b32_e32 v28, v0
	scratch_load_b64 v[0:1], v28, off offset:-8
	scratch_load_b64 v[26:27], off, off offset:64
	s_wait_loadcnt 0x1
	scratch_store_b64 off, v[0:1], off offset:64
	s_wait_loadcnt 0x0
	scratch_store_b64 v28, v[26:27], off offset:-8
.LBB75_92:
	s_wait_xcnt 0x0
	v_mov_b32_e32 v0, 0
	global_load_b32 v1, v0, s[8:9] offset:28
	s_wait_loadcnt 0x0
	v_cmp_eq_u32_e32 vcc_lo, 8, v1
	s_cbranch_vccnz .LBB75_94
; %bb.93:
	v_lshlrev_b32_e32 v1, 3, v1
	scratch_load_b64 v[26:27], v1, off offset:-8
	scratch_load_b64 v[28:29], off, off offset:56
	s_wait_loadcnt 0x1
	scratch_store_b64 off, v[26:27], off offset:56
	s_wait_loadcnt 0x0
	scratch_store_b64 v1, v[28:29], off offset:-8
.LBB75_94:
	global_load_b32 v0, v0, s[8:9] offset:24
	s_wait_loadcnt 0x0
	v_cmp_eq_u32_e32 vcc_lo, 7, v0
	s_cbranch_vccnz .LBB75_96
; %bb.95:
	s_wait_xcnt 0x0
	v_lshlrev_b32_e32 v0, 3, v0
	s_delay_alu instid0(VALU_DEP_1)
	v_mov_b32_e32 v28, v0
	scratch_load_b64 v[0:1], v28, off offset:-8
	scratch_load_b64 v[26:27], off, off offset:48
	s_wait_loadcnt 0x1
	scratch_store_b64 off, v[0:1], off offset:48
	s_wait_loadcnt 0x0
	scratch_store_b64 v28, v[26:27], off offset:-8
.LBB75_96:
	s_wait_xcnt 0x0
	v_mov_b32_e32 v0, 0
	global_load_b32 v1, v0, s[8:9] offset:20
	s_wait_loadcnt 0x0
	v_cmp_eq_u32_e32 vcc_lo, 6, v1
	s_cbranch_vccnz .LBB75_98
; %bb.97:
	v_lshlrev_b32_e32 v1, 3, v1
	scratch_load_b64 v[26:27], v1, off offset:-8
	scratch_load_b64 v[28:29], off, off offset:40
	s_wait_loadcnt 0x1
	scratch_store_b64 off, v[26:27], off offset:40
	s_wait_loadcnt 0x0
	scratch_store_b64 v1, v[28:29], off offset:-8
.LBB75_98:
	global_load_b32 v0, v0, s[8:9] offset:16
	s_wait_loadcnt 0x0
	v_cmp_eq_u32_e32 vcc_lo, 5, v0
	s_cbranch_vccnz .LBB75_100
; %bb.99:
	s_wait_xcnt 0x0
	v_lshlrev_b32_e32 v0, 3, v0
	s_delay_alu instid0(VALU_DEP_1)
	v_mov_b32_e32 v28, v0
	scratch_load_b64 v[0:1], v28, off offset:-8
	scratch_load_b64 v[26:27], off, off offset:32
	s_wait_loadcnt 0x1
	scratch_store_b64 off, v[0:1], off offset:32
	s_wait_loadcnt 0x0
	scratch_store_b64 v28, v[26:27], off offset:-8
.LBB75_100:
	s_wait_xcnt 0x0
	v_mov_b32_e32 v0, 0
	global_load_b32 v1, v0, s[8:9] offset:12
	s_wait_loadcnt 0x0
	v_cmp_eq_u32_e32 vcc_lo, 4, v1
	s_cbranch_vccnz .LBB75_102
; %bb.101:
	v_lshlrev_b32_e32 v1, 3, v1
	scratch_load_b64 v[26:27], v1, off offset:-8
	scratch_load_b64 v[28:29], off, off offset:24
	s_wait_loadcnt 0x1
	scratch_store_b64 off, v[26:27], off offset:24
	s_wait_loadcnt 0x0
	scratch_store_b64 v1, v[28:29], off offset:-8
.LBB75_102:
	global_load_b32 v0, v0, s[8:9] offset:8
	s_wait_loadcnt 0x0
	v_cmp_eq_u32_e32 vcc_lo, 3, v0
	s_cbranch_vccnz .LBB75_104
; %bb.103:
	s_wait_xcnt 0x0
	v_lshlrev_b32_e32 v0, 3, v0
	s_delay_alu instid0(VALU_DEP_1)
	v_mov_b32_e32 v28, v0
	scratch_load_b64 v[0:1], v28, off offset:-8
	scratch_load_b64 v[26:27], off, off offset:16
	s_wait_loadcnt 0x1
	scratch_store_b64 off, v[0:1], off offset:16
	s_wait_loadcnt 0x0
	scratch_store_b64 v28, v[26:27], off offset:-8
.LBB75_104:
	s_wait_xcnt 0x0
	v_mov_b32_e32 v0, 0
	global_load_b32 v1, v0, s[8:9] offset:4
	s_wait_loadcnt 0x0
	v_cmp_eq_u32_e32 vcc_lo, 2, v1
	s_cbranch_vccnz .LBB75_106
; %bb.105:
	v_lshlrev_b32_e32 v1, 3, v1
	scratch_load_b64 v[26:27], v1, off offset:-8
	scratch_load_b64 v[28:29], off, off offset:8
	s_wait_loadcnt 0x1
	scratch_store_b64 off, v[26:27], off offset:8
	s_wait_loadcnt 0x0
	scratch_store_b64 v1, v[28:29], off offset:-8
.LBB75_106:
	global_load_b32 v26, v0, s[8:9]
	scratch_load_b64 v[0:1], off, off
	s_wait_loadcnt 0x1
	v_cmp_eq_u32_e32 vcc_lo, 1, v26
	s_cbranch_vccnz .LBB75_108
; %bb.107:
	v_lshlrev_b32_e32 v26, 3, v26
	s_delay_alu instid0(VALU_DEP_1)
	v_mov_b32_e32 v28, v26
	scratch_load_b64 v[26:27], v28, off offset:-8
	s_wait_loadcnt 0x0
	scratch_store_b64 off, v[26:27], off
	scratch_store_b64 v28, v[0:1], off offset:-8
	scratch_load_b64 v[0:1], off, off
.LBB75_108:
	s_wait_loadcnt 0x0
	flat_store_b64 v[2:3], v[0:1]
	scratch_load_b64 v[0:1], off, off offset:8
	v_lshl_add_u64 v[34:35], v[6:7], 3, s[2:3]
	v_lshl_add_u64 v[32:33], v[8:9], 3, s[2:3]
	;; [unrolled: 1-line block ×10, first 2 shown]
	s_wait_loadcnt 0x0
	flat_store_b64 v[4:5], v[0:1]
	scratch_load_b64 v[0:1], off, off offset:16
	s_wait_loadcnt 0x0
	flat_store_b64 v[34:35], v[0:1]
	scratch_load_b64 v[0:1], off, off offset:24
	;; [unrolled: 3-line block ×10, first 2 shown]
	s_wait_loadcnt 0x0
	flat_store_b64 v[6:7], v[0:1]
	s_sendmsg sendmsg(MSG_DEALLOC_VGPRS)
	s_endpgm
	.section	.rodata,"a",@progbits
	.p2align	6, 0x0
	.amdhsa_kernel _ZN9rocsolver6v33100L18getri_kernel_smallILi12E19rocblas_complex_numIfEPKPS3_EEvT1_iilPiilS8_bb
		.amdhsa_group_segment_fixed_size 196
		.amdhsa_private_segment_fixed_size 112
		.amdhsa_kernarg_size 60
		.amdhsa_user_sgpr_count 2
		.amdhsa_user_sgpr_dispatch_ptr 0
		.amdhsa_user_sgpr_queue_ptr 0
		.amdhsa_user_sgpr_kernarg_segment_ptr 1
		.amdhsa_user_sgpr_dispatch_id 0
		.amdhsa_user_sgpr_kernarg_preload_length 0
		.amdhsa_user_sgpr_kernarg_preload_offset 0
		.amdhsa_user_sgpr_private_segment_size 0
		.amdhsa_wavefront_size32 1
		.amdhsa_uses_dynamic_stack 0
		.amdhsa_enable_private_segment 1
		.amdhsa_system_sgpr_workgroup_id_x 1
		.amdhsa_system_sgpr_workgroup_id_y 0
		.amdhsa_system_sgpr_workgroup_id_z 0
		.amdhsa_system_sgpr_workgroup_info 0
		.amdhsa_system_vgpr_workitem_id 0
		.amdhsa_next_free_vgpr 90
		.amdhsa_next_free_sgpr 19
		.amdhsa_named_barrier_count 0
		.amdhsa_reserve_vcc 1
		.amdhsa_float_round_mode_32 0
		.amdhsa_float_round_mode_16_64 0
		.amdhsa_float_denorm_mode_32 3
		.amdhsa_float_denorm_mode_16_64 3
		.amdhsa_fp16_overflow 0
		.amdhsa_memory_ordered 1
		.amdhsa_forward_progress 1
		.amdhsa_inst_pref_size 88
		.amdhsa_round_robin_scheduling 0
		.amdhsa_exception_fp_ieee_invalid_op 0
		.amdhsa_exception_fp_denorm_src 0
		.amdhsa_exception_fp_ieee_div_zero 0
		.amdhsa_exception_fp_ieee_overflow 0
		.amdhsa_exception_fp_ieee_underflow 0
		.amdhsa_exception_fp_ieee_inexact 0
		.amdhsa_exception_int_div_zero 0
	.end_amdhsa_kernel
	.section	.text._ZN9rocsolver6v33100L18getri_kernel_smallILi12E19rocblas_complex_numIfEPKPS3_EEvT1_iilPiilS8_bb,"axG",@progbits,_ZN9rocsolver6v33100L18getri_kernel_smallILi12E19rocblas_complex_numIfEPKPS3_EEvT1_iilPiilS8_bb,comdat
.Lfunc_end75:
	.size	_ZN9rocsolver6v33100L18getri_kernel_smallILi12E19rocblas_complex_numIfEPKPS3_EEvT1_iilPiilS8_bb, .Lfunc_end75-_ZN9rocsolver6v33100L18getri_kernel_smallILi12E19rocblas_complex_numIfEPKPS3_EEvT1_iilPiilS8_bb
                                        ; -- End function
	.set _ZN9rocsolver6v33100L18getri_kernel_smallILi12E19rocblas_complex_numIfEPKPS3_EEvT1_iilPiilS8_bb.num_vgpr, 90
	.set _ZN9rocsolver6v33100L18getri_kernel_smallILi12E19rocblas_complex_numIfEPKPS3_EEvT1_iilPiilS8_bb.num_agpr, 0
	.set _ZN9rocsolver6v33100L18getri_kernel_smallILi12E19rocblas_complex_numIfEPKPS3_EEvT1_iilPiilS8_bb.numbered_sgpr, 19
	.set _ZN9rocsolver6v33100L18getri_kernel_smallILi12E19rocblas_complex_numIfEPKPS3_EEvT1_iilPiilS8_bb.num_named_barrier, 0
	.set _ZN9rocsolver6v33100L18getri_kernel_smallILi12E19rocblas_complex_numIfEPKPS3_EEvT1_iilPiilS8_bb.private_seg_size, 112
	.set _ZN9rocsolver6v33100L18getri_kernel_smallILi12E19rocblas_complex_numIfEPKPS3_EEvT1_iilPiilS8_bb.uses_vcc, 1
	.set _ZN9rocsolver6v33100L18getri_kernel_smallILi12E19rocblas_complex_numIfEPKPS3_EEvT1_iilPiilS8_bb.uses_flat_scratch, 1
	.set _ZN9rocsolver6v33100L18getri_kernel_smallILi12E19rocblas_complex_numIfEPKPS3_EEvT1_iilPiilS8_bb.has_dyn_sized_stack, 0
	.set _ZN9rocsolver6v33100L18getri_kernel_smallILi12E19rocblas_complex_numIfEPKPS3_EEvT1_iilPiilS8_bb.has_recursion, 0
	.set _ZN9rocsolver6v33100L18getri_kernel_smallILi12E19rocblas_complex_numIfEPKPS3_EEvT1_iilPiilS8_bb.has_indirect_call, 0
	.section	.AMDGPU.csdata,"",@progbits
; Kernel info:
; codeLenInByte = 11152
; TotalNumSgprs: 21
; NumVgprs: 90
; ScratchSize: 112
; MemoryBound: 0
; FloatMode: 240
; IeeeMode: 1
; LDSByteSize: 196 bytes/workgroup (compile time only)
; SGPRBlocks: 0
; VGPRBlocks: 5
; NumSGPRsForWavesPerEU: 21
; NumVGPRsForWavesPerEU: 90
; NamedBarCnt: 0
; Occupancy: 10
; WaveLimiterHint : 1
; COMPUTE_PGM_RSRC2:SCRATCH_EN: 1
; COMPUTE_PGM_RSRC2:USER_SGPR: 2
; COMPUTE_PGM_RSRC2:TRAP_HANDLER: 0
; COMPUTE_PGM_RSRC2:TGID_X_EN: 1
; COMPUTE_PGM_RSRC2:TGID_Y_EN: 0
; COMPUTE_PGM_RSRC2:TGID_Z_EN: 0
; COMPUTE_PGM_RSRC2:TIDIG_COMP_CNT: 0
	.section	.text._ZN9rocsolver6v33100L18getri_kernel_smallILi13E19rocblas_complex_numIfEPKPS3_EEvT1_iilPiilS8_bb,"axG",@progbits,_ZN9rocsolver6v33100L18getri_kernel_smallILi13E19rocblas_complex_numIfEPKPS3_EEvT1_iilPiilS8_bb,comdat
	.globl	_ZN9rocsolver6v33100L18getri_kernel_smallILi13E19rocblas_complex_numIfEPKPS3_EEvT1_iilPiilS8_bb ; -- Begin function _ZN9rocsolver6v33100L18getri_kernel_smallILi13E19rocblas_complex_numIfEPKPS3_EEvT1_iilPiilS8_bb
	.p2align	8
	.type	_ZN9rocsolver6v33100L18getri_kernel_smallILi13E19rocblas_complex_numIfEPKPS3_EEvT1_iilPiilS8_bb,@function
_ZN9rocsolver6v33100L18getri_kernel_smallILi13E19rocblas_complex_numIfEPKPS3_EEvT1_iilPiilS8_bb: ; @_ZN9rocsolver6v33100L18getri_kernel_smallILi13E19rocblas_complex_numIfEPKPS3_EEvT1_iilPiilS8_bb
; %bb.0:
	s_mov_b32 s2, exec_lo
	v_cmpx_gt_u32_e32 13, v0
	s_cbranch_execz .LBB76_66
; %bb.1:
	s_clause 0x1
	s_load_b32 s13, s[0:1], 0x38
	s_load_b64 s[2:3], s[0:1], 0x0
	s_getreg_b32 s6, hwreg(HW_REG_IB_STS2, 6, 4)
	s_wait_kmcnt 0x0
	s_bitcmp1_b32 s13, 8
	s_cselect_b32 s12, -1, 0
	s_bfe_u32 s4, ttmp6, 0x4000c
	s_and_b32 s5, ttmp6, 15
	s_add_co_i32 s4, s4, 1
	s_delay_alu instid0(SALU_CYCLE_1) | instskip(NEXT) | instid1(SALU_CYCLE_1)
	s_mul_i32 s4, ttmp9, s4
	s_add_co_i32 s5, s5, s4
	s_cmp_eq_u32 s6, 0
	s_cselect_b32 s10, ttmp9, s5
	s_load_b128 s[4:7], s[0:1], 0x28
	s_ashr_i32 s11, s10, 31
	s_delay_alu instid0(SALU_CYCLE_1) | instskip(NEXT) | instid1(SALU_CYCLE_1)
	s_lshl_b64 s[8:9], s[10:11], 3
	s_add_nc_u64 s[2:3], s[2:3], s[8:9]
	s_bfe_u32 s8, s13, 0x10008
	s_load_b64 s[2:3], s[2:3], 0x0
	s_cmp_eq_u32 s8, 0
                                        ; implicit-def: $sgpr8_sgpr9
	s_cbranch_scc1 .LBB76_3
; %bb.2:
	s_load_b96 s[16:18], s[0:1], 0x18
	s_wait_kmcnt 0x0
	s_mul_u64 s[4:5], s[4:5], s[10:11]
	s_delay_alu instid0(SALU_CYCLE_1) | instskip(SKIP_4) | instid1(SALU_CYCLE_1)
	s_lshl_b64 s[4:5], s[4:5], 2
	s_ashr_i32 s9, s18, 31
	s_mov_b32 s8, s18
	s_add_nc_u64 s[4:5], s[16:17], s[4:5]
	s_lshl_b64 s[8:9], s[8:9], 2
	s_add_nc_u64 s[8:9], s[4:5], s[8:9]
.LBB76_3:
	s_wait_kmcnt 0x0
	s_clause 0x1
	s_load_b64 s[4:5], s[0:1], 0x8
	s_load_b32 s13, s[0:1], 0x38
	v_dual_mov_b32 v29, 0 :: v_dual_lshlrev_b32 v28, 3, v0
	s_wait_kmcnt 0x0
	s_ashr_i32 s1, s4, 31
	s_mov_b32 s0, s4
	s_delay_alu instid0(SALU_CYCLE_1) | instskip(NEXT) | instid1(SALU_CYCLE_1)
	s_lshl_b64 s[0:1], s[0:1], 3
	s_add_nc_u64 s[2:3], s[2:3], s[0:1]
	s_ashr_i32 s1, s5, 31
	flat_load_b64 v[6:7], v0, s[2:3] scale_offset
	v_add_nc_u64_e32 v[2:3], s[2:3], v[28:29]
	s_mov_b32 s0, s5
	s_bitcmp0_b32 s13, 0
	s_delay_alu instid0(VALU_DEP_1)
	v_lshl_add_u64 v[4:5], s[0:1], 3, v[2:3]
	s_mov_b32 s1, -1
	s_wait_loadcnt_dscnt 0x0
	scratch_store_b64 off, v[6:7], off
	flat_load_b64 v[8:9], v[4:5]
	s_wait_xcnt 0x1
	v_add3_u32 v6, s5, s5, v0
	s_wait_loadcnt_dscnt 0x0
	scratch_store_b64 off, v[8:9], off offset:8
	flat_load_b64 v[10:11], v6, s[2:3] scale_offset
	s_wait_xcnt 0x1
	v_add_nc_u32_e32 v8, s5, v6
	s_wait_loadcnt_dscnt 0x0
	scratch_store_b64 off, v[10:11], off offset:16
	flat_load_b64 v[12:13], v8, s[2:3] scale_offset
	s_wait_xcnt 0x1
	v_add_nc_u32_e32 v10, s5, v8
	s_wait_loadcnt_dscnt 0x0
	scratch_store_b64 off, v[12:13], off offset:24
	flat_load_b64 v[14:15], v10, s[2:3] scale_offset
	s_wait_xcnt 0x1
	v_add_nc_u32_e32 v12, s5, v10
	s_wait_loadcnt_dscnt 0x0
	scratch_store_b64 off, v[14:15], off offset:32
	flat_load_b64 v[16:17], v12, s[2:3] scale_offset
	s_wait_xcnt 0x1
	v_add_nc_u32_e32 v14, s5, v12
	s_wait_loadcnt_dscnt 0x0
	scratch_store_b64 off, v[16:17], off offset:40
	flat_load_b64 v[18:19], v14, s[2:3] scale_offset
	s_wait_xcnt 0x1
	v_add_nc_u32_e32 v16, s5, v14
	s_wait_loadcnt_dscnt 0x0
	scratch_store_b64 off, v[18:19], off offset:48
	flat_load_b64 v[20:21], v16, s[2:3] scale_offset
	s_wait_xcnt 0x1
	v_add_nc_u32_e32 v18, s5, v16
	s_wait_loadcnt_dscnt 0x0
	scratch_store_b64 off, v[20:21], off offset:56
	flat_load_b64 v[22:23], v18, s[2:3] scale_offset
	s_wait_xcnt 0x1
	v_add_nc_u32_e32 v20, s5, v18
	s_wait_loadcnt_dscnt 0x0
	scratch_store_b64 off, v[22:23], off offset:64
	flat_load_b64 v[24:25], v20, s[2:3] scale_offset
	s_wait_xcnt 0x1
	v_add_nc_u32_e32 v22, s5, v20
	s_wait_loadcnt_dscnt 0x0
	scratch_store_b64 off, v[24:25], off offset:72
	flat_load_b64 v[26:27], v22, s[2:3] scale_offset
	s_wait_xcnt 0x1
	v_add_nc_u32_e32 v24, s5, v22
	s_wait_loadcnt_dscnt 0x0
	scratch_store_b64 off, v[26:27], off offset:80
	flat_load_b64 v[30:31], v24, s[2:3] scale_offset
	s_wait_xcnt 0x1
	v_add_nc_u32_e32 v26, s5, v24
	s_wait_loadcnt_dscnt 0x0
	scratch_store_b64 off, v[30:31], off offset:88
	flat_load_b64 v[30:31], v26, s[2:3] scale_offset
	s_wait_loadcnt_dscnt 0x0
	scratch_store_b64 off, v[30:31], off offset:96
	s_cbranch_scc1 .LBB76_64
; %bb.4:
	v_cmp_eq_u32_e64 s0, 0, v0
	s_wait_xcnt 0x0
	s_and_saveexec_b32 s1, s0
; %bb.5:
	v_mov_b32_e32 v1, 0
	ds_store_b32 v1, v1 offset:104
; %bb.6:
	s_or_b32 exec_lo, exec_lo, s1
	s_wait_storecnt_dscnt 0x0
	s_barrier_signal -1
	s_barrier_wait -1
	scratch_load_b64 v[30:31], v0, off scale_offset
	s_wait_loadcnt 0x0
	v_cmp_eq_f32_e32 vcc_lo, 0, v30
	v_cmp_eq_f32_e64 s1, 0, v31
	s_and_b32 s1, vcc_lo, s1
	s_delay_alu instid0(SALU_CYCLE_1)
	s_and_saveexec_b32 s4, s1
	s_cbranch_execz .LBB76_10
; %bb.7:
	v_mov_b32_e32 v1, 0
	s_mov_b32 s5, 0
	ds_load_b32 v7, v1 offset:104
	s_wait_dscnt 0x0
	v_readfirstlane_b32 s1, v7
	v_add_nc_u32_e32 v7, 1, v0
	s_cmp_eq_u32 s1, 0
	s_delay_alu instid0(VALU_DEP_1) | instskip(SKIP_1) | instid1(SALU_CYCLE_1)
	v_cmp_gt_i32_e32 vcc_lo, s1, v7
	s_cselect_b32 s13, -1, 0
	s_or_b32 s13, s13, vcc_lo
	s_delay_alu instid0(SALU_CYCLE_1)
	s_and_b32 exec_lo, exec_lo, s13
	s_cbranch_execz .LBB76_10
; %bb.8:
	v_mov_b32_e32 v9, s1
.LBB76_9:                               ; =>This Inner Loop Header: Depth=1
	ds_cmpstore_rtn_b32 v9, v1, v7, v9 offset:104
	s_wait_dscnt 0x0
	v_cmp_ne_u32_e32 vcc_lo, 0, v9
	v_cmp_le_i32_e64 s1, v9, v7
	s_and_b32 s1, vcc_lo, s1
	s_delay_alu instid0(SALU_CYCLE_1) | instskip(NEXT) | instid1(SALU_CYCLE_1)
	s_and_b32 s1, exec_lo, s1
	s_or_b32 s5, s1, s5
	s_delay_alu instid0(SALU_CYCLE_1)
	s_and_not1_b32 exec_lo, exec_lo, s5
	s_cbranch_execnz .LBB76_9
.LBB76_10:
	s_or_b32 exec_lo, exec_lo, s4
	v_mov_b32_e32 v1, 0
	s_barrier_signal -1
	s_barrier_wait -1
	ds_load_b32 v7, v1 offset:104
	s_and_saveexec_b32 s1, s0
	s_cbranch_execz .LBB76_12
; %bb.11:
	s_lshl_b64 s[4:5], s[10:11], 2
	s_delay_alu instid0(SALU_CYCLE_1)
	s_add_nc_u64 s[4:5], s[6:7], s[4:5]
	s_wait_dscnt 0x0
	global_store_b32 v1, v7, s[4:5]
.LBB76_12:
	s_wait_xcnt 0x0
	s_or_b32 exec_lo, exec_lo, s1
	s_wait_dscnt 0x0
	v_cmp_ne_u32_e32 vcc_lo, 0, v7
	s_mov_b32 s1, 0
	s_cbranch_vccnz .LBB76_64
; %bb.13:
	v_lshl_add_u32 v7, v0, 3, 0
                                        ; implicit-def: $vgpr33
                                        ; implicit-def: $vgpr34
	scratch_load_b64 v[30:31], v7, off
	s_wait_loadcnt 0x0
	v_cmp_ngt_f32_e64 s1, |v30|, |v31|
	s_wait_xcnt 0x0
	s_and_saveexec_b32 s4, s1
	s_delay_alu instid0(SALU_CYCLE_1)
	s_xor_b32 s1, exec_lo, s4
	s_cbranch_execz .LBB76_15
; %bb.14:
	v_div_scale_f32 v1, null, v31, v31, v30
	v_div_scale_f32 v13, vcc_lo, v30, v31, v30
	s_delay_alu instid0(VALU_DEP_2) | instskip(SKIP_1) | instid1(TRANS32_DEP_1)
	v_rcp_f32_e32 v9, v1
	v_nop
	v_fma_f32 v11, -v1, v9, 1.0
	s_delay_alu instid0(VALU_DEP_1) | instskip(NEXT) | instid1(VALU_DEP_1)
	v_fmac_f32_e32 v9, v11, v9
	v_mul_f32_e32 v11, v13, v9
	s_delay_alu instid0(VALU_DEP_1) | instskip(NEXT) | instid1(VALU_DEP_1)
	v_fma_f32 v15, -v1, v11, v13
	v_fmac_f32_e32 v11, v15, v9
	s_delay_alu instid0(VALU_DEP_1) | instskip(NEXT) | instid1(VALU_DEP_1)
	v_fma_f32 v1, -v1, v11, v13
	v_div_fmas_f32 v1, v1, v9, v11
	s_delay_alu instid0(VALU_DEP_1) | instskip(NEXT) | instid1(VALU_DEP_1)
	v_div_fixup_f32 v1, v1, v31, v30
	v_fmac_f32_e32 v31, v30, v1
	s_delay_alu instid0(VALU_DEP_1) | instskip(NEXT) | instid1(VALU_DEP_1)
	v_div_scale_f32 v9, null, v31, v31, -1.0
	v_rcp_f32_e32 v11, v9
	v_nop
	s_delay_alu instid0(TRANS32_DEP_1) | instskip(NEXT) | instid1(VALU_DEP_1)
	v_fma_f32 v13, -v9, v11, 1.0
	v_fmac_f32_e32 v11, v13, v11
	v_div_scale_f32 v13, vcc_lo, -1.0, v31, -1.0
	s_delay_alu instid0(VALU_DEP_1) | instskip(NEXT) | instid1(VALU_DEP_1)
	v_mul_f32_e32 v15, v13, v11
	v_fma_f32 v17, -v9, v15, v13
	s_delay_alu instid0(VALU_DEP_1) | instskip(NEXT) | instid1(VALU_DEP_1)
	v_fmac_f32_e32 v15, v17, v11
	v_fma_f32 v9, -v9, v15, v13
	s_delay_alu instid0(VALU_DEP_1) | instskip(NEXT) | instid1(VALU_DEP_1)
	v_div_fmas_f32 v9, v9, v11, v15
	v_div_fixup_f32 v33, v9, v31, -1.0
                                        ; implicit-def: $vgpr30_vgpr31
	s_delay_alu instid0(VALU_DEP_1) | instskip(NEXT) | instid1(VALU_DEP_1)
	v_mul_f32_e32 v34, v1, v33
	v_xor_b32_e32 v32, 0x80000000, v34
.LBB76_15:
	s_and_not1_saveexec_b32 s1, s1
	s_cbranch_execz .LBB76_17
; %bb.16:
	v_div_scale_f32 v1, null, v30, v30, v31
	v_div_scale_f32 v13, vcc_lo, v31, v30, v31
	s_delay_alu instid0(VALU_DEP_2) | instskip(SKIP_1) | instid1(TRANS32_DEP_1)
	v_rcp_f32_e32 v9, v1
	v_nop
	v_fma_f32 v11, -v1, v9, 1.0
	s_delay_alu instid0(VALU_DEP_1) | instskip(NEXT) | instid1(VALU_DEP_1)
	v_fmac_f32_e32 v9, v11, v9
	v_mul_f32_e32 v11, v13, v9
	s_delay_alu instid0(VALU_DEP_1) | instskip(NEXT) | instid1(VALU_DEP_1)
	v_fma_f32 v15, -v1, v11, v13
	v_fmac_f32_e32 v11, v15, v9
	s_delay_alu instid0(VALU_DEP_1) | instskip(NEXT) | instid1(VALU_DEP_1)
	v_fma_f32 v1, -v1, v11, v13
	v_div_fmas_f32 v1, v1, v9, v11
	s_delay_alu instid0(VALU_DEP_1) | instskip(NEXT) | instid1(VALU_DEP_1)
	v_div_fixup_f32 v1, v1, v30, v31
	v_fmac_f32_e32 v30, v31, v1
	s_delay_alu instid0(VALU_DEP_1) | instskip(SKIP_1) | instid1(VALU_DEP_2)
	v_div_scale_f32 v9, null, v30, v30, 1.0
	v_div_scale_f32 v15, vcc_lo, 1.0, v30, 1.0
	v_rcp_f32_e32 v11, v9
	v_nop
	s_delay_alu instid0(TRANS32_DEP_1) | instskip(NEXT) | instid1(VALU_DEP_1)
	v_fma_f32 v13, -v9, v11, 1.0
	v_fmac_f32_e32 v11, v13, v11
	s_delay_alu instid0(VALU_DEP_1) | instskip(NEXT) | instid1(VALU_DEP_1)
	v_mul_f32_e32 v13, v15, v11
	v_fma_f32 v17, -v9, v13, v15
	s_delay_alu instid0(VALU_DEP_1) | instskip(NEXT) | instid1(VALU_DEP_1)
	v_fmac_f32_e32 v13, v17, v11
	v_fma_f32 v9, -v9, v13, v15
	s_delay_alu instid0(VALU_DEP_1) | instskip(NEXT) | instid1(VALU_DEP_1)
	v_div_fmas_f32 v9, v9, v11, v13
	v_div_fixup_f32 v32, v9, v30, 1.0
	s_delay_alu instid0(VALU_DEP_1)
	v_xor_b32_e32 v34, 0x80000000, v32
	v_mul_f32_e64 v33, v1, -v32
.LBB76_17:
	s_or_b32 exec_lo, exec_lo, s1
	scratch_store_b64 v7, v[32:33], off
	scratch_load_b64 v[30:31], off, off offset:8
	v_xor_b32_e32 v35, 0x80000000, v33
	v_add_nc_u32_e32 v1, 0x70, v28
	s_wait_loadcnt 0x0
	ds_store_2addr_b64 v28, v[34:35], v[30:31] offset1:14
	s_wait_storecnt_dscnt 0x0
	s_barrier_signal -1
	s_barrier_wait -1
	s_wait_xcnt 0x0
	s_and_saveexec_b32 s1, s0
	s_cbranch_execz .LBB76_19
; %bb.18:
	scratch_load_b64 v[30:31], v7, off
	ds_load_b64 v[32:33], v1
	s_wait_loadcnt_dscnt 0x0
	v_pk_mul_f32 v[36:37], v[32:33], v[30:31] op_sel:[1,1] op_sel_hi:[0,1]
	s_delay_alu instid0(VALU_DEP_1) | instskip(SKIP_2) | instid1(VALU_DEP_3)
	v_pk_fma_f32 v[38:39], v[32:33], v[30:31], v[36:37] op_sel_hi:[1,0,1]
	v_mov_b32_e32 v9, 0
	v_pk_fma_f32 v[30:31], v[32:33], v[30:31], v[36:37] neg_lo:[0,0,1] neg_hi:[0,0,1]
	v_mov_b32_e32 v31, v39
	ds_load_b64 v[34:35], v9 offset:8
	v_pk_add_f32 v[30:31], v[30:31], 0 op_sel_hi:[1,0]
	s_wait_dscnt 0x0
	s_delay_alu instid0(VALU_DEP_1) | instskip(NEXT) | instid1(VALU_DEP_1)
	v_pk_mul_f32 v[32:33], v[30:31], v[34:35] op_sel:[1,1] op_sel_hi:[0,1]
	v_pk_fma_f32 v[36:37], v[30:31], v[34:35], v[32:33] op_sel_hi:[1,0,1]
	v_pk_fma_f32 v[30:31], v[30:31], v[34:35], v[32:33] neg_lo:[0,0,1] neg_hi:[0,0,1]
	s_delay_alu instid0(VALU_DEP_2)
	v_mov_b32_e32 v31, v37
	scratch_store_b64 off, v[30:31], off offset:8
.LBB76_19:
	s_wait_xcnt 0x0
	s_or_b32 exec_lo, exec_lo, s1
	s_wait_storecnt 0x0
	s_barrier_signal -1
	s_barrier_wait -1
	scratch_load_b64 v[30:31], off, off offset:16
	s_mov_b32 s1, exec_lo
	s_wait_loadcnt 0x0
	ds_store_b64 v1, v[30:31]
	s_wait_dscnt 0x0
	s_barrier_signal -1
	s_barrier_wait -1
	v_cmpx_gt_u32_e32 2, v0
	s_cbranch_execz .LBB76_23
; %bb.20:
	scratch_load_b64 v[30:31], v7, off
	ds_load_b64 v[32:33], v1
	s_wait_loadcnt_dscnt 0x0
	v_pk_mul_f32 v[34:35], v[32:33], v[30:31] op_sel:[1,1] op_sel_hi:[0,1]
	s_delay_alu instid0(VALU_DEP_1) | instskip(SKIP_1) | instid1(VALU_DEP_2)
	v_pk_fma_f32 v[36:37], v[32:33], v[30:31], v[34:35] op_sel_hi:[1,0,1]
	v_pk_fma_f32 v[30:31], v[32:33], v[30:31], v[34:35] neg_lo:[0,0,1] neg_hi:[0,0,1]
	v_mov_b32_e32 v31, v37
	s_delay_alu instid0(VALU_DEP_1)
	v_pk_add_f32 v[30:31], v[30:31], 0 op_sel_hi:[1,0]
	s_and_saveexec_b32 s4, s0
	s_cbranch_execz .LBB76_22
; %bb.21:
	scratch_load_b64 v[32:33], off, off offset:8
	v_mov_b32_e32 v7, 0
	ds_load_b64 v[34:35], v7 offset:120
	s_wait_loadcnt_dscnt 0x0
	v_pk_mul_f32 v[36:37], v[34:35], v[32:33] op_sel:[1,1] op_sel_hi:[0,1]
	s_delay_alu instid0(VALU_DEP_1) | instskip(SKIP_1) | instid1(VALU_DEP_2)
	v_pk_fma_f32 v[38:39], v[34:35], v[32:33], v[36:37] op_sel_hi:[1,0,1]
	v_pk_fma_f32 v[32:33], v[34:35], v[32:33], v[36:37] neg_lo:[0,0,1] neg_hi:[0,0,1]
	v_mov_b32_e32 v33, v39
	s_delay_alu instid0(VALU_DEP_1)
	v_pk_add_f32 v[30:31], v[30:31], v[32:33]
.LBB76_22:
	s_or_b32 exec_lo, exec_lo, s4
	v_mov_b32_e32 v7, 0
	ds_load_b64 v[32:33], v7 offset:16
	s_wait_dscnt 0x0
	v_pk_mul_f32 v[34:35], v[30:31], v[32:33] op_sel:[1,1] op_sel_hi:[0,1]
	s_delay_alu instid0(VALU_DEP_1) | instskip(SKIP_1) | instid1(VALU_DEP_2)
	v_pk_fma_f32 v[36:37], v[30:31], v[32:33], v[34:35] op_sel_hi:[1,0,1]
	v_pk_fma_f32 v[30:31], v[30:31], v[32:33], v[34:35] neg_lo:[0,0,1] neg_hi:[0,0,1]
	v_mov_b32_e32 v31, v37
	scratch_store_b64 off, v[30:31], off offset:16
.LBB76_23:
	s_wait_xcnt 0x0
	s_or_b32 exec_lo, exec_lo, s1
	s_wait_storecnt 0x0
	s_barrier_signal -1
	s_barrier_wait -1
	scratch_load_b64 v[30:31], off, off offset:24
	v_add_nc_u32_e32 v7, -1, v0
	s_mov_b32 s0, exec_lo
	s_wait_loadcnt 0x0
	ds_store_b64 v1, v[30:31]
	s_wait_dscnt 0x0
	s_barrier_signal -1
	s_barrier_wait -1
	v_cmpx_gt_u32_e32 3, v0
	s_cbranch_execz .LBB76_27
; %bb.24:
	v_dual_mov_b32 v30, 0 :: v_dual_add_nc_u32 v9, -1, v0
	v_add_nc_u32_e32 v11, 0x70, v28
	v_mov_b32_e32 v13, v28
	s_mov_b32 s1, 0
	s_delay_alu instid0(VALU_DEP_3)
	v_mov_b32_e32 v31, v30
.LBB76_25:                              ; =>This Inner Loop Header: Depth=1
	scratch_load_b64 v[32:33], v13, off
	ds_load_b64 v[34:35], v11
	s_wait_xcnt 0x0
	v_dual_add_nc_u32 v11, 8, v11 :: v_dual_add_nc_u32 v13, 8, v13
	s_wait_loadcnt_dscnt 0x0
	v_pk_mul_f32 v[36:37], v[34:35], v[32:33] op_sel:[1,1] op_sel_hi:[0,1]
	s_delay_alu instid0(VALU_DEP_1) | instskip(SKIP_2) | instid1(VALU_DEP_3)
	v_pk_fma_f32 v[38:39], v[34:35], v[32:33], v[36:37] op_sel_hi:[1,0,1]
	v_add_nc_u32_e32 v9, 1, v9
	v_pk_fma_f32 v[32:33], v[34:35], v[32:33], v[36:37] neg_lo:[0,0,1] neg_hi:[0,0,1]
	v_mov_b32_e32 v33, v39
	s_delay_alu instid0(VALU_DEP_3) | instskip(NEXT) | instid1(VALU_DEP_2)
	v_cmp_lt_u32_e32 vcc_lo, 1, v9
	v_pk_add_f32 v[30:31], v[30:31], v[32:33]
	s_or_b32 s1, vcc_lo, s1
	s_delay_alu instid0(SALU_CYCLE_1)
	s_and_not1_b32 exec_lo, exec_lo, s1
	s_cbranch_execnz .LBB76_25
; %bb.26:
	s_or_b32 exec_lo, exec_lo, s1
	v_mov_b32_e32 v9, 0
	ds_load_b64 v[32:33], v9 offset:24
	s_wait_dscnt 0x0
	v_pk_mul_f32 v[34:35], v[30:31], v[32:33] op_sel:[1,1] op_sel_hi:[0,1]
	s_delay_alu instid0(VALU_DEP_1) | instskip(SKIP_1) | instid1(VALU_DEP_2)
	v_pk_fma_f32 v[36:37], v[30:31], v[32:33], v[34:35] op_sel_hi:[1,0,1]
	v_pk_fma_f32 v[30:31], v[30:31], v[32:33], v[34:35] neg_lo:[0,0,1] neg_hi:[0,0,1]
	v_mov_b32_e32 v31, v37
	scratch_store_b64 off, v[30:31], off offset:24
.LBB76_27:
	s_wait_xcnt 0x0
	s_or_b32 exec_lo, exec_lo, s0
	s_wait_storecnt 0x0
	s_barrier_signal -1
	s_barrier_wait -1
	scratch_load_b64 v[30:31], off, off offset:32
	s_mov_b32 s0, exec_lo
	s_wait_loadcnt 0x0
	ds_store_b64 v1, v[30:31]
	s_wait_dscnt 0x0
	s_barrier_signal -1
	s_barrier_wait -1
	v_cmpx_gt_u32_e32 4, v0
	s_cbranch_execz .LBB76_31
; %bb.28:
	v_dual_mov_b32 v30, 0 :: v_dual_add_nc_u32 v9, -1, v0
	v_add_nc_u32_e32 v11, 0x70, v28
	v_mov_b32_e32 v13, v28
	s_mov_b32 s1, 0
	s_delay_alu instid0(VALU_DEP_3)
	v_mov_b32_e32 v31, v30
.LBB76_29:                              ; =>This Inner Loop Header: Depth=1
	scratch_load_b64 v[32:33], v13, off
	ds_load_b64 v[34:35], v11
	s_wait_xcnt 0x0
	v_dual_add_nc_u32 v11, 8, v11 :: v_dual_add_nc_u32 v13, 8, v13
	s_wait_loadcnt_dscnt 0x0
	v_pk_mul_f32 v[36:37], v[34:35], v[32:33] op_sel:[1,1] op_sel_hi:[0,1]
	s_delay_alu instid0(VALU_DEP_1) | instskip(SKIP_2) | instid1(VALU_DEP_3)
	v_pk_fma_f32 v[38:39], v[34:35], v[32:33], v[36:37] op_sel_hi:[1,0,1]
	v_add_nc_u32_e32 v9, 1, v9
	v_pk_fma_f32 v[32:33], v[34:35], v[32:33], v[36:37] neg_lo:[0,0,1] neg_hi:[0,0,1]
	v_mov_b32_e32 v33, v39
	s_delay_alu instid0(VALU_DEP_3) | instskip(NEXT) | instid1(VALU_DEP_2)
	v_cmp_lt_u32_e32 vcc_lo, 2, v9
	v_pk_add_f32 v[30:31], v[30:31], v[32:33]
	s_or_b32 s1, vcc_lo, s1
	s_delay_alu instid0(SALU_CYCLE_1)
	s_and_not1_b32 exec_lo, exec_lo, s1
	s_cbranch_execnz .LBB76_29
; %bb.30:
	s_or_b32 exec_lo, exec_lo, s1
	v_mov_b32_e32 v9, 0
	ds_load_b64 v[32:33], v9 offset:32
	s_wait_dscnt 0x0
	v_pk_mul_f32 v[34:35], v[30:31], v[32:33] op_sel:[1,1] op_sel_hi:[0,1]
	s_delay_alu instid0(VALU_DEP_1) | instskip(SKIP_1) | instid1(VALU_DEP_2)
	v_pk_fma_f32 v[36:37], v[30:31], v[32:33], v[34:35] op_sel_hi:[1,0,1]
	v_pk_fma_f32 v[30:31], v[30:31], v[32:33], v[34:35] neg_lo:[0,0,1] neg_hi:[0,0,1]
	v_mov_b32_e32 v31, v37
	scratch_store_b64 off, v[30:31], off offset:32
.LBB76_31:
	s_wait_xcnt 0x0
	s_or_b32 exec_lo, exec_lo, s0
	s_wait_storecnt 0x0
	s_barrier_signal -1
	s_barrier_wait -1
	scratch_load_b64 v[30:31], off, off offset:40
	;; [unrolled: 52-line block ×9, first 2 shown]
	s_mov_b32 s0, exec_lo
	s_wait_loadcnt 0x0
	ds_store_b64 v1, v[30:31]
	s_wait_dscnt 0x0
	s_barrier_signal -1
	s_barrier_wait -1
	v_cmpx_ne_u32_e32 12, v0
	s_cbranch_execz .LBB76_63
; %bb.60:
	v_dual_mov_b32 v30, 0 :: v_dual_mov_b32 v9, v28
	s_mov_b32 s1, 0
	s_delay_alu instid0(VALU_DEP_1)
	v_mov_b32_e32 v31, v30
.LBB76_61:                              ; =>This Inner Loop Header: Depth=1
	scratch_load_b64 v[28:29], v9, off
	ds_load_b64 v[32:33], v1
	v_add_nc_u32_e32 v1, 8, v1
	s_wait_xcnt 0x0
	v_add_nc_u32_e32 v9, 8, v9
	s_wait_loadcnt_dscnt 0x0
	v_pk_mul_f32 v[34:35], v[32:33], v[28:29] op_sel:[1,1] op_sel_hi:[0,1]
	s_delay_alu instid0(VALU_DEP_1) | instskip(SKIP_2) | instid1(VALU_DEP_3)
	v_pk_fma_f32 v[36:37], v[32:33], v[28:29], v[34:35] op_sel_hi:[1,0,1]
	v_add_nc_u32_e32 v7, 1, v7
	v_pk_fma_f32 v[28:29], v[32:33], v[28:29], v[34:35] neg_lo:[0,0,1] neg_hi:[0,0,1]
	v_mov_b32_e32 v29, v37
	s_delay_alu instid0(VALU_DEP_3) | instskip(NEXT) | instid1(VALU_DEP_2)
	v_cmp_lt_u32_e32 vcc_lo, 10, v7
	v_pk_add_f32 v[30:31], v[30:31], v[28:29]
	s_or_b32 s1, vcc_lo, s1
	s_delay_alu instid0(SALU_CYCLE_1)
	s_and_not1_b32 exec_lo, exec_lo, s1
	s_cbranch_execnz .LBB76_61
; %bb.62:
	s_or_b32 exec_lo, exec_lo, s1
	v_mov_b32_e32 v1, 0
	ds_load_b64 v[28:29], v1 offset:96
	s_wait_dscnt 0x0
	v_pk_mul_f32 v[32:33], v[30:31], v[28:29] op_sel:[1,1] op_sel_hi:[0,1]
	s_delay_alu instid0(VALU_DEP_1) | instskip(SKIP_1) | instid1(VALU_DEP_2)
	v_pk_fma_f32 v[34:35], v[30:31], v[28:29], v[32:33] op_sel_hi:[1,0,1]
	v_pk_fma_f32 v[28:29], v[30:31], v[28:29], v[32:33] neg_lo:[0,0,1] neg_hi:[0,0,1]
	v_mov_b32_e32 v29, v35
	scratch_store_b64 off, v[28:29], off offset:96
.LBB76_63:
	s_wait_xcnt 0x0
	s_or_b32 exec_lo, exec_lo, s0
	s_mov_b32 s1, -1
	s_wait_storecnt 0x0
	s_barrier_signal -1
	s_barrier_wait -1
.LBB76_64:
	s_and_b32 vcc_lo, exec_lo, s1
	s_cbranch_vccz .LBB76_66
; %bb.65:
	v_mov_b32_e32 v1, 0
	s_lshl_b64 s[0:1], s[10:11], 2
	s_delay_alu instid0(SALU_CYCLE_1)
	s_add_nc_u64 s[0:1], s[6:7], s[0:1]
	global_load_b32 v1, v1, s[0:1]
	s_wait_loadcnt 0x0
	v_cmp_ne_u32_e32 vcc_lo, 0, v1
	s_cbranch_vccz .LBB76_67
.LBB76_66:
	s_sendmsg sendmsg(MSG_DEALLOC_VGPRS)
	s_endpgm
.LBB76_67:
	s_wait_xcnt 0x0
	v_lshl_add_u32 v1, v0, 3, 0x70
	s_mov_b32 s0, exec_lo
	v_cmpx_eq_u32_e32 12, v0
	s_cbranch_execz .LBB76_69
; %bb.68:
	scratch_load_b64 v[28:29], off, off offset:88
	v_mov_b64_e32 v[30:31], 0
	scratch_store_b64 off, v[30:31], off offset:88
	s_wait_loadcnt 0x0
	ds_store_b64 v1, v[28:29]
.LBB76_69:
	s_wait_xcnt 0x0
	s_or_b32 exec_lo, exec_lo, s0
	s_wait_storecnt_dscnt 0x0
	s_barrier_signal -1
	s_barrier_wait -1
	s_clause 0x1
	scratch_load_b64 v[28:29], off, off offset:96
	scratch_load_b64 v[30:31], off, off offset:88
	v_mov_b32_e32 v7, 0
	s_mov_b32 s0, exec_lo
	ds_load_b64 v[32:33], v7 offset:208
	s_wait_loadcnt_dscnt 0x100
	v_pk_mul_f32 v[34:35], v[32:33], v[28:29] op_sel:[1,1] op_sel_hi:[0,1]
	s_delay_alu instid0(VALU_DEP_1) | instskip(SKIP_1) | instid1(VALU_DEP_2)
	v_pk_fma_f32 v[36:37], v[32:33], v[28:29], v[34:35] op_sel_hi:[1,0,1]
	v_pk_fma_f32 v[28:29], v[32:33], v[28:29], v[34:35] neg_lo:[0,0,1] neg_hi:[0,0,1]
	v_mov_b32_e32 v29, v37
	s_delay_alu instid0(VALU_DEP_1) | instskip(SKIP_1) | instid1(VALU_DEP_1)
	v_pk_add_f32 v[28:29], v[28:29], 0 op_sel_hi:[1,0]
	s_wait_loadcnt 0x0
	v_pk_add_f32 v[28:29], v[30:31], v[28:29] neg_lo:[0,1] neg_hi:[0,1]
	scratch_store_b64 off, v[28:29], off offset:88
	s_wait_xcnt 0x0
	v_cmpx_lt_u32_e32 10, v0
	s_cbranch_execz .LBB76_71
; %bb.70:
	scratch_load_b64 v[28:29], off, off offset:80
	v_mov_b64_e32 v[30:31], 0
	scratch_store_b64 off, v[30:31], off offset:80
	s_wait_loadcnt 0x0
	ds_store_b64 v1, v[28:29]
.LBB76_71:
	s_wait_xcnt 0x0
	s_or_b32 exec_lo, exec_lo, s0
	s_wait_storecnt_dscnt 0x0
	s_barrier_signal -1
	s_barrier_wait -1
	s_clause 0x1
	scratch_load_b128 v[28:31], off, off offset:88
	scratch_load_b64 v[36:37], off, off offset:80
	ds_load_2addr_b64 v[32:35], v7 offset0:25 offset1:26
	s_mov_b32 s0, exec_lo
	s_wait_dscnt 0x0
	v_dual_mov_b32 v38, v35 :: v_dual_mov_b32 v39, v34
	s_wait_loadcnt 0x1
	v_pk_mul_f32 v[40:41], v[32:33], v[28:29] op_sel:[1,1] op_sel_hi:[0,1]
	s_delay_alu instid0(VALU_DEP_1) | instskip(SKIP_2) | instid1(VALU_DEP_3)
	v_pk_fma_f32 v[44:45], v[32:33], v[28:29], v[40:41] op_sel_hi:[1,0,1]
	v_mov_b32_e32 v42, v31
	v_pk_fma_f32 v[28:29], v[32:33], v[28:29], v[40:41] neg_lo:[0,0,1] neg_hi:[0,0,1]
	v_mov_b32_e32 v29, v45
	s_delay_alu instid0(VALU_DEP_3) | instskip(NEXT) | instid1(VALU_DEP_2)
	v_pk_mul_f32 v[38:39], v[38:39], v[42:43] op_sel_hi:[1,0]
	v_pk_add_f32 v[28:29], v[28:29], 0 op_sel_hi:[1,0]
	s_delay_alu instid0(VALU_DEP_2) | instskip(SKIP_1) | instid1(VALU_DEP_2)
	v_pk_fma_f32 v[32:33], v[34:35], v[30:31], v[38:39] op_sel_hi:[1,0,1]
	v_pk_fma_f32 v[30:31], v[34:35], v[30:31], v[38:39] neg_lo:[0,0,1] neg_hi:[0,0,1]
	v_mov_b32_e32 v31, v33
	s_delay_alu instid0(VALU_DEP_1) | instskip(SKIP_1) | instid1(VALU_DEP_1)
	v_pk_add_f32 v[28:29], v[28:29], v[30:31]
	s_wait_loadcnt 0x0
	v_pk_add_f32 v[28:29], v[36:37], v[28:29] neg_lo:[0,1] neg_hi:[0,1]
	scratch_store_b64 off, v[28:29], off offset:80
	s_wait_xcnt 0x0
	v_cmpx_lt_u32_e32 9, v0
	s_cbranch_execz .LBB76_73
; %bb.72:
	scratch_load_b64 v[28:29], off, off offset:72
	v_mov_b64_e32 v[30:31], 0
	scratch_store_b64 off, v[30:31], off offset:72
	s_wait_loadcnt 0x0
	ds_store_b64 v1, v[28:29]
.LBB76_73:
	s_wait_xcnt 0x0
	s_or_b32 exec_lo, exec_lo, s0
	s_wait_storecnt_dscnt 0x0
	s_barrier_signal -1
	s_barrier_wait -1
	s_clause 0x2
	scratch_load_b128 v[28:31], off, off offset:80
	scratch_load_b64 v[36:37], off, off offset:96
	scratch_load_b64 v[38:39], off, off offset:72
	v_mov_b32_e32 v7, 0
	ds_load_b128 v[32:35], v7 offset:192
	ds_load_b64 v[40:41], v7 offset:208
	s_mov_b32 s0, exec_lo
	s_wait_dscnt 0x1
	v_dual_mov_b32 v42, v35 :: v_dual_mov_b32 v43, v34
	s_wait_loadcnt 0x2
	v_mov_b32_e32 v46, v31
	v_pk_mul_f32 v[44:45], v[32:33], v[28:29] op_sel:[1,1] op_sel_hi:[0,1]
	s_delay_alu instid0(VALU_DEP_2) | instskip(NEXT) | instid1(VALU_DEP_2)
	v_pk_mul_f32 v[42:43], v[42:43], v[46:47] op_sel_hi:[1,0]
	v_pk_fma_f32 v[48:49], v[32:33], v[28:29], v[44:45] op_sel_hi:[1,0,1]
	v_pk_fma_f32 v[28:29], v[32:33], v[28:29], v[44:45] neg_lo:[0,0,1] neg_hi:[0,0,1]
	s_wait_loadcnt_dscnt 0x100
	v_pk_mul_f32 v[44:45], v[40:41], v[36:37] op_sel:[1,1] op_sel_hi:[0,1]
	v_pk_fma_f32 v[32:33], v[34:35], v[30:31], v[42:43] op_sel_hi:[1,0,1]
	v_mov_b32_e32 v29, v49
	v_pk_fma_f32 v[30:31], v[34:35], v[30:31], v[42:43] neg_lo:[0,0,1] neg_hi:[0,0,1]
	s_delay_alu instid0(VALU_DEP_4) | instskip(NEXT) | instid1(VALU_DEP_4)
	v_pk_fma_f32 v[34:35], v[40:41], v[36:37], v[44:45] neg_lo:[0,0,1] neg_hi:[0,0,1]
	v_mov_b32_e32 v31, v33
	s_delay_alu instid0(VALU_DEP_4) | instskip(SKIP_1) | instid1(VALU_DEP_2)
	v_pk_add_f32 v[28:29], v[28:29], 0 op_sel_hi:[1,0]
	v_pk_fma_f32 v[32:33], v[40:41], v[36:37], v[44:45] op_sel_hi:[1,0,1]
	v_pk_add_f32 v[28:29], v[28:29], v[30:31]
	s_delay_alu instid0(VALU_DEP_2) | instskip(NEXT) | instid1(VALU_DEP_1)
	v_mov_b32_e32 v35, v33
	v_pk_add_f32 v[28:29], v[28:29], v[34:35]
	s_wait_loadcnt 0x0
	s_delay_alu instid0(VALU_DEP_1)
	v_pk_add_f32 v[28:29], v[38:39], v[28:29] neg_lo:[0,1] neg_hi:[0,1]
	scratch_store_b64 off, v[28:29], off offset:72
	s_wait_xcnt 0x0
	v_cmpx_lt_u32_e32 8, v0
	s_cbranch_execz .LBB76_75
; %bb.74:
	scratch_load_b64 v[28:29], off, off offset:64
	v_mov_b64_e32 v[30:31], 0
	scratch_store_b64 off, v[30:31], off offset:64
	s_wait_loadcnt 0x0
	ds_store_b64 v1, v[28:29]
.LBB76_75:
	s_wait_xcnt 0x0
	s_or_b32 exec_lo, exec_lo, s0
	s_wait_storecnt_dscnt 0x0
	s_barrier_signal -1
	s_barrier_wait -1
	s_clause 0x2
	scratch_load_b128 v[28:31], off, off offset:72
	scratch_load_b128 v[32:35], off, off offset:88
	scratch_load_b64 v[44:45], off, off offset:64
	ds_load_2addr_b64 v[36:39], v7 offset0:23 offset1:24
	ds_load_2addr_b64 v[40:43], v7 offset0:25 offset1:26
	s_mov_b32 s0, exec_lo
	s_wait_dscnt 0x1
	v_dual_mov_b32 v46, v39 :: v_dual_mov_b32 v47, v38
	s_wait_loadcnt_dscnt 0x200
	v_dual_mov_b32 v52, v43 :: v_dual_mov_b32 v50, v31
	v_pk_mul_f32 v[48:49], v[36:37], v[28:29] op_sel:[1,1] op_sel_hi:[0,1]
	s_delay_alu instid0(VALU_DEP_2) | instskip(NEXT) | instid1(VALU_DEP_2)
	v_pk_mul_f32 v[46:47], v[46:47], v[50:51] op_sel_hi:[1,0]
	v_pk_fma_f32 v[54:55], v[36:37], v[28:29], v[48:49] op_sel_hi:[1,0,1]
	v_pk_fma_f32 v[28:29], v[36:37], v[28:29], v[48:49] neg_lo:[0,0,1] neg_hi:[0,0,1]
	v_mov_b32_e32 v53, v42
	s_wait_loadcnt 0x1
	v_pk_mul_f32 v[50:51], v[40:41], v[32:33] op_sel:[1,1] op_sel_hi:[0,1]
	v_pk_fma_f32 v[36:37], v[38:39], v[30:31], v[46:47] op_sel_hi:[1,0,1]
	v_dual_mov_b32 v29, v55 :: v_dual_mov_b32 v36, v35
	v_pk_fma_f32 v[30:31], v[38:39], v[30:31], v[46:47] neg_lo:[0,0,1] neg_hi:[0,0,1]
	s_delay_alu instid0(VALU_DEP_4) | instskip(NEXT) | instid1(VALU_DEP_4)
	v_pk_fma_f32 v[48:49], v[40:41], v[32:33], v[50:51] op_sel_hi:[1,0,1]
	v_mov_b32_e32 v31, v37
	s_delay_alu instid0(VALU_DEP_4) | instskip(SKIP_2) | instid1(VALU_DEP_3)
	v_pk_add_f32 v[28:29], v[28:29], 0 op_sel_hi:[1,0]
	v_pk_mul_f32 v[36:37], v[52:53], v[36:37] op_sel_hi:[1,0]
	v_pk_fma_f32 v[32:33], v[40:41], v[32:33], v[50:51] neg_lo:[0,0,1] neg_hi:[0,0,1]
	v_pk_add_f32 v[28:29], v[28:29], v[30:31]
	s_delay_alu instid0(VALU_DEP_3) | instskip(SKIP_2) | instid1(VALU_DEP_3)
	v_pk_fma_f32 v[30:31], v[42:43], v[34:35], v[36:37] op_sel_hi:[1,0,1]
	v_mov_b32_e32 v33, v49
	v_pk_fma_f32 v[34:35], v[42:43], v[34:35], v[36:37] neg_lo:[0,0,1] neg_hi:[0,0,1]
	v_mov_b32_e32 v35, v31
	s_delay_alu instid0(VALU_DEP_3) | instskip(NEXT) | instid1(VALU_DEP_1)
	v_pk_add_f32 v[28:29], v[28:29], v[32:33]
	v_pk_add_f32 v[28:29], v[28:29], v[34:35]
	s_wait_loadcnt 0x0
	s_delay_alu instid0(VALU_DEP_1)
	v_pk_add_f32 v[28:29], v[44:45], v[28:29] neg_lo:[0,1] neg_hi:[0,1]
	scratch_store_b64 off, v[28:29], off offset:64
	s_wait_xcnt 0x0
	v_cmpx_lt_u32_e32 7, v0
	s_cbranch_execz .LBB76_77
; %bb.76:
	scratch_load_b64 v[28:29], off, off offset:56
	v_mov_b64_e32 v[30:31], 0
	scratch_store_b64 off, v[30:31], off offset:56
	s_wait_loadcnt 0x0
	ds_store_b64 v1, v[28:29]
.LBB76_77:
	s_wait_xcnt 0x0
	s_or_b32 exec_lo, exec_lo, s0
	s_wait_storecnt_dscnt 0x0
	s_barrier_signal -1
	s_barrier_wait -1
	s_clause 0x3
	scratch_load_b128 v[28:31], off, off offset:64
	scratch_load_b128 v[32:35], off, off offset:80
	scratch_load_b64 v[44:45], off, off offset:96
	scratch_load_b64 v[46:47], off, off offset:56
	v_mov_b32_e32 v7, 0
	ds_load_b128 v[36:39], v7 offset:176
	ds_load_b128 v[40:43], v7 offset:192
	s_mov_b32 s0, exec_lo
	s_wait_dscnt 0x1
	v_dual_mov_b32 v48, v39 :: v_dual_mov_b32 v49, v38
	ds_load_b64 v[54:55], v7 offset:208
	s_wait_dscnt 0x1
	v_dual_mov_b32 v56, v43 :: v_dual_mov_b32 v57, v42
	s_wait_loadcnt 0x3
	v_pk_mul_f32 v[50:51], v[36:37], v[28:29] op_sel:[1,1] op_sel_hi:[0,1]
	v_mov_b32_e32 v52, v31
	s_delay_alu instid0(VALU_DEP_2) | instskip(NEXT) | instid1(VALU_DEP_2)
	v_pk_fma_f32 v[58:59], v[36:37], v[28:29], v[50:51] op_sel_hi:[1,0,1]
	v_pk_mul_f32 v[48:49], v[48:49], v[52:53] op_sel_hi:[1,0]
	v_pk_fma_f32 v[28:29], v[36:37], v[28:29], v[50:51] neg_lo:[0,0,1] neg_hi:[0,0,1]
	s_wait_loadcnt 0x2
	v_pk_mul_f32 v[52:53], v[40:41], v[32:33] op_sel:[1,1] op_sel_hi:[0,1]
	v_dual_mov_b32 v58, v35 :: v_dual_mov_b32 v29, v59
	v_pk_fma_f32 v[36:37], v[38:39], v[30:31], v[48:49] op_sel_hi:[1,0,1]
	v_pk_fma_f32 v[30:31], v[38:39], v[30:31], v[48:49] neg_lo:[0,0,1] neg_hi:[0,0,1]
	s_delay_alu instid0(VALU_DEP_4) | instskip(NEXT) | instid1(VALU_DEP_4)
	v_pk_fma_f32 v[50:51], v[40:41], v[32:33], v[52:53] op_sel_hi:[1,0,1]
	v_pk_mul_f32 v[56:57], v[56:57], v[58:59] op_sel_hi:[1,0]
	v_pk_add_f32 v[28:29], v[28:29], 0 op_sel_hi:[1,0]
	v_mov_b32_e32 v31, v37
	v_pk_fma_f32 v[32:33], v[40:41], v[32:33], v[52:53] neg_lo:[0,0,1] neg_hi:[0,0,1]
	v_mov_b32_e32 v33, v51
	v_pk_fma_f32 v[36:37], v[42:43], v[34:35], v[56:57] op_sel_hi:[1,0,1]
	v_pk_fma_f32 v[34:35], v[42:43], v[34:35], v[56:57] neg_lo:[0,0,1] neg_hi:[0,0,1]
	v_pk_add_f32 v[28:29], v[28:29], v[30:31]
	s_wait_loadcnt_dscnt 0x100
	v_pk_mul_f32 v[30:31], v[54:55], v[44:45] op_sel:[1,1] op_sel_hi:[0,1]
	s_delay_alu instid0(VALU_DEP_2) | instskip(NEXT) | instid1(VALU_DEP_2)
	v_pk_add_f32 v[28:29], v[28:29], v[32:33]
	v_pk_fma_f32 v[32:33], v[54:55], v[44:45], v[30:31] op_sel_hi:[1,0,1]
	v_mov_b32_e32 v35, v37
	v_pk_fma_f32 v[30:31], v[54:55], v[44:45], v[30:31] neg_lo:[0,0,1] neg_hi:[0,0,1]
	s_delay_alu instid0(VALU_DEP_3) | instskip(NEXT) | instid1(VALU_DEP_3)
	v_mov_b32_e32 v31, v33
	v_pk_add_f32 v[28:29], v[28:29], v[34:35]
	s_delay_alu instid0(VALU_DEP_1) | instskip(SKIP_1) | instid1(VALU_DEP_1)
	v_pk_add_f32 v[28:29], v[28:29], v[30:31]
	s_wait_loadcnt 0x0
	v_pk_add_f32 v[28:29], v[46:47], v[28:29] neg_lo:[0,1] neg_hi:[0,1]
	scratch_store_b64 off, v[28:29], off offset:56
	s_wait_xcnt 0x0
	v_cmpx_lt_u32_e32 6, v0
	s_cbranch_execz .LBB76_79
; %bb.78:
	scratch_load_b64 v[28:29], off, off offset:48
	v_mov_b64_e32 v[30:31], 0
	scratch_store_b64 off, v[30:31], off offset:48
	s_wait_loadcnt 0x0
	ds_store_b64 v1, v[28:29]
.LBB76_79:
	s_wait_xcnt 0x0
	s_or_b32 exec_lo, exec_lo, s0
	s_wait_storecnt_dscnt 0x0
	s_barrier_signal -1
	s_barrier_wait -1
	s_clause 0x3
	scratch_load_b128 v[28:31], off, off offset:56
	scratch_load_b128 v[32:35], off, off offset:72
	;; [unrolled: 1-line block ×3, first 2 shown]
	scratch_load_b64 v[52:53], off, off offset:48
	ds_load_2addr_b64 v[40:43], v7 offset0:21 offset1:22
	ds_load_2addr_b64 v[44:47], v7 offset0:23 offset1:24
	;; [unrolled: 1-line block ×3, first 2 shown]
	s_mov_b32 s0, exec_lo
	s_wait_dscnt 0x2
	v_dual_mov_b32 v54, v43 :: v_dual_mov_b32 v55, v42
	s_wait_dscnt 0x1
	v_dual_mov_b32 v56, v47 :: v_dual_mov_b32 v57, v46
	;; [unrolled: 2-line block ×3, first 2 shown]
	s_wait_loadcnt 0x3
	v_pk_mul_f32 v[58:59], v[40:41], v[28:29] op_sel:[1,1] op_sel_hi:[0,1]
	v_mov_b32_e32 v60, v31
	s_delay_alu instid0(VALU_DEP_2) | instskip(NEXT) | instid1(VALU_DEP_2)
	v_pk_fma_f32 v[64:65], v[40:41], v[28:29], v[58:59] op_sel_hi:[1,0,1]
	v_pk_mul_f32 v[54:55], v[54:55], v[60:61] op_sel_hi:[1,0]
	v_pk_fma_f32 v[28:29], v[40:41], v[28:29], v[58:59] neg_lo:[0,0,1] neg_hi:[0,0,1]
	s_wait_loadcnt 0x2
	v_pk_mul_f32 v[60:61], v[44:45], v[32:33] op_sel:[1,1] op_sel_hi:[0,1]
	v_mov_b32_e32 v64, v35
	v_pk_fma_f32 v[40:41], v[42:43], v[30:31], v[54:55] op_sel_hi:[1,0,1]
	v_mov_b32_e32 v29, v65
	v_pk_fma_f32 v[30:31], v[42:43], v[30:31], v[54:55] neg_lo:[0,0,1] neg_hi:[0,0,1]
	v_pk_fma_f32 v[58:59], v[44:45], v[32:33], v[60:61] op_sel_hi:[1,0,1]
	v_pk_mul_f32 v[56:57], v[56:57], v[64:65] op_sel_hi:[1,0]
	v_mov_b32_e32 v31, v41
	v_pk_add_f32 v[28:29], v[28:29], 0 op_sel_hi:[1,0]
	v_pk_fma_f32 v[32:33], v[44:45], v[32:33], v[60:61] neg_lo:[0,0,1] neg_hi:[0,0,1]
	s_wait_loadcnt 0x1
	v_pk_mul_f32 v[40:41], v[48:49], v[36:37] op_sel:[1,1] op_sel_hi:[0,1]
	v_mov_b32_e32 v33, v59
	v_pk_fma_f32 v[42:43], v[46:47], v[34:35], v[56:57] op_sel_hi:[1,0,1]
	v_pk_add_f32 v[28:29], v[28:29], v[30:31]
	v_mov_b32_e32 v30, v39
	v_pk_fma_f32 v[34:35], v[46:47], v[34:35], v[56:57] neg_lo:[0,0,1] neg_hi:[0,0,1]
	v_pk_fma_f32 v[44:45], v[48:49], v[36:37], v[40:41] op_sel_hi:[1,0,1]
	v_mov_b32_e32 v35, v43
	v_pk_add_f32 v[28:29], v[28:29], v[32:33]
	v_pk_mul_f32 v[30:31], v[62:63], v[30:31] op_sel_hi:[1,0]
	v_pk_fma_f32 v[32:33], v[48:49], v[36:37], v[40:41] neg_lo:[0,0,1] neg_hi:[0,0,1]
	v_mov_b32_e32 v33, v45
	s_delay_alu instid0(VALU_DEP_4) | instskip(NEXT) | instid1(VALU_DEP_4)
	v_pk_add_f32 v[28:29], v[28:29], v[34:35]
	v_pk_fma_f32 v[34:35], v[50:51], v[38:39], v[30:31] op_sel_hi:[1,0,1]
	v_pk_fma_f32 v[30:31], v[50:51], v[38:39], v[30:31] neg_lo:[0,0,1] neg_hi:[0,0,1]
	s_delay_alu instid0(VALU_DEP_3) | instskip(NEXT) | instid1(VALU_DEP_3)
	v_pk_add_f32 v[28:29], v[28:29], v[32:33]
	v_mov_b32_e32 v31, v35
	s_delay_alu instid0(VALU_DEP_1) | instskip(SKIP_1) | instid1(VALU_DEP_1)
	v_pk_add_f32 v[28:29], v[28:29], v[30:31]
	s_wait_loadcnt 0x0
	v_pk_add_f32 v[28:29], v[52:53], v[28:29] neg_lo:[0,1] neg_hi:[0,1]
	scratch_store_b64 off, v[28:29], off offset:48
	s_wait_xcnt 0x0
	v_cmpx_lt_u32_e32 5, v0
	s_cbranch_execz .LBB76_81
; %bb.80:
	scratch_load_b64 v[28:29], off, off offset:40
	v_mov_b64_e32 v[30:31], 0
	scratch_store_b64 off, v[30:31], off offset:40
	s_wait_loadcnt 0x0
	ds_store_b64 v1, v[28:29]
.LBB76_81:
	s_wait_xcnt 0x0
	s_or_b32 exec_lo, exec_lo, s0
	s_wait_storecnt_dscnt 0x0
	s_barrier_signal -1
	s_barrier_wait -1
	s_clause 0x4
	scratch_load_b128 v[28:31], off, off offset:48
	scratch_load_b128 v[32:35], off, off offset:64
	;; [unrolled: 1-line block ×3, first 2 shown]
	scratch_load_b64 v[52:53], off, off offset:96
	scratch_load_b64 v[54:55], off, off offset:40
	v_mov_b32_e32 v7, 0
	ds_load_b128 v[40:43], v7 offset:160
	ds_load_b128 v[44:47], v7 offset:176
	;; [unrolled: 1-line block ×3, first 2 shown]
	ds_load_b64 v[56:57], v7 offset:208
	s_mov_b32 s0, exec_lo
	s_wait_dscnt 0x3
	v_dual_mov_b32 v58, v43 :: v_dual_mov_b32 v59, v42
	s_wait_dscnt 0x2
	v_dual_mov_b32 v60, v47 :: v_dual_mov_b32 v61, v46
	;; [unrolled: 2-line block ×3, first 2 shown]
	s_wait_loadcnt 0x4
	v_pk_mul_f32 v[62:63], v[40:41], v[28:29] op_sel:[1,1] op_sel_hi:[0,1]
	v_mov_b32_e32 v64, v31
	s_wait_loadcnt 0x3
	v_pk_mul_f32 v[68:69], v[44:45], v[32:33] op_sel:[1,1] op_sel_hi:[0,1]
	s_wait_loadcnt 0x2
	v_pk_mul_f32 v[72:73], v[48:49], v[36:37] op_sel:[1,1] op_sel_hi:[0,1]
	v_pk_fma_f32 v[70:71], v[40:41], v[28:29], v[62:63] op_sel_hi:[1,0,1]
	v_pk_mul_f32 v[58:59], v[58:59], v[64:65] op_sel_hi:[1,0]
	v_pk_fma_f32 v[28:29], v[40:41], v[28:29], v[62:63] neg_lo:[0,0,1] neg_hi:[0,0,1]
	v_mov_b32_e32 v64, v35
	v_pk_fma_f32 v[62:63], v[44:45], v[32:33], v[68:69] op_sel_hi:[1,0,1]
	v_mov_b32_e32 v29, v71
	v_pk_fma_f32 v[40:41], v[42:43], v[30:31], v[58:59] op_sel_hi:[1,0,1]
	v_pk_fma_f32 v[30:31], v[42:43], v[30:31], v[58:59] neg_lo:[0,0,1] neg_hi:[0,0,1]
	v_pk_mul_f32 v[60:61], v[60:61], v[64:65] op_sel_hi:[1,0]
	v_pk_fma_f32 v[32:33], v[44:45], v[32:33], v[68:69] neg_lo:[0,0,1] neg_hi:[0,0,1]
	v_pk_add_f32 v[28:29], v[28:29], 0 op_sel_hi:[1,0]
	v_dual_mov_b32 v31, v41 :: v_dual_mov_b32 v40, v39
	s_delay_alu instid0(VALU_DEP_4) | instskip(SKIP_2) | instid1(VALU_DEP_4)
	v_pk_fma_f32 v[42:43], v[46:47], v[34:35], v[60:61] op_sel_hi:[1,0,1]
	v_mov_b32_e32 v33, v63
	v_pk_fma_f32 v[34:35], v[46:47], v[34:35], v[60:61] neg_lo:[0,0,1] neg_hi:[0,0,1]
	v_pk_add_f32 v[28:29], v[28:29], v[30:31]
	v_pk_fma_f32 v[30:31], v[48:49], v[36:37], v[72:73] op_sel_hi:[1,0,1]
	v_pk_mul_f32 v[40:41], v[66:67], v[40:41] op_sel_hi:[1,0]
	v_mov_b32_e32 v35, v43
	s_delay_alu instid0(VALU_DEP_4)
	v_pk_add_f32 v[28:29], v[28:29], v[32:33]
	v_pk_fma_f32 v[32:33], v[48:49], v[36:37], v[72:73] neg_lo:[0,0,1] neg_hi:[0,0,1]
	v_mov_b32_e32 v33, v31
	v_pk_fma_f32 v[30:31], v[50:51], v[38:39], v[40:41] op_sel_hi:[1,0,1]
	v_pk_fma_f32 v[36:37], v[50:51], v[38:39], v[40:41] neg_lo:[0,0,1] neg_hi:[0,0,1]
	v_pk_add_f32 v[28:29], v[28:29], v[34:35]
	s_wait_loadcnt_dscnt 0x100
	v_pk_mul_f32 v[34:35], v[56:57], v[52:53] op_sel:[1,1] op_sel_hi:[0,1]
	v_mov_b32_e32 v37, v31
	s_delay_alu instid0(VALU_DEP_3) | instskip(NEXT) | instid1(VALU_DEP_3)
	v_pk_add_f32 v[28:29], v[28:29], v[32:33]
	v_pk_fma_f32 v[30:31], v[56:57], v[52:53], v[34:35] op_sel_hi:[1,0,1]
	v_pk_fma_f32 v[32:33], v[56:57], v[52:53], v[34:35] neg_lo:[0,0,1] neg_hi:[0,0,1]
	s_delay_alu instid0(VALU_DEP_3) | instskip(NEXT) | instid1(VALU_DEP_3)
	v_pk_add_f32 v[28:29], v[28:29], v[36:37]
	v_mov_b32_e32 v33, v31
	s_delay_alu instid0(VALU_DEP_1) | instskip(SKIP_1) | instid1(VALU_DEP_1)
	v_pk_add_f32 v[28:29], v[28:29], v[32:33]
	s_wait_loadcnt 0x0
	v_pk_add_f32 v[28:29], v[54:55], v[28:29] neg_lo:[0,1] neg_hi:[0,1]
	scratch_store_b64 off, v[28:29], off offset:40
	s_wait_xcnt 0x0
	v_cmpx_lt_u32_e32 4, v0
	s_cbranch_execz .LBB76_83
; %bb.82:
	scratch_load_b64 v[28:29], off, off offset:32
	v_mov_b64_e32 v[30:31], 0
	scratch_store_b64 off, v[30:31], off offset:32
	s_wait_loadcnt 0x0
	ds_store_b64 v1, v[28:29]
.LBB76_83:
	s_wait_xcnt 0x0
	s_or_b32 exec_lo, exec_lo, s0
	s_wait_storecnt_dscnt 0x0
	s_barrier_signal -1
	s_barrier_wait -1
	s_clause 0x4
	scratch_load_b128 v[28:31], off, off offset:40
	scratch_load_b128 v[32:35], off, off offset:56
	;; [unrolled: 1-line block ×4, first 2 shown]
	scratch_load_b64 v[60:61], off, off offset:32
	ds_load_2addr_b64 v[44:47], v7 offset0:19 offset1:20
	ds_load_2addr_b64 v[48:51], v7 offset0:21 offset1:22
	;; [unrolled: 1-line block ×4, first 2 shown]
	s_mov_b32 s0, exec_lo
	s_wait_dscnt 0x3
	v_dual_mov_b32 v62, v47 :: v_dual_mov_b32 v63, v46
	s_wait_dscnt 0x2
	v_dual_mov_b32 v64, v51 :: v_dual_mov_b32 v65, v50
	;; [unrolled: 2-line block ×3, first 2 shown]
	v_dual_mov_b32 v67, v54 :: v_dual_mov_b32 v72, v59
	s_wait_loadcnt 0x4
	v_mov_b32_e32 v70, v31
	v_pk_mul_f32 v[68:69], v[44:45], v[28:29] op_sel:[1,1] op_sel_hi:[0,1]
	s_wait_loadcnt 0x3
	v_pk_mul_f32 v[74:75], v[48:49], v[32:33] op_sel:[1,1] op_sel_hi:[0,1]
	s_wait_loadcnt 0x2
	v_pk_mul_f32 v[78:79], v[52:53], v[36:37] op_sel:[1,1] op_sel_hi:[0,1]
	v_pk_mul_f32 v[62:63], v[62:63], v[70:71] op_sel_hi:[1,0]
	v_pk_fma_f32 v[76:77], v[44:45], v[28:29], v[68:69] op_sel_hi:[1,0,1]
	v_pk_fma_f32 v[28:29], v[44:45], v[28:29], v[68:69] neg_lo:[0,0,1] neg_hi:[0,0,1]
	v_mov_b32_e32 v70, v35
	v_pk_fma_f32 v[68:69], v[48:49], v[32:33], v[74:75] op_sel_hi:[1,0,1]
	v_pk_fma_f32 v[44:45], v[46:47], v[30:31], v[62:63] op_sel_hi:[1,0,1]
	v_mov_b32_e32 v29, v77
	v_pk_fma_f32 v[30:31], v[46:47], v[30:31], v[62:63] neg_lo:[0,0,1] neg_hi:[0,0,1]
	v_pk_mul_f32 v[64:65], v[64:65], v[70:71] op_sel_hi:[1,0]
	s_delay_alu instid0(VALU_DEP_4) | instskip(NEXT) | instid1(VALU_DEP_4)
	v_dual_mov_b32 v44, v39 :: v_dual_mov_b32 v31, v45
	v_pk_add_f32 v[28:29], v[28:29], 0 op_sel_hi:[1,0]
	v_pk_fma_f32 v[32:33], v[48:49], v[32:33], v[74:75] neg_lo:[0,0,1] neg_hi:[0,0,1]
	v_mov_b32_e32 v33, v69
	v_pk_fma_f32 v[46:47], v[50:51], v[34:35], v[64:65] op_sel_hi:[1,0,1]
	v_pk_mul_f32 v[44:45], v[66:67], v[44:45] op_sel_hi:[1,0]
	v_pk_add_f32 v[28:29], v[28:29], v[30:31]
	v_pk_fma_f32 v[30:31], v[52:53], v[36:37], v[78:79] op_sel_hi:[1,0,1]
	v_pk_fma_f32 v[34:35], v[50:51], v[34:35], v[64:65] neg_lo:[0,0,1] neg_hi:[0,0,1]
	v_mov_b32_e32 v35, v47
	v_pk_fma_f32 v[36:37], v[52:53], v[36:37], v[78:79] neg_lo:[0,0,1] neg_hi:[0,0,1]
	v_pk_add_f32 v[28:29], v[28:29], v[32:33]
	v_mov_b32_e32 v37, v31
	v_pk_fma_f32 v[30:31], v[54:55], v[38:39], v[44:45] op_sel_hi:[1,0,1]
	s_wait_loadcnt 0x1
	v_pk_mul_f32 v[32:33], v[56:57], v[40:41] op_sel:[1,1] op_sel_hi:[0,1]
	v_mov_b32_e32 v30, v43
	v_pk_add_f32 v[28:29], v[28:29], v[34:35]
	v_pk_fma_f32 v[38:39], v[54:55], v[38:39], v[44:45] neg_lo:[0,0,1] neg_hi:[0,0,1]
	v_mov_b32_e32 v39, v31
	v_pk_fma_f32 v[34:35], v[56:57], v[40:41], v[32:33] op_sel_hi:[1,0,1]
	v_pk_mul_f32 v[30:31], v[72:73], v[30:31] op_sel_hi:[1,0]
	v_pk_add_f32 v[28:29], v[28:29], v[36:37]
	v_pk_fma_f32 v[32:33], v[56:57], v[40:41], v[32:33] neg_lo:[0,0,1] neg_hi:[0,0,1]
	s_delay_alu instid0(VALU_DEP_4) | instskip(NEXT) | instid1(VALU_DEP_4)
	v_mov_b32_e32 v33, v35
	v_pk_fma_f32 v[34:35], v[58:59], v[42:43], v[30:31] op_sel_hi:[1,0,1]
	s_delay_alu instid0(VALU_DEP_4) | instskip(SKIP_1) | instid1(VALU_DEP_3)
	v_pk_add_f32 v[28:29], v[28:29], v[38:39]
	v_pk_fma_f32 v[30:31], v[58:59], v[42:43], v[30:31] neg_lo:[0,0,1] neg_hi:[0,0,1]
	v_mov_b32_e32 v31, v35
	s_delay_alu instid0(VALU_DEP_3) | instskip(NEXT) | instid1(VALU_DEP_1)
	v_pk_add_f32 v[28:29], v[28:29], v[32:33]
	v_pk_add_f32 v[28:29], v[28:29], v[30:31]
	s_wait_loadcnt 0x0
	s_delay_alu instid0(VALU_DEP_1)
	v_pk_add_f32 v[28:29], v[60:61], v[28:29] neg_lo:[0,1] neg_hi:[0,1]
	scratch_store_b64 off, v[28:29], off offset:32
	s_wait_xcnt 0x0
	v_cmpx_lt_u32_e32 3, v0
	s_cbranch_execz .LBB76_85
; %bb.84:
	scratch_load_b64 v[28:29], off, off offset:24
	v_mov_b64_e32 v[30:31], 0
	scratch_store_b64 off, v[30:31], off offset:24
	s_wait_loadcnt 0x0
	ds_store_b64 v1, v[28:29]
.LBB76_85:
	s_wait_xcnt 0x0
	s_or_b32 exec_lo, exec_lo, s0
	s_wait_storecnt_dscnt 0x0
	s_barrier_signal -1
	s_barrier_wait -1
	s_clause 0x5
	scratch_load_b128 v[28:31], off, off offset:32
	scratch_load_b128 v[32:35], off, off offset:48
	scratch_load_b128 v[36:39], off, off offset:64
	scratch_load_b128 v[40:43], off, off offset:80
	scratch_load_b64 v[60:61], off, off offset:96
	scratch_load_b64 v[62:63], off, off offset:24
	v_mov_b32_e32 v7, 0
	ds_load_b128 v[44:47], v7 offset:144
	ds_load_b128 v[48:51], v7 offset:160
	;; [unrolled: 1-line block ×4, first 2 shown]
	ds_load_b64 v[64:65], v7 offset:208
	s_mov_b32 s0, exec_lo
	s_wait_dscnt 0x4
	v_dual_mov_b32 v66, v47 :: v_dual_mov_b32 v67, v46
	s_wait_dscnt 0x1
	v_dual_mov_b32 v68, v51 :: v_dual_mov_b32 v73, v58
	v_dual_mov_b32 v69, v50 :: v_dual_mov_b32 v70, v55
	;; [unrolled: 1-line block ×3, first 2 shown]
	s_wait_loadcnt 0x5
	v_dual_mov_b32 v74, v31 :: v_dual_mul_f32 v75, v44, v29
	v_mul_f32_e32 v9, v45, v29
	s_wait_loadcnt 0x4
	v_pk_mul_f32 v[76:77], v[48:49], v[32:33] op_sel:[1,1] op_sel_hi:[0,1]
	v_mov_b32_e32 v78, v35
	s_wait_loadcnt 0x3
	v_pk_mul_f32 v[80:81], v[52:53], v[36:37] op_sel:[1,1] op_sel_hi:[0,1]
	v_pk_mul_f32 v[66:67], v[66:67], v[74:75] op_sel_hi:[1,0]
	v_dual_fmac_f32 v75, v45, v28 :: v_dual_fma_f32 v74, v44, v28, -v9
	v_mov_b32_e32 v28, v39
	v_pk_fma_f32 v[82:83], v[48:49], v[32:33], v[76:77] op_sel_hi:[1,0,1]
	s_delay_alu instid0(VALU_DEP_4)
	v_pk_fma_f32 v[44:45], v[46:47], v[30:31], v[66:67] op_sel_hi:[1,0,1]
	v_pk_fma_f32 v[30:31], v[46:47], v[30:31], v[66:67] neg_lo:[0,0,1] neg_hi:[0,0,1]
	v_pk_mul_f32 v[68:69], v[68:69], v[78:79] op_sel_hi:[1,0]
	v_pk_add_f32 v[74:75], v[74:75], 0 op_sel_hi:[1,0]
	v_pk_fma_f32 v[32:33], v[48:49], v[32:33], v[76:77] neg_lo:[0,0,1] neg_hi:[0,0,1]
	v_dual_mov_b32 v31, v45 :: v_dual_mov_b32 v33, v83
	s_delay_alu instid0(VALU_DEP_4) | instskip(SKIP_2) | instid1(VALU_DEP_4)
	v_pk_fma_f32 v[46:47], v[50:51], v[34:35], v[68:69] op_sel_hi:[1,0,1]
	v_pk_fma_f32 v[34:35], v[50:51], v[34:35], v[68:69] neg_lo:[0,0,1] neg_hi:[0,0,1]
	v_pk_fma_f32 v[48:49], v[52:53], v[36:37], v[80:81] op_sel_hi:[1,0,1]
	v_pk_add_f32 v[30:31], v[74:75], v[30:31]
	v_pk_mul_f32 v[28:29], v[70:71], v[28:29] op_sel_hi:[1,0]
	v_mov_b32_e32 v35, v47
	v_pk_fma_f32 v[36:37], v[52:53], v[36:37], v[80:81] neg_lo:[0,0,1] neg_hi:[0,0,1]
	s_wait_loadcnt 0x2
	v_pk_mul_f32 v[44:45], v[56:57], v[40:41] op_sel:[1,1] op_sel_hi:[0,1]
	v_pk_add_f32 v[30:31], v[30:31], v[32:33]
	v_mov_b32_e32 v32, v43
	v_pk_fma_f32 v[46:47], v[54:55], v[38:39], v[28:29] op_sel_hi:[1,0,1]
	v_mov_b32_e32 v37, v49
	v_pk_fma_f32 v[28:29], v[54:55], v[38:39], v[28:29] neg_lo:[0,0,1] neg_hi:[0,0,1]
	v_pk_add_f32 v[30:31], v[30:31], v[34:35]
	v_pk_fma_f32 v[34:35], v[56:57], v[40:41], v[44:45] op_sel_hi:[1,0,1]
	v_pk_mul_f32 v[32:33], v[72:73], v[32:33] op_sel_hi:[1,0]
	v_mov_b32_e32 v29, v47
	s_delay_alu instid0(VALU_DEP_4)
	v_pk_add_f32 v[30:31], v[30:31], v[36:37]
	v_pk_fma_f32 v[36:37], v[56:57], v[40:41], v[44:45] neg_lo:[0,0,1] neg_hi:[0,0,1]
	v_mov_b32_e32 v37, v35
	v_pk_fma_f32 v[34:35], v[58:59], v[42:43], v[32:33] op_sel_hi:[1,0,1]
	v_pk_fma_f32 v[32:33], v[58:59], v[42:43], v[32:33] neg_lo:[0,0,1] neg_hi:[0,0,1]
	v_pk_add_f32 v[28:29], v[30:31], v[28:29]
	s_wait_loadcnt_dscnt 0x100
	v_pk_mul_f32 v[30:31], v[64:65], v[60:61] op_sel:[1,1] op_sel_hi:[0,1]
	v_mov_b32_e32 v33, v35
	s_delay_alu instid0(VALU_DEP_3) | instskip(NEXT) | instid1(VALU_DEP_3)
	v_pk_add_f32 v[28:29], v[28:29], v[36:37]
	v_pk_fma_f32 v[34:35], v[64:65], v[60:61], v[30:31] op_sel_hi:[1,0,1]
	v_pk_fma_f32 v[30:31], v[64:65], v[60:61], v[30:31] neg_lo:[0,0,1] neg_hi:[0,0,1]
	s_delay_alu instid0(VALU_DEP_3) | instskip(NEXT) | instid1(VALU_DEP_3)
	v_pk_add_f32 v[28:29], v[28:29], v[32:33]
	v_mov_b32_e32 v31, v35
	s_delay_alu instid0(VALU_DEP_1) | instskip(SKIP_1) | instid1(VALU_DEP_1)
	v_pk_add_f32 v[28:29], v[28:29], v[30:31]
	s_wait_loadcnt 0x0
	v_pk_add_f32 v[28:29], v[62:63], v[28:29] neg_lo:[0,1] neg_hi:[0,1]
	scratch_store_b64 off, v[28:29], off offset:24
	s_wait_xcnt 0x0
	v_cmpx_lt_u32_e32 2, v0
	s_cbranch_execz .LBB76_87
; %bb.86:
	scratch_load_b64 v[28:29], off, off offset:16
	v_mov_b64_e32 v[30:31], 0
	scratch_store_b64 off, v[30:31], off offset:16
	s_wait_loadcnt 0x0
	ds_store_b64 v1, v[28:29]
.LBB76_87:
	s_wait_xcnt 0x0
	s_or_b32 exec_lo, exec_lo, s0
	s_wait_storecnt_dscnt 0x0
	s_barrier_signal -1
	s_barrier_wait -1
	s_clause 0x5
	scratch_load_b128 v[28:31], off, off offset:24
	scratch_load_b128 v[32:35], off, off offset:40
	;; [unrolled: 1-line block ×5, first 2 shown]
	scratch_load_b64 v[68:69], off, off offset:16
	ds_load_2addr_b64 v[48:51], v7 offset0:19 offset1:20
	ds_load_2addr_b64 v[52:55], v7 offset0:21 offset1:22
	;; [unrolled: 1-line block ×5, first 2 shown]
	s_mov_b32 s0, exec_lo
	s_wait_dscnt 0x4
	v_dual_mov_b32 v70, v51 :: v_dual_mov_b32 v71, v50
	s_wait_dscnt 0x3
	v_dual_mov_b32 v72, v55 :: v_dual_mov_b32 v73, v54
	;; [unrolled: 2-line block ×4, first 2 shown]
	s_wait_loadcnt_dscnt 0x500
	v_dual_mul_f32 v79, v64, v29 :: v_dual_mul_f32 v81, v66, v31
	v_dual_mul_f32 v7, v65, v29 :: v_dual_mul_f32 v9, v67, v31
	s_wait_loadcnt 0x4
	v_pk_mul_f32 v[82:83], v[48:49], v[32:33] op_sel:[1,1] op_sel_hi:[0,1]
	s_wait_loadcnt 0x3
	v_dual_mov_b32 v84, v35 :: v_dual_mov_b32 v88, v39
	v_dual_fmac_f32 v79, v65, v28 :: v_dual_fmac_f32 v81, v67, v30
	v_dual_fma_f32 v78, v64, v28, -v7 :: v_dual_fma_f32 v80, v66, v30, -v9
	v_pk_fma_f32 v[28:29], v[48:49], v[32:33], v[82:83] op_sel_hi:[1,0,1]
	s_delay_alu instid0(VALU_DEP_4) | instskip(SKIP_1) | instid1(VALU_DEP_4)
	v_pk_mul_f32 v[30:31], v[70:71], v[84:85] op_sel_hi:[1,0]
	v_pk_fma_f32 v[32:33], v[48:49], v[32:33], v[82:83] neg_lo:[0,0,1] neg_hi:[0,0,1]
	v_pk_add_f32 v[64:65], v[78:79], 0 op_sel_hi:[1,0]
	v_pk_mul_f32 v[86:87], v[52:53], v[36:37] op_sel:[1,1] op_sel_hi:[0,1]
	v_mov_b32_e32 v33, v29
	v_pk_fma_f32 v[28:29], v[50:51], v[34:35], v[30:31] op_sel_hi:[1,0,1]
	v_pk_fma_f32 v[30:31], v[50:51], v[34:35], v[30:31] neg_lo:[0,0,1] neg_hi:[0,0,1]
	v_pk_add_f32 v[48:49], v[64:65], v[80:81]
	v_pk_fma_f32 v[64:65], v[52:53], v[36:37], v[86:87] op_sel_hi:[1,0,1]
	v_pk_mul_f32 v[70:71], v[72:73], v[88:89] op_sel_hi:[1,0]
	v_mov_b32_e32 v31, v29
	s_wait_loadcnt 0x2
	v_pk_mul_f32 v[66:67], v[56:57], v[40:41] op_sel:[1,1] op_sel_hi:[0,1]
	v_pk_add_f32 v[28:29], v[48:49], v[32:33]
	v_mov_b32_e32 v32, v43
	v_pk_fma_f32 v[34:35], v[52:53], v[36:37], v[86:87] neg_lo:[0,0,1] neg_hi:[0,0,1]
	v_mov_b32_e32 v35, v65
	v_pk_fma_f32 v[36:37], v[54:55], v[38:39], v[70:71] op_sel_hi:[1,0,1]
	v_pk_add_f32 v[28:29], v[28:29], v[30:31]
	v_pk_fma_f32 v[30:31], v[56:57], v[40:41], v[66:67] op_sel_hi:[1,0,1]
	v_pk_mul_f32 v[32:33], v[74:75], v[32:33] op_sel_hi:[1,0]
	v_pk_fma_f32 v[38:39], v[54:55], v[38:39], v[70:71] neg_lo:[0,0,1] neg_hi:[0,0,1]
	v_mov_b32_e32 v39, v37
	v_pk_add_f32 v[28:29], v[28:29], v[34:35]
	v_pk_fma_f32 v[36:37], v[56:57], v[40:41], v[66:67] neg_lo:[0,0,1] neg_hi:[0,0,1]
	v_mov_b32_e32 v37, v31
	v_pk_fma_f32 v[30:31], v[58:59], v[42:43], v[32:33] op_sel_hi:[1,0,1]
	s_wait_loadcnt 0x1
	v_pk_mul_f32 v[34:35], v[60:61], v[44:45] op_sel:[1,1] op_sel_hi:[0,1]
	v_pk_add_f32 v[28:29], v[28:29], v[38:39]
	v_mov_b32_e32 v30, v47
	v_pk_fma_f32 v[32:33], v[58:59], v[42:43], v[32:33] neg_lo:[0,0,1] neg_hi:[0,0,1]
	v_mov_b32_e32 v33, v31
	v_pk_fma_f32 v[38:39], v[60:61], v[44:45], v[34:35] op_sel_hi:[1,0,1]
	v_pk_add_f32 v[28:29], v[28:29], v[36:37]
	v_pk_mul_f32 v[30:31], v[76:77], v[30:31] op_sel_hi:[1,0]
	v_pk_fma_f32 v[34:35], v[60:61], v[44:45], v[34:35] neg_lo:[0,0,1] neg_hi:[0,0,1]
	s_delay_alu instid0(VALU_DEP_3) | instskip(NEXT) | instid1(VALU_DEP_3)
	v_pk_add_f32 v[28:29], v[28:29], v[32:33]
	v_pk_fma_f32 v[32:33], v[62:63], v[46:47], v[30:31] op_sel_hi:[1,0,1]
	v_mov_b32_e32 v35, v39
	v_pk_fma_f32 v[30:31], v[62:63], v[46:47], v[30:31] neg_lo:[0,0,1] neg_hi:[0,0,1]
	s_delay_alu instid0(VALU_DEP_3) | instskip(NEXT) | instid1(VALU_DEP_3)
	v_mov_b32_e32 v31, v33
	v_pk_add_f32 v[28:29], v[28:29], v[34:35]
	s_delay_alu instid0(VALU_DEP_1) | instskip(SKIP_1) | instid1(VALU_DEP_1)
	v_pk_add_f32 v[28:29], v[28:29], v[30:31]
	s_wait_loadcnt 0x0
	v_pk_add_f32 v[28:29], v[68:69], v[28:29] neg_lo:[0,1] neg_hi:[0,1]
	scratch_store_b64 off, v[28:29], off offset:16
	s_wait_xcnt 0x0
	v_cmpx_lt_u32_e32 1, v0
	s_cbranch_execz .LBB76_89
; %bb.88:
	scratch_load_b64 v[28:29], off, off offset:8
	v_mov_b64_e32 v[30:31], 0
	scratch_store_b64 off, v[30:31], off offset:8
	s_wait_loadcnt 0x0
	ds_store_b64 v1, v[28:29]
.LBB76_89:
	s_wait_xcnt 0x0
	s_or_b32 exec_lo, exec_lo, s0
	s_wait_storecnt_dscnt 0x0
	s_barrier_signal -1
	s_barrier_wait -1
	s_clause 0x6
	scratch_load_b128 v[30:33], off, off offset:16
	scratch_load_b128 v[34:37], off, off offset:32
	;; [unrolled: 1-line block ×5, first 2 shown]
	scratch_load_b64 v[70:71], off, off offset:96
	scratch_load_b64 v[72:73], off, off offset:8
	v_mov_b32_e32 v28, 0
	ds_load_b128 v[50:53], v28 offset:144
	ds_load_b128 v[54:57], v28 offset:160
	;; [unrolled: 1-line block ×5, first 2 shown]
	ds_load_b64 v[74:75], v28 offset:208
	v_dual_ashrrev_i32 v17, 31, v16 :: v_dual_ashrrev_i32 v19, 31, v18
	v_dual_ashrrev_i32 v21, 31, v20 :: v_dual_ashrrev_i32 v23, 31, v22
	;; [unrolled: 1-line block ×3, first 2 shown]
	s_mov_b32 s0, exec_lo
	s_wait_dscnt 0x5
	v_dual_mov_b32 v76, v53 :: v_dual_ashrrev_i32 v15, 31, v14
	s_wait_dscnt 0x4
	v_dual_mov_b32 v77, v52 :: v_dual_mov_b32 v78, v57
	s_wait_dscnt 0x2
	v_dual_mov_b32 v83, v64 :: v_dual_mov_b32 v79, v56
	v_dual_mov_b32 v80, v61 :: v_dual_mov_b32 v81, v60
	v_mov_b32_e32 v82, v65
	s_wait_loadcnt_dscnt 0x601
	v_dual_mul_f32 v7, v69, v33 :: v_dual_mul_f32 v9, v66, v31
	v_dual_mul_f32 v85, v68, v33 :: v_dual_mul_f32 v11, v67, v31
	s_wait_loadcnt 0x4
	v_dual_mov_b32 v86, v37 :: v_dual_mov_b32 v88, v41
	s_delay_alu instid0(VALU_DEP_3) | instskip(NEXT) | instid1(VALU_DEP_3)
	v_dual_fma_f32 v84, v68, v32, -v7 :: v_dual_fmac_f32 v9, v67, v30
	v_fma_f32 v7, v66, v30, -v11
	v_dual_mul_f32 v31, v50, v35 :: v_dual_mul_f32 v13, v51, v35
	s_delay_alu instid0(VALU_DEP_3)
	v_dual_fmac_f32 v85, v69, v32 :: v_dual_add_f32 v69, 0, v9
	v_pk_mul_f32 v[66:67], v[76:77], v[86:87] op_sel_hi:[1,0]
	s_wait_loadcnt 0x3
	v_dual_add_f32 v68, 0, v7 :: v_dual_mov_b32 v76, v45
	v_pk_mul_f32 v[90:91], v[54:55], v[38:39] op_sel:[1,1] op_sel_hi:[0,1]
	v_dual_fmac_f32 v31, v51, v34 :: v_dual_fma_f32 v30, v50, v34, -v13
	v_pk_fma_f32 v[34:35], v[52:53], v[36:37], v[66:67] op_sel_hi:[1,0,1]
	s_delay_alu instid0(VALU_DEP_4)
	v_pk_add_f32 v[50:51], v[68:69], v[84:85]
	v_pk_fma_f32 v[36:37], v[52:53], v[36:37], v[66:67] neg_lo:[0,0,1] neg_hi:[0,0,1]
	v_pk_mul_f32 v[68:69], v[78:79], v[88:89] op_sel_hi:[1,0]
	v_pk_fma_f32 v[78:79], v[54:55], v[38:39], v[90:91] op_sel_hi:[1,0,1]
	v_mov_b32_e32 v37, v35
	v_pk_add_f32 v[30:31], v[50:51], v[30:31]
	v_pk_fma_f32 v[38:39], v[54:55], v[38:39], v[90:91] neg_lo:[0,0,1] neg_hi:[0,0,1]
	v_pk_mul_f32 v[32:33], v[58:59], v[42:43] op_sel:[1,1] op_sel_hi:[0,1]
	v_mov_b32_e32 v39, v79
	v_pk_fma_f32 v[50:51], v[56:57], v[40:41], v[68:69] op_sel_hi:[1,0,1]
	v_pk_add_f32 v[30:31], v[30:31], v[36:37]
	v_pk_fma_f32 v[40:41], v[56:57], v[40:41], v[68:69] neg_lo:[0,0,1] neg_hi:[0,0,1]
	v_pk_fma_f32 v[36:37], v[58:59], v[42:43], v[32:33] op_sel_hi:[1,0,1]
	v_pk_mul_f32 v[52:53], v[80:81], v[76:77] op_sel_hi:[1,0]
	s_wait_loadcnt 0x2
	v_dual_mov_b32 v41, v51 :: v_dual_mov_b32 v36, v49
	v_pk_add_f32 v[30:31], v[30:31], v[38:39]
	v_pk_fma_f32 v[32:33], v[58:59], v[42:43], v[32:33] neg_lo:[0,0,1] neg_hi:[0,0,1]
	v_pk_mul_f32 v[34:35], v[62:63], v[46:47] op_sel:[1,1] op_sel_hi:[0,1]
	v_pk_fma_f32 v[38:39], v[60:61], v[44:45], v[52:53] op_sel_hi:[1,0,1]
	v_mov_b32_e32 v33, v37
	v_pk_add_f32 v[30:31], v[30:31], v[40:41]
	v_pk_fma_f32 v[42:43], v[60:61], v[44:45], v[52:53] neg_lo:[0,0,1] neg_hi:[0,0,1]
	v_pk_fma_f32 v[40:41], v[62:63], v[46:47], v[34:35] op_sel_hi:[1,0,1]
	v_pk_mul_f32 v[36:37], v[82:83], v[36:37] op_sel_hi:[1,0]
	v_mov_b32_e32 v43, v39
	v_pk_add_f32 v[30:31], v[30:31], v[32:33]
	v_pk_fma_f32 v[32:33], v[62:63], v[46:47], v[34:35] neg_lo:[0,0,1] neg_hi:[0,0,1]
	v_dual_mov_b32 v33, v41 :: v_dual_ashrrev_i32 v7, 31, v6
	v_pk_fma_f32 v[34:35], v[64:65], v[48:49], v[36:37] op_sel_hi:[1,0,1]
	s_delay_alu instid0(VALU_DEP_4)
	v_pk_add_f32 v[30:31], v[30:31], v[42:43]
	s_wait_loadcnt_dscnt 0x100
	v_pk_mul_f32 v[38:39], v[74:75], v[70:71] op_sel:[1,1] op_sel_hi:[0,1]
	v_pk_fma_f32 v[36:37], v[64:65], v[48:49], v[36:37] neg_lo:[0,0,1] neg_hi:[0,0,1]
	v_dual_ashrrev_i32 v9, 31, v8 :: v_dual_mov_b32 v37, v35
	v_pk_add_f32 v[30:31], v[30:31], v[32:33]
	s_delay_alu instid0(VALU_DEP_4) | instskip(SKIP_2) | instid1(VALU_DEP_4)
	v_pk_fma_f32 v[32:33], v[74:75], v[70:71], v[38:39] op_sel_hi:[1,0,1]
	v_pk_fma_f32 v[34:35], v[74:75], v[70:71], v[38:39] neg_lo:[0,0,1] neg_hi:[0,0,1]
	v_dual_ashrrev_i32 v11, 31, v10 :: v_dual_ashrrev_i32 v13, 31, v12
	v_pk_add_f32 v[30:31], v[30:31], v[36:37]
	s_delay_alu instid0(VALU_DEP_4) | instskip(NEXT) | instid1(VALU_DEP_1)
	v_mov_b32_e32 v35, v33
	v_pk_add_f32 v[30:31], v[30:31], v[34:35]
	s_wait_loadcnt 0x0
	s_delay_alu instid0(VALU_DEP_1)
	v_pk_add_f32 v[30:31], v[72:73], v[30:31] neg_lo:[0,1] neg_hi:[0,1]
	scratch_store_b64 off, v[30:31], off offset:8
	s_wait_xcnt 0x0
	v_cmpx_ne_u32_e32 0, v0
	s_cbranch_execz .LBB76_91
; %bb.90:
	scratch_load_b64 v[30:31], off, off
	v_mov_b64_e32 v[32:33], 0
	scratch_store_b64 off, v[32:33], off
	s_wait_loadcnt 0x0
	ds_store_b64 v1, v[30:31]
.LBB76_91:
	s_wait_xcnt 0x0
	s_or_b32 exec_lo, exec_lo, s0
	s_wait_storecnt_dscnt 0x0
	s_barrier_signal -1
	s_barrier_wait -1
	s_clause 0x6
	scratch_load_b128 v[30:33], off, off offset:8
	scratch_load_b128 v[34:37], off, off offset:24
	;; [unrolled: 1-line block ×6, first 2 shown]
	scratch_load_b64 v[0:1], off, off
	ds_load_2addr_b64 v[54:57], v28 offset0:19 offset1:20
	ds_load_2addr_b64 v[58:61], v28 offset0:21 offset1:22
	;; [unrolled: 1-line block ×6, first 2 shown]
	s_and_b32 vcc_lo, exec_lo, s12
	s_wait_dscnt 0x5
	v_dual_mov_b32 v28, v57 :: v_dual_mov_b32 v29, v56
	s_wait_dscnt 0x4
	v_dual_mov_b32 v78, v61 :: v_dual_mov_b32 v79, v60
	;; [unrolled: 2-line block ×4, first 2 shown]
	s_wait_loadcnt_dscnt 0x601
	v_dual_mul_f32 v84, v70, v31 :: v_dual_mul_f32 v86, v72, v33
	v_dual_mul_f32 v31, v71, v31 :: v_dual_mul_f32 v33, v73, v33
	s_wait_loadcnt 0x4
	s_delay_alu instid0(VALU_DEP_2)
	v_dual_mov_b32 v90, v41 :: v_dual_fmac_f32 v84, v71, v30
	s_wait_dscnt 0x0
	v_dual_mul_f32 v85, v74, v35 :: v_dual_mul_f32 v87, v76, v37
	s_wait_loadcnt 0x3
	v_dual_fma_f32 v31, v70, v30, -v31 :: v_dual_mov_b32 v30, v45
	v_dual_mul_f32 v35, v75, v35 :: v_dual_mul_f32 v37, v77, v37
	v_dual_fmac_f32 v86, v73, v32 :: v_dual_fma_f32 v70, v72, v32, -v33
	s_delay_alu instid0(VALU_DEP_3) | instskip(SKIP_1) | instid1(VALU_DEP_4)
	v_dual_add_f32 v71, 0, v84 :: v_dual_add_f32 v31, 0, v31
	v_pk_mul_f32 v[88:89], v[54:55], v[38:39] op_sel:[1,1] op_sel_hi:[0,1]
	v_dual_fma_f32 v84, v74, v34, -v35 :: v_dual_fmac_f32 v85, v75, v34
	s_delay_alu instid0(VALU_DEP_3) | instskip(NEXT) | instid1(VALU_DEP_4)
	v_dual_add_f32 v35, v71, v86 :: v_dual_fmac_f32 v87, v77, v36
	v_dual_add_f32 v34, v31, v70 :: v_dual_fma_f32 v86, v76, v36, -v37
	s_delay_alu instid0(VALU_DEP_4) | instskip(SKIP_2) | instid1(VALU_DEP_4)
	v_pk_fma_f32 v[36:37], v[54:55], v[38:39], v[88:89] op_sel_hi:[1,0,1]
	v_pk_mul_f32 v[28:29], v[28:29], v[90:91] op_sel_hi:[1,0]
	v_pk_fma_f32 v[38:39], v[54:55], v[38:39], v[88:89] neg_lo:[0,0,1] neg_hi:[0,0,1]
	v_pk_add_f32 v[34:35], v[34:35], v[84:85]
	v_pk_mul_f32 v[92:93], v[58:59], v[42:43] op_sel:[1,1] op_sel_hi:[0,1]
	s_wait_loadcnt 0x2
	v_dual_mov_b32 v36, v49 :: v_dual_mov_b32 v39, v37
	v_pk_fma_f32 v[54:55], v[56:57], v[40:41], v[28:29] op_sel_hi:[1,0,1]
	v_pk_add_f32 v[34:35], v[34:35], v[86:87]
	v_pk_fma_f32 v[28:29], v[56:57], v[40:41], v[28:29] neg_lo:[0,0,1] neg_hi:[0,0,1]
	v_pk_fma_f32 v[70:71], v[58:59], v[42:43], v[92:93] op_sel_hi:[1,0,1]
	v_pk_mul_f32 v[30:31], v[78:79], v[30:31] op_sel_hi:[1,0]
	v_mov_b32_e32 v29, v55
	v_pk_add_f32 v[34:35], v[34:35], v[38:39]
	v_pk_fma_f32 v[40:41], v[58:59], v[42:43], v[92:93] neg_lo:[0,0,1] neg_hi:[0,0,1]
	v_pk_mul_f32 v[32:33], v[62:63], v[46:47] op_sel:[1,1] op_sel_hi:[0,1]
	v_mov_b32_e32 v41, v71
	v_pk_fma_f32 v[42:43], v[60:61], v[44:45], v[30:31] op_sel_hi:[1,0,1]
	v_pk_add_f32 v[28:29], v[34:35], v[28:29]
	v_pk_fma_f32 v[30:31], v[60:61], v[44:45], v[30:31] neg_lo:[0,0,1] neg_hi:[0,0,1]
	v_pk_fma_f32 v[34:35], v[62:63], v[46:47], v[32:33] op_sel_hi:[1,0,1]
	v_pk_mul_f32 v[36:37], v[80:81], v[36:37] op_sel_hi:[1,0]
	s_wait_loadcnt 0x1
	v_dual_mov_b32 v31, v43 :: v_dual_mov_b32 v34, v53
	v_pk_add_f32 v[28:29], v[28:29], v[40:41]
	v_pk_fma_f32 v[32:33], v[62:63], v[46:47], v[32:33] neg_lo:[0,0,1] neg_hi:[0,0,1]
	v_pk_mul_f32 v[38:39], v[66:67], v[50:51] op_sel:[1,1] op_sel_hi:[0,1]
	v_pk_fma_f32 v[40:41], v[64:65], v[48:49], v[36:37] op_sel_hi:[1,0,1]
	v_mov_b32_e32 v33, v35
	v_pk_add_f32 v[28:29], v[28:29], v[30:31]
	v_pk_fma_f32 v[36:37], v[64:65], v[48:49], v[36:37] neg_lo:[0,0,1] neg_hi:[0,0,1]
	v_pk_fma_f32 v[30:31], v[66:67], v[50:51], v[38:39] op_sel_hi:[1,0,1]
	v_pk_mul_f32 v[34:35], v[82:83], v[34:35] op_sel_hi:[1,0]
	v_mov_b32_e32 v37, v41
	v_pk_add_f32 v[28:29], v[28:29], v[32:33]
	v_pk_fma_f32 v[32:33], v[66:67], v[50:51], v[38:39] neg_lo:[0,0,1] neg_hi:[0,0,1]
	v_mov_b32_e32 v33, v31
	v_pk_fma_f32 v[30:31], v[68:69], v[52:53], v[34:35] op_sel_hi:[1,0,1]
	v_pk_fma_f32 v[34:35], v[68:69], v[52:53], v[34:35] neg_lo:[0,0,1] neg_hi:[0,0,1]
	v_pk_add_f32 v[28:29], v[28:29], v[36:37]
	s_delay_alu instid0(VALU_DEP_3) | instskip(NEXT) | instid1(VALU_DEP_2)
	v_mov_b32_e32 v35, v31
	v_pk_add_f32 v[28:29], v[28:29], v[32:33]
	s_delay_alu instid0(VALU_DEP_1) | instskip(SKIP_1) | instid1(VALU_DEP_1)
	v_pk_add_f32 v[28:29], v[28:29], v[34:35]
	s_wait_loadcnt 0x0
	v_pk_add_f32 v[0:1], v[0:1], v[28:29] neg_lo:[0,1] neg_hi:[0,1]
	scratch_store_b64 off, v[0:1], off
	s_cbranch_vccz .LBB76_116
; %bb.92:
	s_wait_xcnt 0x0
	v_mov_b32_e32 v0, 0
	global_load_b32 v1, v0, s[8:9] offset:44
	s_wait_loadcnt 0x0
	v_cmp_ne_u32_e32 vcc_lo, 12, v1
	s_cbranch_vccz .LBB76_94
; %bb.93:
	v_lshlrev_b32_e32 v1, 3, v1
	scratch_load_b64 v[28:29], v1, off offset:-8
	scratch_load_b64 v[30:31], off, off offset:88
	s_wait_loadcnt 0x1
	scratch_store_b64 off, v[28:29], off offset:88
	s_wait_loadcnt 0x0
	scratch_store_b64 v1, v[30:31], off offset:-8
.LBB76_94:
	global_load_b32 v0, v0, s[8:9] offset:40
	s_wait_loadcnt 0x0
	v_cmp_eq_u32_e32 vcc_lo, 11, v0
	s_cbranch_vccnz .LBB76_96
; %bb.95:
	s_wait_xcnt 0x0
	v_lshlrev_b32_e32 v0, 3, v0
	s_delay_alu instid0(VALU_DEP_1)
	v_mov_b32_e32 v30, v0
	scratch_load_b64 v[0:1], v30, off offset:-8
	scratch_load_b64 v[28:29], off, off offset:80
	s_wait_loadcnt 0x1
	scratch_store_b64 off, v[0:1], off offset:80
	s_wait_loadcnt 0x0
	scratch_store_b64 v30, v[28:29], off offset:-8
.LBB76_96:
	s_wait_xcnt 0x0
	v_mov_b32_e32 v0, 0
	global_load_b32 v1, v0, s[8:9] offset:36
	s_wait_loadcnt 0x0
	v_cmp_eq_u32_e32 vcc_lo, 10, v1
	s_cbranch_vccnz .LBB76_98
; %bb.97:
	v_lshlrev_b32_e32 v1, 3, v1
	scratch_load_b64 v[28:29], v1, off offset:-8
	scratch_load_b64 v[30:31], off, off offset:72
	s_wait_loadcnt 0x1
	scratch_store_b64 off, v[28:29], off offset:72
	s_wait_loadcnt 0x0
	scratch_store_b64 v1, v[30:31], off offset:-8
.LBB76_98:
	global_load_b32 v0, v0, s[8:9] offset:32
	s_wait_loadcnt 0x0
	v_cmp_eq_u32_e32 vcc_lo, 9, v0
	s_cbranch_vccnz .LBB76_100
; %bb.99:
	s_wait_xcnt 0x0
	v_lshlrev_b32_e32 v0, 3, v0
	s_delay_alu instid0(VALU_DEP_1)
	v_mov_b32_e32 v30, v0
	scratch_load_b64 v[0:1], v30, off offset:-8
	scratch_load_b64 v[28:29], off, off offset:64
	s_wait_loadcnt 0x1
	scratch_store_b64 off, v[0:1], off offset:64
	s_wait_loadcnt 0x0
	scratch_store_b64 v30, v[28:29], off offset:-8
.LBB76_100:
	s_wait_xcnt 0x0
	v_mov_b32_e32 v0, 0
	global_load_b32 v1, v0, s[8:9] offset:28
	s_wait_loadcnt 0x0
	v_cmp_eq_u32_e32 vcc_lo, 8, v1
	s_cbranch_vccnz .LBB76_102
; %bb.101:
	v_lshlrev_b32_e32 v1, 3, v1
	scratch_load_b64 v[28:29], v1, off offset:-8
	scratch_load_b64 v[30:31], off, off offset:56
	s_wait_loadcnt 0x1
	scratch_store_b64 off, v[28:29], off offset:56
	s_wait_loadcnt 0x0
	scratch_store_b64 v1, v[30:31], off offset:-8
.LBB76_102:
	;; [unrolled: 31-line block ×5, first 2 shown]
	global_load_b32 v28, v0, s[8:9]
	scratch_load_b64 v[0:1], off, off
	s_wait_loadcnt 0x1
	v_cmp_eq_u32_e32 vcc_lo, 1, v28
	s_cbranch_vccnz .LBB76_116
; %bb.115:
	v_lshlrev_b32_e32 v28, 3, v28
	s_delay_alu instid0(VALU_DEP_1)
	v_mov_b32_e32 v30, v28
	scratch_load_b64 v[28:29], v30, off offset:-8
	s_wait_loadcnt 0x0
	scratch_store_b64 off, v[28:29], off
	scratch_store_b64 v30, v[0:1], off offset:-8
	scratch_load_b64 v[0:1], off, off
.LBB76_116:
	s_wait_loadcnt 0x0
	flat_store_b64 v[2:3], v[0:1]
	scratch_load_b64 v[0:1], off, off offset:8
	v_lshl_add_u64 v[36:37], v[6:7], 3, s[2:3]
	v_lshl_add_u64 v[34:35], v[8:9], 3, s[2:3]
	;; [unrolled: 1-line block ×11, first 2 shown]
	s_wait_loadcnt 0x0
	flat_store_b64 v[4:5], v[0:1]
	scratch_load_b64 v[0:1], off, off offset:16
	s_wait_loadcnt 0x0
	flat_store_b64 v[36:37], v[0:1]
	scratch_load_b64 v[0:1], off, off offset:24
	;; [unrolled: 3-line block ×11, first 2 shown]
	s_wait_loadcnt 0x0
	flat_store_b64 v[6:7], v[0:1]
	s_sendmsg sendmsg(MSG_DEALLOC_VGPRS)
	s_endpgm
	.section	.rodata,"a",@progbits
	.p2align	6, 0x0
	.amdhsa_kernel _ZN9rocsolver6v33100L18getri_kernel_smallILi13E19rocblas_complex_numIfEPKPS3_EEvT1_iilPiilS8_bb
		.amdhsa_group_segment_fixed_size 216
		.amdhsa_private_segment_fixed_size 112
		.amdhsa_kernarg_size 60
		.amdhsa_user_sgpr_count 2
		.amdhsa_user_sgpr_dispatch_ptr 0
		.amdhsa_user_sgpr_queue_ptr 0
		.amdhsa_user_sgpr_kernarg_segment_ptr 1
		.amdhsa_user_sgpr_dispatch_id 0
		.amdhsa_user_sgpr_kernarg_preload_length 0
		.amdhsa_user_sgpr_kernarg_preload_offset 0
		.amdhsa_user_sgpr_private_segment_size 0
		.amdhsa_wavefront_size32 1
		.amdhsa_uses_dynamic_stack 0
		.amdhsa_enable_private_segment 1
		.amdhsa_system_sgpr_workgroup_id_x 1
		.amdhsa_system_sgpr_workgroup_id_y 0
		.amdhsa_system_sgpr_workgroup_id_z 0
		.amdhsa_system_sgpr_workgroup_info 0
		.amdhsa_system_vgpr_workitem_id 0
		.amdhsa_next_free_vgpr 94
		.amdhsa_next_free_sgpr 19
		.amdhsa_named_barrier_count 0
		.amdhsa_reserve_vcc 1
		.amdhsa_float_round_mode_32 0
		.amdhsa_float_round_mode_16_64 0
		.amdhsa_float_denorm_mode_32 3
		.amdhsa_float_denorm_mode_16_64 3
		.amdhsa_fp16_overflow 0
		.amdhsa_memory_ordered 1
		.amdhsa_forward_progress 1
		.amdhsa_inst_pref_size 97
		.amdhsa_round_robin_scheduling 0
		.amdhsa_exception_fp_ieee_invalid_op 0
		.amdhsa_exception_fp_denorm_src 0
		.amdhsa_exception_fp_ieee_div_zero 0
		.amdhsa_exception_fp_ieee_overflow 0
		.amdhsa_exception_fp_ieee_underflow 0
		.amdhsa_exception_fp_ieee_inexact 0
		.amdhsa_exception_int_div_zero 0
	.end_amdhsa_kernel
	.section	.text._ZN9rocsolver6v33100L18getri_kernel_smallILi13E19rocblas_complex_numIfEPKPS3_EEvT1_iilPiilS8_bb,"axG",@progbits,_ZN9rocsolver6v33100L18getri_kernel_smallILi13E19rocblas_complex_numIfEPKPS3_EEvT1_iilPiilS8_bb,comdat
.Lfunc_end76:
	.size	_ZN9rocsolver6v33100L18getri_kernel_smallILi13E19rocblas_complex_numIfEPKPS3_EEvT1_iilPiilS8_bb, .Lfunc_end76-_ZN9rocsolver6v33100L18getri_kernel_smallILi13E19rocblas_complex_numIfEPKPS3_EEvT1_iilPiilS8_bb
                                        ; -- End function
	.set _ZN9rocsolver6v33100L18getri_kernel_smallILi13E19rocblas_complex_numIfEPKPS3_EEvT1_iilPiilS8_bb.num_vgpr, 94
	.set _ZN9rocsolver6v33100L18getri_kernel_smallILi13E19rocblas_complex_numIfEPKPS3_EEvT1_iilPiilS8_bb.num_agpr, 0
	.set _ZN9rocsolver6v33100L18getri_kernel_smallILi13E19rocblas_complex_numIfEPKPS3_EEvT1_iilPiilS8_bb.numbered_sgpr, 19
	.set _ZN9rocsolver6v33100L18getri_kernel_smallILi13E19rocblas_complex_numIfEPKPS3_EEvT1_iilPiilS8_bb.num_named_barrier, 0
	.set _ZN9rocsolver6v33100L18getri_kernel_smallILi13E19rocblas_complex_numIfEPKPS3_EEvT1_iilPiilS8_bb.private_seg_size, 112
	.set _ZN9rocsolver6v33100L18getri_kernel_smallILi13E19rocblas_complex_numIfEPKPS3_EEvT1_iilPiilS8_bb.uses_vcc, 1
	.set _ZN9rocsolver6v33100L18getri_kernel_smallILi13E19rocblas_complex_numIfEPKPS3_EEvT1_iilPiilS8_bb.uses_flat_scratch, 1
	.set _ZN9rocsolver6v33100L18getri_kernel_smallILi13E19rocblas_complex_numIfEPKPS3_EEvT1_iilPiilS8_bb.has_dyn_sized_stack, 0
	.set _ZN9rocsolver6v33100L18getri_kernel_smallILi13E19rocblas_complex_numIfEPKPS3_EEvT1_iilPiilS8_bb.has_recursion, 0
	.set _ZN9rocsolver6v33100L18getri_kernel_smallILi13E19rocblas_complex_numIfEPKPS3_EEvT1_iilPiilS8_bb.has_indirect_call, 0
	.section	.AMDGPU.csdata,"",@progbits
; Kernel info:
; codeLenInByte = 12396
; TotalNumSgprs: 21
; NumVgprs: 94
; ScratchSize: 112
; MemoryBound: 0
; FloatMode: 240
; IeeeMode: 1
; LDSByteSize: 216 bytes/workgroup (compile time only)
; SGPRBlocks: 0
; VGPRBlocks: 5
; NumSGPRsForWavesPerEU: 21
; NumVGPRsForWavesPerEU: 94
; NamedBarCnt: 0
; Occupancy: 10
; WaveLimiterHint : 1
; COMPUTE_PGM_RSRC2:SCRATCH_EN: 1
; COMPUTE_PGM_RSRC2:USER_SGPR: 2
; COMPUTE_PGM_RSRC2:TRAP_HANDLER: 0
; COMPUTE_PGM_RSRC2:TGID_X_EN: 1
; COMPUTE_PGM_RSRC2:TGID_Y_EN: 0
; COMPUTE_PGM_RSRC2:TGID_Z_EN: 0
; COMPUTE_PGM_RSRC2:TIDIG_COMP_CNT: 0
	.section	.text._ZN9rocsolver6v33100L18getri_kernel_smallILi14E19rocblas_complex_numIfEPKPS3_EEvT1_iilPiilS8_bb,"axG",@progbits,_ZN9rocsolver6v33100L18getri_kernel_smallILi14E19rocblas_complex_numIfEPKPS3_EEvT1_iilPiilS8_bb,comdat
	.globl	_ZN9rocsolver6v33100L18getri_kernel_smallILi14E19rocblas_complex_numIfEPKPS3_EEvT1_iilPiilS8_bb ; -- Begin function _ZN9rocsolver6v33100L18getri_kernel_smallILi14E19rocblas_complex_numIfEPKPS3_EEvT1_iilPiilS8_bb
	.p2align	8
	.type	_ZN9rocsolver6v33100L18getri_kernel_smallILi14E19rocblas_complex_numIfEPKPS3_EEvT1_iilPiilS8_bb,@function
_ZN9rocsolver6v33100L18getri_kernel_smallILi14E19rocblas_complex_numIfEPKPS3_EEvT1_iilPiilS8_bb: ; @_ZN9rocsolver6v33100L18getri_kernel_smallILi14E19rocblas_complex_numIfEPKPS3_EEvT1_iilPiilS8_bb
; %bb.0:
	s_mov_b32 s2, exec_lo
	v_cmpx_gt_u32_e32 14, v0
	s_cbranch_execz .LBB77_70
; %bb.1:
	s_clause 0x1
	s_load_b32 s13, s[0:1], 0x38
	s_load_b64 s[2:3], s[0:1], 0x0
	s_getreg_b32 s6, hwreg(HW_REG_IB_STS2, 6, 4)
	s_wait_kmcnt 0x0
	s_bitcmp1_b32 s13, 8
	s_cselect_b32 s12, -1, 0
	s_bfe_u32 s4, ttmp6, 0x4000c
	s_and_b32 s5, ttmp6, 15
	s_add_co_i32 s4, s4, 1
	s_delay_alu instid0(SALU_CYCLE_1) | instskip(NEXT) | instid1(SALU_CYCLE_1)
	s_mul_i32 s4, ttmp9, s4
	s_add_co_i32 s5, s5, s4
	s_cmp_eq_u32 s6, 0
	s_cselect_b32 s10, ttmp9, s5
	s_load_b128 s[4:7], s[0:1], 0x28
	s_ashr_i32 s11, s10, 31
	s_delay_alu instid0(SALU_CYCLE_1) | instskip(NEXT) | instid1(SALU_CYCLE_1)
	s_lshl_b64 s[8:9], s[10:11], 3
	s_add_nc_u64 s[2:3], s[2:3], s[8:9]
	s_bfe_u32 s8, s13, 0x10008
	s_load_b64 s[2:3], s[2:3], 0x0
	s_cmp_eq_u32 s8, 0
                                        ; implicit-def: $sgpr8_sgpr9
	s_cbranch_scc1 .LBB77_3
; %bb.2:
	s_load_b96 s[16:18], s[0:1], 0x18
	s_wait_kmcnt 0x0
	s_mul_u64 s[4:5], s[4:5], s[10:11]
	s_delay_alu instid0(SALU_CYCLE_1) | instskip(SKIP_4) | instid1(SALU_CYCLE_1)
	s_lshl_b64 s[4:5], s[4:5], 2
	s_ashr_i32 s9, s18, 31
	s_mov_b32 s8, s18
	s_add_nc_u64 s[4:5], s[16:17], s[4:5]
	s_lshl_b64 s[8:9], s[8:9], 2
	s_add_nc_u64 s[8:9], s[4:5], s[8:9]
.LBB77_3:
	s_wait_kmcnt 0x0
	s_clause 0x1
	s_load_b64 s[4:5], s[0:1], 0x8
	s_load_b32 s13, s[0:1], 0x38
	v_dual_mov_b32 v31, 0 :: v_dual_lshlrev_b32 v30, 3, v0
	s_wait_kmcnt 0x0
	s_ashr_i32 s1, s4, 31
	s_mov_b32 s0, s4
	s_delay_alu instid0(SALU_CYCLE_1) | instskip(NEXT) | instid1(SALU_CYCLE_1)
	s_lshl_b64 s[0:1], s[0:1], 3
	s_add_nc_u64 s[2:3], s[2:3], s[0:1]
	s_ashr_i32 s1, s5, 31
	flat_load_b64 v[6:7], v0, s[2:3] scale_offset
	v_add_nc_u64_e32 v[2:3], s[2:3], v[30:31]
	s_mov_b32 s0, s5
	s_bitcmp0_b32 s13, 0
	s_delay_alu instid0(VALU_DEP_1)
	v_lshl_add_u64 v[4:5], s[0:1], 3, v[2:3]
	s_mov_b32 s1, -1
	s_wait_loadcnt_dscnt 0x0
	scratch_store_b64 off, v[6:7], off
	flat_load_b64 v[8:9], v[4:5]
	s_wait_xcnt 0x1
	v_add3_u32 v6, s5, s5, v0
	s_wait_loadcnt_dscnt 0x0
	scratch_store_b64 off, v[8:9], off offset:8
	flat_load_b64 v[10:11], v6, s[2:3] scale_offset
	s_wait_xcnt 0x1
	v_add_nc_u32_e32 v8, s5, v6
	s_wait_loadcnt_dscnt 0x0
	scratch_store_b64 off, v[10:11], off offset:16
	flat_load_b64 v[12:13], v8, s[2:3] scale_offset
	s_wait_xcnt 0x1
	v_add_nc_u32_e32 v10, s5, v8
	;; [unrolled: 5-line block ×11, first 2 shown]
	s_wait_loadcnt_dscnt 0x0
	scratch_store_b64 off, v[32:33], off offset:96
	flat_load_b64 v[32:33], v28, s[2:3] scale_offset
	s_wait_loadcnt_dscnt 0x0
	scratch_store_b64 off, v[32:33], off offset:104
	s_cbranch_scc1 .LBB77_68
; %bb.4:
	v_cmp_eq_u32_e64 s0, 0, v0
	s_wait_xcnt 0x0
	s_and_saveexec_b32 s1, s0
; %bb.5:
	v_mov_b32_e32 v1, 0
	ds_store_b32 v1, v1 offset:224
; %bb.6:
	s_or_b32 exec_lo, exec_lo, s1
	s_wait_storecnt_dscnt 0x0
	s_barrier_signal -1
	s_barrier_wait -1
	scratch_load_b64 v[32:33], v0, off scale_offset
	s_wait_loadcnt 0x0
	v_cmp_eq_f32_e32 vcc_lo, 0, v32
	v_cmp_eq_f32_e64 s1, 0, v33
	s_and_b32 s1, vcc_lo, s1
	s_delay_alu instid0(SALU_CYCLE_1)
	s_and_saveexec_b32 s4, s1
	s_cbranch_execz .LBB77_10
; %bb.7:
	v_mov_b32_e32 v1, 0
	s_mov_b32 s5, 0
	ds_load_b32 v7, v1 offset:224
	s_wait_dscnt 0x0
	v_readfirstlane_b32 s1, v7
	v_add_nc_u32_e32 v7, 1, v0
	s_cmp_eq_u32 s1, 0
	s_delay_alu instid0(VALU_DEP_1) | instskip(SKIP_1) | instid1(SALU_CYCLE_1)
	v_cmp_gt_i32_e32 vcc_lo, s1, v7
	s_cselect_b32 s13, -1, 0
	s_or_b32 s13, s13, vcc_lo
	s_delay_alu instid0(SALU_CYCLE_1)
	s_and_b32 exec_lo, exec_lo, s13
	s_cbranch_execz .LBB77_10
; %bb.8:
	v_mov_b32_e32 v9, s1
.LBB77_9:                               ; =>This Inner Loop Header: Depth=1
	ds_cmpstore_rtn_b32 v9, v1, v7, v9 offset:224
	s_wait_dscnt 0x0
	v_cmp_ne_u32_e32 vcc_lo, 0, v9
	v_cmp_le_i32_e64 s1, v9, v7
	s_and_b32 s1, vcc_lo, s1
	s_delay_alu instid0(SALU_CYCLE_1) | instskip(NEXT) | instid1(SALU_CYCLE_1)
	s_and_b32 s1, exec_lo, s1
	s_or_b32 s5, s1, s5
	s_delay_alu instid0(SALU_CYCLE_1)
	s_and_not1_b32 exec_lo, exec_lo, s5
	s_cbranch_execnz .LBB77_9
.LBB77_10:
	s_or_b32 exec_lo, exec_lo, s4
	v_mov_b32_e32 v1, 0
	s_barrier_signal -1
	s_barrier_wait -1
	ds_load_b32 v7, v1 offset:224
	s_and_saveexec_b32 s1, s0
	s_cbranch_execz .LBB77_12
; %bb.11:
	s_lshl_b64 s[4:5], s[10:11], 2
	s_delay_alu instid0(SALU_CYCLE_1)
	s_add_nc_u64 s[4:5], s[6:7], s[4:5]
	s_wait_dscnt 0x0
	global_store_b32 v1, v7, s[4:5]
.LBB77_12:
	s_wait_xcnt 0x0
	s_or_b32 exec_lo, exec_lo, s1
	s_wait_dscnt 0x0
	v_cmp_ne_u32_e32 vcc_lo, 0, v7
	s_mov_b32 s1, 0
	s_cbranch_vccnz .LBB77_68
; %bb.13:
	v_lshl_add_u32 v7, v0, 3, 0
                                        ; implicit-def: $vgpr35
                                        ; implicit-def: $vgpr36
	scratch_load_b64 v[32:33], v7, off
	s_wait_loadcnt 0x0
	v_cmp_ngt_f32_e64 s1, |v32|, |v33|
	s_wait_xcnt 0x0
	s_and_saveexec_b32 s4, s1
	s_delay_alu instid0(SALU_CYCLE_1)
	s_xor_b32 s1, exec_lo, s4
	s_cbranch_execz .LBB77_15
; %bb.14:
	v_div_scale_f32 v1, null, v33, v33, v32
	v_div_scale_f32 v13, vcc_lo, v32, v33, v32
	s_delay_alu instid0(VALU_DEP_2) | instskip(SKIP_1) | instid1(TRANS32_DEP_1)
	v_rcp_f32_e32 v9, v1
	v_nop
	v_fma_f32 v11, -v1, v9, 1.0
	s_delay_alu instid0(VALU_DEP_1) | instskip(NEXT) | instid1(VALU_DEP_1)
	v_fmac_f32_e32 v9, v11, v9
	v_mul_f32_e32 v11, v13, v9
	s_delay_alu instid0(VALU_DEP_1) | instskip(NEXT) | instid1(VALU_DEP_1)
	v_fma_f32 v15, -v1, v11, v13
	v_fmac_f32_e32 v11, v15, v9
	s_delay_alu instid0(VALU_DEP_1) | instskip(NEXT) | instid1(VALU_DEP_1)
	v_fma_f32 v1, -v1, v11, v13
	v_div_fmas_f32 v1, v1, v9, v11
	s_delay_alu instid0(VALU_DEP_1) | instskip(NEXT) | instid1(VALU_DEP_1)
	v_div_fixup_f32 v1, v1, v33, v32
	v_fmac_f32_e32 v33, v32, v1
	s_delay_alu instid0(VALU_DEP_1) | instskip(NEXT) | instid1(VALU_DEP_1)
	v_div_scale_f32 v9, null, v33, v33, -1.0
	v_rcp_f32_e32 v11, v9
	v_nop
	s_delay_alu instid0(TRANS32_DEP_1) | instskip(NEXT) | instid1(VALU_DEP_1)
	v_fma_f32 v13, -v9, v11, 1.0
	v_fmac_f32_e32 v11, v13, v11
	v_div_scale_f32 v13, vcc_lo, -1.0, v33, -1.0
	s_delay_alu instid0(VALU_DEP_1) | instskip(NEXT) | instid1(VALU_DEP_1)
	v_mul_f32_e32 v15, v13, v11
	v_fma_f32 v17, -v9, v15, v13
	s_delay_alu instid0(VALU_DEP_1) | instskip(NEXT) | instid1(VALU_DEP_1)
	v_fmac_f32_e32 v15, v17, v11
	v_fma_f32 v9, -v9, v15, v13
	s_delay_alu instid0(VALU_DEP_1) | instskip(NEXT) | instid1(VALU_DEP_1)
	v_div_fmas_f32 v9, v9, v11, v15
	v_div_fixup_f32 v35, v9, v33, -1.0
                                        ; implicit-def: $vgpr32_vgpr33
	s_delay_alu instid0(VALU_DEP_1) | instskip(NEXT) | instid1(VALU_DEP_1)
	v_mul_f32_e32 v36, v1, v35
	v_xor_b32_e32 v34, 0x80000000, v36
.LBB77_15:
	s_and_not1_saveexec_b32 s1, s1
	s_cbranch_execz .LBB77_17
; %bb.16:
	v_div_scale_f32 v1, null, v32, v32, v33
	v_div_scale_f32 v13, vcc_lo, v33, v32, v33
	s_delay_alu instid0(VALU_DEP_2) | instskip(SKIP_1) | instid1(TRANS32_DEP_1)
	v_rcp_f32_e32 v9, v1
	v_nop
	v_fma_f32 v11, -v1, v9, 1.0
	s_delay_alu instid0(VALU_DEP_1) | instskip(NEXT) | instid1(VALU_DEP_1)
	v_fmac_f32_e32 v9, v11, v9
	v_mul_f32_e32 v11, v13, v9
	s_delay_alu instid0(VALU_DEP_1) | instskip(NEXT) | instid1(VALU_DEP_1)
	v_fma_f32 v15, -v1, v11, v13
	v_fmac_f32_e32 v11, v15, v9
	s_delay_alu instid0(VALU_DEP_1) | instskip(NEXT) | instid1(VALU_DEP_1)
	v_fma_f32 v1, -v1, v11, v13
	v_div_fmas_f32 v1, v1, v9, v11
	s_delay_alu instid0(VALU_DEP_1) | instskip(NEXT) | instid1(VALU_DEP_1)
	v_div_fixup_f32 v1, v1, v32, v33
	v_fmac_f32_e32 v32, v33, v1
	s_delay_alu instid0(VALU_DEP_1) | instskip(SKIP_1) | instid1(VALU_DEP_2)
	v_div_scale_f32 v9, null, v32, v32, 1.0
	v_div_scale_f32 v15, vcc_lo, 1.0, v32, 1.0
	v_rcp_f32_e32 v11, v9
	v_nop
	s_delay_alu instid0(TRANS32_DEP_1) | instskip(NEXT) | instid1(VALU_DEP_1)
	v_fma_f32 v13, -v9, v11, 1.0
	v_fmac_f32_e32 v11, v13, v11
	s_delay_alu instid0(VALU_DEP_1) | instskip(NEXT) | instid1(VALU_DEP_1)
	v_mul_f32_e32 v13, v15, v11
	v_fma_f32 v17, -v9, v13, v15
	s_delay_alu instid0(VALU_DEP_1) | instskip(NEXT) | instid1(VALU_DEP_1)
	v_fmac_f32_e32 v13, v17, v11
	v_fma_f32 v9, -v9, v13, v15
	s_delay_alu instid0(VALU_DEP_1) | instskip(NEXT) | instid1(VALU_DEP_1)
	v_div_fmas_f32 v9, v9, v11, v13
	v_div_fixup_f32 v34, v9, v32, 1.0
	s_delay_alu instid0(VALU_DEP_1)
	v_xor_b32_e32 v36, 0x80000000, v34
	v_mul_f32_e64 v35, v1, -v34
.LBB77_17:
	s_or_b32 exec_lo, exec_lo, s1
	scratch_store_b64 v7, v[34:35], off
	scratch_load_b64 v[32:33], off, off offset:8
	v_xor_b32_e32 v37, 0x80000000, v35
	v_add_nc_u32_e32 v1, 0x70, v30
	s_wait_loadcnt 0x0
	ds_store_2addr_b64 v30, v[36:37], v[32:33] offset1:14
	s_wait_storecnt_dscnt 0x0
	s_barrier_signal -1
	s_barrier_wait -1
	s_wait_xcnt 0x0
	s_and_saveexec_b32 s1, s0
	s_cbranch_execz .LBB77_19
; %bb.18:
	scratch_load_b64 v[32:33], v7, off
	ds_load_b64 v[34:35], v1
	s_wait_loadcnt_dscnt 0x0
	v_pk_mul_f32 v[38:39], v[34:35], v[32:33] op_sel:[1,1] op_sel_hi:[0,1]
	s_delay_alu instid0(VALU_DEP_1) | instskip(SKIP_2) | instid1(VALU_DEP_3)
	v_pk_fma_f32 v[40:41], v[34:35], v[32:33], v[38:39] op_sel_hi:[1,0,1]
	v_mov_b32_e32 v9, 0
	v_pk_fma_f32 v[32:33], v[34:35], v[32:33], v[38:39] neg_lo:[0,0,1] neg_hi:[0,0,1]
	v_mov_b32_e32 v33, v41
	ds_load_b64 v[36:37], v9 offset:8
	v_pk_add_f32 v[32:33], v[32:33], 0 op_sel_hi:[1,0]
	s_wait_dscnt 0x0
	s_delay_alu instid0(VALU_DEP_1) | instskip(NEXT) | instid1(VALU_DEP_1)
	v_pk_mul_f32 v[34:35], v[32:33], v[36:37] op_sel:[1,1] op_sel_hi:[0,1]
	v_pk_fma_f32 v[38:39], v[32:33], v[36:37], v[34:35] op_sel_hi:[1,0,1]
	v_pk_fma_f32 v[32:33], v[32:33], v[36:37], v[34:35] neg_lo:[0,0,1] neg_hi:[0,0,1]
	s_delay_alu instid0(VALU_DEP_2)
	v_mov_b32_e32 v33, v39
	scratch_store_b64 off, v[32:33], off offset:8
.LBB77_19:
	s_wait_xcnt 0x0
	s_or_b32 exec_lo, exec_lo, s1
	s_wait_storecnt 0x0
	s_barrier_signal -1
	s_barrier_wait -1
	scratch_load_b64 v[32:33], off, off offset:16
	s_mov_b32 s1, exec_lo
	s_wait_loadcnt 0x0
	ds_store_b64 v1, v[32:33]
	s_wait_dscnt 0x0
	s_barrier_signal -1
	s_barrier_wait -1
	v_cmpx_gt_u32_e32 2, v0
	s_cbranch_execz .LBB77_23
; %bb.20:
	scratch_load_b64 v[32:33], v7, off
	ds_load_b64 v[34:35], v1
	s_wait_loadcnt_dscnt 0x0
	v_pk_mul_f32 v[36:37], v[34:35], v[32:33] op_sel:[1,1] op_sel_hi:[0,1]
	s_delay_alu instid0(VALU_DEP_1) | instskip(SKIP_1) | instid1(VALU_DEP_2)
	v_pk_fma_f32 v[38:39], v[34:35], v[32:33], v[36:37] op_sel_hi:[1,0,1]
	v_pk_fma_f32 v[32:33], v[34:35], v[32:33], v[36:37] neg_lo:[0,0,1] neg_hi:[0,0,1]
	v_mov_b32_e32 v33, v39
	s_delay_alu instid0(VALU_DEP_1)
	v_pk_add_f32 v[32:33], v[32:33], 0 op_sel_hi:[1,0]
	s_and_saveexec_b32 s4, s0
	s_cbranch_execz .LBB77_22
; %bb.21:
	scratch_load_b64 v[34:35], off, off offset:8
	v_mov_b32_e32 v7, 0
	ds_load_b64 v[36:37], v7 offset:120
	s_wait_loadcnt_dscnt 0x0
	v_pk_mul_f32 v[38:39], v[36:37], v[34:35] op_sel:[1,1] op_sel_hi:[0,1]
	s_delay_alu instid0(VALU_DEP_1) | instskip(SKIP_1) | instid1(VALU_DEP_2)
	v_pk_fma_f32 v[40:41], v[36:37], v[34:35], v[38:39] op_sel_hi:[1,0,1]
	v_pk_fma_f32 v[34:35], v[36:37], v[34:35], v[38:39] neg_lo:[0,0,1] neg_hi:[0,0,1]
	v_mov_b32_e32 v35, v41
	s_delay_alu instid0(VALU_DEP_1)
	v_pk_add_f32 v[32:33], v[32:33], v[34:35]
.LBB77_22:
	s_or_b32 exec_lo, exec_lo, s4
	v_mov_b32_e32 v7, 0
	ds_load_b64 v[34:35], v7 offset:16
	s_wait_dscnt 0x0
	v_pk_mul_f32 v[36:37], v[32:33], v[34:35] op_sel:[1,1] op_sel_hi:[0,1]
	s_delay_alu instid0(VALU_DEP_1) | instskip(SKIP_1) | instid1(VALU_DEP_2)
	v_pk_fma_f32 v[38:39], v[32:33], v[34:35], v[36:37] op_sel_hi:[1,0,1]
	v_pk_fma_f32 v[32:33], v[32:33], v[34:35], v[36:37] neg_lo:[0,0,1] neg_hi:[0,0,1]
	v_mov_b32_e32 v33, v39
	scratch_store_b64 off, v[32:33], off offset:16
.LBB77_23:
	s_wait_xcnt 0x0
	s_or_b32 exec_lo, exec_lo, s1
	s_wait_storecnt 0x0
	s_barrier_signal -1
	s_barrier_wait -1
	scratch_load_b64 v[32:33], off, off offset:24
	v_add_nc_u32_e32 v7, -1, v0
	s_mov_b32 s0, exec_lo
	s_wait_loadcnt 0x0
	ds_store_b64 v1, v[32:33]
	s_wait_dscnt 0x0
	s_barrier_signal -1
	s_barrier_wait -1
	v_cmpx_gt_u32_e32 3, v0
	s_cbranch_execz .LBB77_27
; %bb.24:
	v_dual_mov_b32 v32, 0 :: v_dual_add_nc_u32 v9, -1, v0
	v_add_nc_u32_e32 v11, 0x70, v30
	v_mov_b32_e32 v13, v30
	s_mov_b32 s1, 0
	s_delay_alu instid0(VALU_DEP_3)
	v_mov_b32_e32 v33, v32
.LBB77_25:                              ; =>This Inner Loop Header: Depth=1
	scratch_load_b64 v[34:35], v13, off
	ds_load_b64 v[36:37], v11
	s_wait_xcnt 0x0
	v_dual_add_nc_u32 v11, 8, v11 :: v_dual_add_nc_u32 v13, 8, v13
	s_wait_loadcnt_dscnt 0x0
	v_pk_mul_f32 v[38:39], v[36:37], v[34:35] op_sel:[1,1] op_sel_hi:[0,1]
	s_delay_alu instid0(VALU_DEP_1) | instskip(SKIP_2) | instid1(VALU_DEP_3)
	v_pk_fma_f32 v[40:41], v[36:37], v[34:35], v[38:39] op_sel_hi:[1,0,1]
	v_add_nc_u32_e32 v9, 1, v9
	v_pk_fma_f32 v[34:35], v[36:37], v[34:35], v[38:39] neg_lo:[0,0,1] neg_hi:[0,0,1]
	v_mov_b32_e32 v35, v41
	s_delay_alu instid0(VALU_DEP_3) | instskip(NEXT) | instid1(VALU_DEP_2)
	v_cmp_lt_u32_e32 vcc_lo, 1, v9
	v_pk_add_f32 v[32:33], v[32:33], v[34:35]
	s_or_b32 s1, vcc_lo, s1
	s_delay_alu instid0(SALU_CYCLE_1)
	s_and_not1_b32 exec_lo, exec_lo, s1
	s_cbranch_execnz .LBB77_25
; %bb.26:
	s_or_b32 exec_lo, exec_lo, s1
	v_mov_b32_e32 v9, 0
	ds_load_b64 v[34:35], v9 offset:24
	s_wait_dscnt 0x0
	v_pk_mul_f32 v[36:37], v[32:33], v[34:35] op_sel:[1,1] op_sel_hi:[0,1]
	s_delay_alu instid0(VALU_DEP_1) | instskip(SKIP_1) | instid1(VALU_DEP_2)
	v_pk_fma_f32 v[38:39], v[32:33], v[34:35], v[36:37] op_sel_hi:[1,0,1]
	v_pk_fma_f32 v[32:33], v[32:33], v[34:35], v[36:37] neg_lo:[0,0,1] neg_hi:[0,0,1]
	v_mov_b32_e32 v33, v39
	scratch_store_b64 off, v[32:33], off offset:24
.LBB77_27:
	s_wait_xcnt 0x0
	s_or_b32 exec_lo, exec_lo, s0
	s_wait_storecnt 0x0
	s_barrier_signal -1
	s_barrier_wait -1
	scratch_load_b64 v[32:33], off, off offset:32
	s_mov_b32 s0, exec_lo
	s_wait_loadcnt 0x0
	ds_store_b64 v1, v[32:33]
	s_wait_dscnt 0x0
	s_barrier_signal -1
	s_barrier_wait -1
	v_cmpx_gt_u32_e32 4, v0
	s_cbranch_execz .LBB77_31
; %bb.28:
	v_dual_mov_b32 v32, 0 :: v_dual_add_nc_u32 v9, -1, v0
	v_add_nc_u32_e32 v11, 0x70, v30
	v_mov_b32_e32 v13, v30
	s_mov_b32 s1, 0
	s_delay_alu instid0(VALU_DEP_3)
	v_mov_b32_e32 v33, v32
.LBB77_29:                              ; =>This Inner Loop Header: Depth=1
	scratch_load_b64 v[34:35], v13, off
	ds_load_b64 v[36:37], v11
	s_wait_xcnt 0x0
	v_dual_add_nc_u32 v11, 8, v11 :: v_dual_add_nc_u32 v13, 8, v13
	s_wait_loadcnt_dscnt 0x0
	v_pk_mul_f32 v[38:39], v[36:37], v[34:35] op_sel:[1,1] op_sel_hi:[0,1]
	s_delay_alu instid0(VALU_DEP_1) | instskip(SKIP_2) | instid1(VALU_DEP_3)
	v_pk_fma_f32 v[40:41], v[36:37], v[34:35], v[38:39] op_sel_hi:[1,0,1]
	v_add_nc_u32_e32 v9, 1, v9
	v_pk_fma_f32 v[34:35], v[36:37], v[34:35], v[38:39] neg_lo:[0,0,1] neg_hi:[0,0,1]
	v_mov_b32_e32 v35, v41
	s_delay_alu instid0(VALU_DEP_3) | instskip(NEXT) | instid1(VALU_DEP_2)
	v_cmp_lt_u32_e32 vcc_lo, 2, v9
	v_pk_add_f32 v[32:33], v[32:33], v[34:35]
	s_or_b32 s1, vcc_lo, s1
	s_delay_alu instid0(SALU_CYCLE_1)
	s_and_not1_b32 exec_lo, exec_lo, s1
	s_cbranch_execnz .LBB77_29
; %bb.30:
	s_or_b32 exec_lo, exec_lo, s1
	v_mov_b32_e32 v9, 0
	ds_load_b64 v[34:35], v9 offset:32
	s_wait_dscnt 0x0
	v_pk_mul_f32 v[36:37], v[32:33], v[34:35] op_sel:[1,1] op_sel_hi:[0,1]
	s_delay_alu instid0(VALU_DEP_1) | instskip(SKIP_1) | instid1(VALU_DEP_2)
	v_pk_fma_f32 v[38:39], v[32:33], v[34:35], v[36:37] op_sel_hi:[1,0,1]
	v_pk_fma_f32 v[32:33], v[32:33], v[34:35], v[36:37] neg_lo:[0,0,1] neg_hi:[0,0,1]
	v_mov_b32_e32 v33, v39
	scratch_store_b64 off, v[32:33], off offset:32
.LBB77_31:
	s_wait_xcnt 0x0
	s_or_b32 exec_lo, exec_lo, s0
	s_wait_storecnt 0x0
	s_barrier_signal -1
	s_barrier_wait -1
	scratch_load_b64 v[32:33], off, off offset:40
	;; [unrolled: 52-line block ×10, first 2 shown]
	s_mov_b32 s0, exec_lo
	s_wait_loadcnt 0x0
	ds_store_b64 v1, v[32:33]
	s_wait_dscnt 0x0
	s_barrier_signal -1
	s_barrier_wait -1
	v_cmpx_ne_u32_e32 13, v0
	s_cbranch_execz .LBB77_67
; %bb.64:
	v_dual_mov_b32 v32, 0 :: v_dual_mov_b32 v9, v30
	s_mov_b32 s1, 0
	s_delay_alu instid0(VALU_DEP_1)
	v_mov_b32_e32 v33, v32
.LBB77_65:                              ; =>This Inner Loop Header: Depth=1
	scratch_load_b64 v[30:31], v9, off
	ds_load_b64 v[34:35], v1
	v_add_nc_u32_e32 v1, 8, v1
	s_wait_xcnt 0x0
	v_add_nc_u32_e32 v9, 8, v9
	s_wait_loadcnt_dscnt 0x0
	v_pk_mul_f32 v[36:37], v[34:35], v[30:31] op_sel:[1,1] op_sel_hi:[0,1]
	s_delay_alu instid0(VALU_DEP_1) | instskip(SKIP_2) | instid1(VALU_DEP_3)
	v_pk_fma_f32 v[38:39], v[34:35], v[30:31], v[36:37] op_sel_hi:[1,0,1]
	v_add_nc_u32_e32 v7, 1, v7
	v_pk_fma_f32 v[30:31], v[34:35], v[30:31], v[36:37] neg_lo:[0,0,1] neg_hi:[0,0,1]
	v_mov_b32_e32 v31, v39
	s_delay_alu instid0(VALU_DEP_3) | instskip(NEXT) | instid1(VALU_DEP_2)
	v_cmp_lt_u32_e32 vcc_lo, 11, v7
	v_pk_add_f32 v[32:33], v[32:33], v[30:31]
	s_or_b32 s1, vcc_lo, s1
	s_delay_alu instid0(SALU_CYCLE_1)
	s_and_not1_b32 exec_lo, exec_lo, s1
	s_cbranch_execnz .LBB77_65
; %bb.66:
	s_or_b32 exec_lo, exec_lo, s1
	v_mov_b32_e32 v1, 0
	ds_load_b64 v[30:31], v1 offset:104
	s_wait_dscnt 0x0
	v_pk_mul_f32 v[34:35], v[32:33], v[30:31] op_sel:[1,1] op_sel_hi:[0,1]
	s_delay_alu instid0(VALU_DEP_1) | instskip(SKIP_1) | instid1(VALU_DEP_2)
	v_pk_fma_f32 v[36:37], v[32:33], v[30:31], v[34:35] op_sel_hi:[1,0,1]
	v_pk_fma_f32 v[30:31], v[32:33], v[30:31], v[34:35] neg_lo:[0,0,1] neg_hi:[0,0,1]
	v_mov_b32_e32 v31, v37
	scratch_store_b64 off, v[30:31], off offset:104
.LBB77_67:
	s_wait_xcnt 0x0
	s_or_b32 exec_lo, exec_lo, s0
	s_mov_b32 s1, -1
	s_wait_storecnt 0x0
	s_barrier_signal -1
	s_barrier_wait -1
.LBB77_68:
	s_and_b32 vcc_lo, exec_lo, s1
	s_cbranch_vccz .LBB77_70
; %bb.69:
	v_mov_b32_e32 v1, 0
	s_lshl_b64 s[0:1], s[10:11], 2
	s_delay_alu instid0(SALU_CYCLE_1)
	s_add_nc_u64 s[0:1], s[6:7], s[0:1]
	global_load_b32 v1, v1, s[0:1]
	s_wait_loadcnt 0x0
	v_cmp_ne_u32_e32 vcc_lo, 0, v1
	s_cbranch_vccz .LBB77_71
.LBB77_70:
	s_sendmsg sendmsg(MSG_DEALLOC_VGPRS)
	s_endpgm
.LBB77_71:
	s_wait_xcnt 0x0
	v_lshl_add_u32 v1, v0, 3, 0x70
	s_mov_b32 s0, exec_lo
	v_cmpx_eq_u32_e32 13, v0
	s_cbranch_execz .LBB77_73
; %bb.72:
	scratch_load_b64 v[30:31], off, off offset:96
	v_mov_b64_e32 v[32:33], 0
	scratch_store_b64 off, v[32:33], off offset:96
	s_wait_loadcnt 0x0
	ds_store_b64 v1, v[30:31]
.LBB77_73:
	s_wait_xcnt 0x0
	s_or_b32 exec_lo, exec_lo, s0
	s_wait_storecnt_dscnt 0x0
	s_barrier_signal -1
	s_barrier_wait -1
	s_clause 0x1
	scratch_load_b64 v[30:31], off, off offset:104
	scratch_load_b64 v[32:33], off, off offset:96
	v_mov_b32_e32 v7, 0
	s_mov_b32 s0, exec_lo
	ds_load_b64 v[34:35], v7 offset:216
	s_wait_loadcnt_dscnt 0x100
	v_pk_mul_f32 v[36:37], v[34:35], v[30:31] op_sel:[1,1] op_sel_hi:[0,1]
	s_delay_alu instid0(VALU_DEP_1) | instskip(SKIP_1) | instid1(VALU_DEP_2)
	v_pk_fma_f32 v[38:39], v[34:35], v[30:31], v[36:37] op_sel_hi:[1,0,1]
	v_pk_fma_f32 v[30:31], v[34:35], v[30:31], v[36:37] neg_lo:[0,0,1] neg_hi:[0,0,1]
	v_mov_b32_e32 v31, v39
	s_delay_alu instid0(VALU_DEP_1) | instskip(SKIP_1) | instid1(VALU_DEP_1)
	v_pk_add_f32 v[30:31], v[30:31], 0 op_sel_hi:[1,0]
	s_wait_loadcnt 0x0
	v_pk_add_f32 v[30:31], v[32:33], v[30:31] neg_lo:[0,1] neg_hi:[0,1]
	scratch_store_b64 off, v[30:31], off offset:96
	s_wait_xcnt 0x0
	v_cmpx_lt_u32_e32 11, v0
	s_cbranch_execz .LBB77_75
; %bb.74:
	scratch_load_b64 v[30:31], off, off offset:88
	v_mov_b64_e32 v[32:33], 0
	scratch_store_b64 off, v[32:33], off offset:88
	s_wait_loadcnt 0x0
	ds_store_b64 v1, v[30:31]
.LBB77_75:
	s_wait_xcnt 0x0
	s_or_b32 exec_lo, exec_lo, s0
	s_wait_storecnt_dscnt 0x0
	s_barrier_signal -1
	s_barrier_wait -1
	s_clause 0x1
	scratch_load_b128 v[30:33], off, off offset:96
	scratch_load_b64 v[38:39], off, off offset:88
	ds_load_b128 v[34:37], v7 offset:208
	s_mov_b32 s0, exec_lo
	s_wait_dscnt 0x0
	v_dual_mov_b32 v40, v37 :: v_dual_mov_b32 v41, v36
	s_wait_loadcnt 0x1
	v_pk_mul_f32 v[42:43], v[34:35], v[30:31] op_sel:[1,1] op_sel_hi:[0,1]
	s_delay_alu instid0(VALU_DEP_1) | instskip(SKIP_2) | instid1(VALU_DEP_3)
	v_pk_fma_f32 v[46:47], v[34:35], v[30:31], v[42:43] op_sel_hi:[1,0,1]
	v_mov_b32_e32 v44, v33
	v_pk_fma_f32 v[30:31], v[34:35], v[30:31], v[42:43] neg_lo:[0,0,1] neg_hi:[0,0,1]
	v_mov_b32_e32 v31, v47
	s_delay_alu instid0(VALU_DEP_3) | instskip(NEXT) | instid1(VALU_DEP_2)
	v_pk_mul_f32 v[40:41], v[40:41], v[44:45] op_sel_hi:[1,0]
	v_pk_add_f32 v[30:31], v[30:31], 0 op_sel_hi:[1,0]
	s_delay_alu instid0(VALU_DEP_2) | instskip(SKIP_1) | instid1(VALU_DEP_2)
	v_pk_fma_f32 v[34:35], v[36:37], v[32:33], v[40:41] op_sel_hi:[1,0,1]
	v_pk_fma_f32 v[32:33], v[36:37], v[32:33], v[40:41] neg_lo:[0,0,1] neg_hi:[0,0,1]
	v_mov_b32_e32 v33, v35
	s_delay_alu instid0(VALU_DEP_1) | instskip(SKIP_1) | instid1(VALU_DEP_1)
	v_pk_add_f32 v[30:31], v[30:31], v[32:33]
	s_wait_loadcnt 0x0
	v_pk_add_f32 v[30:31], v[38:39], v[30:31] neg_lo:[0,1] neg_hi:[0,1]
	scratch_store_b64 off, v[30:31], off offset:88
	s_wait_xcnt 0x0
	v_cmpx_lt_u32_e32 10, v0
	s_cbranch_execz .LBB77_77
; %bb.76:
	scratch_load_b64 v[30:31], off, off offset:80
	v_mov_b64_e32 v[32:33], 0
	scratch_store_b64 off, v[32:33], off offset:80
	s_wait_loadcnt 0x0
	ds_store_b64 v1, v[30:31]
.LBB77_77:
	s_wait_xcnt 0x0
	s_or_b32 exec_lo, exec_lo, s0
	s_wait_storecnt_dscnt 0x0
	s_barrier_signal -1
	s_barrier_wait -1
	s_clause 0x2
	scratch_load_b128 v[30:33], off, off offset:88
	scratch_load_b64 v[38:39], off, off offset:104
	scratch_load_b64 v[40:41], off, off offset:80
	v_mov_b32_e32 v7, 0
	ds_load_2addr_b64 v[34:37], v7 offset0:25 offset1:26
	ds_load_b64 v[42:43], v7 offset:216
	s_mov_b32 s0, exec_lo
	s_wait_dscnt 0x1
	v_dual_mov_b32 v44, v37 :: v_dual_mov_b32 v45, v36
	s_wait_loadcnt 0x2
	v_mov_b32_e32 v48, v33
	v_pk_mul_f32 v[46:47], v[34:35], v[30:31] op_sel:[1,1] op_sel_hi:[0,1]
	s_delay_alu instid0(VALU_DEP_2) | instskip(NEXT) | instid1(VALU_DEP_2)
	v_pk_mul_f32 v[44:45], v[44:45], v[48:49] op_sel_hi:[1,0]
	v_pk_fma_f32 v[50:51], v[34:35], v[30:31], v[46:47] op_sel_hi:[1,0,1]
	v_pk_fma_f32 v[30:31], v[34:35], v[30:31], v[46:47] neg_lo:[0,0,1] neg_hi:[0,0,1]
	s_wait_loadcnt_dscnt 0x100
	v_pk_mul_f32 v[46:47], v[42:43], v[38:39] op_sel:[1,1] op_sel_hi:[0,1]
	v_pk_fma_f32 v[34:35], v[36:37], v[32:33], v[44:45] op_sel_hi:[1,0,1]
	v_mov_b32_e32 v31, v51
	v_pk_fma_f32 v[32:33], v[36:37], v[32:33], v[44:45] neg_lo:[0,0,1] neg_hi:[0,0,1]
	s_delay_alu instid0(VALU_DEP_4) | instskip(NEXT) | instid1(VALU_DEP_4)
	v_pk_fma_f32 v[36:37], v[42:43], v[38:39], v[46:47] neg_lo:[0,0,1] neg_hi:[0,0,1]
	v_mov_b32_e32 v33, v35
	s_delay_alu instid0(VALU_DEP_4) | instskip(SKIP_1) | instid1(VALU_DEP_2)
	v_pk_add_f32 v[30:31], v[30:31], 0 op_sel_hi:[1,0]
	v_pk_fma_f32 v[34:35], v[42:43], v[38:39], v[46:47] op_sel_hi:[1,0,1]
	v_pk_add_f32 v[30:31], v[30:31], v[32:33]
	s_delay_alu instid0(VALU_DEP_2) | instskip(NEXT) | instid1(VALU_DEP_1)
	v_mov_b32_e32 v37, v35
	v_pk_add_f32 v[30:31], v[30:31], v[36:37]
	s_wait_loadcnt 0x0
	s_delay_alu instid0(VALU_DEP_1)
	v_pk_add_f32 v[30:31], v[40:41], v[30:31] neg_lo:[0,1] neg_hi:[0,1]
	scratch_store_b64 off, v[30:31], off offset:80
	s_wait_xcnt 0x0
	v_cmpx_lt_u32_e32 9, v0
	s_cbranch_execz .LBB77_79
; %bb.78:
	scratch_load_b64 v[30:31], off, off offset:72
	v_mov_b64_e32 v[32:33], 0
	scratch_store_b64 off, v[32:33], off offset:72
	s_wait_loadcnt 0x0
	ds_store_b64 v1, v[30:31]
.LBB77_79:
	s_wait_xcnt 0x0
	s_or_b32 exec_lo, exec_lo, s0
	s_wait_storecnt_dscnt 0x0
	s_barrier_signal -1
	s_barrier_wait -1
	s_clause 0x2
	scratch_load_b128 v[30:33], off, off offset:80
	scratch_load_b128 v[34:37], off, off offset:96
	scratch_load_b64 v[46:47], off, off offset:72
	ds_load_b128 v[38:41], v7 offset:192
	ds_load_b128 v[42:45], v7 offset:208
	s_mov_b32 s0, exec_lo
	s_wait_dscnt 0x1
	v_dual_mov_b32 v48, v41 :: v_dual_mov_b32 v49, v40
	s_wait_loadcnt_dscnt 0x200
	v_dual_mov_b32 v54, v45 :: v_dual_mov_b32 v52, v33
	v_pk_mul_f32 v[50:51], v[38:39], v[30:31] op_sel:[1,1] op_sel_hi:[0,1]
	s_delay_alu instid0(VALU_DEP_2) | instskip(NEXT) | instid1(VALU_DEP_2)
	v_pk_mul_f32 v[48:49], v[48:49], v[52:53] op_sel_hi:[1,0]
	v_pk_fma_f32 v[56:57], v[38:39], v[30:31], v[50:51] op_sel_hi:[1,0,1]
	v_pk_fma_f32 v[30:31], v[38:39], v[30:31], v[50:51] neg_lo:[0,0,1] neg_hi:[0,0,1]
	v_mov_b32_e32 v55, v44
	s_wait_loadcnt 0x1
	v_pk_mul_f32 v[52:53], v[42:43], v[34:35] op_sel:[1,1] op_sel_hi:[0,1]
	v_pk_fma_f32 v[38:39], v[40:41], v[32:33], v[48:49] op_sel_hi:[1,0,1]
	v_dual_mov_b32 v31, v57 :: v_dual_mov_b32 v38, v37
	v_pk_fma_f32 v[32:33], v[40:41], v[32:33], v[48:49] neg_lo:[0,0,1] neg_hi:[0,0,1]
	s_delay_alu instid0(VALU_DEP_4) | instskip(NEXT) | instid1(VALU_DEP_4)
	v_pk_fma_f32 v[50:51], v[42:43], v[34:35], v[52:53] op_sel_hi:[1,0,1]
	v_mov_b32_e32 v33, v39
	s_delay_alu instid0(VALU_DEP_4) | instskip(SKIP_2) | instid1(VALU_DEP_3)
	v_pk_add_f32 v[30:31], v[30:31], 0 op_sel_hi:[1,0]
	v_pk_mul_f32 v[38:39], v[54:55], v[38:39] op_sel_hi:[1,0]
	v_pk_fma_f32 v[34:35], v[42:43], v[34:35], v[52:53] neg_lo:[0,0,1] neg_hi:[0,0,1]
	v_pk_add_f32 v[30:31], v[30:31], v[32:33]
	s_delay_alu instid0(VALU_DEP_3) | instskip(SKIP_2) | instid1(VALU_DEP_3)
	v_pk_fma_f32 v[32:33], v[44:45], v[36:37], v[38:39] op_sel_hi:[1,0,1]
	v_mov_b32_e32 v35, v51
	v_pk_fma_f32 v[36:37], v[44:45], v[36:37], v[38:39] neg_lo:[0,0,1] neg_hi:[0,0,1]
	v_mov_b32_e32 v37, v33
	s_delay_alu instid0(VALU_DEP_3) | instskip(NEXT) | instid1(VALU_DEP_1)
	v_pk_add_f32 v[30:31], v[30:31], v[34:35]
	v_pk_add_f32 v[30:31], v[30:31], v[36:37]
	s_wait_loadcnt 0x0
	s_delay_alu instid0(VALU_DEP_1)
	v_pk_add_f32 v[30:31], v[46:47], v[30:31] neg_lo:[0,1] neg_hi:[0,1]
	scratch_store_b64 off, v[30:31], off offset:72
	s_wait_xcnt 0x0
	v_cmpx_lt_u32_e32 8, v0
	s_cbranch_execz .LBB77_81
; %bb.80:
	scratch_load_b64 v[30:31], off, off offset:64
	v_mov_b64_e32 v[32:33], 0
	scratch_store_b64 off, v[32:33], off offset:64
	s_wait_loadcnt 0x0
	ds_store_b64 v1, v[30:31]
.LBB77_81:
	s_wait_xcnt 0x0
	s_or_b32 exec_lo, exec_lo, s0
	s_wait_storecnt_dscnt 0x0
	s_barrier_signal -1
	s_barrier_wait -1
	s_clause 0x3
	scratch_load_b128 v[30:33], off, off offset:72
	scratch_load_b128 v[34:37], off, off offset:88
	scratch_load_b64 v[46:47], off, off offset:104
	scratch_load_b64 v[48:49], off, off offset:64
	v_mov_b32_e32 v7, 0
	ds_load_2addr_b64 v[38:41], v7 offset0:23 offset1:24
	ds_load_2addr_b64 v[42:45], v7 offset0:25 offset1:26
	s_mov_b32 s0, exec_lo
	s_wait_dscnt 0x1
	v_dual_mov_b32 v50, v41 :: v_dual_mov_b32 v51, v40
	ds_load_b64 v[56:57], v7 offset:216
	s_wait_dscnt 0x1
	v_dual_mov_b32 v58, v45 :: v_dual_mov_b32 v59, v44
	s_wait_loadcnt 0x3
	v_pk_mul_f32 v[52:53], v[38:39], v[30:31] op_sel:[1,1] op_sel_hi:[0,1]
	v_mov_b32_e32 v54, v33
	s_delay_alu instid0(VALU_DEP_2) | instskip(NEXT) | instid1(VALU_DEP_2)
	v_pk_fma_f32 v[60:61], v[38:39], v[30:31], v[52:53] op_sel_hi:[1,0,1]
	v_pk_mul_f32 v[50:51], v[50:51], v[54:55] op_sel_hi:[1,0]
	v_pk_fma_f32 v[30:31], v[38:39], v[30:31], v[52:53] neg_lo:[0,0,1] neg_hi:[0,0,1]
	s_wait_loadcnt 0x2
	v_pk_mul_f32 v[54:55], v[42:43], v[34:35] op_sel:[1,1] op_sel_hi:[0,1]
	v_dual_mov_b32 v60, v37 :: v_dual_mov_b32 v31, v61
	v_pk_fma_f32 v[38:39], v[40:41], v[32:33], v[50:51] op_sel_hi:[1,0,1]
	v_pk_fma_f32 v[32:33], v[40:41], v[32:33], v[50:51] neg_lo:[0,0,1] neg_hi:[0,0,1]
	s_delay_alu instid0(VALU_DEP_4) | instskip(NEXT) | instid1(VALU_DEP_4)
	v_pk_fma_f32 v[52:53], v[42:43], v[34:35], v[54:55] op_sel_hi:[1,0,1]
	v_pk_mul_f32 v[58:59], v[58:59], v[60:61] op_sel_hi:[1,0]
	v_pk_add_f32 v[30:31], v[30:31], 0 op_sel_hi:[1,0]
	v_mov_b32_e32 v33, v39
	v_pk_fma_f32 v[34:35], v[42:43], v[34:35], v[54:55] neg_lo:[0,0,1] neg_hi:[0,0,1]
	v_mov_b32_e32 v35, v53
	v_pk_fma_f32 v[38:39], v[44:45], v[36:37], v[58:59] op_sel_hi:[1,0,1]
	v_pk_fma_f32 v[36:37], v[44:45], v[36:37], v[58:59] neg_lo:[0,0,1] neg_hi:[0,0,1]
	v_pk_add_f32 v[30:31], v[30:31], v[32:33]
	s_wait_loadcnt_dscnt 0x100
	v_pk_mul_f32 v[32:33], v[56:57], v[46:47] op_sel:[1,1] op_sel_hi:[0,1]
	s_delay_alu instid0(VALU_DEP_2) | instskip(NEXT) | instid1(VALU_DEP_2)
	v_pk_add_f32 v[30:31], v[30:31], v[34:35]
	v_pk_fma_f32 v[34:35], v[56:57], v[46:47], v[32:33] op_sel_hi:[1,0,1]
	v_mov_b32_e32 v37, v39
	v_pk_fma_f32 v[32:33], v[56:57], v[46:47], v[32:33] neg_lo:[0,0,1] neg_hi:[0,0,1]
	s_delay_alu instid0(VALU_DEP_3) | instskip(NEXT) | instid1(VALU_DEP_3)
	v_mov_b32_e32 v33, v35
	v_pk_add_f32 v[30:31], v[30:31], v[36:37]
	s_delay_alu instid0(VALU_DEP_1) | instskip(SKIP_1) | instid1(VALU_DEP_1)
	v_pk_add_f32 v[30:31], v[30:31], v[32:33]
	s_wait_loadcnt 0x0
	v_pk_add_f32 v[30:31], v[48:49], v[30:31] neg_lo:[0,1] neg_hi:[0,1]
	scratch_store_b64 off, v[30:31], off offset:64
	s_wait_xcnt 0x0
	v_cmpx_lt_u32_e32 7, v0
	s_cbranch_execz .LBB77_83
; %bb.82:
	scratch_load_b64 v[30:31], off, off offset:56
	v_mov_b64_e32 v[32:33], 0
	scratch_store_b64 off, v[32:33], off offset:56
	s_wait_loadcnt 0x0
	ds_store_b64 v1, v[30:31]
.LBB77_83:
	s_wait_xcnt 0x0
	s_or_b32 exec_lo, exec_lo, s0
	s_wait_storecnt_dscnt 0x0
	s_barrier_signal -1
	s_barrier_wait -1
	s_clause 0x3
	scratch_load_b128 v[30:33], off, off offset:64
	scratch_load_b128 v[34:37], off, off offset:80
	;; [unrolled: 1-line block ×3, first 2 shown]
	scratch_load_b64 v[54:55], off, off offset:56
	ds_load_b128 v[42:45], v7 offset:176
	ds_load_b128 v[46:49], v7 offset:192
	;; [unrolled: 1-line block ×3, first 2 shown]
	s_mov_b32 s0, exec_lo
	s_wait_dscnt 0x2
	v_dual_mov_b32 v56, v45 :: v_dual_mov_b32 v57, v44
	s_wait_dscnt 0x1
	v_dual_mov_b32 v58, v49 :: v_dual_mov_b32 v59, v48
	s_wait_dscnt 0x0
	v_dual_mov_b32 v64, v53 :: v_dual_mov_b32 v65, v52
	s_wait_loadcnt 0x3
	v_pk_mul_f32 v[60:61], v[42:43], v[30:31] op_sel:[1,1] op_sel_hi:[0,1]
	v_mov_b32_e32 v62, v33
	s_delay_alu instid0(VALU_DEP_2) | instskip(NEXT) | instid1(VALU_DEP_2)
	v_pk_fma_f32 v[66:67], v[42:43], v[30:31], v[60:61] op_sel_hi:[1,0,1]
	v_pk_mul_f32 v[56:57], v[56:57], v[62:63] op_sel_hi:[1,0]
	v_pk_fma_f32 v[30:31], v[42:43], v[30:31], v[60:61] neg_lo:[0,0,1] neg_hi:[0,0,1]
	s_wait_loadcnt 0x2
	v_pk_mul_f32 v[62:63], v[46:47], v[34:35] op_sel:[1,1] op_sel_hi:[0,1]
	v_mov_b32_e32 v66, v37
	v_pk_fma_f32 v[42:43], v[44:45], v[32:33], v[56:57] op_sel_hi:[1,0,1]
	v_mov_b32_e32 v31, v67
	v_pk_fma_f32 v[32:33], v[44:45], v[32:33], v[56:57] neg_lo:[0,0,1] neg_hi:[0,0,1]
	v_pk_fma_f32 v[60:61], v[46:47], v[34:35], v[62:63] op_sel_hi:[1,0,1]
	v_pk_mul_f32 v[58:59], v[58:59], v[66:67] op_sel_hi:[1,0]
	v_mov_b32_e32 v33, v43
	v_pk_add_f32 v[30:31], v[30:31], 0 op_sel_hi:[1,0]
	v_pk_fma_f32 v[34:35], v[46:47], v[34:35], v[62:63] neg_lo:[0,0,1] neg_hi:[0,0,1]
	s_wait_loadcnt 0x1
	v_pk_mul_f32 v[42:43], v[50:51], v[38:39] op_sel:[1,1] op_sel_hi:[0,1]
	v_mov_b32_e32 v35, v61
	v_pk_fma_f32 v[44:45], v[48:49], v[36:37], v[58:59] op_sel_hi:[1,0,1]
	v_pk_add_f32 v[30:31], v[30:31], v[32:33]
	v_mov_b32_e32 v32, v41
	v_pk_fma_f32 v[36:37], v[48:49], v[36:37], v[58:59] neg_lo:[0,0,1] neg_hi:[0,0,1]
	v_pk_fma_f32 v[46:47], v[50:51], v[38:39], v[42:43] op_sel_hi:[1,0,1]
	v_mov_b32_e32 v37, v45
	v_pk_add_f32 v[30:31], v[30:31], v[34:35]
	v_pk_mul_f32 v[32:33], v[64:65], v[32:33] op_sel_hi:[1,0]
	v_pk_fma_f32 v[34:35], v[50:51], v[38:39], v[42:43] neg_lo:[0,0,1] neg_hi:[0,0,1]
	v_mov_b32_e32 v35, v47
	s_delay_alu instid0(VALU_DEP_4) | instskip(NEXT) | instid1(VALU_DEP_4)
	v_pk_add_f32 v[30:31], v[30:31], v[36:37]
	v_pk_fma_f32 v[36:37], v[52:53], v[40:41], v[32:33] op_sel_hi:[1,0,1]
	v_pk_fma_f32 v[32:33], v[52:53], v[40:41], v[32:33] neg_lo:[0,0,1] neg_hi:[0,0,1]
	s_delay_alu instid0(VALU_DEP_3) | instskip(NEXT) | instid1(VALU_DEP_3)
	v_pk_add_f32 v[30:31], v[30:31], v[34:35]
	v_mov_b32_e32 v33, v37
	s_delay_alu instid0(VALU_DEP_1) | instskip(SKIP_1) | instid1(VALU_DEP_1)
	v_pk_add_f32 v[30:31], v[30:31], v[32:33]
	s_wait_loadcnt 0x0
	v_pk_add_f32 v[30:31], v[54:55], v[30:31] neg_lo:[0,1] neg_hi:[0,1]
	scratch_store_b64 off, v[30:31], off offset:56
	s_wait_xcnt 0x0
	v_cmpx_lt_u32_e32 6, v0
	s_cbranch_execz .LBB77_85
; %bb.84:
	scratch_load_b64 v[30:31], off, off offset:48
	v_mov_b64_e32 v[32:33], 0
	scratch_store_b64 off, v[32:33], off offset:48
	s_wait_loadcnt 0x0
	ds_store_b64 v1, v[30:31]
.LBB77_85:
	s_wait_xcnt 0x0
	s_or_b32 exec_lo, exec_lo, s0
	s_wait_storecnt_dscnt 0x0
	s_barrier_signal -1
	s_barrier_wait -1
	s_clause 0x4
	scratch_load_b128 v[30:33], off, off offset:56
	scratch_load_b128 v[34:37], off, off offset:72
	;; [unrolled: 1-line block ×3, first 2 shown]
	scratch_load_b64 v[54:55], off, off offset:104
	scratch_load_b64 v[56:57], off, off offset:48
	v_mov_b32_e32 v7, 0
	ds_load_2addr_b64 v[42:45], v7 offset0:21 offset1:22
	ds_load_2addr_b64 v[46:49], v7 offset0:23 offset1:24
	;; [unrolled: 1-line block ×3, first 2 shown]
	ds_load_b64 v[58:59], v7 offset:216
	s_mov_b32 s0, exec_lo
	s_wait_dscnt 0x3
	v_dual_mov_b32 v60, v45 :: v_dual_mov_b32 v61, v44
	s_wait_dscnt 0x2
	v_dual_mov_b32 v62, v49 :: v_dual_mov_b32 v63, v48
	;; [unrolled: 2-line block ×3, first 2 shown]
	s_wait_loadcnt 0x4
	v_pk_mul_f32 v[64:65], v[42:43], v[30:31] op_sel:[1,1] op_sel_hi:[0,1]
	v_mov_b32_e32 v66, v33
	s_wait_loadcnt 0x3
	v_pk_mul_f32 v[70:71], v[46:47], v[34:35] op_sel:[1,1] op_sel_hi:[0,1]
	s_wait_loadcnt 0x2
	v_pk_mul_f32 v[74:75], v[50:51], v[38:39] op_sel:[1,1] op_sel_hi:[0,1]
	v_pk_fma_f32 v[72:73], v[42:43], v[30:31], v[64:65] op_sel_hi:[1,0,1]
	v_pk_mul_f32 v[60:61], v[60:61], v[66:67] op_sel_hi:[1,0]
	v_pk_fma_f32 v[30:31], v[42:43], v[30:31], v[64:65] neg_lo:[0,0,1] neg_hi:[0,0,1]
	v_mov_b32_e32 v66, v37
	v_pk_fma_f32 v[64:65], v[46:47], v[34:35], v[70:71] op_sel_hi:[1,0,1]
	v_mov_b32_e32 v31, v73
	v_pk_fma_f32 v[42:43], v[44:45], v[32:33], v[60:61] op_sel_hi:[1,0,1]
	v_pk_fma_f32 v[32:33], v[44:45], v[32:33], v[60:61] neg_lo:[0,0,1] neg_hi:[0,0,1]
	v_pk_mul_f32 v[62:63], v[62:63], v[66:67] op_sel_hi:[1,0]
	v_pk_fma_f32 v[34:35], v[46:47], v[34:35], v[70:71] neg_lo:[0,0,1] neg_hi:[0,0,1]
	v_pk_add_f32 v[30:31], v[30:31], 0 op_sel_hi:[1,0]
	v_dual_mov_b32 v33, v43 :: v_dual_mov_b32 v42, v41
	s_delay_alu instid0(VALU_DEP_4) | instskip(SKIP_2) | instid1(VALU_DEP_4)
	v_pk_fma_f32 v[44:45], v[48:49], v[36:37], v[62:63] op_sel_hi:[1,0,1]
	v_mov_b32_e32 v35, v65
	v_pk_fma_f32 v[36:37], v[48:49], v[36:37], v[62:63] neg_lo:[0,0,1] neg_hi:[0,0,1]
	v_pk_add_f32 v[30:31], v[30:31], v[32:33]
	v_pk_fma_f32 v[32:33], v[50:51], v[38:39], v[74:75] op_sel_hi:[1,0,1]
	v_pk_mul_f32 v[42:43], v[68:69], v[42:43] op_sel_hi:[1,0]
	v_mov_b32_e32 v37, v45
	s_delay_alu instid0(VALU_DEP_4)
	v_pk_add_f32 v[30:31], v[30:31], v[34:35]
	v_pk_fma_f32 v[34:35], v[50:51], v[38:39], v[74:75] neg_lo:[0,0,1] neg_hi:[0,0,1]
	v_mov_b32_e32 v35, v33
	v_pk_fma_f32 v[32:33], v[52:53], v[40:41], v[42:43] op_sel_hi:[1,0,1]
	v_pk_fma_f32 v[38:39], v[52:53], v[40:41], v[42:43] neg_lo:[0,0,1] neg_hi:[0,0,1]
	v_pk_add_f32 v[30:31], v[30:31], v[36:37]
	s_wait_loadcnt_dscnt 0x100
	v_pk_mul_f32 v[36:37], v[58:59], v[54:55] op_sel:[1,1] op_sel_hi:[0,1]
	v_mov_b32_e32 v39, v33
	s_delay_alu instid0(VALU_DEP_3) | instskip(NEXT) | instid1(VALU_DEP_3)
	v_pk_add_f32 v[30:31], v[30:31], v[34:35]
	v_pk_fma_f32 v[32:33], v[58:59], v[54:55], v[36:37] op_sel_hi:[1,0,1]
	v_pk_fma_f32 v[34:35], v[58:59], v[54:55], v[36:37] neg_lo:[0,0,1] neg_hi:[0,0,1]
	s_delay_alu instid0(VALU_DEP_3) | instskip(NEXT) | instid1(VALU_DEP_3)
	v_pk_add_f32 v[30:31], v[30:31], v[38:39]
	v_mov_b32_e32 v35, v33
	s_delay_alu instid0(VALU_DEP_1) | instskip(SKIP_1) | instid1(VALU_DEP_1)
	v_pk_add_f32 v[30:31], v[30:31], v[34:35]
	s_wait_loadcnt 0x0
	v_pk_add_f32 v[30:31], v[56:57], v[30:31] neg_lo:[0,1] neg_hi:[0,1]
	scratch_store_b64 off, v[30:31], off offset:48
	s_wait_xcnt 0x0
	v_cmpx_lt_u32_e32 5, v0
	s_cbranch_execz .LBB77_87
; %bb.86:
	scratch_load_b64 v[30:31], off, off offset:40
	v_mov_b64_e32 v[32:33], 0
	scratch_store_b64 off, v[32:33], off offset:40
	s_wait_loadcnt 0x0
	ds_store_b64 v1, v[30:31]
.LBB77_87:
	s_wait_xcnt 0x0
	s_or_b32 exec_lo, exec_lo, s0
	s_wait_storecnt_dscnt 0x0
	s_barrier_signal -1
	s_barrier_wait -1
	s_clause 0x4
	scratch_load_b128 v[30:33], off, off offset:48
	scratch_load_b128 v[34:37], off, off offset:64
	;; [unrolled: 1-line block ×4, first 2 shown]
	scratch_load_b64 v[62:63], off, off offset:40
	ds_load_b128 v[46:49], v7 offset:160
	ds_load_b128 v[50:53], v7 offset:176
	;; [unrolled: 1-line block ×4, first 2 shown]
	s_mov_b32 s0, exec_lo
	s_wait_dscnt 0x3
	v_dual_mov_b32 v64, v49 :: v_dual_mov_b32 v65, v48
	s_wait_dscnt 0x2
	v_dual_mov_b32 v66, v53 :: v_dual_mov_b32 v67, v52
	;; [unrolled: 2-line block ×3, first 2 shown]
	v_dual_mov_b32 v69, v56 :: v_dual_mov_b32 v74, v61
	s_wait_loadcnt 0x4
	v_mov_b32_e32 v72, v33
	v_pk_mul_f32 v[70:71], v[46:47], v[30:31] op_sel:[1,1] op_sel_hi:[0,1]
	s_wait_loadcnt 0x3
	v_pk_mul_f32 v[76:77], v[50:51], v[34:35] op_sel:[1,1] op_sel_hi:[0,1]
	s_wait_loadcnt 0x2
	v_pk_mul_f32 v[80:81], v[54:55], v[38:39] op_sel:[1,1] op_sel_hi:[0,1]
	v_pk_mul_f32 v[64:65], v[64:65], v[72:73] op_sel_hi:[1,0]
	v_pk_fma_f32 v[78:79], v[46:47], v[30:31], v[70:71] op_sel_hi:[1,0,1]
	v_pk_fma_f32 v[30:31], v[46:47], v[30:31], v[70:71] neg_lo:[0,0,1] neg_hi:[0,0,1]
	v_mov_b32_e32 v72, v37
	v_pk_fma_f32 v[70:71], v[50:51], v[34:35], v[76:77] op_sel_hi:[1,0,1]
	v_pk_fma_f32 v[46:47], v[48:49], v[32:33], v[64:65] op_sel_hi:[1,0,1]
	v_mov_b32_e32 v31, v79
	v_pk_fma_f32 v[32:33], v[48:49], v[32:33], v[64:65] neg_lo:[0,0,1] neg_hi:[0,0,1]
	v_pk_mul_f32 v[66:67], v[66:67], v[72:73] op_sel_hi:[1,0]
	s_delay_alu instid0(VALU_DEP_4) | instskip(NEXT) | instid1(VALU_DEP_4)
	v_dual_mov_b32 v46, v41 :: v_dual_mov_b32 v33, v47
	v_pk_add_f32 v[30:31], v[30:31], 0 op_sel_hi:[1,0]
	v_pk_fma_f32 v[34:35], v[50:51], v[34:35], v[76:77] neg_lo:[0,0,1] neg_hi:[0,0,1]
	v_mov_b32_e32 v35, v71
	v_pk_fma_f32 v[48:49], v[52:53], v[36:37], v[66:67] op_sel_hi:[1,0,1]
	v_pk_mul_f32 v[46:47], v[68:69], v[46:47] op_sel_hi:[1,0]
	v_pk_add_f32 v[30:31], v[30:31], v[32:33]
	v_pk_fma_f32 v[32:33], v[54:55], v[38:39], v[80:81] op_sel_hi:[1,0,1]
	v_pk_fma_f32 v[36:37], v[52:53], v[36:37], v[66:67] neg_lo:[0,0,1] neg_hi:[0,0,1]
	v_mov_b32_e32 v37, v49
	v_pk_fma_f32 v[38:39], v[54:55], v[38:39], v[80:81] neg_lo:[0,0,1] neg_hi:[0,0,1]
	v_pk_add_f32 v[30:31], v[30:31], v[34:35]
	v_mov_b32_e32 v39, v33
	v_pk_fma_f32 v[32:33], v[56:57], v[40:41], v[46:47] op_sel_hi:[1,0,1]
	s_wait_loadcnt 0x1
	v_pk_mul_f32 v[34:35], v[58:59], v[42:43] op_sel:[1,1] op_sel_hi:[0,1]
	v_mov_b32_e32 v32, v45
	v_pk_add_f32 v[30:31], v[30:31], v[36:37]
	v_pk_fma_f32 v[40:41], v[56:57], v[40:41], v[46:47] neg_lo:[0,0,1] neg_hi:[0,0,1]
	v_mov_b32_e32 v41, v33
	v_pk_fma_f32 v[36:37], v[58:59], v[42:43], v[34:35] op_sel_hi:[1,0,1]
	v_pk_mul_f32 v[32:33], v[74:75], v[32:33] op_sel_hi:[1,0]
	v_pk_add_f32 v[30:31], v[30:31], v[38:39]
	v_pk_fma_f32 v[34:35], v[58:59], v[42:43], v[34:35] neg_lo:[0,0,1] neg_hi:[0,0,1]
	s_delay_alu instid0(VALU_DEP_4) | instskip(NEXT) | instid1(VALU_DEP_4)
	v_mov_b32_e32 v35, v37
	v_pk_fma_f32 v[36:37], v[60:61], v[44:45], v[32:33] op_sel_hi:[1,0,1]
	s_delay_alu instid0(VALU_DEP_4) | instskip(SKIP_1) | instid1(VALU_DEP_3)
	v_pk_add_f32 v[30:31], v[30:31], v[40:41]
	v_pk_fma_f32 v[32:33], v[60:61], v[44:45], v[32:33] neg_lo:[0,0,1] neg_hi:[0,0,1]
	v_mov_b32_e32 v33, v37
	s_delay_alu instid0(VALU_DEP_3) | instskip(NEXT) | instid1(VALU_DEP_1)
	v_pk_add_f32 v[30:31], v[30:31], v[34:35]
	v_pk_add_f32 v[30:31], v[30:31], v[32:33]
	s_wait_loadcnt 0x0
	s_delay_alu instid0(VALU_DEP_1)
	v_pk_add_f32 v[30:31], v[62:63], v[30:31] neg_lo:[0,1] neg_hi:[0,1]
	scratch_store_b64 off, v[30:31], off offset:40
	s_wait_xcnt 0x0
	v_cmpx_lt_u32_e32 4, v0
	s_cbranch_execz .LBB77_89
; %bb.88:
	scratch_load_b64 v[30:31], off, off offset:32
	v_mov_b64_e32 v[32:33], 0
	scratch_store_b64 off, v[32:33], off offset:32
	s_wait_loadcnt 0x0
	ds_store_b64 v1, v[30:31]
.LBB77_89:
	s_wait_xcnt 0x0
	s_or_b32 exec_lo, exec_lo, s0
	s_wait_storecnt_dscnt 0x0
	s_barrier_signal -1
	s_barrier_wait -1
	s_clause 0x5
	scratch_load_b128 v[30:33], off, off offset:40
	scratch_load_b128 v[34:37], off, off offset:56
	;; [unrolled: 1-line block ×4, first 2 shown]
	scratch_load_b64 v[62:63], off, off offset:104
	scratch_load_b64 v[64:65], off, off offset:32
	v_mov_b32_e32 v7, 0
	ds_load_2addr_b64 v[46:49], v7 offset0:19 offset1:20
	ds_load_2addr_b64 v[50:53], v7 offset0:21 offset1:22
	;; [unrolled: 1-line block ×4, first 2 shown]
	ds_load_b64 v[66:67], v7 offset:216
	s_mov_b32 s0, exec_lo
	s_wait_dscnt 0x4
	v_dual_mov_b32 v68, v49 :: v_dual_mov_b32 v69, v48
	s_wait_dscnt 0x1
	v_dual_mov_b32 v70, v53 :: v_dual_mov_b32 v75, v60
	v_dual_mov_b32 v71, v52 :: v_dual_mov_b32 v72, v57
	;; [unrolled: 1-line block ×3, first 2 shown]
	s_wait_loadcnt 0x5
	v_dual_mov_b32 v76, v33 :: v_dual_mul_f32 v77, v46, v31
	v_mul_f32_e32 v9, v47, v31
	s_wait_loadcnt 0x4
	v_pk_mul_f32 v[78:79], v[50:51], v[34:35] op_sel:[1,1] op_sel_hi:[0,1]
	v_mov_b32_e32 v80, v37
	s_wait_loadcnt 0x3
	v_pk_mul_f32 v[82:83], v[54:55], v[38:39] op_sel:[1,1] op_sel_hi:[0,1]
	v_pk_mul_f32 v[68:69], v[68:69], v[76:77] op_sel_hi:[1,0]
	v_fmac_f32_e32 v77, v47, v30
	v_dual_fma_f32 v76, v46, v30, -v9 :: v_dual_mov_b32 v30, v41
	v_pk_fma_f32 v[84:85], v[50:51], v[34:35], v[78:79] op_sel_hi:[1,0,1]
	s_delay_alu instid0(VALU_DEP_4)
	v_pk_fma_f32 v[46:47], v[48:49], v[32:33], v[68:69] op_sel_hi:[1,0,1]
	v_pk_fma_f32 v[32:33], v[48:49], v[32:33], v[68:69] neg_lo:[0,0,1] neg_hi:[0,0,1]
	v_pk_mul_f32 v[70:71], v[70:71], v[80:81] op_sel_hi:[1,0]
	v_pk_add_f32 v[76:77], v[76:77], 0 op_sel_hi:[1,0]
	v_pk_fma_f32 v[34:35], v[50:51], v[34:35], v[78:79] neg_lo:[0,0,1] neg_hi:[0,0,1]
	v_dual_mov_b32 v33, v47 :: v_dual_mov_b32 v35, v85
	s_delay_alu instid0(VALU_DEP_4) | instskip(SKIP_2) | instid1(VALU_DEP_4)
	v_pk_fma_f32 v[48:49], v[52:53], v[36:37], v[70:71] op_sel_hi:[1,0,1]
	v_pk_fma_f32 v[36:37], v[52:53], v[36:37], v[70:71] neg_lo:[0,0,1] neg_hi:[0,0,1]
	v_pk_fma_f32 v[50:51], v[54:55], v[38:39], v[82:83] op_sel_hi:[1,0,1]
	v_pk_add_f32 v[32:33], v[76:77], v[32:33]
	v_pk_mul_f32 v[30:31], v[72:73], v[30:31] op_sel_hi:[1,0]
	v_mov_b32_e32 v37, v49
	v_pk_fma_f32 v[38:39], v[54:55], v[38:39], v[82:83] neg_lo:[0,0,1] neg_hi:[0,0,1]
	s_wait_loadcnt 0x2
	v_pk_mul_f32 v[46:47], v[58:59], v[42:43] op_sel:[1,1] op_sel_hi:[0,1]
	v_pk_add_f32 v[32:33], v[32:33], v[34:35]
	v_mov_b32_e32 v34, v45
	v_pk_fma_f32 v[48:49], v[56:57], v[40:41], v[30:31] op_sel_hi:[1,0,1]
	v_mov_b32_e32 v39, v51
	v_pk_fma_f32 v[30:31], v[56:57], v[40:41], v[30:31] neg_lo:[0,0,1] neg_hi:[0,0,1]
	v_pk_add_f32 v[32:33], v[32:33], v[36:37]
	v_pk_fma_f32 v[36:37], v[58:59], v[42:43], v[46:47] op_sel_hi:[1,0,1]
	v_pk_mul_f32 v[34:35], v[74:75], v[34:35] op_sel_hi:[1,0]
	v_mov_b32_e32 v31, v49
	s_delay_alu instid0(VALU_DEP_4)
	v_pk_add_f32 v[32:33], v[32:33], v[38:39]
	v_pk_fma_f32 v[38:39], v[58:59], v[42:43], v[46:47] neg_lo:[0,0,1] neg_hi:[0,0,1]
	v_mov_b32_e32 v39, v37
	v_pk_fma_f32 v[36:37], v[60:61], v[44:45], v[34:35] op_sel_hi:[1,0,1]
	v_pk_fma_f32 v[34:35], v[60:61], v[44:45], v[34:35] neg_lo:[0,0,1] neg_hi:[0,0,1]
	v_pk_add_f32 v[30:31], v[32:33], v[30:31]
	s_wait_loadcnt_dscnt 0x100
	v_pk_mul_f32 v[32:33], v[66:67], v[62:63] op_sel:[1,1] op_sel_hi:[0,1]
	v_mov_b32_e32 v35, v37
	s_delay_alu instid0(VALU_DEP_3) | instskip(NEXT) | instid1(VALU_DEP_3)
	v_pk_add_f32 v[30:31], v[30:31], v[38:39]
	v_pk_fma_f32 v[36:37], v[66:67], v[62:63], v[32:33] op_sel_hi:[1,0,1]
	v_pk_fma_f32 v[32:33], v[66:67], v[62:63], v[32:33] neg_lo:[0,0,1] neg_hi:[0,0,1]
	s_delay_alu instid0(VALU_DEP_3) | instskip(NEXT) | instid1(VALU_DEP_3)
	v_pk_add_f32 v[30:31], v[30:31], v[34:35]
	v_mov_b32_e32 v33, v37
	s_delay_alu instid0(VALU_DEP_1) | instskip(SKIP_1) | instid1(VALU_DEP_1)
	v_pk_add_f32 v[30:31], v[30:31], v[32:33]
	s_wait_loadcnt 0x0
	v_pk_add_f32 v[30:31], v[64:65], v[30:31] neg_lo:[0,1] neg_hi:[0,1]
	scratch_store_b64 off, v[30:31], off offset:32
	s_wait_xcnt 0x0
	v_cmpx_lt_u32_e32 3, v0
	s_cbranch_execz .LBB77_91
; %bb.90:
	scratch_load_b64 v[30:31], off, off offset:24
	v_mov_b64_e32 v[32:33], 0
	scratch_store_b64 off, v[32:33], off offset:24
	s_wait_loadcnt 0x0
	ds_store_b64 v1, v[30:31]
.LBB77_91:
	s_wait_xcnt 0x0
	s_or_b32 exec_lo, exec_lo, s0
	s_wait_storecnt_dscnt 0x0
	s_barrier_signal -1
	s_barrier_wait -1
	s_clause 0x5
	scratch_load_b128 v[30:33], off, off offset:32
	scratch_load_b128 v[34:37], off, off offset:48
	;; [unrolled: 1-line block ×5, first 2 shown]
	scratch_load_b64 v[70:71], off, off offset:24
	ds_load_b128 v[50:53], v7 offset:160
	ds_load_b128 v[54:57], v7 offset:176
	;; [unrolled: 1-line block ×5, first 2 shown]
	s_mov_b32 s0, exec_lo
	s_wait_dscnt 0x4
	v_dual_mov_b32 v72, v53 :: v_dual_mov_b32 v73, v52
	s_wait_dscnt 0x3
	v_dual_mov_b32 v74, v57 :: v_dual_mov_b32 v75, v56
	;; [unrolled: 2-line block ×4, first 2 shown]
	s_wait_loadcnt_dscnt 0x500
	v_dual_mul_f32 v81, v66, v31 :: v_dual_mul_f32 v83, v68, v33
	v_dual_mul_f32 v7, v67, v31 :: v_dual_mul_f32 v9, v69, v33
	s_wait_loadcnt 0x4
	v_pk_mul_f32 v[84:85], v[50:51], v[34:35] op_sel:[1,1] op_sel_hi:[0,1]
	s_wait_loadcnt 0x3
	v_dual_mov_b32 v86, v37 :: v_dual_mov_b32 v90, v41
	v_dual_fmac_f32 v81, v67, v30 :: v_dual_fma_f32 v80, v66, v30, -v7
	v_dual_fmac_f32 v83, v69, v32 :: v_dual_fma_f32 v82, v68, v32, -v9
	v_pk_fma_f32 v[30:31], v[50:51], v[34:35], v[84:85] op_sel_hi:[1,0,1]
	s_delay_alu instid0(VALU_DEP_4) | instskip(NEXT) | instid1(VALU_DEP_4)
	v_pk_mul_f32 v[32:33], v[72:73], v[86:87] op_sel_hi:[1,0]
	v_pk_add_f32 v[66:67], v[80:81], 0 op_sel_hi:[1,0]
	v_pk_fma_f32 v[34:35], v[50:51], v[34:35], v[84:85] neg_lo:[0,0,1] neg_hi:[0,0,1]
	v_pk_mul_f32 v[88:89], v[54:55], v[38:39] op_sel:[1,1] op_sel_hi:[0,1]
	v_mov_b32_e32 v35, v31
	v_pk_fma_f32 v[30:31], v[52:53], v[36:37], v[32:33] op_sel_hi:[1,0,1]
	v_pk_add_f32 v[50:51], v[66:67], v[82:83]
	v_pk_fma_f32 v[32:33], v[52:53], v[36:37], v[32:33] neg_lo:[0,0,1] neg_hi:[0,0,1]
	v_pk_fma_f32 v[66:67], v[54:55], v[38:39], v[88:89] op_sel_hi:[1,0,1]
	v_pk_mul_f32 v[72:73], v[74:75], v[90:91] op_sel_hi:[1,0]
	v_mov_b32_e32 v33, v31
	v_pk_add_f32 v[30:31], v[50:51], v[34:35]
	s_wait_loadcnt 0x2
	v_pk_mul_f32 v[68:69], v[58:59], v[42:43] op_sel:[1,1] op_sel_hi:[0,1]
	v_mov_b32_e32 v34, v45
	v_pk_fma_f32 v[36:37], v[54:55], v[38:39], v[88:89] neg_lo:[0,0,1] neg_hi:[0,0,1]
	v_mov_b32_e32 v37, v67
	v_pk_fma_f32 v[38:39], v[56:57], v[40:41], v[72:73] op_sel_hi:[1,0,1]
	v_pk_add_f32 v[30:31], v[30:31], v[32:33]
	v_pk_fma_f32 v[32:33], v[58:59], v[42:43], v[68:69] op_sel_hi:[1,0,1]
	v_pk_mul_f32 v[34:35], v[76:77], v[34:35] op_sel_hi:[1,0]
	v_pk_fma_f32 v[40:41], v[56:57], v[40:41], v[72:73] neg_lo:[0,0,1] neg_hi:[0,0,1]
	v_mov_b32_e32 v41, v39
	v_pk_add_f32 v[30:31], v[30:31], v[36:37]
	v_pk_fma_f32 v[38:39], v[58:59], v[42:43], v[68:69] neg_lo:[0,0,1] neg_hi:[0,0,1]
	v_mov_b32_e32 v39, v33
	v_pk_fma_f32 v[32:33], v[60:61], v[44:45], v[34:35] op_sel_hi:[1,0,1]
	s_wait_loadcnt 0x1
	v_pk_mul_f32 v[36:37], v[62:63], v[46:47] op_sel:[1,1] op_sel_hi:[0,1]
	v_pk_add_f32 v[30:31], v[30:31], v[40:41]
	v_mov_b32_e32 v32, v49
	v_pk_fma_f32 v[34:35], v[60:61], v[44:45], v[34:35] neg_lo:[0,0,1] neg_hi:[0,0,1]
	v_mov_b32_e32 v35, v33
	v_pk_fma_f32 v[40:41], v[62:63], v[46:47], v[36:37] op_sel_hi:[1,0,1]
	v_pk_add_f32 v[30:31], v[30:31], v[38:39]
	v_pk_mul_f32 v[32:33], v[78:79], v[32:33] op_sel_hi:[1,0]
	v_pk_fma_f32 v[36:37], v[62:63], v[46:47], v[36:37] neg_lo:[0,0,1] neg_hi:[0,0,1]
	s_delay_alu instid0(VALU_DEP_3) | instskip(NEXT) | instid1(VALU_DEP_3)
	v_pk_add_f32 v[30:31], v[30:31], v[34:35]
	v_pk_fma_f32 v[34:35], v[64:65], v[48:49], v[32:33] op_sel_hi:[1,0,1]
	v_mov_b32_e32 v37, v41
	v_pk_fma_f32 v[32:33], v[64:65], v[48:49], v[32:33] neg_lo:[0,0,1] neg_hi:[0,0,1]
	s_delay_alu instid0(VALU_DEP_3) | instskip(NEXT) | instid1(VALU_DEP_3)
	v_mov_b32_e32 v33, v35
	v_pk_add_f32 v[30:31], v[30:31], v[36:37]
	s_delay_alu instid0(VALU_DEP_1) | instskip(SKIP_1) | instid1(VALU_DEP_1)
	v_pk_add_f32 v[30:31], v[30:31], v[32:33]
	s_wait_loadcnt 0x0
	v_pk_add_f32 v[30:31], v[70:71], v[30:31] neg_lo:[0,1] neg_hi:[0,1]
	scratch_store_b64 off, v[30:31], off offset:24
	s_wait_xcnt 0x0
	v_cmpx_lt_u32_e32 2, v0
	s_cbranch_execz .LBB77_93
; %bb.92:
	scratch_load_b64 v[30:31], off, off offset:16
	v_mov_b64_e32 v[32:33], 0
	scratch_store_b64 off, v[32:33], off offset:16
	s_wait_loadcnt 0x0
	ds_store_b64 v1, v[30:31]
.LBB77_93:
	s_wait_xcnt 0x0
	s_or_b32 exec_lo, exec_lo, s0
	s_wait_storecnt_dscnt 0x0
	s_barrier_signal -1
	s_barrier_wait -1
	s_clause 0x6
	scratch_load_b128 v[30:33], off, off offset:24
	scratch_load_b128 v[34:37], off, off offset:40
	scratch_load_b128 v[38:41], off, off offset:56
	scratch_load_b128 v[42:45], off, off offset:72
	scratch_load_b128 v[46:49], off, off offset:88
	scratch_load_b64 v[70:71], off, off offset:104
	scratch_load_b64 v[72:73], off, off offset:16
	v_mov_b32_e32 v7, 0
	ds_load_2addr_b64 v[50:53], v7 offset0:19 offset1:20
	ds_load_2addr_b64 v[54:57], v7 offset0:21 offset1:22
	ds_load_2addr_b64 v[58:61], v7 offset0:23 offset1:24
	ds_load_2addr_b64 v[62:65], v7 offset0:25 offset1:26
	ds_load_2addr_b64 v[66:69], v7 offset0:17 offset1:18
	ds_load_b64 v[74:75], v7 offset:216
	s_mov_b32 s0, exec_lo
	s_wait_dscnt 0x5
	v_dual_mov_b32 v76, v53 :: v_dual_mov_b32 v77, v52
	s_wait_dscnt 0x2
	v_dual_mov_b32 v78, v57 :: v_dual_mov_b32 v83, v64
	v_dual_mov_b32 v79, v56 :: v_dual_mov_b32 v80, v61
	;; [unrolled: 1-line block ×3, first 2 shown]
	s_wait_loadcnt_dscnt 0x601
	v_dual_mul_f32 v9, v66, v31 :: v_dual_mul_f32 v11, v67, v31
	v_dual_mul_f32 v13, v69, v33 :: v_dual_mul_f32 v85, v68, v33
	s_wait_loadcnt 0x5
	v_dual_mul_f32 v87, v50, v35 :: v_dual_mul_f32 v15, v51, v35
	s_wait_loadcnt 0x4
	v_dual_mov_b32 v86, v37 :: v_dual_mov_b32 v90, v41
	v_dual_fmac_f32 v9, v67, v30 :: v_dual_fma_f32 v11, v66, v30, -v11
	v_fmac_f32_e32 v85, v69, v32
	v_pk_mul_f32 v[88:89], v[54:55], v[38:39] op_sel:[1,1] op_sel_hi:[0,1]
	s_delay_alu instid0(VALU_DEP_3)
	v_dual_fma_f32 v84, v68, v32, -v13 :: v_dual_add_f32 v33, 0, v9
	v_pk_mul_f32 v[30:31], v[76:77], v[86:87] op_sel_hi:[1,0]
	s_wait_loadcnt 0x3
	v_dual_add_f32 v32, 0, v11 :: v_dual_mov_b32 v66, v45
	v_fmac_f32_e32 v87, v51, v34
	v_fma_f32 v86, v50, v34, -v15
	v_pk_fma_f32 v[34:35], v[52:53], v[36:37], v[30:31] op_sel_hi:[1,0,1]
	s_delay_alu instid0(VALU_DEP_4) | instskip(SKIP_4) | instid1(VALU_DEP_4)
	v_pk_add_f32 v[32:33], v[32:33], v[84:85]
	v_pk_fma_f32 v[50:51], v[54:55], v[38:39], v[88:89] op_sel_hi:[1,0,1]
	v_pk_fma_f32 v[30:31], v[52:53], v[36:37], v[30:31] neg_lo:[0,0,1] neg_hi:[0,0,1]
	v_pk_fma_f32 v[36:37], v[54:55], v[38:39], v[88:89] neg_lo:[0,0,1] neg_hi:[0,0,1]
	v_pk_mul_f32 v[68:69], v[78:79], v[90:91] op_sel_hi:[1,0]
	v_dual_mov_b32 v31, v35 :: v_dual_mov_b32 v37, v51
	v_pk_add_f32 v[32:33], v[32:33], v[86:87]
	v_pk_mul_f32 v[92:93], v[58:59], v[42:43] op_sel:[1,1] op_sel_hi:[0,1]
	s_delay_alu instid0(VALU_DEP_4)
	v_pk_fma_f32 v[38:39], v[56:57], v[40:41], v[68:69] op_sel_hi:[1,0,1]
	v_pk_fma_f32 v[40:41], v[56:57], v[40:41], v[68:69] neg_lo:[0,0,1] neg_hi:[0,0,1]
	v_pk_mul_f32 v[50:51], v[80:81], v[66:67] op_sel_hi:[1,0]
	v_pk_add_f32 v[30:31], v[32:33], v[30:31]
	v_pk_fma_f32 v[32:33], v[58:59], v[42:43], v[92:93] op_sel_hi:[1,0,1]
	s_wait_loadcnt 0x2
	v_dual_mov_b32 v41, v39 :: v_dual_mov_b32 v32, v49
	v_pk_mul_f32 v[34:35], v[62:63], v[46:47] op_sel:[1,1] op_sel_hi:[0,1]
	v_pk_add_f32 v[30:31], v[30:31], v[36:37]
	v_pk_fma_f32 v[36:37], v[58:59], v[42:43], v[92:93] neg_lo:[0,0,1] neg_hi:[0,0,1]
	v_pk_fma_f32 v[38:39], v[60:61], v[44:45], v[50:51] op_sel_hi:[1,0,1]
	v_mov_b32_e32 v37, v33
	v_pk_fma_f32 v[42:43], v[60:61], v[44:45], v[50:51] neg_lo:[0,0,1] neg_hi:[0,0,1]
	v_pk_add_f32 v[30:31], v[30:31], v[40:41]
	v_pk_fma_f32 v[40:41], v[62:63], v[46:47], v[34:35] op_sel_hi:[1,0,1]
	v_pk_mul_f32 v[32:33], v[82:83], v[32:33] op_sel_hi:[1,0]
	v_mov_b32_e32 v43, v39
	v_pk_fma_f32 v[34:35], v[62:63], v[46:47], v[34:35] neg_lo:[0,0,1] neg_hi:[0,0,1]
	v_pk_add_f32 v[30:31], v[30:31], v[36:37]
	s_wait_loadcnt_dscnt 0x100
	v_pk_mul_f32 v[38:39], v[74:75], v[70:71] op_sel:[1,1] op_sel_hi:[0,1]
	v_pk_fma_f32 v[36:37], v[64:65], v[48:49], v[32:33] op_sel_hi:[1,0,1]
	v_mov_b32_e32 v35, v41
	v_pk_fma_f32 v[32:33], v[64:65], v[48:49], v[32:33] neg_lo:[0,0,1] neg_hi:[0,0,1]
	v_pk_add_f32 v[30:31], v[30:31], v[42:43]
	s_delay_alu instid0(VALU_DEP_4) | instskip(SKIP_1) | instid1(VALU_DEP_3)
	v_mov_b32_e32 v33, v37
	v_pk_fma_f32 v[36:37], v[74:75], v[70:71], v[38:39] neg_lo:[0,0,1] neg_hi:[0,0,1]
	v_pk_add_f32 v[30:31], v[30:31], v[34:35]
	v_pk_fma_f32 v[34:35], v[74:75], v[70:71], v[38:39] op_sel_hi:[1,0,1]
	s_delay_alu instid0(VALU_DEP_2) | instskip(NEXT) | instid1(VALU_DEP_2)
	v_pk_add_f32 v[30:31], v[30:31], v[32:33]
	v_mov_b32_e32 v37, v35
	s_delay_alu instid0(VALU_DEP_1) | instskip(SKIP_1) | instid1(VALU_DEP_1)
	v_pk_add_f32 v[30:31], v[30:31], v[36:37]
	s_wait_loadcnt 0x0
	v_pk_add_f32 v[30:31], v[72:73], v[30:31] neg_lo:[0,1] neg_hi:[0,1]
	scratch_store_b64 off, v[30:31], off offset:16
	s_wait_xcnt 0x0
	v_cmpx_lt_u32_e32 1, v0
	s_cbranch_execz .LBB77_95
; %bb.94:
	scratch_load_b64 v[30:31], off, off offset:8
	v_mov_b64_e32 v[32:33], 0
	scratch_store_b64 off, v[32:33], off offset:8
	s_wait_loadcnt 0x0
	ds_store_b64 v1, v[30:31]
.LBB77_95:
	s_wait_xcnt 0x0
	s_or_b32 exec_lo, exec_lo, s0
	s_wait_storecnt_dscnt 0x0
	s_barrier_signal -1
	s_barrier_wait -1
	s_clause 0x6
	scratch_load_b128 v[30:33], off, off offset:16
	scratch_load_b128 v[34:37], off, off offset:32
	;; [unrolled: 1-line block ×6, first 2 shown]
	scratch_load_b64 v[78:79], off, off offset:8
	ds_load_b128 v[54:57], v7 offset:160
	ds_load_b128 v[58:61], v7 offset:176
	;; [unrolled: 1-line block ×6, first 2 shown]
	v_ashrrev_i32_e32 v7, 31, v6
	v_dual_ashrrev_i32 v23, 31, v22 :: v_dual_ashrrev_i32 v25, 31, v24
	v_dual_ashrrev_i32 v27, 31, v26 :: v_dual_ashrrev_i32 v29, 31, v28
	s_mov_b32 s0, exec_lo
	s_wait_dscnt 0x5
	v_dual_mov_b32 v80, v57 :: v_dual_ashrrev_i32 v21, 31, v20
	s_wait_dscnt 0x4
	v_dual_mov_b32 v81, v56 :: v_dual_mov_b32 v82, v61
	s_wait_dscnt 0x2
	v_dual_mov_b32 v87, v68 :: v_dual_mov_b32 v83, v60
	v_dual_mov_b32 v84, v65 :: v_dual_mov_b32 v85, v64
	s_wait_loadcnt_dscnt 0x601
	v_dual_mov_b32 v86, v69 :: v_dual_mul_f32 v9, v70, v31
	s_wait_loadcnt_dscnt 0x500
	v_dual_mul_f32 v91, v76, v37 :: v_dual_mul_f32 v13, v71, v31
	v_dual_mul_f32 v11, v72, v33 :: v_dual_mul_f32 v89, v74, v35
	;; [unrolled: 1-line block ×3, first 2 shown]
	v_dual_mul_f32 v19, v77, v37 :: v_dual_fmac_f32 v9, v71, v30
	s_wait_loadcnt 0x4
	v_dual_mov_b32 v94, v41 :: v_dual_fma_f32 v13, v70, v30, -v13
	v_fmac_f32_e32 v11, v73, v32
	s_delay_alu instid0(VALU_DEP_3) | instskip(SKIP_1) | instid1(VALU_DEP_4)
	v_dual_fma_f32 v15, v72, v32, -v15 :: v_dual_add_f32 v9, 0, v9
	v_pk_mul_f32 v[92:93], v[54:55], v[38:39] op_sel:[1,1] op_sel_hi:[0,1]
	v_add_f32_e32 v13, 0, v13
	s_wait_loadcnt 0x3
	v_pk_mul_f32 v[30:31], v[58:59], v[42:43] op_sel:[1,1] op_sel_hi:[0,1]
	v_dual_mov_b32 v32, v45 :: v_dual_fma_f32 v88, v74, v34, -v17
	v_dual_fmac_f32 v89, v75, v34 :: v_dual_add_f32 v35, v9, v11
	v_dual_add_f32 v34, v13, v15 :: v_dual_fma_f32 v90, v76, v36, -v19
	v_fmac_f32_e32 v91, v77, v36
	v_pk_fma_f32 v[36:37], v[54:55], v[38:39], v[92:93] op_sel_hi:[1,0,1]
	v_pk_mul_f32 v[70:71], v[80:81], v[94:95] op_sel_hi:[1,0]
	s_delay_alu instid0(VALU_DEP_4)
	v_pk_add_f32 v[34:35], v[34:35], v[88:89]
	v_pk_fma_f32 v[38:39], v[54:55], v[38:39], v[92:93] neg_lo:[0,0,1] neg_hi:[0,0,1]
	v_pk_fma_f32 v[54:55], v[58:59], v[42:43], v[30:31] op_sel_hi:[1,0,1]
	v_pk_fma_f32 v[30:31], v[58:59], v[42:43], v[30:31] neg_lo:[0,0,1] neg_hi:[0,0,1]
	v_mov_b32_e32 v39, v37
	v_pk_fma_f32 v[36:37], v[56:57], v[40:41], v[70:71] op_sel_hi:[1,0,1]
	v_pk_fma_f32 v[40:41], v[56:57], v[40:41], v[70:71] neg_lo:[0,0,1] neg_hi:[0,0,1]
	v_mov_b32_e32 v31, v55
	v_pk_add_f32 v[34:35], v[34:35], v[90:91]
	v_pk_mul_f32 v[32:33], v[82:83], v[32:33] op_sel_hi:[1,0]
	v_mov_b32_e32 v41, v37
	s_wait_loadcnt 0x2
	v_pk_mul_f32 v[72:73], v[62:63], v[46:47] op_sel:[1,1] op_sel_hi:[0,1]
	v_dual_ashrrev_i32 v15, 31, v14 :: v_dual_ashrrev_i32 v17, 31, v16
	v_pk_add_f32 v[34:35], v[34:35], v[38:39]
	v_pk_fma_f32 v[38:39], v[60:61], v[44:45], v[32:33] op_sel_hi:[1,0,1]
	v_mov_b32_e32 v36, v49
	v_pk_fma_f32 v[32:33], v[60:61], v[44:45], v[32:33] neg_lo:[0,0,1] neg_hi:[0,0,1]
	v_ashrrev_i32_e32 v9, 31, v8
	v_pk_add_f32 v[34:35], v[34:35], v[40:41]
	v_pk_fma_f32 v[40:41], v[62:63], v[46:47], v[72:73] op_sel_hi:[1,0,1]
	v_mov_b32_e32 v33, v39
	v_pk_mul_f32 v[36:37], v[84:85], v[36:37] op_sel_hi:[1,0]
	v_pk_fma_f32 v[38:39], v[62:63], v[46:47], v[72:73] neg_lo:[0,0,1] neg_hi:[0,0,1]
	v_pk_add_f32 v[30:31], v[34:35], v[30:31]
	s_wait_loadcnt 0x1
	v_pk_mul_f32 v[34:35], v[66:67], v[50:51] op_sel:[1,1] op_sel_hi:[0,1]
	v_mov_b32_e32 v39, v41
	v_pk_fma_f32 v[40:41], v[64:65], v[48:49], v[36:37] op_sel_hi:[1,0,1]
	v_pk_fma_f32 v[36:37], v[64:65], v[48:49], v[36:37] neg_lo:[0,0,1] neg_hi:[0,0,1]
	v_pk_add_f32 v[30:31], v[30:31], v[32:33]
	v_mov_b32_e32 v32, v53
	v_pk_fma_f32 v[42:43], v[66:67], v[50:51], v[34:35] op_sel_hi:[1,0,1]
	v_mov_b32_e32 v37, v41
	v_pk_fma_f32 v[34:35], v[66:67], v[50:51], v[34:35] neg_lo:[0,0,1] neg_hi:[0,0,1]
	v_pk_add_f32 v[30:31], v[30:31], v[38:39]
	v_pk_mul_f32 v[32:33], v[86:87], v[32:33] op_sel_hi:[1,0]
	v_dual_mov_b32 v35, v43 :: v_dual_ashrrev_i32 v11, 31, v10
	v_ashrrev_i32_e32 v19, 31, v18
	s_delay_alu instid0(VALU_DEP_4) | instskip(NEXT) | instid1(VALU_DEP_4)
	v_pk_add_f32 v[30:31], v[30:31], v[36:37]
	v_pk_fma_f32 v[36:37], v[68:69], v[52:53], v[32:33] op_sel_hi:[1,0,1]
	v_pk_fma_f32 v[32:33], v[68:69], v[52:53], v[32:33] neg_lo:[0,0,1] neg_hi:[0,0,1]
	v_ashrrev_i32_e32 v13, 31, v12
	s_delay_alu instid0(VALU_DEP_4) | instskip(NEXT) | instid1(VALU_DEP_4)
	v_pk_add_f32 v[30:31], v[30:31], v[34:35]
	v_mov_b32_e32 v33, v37
	s_delay_alu instid0(VALU_DEP_1) | instskip(SKIP_1) | instid1(VALU_DEP_1)
	v_pk_add_f32 v[30:31], v[30:31], v[32:33]
	s_wait_loadcnt 0x0
	v_pk_add_f32 v[30:31], v[78:79], v[30:31] neg_lo:[0,1] neg_hi:[0,1]
	scratch_store_b64 off, v[30:31], off offset:8
	s_wait_xcnt 0x0
	v_cmpx_ne_u32_e32 0, v0
	s_cbranch_execz .LBB77_97
; %bb.96:
	scratch_load_b64 v[30:31], off, off
	v_mov_b64_e32 v[32:33], 0
	scratch_store_b64 off, v[32:33], off
	s_wait_loadcnt 0x0
	ds_store_b64 v1, v[30:31]
.LBB77_97:
	s_wait_xcnt 0x0
	s_or_b32 exec_lo, exec_lo, s0
	s_wait_storecnt_dscnt 0x0
	s_barrier_signal -1
	s_barrier_wait -1
	s_clause 0x7
	scratch_load_b128 v[32:35], off, off offset:8
	scratch_load_b128 v[36:39], off, off offset:24
	;; [unrolled: 1-line block ×6, first 2 shown]
	scratch_load_b64 v[0:1], off, off offset:104
	scratch_load_b64 v[80:81], off, off
	v_mov_b32_e32 v30, 0
	ds_load_2addr_b64 v[56:59], v30 offset0:19 offset1:20
	ds_load_2addr_b64 v[60:63], v30 offset0:21 offset1:22
	;; [unrolled: 1-line block ×6, first 2 shown]
	ds_load_b64 v[82:83], v30 offset:216
	s_and_b32 vcc_lo, exec_lo, s12
	s_wait_dscnt 0x6
	v_dual_mov_b32 v84, v59 :: v_dual_mov_b32 v85, v58
	s_wait_dscnt 0x3
	v_dual_mov_b32 v86, v63 :: v_dual_mov_b32 v91, v70
	v_dual_mov_b32 v87, v62 :: v_dual_mov_b32 v88, v67
	v_dual_mov_b32 v89, v66 :: v_dual_mov_b32 v90, v71
	s_wait_loadcnt_dscnt 0x702
	v_dual_mul_f32 v31, v72, v33 :: v_dual_mul_f32 v33, v73, v33
	s_wait_loadcnt_dscnt 0x601
	v_dual_mul_f32 v92, v74, v35 :: v_dual_mul_f32 v98, v76, v37
	s_delay_alu instid0(VALU_DEP_2) | instskip(NEXT) | instid1(VALU_DEP_3)
	v_dual_mul_f32 v35, v75, v35 :: v_dual_fmac_f32 v31, v73, v32
	v_dual_fma_f32 v33, v72, v32, -v33 :: v_dual_mul_f32 v93, v78, v39
	s_wait_loadcnt 0x5
	v_mul_f32_e32 v95, v56, v41
	v_dual_mul_f32 v37, v77, v37 :: v_dual_mul_f32 v39, v79, v39
	s_wait_loadcnt 0x4
	v_dual_mov_b32 v32, v47 :: v_dual_fma_f32 v72, v74, v34, -v35
	v_dual_fmac_f32 v92, v75, v34 :: v_dual_add_f32 v31, 0, v31
	v_dual_add_f32 v33, 0, v33 :: v_dual_fmac_f32 v98, v77, v36
	v_dual_mul_f32 v41, v57, v41 :: v_dual_mov_b32 v94, v43
	v_fma_f32 v73, v76, v36, -v37
	s_delay_alu instid0(VALU_DEP_3) | instskip(SKIP_1) | instid1(VALU_DEP_4)
	v_dual_add_f32 v33, v33, v72 :: v_dual_fmac_f32 v93, v79, v38
	v_dual_add_f32 v31, v31, v92 :: v_dual_fma_f32 v92, v78, v38, -v39
	v_pk_mul_f32 v[36:37], v[84:85], v[94:95] op_sel_hi:[1,0]
	s_delay_alu instid0(VALU_DEP_3) | instskip(SKIP_1) | instid1(VALU_DEP_4)
	v_add_f32_e32 v38, v33, v73
	v_pk_mul_f32 v[96:97], v[60:61], v[44:45] op_sel:[1,1] op_sel_hi:[0,1]
	v_dual_add_f32 v39, v31, v98 :: v_dual_fmac_f32 v95, v57, v40
	s_wait_loadcnt 0x3
	v_dual_mov_b32 v72, v51 :: v_dual_fma_f32 v94, v56, v40, -v41
	v_pk_fma_f32 v[40:41], v[58:59], v[42:43], v[36:37] op_sel_hi:[1,0,1]
	s_delay_alu instid0(VALU_DEP_3)
	v_pk_add_f32 v[38:39], v[38:39], v[92:93]
	v_pk_fma_f32 v[36:37], v[58:59], v[42:43], v[36:37] neg_lo:[0,0,1] neg_hi:[0,0,1]
	v_pk_fma_f32 v[56:57], v[60:61], v[44:45], v[96:97] op_sel_hi:[1,0,1]
	v_pk_mul_f32 v[32:33], v[86:87], v[32:33] op_sel_hi:[1,0]
	v_mov_b32_e32 v37, v41
	v_pk_add_f32 v[38:39], v[38:39], v[94:95]
	v_pk_fma_f32 v[42:43], v[60:61], v[44:45], v[96:97] neg_lo:[0,0,1] neg_hi:[0,0,1]
	v_pk_mul_f32 v[34:35], v[64:65], v[48:49] op_sel:[1,1] op_sel_hi:[0,1]
	v_mov_b32_e32 v43, v57
	v_pk_fma_f32 v[44:45], v[62:63], v[46:47], v[32:33] op_sel_hi:[1,0,1]
	v_pk_add_f32 v[36:37], v[38:39], v[36:37]
	v_pk_fma_f32 v[32:33], v[62:63], v[46:47], v[32:33] neg_lo:[0,0,1] neg_hi:[0,0,1]
	v_pk_fma_f32 v[38:39], v[64:65], v[48:49], v[34:35] op_sel_hi:[1,0,1]
	v_pk_mul_f32 v[56:57], v[88:89], v[72:73] op_sel_hi:[1,0]
	s_wait_loadcnt 0x2
	v_dual_mov_b32 v33, v45 :: v_dual_mov_b32 v38, v55
	v_pk_add_f32 v[36:37], v[36:37], v[42:43]
	v_pk_fma_f32 v[34:35], v[64:65], v[48:49], v[34:35] neg_lo:[0,0,1] neg_hi:[0,0,1]
	v_pk_mul_f32 v[40:41], v[68:69], v[52:53] op_sel:[1,1] op_sel_hi:[0,1]
	v_pk_fma_f32 v[42:43], v[66:67], v[50:51], v[56:57] op_sel_hi:[1,0,1]
	v_mov_b32_e32 v35, v39
	v_pk_add_f32 v[32:33], v[36:37], v[32:33]
	v_pk_fma_f32 v[44:45], v[66:67], v[50:51], v[56:57] neg_lo:[0,0,1] neg_hi:[0,0,1]
	v_pk_fma_f32 v[36:37], v[68:69], v[52:53], v[40:41] op_sel_hi:[1,0,1]
	v_pk_mul_f32 v[38:39], v[90:91], v[38:39] op_sel_hi:[1,0]
	v_mov_b32_e32 v45, v43
	v_pk_add_f32 v[32:33], v[32:33], v[34:35]
	v_pk_fma_f32 v[40:41], v[68:69], v[52:53], v[40:41] neg_lo:[0,0,1] neg_hi:[0,0,1]
	s_wait_loadcnt_dscnt 0x100
	v_pk_mul_f32 v[34:35], v[82:83], v[0:1] op_sel:[1,1] op_sel_hi:[0,1]
	v_mov_b32_e32 v41, v37
	v_pk_fma_f32 v[36:37], v[70:71], v[54:55], v[38:39] op_sel_hi:[1,0,1]
	v_pk_add_f32 v[32:33], v[32:33], v[44:45]
	v_pk_fma_f32 v[38:39], v[70:71], v[54:55], v[38:39] neg_lo:[0,0,1] neg_hi:[0,0,1]
	v_pk_fma_f32 v[42:43], v[82:83], v[0:1], v[34:35] op_sel_hi:[1,0,1]
	v_pk_fma_f32 v[0:1], v[82:83], v[0:1], v[34:35] neg_lo:[0,0,1] neg_hi:[0,0,1]
	v_mov_b32_e32 v39, v37
	v_pk_add_f32 v[32:33], v[32:33], v[40:41]
	s_delay_alu instid0(VALU_DEP_4) | instskip(NEXT) | instid1(VALU_DEP_2)
	v_mov_b32_e32 v1, v43
	v_pk_add_f32 v[32:33], v[32:33], v[38:39]
	s_delay_alu instid0(VALU_DEP_1) | instskip(SKIP_1) | instid1(VALU_DEP_1)
	v_pk_add_f32 v[0:1], v[32:33], v[0:1]
	s_wait_loadcnt 0x0
	v_pk_add_f32 v[0:1], v[80:81], v[0:1] neg_lo:[0,1] neg_hi:[0,1]
	scratch_store_b64 off, v[0:1], off
	s_cbranch_vccz .LBB77_124
; %bb.98:
	global_load_b32 v0, v30, s[8:9] offset:48
	s_wait_loadcnt 0x0
	v_cmp_ne_u32_e32 vcc_lo, 13, v0
	s_cbranch_vccz .LBB77_100
; %bb.99:
	v_lshlrev_b32_e32 v0, 3, v0
	s_delay_alu instid0(VALU_DEP_1)
	v_mov_b32_e32 v32, v0
	scratch_load_b64 v[0:1], v32, off offset:-8
	scratch_load_b64 v[30:31], off, off offset:96
	s_wait_loadcnt 0x1
	scratch_store_b64 off, v[0:1], off offset:96
	s_wait_loadcnt 0x0
	scratch_store_b64 v32, v[30:31], off offset:-8
.LBB77_100:
	s_wait_xcnt 0x1
	v_mov_b32_e32 v0, 0
	global_load_b32 v1, v0, s[8:9] offset:44
	s_wait_loadcnt 0x0
	v_cmp_eq_u32_e32 vcc_lo, 12, v1
	s_cbranch_vccnz .LBB77_102
; %bb.101:
	v_lshlrev_b32_e32 v1, 3, v1
	scratch_load_b64 v[30:31], v1, off offset:-8
	scratch_load_b64 v[32:33], off, off offset:88
	s_wait_loadcnt 0x1
	scratch_store_b64 off, v[30:31], off offset:88
	s_wait_loadcnt 0x0
	scratch_store_b64 v1, v[32:33], off offset:-8
.LBB77_102:
	global_load_b32 v0, v0, s[8:9] offset:40
	s_wait_loadcnt 0x0
	v_cmp_eq_u32_e32 vcc_lo, 11, v0
	s_cbranch_vccnz .LBB77_104
; %bb.103:
	s_wait_xcnt 0x0
	v_lshlrev_b32_e32 v0, 3, v0
	s_delay_alu instid0(VALU_DEP_1)
	v_mov_b32_e32 v32, v0
	scratch_load_b64 v[0:1], v32, off offset:-8
	scratch_load_b64 v[30:31], off, off offset:80
	s_wait_loadcnt 0x1
	scratch_store_b64 off, v[0:1], off offset:80
	s_wait_loadcnt 0x0
	scratch_store_b64 v32, v[30:31], off offset:-8
.LBB77_104:
	s_wait_xcnt 0x0
	v_mov_b32_e32 v0, 0
	global_load_b32 v1, v0, s[8:9] offset:36
	s_wait_loadcnt 0x0
	v_cmp_eq_u32_e32 vcc_lo, 10, v1
	s_cbranch_vccnz .LBB77_106
; %bb.105:
	v_lshlrev_b32_e32 v1, 3, v1
	scratch_load_b64 v[30:31], v1, off offset:-8
	scratch_load_b64 v[32:33], off, off offset:72
	s_wait_loadcnt 0x1
	scratch_store_b64 off, v[30:31], off offset:72
	s_wait_loadcnt 0x0
	scratch_store_b64 v1, v[32:33], off offset:-8
.LBB77_106:
	global_load_b32 v0, v0, s[8:9] offset:32
	s_wait_loadcnt 0x0
	v_cmp_eq_u32_e32 vcc_lo, 9, v0
	s_cbranch_vccnz .LBB77_108
; %bb.107:
	s_wait_xcnt 0x0
	v_lshlrev_b32_e32 v0, 3, v0
	s_delay_alu instid0(VALU_DEP_1)
	v_mov_b32_e32 v32, v0
	scratch_load_b64 v[0:1], v32, off offset:-8
	scratch_load_b64 v[30:31], off, off offset:64
	s_wait_loadcnt 0x1
	scratch_store_b64 off, v[0:1], off offset:64
	s_wait_loadcnt 0x0
	scratch_store_b64 v32, v[30:31], off offset:-8
.LBB77_108:
	;; [unrolled: 31-line block ×5, first 2 shown]
	s_wait_xcnt 0x0
	v_mov_b32_e32 v0, 0
	global_load_b32 v1, v0, s[8:9] offset:4
	s_wait_loadcnt 0x0
	v_cmp_eq_u32_e32 vcc_lo, 2, v1
	s_cbranch_vccnz .LBB77_122
; %bb.121:
	v_lshlrev_b32_e32 v1, 3, v1
	scratch_load_b64 v[30:31], v1, off offset:-8
	scratch_load_b64 v[32:33], off, off offset:8
	s_wait_loadcnt 0x1
	scratch_store_b64 off, v[30:31], off offset:8
	s_wait_loadcnt 0x0
	scratch_store_b64 v1, v[32:33], off offset:-8
.LBB77_122:
	global_load_b32 v30, v0, s[8:9]
	scratch_load_b64 v[0:1], off, off
	s_wait_loadcnt 0x1
	v_cmp_eq_u32_e32 vcc_lo, 1, v30
	s_cbranch_vccnz .LBB77_124
; %bb.123:
	v_lshlrev_b32_e32 v30, 3, v30
	s_delay_alu instid0(VALU_DEP_1)
	v_mov_b32_e32 v32, v30
	scratch_load_b64 v[30:31], v32, off offset:-8
	s_wait_loadcnt 0x0
	scratch_store_b64 off, v[30:31], off
	scratch_store_b64 v32, v[0:1], off offset:-8
	scratch_load_b64 v[0:1], off, off
.LBB77_124:
	s_wait_loadcnt 0x0
	flat_store_b64 v[2:3], v[0:1]
	scratch_load_b64 v[0:1], off, off offset:8
	v_lshl_add_u64 v[40:41], v[6:7], 3, s[2:3]
	v_lshl_add_u64 v[38:39], v[8:9], 3, s[2:3]
	v_lshl_add_u64 v[36:37], v[10:11], 3, s[2:3]
	v_lshl_add_u64 v[34:35], v[12:13], 3, s[2:3]
	v_lshl_add_u64 v[32:33], v[14:15], 3, s[2:3]
	v_lshl_add_u64 v[30:31], v[16:17], 3, s[2:3]
	v_lshl_add_u64 v[16:17], v[18:19], 3, s[2:3]
	v_lshl_add_u64 v[14:15], v[20:21], 3, s[2:3]
	v_lshl_add_u64 v[12:13], v[22:23], 3, s[2:3]
	v_lshl_add_u64 v[10:11], v[24:25], 3, s[2:3]
	v_lshl_add_u64 v[8:9], v[26:27], 3, s[2:3]
	v_lshl_add_u64 v[6:7], v[28:29], 3, s[2:3]
	s_wait_loadcnt 0x0
	flat_store_b64 v[4:5], v[0:1]
	scratch_load_b64 v[0:1], off, off offset:16
	s_wait_loadcnt 0x0
	flat_store_b64 v[40:41], v[0:1]
	scratch_load_b64 v[0:1], off, off offset:24
	s_wait_loadcnt 0x0
	flat_store_b64 v[38:39], v[0:1]
	scratch_load_b64 v[0:1], off, off offset:32
	s_wait_loadcnt 0x0
	flat_store_b64 v[36:37], v[0:1]
	scratch_load_b64 v[0:1], off, off offset:40
	s_wait_loadcnt 0x0
	flat_store_b64 v[34:35], v[0:1]
	scratch_load_b64 v[0:1], off, off offset:48
	s_wait_loadcnt 0x0
	flat_store_b64 v[32:33], v[0:1]
	scratch_load_b64 v[0:1], off, off offset:56
	s_wait_loadcnt 0x0
	flat_store_b64 v[30:31], v[0:1]
	scratch_load_b64 v[0:1], off, off offset:64
	s_wait_loadcnt 0x0
	flat_store_b64 v[16:17], v[0:1]
	scratch_load_b64 v[0:1], off, off offset:72
	s_wait_loadcnt 0x0
	flat_store_b64 v[14:15], v[0:1]
	scratch_load_b64 v[0:1], off, off offset:80
	s_wait_loadcnt 0x0
	flat_store_b64 v[12:13], v[0:1]
	scratch_load_b64 v[0:1], off, off offset:88
	s_wait_loadcnt 0x0
	flat_store_b64 v[10:11], v[0:1]
	scratch_load_b64 v[0:1], off, off offset:96
	s_wait_loadcnt 0x0
	flat_store_b64 v[8:9], v[0:1]
	scratch_load_b64 v[0:1], off, off offset:104
	s_wait_loadcnt 0x0
	flat_store_b64 v[6:7], v[0:1]
	s_sendmsg sendmsg(MSG_DEALLOC_VGPRS)
	s_endpgm
	.section	.rodata,"a",@progbits
	.p2align	6, 0x0
	.amdhsa_kernel _ZN9rocsolver6v33100L18getri_kernel_smallILi14E19rocblas_complex_numIfEPKPS3_EEvT1_iilPiilS8_bb
		.amdhsa_group_segment_fixed_size 228
		.amdhsa_private_segment_fixed_size 128
		.amdhsa_kernarg_size 60
		.amdhsa_user_sgpr_count 2
		.amdhsa_user_sgpr_dispatch_ptr 0
		.amdhsa_user_sgpr_queue_ptr 0
		.amdhsa_user_sgpr_kernarg_segment_ptr 1
		.amdhsa_user_sgpr_dispatch_id 0
		.amdhsa_user_sgpr_kernarg_preload_length 0
		.amdhsa_user_sgpr_kernarg_preload_offset 0
		.amdhsa_user_sgpr_private_segment_size 0
		.amdhsa_wavefront_size32 1
		.amdhsa_uses_dynamic_stack 0
		.amdhsa_enable_private_segment 1
		.amdhsa_system_sgpr_workgroup_id_x 1
		.amdhsa_system_sgpr_workgroup_id_y 0
		.amdhsa_system_sgpr_workgroup_id_z 0
		.amdhsa_system_sgpr_workgroup_info 0
		.amdhsa_system_vgpr_workitem_id 0
		.amdhsa_next_free_vgpr 99
		.amdhsa_next_free_sgpr 19
		.amdhsa_named_barrier_count 0
		.amdhsa_reserve_vcc 1
		.amdhsa_float_round_mode_32 0
		.amdhsa_float_round_mode_16_64 0
		.amdhsa_float_denorm_mode_32 3
		.amdhsa_float_denorm_mode_16_64 3
		.amdhsa_fp16_overflow 0
		.amdhsa_memory_ordered 1
		.amdhsa_forward_progress 1
		.amdhsa_inst_pref_size 107
		.amdhsa_round_robin_scheduling 0
		.amdhsa_exception_fp_ieee_invalid_op 0
		.amdhsa_exception_fp_denorm_src 0
		.amdhsa_exception_fp_ieee_div_zero 0
		.amdhsa_exception_fp_ieee_overflow 0
		.amdhsa_exception_fp_ieee_underflow 0
		.amdhsa_exception_fp_ieee_inexact 0
		.amdhsa_exception_int_div_zero 0
	.end_amdhsa_kernel
	.section	.text._ZN9rocsolver6v33100L18getri_kernel_smallILi14E19rocblas_complex_numIfEPKPS3_EEvT1_iilPiilS8_bb,"axG",@progbits,_ZN9rocsolver6v33100L18getri_kernel_smallILi14E19rocblas_complex_numIfEPKPS3_EEvT1_iilPiilS8_bb,comdat
.Lfunc_end77:
	.size	_ZN9rocsolver6v33100L18getri_kernel_smallILi14E19rocblas_complex_numIfEPKPS3_EEvT1_iilPiilS8_bb, .Lfunc_end77-_ZN9rocsolver6v33100L18getri_kernel_smallILi14E19rocblas_complex_numIfEPKPS3_EEvT1_iilPiilS8_bb
                                        ; -- End function
	.set _ZN9rocsolver6v33100L18getri_kernel_smallILi14E19rocblas_complex_numIfEPKPS3_EEvT1_iilPiilS8_bb.num_vgpr, 99
	.set _ZN9rocsolver6v33100L18getri_kernel_smallILi14E19rocblas_complex_numIfEPKPS3_EEvT1_iilPiilS8_bb.num_agpr, 0
	.set _ZN9rocsolver6v33100L18getri_kernel_smallILi14E19rocblas_complex_numIfEPKPS3_EEvT1_iilPiilS8_bb.numbered_sgpr, 19
	.set _ZN9rocsolver6v33100L18getri_kernel_smallILi14E19rocblas_complex_numIfEPKPS3_EEvT1_iilPiilS8_bb.num_named_barrier, 0
	.set _ZN9rocsolver6v33100L18getri_kernel_smallILi14E19rocblas_complex_numIfEPKPS3_EEvT1_iilPiilS8_bb.private_seg_size, 128
	.set _ZN9rocsolver6v33100L18getri_kernel_smallILi14E19rocblas_complex_numIfEPKPS3_EEvT1_iilPiilS8_bb.uses_vcc, 1
	.set _ZN9rocsolver6v33100L18getri_kernel_smallILi14E19rocblas_complex_numIfEPKPS3_EEvT1_iilPiilS8_bb.uses_flat_scratch, 1
	.set _ZN9rocsolver6v33100L18getri_kernel_smallILi14E19rocblas_complex_numIfEPKPS3_EEvT1_iilPiilS8_bb.has_dyn_sized_stack, 0
	.set _ZN9rocsolver6v33100L18getri_kernel_smallILi14E19rocblas_complex_numIfEPKPS3_EEvT1_iilPiilS8_bb.has_recursion, 0
	.set _ZN9rocsolver6v33100L18getri_kernel_smallILi14E19rocblas_complex_numIfEPKPS3_EEvT1_iilPiilS8_bb.has_indirect_call, 0
	.section	.AMDGPU.csdata,"",@progbits
; Kernel info:
; codeLenInByte = 13628
; TotalNumSgprs: 21
; NumVgprs: 99
; ScratchSize: 128
; MemoryBound: 0
; FloatMode: 240
; IeeeMode: 1
; LDSByteSize: 228 bytes/workgroup (compile time only)
; SGPRBlocks: 0
; VGPRBlocks: 6
; NumSGPRsForWavesPerEU: 21
; NumVGPRsForWavesPerEU: 99
; NamedBarCnt: 0
; Occupancy: 9
; WaveLimiterHint : 1
; COMPUTE_PGM_RSRC2:SCRATCH_EN: 1
; COMPUTE_PGM_RSRC2:USER_SGPR: 2
; COMPUTE_PGM_RSRC2:TRAP_HANDLER: 0
; COMPUTE_PGM_RSRC2:TGID_X_EN: 1
; COMPUTE_PGM_RSRC2:TGID_Y_EN: 0
; COMPUTE_PGM_RSRC2:TGID_Z_EN: 0
; COMPUTE_PGM_RSRC2:TIDIG_COMP_CNT: 0
	.section	.text._ZN9rocsolver6v33100L18getri_kernel_smallILi15E19rocblas_complex_numIfEPKPS3_EEvT1_iilPiilS8_bb,"axG",@progbits,_ZN9rocsolver6v33100L18getri_kernel_smallILi15E19rocblas_complex_numIfEPKPS3_EEvT1_iilPiilS8_bb,comdat
	.globl	_ZN9rocsolver6v33100L18getri_kernel_smallILi15E19rocblas_complex_numIfEPKPS3_EEvT1_iilPiilS8_bb ; -- Begin function _ZN9rocsolver6v33100L18getri_kernel_smallILi15E19rocblas_complex_numIfEPKPS3_EEvT1_iilPiilS8_bb
	.p2align	8
	.type	_ZN9rocsolver6v33100L18getri_kernel_smallILi15E19rocblas_complex_numIfEPKPS3_EEvT1_iilPiilS8_bb,@function
_ZN9rocsolver6v33100L18getri_kernel_smallILi15E19rocblas_complex_numIfEPKPS3_EEvT1_iilPiilS8_bb: ; @_ZN9rocsolver6v33100L18getri_kernel_smallILi15E19rocblas_complex_numIfEPKPS3_EEvT1_iilPiilS8_bb
; %bb.0:
	s_mov_b32 s2, exec_lo
	v_cmpx_gt_u32_e32 15, v0
	s_cbranch_execz .LBB78_74
; %bb.1:
	s_clause 0x1
	s_load_b32 s13, s[0:1], 0x38
	s_load_b64 s[2:3], s[0:1], 0x0
	s_getreg_b32 s6, hwreg(HW_REG_IB_STS2, 6, 4)
	s_wait_kmcnt 0x0
	s_bitcmp1_b32 s13, 8
	s_cselect_b32 s12, -1, 0
	s_bfe_u32 s4, ttmp6, 0x4000c
	s_and_b32 s5, ttmp6, 15
	s_add_co_i32 s4, s4, 1
	s_delay_alu instid0(SALU_CYCLE_1) | instskip(NEXT) | instid1(SALU_CYCLE_1)
	s_mul_i32 s4, ttmp9, s4
	s_add_co_i32 s5, s5, s4
	s_cmp_eq_u32 s6, 0
	s_cselect_b32 s10, ttmp9, s5
	s_load_b128 s[4:7], s[0:1], 0x28
	s_ashr_i32 s11, s10, 31
	s_delay_alu instid0(SALU_CYCLE_1) | instskip(NEXT) | instid1(SALU_CYCLE_1)
	s_lshl_b64 s[8:9], s[10:11], 3
	s_add_nc_u64 s[2:3], s[2:3], s[8:9]
	s_bfe_u32 s8, s13, 0x10008
	s_load_b64 s[2:3], s[2:3], 0x0
	s_cmp_eq_u32 s8, 0
                                        ; implicit-def: $sgpr8_sgpr9
	s_cbranch_scc1 .LBB78_3
; %bb.2:
	s_load_b96 s[16:18], s[0:1], 0x18
	s_wait_kmcnt 0x0
	s_mul_u64 s[4:5], s[4:5], s[10:11]
	s_delay_alu instid0(SALU_CYCLE_1) | instskip(SKIP_4) | instid1(SALU_CYCLE_1)
	s_lshl_b64 s[4:5], s[4:5], 2
	s_ashr_i32 s9, s18, 31
	s_mov_b32 s8, s18
	s_add_nc_u64 s[4:5], s[16:17], s[4:5]
	s_lshl_b64 s[8:9], s[8:9], 2
	s_add_nc_u64 s[8:9], s[4:5], s[8:9]
.LBB78_3:
	s_wait_kmcnt 0x0
	s_clause 0x1
	s_load_b64 s[4:5], s[0:1], 0x8
	s_load_b32 s13, s[0:1], 0x38
	v_dual_mov_b32 v33, 0 :: v_dual_lshlrev_b32 v32, 3, v0
	s_wait_kmcnt 0x0
	s_ashr_i32 s1, s4, 31
	s_mov_b32 s0, s4
	s_delay_alu instid0(SALU_CYCLE_1) | instskip(NEXT) | instid1(SALU_CYCLE_1)
	s_lshl_b64 s[0:1], s[0:1], 3
	s_add_nc_u64 s[2:3], s[2:3], s[0:1]
	s_ashr_i32 s1, s5, 31
	flat_load_b64 v[6:7], v0, s[2:3] scale_offset
	v_add_nc_u64_e32 v[2:3], s[2:3], v[32:33]
	s_mov_b32 s0, s5
	s_bitcmp0_b32 s13, 0
	s_delay_alu instid0(VALU_DEP_1)
	v_lshl_add_u64 v[4:5], s[0:1], 3, v[2:3]
	s_mov_b32 s1, -1
	s_wait_loadcnt_dscnt 0x0
	scratch_store_b64 off, v[6:7], off
	flat_load_b64 v[8:9], v[4:5]
	s_wait_xcnt 0x1
	v_add3_u32 v6, s5, s5, v0
	s_wait_loadcnt_dscnt 0x0
	scratch_store_b64 off, v[8:9], off offset:8
	flat_load_b64 v[10:11], v6, s[2:3] scale_offset
	s_wait_xcnt 0x1
	v_add_nc_u32_e32 v8, s5, v6
	s_wait_loadcnt_dscnt 0x0
	scratch_store_b64 off, v[10:11], off offset:16
	flat_load_b64 v[12:13], v8, s[2:3] scale_offset
	s_wait_xcnt 0x1
	v_add_nc_u32_e32 v10, s5, v8
	;; [unrolled: 5-line block ×12, first 2 shown]
	s_wait_loadcnt_dscnt 0x0
	scratch_store_b64 off, v[34:35], off offset:104
	flat_load_b64 v[34:35], v30, s[2:3] scale_offset
	s_wait_loadcnt_dscnt 0x0
	scratch_store_b64 off, v[34:35], off offset:112
	s_cbranch_scc1 .LBB78_72
; %bb.4:
	v_cmp_eq_u32_e64 s0, 0, v0
	s_wait_xcnt 0x0
	s_and_saveexec_b32 s1, s0
; %bb.5:
	v_mov_b32_e32 v1, 0
	ds_store_b32 v1, v1 offset:120
; %bb.6:
	s_or_b32 exec_lo, exec_lo, s1
	s_wait_storecnt_dscnt 0x0
	s_barrier_signal -1
	s_barrier_wait -1
	scratch_load_b64 v[34:35], v0, off scale_offset
	s_wait_loadcnt 0x0
	v_cmp_eq_f32_e32 vcc_lo, 0, v34
	v_cmp_eq_f32_e64 s1, 0, v35
	s_and_b32 s1, vcc_lo, s1
	s_delay_alu instid0(SALU_CYCLE_1)
	s_and_saveexec_b32 s4, s1
	s_cbranch_execz .LBB78_10
; %bb.7:
	v_mov_b32_e32 v1, 0
	s_mov_b32 s5, 0
	ds_load_b32 v7, v1 offset:120
	s_wait_dscnt 0x0
	v_readfirstlane_b32 s1, v7
	v_add_nc_u32_e32 v7, 1, v0
	s_cmp_eq_u32 s1, 0
	s_delay_alu instid0(VALU_DEP_1) | instskip(SKIP_1) | instid1(SALU_CYCLE_1)
	v_cmp_gt_i32_e32 vcc_lo, s1, v7
	s_cselect_b32 s13, -1, 0
	s_or_b32 s13, s13, vcc_lo
	s_delay_alu instid0(SALU_CYCLE_1)
	s_and_b32 exec_lo, exec_lo, s13
	s_cbranch_execz .LBB78_10
; %bb.8:
	v_mov_b32_e32 v9, s1
.LBB78_9:                               ; =>This Inner Loop Header: Depth=1
	ds_cmpstore_rtn_b32 v9, v1, v7, v9 offset:120
	s_wait_dscnt 0x0
	v_cmp_ne_u32_e32 vcc_lo, 0, v9
	v_cmp_le_i32_e64 s1, v9, v7
	s_and_b32 s1, vcc_lo, s1
	s_delay_alu instid0(SALU_CYCLE_1) | instskip(NEXT) | instid1(SALU_CYCLE_1)
	s_and_b32 s1, exec_lo, s1
	s_or_b32 s5, s1, s5
	s_delay_alu instid0(SALU_CYCLE_1)
	s_and_not1_b32 exec_lo, exec_lo, s5
	s_cbranch_execnz .LBB78_9
.LBB78_10:
	s_or_b32 exec_lo, exec_lo, s4
	v_mov_b32_e32 v1, 0
	s_barrier_signal -1
	s_barrier_wait -1
	ds_load_b32 v7, v1 offset:120
	s_and_saveexec_b32 s1, s0
	s_cbranch_execz .LBB78_12
; %bb.11:
	s_lshl_b64 s[4:5], s[10:11], 2
	s_delay_alu instid0(SALU_CYCLE_1)
	s_add_nc_u64 s[4:5], s[6:7], s[4:5]
	s_wait_dscnt 0x0
	global_store_b32 v1, v7, s[4:5]
.LBB78_12:
	s_wait_xcnt 0x0
	s_or_b32 exec_lo, exec_lo, s1
	s_wait_dscnt 0x0
	v_cmp_ne_u32_e32 vcc_lo, 0, v7
	s_mov_b32 s1, 0
	s_cbranch_vccnz .LBB78_72
; %bb.13:
	v_lshl_add_u32 v7, v0, 3, 0
                                        ; implicit-def: $vgpr37
                                        ; implicit-def: $vgpr38
	scratch_load_b64 v[34:35], v7, off
	s_wait_loadcnt 0x0
	v_cmp_ngt_f32_e64 s1, |v34|, |v35|
	s_wait_xcnt 0x0
	s_and_saveexec_b32 s4, s1
	s_delay_alu instid0(SALU_CYCLE_1)
	s_xor_b32 s1, exec_lo, s4
	s_cbranch_execz .LBB78_15
; %bb.14:
	v_div_scale_f32 v1, null, v35, v35, v34
	v_div_scale_f32 v13, vcc_lo, v34, v35, v34
	s_delay_alu instid0(VALU_DEP_2) | instskip(SKIP_1) | instid1(TRANS32_DEP_1)
	v_rcp_f32_e32 v9, v1
	v_nop
	v_fma_f32 v11, -v1, v9, 1.0
	s_delay_alu instid0(VALU_DEP_1) | instskip(NEXT) | instid1(VALU_DEP_1)
	v_fmac_f32_e32 v9, v11, v9
	v_mul_f32_e32 v11, v13, v9
	s_delay_alu instid0(VALU_DEP_1) | instskip(NEXT) | instid1(VALU_DEP_1)
	v_fma_f32 v15, -v1, v11, v13
	v_fmac_f32_e32 v11, v15, v9
	s_delay_alu instid0(VALU_DEP_1) | instskip(NEXT) | instid1(VALU_DEP_1)
	v_fma_f32 v1, -v1, v11, v13
	v_div_fmas_f32 v1, v1, v9, v11
	s_delay_alu instid0(VALU_DEP_1) | instskip(NEXT) | instid1(VALU_DEP_1)
	v_div_fixup_f32 v1, v1, v35, v34
	v_fmac_f32_e32 v35, v34, v1
	s_delay_alu instid0(VALU_DEP_1) | instskip(NEXT) | instid1(VALU_DEP_1)
	v_div_scale_f32 v9, null, v35, v35, -1.0
	v_rcp_f32_e32 v11, v9
	v_nop
	s_delay_alu instid0(TRANS32_DEP_1) | instskip(NEXT) | instid1(VALU_DEP_1)
	v_fma_f32 v13, -v9, v11, 1.0
	v_fmac_f32_e32 v11, v13, v11
	v_div_scale_f32 v13, vcc_lo, -1.0, v35, -1.0
	s_delay_alu instid0(VALU_DEP_1) | instskip(NEXT) | instid1(VALU_DEP_1)
	v_mul_f32_e32 v15, v13, v11
	v_fma_f32 v17, -v9, v15, v13
	s_delay_alu instid0(VALU_DEP_1) | instskip(NEXT) | instid1(VALU_DEP_1)
	v_fmac_f32_e32 v15, v17, v11
	v_fma_f32 v9, -v9, v15, v13
	s_delay_alu instid0(VALU_DEP_1) | instskip(NEXT) | instid1(VALU_DEP_1)
	v_div_fmas_f32 v9, v9, v11, v15
	v_div_fixup_f32 v37, v9, v35, -1.0
                                        ; implicit-def: $vgpr34_vgpr35
	s_delay_alu instid0(VALU_DEP_1) | instskip(NEXT) | instid1(VALU_DEP_1)
	v_mul_f32_e32 v38, v1, v37
	v_xor_b32_e32 v36, 0x80000000, v38
.LBB78_15:
	s_and_not1_saveexec_b32 s1, s1
	s_cbranch_execz .LBB78_17
; %bb.16:
	v_div_scale_f32 v1, null, v34, v34, v35
	v_div_scale_f32 v13, vcc_lo, v35, v34, v35
	s_delay_alu instid0(VALU_DEP_2) | instskip(SKIP_1) | instid1(TRANS32_DEP_1)
	v_rcp_f32_e32 v9, v1
	v_nop
	v_fma_f32 v11, -v1, v9, 1.0
	s_delay_alu instid0(VALU_DEP_1) | instskip(NEXT) | instid1(VALU_DEP_1)
	v_fmac_f32_e32 v9, v11, v9
	v_mul_f32_e32 v11, v13, v9
	s_delay_alu instid0(VALU_DEP_1) | instskip(NEXT) | instid1(VALU_DEP_1)
	v_fma_f32 v15, -v1, v11, v13
	v_fmac_f32_e32 v11, v15, v9
	s_delay_alu instid0(VALU_DEP_1) | instskip(NEXT) | instid1(VALU_DEP_1)
	v_fma_f32 v1, -v1, v11, v13
	v_div_fmas_f32 v1, v1, v9, v11
	s_delay_alu instid0(VALU_DEP_1) | instskip(NEXT) | instid1(VALU_DEP_1)
	v_div_fixup_f32 v1, v1, v34, v35
	v_fmac_f32_e32 v34, v35, v1
	s_delay_alu instid0(VALU_DEP_1) | instskip(SKIP_1) | instid1(VALU_DEP_2)
	v_div_scale_f32 v9, null, v34, v34, 1.0
	v_div_scale_f32 v15, vcc_lo, 1.0, v34, 1.0
	v_rcp_f32_e32 v11, v9
	v_nop
	s_delay_alu instid0(TRANS32_DEP_1) | instskip(NEXT) | instid1(VALU_DEP_1)
	v_fma_f32 v13, -v9, v11, 1.0
	v_fmac_f32_e32 v11, v13, v11
	s_delay_alu instid0(VALU_DEP_1) | instskip(NEXT) | instid1(VALU_DEP_1)
	v_mul_f32_e32 v13, v15, v11
	v_fma_f32 v17, -v9, v13, v15
	s_delay_alu instid0(VALU_DEP_1) | instskip(NEXT) | instid1(VALU_DEP_1)
	v_fmac_f32_e32 v13, v17, v11
	v_fma_f32 v9, -v9, v13, v15
	s_delay_alu instid0(VALU_DEP_1) | instskip(NEXT) | instid1(VALU_DEP_1)
	v_div_fmas_f32 v9, v9, v11, v13
	v_div_fixup_f32 v36, v9, v34, 1.0
	s_delay_alu instid0(VALU_DEP_1)
	v_xor_b32_e32 v38, 0x80000000, v36
	v_mul_f32_e64 v37, v1, -v36
.LBB78_17:
	s_or_b32 exec_lo, exec_lo, s1
	scratch_store_b64 v7, v[36:37], off
	scratch_load_b64 v[34:35], off, off offset:8
	v_xor_b32_e32 v39, 0x80000000, v37
	v_add_nc_u32_e32 v1, 0x80, v32
	s_wait_loadcnt 0x0
	ds_store_2addr_b64 v32, v[38:39], v[34:35] offset1:16
	s_wait_storecnt_dscnt 0x0
	s_barrier_signal -1
	s_barrier_wait -1
	s_wait_xcnt 0x0
	s_and_saveexec_b32 s1, s0
	s_cbranch_execz .LBB78_19
; %bb.18:
	scratch_load_b64 v[34:35], v7, off
	ds_load_b64 v[36:37], v1
	s_wait_loadcnt_dscnt 0x0
	v_pk_mul_f32 v[40:41], v[36:37], v[34:35] op_sel:[1,1] op_sel_hi:[0,1]
	s_delay_alu instid0(VALU_DEP_1) | instskip(SKIP_2) | instid1(VALU_DEP_3)
	v_pk_fma_f32 v[42:43], v[36:37], v[34:35], v[40:41] op_sel_hi:[1,0,1]
	v_mov_b32_e32 v9, 0
	v_pk_fma_f32 v[34:35], v[36:37], v[34:35], v[40:41] neg_lo:[0,0,1] neg_hi:[0,0,1]
	v_mov_b32_e32 v35, v43
	ds_load_b64 v[38:39], v9 offset:8
	v_pk_add_f32 v[34:35], v[34:35], 0 op_sel_hi:[1,0]
	s_wait_dscnt 0x0
	s_delay_alu instid0(VALU_DEP_1) | instskip(NEXT) | instid1(VALU_DEP_1)
	v_pk_mul_f32 v[36:37], v[34:35], v[38:39] op_sel:[1,1] op_sel_hi:[0,1]
	v_pk_fma_f32 v[40:41], v[34:35], v[38:39], v[36:37] op_sel_hi:[1,0,1]
	v_pk_fma_f32 v[34:35], v[34:35], v[38:39], v[36:37] neg_lo:[0,0,1] neg_hi:[0,0,1]
	s_delay_alu instid0(VALU_DEP_2)
	v_mov_b32_e32 v35, v41
	scratch_store_b64 off, v[34:35], off offset:8
.LBB78_19:
	s_wait_xcnt 0x0
	s_or_b32 exec_lo, exec_lo, s1
	s_wait_storecnt 0x0
	s_barrier_signal -1
	s_barrier_wait -1
	scratch_load_b64 v[34:35], off, off offset:16
	s_mov_b32 s1, exec_lo
	s_wait_loadcnt 0x0
	ds_store_b64 v1, v[34:35]
	s_wait_dscnt 0x0
	s_barrier_signal -1
	s_barrier_wait -1
	v_cmpx_gt_u32_e32 2, v0
	s_cbranch_execz .LBB78_23
; %bb.20:
	scratch_load_b64 v[34:35], v7, off
	ds_load_b64 v[36:37], v1
	s_wait_loadcnt_dscnt 0x0
	v_pk_mul_f32 v[38:39], v[36:37], v[34:35] op_sel:[1,1] op_sel_hi:[0,1]
	s_delay_alu instid0(VALU_DEP_1) | instskip(SKIP_1) | instid1(VALU_DEP_2)
	v_pk_fma_f32 v[40:41], v[36:37], v[34:35], v[38:39] op_sel_hi:[1,0,1]
	v_pk_fma_f32 v[34:35], v[36:37], v[34:35], v[38:39] neg_lo:[0,0,1] neg_hi:[0,0,1]
	v_mov_b32_e32 v35, v41
	s_delay_alu instid0(VALU_DEP_1)
	v_pk_add_f32 v[34:35], v[34:35], 0 op_sel_hi:[1,0]
	s_and_saveexec_b32 s4, s0
	s_cbranch_execz .LBB78_22
; %bb.21:
	scratch_load_b64 v[36:37], off, off offset:8
	v_mov_b32_e32 v7, 0
	ds_load_b64 v[38:39], v7 offset:136
	s_wait_loadcnt_dscnt 0x0
	v_pk_mul_f32 v[40:41], v[38:39], v[36:37] op_sel:[1,1] op_sel_hi:[0,1]
	s_delay_alu instid0(VALU_DEP_1) | instskip(SKIP_1) | instid1(VALU_DEP_2)
	v_pk_fma_f32 v[42:43], v[38:39], v[36:37], v[40:41] op_sel_hi:[1,0,1]
	v_pk_fma_f32 v[36:37], v[38:39], v[36:37], v[40:41] neg_lo:[0,0,1] neg_hi:[0,0,1]
	v_mov_b32_e32 v37, v43
	s_delay_alu instid0(VALU_DEP_1)
	v_pk_add_f32 v[34:35], v[34:35], v[36:37]
.LBB78_22:
	s_or_b32 exec_lo, exec_lo, s4
	v_mov_b32_e32 v7, 0
	ds_load_b64 v[36:37], v7 offset:16
	s_wait_dscnt 0x0
	v_pk_mul_f32 v[38:39], v[34:35], v[36:37] op_sel:[1,1] op_sel_hi:[0,1]
	s_delay_alu instid0(VALU_DEP_1) | instskip(SKIP_1) | instid1(VALU_DEP_2)
	v_pk_fma_f32 v[40:41], v[34:35], v[36:37], v[38:39] op_sel_hi:[1,0,1]
	v_pk_fma_f32 v[34:35], v[34:35], v[36:37], v[38:39] neg_lo:[0,0,1] neg_hi:[0,0,1]
	v_mov_b32_e32 v35, v41
	scratch_store_b64 off, v[34:35], off offset:16
.LBB78_23:
	s_wait_xcnt 0x0
	s_or_b32 exec_lo, exec_lo, s1
	s_wait_storecnt 0x0
	s_barrier_signal -1
	s_barrier_wait -1
	scratch_load_b64 v[34:35], off, off offset:24
	v_add_nc_u32_e32 v7, -1, v0
	s_mov_b32 s0, exec_lo
	s_wait_loadcnt 0x0
	ds_store_b64 v1, v[34:35]
	s_wait_dscnt 0x0
	s_barrier_signal -1
	s_barrier_wait -1
	v_cmpx_gt_u32_e32 3, v0
	s_cbranch_execz .LBB78_27
; %bb.24:
	v_dual_mov_b32 v34, 0 :: v_dual_add_nc_u32 v9, -1, v0
	v_add_nc_u32_e32 v11, 0x80, v32
	v_mov_b32_e32 v13, v32
	s_mov_b32 s1, 0
	s_delay_alu instid0(VALU_DEP_3)
	v_mov_b32_e32 v35, v34
.LBB78_25:                              ; =>This Inner Loop Header: Depth=1
	scratch_load_b64 v[36:37], v13, off
	ds_load_b64 v[38:39], v11
	s_wait_xcnt 0x0
	v_dual_add_nc_u32 v11, 8, v11 :: v_dual_add_nc_u32 v13, 8, v13
	s_wait_loadcnt_dscnt 0x0
	v_pk_mul_f32 v[40:41], v[38:39], v[36:37] op_sel:[1,1] op_sel_hi:[0,1]
	s_delay_alu instid0(VALU_DEP_1) | instskip(SKIP_2) | instid1(VALU_DEP_3)
	v_pk_fma_f32 v[42:43], v[38:39], v[36:37], v[40:41] op_sel_hi:[1,0,1]
	v_add_nc_u32_e32 v9, 1, v9
	v_pk_fma_f32 v[36:37], v[38:39], v[36:37], v[40:41] neg_lo:[0,0,1] neg_hi:[0,0,1]
	v_mov_b32_e32 v37, v43
	s_delay_alu instid0(VALU_DEP_3) | instskip(NEXT) | instid1(VALU_DEP_2)
	v_cmp_lt_u32_e32 vcc_lo, 1, v9
	v_pk_add_f32 v[34:35], v[34:35], v[36:37]
	s_or_b32 s1, vcc_lo, s1
	s_delay_alu instid0(SALU_CYCLE_1)
	s_and_not1_b32 exec_lo, exec_lo, s1
	s_cbranch_execnz .LBB78_25
; %bb.26:
	s_or_b32 exec_lo, exec_lo, s1
	v_mov_b32_e32 v9, 0
	ds_load_b64 v[36:37], v9 offset:24
	s_wait_dscnt 0x0
	v_pk_mul_f32 v[38:39], v[34:35], v[36:37] op_sel:[1,1] op_sel_hi:[0,1]
	s_delay_alu instid0(VALU_DEP_1) | instskip(SKIP_1) | instid1(VALU_DEP_2)
	v_pk_fma_f32 v[40:41], v[34:35], v[36:37], v[38:39] op_sel_hi:[1,0,1]
	v_pk_fma_f32 v[34:35], v[34:35], v[36:37], v[38:39] neg_lo:[0,0,1] neg_hi:[0,0,1]
	v_mov_b32_e32 v35, v41
	scratch_store_b64 off, v[34:35], off offset:24
.LBB78_27:
	s_wait_xcnt 0x0
	s_or_b32 exec_lo, exec_lo, s0
	s_wait_storecnt 0x0
	s_barrier_signal -1
	s_barrier_wait -1
	scratch_load_b64 v[34:35], off, off offset:32
	s_mov_b32 s0, exec_lo
	s_wait_loadcnt 0x0
	ds_store_b64 v1, v[34:35]
	s_wait_dscnt 0x0
	s_barrier_signal -1
	s_barrier_wait -1
	v_cmpx_gt_u32_e32 4, v0
	s_cbranch_execz .LBB78_31
; %bb.28:
	v_dual_mov_b32 v34, 0 :: v_dual_add_nc_u32 v9, -1, v0
	v_add_nc_u32_e32 v11, 0x80, v32
	v_mov_b32_e32 v13, v32
	s_mov_b32 s1, 0
	s_delay_alu instid0(VALU_DEP_3)
	v_mov_b32_e32 v35, v34
.LBB78_29:                              ; =>This Inner Loop Header: Depth=1
	scratch_load_b64 v[36:37], v13, off
	ds_load_b64 v[38:39], v11
	s_wait_xcnt 0x0
	v_dual_add_nc_u32 v11, 8, v11 :: v_dual_add_nc_u32 v13, 8, v13
	s_wait_loadcnt_dscnt 0x0
	v_pk_mul_f32 v[40:41], v[38:39], v[36:37] op_sel:[1,1] op_sel_hi:[0,1]
	s_delay_alu instid0(VALU_DEP_1) | instskip(SKIP_2) | instid1(VALU_DEP_3)
	v_pk_fma_f32 v[42:43], v[38:39], v[36:37], v[40:41] op_sel_hi:[1,0,1]
	v_add_nc_u32_e32 v9, 1, v9
	v_pk_fma_f32 v[36:37], v[38:39], v[36:37], v[40:41] neg_lo:[0,0,1] neg_hi:[0,0,1]
	v_mov_b32_e32 v37, v43
	s_delay_alu instid0(VALU_DEP_3) | instskip(NEXT) | instid1(VALU_DEP_2)
	v_cmp_lt_u32_e32 vcc_lo, 2, v9
	v_pk_add_f32 v[34:35], v[34:35], v[36:37]
	s_or_b32 s1, vcc_lo, s1
	s_delay_alu instid0(SALU_CYCLE_1)
	s_and_not1_b32 exec_lo, exec_lo, s1
	s_cbranch_execnz .LBB78_29
; %bb.30:
	s_or_b32 exec_lo, exec_lo, s1
	v_mov_b32_e32 v9, 0
	ds_load_b64 v[36:37], v9 offset:32
	s_wait_dscnt 0x0
	v_pk_mul_f32 v[38:39], v[34:35], v[36:37] op_sel:[1,1] op_sel_hi:[0,1]
	s_delay_alu instid0(VALU_DEP_1) | instskip(SKIP_1) | instid1(VALU_DEP_2)
	v_pk_fma_f32 v[40:41], v[34:35], v[36:37], v[38:39] op_sel_hi:[1,0,1]
	v_pk_fma_f32 v[34:35], v[34:35], v[36:37], v[38:39] neg_lo:[0,0,1] neg_hi:[0,0,1]
	v_mov_b32_e32 v35, v41
	scratch_store_b64 off, v[34:35], off offset:32
.LBB78_31:
	s_wait_xcnt 0x0
	s_or_b32 exec_lo, exec_lo, s0
	s_wait_storecnt 0x0
	s_barrier_signal -1
	s_barrier_wait -1
	scratch_load_b64 v[34:35], off, off offset:40
	;; [unrolled: 52-line block ×11, first 2 shown]
	s_mov_b32 s0, exec_lo
	s_wait_loadcnt 0x0
	ds_store_b64 v1, v[34:35]
	s_wait_dscnt 0x0
	s_barrier_signal -1
	s_barrier_wait -1
	v_cmpx_ne_u32_e32 14, v0
	s_cbranch_execz .LBB78_71
; %bb.68:
	v_dual_mov_b32 v34, 0 :: v_dual_mov_b32 v9, v32
	s_mov_b32 s1, 0
	s_delay_alu instid0(VALU_DEP_1)
	v_mov_b32_e32 v35, v34
.LBB78_69:                              ; =>This Inner Loop Header: Depth=1
	scratch_load_b64 v[32:33], v9, off
	ds_load_b64 v[36:37], v1
	v_add_nc_u32_e32 v1, 8, v1
	s_wait_xcnt 0x0
	v_add_nc_u32_e32 v9, 8, v9
	s_wait_loadcnt_dscnt 0x0
	v_pk_mul_f32 v[38:39], v[36:37], v[32:33] op_sel:[1,1] op_sel_hi:[0,1]
	s_delay_alu instid0(VALU_DEP_1) | instskip(SKIP_2) | instid1(VALU_DEP_3)
	v_pk_fma_f32 v[40:41], v[36:37], v[32:33], v[38:39] op_sel_hi:[1,0,1]
	v_add_nc_u32_e32 v7, 1, v7
	v_pk_fma_f32 v[32:33], v[36:37], v[32:33], v[38:39] neg_lo:[0,0,1] neg_hi:[0,0,1]
	v_mov_b32_e32 v33, v41
	s_delay_alu instid0(VALU_DEP_3) | instskip(NEXT) | instid1(VALU_DEP_2)
	v_cmp_lt_u32_e32 vcc_lo, 12, v7
	v_pk_add_f32 v[34:35], v[34:35], v[32:33]
	s_or_b32 s1, vcc_lo, s1
	s_delay_alu instid0(SALU_CYCLE_1)
	s_and_not1_b32 exec_lo, exec_lo, s1
	s_cbranch_execnz .LBB78_69
; %bb.70:
	s_or_b32 exec_lo, exec_lo, s1
	v_mov_b32_e32 v1, 0
	ds_load_b64 v[32:33], v1 offset:112
	s_wait_dscnt 0x0
	v_pk_mul_f32 v[36:37], v[34:35], v[32:33] op_sel:[1,1] op_sel_hi:[0,1]
	s_delay_alu instid0(VALU_DEP_1) | instskip(SKIP_1) | instid1(VALU_DEP_2)
	v_pk_fma_f32 v[38:39], v[34:35], v[32:33], v[36:37] op_sel_hi:[1,0,1]
	v_pk_fma_f32 v[32:33], v[34:35], v[32:33], v[36:37] neg_lo:[0,0,1] neg_hi:[0,0,1]
	v_mov_b32_e32 v33, v39
	scratch_store_b64 off, v[32:33], off offset:112
.LBB78_71:
	s_wait_xcnt 0x0
	s_or_b32 exec_lo, exec_lo, s0
	s_mov_b32 s1, -1
	s_wait_storecnt 0x0
	s_barrier_signal -1
	s_barrier_wait -1
.LBB78_72:
	s_and_b32 vcc_lo, exec_lo, s1
	s_cbranch_vccz .LBB78_74
; %bb.73:
	v_mov_b32_e32 v1, 0
	s_lshl_b64 s[0:1], s[10:11], 2
	s_delay_alu instid0(SALU_CYCLE_1)
	s_add_nc_u64 s[0:1], s[6:7], s[0:1]
	global_load_b32 v1, v1, s[0:1]
	s_wait_loadcnt 0x0
	v_cmp_ne_u32_e32 vcc_lo, 0, v1
	s_cbranch_vccz .LBB78_75
.LBB78_74:
	s_sendmsg sendmsg(MSG_DEALLOC_VGPRS)
	s_endpgm
.LBB78_75:
	s_wait_xcnt 0x0
	v_lshl_add_u32 v1, v0, 3, 0x80
	s_mov_b32 s0, exec_lo
	v_cmpx_eq_u32_e32 14, v0
	s_cbranch_execz .LBB78_77
; %bb.76:
	scratch_load_b64 v[32:33], off, off offset:104
	v_mov_b64_e32 v[34:35], 0
	scratch_store_b64 off, v[34:35], off offset:104
	s_wait_loadcnt 0x0
	ds_store_b64 v1, v[32:33]
.LBB78_77:
	s_wait_xcnt 0x0
	s_or_b32 exec_lo, exec_lo, s0
	s_wait_storecnt_dscnt 0x0
	s_barrier_signal -1
	s_barrier_wait -1
	s_clause 0x1
	scratch_load_b64 v[32:33], off, off offset:112
	scratch_load_b64 v[34:35], off, off offset:104
	v_mov_b32_e32 v7, 0
	s_mov_b32 s0, exec_lo
	ds_load_b64 v[36:37], v7 offset:240
	s_wait_loadcnt_dscnt 0x100
	v_pk_mul_f32 v[38:39], v[36:37], v[32:33] op_sel:[1,1] op_sel_hi:[0,1]
	s_delay_alu instid0(VALU_DEP_1) | instskip(SKIP_1) | instid1(VALU_DEP_2)
	v_pk_fma_f32 v[40:41], v[36:37], v[32:33], v[38:39] op_sel_hi:[1,0,1]
	v_pk_fma_f32 v[32:33], v[36:37], v[32:33], v[38:39] neg_lo:[0,0,1] neg_hi:[0,0,1]
	v_mov_b32_e32 v33, v41
	s_delay_alu instid0(VALU_DEP_1) | instskip(SKIP_1) | instid1(VALU_DEP_1)
	v_pk_add_f32 v[32:33], v[32:33], 0 op_sel_hi:[1,0]
	s_wait_loadcnt 0x0
	v_pk_add_f32 v[32:33], v[34:35], v[32:33] neg_lo:[0,1] neg_hi:[0,1]
	scratch_store_b64 off, v[32:33], off offset:104
	s_wait_xcnt 0x0
	v_cmpx_lt_u32_e32 12, v0
	s_cbranch_execz .LBB78_79
; %bb.78:
	scratch_load_b64 v[32:33], off, off offset:96
	v_mov_b64_e32 v[34:35], 0
	scratch_store_b64 off, v[34:35], off offset:96
	s_wait_loadcnt 0x0
	ds_store_b64 v1, v[32:33]
.LBB78_79:
	s_wait_xcnt 0x0
	s_or_b32 exec_lo, exec_lo, s0
	s_wait_storecnt_dscnt 0x0
	s_barrier_signal -1
	s_barrier_wait -1
	s_clause 0x1
	scratch_load_b128 v[32:35], off, off offset:104
	scratch_load_b64 v[40:41], off, off offset:96
	ds_load_2addr_b64 v[36:39], v7 offset0:29 offset1:30
	s_mov_b32 s0, exec_lo
	s_wait_dscnt 0x0
	v_dual_mov_b32 v42, v39 :: v_dual_mov_b32 v43, v38
	s_wait_loadcnt 0x1
	v_pk_mul_f32 v[44:45], v[36:37], v[32:33] op_sel:[1,1] op_sel_hi:[0,1]
	s_delay_alu instid0(VALU_DEP_1) | instskip(SKIP_2) | instid1(VALU_DEP_3)
	v_pk_fma_f32 v[48:49], v[36:37], v[32:33], v[44:45] op_sel_hi:[1,0,1]
	v_mov_b32_e32 v46, v35
	v_pk_fma_f32 v[32:33], v[36:37], v[32:33], v[44:45] neg_lo:[0,0,1] neg_hi:[0,0,1]
	v_mov_b32_e32 v33, v49
	s_delay_alu instid0(VALU_DEP_3) | instskip(NEXT) | instid1(VALU_DEP_2)
	v_pk_mul_f32 v[42:43], v[42:43], v[46:47] op_sel_hi:[1,0]
	v_pk_add_f32 v[32:33], v[32:33], 0 op_sel_hi:[1,0]
	s_delay_alu instid0(VALU_DEP_2) | instskip(SKIP_1) | instid1(VALU_DEP_2)
	v_pk_fma_f32 v[36:37], v[38:39], v[34:35], v[42:43] op_sel_hi:[1,0,1]
	v_pk_fma_f32 v[34:35], v[38:39], v[34:35], v[42:43] neg_lo:[0,0,1] neg_hi:[0,0,1]
	v_mov_b32_e32 v35, v37
	s_delay_alu instid0(VALU_DEP_1) | instskip(SKIP_1) | instid1(VALU_DEP_1)
	v_pk_add_f32 v[32:33], v[32:33], v[34:35]
	s_wait_loadcnt 0x0
	v_pk_add_f32 v[32:33], v[40:41], v[32:33] neg_lo:[0,1] neg_hi:[0,1]
	scratch_store_b64 off, v[32:33], off offset:96
	s_wait_xcnt 0x0
	v_cmpx_lt_u32_e32 11, v0
	s_cbranch_execz .LBB78_81
; %bb.80:
	scratch_load_b64 v[32:33], off, off offset:88
	v_mov_b64_e32 v[34:35], 0
	scratch_store_b64 off, v[34:35], off offset:88
	s_wait_loadcnt 0x0
	ds_store_b64 v1, v[32:33]
.LBB78_81:
	s_wait_xcnt 0x0
	s_or_b32 exec_lo, exec_lo, s0
	s_wait_storecnt_dscnt 0x0
	s_barrier_signal -1
	s_barrier_wait -1
	s_clause 0x2
	scratch_load_b128 v[32:35], off, off offset:96
	scratch_load_b64 v[40:41], off, off offset:112
	scratch_load_b64 v[42:43], off, off offset:88
	v_mov_b32_e32 v7, 0
	ds_load_b128 v[36:39], v7 offset:224
	ds_load_b64 v[44:45], v7 offset:240
	s_mov_b32 s0, exec_lo
	s_wait_dscnt 0x1
	v_dual_mov_b32 v46, v39 :: v_dual_mov_b32 v47, v38
	s_wait_loadcnt 0x2
	v_mov_b32_e32 v50, v35
	v_pk_mul_f32 v[48:49], v[36:37], v[32:33] op_sel:[1,1] op_sel_hi:[0,1]
	s_delay_alu instid0(VALU_DEP_2) | instskip(NEXT) | instid1(VALU_DEP_2)
	v_pk_mul_f32 v[46:47], v[46:47], v[50:51] op_sel_hi:[1,0]
	v_pk_fma_f32 v[52:53], v[36:37], v[32:33], v[48:49] op_sel_hi:[1,0,1]
	v_pk_fma_f32 v[32:33], v[36:37], v[32:33], v[48:49] neg_lo:[0,0,1] neg_hi:[0,0,1]
	s_wait_loadcnt_dscnt 0x100
	v_pk_mul_f32 v[48:49], v[44:45], v[40:41] op_sel:[1,1] op_sel_hi:[0,1]
	v_pk_fma_f32 v[36:37], v[38:39], v[34:35], v[46:47] op_sel_hi:[1,0,1]
	v_mov_b32_e32 v33, v53
	v_pk_fma_f32 v[34:35], v[38:39], v[34:35], v[46:47] neg_lo:[0,0,1] neg_hi:[0,0,1]
	s_delay_alu instid0(VALU_DEP_4) | instskip(NEXT) | instid1(VALU_DEP_4)
	v_pk_fma_f32 v[38:39], v[44:45], v[40:41], v[48:49] neg_lo:[0,0,1] neg_hi:[0,0,1]
	v_mov_b32_e32 v35, v37
	s_delay_alu instid0(VALU_DEP_4) | instskip(SKIP_1) | instid1(VALU_DEP_2)
	v_pk_add_f32 v[32:33], v[32:33], 0 op_sel_hi:[1,0]
	v_pk_fma_f32 v[36:37], v[44:45], v[40:41], v[48:49] op_sel_hi:[1,0,1]
	v_pk_add_f32 v[32:33], v[32:33], v[34:35]
	s_delay_alu instid0(VALU_DEP_2) | instskip(NEXT) | instid1(VALU_DEP_1)
	v_mov_b32_e32 v39, v37
	v_pk_add_f32 v[32:33], v[32:33], v[38:39]
	s_wait_loadcnt 0x0
	s_delay_alu instid0(VALU_DEP_1)
	v_pk_add_f32 v[32:33], v[42:43], v[32:33] neg_lo:[0,1] neg_hi:[0,1]
	scratch_store_b64 off, v[32:33], off offset:88
	s_wait_xcnt 0x0
	v_cmpx_lt_u32_e32 10, v0
	s_cbranch_execz .LBB78_83
; %bb.82:
	scratch_load_b64 v[32:33], off, off offset:80
	v_mov_b64_e32 v[34:35], 0
	scratch_store_b64 off, v[34:35], off offset:80
	s_wait_loadcnt 0x0
	ds_store_b64 v1, v[32:33]
.LBB78_83:
	s_wait_xcnt 0x0
	s_or_b32 exec_lo, exec_lo, s0
	s_wait_storecnt_dscnt 0x0
	s_barrier_signal -1
	s_barrier_wait -1
	s_clause 0x2
	scratch_load_b128 v[32:35], off, off offset:88
	scratch_load_b128 v[36:39], off, off offset:104
	scratch_load_b64 v[48:49], off, off offset:80
	ds_load_2addr_b64 v[40:43], v7 offset0:27 offset1:28
	ds_load_2addr_b64 v[44:47], v7 offset0:29 offset1:30
	s_mov_b32 s0, exec_lo
	s_wait_dscnt 0x1
	v_dual_mov_b32 v50, v43 :: v_dual_mov_b32 v51, v42
	s_wait_loadcnt_dscnt 0x200
	v_dual_mov_b32 v56, v47 :: v_dual_mov_b32 v54, v35
	v_pk_mul_f32 v[52:53], v[40:41], v[32:33] op_sel:[1,1] op_sel_hi:[0,1]
	s_delay_alu instid0(VALU_DEP_2) | instskip(NEXT) | instid1(VALU_DEP_2)
	v_pk_mul_f32 v[50:51], v[50:51], v[54:55] op_sel_hi:[1,0]
	v_pk_fma_f32 v[58:59], v[40:41], v[32:33], v[52:53] op_sel_hi:[1,0,1]
	v_pk_fma_f32 v[32:33], v[40:41], v[32:33], v[52:53] neg_lo:[0,0,1] neg_hi:[0,0,1]
	v_mov_b32_e32 v57, v46
	s_wait_loadcnt 0x1
	v_pk_mul_f32 v[54:55], v[44:45], v[36:37] op_sel:[1,1] op_sel_hi:[0,1]
	v_pk_fma_f32 v[40:41], v[42:43], v[34:35], v[50:51] op_sel_hi:[1,0,1]
	v_dual_mov_b32 v33, v59 :: v_dual_mov_b32 v40, v39
	v_pk_fma_f32 v[34:35], v[42:43], v[34:35], v[50:51] neg_lo:[0,0,1] neg_hi:[0,0,1]
	s_delay_alu instid0(VALU_DEP_4) | instskip(NEXT) | instid1(VALU_DEP_4)
	v_pk_fma_f32 v[52:53], v[44:45], v[36:37], v[54:55] op_sel_hi:[1,0,1]
	v_mov_b32_e32 v35, v41
	s_delay_alu instid0(VALU_DEP_4) | instskip(SKIP_2) | instid1(VALU_DEP_3)
	v_pk_add_f32 v[32:33], v[32:33], 0 op_sel_hi:[1,0]
	v_pk_mul_f32 v[40:41], v[56:57], v[40:41] op_sel_hi:[1,0]
	v_pk_fma_f32 v[36:37], v[44:45], v[36:37], v[54:55] neg_lo:[0,0,1] neg_hi:[0,0,1]
	v_pk_add_f32 v[32:33], v[32:33], v[34:35]
	s_delay_alu instid0(VALU_DEP_3) | instskip(SKIP_2) | instid1(VALU_DEP_3)
	v_pk_fma_f32 v[34:35], v[46:47], v[38:39], v[40:41] op_sel_hi:[1,0,1]
	v_mov_b32_e32 v37, v53
	v_pk_fma_f32 v[38:39], v[46:47], v[38:39], v[40:41] neg_lo:[0,0,1] neg_hi:[0,0,1]
	v_mov_b32_e32 v39, v35
	s_delay_alu instid0(VALU_DEP_3) | instskip(NEXT) | instid1(VALU_DEP_1)
	v_pk_add_f32 v[32:33], v[32:33], v[36:37]
	v_pk_add_f32 v[32:33], v[32:33], v[38:39]
	s_wait_loadcnt 0x0
	s_delay_alu instid0(VALU_DEP_1)
	v_pk_add_f32 v[32:33], v[48:49], v[32:33] neg_lo:[0,1] neg_hi:[0,1]
	scratch_store_b64 off, v[32:33], off offset:80
	s_wait_xcnt 0x0
	v_cmpx_lt_u32_e32 9, v0
	s_cbranch_execz .LBB78_85
; %bb.84:
	scratch_load_b64 v[32:33], off, off offset:72
	v_mov_b64_e32 v[34:35], 0
	scratch_store_b64 off, v[34:35], off offset:72
	s_wait_loadcnt 0x0
	ds_store_b64 v1, v[32:33]
.LBB78_85:
	s_wait_xcnt 0x0
	s_or_b32 exec_lo, exec_lo, s0
	s_wait_storecnt_dscnt 0x0
	s_barrier_signal -1
	s_barrier_wait -1
	s_clause 0x3
	scratch_load_b128 v[32:35], off, off offset:80
	scratch_load_b128 v[36:39], off, off offset:96
	scratch_load_b64 v[48:49], off, off offset:112
	scratch_load_b64 v[50:51], off, off offset:72
	v_mov_b32_e32 v7, 0
	ds_load_b128 v[40:43], v7 offset:208
	ds_load_b128 v[44:47], v7 offset:224
	s_mov_b32 s0, exec_lo
	s_wait_dscnt 0x1
	v_dual_mov_b32 v52, v43 :: v_dual_mov_b32 v53, v42
	ds_load_b64 v[58:59], v7 offset:240
	s_wait_dscnt 0x1
	v_dual_mov_b32 v60, v47 :: v_dual_mov_b32 v61, v46
	s_wait_loadcnt 0x3
	v_pk_mul_f32 v[54:55], v[40:41], v[32:33] op_sel:[1,1] op_sel_hi:[0,1]
	v_mov_b32_e32 v56, v35
	s_delay_alu instid0(VALU_DEP_2) | instskip(NEXT) | instid1(VALU_DEP_2)
	v_pk_fma_f32 v[62:63], v[40:41], v[32:33], v[54:55] op_sel_hi:[1,0,1]
	v_pk_mul_f32 v[52:53], v[52:53], v[56:57] op_sel_hi:[1,0]
	v_pk_fma_f32 v[32:33], v[40:41], v[32:33], v[54:55] neg_lo:[0,0,1] neg_hi:[0,0,1]
	s_wait_loadcnt 0x2
	v_pk_mul_f32 v[56:57], v[44:45], v[36:37] op_sel:[1,1] op_sel_hi:[0,1]
	v_dual_mov_b32 v62, v39 :: v_dual_mov_b32 v33, v63
	v_pk_fma_f32 v[40:41], v[42:43], v[34:35], v[52:53] op_sel_hi:[1,0,1]
	v_pk_fma_f32 v[34:35], v[42:43], v[34:35], v[52:53] neg_lo:[0,0,1] neg_hi:[0,0,1]
	s_delay_alu instid0(VALU_DEP_4) | instskip(NEXT) | instid1(VALU_DEP_4)
	v_pk_fma_f32 v[54:55], v[44:45], v[36:37], v[56:57] op_sel_hi:[1,0,1]
	v_pk_mul_f32 v[60:61], v[60:61], v[62:63] op_sel_hi:[1,0]
	v_pk_add_f32 v[32:33], v[32:33], 0 op_sel_hi:[1,0]
	v_mov_b32_e32 v35, v41
	v_pk_fma_f32 v[36:37], v[44:45], v[36:37], v[56:57] neg_lo:[0,0,1] neg_hi:[0,0,1]
	v_mov_b32_e32 v37, v55
	v_pk_fma_f32 v[40:41], v[46:47], v[38:39], v[60:61] op_sel_hi:[1,0,1]
	v_pk_fma_f32 v[38:39], v[46:47], v[38:39], v[60:61] neg_lo:[0,0,1] neg_hi:[0,0,1]
	v_pk_add_f32 v[32:33], v[32:33], v[34:35]
	s_wait_loadcnt_dscnt 0x100
	v_pk_mul_f32 v[34:35], v[58:59], v[48:49] op_sel:[1,1] op_sel_hi:[0,1]
	s_delay_alu instid0(VALU_DEP_2) | instskip(NEXT) | instid1(VALU_DEP_2)
	v_pk_add_f32 v[32:33], v[32:33], v[36:37]
	v_pk_fma_f32 v[36:37], v[58:59], v[48:49], v[34:35] op_sel_hi:[1,0,1]
	v_mov_b32_e32 v39, v41
	v_pk_fma_f32 v[34:35], v[58:59], v[48:49], v[34:35] neg_lo:[0,0,1] neg_hi:[0,0,1]
	s_delay_alu instid0(VALU_DEP_3) | instskip(NEXT) | instid1(VALU_DEP_3)
	v_mov_b32_e32 v35, v37
	v_pk_add_f32 v[32:33], v[32:33], v[38:39]
	s_delay_alu instid0(VALU_DEP_1) | instskip(SKIP_1) | instid1(VALU_DEP_1)
	v_pk_add_f32 v[32:33], v[32:33], v[34:35]
	s_wait_loadcnt 0x0
	v_pk_add_f32 v[32:33], v[50:51], v[32:33] neg_lo:[0,1] neg_hi:[0,1]
	scratch_store_b64 off, v[32:33], off offset:72
	s_wait_xcnt 0x0
	v_cmpx_lt_u32_e32 8, v0
	s_cbranch_execz .LBB78_87
; %bb.86:
	scratch_load_b64 v[32:33], off, off offset:64
	v_mov_b64_e32 v[34:35], 0
	scratch_store_b64 off, v[34:35], off offset:64
	s_wait_loadcnt 0x0
	ds_store_b64 v1, v[32:33]
.LBB78_87:
	s_wait_xcnt 0x0
	s_or_b32 exec_lo, exec_lo, s0
	s_wait_storecnt_dscnt 0x0
	s_barrier_signal -1
	s_barrier_wait -1
	s_clause 0x3
	scratch_load_b128 v[32:35], off, off offset:72
	scratch_load_b128 v[36:39], off, off offset:88
	;; [unrolled: 1-line block ×3, first 2 shown]
	scratch_load_b64 v[56:57], off, off offset:64
	ds_load_2addr_b64 v[44:47], v7 offset0:25 offset1:26
	ds_load_2addr_b64 v[48:51], v7 offset0:27 offset1:28
	;; [unrolled: 1-line block ×3, first 2 shown]
	s_mov_b32 s0, exec_lo
	s_wait_dscnt 0x2
	v_dual_mov_b32 v58, v47 :: v_dual_mov_b32 v59, v46
	s_wait_dscnt 0x1
	v_dual_mov_b32 v60, v51 :: v_dual_mov_b32 v61, v50
	;; [unrolled: 2-line block ×3, first 2 shown]
	s_wait_loadcnt 0x3
	v_pk_mul_f32 v[62:63], v[44:45], v[32:33] op_sel:[1,1] op_sel_hi:[0,1]
	v_mov_b32_e32 v64, v35
	s_delay_alu instid0(VALU_DEP_2) | instskip(NEXT) | instid1(VALU_DEP_2)
	v_pk_fma_f32 v[68:69], v[44:45], v[32:33], v[62:63] op_sel_hi:[1,0,1]
	v_pk_mul_f32 v[58:59], v[58:59], v[64:65] op_sel_hi:[1,0]
	v_pk_fma_f32 v[32:33], v[44:45], v[32:33], v[62:63] neg_lo:[0,0,1] neg_hi:[0,0,1]
	s_wait_loadcnt 0x2
	v_pk_mul_f32 v[64:65], v[48:49], v[36:37] op_sel:[1,1] op_sel_hi:[0,1]
	v_mov_b32_e32 v68, v39
	v_pk_fma_f32 v[44:45], v[46:47], v[34:35], v[58:59] op_sel_hi:[1,0,1]
	v_mov_b32_e32 v33, v69
	v_pk_fma_f32 v[34:35], v[46:47], v[34:35], v[58:59] neg_lo:[0,0,1] neg_hi:[0,0,1]
	v_pk_fma_f32 v[62:63], v[48:49], v[36:37], v[64:65] op_sel_hi:[1,0,1]
	v_pk_mul_f32 v[60:61], v[60:61], v[68:69] op_sel_hi:[1,0]
	v_mov_b32_e32 v35, v45
	v_pk_add_f32 v[32:33], v[32:33], 0 op_sel_hi:[1,0]
	v_pk_fma_f32 v[36:37], v[48:49], v[36:37], v[64:65] neg_lo:[0,0,1] neg_hi:[0,0,1]
	s_wait_loadcnt 0x1
	v_pk_mul_f32 v[44:45], v[52:53], v[40:41] op_sel:[1,1] op_sel_hi:[0,1]
	v_mov_b32_e32 v37, v63
	v_pk_fma_f32 v[46:47], v[50:51], v[38:39], v[60:61] op_sel_hi:[1,0,1]
	v_pk_add_f32 v[32:33], v[32:33], v[34:35]
	v_mov_b32_e32 v34, v43
	v_pk_fma_f32 v[38:39], v[50:51], v[38:39], v[60:61] neg_lo:[0,0,1] neg_hi:[0,0,1]
	v_pk_fma_f32 v[48:49], v[52:53], v[40:41], v[44:45] op_sel_hi:[1,0,1]
	v_mov_b32_e32 v39, v47
	v_pk_add_f32 v[32:33], v[32:33], v[36:37]
	v_pk_mul_f32 v[34:35], v[66:67], v[34:35] op_sel_hi:[1,0]
	v_pk_fma_f32 v[36:37], v[52:53], v[40:41], v[44:45] neg_lo:[0,0,1] neg_hi:[0,0,1]
	v_mov_b32_e32 v37, v49
	s_delay_alu instid0(VALU_DEP_4) | instskip(NEXT) | instid1(VALU_DEP_4)
	v_pk_add_f32 v[32:33], v[32:33], v[38:39]
	v_pk_fma_f32 v[38:39], v[54:55], v[42:43], v[34:35] op_sel_hi:[1,0,1]
	v_pk_fma_f32 v[34:35], v[54:55], v[42:43], v[34:35] neg_lo:[0,0,1] neg_hi:[0,0,1]
	s_delay_alu instid0(VALU_DEP_3) | instskip(NEXT) | instid1(VALU_DEP_3)
	v_pk_add_f32 v[32:33], v[32:33], v[36:37]
	v_mov_b32_e32 v35, v39
	s_delay_alu instid0(VALU_DEP_1) | instskip(SKIP_1) | instid1(VALU_DEP_1)
	v_pk_add_f32 v[32:33], v[32:33], v[34:35]
	s_wait_loadcnt 0x0
	v_pk_add_f32 v[32:33], v[56:57], v[32:33] neg_lo:[0,1] neg_hi:[0,1]
	scratch_store_b64 off, v[32:33], off offset:64
	s_wait_xcnt 0x0
	v_cmpx_lt_u32_e32 7, v0
	s_cbranch_execz .LBB78_89
; %bb.88:
	scratch_load_b64 v[32:33], off, off offset:56
	v_mov_b64_e32 v[34:35], 0
	scratch_store_b64 off, v[34:35], off offset:56
	s_wait_loadcnt 0x0
	ds_store_b64 v1, v[32:33]
.LBB78_89:
	s_wait_xcnt 0x0
	s_or_b32 exec_lo, exec_lo, s0
	s_wait_storecnt_dscnt 0x0
	s_barrier_signal -1
	s_barrier_wait -1
	s_clause 0x4
	scratch_load_b128 v[32:35], off, off offset:64
	scratch_load_b128 v[36:39], off, off offset:80
	;; [unrolled: 1-line block ×3, first 2 shown]
	scratch_load_b64 v[56:57], off, off offset:112
	scratch_load_b64 v[58:59], off, off offset:56
	v_mov_b32_e32 v7, 0
	ds_load_b128 v[44:47], v7 offset:192
	ds_load_b128 v[48:51], v7 offset:208
	;; [unrolled: 1-line block ×3, first 2 shown]
	ds_load_b64 v[60:61], v7 offset:240
	s_mov_b32 s0, exec_lo
	s_wait_dscnt 0x3
	v_dual_mov_b32 v62, v47 :: v_dual_mov_b32 v63, v46
	s_wait_dscnt 0x2
	v_dual_mov_b32 v64, v51 :: v_dual_mov_b32 v65, v50
	;; [unrolled: 2-line block ×3, first 2 shown]
	s_wait_loadcnt 0x4
	v_pk_mul_f32 v[66:67], v[44:45], v[32:33] op_sel:[1,1] op_sel_hi:[0,1]
	v_mov_b32_e32 v68, v35
	s_wait_loadcnt 0x3
	v_pk_mul_f32 v[72:73], v[48:49], v[36:37] op_sel:[1,1] op_sel_hi:[0,1]
	s_wait_loadcnt 0x2
	v_pk_mul_f32 v[76:77], v[52:53], v[40:41] op_sel:[1,1] op_sel_hi:[0,1]
	v_pk_fma_f32 v[74:75], v[44:45], v[32:33], v[66:67] op_sel_hi:[1,0,1]
	v_pk_mul_f32 v[62:63], v[62:63], v[68:69] op_sel_hi:[1,0]
	v_pk_fma_f32 v[32:33], v[44:45], v[32:33], v[66:67] neg_lo:[0,0,1] neg_hi:[0,0,1]
	v_mov_b32_e32 v68, v39
	v_pk_fma_f32 v[66:67], v[48:49], v[36:37], v[72:73] op_sel_hi:[1,0,1]
	v_mov_b32_e32 v33, v75
	v_pk_fma_f32 v[44:45], v[46:47], v[34:35], v[62:63] op_sel_hi:[1,0,1]
	v_pk_fma_f32 v[34:35], v[46:47], v[34:35], v[62:63] neg_lo:[0,0,1] neg_hi:[0,0,1]
	v_pk_mul_f32 v[64:65], v[64:65], v[68:69] op_sel_hi:[1,0]
	v_pk_fma_f32 v[36:37], v[48:49], v[36:37], v[72:73] neg_lo:[0,0,1] neg_hi:[0,0,1]
	v_pk_add_f32 v[32:33], v[32:33], 0 op_sel_hi:[1,0]
	v_dual_mov_b32 v35, v45 :: v_dual_mov_b32 v44, v43
	s_delay_alu instid0(VALU_DEP_4) | instskip(SKIP_2) | instid1(VALU_DEP_4)
	v_pk_fma_f32 v[46:47], v[50:51], v[38:39], v[64:65] op_sel_hi:[1,0,1]
	v_mov_b32_e32 v37, v67
	v_pk_fma_f32 v[38:39], v[50:51], v[38:39], v[64:65] neg_lo:[0,0,1] neg_hi:[0,0,1]
	v_pk_add_f32 v[32:33], v[32:33], v[34:35]
	v_pk_fma_f32 v[34:35], v[52:53], v[40:41], v[76:77] op_sel_hi:[1,0,1]
	v_pk_mul_f32 v[44:45], v[70:71], v[44:45] op_sel_hi:[1,0]
	v_mov_b32_e32 v39, v47
	s_delay_alu instid0(VALU_DEP_4)
	v_pk_add_f32 v[32:33], v[32:33], v[36:37]
	v_pk_fma_f32 v[36:37], v[52:53], v[40:41], v[76:77] neg_lo:[0,0,1] neg_hi:[0,0,1]
	v_mov_b32_e32 v37, v35
	v_pk_fma_f32 v[34:35], v[54:55], v[42:43], v[44:45] op_sel_hi:[1,0,1]
	v_pk_fma_f32 v[40:41], v[54:55], v[42:43], v[44:45] neg_lo:[0,0,1] neg_hi:[0,0,1]
	v_pk_add_f32 v[32:33], v[32:33], v[38:39]
	s_wait_loadcnt_dscnt 0x100
	v_pk_mul_f32 v[38:39], v[60:61], v[56:57] op_sel:[1,1] op_sel_hi:[0,1]
	v_mov_b32_e32 v41, v35
	s_delay_alu instid0(VALU_DEP_3) | instskip(NEXT) | instid1(VALU_DEP_3)
	v_pk_add_f32 v[32:33], v[32:33], v[36:37]
	v_pk_fma_f32 v[34:35], v[60:61], v[56:57], v[38:39] op_sel_hi:[1,0,1]
	v_pk_fma_f32 v[36:37], v[60:61], v[56:57], v[38:39] neg_lo:[0,0,1] neg_hi:[0,0,1]
	s_delay_alu instid0(VALU_DEP_3) | instskip(NEXT) | instid1(VALU_DEP_3)
	v_pk_add_f32 v[32:33], v[32:33], v[40:41]
	v_mov_b32_e32 v37, v35
	s_delay_alu instid0(VALU_DEP_1) | instskip(SKIP_1) | instid1(VALU_DEP_1)
	v_pk_add_f32 v[32:33], v[32:33], v[36:37]
	s_wait_loadcnt 0x0
	v_pk_add_f32 v[32:33], v[58:59], v[32:33] neg_lo:[0,1] neg_hi:[0,1]
	scratch_store_b64 off, v[32:33], off offset:56
	s_wait_xcnt 0x0
	v_cmpx_lt_u32_e32 6, v0
	s_cbranch_execz .LBB78_91
; %bb.90:
	scratch_load_b64 v[32:33], off, off offset:48
	v_mov_b64_e32 v[34:35], 0
	scratch_store_b64 off, v[34:35], off offset:48
	s_wait_loadcnt 0x0
	ds_store_b64 v1, v[32:33]
.LBB78_91:
	s_wait_xcnt 0x0
	s_or_b32 exec_lo, exec_lo, s0
	s_wait_storecnt_dscnt 0x0
	s_barrier_signal -1
	s_barrier_wait -1
	s_clause 0x4
	scratch_load_b128 v[32:35], off, off offset:56
	scratch_load_b128 v[36:39], off, off offset:72
	;; [unrolled: 1-line block ×4, first 2 shown]
	scratch_load_b64 v[64:65], off, off offset:48
	ds_load_2addr_b64 v[48:51], v7 offset0:23 offset1:24
	ds_load_2addr_b64 v[52:55], v7 offset0:25 offset1:26
	;; [unrolled: 1-line block ×4, first 2 shown]
	s_mov_b32 s0, exec_lo
	s_wait_dscnt 0x3
	v_dual_mov_b32 v66, v51 :: v_dual_mov_b32 v67, v50
	s_wait_dscnt 0x2
	v_dual_mov_b32 v68, v55 :: v_dual_mov_b32 v69, v54
	;; [unrolled: 2-line block ×3, first 2 shown]
	v_dual_mov_b32 v71, v58 :: v_dual_mov_b32 v76, v63
	s_wait_loadcnt 0x4
	v_mov_b32_e32 v74, v35
	v_pk_mul_f32 v[72:73], v[48:49], v[32:33] op_sel:[1,1] op_sel_hi:[0,1]
	s_wait_loadcnt 0x3
	v_pk_mul_f32 v[78:79], v[52:53], v[36:37] op_sel:[1,1] op_sel_hi:[0,1]
	s_wait_loadcnt 0x2
	v_pk_mul_f32 v[82:83], v[56:57], v[40:41] op_sel:[1,1] op_sel_hi:[0,1]
	v_pk_mul_f32 v[66:67], v[66:67], v[74:75] op_sel_hi:[1,0]
	v_pk_fma_f32 v[80:81], v[48:49], v[32:33], v[72:73] op_sel_hi:[1,0,1]
	v_pk_fma_f32 v[32:33], v[48:49], v[32:33], v[72:73] neg_lo:[0,0,1] neg_hi:[0,0,1]
	v_mov_b32_e32 v74, v39
	v_pk_fma_f32 v[72:73], v[52:53], v[36:37], v[78:79] op_sel_hi:[1,0,1]
	v_pk_fma_f32 v[48:49], v[50:51], v[34:35], v[66:67] op_sel_hi:[1,0,1]
	v_mov_b32_e32 v33, v81
	v_pk_fma_f32 v[34:35], v[50:51], v[34:35], v[66:67] neg_lo:[0,0,1] neg_hi:[0,0,1]
	v_pk_mul_f32 v[68:69], v[68:69], v[74:75] op_sel_hi:[1,0]
	s_delay_alu instid0(VALU_DEP_4) | instskip(NEXT) | instid1(VALU_DEP_4)
	v_dual_mov_b32 v48, v43 :: v_dual_mov_b32 v35, v49
	v_pk_add_f32 v[32:33], v[32:33], 0 op_sel_hi:[1,0]
	v_pk_fma_f32 v[36:37], v[52:53], v[36:37], v[78:79] neg_lo:[0,0,1] neg_hi:[0,0,1]
	v_mov_b32_e32 v37, v73
	v_pk_fma_f32 v[50:51], v[54:55], v[38:39], v[68:69] op_sel_hi:[1,0,1]
	v_pk_mul_f32 v[48:49], v[70:71], v[48:49] op_sel_hi:[1,0]
	v_pk_add_f32 v[32:33], v[32:33], v[34:35]
	v_pk_fma_f32 v[34:35], v[56:57], v[40:41], v[82:83] op_sel_hi:[1,0,1]
	v_pk_fma_f32 v[38:39], v[54:55], v[38:39], v[68:69] neg_lo:[0,0,1] neg_hi:[0,0,1]
	v_mov_b32_e32 v39, v51
	v_pk_fma_f32 v[40:41], v[56:57], v[40:41], v[82:83] neg_lo:[0,0,1] neg_hi:[0,0,1]
	v_pk_add_f32 v[32:33], v[32:33], v[36:37]
	v_mov_b32_e32 v41, v35
	v_pk_fma_f32 v[34:35], v[58:59], v[42:43], v[48:49] op_sel_hi:[1,0,1]
	s_wait_loadcnt 0x1
	v_pk_mul_f32 v[36:37], v[60:61], v[44:45] op_sel:[1,1] op_sel_hi:[0,1]
	v_mov_b32_e32 v34, v47
	v_pk_add_f32 v[32:33], v[32:33], v[38:39]
	v_pk_fma_f32 v[42:43], v[58:59], v[42:43], v[48:49] neg_lo:[0,0,1] neg_hi:[0,0,1]
	v_mov_b32_e32 v43, v35
	v_pk_fma_f32 v[38:39], v[60:61], v[44:45], v[36:37] op_sel_hi:[1,0,1]
	v_pk_mul_f32 v[34:35], v[76:77], v[34:35] op_sel_hi:[1,0]
	v_pk_add_f32 v[32:33], v[32:33], v[40:41]
	v_pk_fma_f32 v[36:37], v[60:61], v[44:45], v[36:37] neg_lo:[0,0,1] neg_hi:[0,0,1]
	s_delay_alu instid0(VALU_DEP_4) | instskip(NEXT) | instid1(VALU_DEP_4)
	v_mov_b32_e32 v37, v39
	v_pk_fma_f32 v[38:39], v[62:63], v[46:47], v[34:35] op_sel_hi:[1,0,1]
	s_delay_alu instid0(VALU_DEP_4) | instskip(SKIP_1) | instid1(VALU_DEP_3)
	v_pk_add_f32 v[32:33], v[32:33], v[42:43]
	v_pk_fma_f32 v[34:35], v[62:63], v[46:47], v[34:35] neg_lo:[0,0,1] neg_hi:[0,0,1]
	v_mov_b32_e32 v35, v39
	s_delay_alu instid0(VALU_DEP_3) | instskip(NEXT) | instid1(VALU_DEP_1)
	v_pk_add_f32 v[32:33], v[32:33], v[36:37]
	v_pk_add_f32 v[32:33], v[32:33], v[34:35]
	s_wait_loadcnt 0x0
	s_delay_alu instid0(VALU_DEP_1)
	v_pk_add_f32 v[32:33], v[64:65], v[32:33] neg_lo:[0,1] neg_hi:[0,1]
	scratch_store_b64 off, v[32:33], off offset:48
	s_wait_xcnt 0x0
	v_cmpx_lt_u32_e32 5, v0
	s_cbranch_execz .LBB78_93
; %bb.92:
	scratch_load_b64 v[32:33], off, off offset:40
	v_mov_b64_e32 v[34:35], 0
	scratch_store_b64 off, v[34:35], off offset:40
	s_wait_loadcnt 0x0
	ds_store_b64 v1, v[32:33]
.LBB78_93:
	s_wait_xcnt 0x0
	s_or_b32 exec_lo, exec_lo, s0
	s_wait_storecnt_dscnt 0x0
	s_barrier_signal -1
	s_barrier_wait -1
	s_clause 0x5
	scratch_load_b128 v[32:35], off, off offset:48
	scratch_load_b128 v[36:39], off, off offset:64
	;; [unrolled: 1-line block ×4, first 2 shown]
	scratch_load_b64 v[64:65], off, off offset:112
	scratch_load_b64 v[66:67], off, off offset:40
	v_mov_b32_e32 v7, 0
	ds_load_b128 v[48:51], v7 offset:176
	ds_load_b128 v[52:55], v7 offset:192
	;; [unrolled: 1-line block ×4, first 2 shown]
	ds_load_b64 v[68:69], v7 offset:240
	s_mov_b32 s0, exec_lo
	s_wait_dscnt 0x4
	v_dual_mov_b32 v70, v51 :: v_dual_mov_b32 v71, v50
	s_wait_dscnt 0x1
	v_dual_mov_b32 v72, v55 :: v_dual_mov_b32 v77, v62
	v_dual_mov_b32 v73, v54 :: v_dual_mov_b32 v74, v59
	;; [unrolled: 1-line block ×3, first 2 shown]
	s_wait_loadcnt 0x5
	v_dual_mov_b32 v78, v35 :: v_dual_mul_f32 v79, v48, v33
	v_mul_f32_e32 v9, v49, v33
	s_wait_loadcnt 0x4
	v_pk_mul_f32 v[80:81], v[52:53], v[36:37] op_sel:[1,1] op_sel_hi:[0,1]
	v_mov_b32_e32 v82, v39
	s_wait_loadcnt 0x3
	v_pk_mul_f32 v[84:85], v[56:57], v[40:41] op_sel:[1,1] op_sel_hi:[0,1]
	v_pk_mul_f32 v[70:71], v[70:71], v[78:79] op_sel_hi:[1,0]
	v_dual_fmac_f32 v79, v49, v32 :: v_dual_fma_f32 v78, v48, v32, -v9
	v_mov_b32_e32 v32, v43
	v_pk_fma_f32 v[86:87], v[52:53], v[36:37], v[80:81] op_sel_hi:[1,0,1]
	s_delay_alu instid0(VALU_DEP_4)
	v_pk_fma_f32 v[48:49], v[50:51], v[34:35], v[70:71] op_sel_hi:[1,0,1]
	v_pk_fma_f32 v[34:35], v[50:51], v[34:35], v[70:71] neg_lo:[0,0,1] neg_hi:[0,0,1]
	v_pk_mul_f32 v[72:73], v[72:73], v[82:83] op_sel_hi:[1,0]
	v_pk_add_f32 v[78:79], v[78:79], 0 op_sel_hi:[1,0]
	v_pk_fma_f32 v[36:37], v[52:53], v[36:37], v[80:81] neg_lo:[0,0,1] neg_hi:[0,0,1]
	v_dual_mov_b32 v35, v49 :: v_dual_mov_b32 v37, v87
	s_delay_alu instid0(VALU_DEP_4) | instskip(SKIP_2) | instid1(VALU_DEP_4)
	v_pk_fma_f32 v[50:51], v[54:55], v[38:39], v[72:73] op_sel_hi:[1,0,1]
	v_pk_fma_f32 v[38:39], v[54:55], v[38:39], v[72:73] neg_lo:[0,0,1] neg_hi:[0,0,1]
	v_pk_fma_f32 v[52:53], v[56:57], v[40:41], v[84:85] op_sel_hi:[1,0,1]
	v_pk_add_f32 v[34:35], v[78:79], v[34:35]
	v_pk_mul_f32 v[32:33], v[74:75], v[32:33] op_sel_hi:[1,0]
	v_mov_b32_e32 v39, v51
	v_pk_fma_f32 v[40:41], v[56:57], v[40:41], v[84:85] neg_lo:[0,0,1] neg_hi:[0,0,1]
	s_wait_loadcnt 0x2
	v_pk_mul_f32 v[48:49], v[60:61], v[44:45] op_sel:[1,1] op_sel_hi:[0,1]
	v_pk_add_f32 v[34:35], v[34:35], v[36:37]
	v_mov_b32_e32 v36, v47
	v_pk_fma_f32 v[50:51], v[58:59], v[42:43], v[32:33] op_sel_hi:[1,0,1]
	v_mov_b32_e32 v41, v53
	v_pk_fma_f32 v[32:33], v[58:59], v[42:43], v[32:33] neg_lo:[0,0,1] neg_hi:[0,0,1]
	v_pk_add_f32 v[34:35], v[34:35], v[38:39]
	v_pk_fma_f32 v[38:39], v[60:61], v[44:45], v[48:49] op_sel_hi:[1,0,1]
	v_pk_mul_f32 v[36:37], v[76:77], v[36:37] op_sel_hi:[1,0]
	v_mov_b32_e32 v33, v51
	s_delay_alu instid0(VALU_DEP_4)
	v_pk_add_f32 v[34:35], v[34:35], v[40:41]
	v_pk_fma_f32 v[40:41], v[60:61], v[44:45], v[48:49] neg_lo:[0,0,1] neg_hi:[0,0,1]
	v_mov_b32_e32 v41, v39
	v_pk_fma_f32 v[38:39], v[62:63], v[46:47], v[36:37] op_sel_hi:[1,0,1]
	v_pk_fma_f32 v[36:37], v[62:63], v[46:47], v[36:37] neg_lo:[0,0,1] neg_hi:[0,0,1]
	v_pk_add_f32 v[32:33], v[34:35], v[32:33]
	s_wait_loadcnt_dscnt 0x100
	v_pk_mul_f32 v[34:35], v[68:69], v[64:65] op_sel:[1,1] op_sel_hi:[0,1]
	v_mov_b32_e32 v37, v39
	s_delay_alu instid0(VALU_DEP_3) | instskip(NEXT) | instid1(VALU_DEP_3)
	v_pk_add_f32 v[32:33], v[32:33], v[40:41]
	v_pk_fma_f32 v[38:39], v[68:69], v[64:65], v[34:35] op_sel_hi:[1,0,1]
	v_pk_fma_f32 v[34:35], v[68:69], v[64:65], v[34:35] neg_lo:[0,0,1] neg_hi:[0,0,1]
	s_delay_alu instid0(VALU_DEP_3) | instskip(NEXT) | instid1(VALU_DEP_3)
	v_pk_add_f32 v[32:33], v[32:33], v[36:37]
	v_mov_b32_e32 v35, v39
	s_delay_alu instid0(VALU_DEP_1) | instskip(SKIP_1) | instid1(VALU_DEP_1)
	v_pk_add_f32 v[32:33], v[32:33], v[34:35]
	s_wait_loadcnt 0x0
	v_pk_add_f32 v[32:33], v[66:67], v[32:33] neg_lo:[0,1] neg_hi:[0,1]
	scratch_store_b64 off, v[32:33], off offset:40
	s_wait_xcnt 0x0
	v_cmpx_lt_u32_e32 4, v0
	s_cbranch_execz .LBB78_95
; %bb.94:
	scratch_load_b64 v[32:33], off, off offset:32
	v_mov_b64_e32 v[34:35], 0
	scratch_store_b64 off, v[34:35], off offset:32
	s_wait_loadcnt 0x0
	ds_store_b64 v1, v[32:33]
.LBB78_95:
	s_wait_xcnt 0x0
	s_or_b32 exec_lo, exec_lo, s0
	s_wait_storecnt_dscnt 0x0
	s_barrier_signal -1
	s_barrier_wait -1
	s_clause 0x5
	scratch_load_b128 v[32:35], off, off offset:40
	scratch_load_b128 v[36:39], off, off offset:56
	;; [unrolled: 1-line block ×5, first 2 shown]
	scratch_load_b64 v[72:73], off, off offset:32
	ds_load_2addr_b64 v[52:55], v7 offset0:23 offset1:24
	ds_load_2addr_b64 v[56:59], v7 offset0:25 offset1:26
	;; [unrolled: 1-line block ×5, first 2 shown]
	s_mov_b32 s0, exec_lo
	s_wait_dscnt 0x4
	v_dual_mov_b32 v74, v55 :: v_dual_mov_b32 v75, v54
	s_wait_dscnt 0x3
	v_dual_mov_b32 v76, v59 :: v_dual_mov_b32 v77, v58
	s_wait_dscnt 0x2
	v_dual_mov_b32 v78, v63 :: v_dual_mov_b32 v79, v62
	s_wait_dscnt 0x1
	v_dual_mov_b32 v80, v67 :: v_dual_mov_b32 v81, v66
	s_wait_loadcnt_dscnt 0x500
	v_dual_mul_f32 v83, v68, v33 :: v_dual_mul_f32 v85, v70, v35
	v_dual_mul_f32 v7, v69, v33 :: v_dual_mul_f32 v9, v71, v35
	s_wait_loadcnt 0x4
	v_pk_mul_f32 v[86:87], v[52:53], v[36:37] op_sel:[1,1] op_sel_hi:[0,1]
	s_wait_loadcnt 0x3
	v_dual_mov_b32 v88, v39 :: v_dual_mov_b32 v92, v43
	v_dual_fmac_f32 v83, v69, v32 :: v_dual_fmac_f32 v85, v71, v34
	v_dual_fma_f32 v82, v68, v32, -v7 :: v_dual_fma_f32 v84, v70, v34, -v9
	v_pk_fma_f32 v[32:33], v[52:53], v[36:37], v[86:87] op_sel_hi:[1,0,1]
	s_delay_alu instid0(VALU_DEP_4) | instskip(SKIP_1) | instid1(VALU_DEP_4)
	v_pk_mul_f32 v[34:35], v[74:75], v[88:89] op_sel_hi:[1,0]
	v_pk_fma_f32 v[36:37], v[52:53], v[36:37], v[86:87] neg_lo:[0,0,1] neg_hi:[0,0,1]
	v_pk_add_f32 v[68:69], v[82:83], 0 op_sel_hi:[1,0]
	v_pk_mul_f32 v[90:91], v[56:57], v[40:41] op_sel:[1,1] op_sel_hi:[0,1]
	v_mov_b32_e32 v37, v33
	v_pk_fma_f32 v[32:33], v[54:55], v[38:39], v[34:35] op_sel_hi:[1,0,1]
	v_pk_fma_f32 v[34:35], v[54:55], v[38:39], v[34:35] neg_lo:[0,0,1] neg_hi:[0,0,1]
	v_pk_add_f32 v[52:53], v[68:69], v[84:85]
	v_pk_fma_f32 v[68:69], v[56:57], v[40:41], v[90:91] op_sel_hi:[1,0,1]
	v_pk_mul_f32 v[74:75], v[76:77], v[92:93] op_sel_hi:[1,0]
	v_mov_b32_e32 v35, v33
	s_wait_loadcnt 0x2
	v_pk_mul_f32 v[70:71], v[60:61], v[44:45] op_sel:[1,1] op_sel_hi:[0,1]
	v_pk_add_f32 v[32:33], v[52:53], v[36:37]
	v_mov_b32_e32 v36, v47
	v_pk_fma_f32 v[38:39], v[56:57], v[40:41], v[90:91] neg_lo:[0,0,1] neg_hi:[0,0,1]
	v_mov_b32_e32 v39, v69
	v_pk_fma_f32 v[40:41], v[58:59], v[42:43], v[74:75] op_sel_hi:[1,0,1]
	v_pk_add_f32 v[32:33], v[32:33], v[34:35]
	v_pk_fma_f32 v[34:35], v[60:61], v[44:45], v[70:71] op_sel_hi:[1,0,1]
	v_pk_mul_f32 v[36:37], v[78:79], v[36:37] op_sel_hi:[1,0]
	v_pk_fma_f32 v[42:43], v[58:59], v[42:43], v[74:75] neg_lo:[0,0,1] neg_hi:[0,0,1]
	v_mov_b32_e32 v43, v41
	v_pk_add_f32 v[32:33], v[32:33], v[38:39]
	v_pk_fma_f32 v[40:41], v[60:61], v[44:45], v[70:71] neg_lo:[0,0,1] neg_hi:[0,0,1]
	v_mov_b32_e32 v41, v35
	v_pk_fma_f32 v[34:35], v[62:63], v[46:47], v[36:37] op_sel_hi:[1,0,1]
	s_wait_loadcnt 0x1
	v_pk_mul_f32 v[38:39], v[64:65], v[48:49] op_sel:[1,1] op_sel_hi:[0,1]
	v_pk_add_f32 v[32:33], v[32:33], v[42:43]
	v_mov_b32_e32 v34, v51
	v_pk_fma_f32 v[36:37], v[62:63], v[46:47], v[36:37] neg_lo:[0,0,1] neg_hi:[0,0,1]
	v_mov_b32_e32 v37, v35
	v_pk_fma_f32 v[42:43], v[64:65], v[48:49], v[38:39] op_sel_hi:[1,0,1]
	v_pk_add_f32 v[32:33], v[32:33], v[40:41]
	v_pk_mul_f32 v[34:35], v[80:81], v[34:35] op_sel_hi:[1,0]
	v_pk_fma_f32 v[38:39], v[64:65], v[48:49], v[38:39] neg_lo:[0,0,1] neg_hi:[0,0,1]
	s_delay_alu instid0(VALU_DEP_3) | instskip(NEXT) | instid1(VALU_DEP_3)
	v_pk_add_f32 v[32:33], v[32:33], v[36:37]
	v_pk_fma_f32 v[36:37], v[66:67], v[50:51], v[34:35] op_sel_hi:[1,0,1]
	v_mov_b32_e32 v39, v43
	v_pk_fma_f32 v[34:35], v[66:67], v[50:51], v[34:35] neg_lo:[0,0,1] neg_hi:[0,0,1]
	s_delay_alu instid0(VALU_DEP_3) | instskip(NEXT) | instid1(VALU_DEP_3)
	v_mov_b32_e32 v35, v37
	v_pk_add_f32 v[32:33], v[32:33], v[38:39]
	s_delay_alu instid0(VALU_DEP_1) | instskip(SKIP_1) | instid1(VALU_DEP_1)
	v_pk_add_f32 v[32:33], v[32:33], v[34:35]
	s_wait_loadcnt 0x0
	v_pk_add_f32 v[32:33], v[72:73], v[32:33] neg_lo:[0,1] neg_hi:[0,1]
	scratch_store_b64 off, v[32:33], off offset:32
	s_wait_xcnt 0x0
	v_cmpx_lt_u32_e32 3, v0
	s_cbranch_execz .LBB78_97
; %bb.96:
	scratch_load_b64 v[32:33], off, off offset:24
	v_mov_b64_e32 v[34:35], 0
	scratch_store_b64 off, v[34:35], off offset:24
	s_wait_loadcnt 0x0
	ds_store_b64 v1, v[32:33]
.LBB78_97:
	s_wait_xcnt 0x0
	s_or_b32 exec_lo, exec_lo, s0
	s_wait_storecnt_dscnt 0x0
	s_barrier_signal -1
	s_barrier_wait -1
	s_clause 0x6
	scratch_load_b128 v[32:35], off, off offset:32
	scratch_load_b128 v[36:39], off, off offset:48
	;; [unrolled: 1-line block ×5, first 2 shown]
	scratch_load_b64 v[72:73], off, off offset:112
	scratch_load_b64 v[74:75], off, off offset:24
	v_mov_b32_e32 v7, 0
	ds_load_b128 v[52:55], v7 offset:176
	ds_load_b128 v[56:59], v7 offset:192
	;; [unrolled: 1-line block ×5, first 2 shown]
	ds_load_b64 v[76:77], v7 offset:240
	s_mov_b32 s0, exec_lo
	s_wait_dscnt 0x5
	v_dual_mov_b32 v78, v55 :: v_dual_mov_b32 v79, v54
	s_wait_dscnt 0x2
	v_dual_mov_b32 v80, v59 :: v_dual_mov_b32 v85, v66
	v_dual_mov_b32 v81, v58 :: v_dual_mov_b32 v82, v63
	;; [unrolled: 1-line block ×3, first 2 shown]
	s_wait_loadcnt_dscnt 0x601
	v_dual_mul_f32 v9, v68, v33 :: v_dual_mul_f32 v11, v69, v33
	v_dual_mul_f32 v13, v71, v35 :: v_dual_mul_f32 v87, v70, v35
	s_wait_loadcnt 0x5
	v_dual_mul_f32 v89, v52, v37 :: v_dual_mul_f32 v15, v53, v37
	s_wait_loadcnt 0x4
	v_dual_mov_b32 v88, v39 :: v_dual_mov_b32 v92, v43
	v_dual_fmac_f32 v9, v69, v32 :: v_dual_fma_f32 v11, v68, v32, -v11
	v_dual_fma_f32 v86, v70, v34, -v13 :: v_dual_fmac_f32 v87, v71, v34
	s_delay_alu instid0(VALU_DEP_3) | instskip(NEXT) | instid1(VALU_DEP_3)
	v_pk_mul_f32 v[32:33], v[78:79], v[88:89] op_sel_hi:[1,0]
	v_dual_add_f32 v35, 0, v9 :: v_dual_add_f32 v34, 0, v11
	s_wait_loadcnt 0x3
	v_mov_b32_e32 v68, v47
	v_pk_mul_f32 v[90:91], v[56:57], v[40:41] op_sel:[1,1] op_sel_hi:[0,1]
	v_dual_fmac_f32 v89, v53, v36 :: v_dual_fma_f32 v88, v52, v36, -v15
	v_pk_fma_f32 v[36:37], v[54:55], v[38:39], v[32:33] op_sel_hi:[1,0,1]
	v_pk_add_f32 v[34:35], v[34:35], v[86:87]
	v_pk_fma_f32 v[32:33], v[54:55], v[38:39], v[32:33] neg_lo:[0,0,1] neg_hi:[0,0,1]
	v_pk_fma_f32 v[52:53], v[56:57], v[40:41], v[90:91] op_sel_hi:[1,0,1]
	v_pk_mul_f32 v[70:71], v[80:81], v[92:93] op_sel_hi:[1,0]
	v_mov_b32_e32 v33, v37
	v_pk_add_f32 v[34:35], v[34:35], v[88:89]
	v_pk_fma_f32 v[38:39], v[56:57], v[40:41], v[90:91] neg_lo:[0,0,1] neg_hi:[0,0,1]
	v_pk_mul_f32 v[94:95], v[60:61], v[44:45] op_sel:[1,1] op_sel_hi:[0,1]
	v_mov_b32_e32 v39, v53
	v_pk_fma_f32 v[40:41], v[58:59], v[42:43], v[70:71] op_sel_hi:[1,0,1]
	v_pk_add_f32 v[32:33], v[34:35], v[32:33]
	v_pk_fma_f32 v[42:43], v[58:59], v[42:43], v[70:71] neg_lo:[0,0,1] neg_hi:[0,0,1]
	v_pk_fma_f32 v[34:35], v[60:61], v[44:45], v[94:95] op_sel_hi:[1,0,1]
	v_pk_mul_f32 v[52:53], v[82:83], v[68:69] op_sel_hi:[1,0]
	s_wait_loadcnt 0x2
	v_dual_mov_b32 v43, v41 :: v_dual_mov_b32 v34, v51
	v_pk_add_f32 v[32:33], v[32:33], v[38:39]
	v_pk_fma_f32 v[38:39], v[60:61], v[44:45], v[94:95] neg_lo:[0,0,1] neg_hi:[0,0,1]
	v_pk_mul_f32 v[36:37], v[64:65], v[48:49] op_sel:[1,1] op_sel_hi:[0,1]
	v_pk_fma_f32 v[40:41], v[62:63], v[46:47], v[52:53] op_sel_hi:[1,0,1]
	v_mov_b32_e32 v39, v35
	v_pk_add_f32 v[32:33], v[32:33], v[42:43]
	v_pk_fma_f32 v[44:45], v[62:63], v[46:47], v[52:53] neg_lo:[0,0,1] neg_hi:[0,0,1]
	v_pk_fma_f32 v[42:43], v[64:65], v[48:49], v[36:37] op_sel_hi:[1,0,1]
	v_pk_mul_f32 v[34:35], v[84:85], v[34:35] op_sel_hi:[1,0]
	v_mov_b32_e32 v45, v41
	v_pk_add_f32 v[32:33], v[32:33], v[38:39]
	v_pk_fma_f32 v[36:37], v[64:65], v[48:49], v[36:37] neg_lo:[0,0,1] neg_hi:[0,0,1]
	s_wait_loadcnt_dscnt 0x100
	v_pk_mul_f32 v[40:41], v[76:77], v[72:73] op_sel:[1,1] op_sel_hi:[0,1]
	v_pk_fma_f32 v[38:39], v[66:67], v[50:51], v[34:35] op_sel_hi:[1,0,1]
	v_mov_b32_e32 v37, v43
	v_pk_add_f32 v[32:33], v[32:33], v[44:45]
	v_pk_fma_f32 v[34:35], v[66:67], v[50:51], v[34:35] neg_lo:[0,0,1] neg_hi:[0,0,1]
	s_delay_alu instid0(VALU_DEP_4) | instskip(SKIP_1) | instid1(VALU_DEP_4)
	v_mov_b32_e32 v35, v39
	v_pk_fma_f32 v[38:39], v[76:77], v[72:73], v[40:41] neg_lo:[0,0,1] neg_hi:[0,0,1]
	v_pk_add_f32 v[32:33], v[32:33], v[36:37]
	v_pk_fma_f32 v[36:37], v[76:77], v[72:73], v[40:41] op_sel_hi:[1,0,1]
	s_delay_alu instid0(VALU_DEP_2) | instskip(NEXT) | instid1(VALU_DEP_2)
	v_pk_add_f32 v[32:33], v[32:33], v[34:35]
	v_mov_b32_e32 v39, v37
	s_delay_alu instid0(VALU_DEP_1) | instskip(SKIP_1) | instid1(VALU_DEP_1)
	v_pk_add_f32 v[32:33], v[32:33], v[38:39]
	s_wait_loadcnt 0x0
	v_pk_add_f32 v[32:33], v[74:75], v[32:33] neg_lo:[0,1] neg_hi:[0,1]
	scratch_store_b64 off, v[32:33], off offset:24
	s_wait_xcnt 0x0
	v_cmpx_lt_u32_e32 2, v0
	s_cbranch_execz .LBB78_99
; %bb.98:
	scratch_load_b64 v[32:33], off, off offset:16
	v_mov_b64_e32 v[34:35], 0
	scratch_store_b64 off, v[34:35], off offset:16
	s_wait_loadcnt 0x0
	ds_store_b64 v1, v[32:33]
.LBB78_99:
	s_wait_xcnt 0x0
	s_or_b32 exec_lo, exec_lo, s0
	s_wait_storecnt_dscnt 0x0
	s_barrier_signal -1
	s_barrier_wait -1
	s_clause 0x6
	scratch_load_b128 v[32:35], off, off offset:24
	scratch_load_b128 v[36:39], off, off offset:40
	;; [unrolled: 1-line block ×6, first 2 shown]
	scratch_load_b64 v[80:81], off, off offset:16
	ds_load_2addr_b64 v[56:59], v7 offset0:23 offset1:24
	ds_load_2addr_b64 v[60:63], v7 offset0:25 offset1:26
	;; [unrolled: 1-line block ×6, first 2 shown]
	s_mov_b32 s0, exec_lo
	s_wait_dscnt 0x5
	v_dual_mov_b32 v82, v59 :: v_dual_mov_b32 v83, v58
	s_wait_dscnt 0x4
	v_dual_mov_b32 v84, v63 :: v_dual_mov_b32 v85, v62
	;; [unrolled: 2-line block ×4, first 2 shown]
	s_wait_loadcnt_dscnt 0x601
	v_dual_mul_f32 v7, v72, v33 :: v_dual_mul_f32 v9, v74, v35
	v_dual_mul_f32 v11, v73, v33 :: v_dual_mul_f32 v13, v75, v35
	s_wait_loadcnt 0x4
	s_delay_alu instid0(VALU_DEP_2)
	v_dual_mov_b32 v96, v43 :: v_dual_fmac_f32 v7, v73, v32
	s_wait_dscnt 0x0
	v_dual_mul_f32 v91, v76, v37 :: v_dual_mul_f32 v93, v78, v39
	v_dual_fma_f32 v11, v72, v32, -v11 :: v_dual_fmac_f32 v9, v75, v34
	v_dual_mul_f32 v15, v77, v37 :: v_dual_mul_f32 v17, v79, v39
	v_dual_fma_f32 v13, v74, v34, -v13 :: v_dual_add_f32 v7, 0, v7
	s_wait_loadcnt 0x3
	s_delay_alu instid0(VALU_DEP_3) | instskip(SKIP_3) | instid1(VALU_DEP_4)
	v_dual_add_f32 v11, 0, v11 :: v_dual_mov_b32 v34, v47
	v_pk_mul_f32 v[94:95], v[56:57], v[40:41] op_sel:[1,1] op_sel_hi:[0,1]
	v_pk_mul_f32 v[32:33], v[60:61], v[44:45] op_sel:[1,1] op_sel_hi:[0,1]
	v_dual_fmac_f32 v91, v77, v36 :: v_dual_add_f32 v37, v7, v9
	v_dual_fma_f32 v90, v76, v36, -v15 :: v_dual_add_f32 v36, v11, v13
	v_fmac_f32_e32 v93, v79, v38
	v_fma_f32 v92, v78, v38, -v17
	v_pk_fma_f32 v[38:39], v[56:57], v[40:41], v[94:95] op_sel_hi:[1,0,1]
	v_pk_mul_f32 v[72:73], v[82:83], v[96:97] op_sel_hi:[1,0]
	v_pk_add_f32 v[36:37], v[36:37], v[90:91]
	v_pk_fma_f32 v[40:41], v[56:57], v[40:41], v[94:95] neg_lo:[0,0,1] neg_hi:[0,0,1]
	v_pk_fma_f32 v[56:57], v[60:61], v[44:45], v[32:33] op_sel_hi:[1,0,1]
	v_pk_fma_f32 v[32:33], v[60:61], v[44:45], v[32:33] neg_lo:[0,0,1] neg_hi:[0,0,1]
	v_mov_b32_e32 v41, v39
	v_pk_fma_f32 v[38:39], v[58:59], v[42:43], v[72:73] op_sel_hi:[1,0,1]
	v_pk_fma_f32 v[42:43], v[58:59], v[42:43], v[72:73] neg_lo:[0,0,1] neg_hi:[0,0,1]
	v_mov_b32_e32 v33, v57
	v_pk_add_f32 v[36:37], v[36:37], v[92:93]
	v_pk_mul_f32 v[34:35], v[84:85], v[34:35] op_sel_hi:[1,0]
	s_wait_loadcnt 0x2
	v_dual_mov_b32 v43, v39 :: v_dual_mov_b32 v38, v51
	v_pk_mul_f32 v[74:75], v[64:65], v[48:49] op_sel:[1,1] op_sel_hi:[0,1]
	v_pk_add_f32 v[36:37], v[36:37], v[40:41]
	v_pk_fma_f32 v[40:41], v[62:63], v[46:47], v[34:35] op_sel_hi:[1,0,1]
	v_pk_fma_f32 v[34:35], v[62:63], v[46:47], v[34:35] neg_lo:[0,0,1] neg_hi:[0,0,1]
	v_pk_mul_f32 v[38:39], v[86:87], v[38:39] op_sel_hi:[1,0]
	s_delay_alu instid0(VALU_DEP_4) | instskip(SKIP_3) | instid1(VALU_DEP_4)
	v_pk_add_f32 v[36:37], v[36:37], v[42:43]
	v_pk_fma_f32 v[42:43], v[64:65], v[48:49], v[74:75] op_sel_hi:[1,0,1]
	v_mov_b32_e32 v35, v41
	v_pk_fma_f32 v[40:41], v[64:65], v[48:49], v[74:75] neg_lo:[0,0,1] neg_hi:[0,0,1]
	v_pk_add_f32 v[32:33], v[36:37], v[32:33]
	s_wait_loadcnt 0x1
	v_pk_mul_f32 v[36:37], v[68:69], v[52:53] op_sel:[1,1] op_sel_hi:[0,1]
	v_mov_b32_e32 v41, v43
	v_pk_fma_f32 v[42:43], v[66:67], v[50:51], v[38:39] op_sel_hi:[1,0,1]
	v_pk_fma_f32 v[38:39], v[66:67], v[50:51], v[38:39] neg_lo:[0,0,1] neg_hi:[0,0,1]
	v_pk_add_f32 v[32:33], v[32:33], v[34:35]
	v_mov_b32_e32 v34, v55
	v_pk_fma_f32 v[44:45], v[68:69], v[52:53], v[36:37] op_sel_hi:[1,0,1]
	v_mov_b32_e32 v39, v43
	v_pk_fma_f32 v[36:37], v[68:69], v[52:53], v[36:37] neg_lo:[0,0,1] neg_hi:[0,0,1]
	v_pk_add_f32 v[32:33], v[32:33], v[40:41]
	v_pk_mul_f32 v[34:35], v[88:89], v[34:35] op_sel_hi:[1,0]
	s_delay_alu instid0(VALU_DEP_2) | instskip(NEXT) | instid1(VALU_DEP_2)
	v_pk_add_f32 v[32:33], v[32:33], v[38:39]
	v_pk_fma_f32 v[38:39], v[70:71], v[54:55], v[34:35] op_sel_hi:[1,0,1]
	v_mov_b32_e32 v37, v45
	v_pk_fma_f32 v[34:35], v[70:71], v[54:55], v[34:35] neg_lo:[0,0,1] neg_hi:[0,0,1]
	s_delay_alu instid0(VALU_DEP_3) | instskip(NEXT) | instid1(VALU_DEP_3)
	v_mov_b32_e32 v35, v39
	v_pk_add_f32 v[32:33], v[32:33], v[36:37]
	s_delay_alu instid0(VALU_DEP_1) | instskip(SKIP_1) | instid1(VALU_DEP_1)
	v_pk_add_f32 v[32:33], v[32:33], v[34:35]
	s_wait_loadcnt 0x0
	v_pk_add_f32 v[32:33], v[80:81], v[32:33] neg_lo:[0,1] neg_hi:[0,1]
	scratch_store_b64 off, v[32:33], off offset:16
	s_wait_xcnt 0x0
	v_cmpx_lt_u32_e32 1, v0
	s_cbranch_execz .LBB78_101
; %bb.100:
	scratch_load_b64 v[32:33], off, off offset:8
	v_mov_b64_e32 v[34:35], 0
	scratch_store_b64 off, v[34:35], off offset:8
	s_wait_loadcnt 0x0
	ds_store_b64 v1, v[32:33]
.LBB78_101:
	s_wait_xcnt 0x0
	s_or_b32 exec_lo, exec_lo, s0
	s_wait_storecnt_dscnt 0x0
	s_barrier_signal -1
	s_barrier_wait -1
	s_clause 0x7
	scratch_load_b128 v[34:37], off, off offset:16
	scratch_load_b128 v[38:41], off, off offset:32
	;; [unrolled: 1-line block ×6, first 2 shown]
	scratch_load_b64 v[82:83], off, off offset:112
	scratch_load_b64 v[84:85], off, off offset:8
	v_dual_mov_b32 v32, 0 :: v_dual_ashrrev_i32 v7, 31, v6
	ds_load_b128 v[58:61], v32 offset:176
	ds_load_b128 v[62:65], v32 offset:192
	;; [unrolled: 1-line block ×6, first 2 shown]
	ds_load_b64 v[86:87], v32 offset:240
	v_dual_ashrrev_i32 v25, 31, v24 :: v_dual_ashrrev_i32 v27, 31, v26
	v_dual_ashrrev_i32 v29, 31, v28 :: v_dual_ashrrev_i32 v31, 31, v30
	s_mov_b32 s0, exec_lo
	s_wait_dscnt 0x6
	v_dual_mov_b32 v88, v61 :: v_dual_mov_b32 v89, v60
	s_wait_dscnt 0x5
	v_dual_mov_b32 v90, v65 :: v_dual_mov_b32 v91, v64
	;; [unrolled: 2-line block ×4, first 2 shown]
	s_wait_loadcnt_dscnt 0x702
	v_dual_mul_f32 v9, v74, v35 :: v_dual_mul_f32 v11, v76, v37
	v_dual_mul_f32 v13, v75, v35 :: v_dual_mul_f32 v15, v77, v37
	s_wait_loadcnt 0x5
	s_delay_alu instid0(VALU_DEP_2)
	v_dual_mov_b32 v96, v45 :: v_dual_fmac_f32 v9, v75, v34
	s_wait_dscnt 0x1
	v_dual_mul_f32 v17, v81, v41 :: v_dual_mul_f32 v19, v78, v39
	s_wait_loadcnt 0x4
	v_dual_fma_f32 v13, v74, v34, -v13 :: v_dual_mov_b32 v74, v49
	v_dual_mul_f32 v35, v80, v41 :: v_dual_mul_f32 v21, v79, v39
	v_dual_fmac_f32 v11, v77, v36 :: v_dual_add_f32 v9, 0, v9
	s_delay_alu instid0(VALU_DEP_3) | instskip(SKIP_1) | instid1(VALU_DEP_4)
	v_dual_fma_f32 v15, v76, v36, -v15 :: v_dual_add_f32 v13, 0, v13
	v_dual_mul_f32 v37, v58, v43 :: v_dual_mul_f32 v23, v59, v43
	v_dual_fmac_f32 v19, v79, v38 :: v_dual_fma_f32 v21, v78, v38, -v21
	s_delay_alu instid0(VALU_DEP_4) | instskip(NEXT) | instid1(VALU_DEP_3)
	v_dual_add_f32 v9, v9, v11 :: v_dual_fma_f32 v34, v80, v40, -v17
	v_dual_add_f32 v11, v13, v15 :: v_dual_fmac_f32 v37, v59, v42
	v_fmac_f32_e32 v35, v81, v40
	v_pk_mul_f32 v[38:39], v[88:89], v[96:97] op_sel_hi:[1,0]
	s_delay_alu instid0(VALU_DEP_4) | instskip(NEXT) | instid1(VALU_DEP_4)
	v_dual_add_f32 v41, v9, v19 :: v_dual_fma_f32 v36, v58, v42, -v23
	v_add_f32_e32 v40, v11, v21
	v_pk_mul_f32 v[98:99], v[62:63], v[46:47] op_sel:[1,1] op_sel_hi:[0,1]
	s_delay_alu instid0(VALU_DEP_4)
	v_pk_fma_f32 v[42:43], v[60:61], v[44:45], v[38:39] op_sel_hi:[1,0,1]
	v_pk_fma_f32 v[38:39], v[60:61], v[44:45], v[38:39] neg_lo:[0,0,1] neg_hi:[0,0,1]
	s_wait_loadcnt 0x3
	v_mov_b32_e32 v78, v53
	v_pk_add_f32 v[34:35], v[40:41], v[34:35]
	v_pk_fma_f32 v[40:41], v[62:63], v[46:47], v[98:99] op_sel_hi:[1,0,1]
	v_pk_mul_f32 v[58:59], v[90:91], v[74:75] op_sel_hi:[1,0]
	v_mov_b32_e32 v39, v43
	v_pk_fma_f32 v[42:43], v[62:63], v[46:47], v[98:99] neg_lo:[0,0,1] neg_hi:[0,0,1]
	v_pk_add_f32 v[34:35], v[34:35], v[36:37]
	v_pk_mul_f32 v[76:77], v[66:67], v[50:51] op_sel:[1,1] op_sel_hi:[0,1]
	v_mov_b32_e32 v43, v41
	v_pk_fma_f32 v[40:41], v[64:65], v[48:49], v[58:59] op_sel_hi:[1,0,1]
	v_pk_fma_f32 v[46:47], v[64:65], v[48:49], v[58:59] neg_lo:[0,0,1] neg_hi:[0,0,1]
	v_pk_add_f32 v[34:35], v[34:35], v[38:39]
	v_pk_fma_f32 v[38:39], v[66:67], v[50:51], v[76:77] op_sel_hi:[1,0,1]
	v_pk_mul_f32 v[44:45], v[92:93], v[78:79] op_sel_hi:[1,0]
	v_mov_b32_e32 v47, v41
	v_pk_fma_f32 v[40:41], v[66:67], v[50:51], v[76:77] neg_lo:[0,0,1] neg_hi:[0,0,1]
	v_pk_add_f32 v[34:35], v[34:35], v[42:43]
	s_wait_loadcnt 0x2
	v_pk_mul_f32 v[36:37], v[70:71], v[54:55] op_sel:[1,1] op_sel_hi:[0,1]
	v_dual_mov_b32 v38, v57 :: v_dual_mov_b32 v41, v39
	v_pk_fma_f32 v[42:43], v[68:69], v[52:53], v[44:45] op_sel_hi:[1,0,1]
	v_pk_add_f32 v[34:35], v[34:35], v[46:47]
	v_pk_fma_f32 v[44:45], v[68:69], v[52:53], v[44:45] neg_lo:[0,0,1] neg_hi:[0,0,1]
	v_pk_fma_f32 v[46:47], v[70:71], v[54:55], v[36:37] op_sel_hi:[1,0,1]
	v_pk_mul_f32 v[38:39], v[94:95], v[38:39] op_sel_hi:[1,0]
	v_dual_mov_b32 v45, v43 :: v_dual_ashrrev_i32 v9, 31, v8
	v_pk_add_f32 v[34:35], v[34:35], v[40:41]
	v_pk_fma_f32 v[36:37], v[70:71], v[54:55], v[36:37] neg_lo:[0,0,1] neg_hi:[0,0,1]
	v_dual_mov_b32 v37, v47 :: v_dual_ashrrev_i32 v11, 31, v10
	v_pk_fma_f32 v[40:41], v[72:73], v[56:57], v[38:39] op_sel_hi:[1,0,1]
	s_delay_alu instid0(VALU_DEP_4)
	v_pk_add_f32 v[34:35], v[34:35], v[44:45]
	s_wait_loadcnt_dscnt 0x100
	v_pk_mul_f32 v[42:43], v[86:87], v[82:83] op_sel:[1,1] op_sel_hi:[0,1]
	v_pk_fma_f32 v[38:39], v[72:73], v[56:57], v[38:39] neg_lo:[0,0,1] neg_hi:[0,0,1]
	v_dual_ashrrev_i32 v13, 31, v12 :: v_dual_mov_b32 v39, v41
	v_pk_add_f32 v[34:35], v[34:35], v[36:37]
	s_delay_alu instid0(VALU_DEP_4)
	v_pk_fma_f32 v[36:37], v[86:87], v[82:83], v[42:43] op_sel_hi:[1,0,1]
	v_pk_fma_f32 v[40:41], v[86:87], v[82:83], v[42:43] neg_lo:[0,0,1] neg_hi:[0,0,1]
	v_dual_ashrrev_i32 v15, 31, v14 :: v_dual_ashrrev_i32 v17, 31, v16
	v_ashrrev_i32_e32 v19, 31, v18
	v_pk_add_f32 v[34:35], v[34:35], v[38:39]
	v_dual_mov_b32 v41, v37 :: v_dual_ashrrev_i32 v21, 31, v20
	v_ashrrev_i32_e32 v23, 31, v22
	s_delay_alu instid0(VALU_DEP_2) | instskip(SKIP_1) | instid1(VALU_DEP_1)
	v_pk_add_f32 v[34:35], v[34:35], v[40:41]
	s_wait_loadcnt 0x0
	v_pk_add_f32 v[34:35], v[84:85], v[34:35] neg_lo:[0,1] neg_hi:[0,1]
	scratch_store_b64 off, v[34:35], off offset:8
	s_wait_xcnt 0x0
	v_cmpx_ne_u32_e32 0, v0
	s_cbranch_execz .LBB78_103
; %bb.102:
	scratch_load_b64 v[34:35], off, off
	v_mov_b64_e32 v[36:37], 0
	scratch_store_b64 off, v[36:37], off
	s_wait_loadcnt 0x0
	ds_store_b64 v1, v[34:35]
.LBB78_103:
	s_wait_xcnt 0x0
	s_or_b32 exec_lo, exec_lo, s0
	s_wait_storecnt_dscnt 0x0
	s_barrier_signal -1
	s_barrier_wait -1
	s_clause 0x7
	scratch_load_b128 v[34:37], off, off offset:8
	scratch_load_b128 v[38:41], off, off offset:24
	scratch_load_b128 v[42:45], off, off offset:40
	scratch_load_b128 v[46:49], off, off offset:56
	scratch_load_b128 v[50:53], off, off offset:72
	scratch_load_b128 v[54:57], off, off offset:88
	scratch_load_b128 v[58:61], off, off offset:104
	scratch_load_b64 v[0:1], off, off
	ds_load_2addr_b64 v[62:65], v32 offset0:23 offset1:24
	ds_load_2addr_b64 v[66:69], v32 offset0:25 offset1:26
	;; [unrolled: 1-line block ×7, first 2 shown]
	s_and_b32 vcc_lo, exec_lo, s12
	s_wait_dscnt 0x6
	v_dual_mov_b32 v32, v65 :: v_dual_mov_b32 v33, v64
	s_wait_dscnt 0x5
	v_dual_mov_b32 v90, v69 :: v_dual_mov_b32 v91, v68
	;; [unrolled: 2-line block ×4, first 2 shown]
	s_wait_loadcnt_dscnt 0x702
	v_dual_mul_f32 v96, v78, v35 :: v_dual_mul_f32 v98, v80, v37
	v_dual_mul_f32 v35, v79, v35 :: v_dual_mul_f32 v37, v81, v37
	s_wait_loadcnt_dscnt 0x601
	v_dual_mul_f32 v102, v82, v39 :: v_dual_mul_f32 v103, v84, v41
	s_delay_alu instid0(VALU_DEP_2) | instskip(SKIP_3) | instid1(VALU_DEP_3)
	v_dual_fmac_f32 v96, v79, v34 :: v_dual_fma_f32 v35, v78, v34, -v35
	v_dual_mul_f32 v39, v83, v39 :: v_dual_mul_f32 v41, v85, v41
	s_wait_loadcnt 0x4
	v_dual_mov_b32 v34, v49 :: v_dual_fma_f32 v78, v80, v36, -v37
	v_dual_fmac_f32 v98, v81, v36 :: v_dual_add_f32 v35, 0, v35
	v_dual_add_f32 v79, 0, v96 :: v_dual_fmac_f32 v102, v83, v38
	s_wait_loadcnt 0x3
	v_dual_fma_f32 v39, v82, v38, -v39 :: v_dual_mov_b32 v38, v53
	s_delay_alu instid0(VALU_DEP_3) | instskip(NEXT) | instid1(VALU_DEP_3)
	v_dual_add_f32 v35, v35, v78 :: v_dual_fma_f32 v78, v84, v40, -v41
	v_dual_add_f32 v79, v79, v98 :: v_dual_fmac_f32 v103, v85, v40
	s_wait_dscnt 0x0
	v_dual_mul_f32 v97, v86, v43 :: v_dual_mul_f32 v99, v88, v45
	v_dual_mul_f32 v43, v87, v43 :: v_dual_mul_f32 v45, v89, v45
	v_pk_mul_f32 v[100:101], v[62:63], v[46:47] op_sel:[1,1] op_sel_hi:[0,1]
	s_delay_alu instid0(VALU_DEP_3) | instskip(NEXT) | instid1(VALU_DEP_3)
	v_dual_add_f32 v79, v79, v102 :: v_dual_fmac_f32 v99, v89, v44
	v_dual_add_f32 v35, v35, v39 :: v_dual_fma_f32 v96, v86, v42, -v43
	v_fmac_f32_e32 v97, v87, v42
	s_delay_alu instid0(VALU_DEP_3) | instskip(SKIP_1) | instid1(VALU_DEP_4)
	v_dual_add_f32 v43, v79, v103 :: v_dual_fma_f32 v98, v88, v44, -v45
	v_pk_fma_f32 v[44:45], v[62:63], v[46:47], v[100:101] op_sel_hi:[1,0,1]
	v_add_f32_e32 v42, v35, v78
	v_pk_fma_f32 v[46:47], v[62:63], v[46:47], v[100:101] neg_lo:[0,0,1] neg_hi:[0,0,1]
	v_pk_mul_f32 v[32:33], v[32:33], v[34:35] op_sel_hi:[1,0]
	v_pk_mul_f32 v[36:37], v[66:67], v[50:51] op_sel:[1,1] op_sel_hi:[0,1]
	v_mov_b32_e32 v47, v45
	v_pk_add_f32 v[34:35], v[42:43], v[96:97]
	v_pk_mul_f32 v[38:39], v[90:91], v[38:39] op_sel_hi:[1,0]
	v_pk_fma_f32 v[44:45], v[64:65], v[48:49], v[32:33] op_sel_hi:[1,0,1]
	v_pk_fma_f32 v[32:33], v[64:65], v[48:49], v[32:33] neg_lo:[0,0,1] neg_hi:[0,0,1]
	v_pk_fma_f32 v[62:63], v[66:67], v[50:51], v[36:37] op_sel_hi:[1,0,1]
	v_pk_add_f32 v[34:35], v[34:35], v[98:99]
	v_pk_fma_f32 v[36:37], v[66:67], v[50:51], v[36:37] neg_lo:[0,0,1] neg_hi:[0,0,1]
	v_mov_b32_e32 v33, v45
	s_wait_loadcnt 0x2
	v_pk_mul_f32 v[40:41], v[70:71], v[54:55] op_sel:[1,1] op_sel_hi:[0,1]
	v_mov_b32_e32 v42, v57
	v_pk_add_f32 v[34:35], v[34:35], v[46:47]
	v_mov_b32_e32 v37, v63
	v_pk_fma_f32 v[46:47], v[68:69], v[52:53], v[38:39] op_sel_hi:[1,0,1]
	v_pk_fma_f32 v[38:39], v[68:69], v[52:53], v[38:39] neg_lo:[0,0,1] neg_hi:[0,0,1]
	v_pk_mul_f32 v[42:43], v[92:93], v[42:43] op_sel_hi:[1,0]
	v_pk_add_f32 v[32:33], v[34:35], v[32:33]
	v_pk_fma_f32 v[34:35], v[70:71], v[54:55], v[40:41] op_sel_hi:[1,0,1]
	s_wait_loadcnt 0x1
	v_dual_mov_b32 v39, v47 :: v_dual_mov_b32 v34, v61
	v_pk_mul_f32 v[44:45], v[74:75], v[58:59] op_sel:[1,1] op_sel_hi:[0,1]
	v_pk_add_f32 v[32:33], v[32:33], v[36:37]
	v_pk_fma_f32 v[36:37], v[70:71], v[54:55], v[40:41] neg_lo:[0,0,1] neg_hi:[0,0,1]
	v_pk_fma_f32 v[40:41], v[72:73], v[56:57], v[42:43] op_sel_hi:[1,0,1]
	v_mov_b32_e32 v37, v35
	v_pk_fma_f32 v[42:43], v[72:73], v[56:57], v[42:43] neg_lo:[0,0,1] neg_hi:[0,0,1]
	v_pk_add_f32 v[32:33], v[32:33], v[38:39]
	v_pk_fma_f32 v[38:39], v[74:75], v[58:59], v[44:45] op_sel_hi:[1,0,1]
	v_pk_mul_f32 v[34:35], v[94:95], v[34:35] op_sel_hi:[1,0]
	v_mov_b32_e32 v43, v41
	s_delay_alu instid0(VALU_DEP_4)
	v_pk_add_f32 v[32:33], v[32:33], v[36:37]
	v_pk_fma_f32 v[36:37], v[74:75], v[58:59], v[44:45] neg_lo:[0,0,1] neg_hi:[0,0,1]
	v_mov_b32_e32 v37, v39
	v_pk_fma_f32 v[38:39], v[76:77], v[60:61], v[34:35] op_sel_hi:[1,0,1]
	v_pk_fma_f32 v[34:35], v[76:77], v[60:61], v[34:35] neg_lo:[0,0,1] neg_hi:[0,0,1]
	v_pk_add_f32 v[32:33], v[32:33], v[42:43]
	s_delay_alu instid0(VALU_DEP_3) | instskip(NEXT) | instid1(VALU_DEP_2)
	v_mov_b32_e32 v35, v39
	v_pk_add_f32 v[32:33], v[32:33], v[36:37]
	s_delay_alu instid0(VALU_DEP_1) | instskip(SKIP_1) | instid1(VALU_DEP_1)
	v_pk_add_f32 v[32:33], v[32:33], v[34:35]
	s_wait_loadcnt 0x0
	v_pk_add_f32 v[0:1], v[0:1], v[32:33] neg_lo:[0,1] neg_hi:[0,1]
	scratch_store_b64 off, v[0:1], off
	s_cbranch_vccz .LBB78_132
; %bb.104:
	s_wait_xcnt 0x0
	v_mov_b32_e32 v0, 0
	global_load_b32 v1, v0, s[8:9] offset:52
	s_wait_loadcnt 0x0
	v_cmp_ne_u32_e32 vcc_lo, 14, v1
	s_cbranch_vccz .LBB78_106
; %bb.105:
	v_lshlrev_b32_e32 v1, 3, v1
	scratch_load_b64 v[32:33], v1, off offset:-8
	scratch_load_b64 v[34:35], off, off offset:104
	s_wait_loadcnt 0x1
	scratch_store_b64 off, v[32:33], off offset:104
	s_wait_loadcnt 0x0
	scratch_store_b64 v1, v[34:35], off offset:-8
.LBB78_106:
	global_load_b32 v0, v0, s[8:9] offset:48
	s_wait_loadcnt 0x0
	v_cmp_eq_u32_e32 vcc_lo, 13, v0
	s_cbranch_vccnz .LBB78_108
; %bb.107:
	s_wait_xcnt 0x0
	v_lshlrev_b32_e32 v0, 3, v0
	s_delay_alu instid0(VALU_DEP_1)
	v_mov_b32_e32 v34, v0
	scratch_load_b64 v[0:1], v34, off offset:-8
	scratch_load_b64 v[32:33], off, off offset:96
	s_wait_loadcnt 0x1
	scratch_store_b64 off, v[0:1], off offset:96
	s_wait_loadcnt 0x0
	scratch_store_b64 v34, v[32:33], off offset:-8
.LBB78_108:
	s_wait_xcnt 0x0
	v_mov_b32_e32 v0, 0
	global_load_b32 v1, v0, s[8:9] offset:44
	s_wait_loadcnt 0x0
	v_cmp_eq_u32_e32 vcc_lo, 12, v1
	s_cbranch_vccnz .LBB78_110
; %bb.109:
	v_lshlrev_b32_e32 v1, 3, v1
	scratch_load_b64 v[32:33], v1, off offset:-8
	scratch_load_b64 v[34:35], off, off offset:88
	s_wait_loadcnt 0x1
	scratch_store_b64 off, v[32:33], off offset:88
	s_wait_loadcnt 0x0
	scratch_store_b64 v1, v[34:35], off offset:-8
.LBB78_110:
	global_load_b32 v0, v0, s[8:9] offset:40
	s_wait_loadcnt 0x0
	v_cmp_eq_u32_e32 vcc_lo, 11, v0
	s_cbranch_vccnz .LBB78_112
; %bb.111:
	s_wait_xcnt 0x0
	v_lshlrev_b32_e32 v0, 3, v0
	s_delay_alu instid0(VALU_DEP_1)
	v_mov_b32_e32 v34, v0
	scratch_load_b64 v[0:1], v34, off offset:-8
	scratch_load_b64 v[32:33], off, off offset:80
	s_wait_loadcnt 0x1
	scratch_store_b64 off, v[0:1], off offset:80
	s_wait_loadcnt 0x0
	scratch_store_b64 v34, v[32:33], off offset:-8
.LBB78_112:
	s_wait_xcnt 0x0
	v_mov_b32_e32 v0, 0
	global_load_b32 v1, v0, s[8:9] offset:36
	s_wait_loadcnt 0x0
	v_cmp_eq_u32_e32 vcc_lo, 10, v1
	s_cbranch_vccnz .LBB78_114
; %bb.113:
	v_lshlrev_b32_e32 v1, 3, v1
	scratch_load_b64 v[32:33], v1, off offset:-8
	scratch_load_b64 v[34:35], off, off offset:72
	s_wait_loadcnt 0x1
	scratch_store_b64 off, v[32:33], off offset:72
	s_wait_loadcnt 0x0
	scratch_store_b64 v1, v[34:35], off offset:-8
.LBB78_114:
	;; [unrolled: 31-line block ×6, first 2 shown]
	global_load_b32 v32, v0, s[8:9]
	scratch_load_b64 v[0:1], off, off
	s_wait_loadcnt 0x1
	v_cmp_eq_u32_e32 vcc_lo, 1, v32
	s_cbranch_vccnz .LBB78_132
; %bb.131:
	v_lshlrev_b32_e32 v32, 3, v32
	s_delay_alu instid0(VALU_DEP_1)
	v_mov_b32_e32 v34, v32
	scratch_load_b64 v[32:33], v34, off offset:-8
	s_wait_loadcnt 0x0
	scratch_store_b64 off, v[32:33], off
	scratch_store_b64 v34, v[0:1], off offset:-8
	scratch_load_b64 v[0:1], off, off
.LBB78_132:
	s_wait_loadcnt 0x0
	flat_store_b64 v[2:3], v[0:1]
	scratch_load_b64 v[0:1], off, off offset:8
	v_lshl_add_u64 v[42:43], v[6:7], 3, s[2:3]
	v_lshl_add_u64 v[40:41], v[8:9], 3, s[2:3]
	;; [unrolled: 1-line block ×13, first 2 shown]
	s_wait_loadcnt 0x0
	flat_store_b64 v[4:5], v[0:1]
	scratch_load_b64 v[0:1], off, off offset:16
	s_wait_loadcnt 0x0
	flat_store_b64 v[42:43], v[0:1]
	scratch_load_b64 v[0:1], off, off offset:24
	;; [unrolled: 3-line block ×13, first 2 shown]
	s_wait_loadcnt 0x0
	flat_store_b64 v[6:7], v[0:1]
	s_sendmsg sendmsg(MSG_DEALLOC_VGPRS)
	s_endpgm
	.section	.rodata,"a",@progbits
	.p2align	6, 0x0
	.amdhsa_kernel _ZN9rocsolver6v33100L18getri_kernel_smallILi15E19rocblas_complex_numIfEPKPS3_EEvT1_iilPiilS8_bb
		.amdhsa_group_segment_fixed_size 248
		.amdhsa_private_segment_fixed_size 128
		.amdhsa_kernarg_size 60
		.amdhsa_user_sgpr_count 2
		.amdhsa_user_sgpr_dispatch_ptr 0
		.amdhsa_user_sgpr_queue_ptr 0
		.amdhsa_user_sgpr_kernarg_segment_ptr 1
		.amdhsa_user_sgpr_dispatch_id 0
		.amdhsa_user_sgpr_kernarg_preload_length 0
		.amdhsa_user_sgpr_kernarg_preload_offset 0
		.amdhsa_user_sgpr_private_segment_size 0
		.amdhsa_wavefront_size32 1
		.amdhsa_uses_dynamic_stack 0
		.amdhsa_enable_private_segment 1
		.amdhsa_system_sgpr_workgroup_id_x 1
		.amdhsa_system_sgpr_workgroup_id_y 0
		.amdhsa_system_sgpr_workgroup_id_z 0
		.amdhsa_system_sgpr_workgroup_info 0
		.amdhsa_system_vgpr_workitem_id 0
		.amdhsa_next_free_vgpr 104
		.amdhsa_next_free_sgpr 19
		.amdhsa_named_barrier_count 0
		.amdhsa_reserve_vcc 1
		.amdhsa_float_round_mode_32 0
		.amdhsa_float_round_mode_16_64 0
		.amdhsa_float_denorm_mode_32 3
		.amdhsa_float_denorm_mode_16_64 3
		.amdhsa_fp16_overflow 0
		.amdhsa_memory_ordered 1
		.amdhsa_forward_progress 1
		.amdhsa_inst_pref_size 117
		.amdhsa_round_robin_scheduling 0
		.amdhsa_exception_fp_ieee_invalid_op 0
		.amdhsa_exception_fp_denorm_src 0
		.amdhsa_exception_fp_ieee_div_zero 0
		.amdhsa_exception_fp_ieee_overflow 0
		.amdhsa_exception_fp_ieee_underflow 0
		.amdhsa_exception_fp_ieee_inexact 0
		.amdhsa_exception_int_div_zero 0
	.end_amdhsa_kernel
	.section	.text._ZN9rocsolver6v33100L18getri_kernel_smallILi15E19rocblas_complex_numIfEPKPS3_EEvT1_iilPiilS8_bb,"axG",@progbits,_ZN9rocsolver6v33100L18getri_kernel_smallILi15E19rocblas_complex_numIfEPKPS3_EEvT1_iilPiilS8_bb,comdat
.Lfunc_end78:
	.size	_ZN9rocsolver6v33100L18getri_kernel_smallILi15E19rocblas_complex_numIfEPKPS3_EEvT1_iilPiilS8_bb, .Lfunc_end78-_ZN9rocsolver6v33100L18getri_kernel_smallILi15E19rocblas_complex_numIfEPKPS3_EEvT1_iilPiilS8_bb
                                        ; -- End function
	.set _ZN9rocsolver6v33100L18getri_kernel_smallILi15E19rocblas_complex_numIfEPKPS3_EEvT1_iilPiilS8_bb.num_vgpr, 104
	.set _ZN9rocsolver6v33100L18getri_kernel_smallILi15E19rocblas_complex_numIfEPKPS3_EEvT1_iilPiilS8_bb.num_agpr, 0
	.set _ZN9rocsolver6v33100L18getri_kernel_smallILi15E19rocblas_complex_numIfEPKPS3_EEvT1_iilPiilS8_bb.numbered_sgpr, 19
	.set _ZN9rocsolver6v33100L18getri_kernel_smallILi15E19rocblas_complex_numIfEPKPS3_EEvT1_iilPiilS8_bb.num_named_barrier, 0
	.set _ZN9rocsolver6v33100L18getri_kernel_smallILi15E19rocblas_complex_numIfEPKPS3_EEvT1_iilPiilS8_bb.private_seg_size, 128
	.set _ZN9rocsolver6v33100L18getri_kernel_smallILi15E19rocblas_complex_numIfEPKPS3_EEvT1_iilPiilS8_bb.uses_vcc, 1
	.set _ZN9rocsolver6v33100L18getri_kernel_smallILi15E19rocblas_complex_numIfEPKPS3_EEvT1_iilPiilS8_bb.uses_flat_scratch, 1
	.set _ZN9rocsolver6v33100L18getri_kernel_smallILi15E19rocblas_complex_numIfEPKPS3_EEvT1_iilPiilS8_bb.has_dyn_sized_stack, 0
	.set _ZN9rocsolver6v33100L18getri_kernel_smallILi15E19rocblas_complex_numIfEPKPS3_EEvT1_iilPiilS8_bb.has_recursion, 0
	.set _ZN9rocsolver6v33100L18getri_kernel_smallILi15E19rocblas_complex_numIfEPKPS3_EEvT1_iilPiilS8_bb.has_indirect_call, 0
	.section	.AMDGPU.csdata,"",@progbits
; Kernel info:
; codeLenInByte = 14952
; TotalNumSgprs: 21
; NumVgprs: 104
; ScratchSize: 128
; MemoryBound: 0
; FloatMode: 240
; IeeeMode: 1
; LDSByteSize: 248 bytes/workgroup (compile time only)
; SGPRBlocks: 0
; VGPRBlocks: 6
; NumSGPRsForWavesPerEU: 21
; NumVGPRsForWavesPerEU: 104
; NamedBarCnt: 0
; Occupancy: 9
; WaveLimiterHint : 1
; COMPUTE_PGM_RSRC2:SCRATCH_EN: 1
; COMPUTE_PGM_RSRC2:USER_SGPR: 2
; COMPUTE_PGM_RSRC2:TRAP_HANDLER: 0
; COMPUTE_PGM_RSRC2:TGID_X_EN: 1
; COMPUTE_PGM_RSRC2:TGID_Y_EN: 0
; COMPUTE_PGM_RSRC2:TGID_Z_EN: 0
; COMPUTE_PGM_RSRC2:TIDIG_COMP_CNT: 0
	.section	.text._ZN9rocsolver6v33100L18getri_kernel_smallILi16E19rocblas_complex_numIfEPKPS3_EEvT1_iilPiilS8_bb,"axG",@progbits,_ZN9rocsolver6v33100L18getri_kernel_smallILi16E19rocblas_complex_numIfEPKPS3_EEvT1_iilPiilS8_bb,comdat
	.globl	_ZN9rocsolver6v33100L18getri_kernel_smallILi16E19rocblas_complex_numIfEPKPS3_EEvT1_iilPiilS8_bb ; -- Begin function _ZN9rocsolver6v33100L18getri_kernel_smallILi16E19rocblas_complex_numIfEPKPS3_EEvT1_iilPiilS8_bb
	.p2align	8
	.type	_ZN9rocsolver6v33100L18getri_kernel_smallILi16E19rocblas_complex_numIfEPKPS3_EEvT1_iilPiilS8_bb,@function
_ZN9rocsolver6v33100L18getri_kernel_smallILi16E19rocblas_complex_numIfEPKPS3_EEvT1_iilPiilS8_bb: ; @_ZN9rocsolver6v33100L18getri_kernel_smallILi16E19rocblas_complex_numIfEPKPS3_EEvT1_iilPiilS8_bb
; %bb.0:
	s_mov_b32 s2, exec_lo
	v_cmpx_gt_u32_e32 16, v0
	s_cbranch_execz .LBB79_78
; %bb.1:
	s_clause 0x1
	s_load_b32 s13, s[0:1], 0x38
	s_load_b64 s[2:3], s[0:1], 0x0
	s_getreg_b32 s6, hwreg(HW_REG_IB_STS2, 6, 4)
	s_wait_kmcnt 0x0
	s_bitcmp1_b32 s13, 8
	s_cselect_b32 s12, -1, 0
	s_bfe_u32 s4, ttmp6, 0x4000c
	s_and_b32 s5, ttmp6, 15
	s_add_co_i32 s4, s4, 1
	s_delay_alu instid0(SALU_CYCLE_1) | instskip(NEXT) | instid1(SALU_CYCLE_1)
	s_mul_i32 s4, ttmp9, s4
	s_add_co_i32 s5, s5, s4
	s_cmp_eq_u32 s6, 0
	s_cselect_b32 s10, ttmp9, s5
	s_load_b128 s[4:7], s[0:1], 0x28
	s_ashr_i32 s11, s10, 31
	s_delay_alu instid0(SALU_CYCLE_1) | instskip(NEXT) | instid1(SALU_CYCLE_1)
	s_lshl_b64 s[8:9], s[10:11], 3
	s_add_nc_u64 s[2:3], s[2:3], s[8:9]
	s_bfe_u32 s8, s13, 0x10008
	s_load_b64 s[2:3], s[2:3], 0x0
	s_cmp_eq_u32 s8, 0
                                        ; implicit-def: $sgpr8_sgpr9
	s_cbranch_scc1 .LBB79_3
; %bb.2:
	s_load_b96 s[16:18], s[0:1], 0x18
	s_wait_kmcnt 0x0
	s_mul_u64 s[4:5], s[4:5], s[10:11]
	s_delay_alu instid0(SALU_CYCLE_1) | instskip(SKIP_4) | instid1(SALU_CYCLE_1)
	s_lshl_b64 s[4:5], s[4:5], 2
	s_ashr_i32 s9, s18, 31
	s_mov_b32 s8, s18
	s_add_nc_u64 s[4:5], s[16:17], s[4:5]
	s_lshl_b64 s[8:9], s[8:9], 2
	s_add_nc_u64 s[8:9], s[4:5], s[8:9]
.LBB79_3:
	s_wait_kmcnt 0x0
	s_clause 0x1
	s_load_b64 s[4:5], s[0:1], 0x8
	s_load_b32 s13, s[0:1], 0x38
	v_dual_mov_b32 v35, 0 :: v_dual_lshlrev_b32 v34, 3, v0
	s_wait_kmcnt 0x0
	s_ashr_i32 s1, s4, 31
	s_mov_b32 s0, s4
	s_delay_alu instid0(SALU_CYCLE_1) | instskip(NEXT) | instid1(SALU_CYCLE_1)
	s_lshl_b64 s[0:1], s[0:1], 3
	s_add_nc_u64 s[2:3], s[2:3], s[0:1]
	s_ashr_i32 s1, s5, 31
	flat_load_b64 v[6:7], v0, s[2:3] scale_offset
	v_add_nc_u64_e32 v[2:3], s[2:3], v[34:35]
	s_mov_b32 s0, s5
	s_bitcmp0_b32 s13, 0
	s_delay_alu instid0(VALU_DEP_1)
	v_lshl_add_u64 v[4:5], s[0:1], 3, v[2:3]
	s_mov_b32 s1, -1
	s_wait_loadcnt_dscnt 0x0
	scratch_store_b64 off, v[6:7], off
	flat_load_b64 v[8:9], v[4:5]
	s_wait_xcnt 0x1
	v_add3_u32 v6, s5, s5, v0
	s_wait_loadcnt_dscnt 0x0
	scratch_store_b64 off, v[8:9], off offset:8
	flat_load_b64 v[10:11], v6, s[2:3] scale_offset
	s_wait_xcnt 0x1
	v_add_nc_u32_e32 v8, s5, v6
	s_wait_loadcnt_dscnt 0x0
	scratch_store_b64 off, v[10:11], off offset:16
	flat_load_b64 v[12:13], v8, s[2:3] scale_offset
	s_wait_xcnt 0x1
	v_add_nc_u32_e32 v10, s5, v8
	;; [unrolled: 5-line block ×13, first 2 shown]
	s_wait_loadcnt_dscnt 0x0
	scratch_store_b64 off, v[36:37], off offset:112
	flat_load_b64 v[36:37], v32, s[2:3] scale_offset
	s_wait_loadcnt_dscnt 0x0
	scratch_store_b64 off, v[36:37], off offset:120
	s_cbranch_scc1 .LBB79_76
; %bb.4:
	v_cmp_eq_u32_e64 s0, 0, v0
	s_wait_xcnt 0x0
	s_and_saveexec_b32 s1, s0
; %bb.5:
	v_mov_b32_e32 v1, 0
	ds_store_b32 v1, v1 offset:256
; %bb.6:
	s_or_b32 exec_lo, exec_lo, s1
	s_wait_storecnt_dscnt 0x0
	s_barrier_signal -1
	s_barrier_wait -1
	scratch_load_b64 v[36:37], v0, off scale_offset
	s_wait_loadcnt 0x0
	v_cmp_eq_f32_e32 vcc_lo, 0, v36
	v_cmp_eq_f32_e64 s1, 0, v37
	s_and_b32 s1, vcc_lo, s1
	s_delay_alu instid0(SALU_CYCLE_1)
	s_and_saveexec_b32 s4, s1
	s_cbranch_execz .LBB79_10
; %bb.7:
	v_mov_b32_e32 v1, 0
	s_mov_b32 s5, 0
	ds_load_b32 v7, v1 offset:256
	s_wait_dscnt 0x0
	v_readfirstlane_b32 s1, v7
	v_add_nc_u32_e32 v7, 1, v0
	s_cmp_eq_u32 s1, 0
	s_delay_alu instid0(VALU_DEP_1) | instskip(SKIP_1) | instid1(SALU_CYCLE_1)
	v_cmp_gt_i32_e32 vcc_lo, s1, v7
	s_cselect_b32 s13, -1, 0
	s_or_b32 s13, s13, vcc_lo
	s_delay_alu instid0(SALU_CYCLE_1)
	s_and_b32 exec_lo, exec_lo, s13
	s_cbranch_execz .LBB79_10
; %bb.8:
	v_mov_b32_e32 v9, s1
.LBB79_9:                               ; =>This Inner Loop Header: Depth=1
	ds_cmpstore_rtn_b32 v9, v1, v7, v9 offset:256
	s_wait_dscnt 0x0
	v_cmp_ne_u32_e32 vcc_lo, 0, v9
	v_cmp_le_i32_e64 s1, v9, v7
	s_and_b32 s1, vcc_lo, s1
	s_delay_alu instid0(SALU_CYCLE_1) | instskip(NEXT) | instid1(SALU_CYCLE_1)
	s_and_b32 s1, exec_lo, s1
	s_or_b32 s5, s1, s5
	s_delay_alu instid0(SALU_CYCLE_1)
	s_and_not1_b32 exec_lo, exec_lo, s5
	s_cbranch_execnz .LBB79_9
.LBB79_10:
	s_or_b32 exec_lo, exec_lo, s4
	v_mov_b32_e32 v1, 0
	s_barrier_signal -1
	s_barrier_wait -1
	ds_load_b32 v7, v1 offset:256
	s_and_saveexec_b32 s1, s0
	s_cbranch_execz .LBB79_12
; %bb.11:
	s_lshl_b64 s[4:5], s[10:11], 2
	s_delay_alu instid0(SALU_CYCLE_1)
	s_add_nc_u64 s[4:5], s[6:7], s[4:5]
	s_wait_dscnt 0x0
	global_store_b32 v1, v7, s[4:5]
.LBB79_12:
	s_wait_xcnt 0x0
	s_or_b32 exec_lo, exec_lo, s1
	s_wait_dscnt 0x0
	v_cmp_ne_u32_e32 vcc_lo, 0, v7
	s_mov_b32 s1, 0
	s_cbranch_vccnz .LBB79_76
; %bb.13:
	v_lshl_add_u32 v7, v0, 3, 0
                                        ; implicit-def: $vgpr39
                                        ; implicit-def: $vgpr40
	scratch_load_b64 v[36:37], v7, off
	s_wait_loadcnt 0x0
	v_cmp_ngt_f32_e64 s1, |v36|, |v37|
	s_wait_xcnt 0x0
	s_and_saveexec_b32 s4, s1
	s_delay_alu instid0(SALU_CYCLE_1)
	s_xor_b32 s1, exec_lo, s4
	s_cbranch_execz .LBB79_15
; %bb.14:
	v_div_scale_f32 v1, null, v37, v37, v36
	v_div_scale_f32 v13, vcc_lo, v36, v37, v36
	s_delay_alu instid0(VALU_DEP_2) | instskip(SKIP_1) | instid1(TRANS32_DEP_1)
	v_rcp_f32_e32 v9, v1
	v_nop
	v_fma_f32 v11, -v1, v9, 1.0
	s_delay_alu instid0(VALU_DEP_1) | instskip(NEXT) | instid1(VALU_DEP_1)
	v_fmac_f32_e32 v9, v11, v9
	v_mul_f32_e32 v11, v13, v9
	s_delay_alu instid0(VALU_DEP_1) | instskip(NEXT) | instid1(VALU_DEP_1)
	v_fma_f32 v15, -v1, v11, v13
	v_fmac_f32_e32 v11, v15, v9
	s_delay_alu instid0(VALU_DEP_1) | instskip(NEXT) | instid1(VALU_DEP_1)
	v_fma_f32 v1, -v1, v11, v13
	v_div_fmas_f32 v1, v1, v9, v11
	s_delay_alu instid0(VALU_DEP_1) | instskip(NEXT) | instid1(VALU_DEP_1)
	v_div_fixup_f32 v1, v1, v37, v36
	v_fmac_f32_e32 v37, v36, v1
	s_delay_alu instid0(VALU_DEP_1) | instskip(NEXT) | instid1(VALU_DEP_1)
	v_div_scale_f32 v9, null, v37, v37, -1.0
	v_rcp_f32_e32 v11, v9
	v_nop
	s_delay_alu instid0(TRANS32_DEP_1) | instskip(NEXT) | instid1(VALU_DEP_1)
	v_fma_f32 v13, -v9, v11, 1.0
	v_fmac_f32_e32 v11, v13, v11
	v_div_scale_f32 v13, vcc_lo, -1.0, v37, -1.0
	s_delay_alu instid0(VALU_DEP_1) | instskip(NEXT) | instid1(VALU_DEP_1)
	v_mul_f32_e32 v15, v13, v11
	v_fma_f32 v17, -v9, v15, v13
	s_delay_alu instid0(VALU_DEP_1) | instskip(NEXT) | instid1(VALU_DEP_1)
	v_fmac_f32_e32 v15, v17, v11
	v_fma_f32 v9, -v9, v15, v13
	s_delay_alu instid0(VALU_DEP_1) | instskip(NEXT) | instid1(VALU_DEP_1)
	v_div_fmas_f32 v9, v9, v11, v15
	v_div_fixup_f32 v39, v9, v37, -1.0
                                        ; implicit-def: $vgpr36_vgpr37
	s_delay_alu instid0(VALU_DEP_1) | instskip(NEXT) | instid1(VALU_DEP_1)
	v_mul_f32_e32 v40, v1, v39
	v_xor_b32_e32 v38, 0x80000000, v40
.LBB79_15:
	s_and_not1_saveexec_b32 s1, s1
	s_cbranch_execz .LBB79_17
; %bb.16:
	v_div_scale_f32 v1, null, v36, v36, v37
	v_div_scale_f32 v13, vcc_lo, v37, v36, v37
	s_delay_alu instid0(VALU_DEP_2) | instskip(SKIP_1) | instid1(TRANS32_DEP_1)
	v_rcp_f32_e32 v9, v1
	v_nop
	v_fma_f32 v11, -v1, v9, 1.0
	s_delay_alu instid0(VALU_DEP_1) | instskip(NEXT) | instid1(VALU_DEP_1)
	v_fmac_f32_e32 v9, v11, v9
	v_mul_f32_e32 v11, v13, v9
	s_delay_alu instid0(VALU_DEP_1) | instskip(NEXT) | instid1(VALU_DEP_1)
	v_fma_f32 v15, -v1, v11, v13
	v_fmac_f32_e32 v11, v15, v9
	s_delay_alu instid0(VALU_DEP_1) | instskip(NEXT) | instid1(VALU_DEP_1)
	v_fma_f32 v1, -v1, v11, v13
	v_div_fmas_f32 v1, v1, v9, v11
	s_delay_alu instid0(VALU_DEP_1) | instskip(NEXT) | instid1(VALU_DEP_1)
	v_div_fixup_f32 v1, v1, v36, v37
	v_fmac_f32_e32 v36, v37, v1
	s_delay_alu instid0(VALU_DEP_1) | instskip(SKIP_1) | instid1(VALU_DEP_2)
	v_div_scale_f32 v9, null, v36, v36, 1.0
	v_div_scale_f32 v15, vcc_lo, 1.0, v36, 1.0
	v_rcp_f32_e32 v11, v9
	v_nop
	s_delay_alu instid0(TRANS32_DEP_1) | instskip(NEXT) | instid1(VALU_DEP_1)
	v_fma_f32 v13, -v9, v11, 1.0
	v_fmac_f32_e32 v11, v13, v11
	s_delay_alu instid0(VALU_DEP_1) | instskip(NEXT) | instid1(VALU_DEP_1)
	v_mul_f32_e32 v13, v15, v11
	v_fma_f32 v17, -v9, v13, v15
	s_delay_alu instid0(VALU_DEP_1) | instskip(NEXT) | instid1(VALU_DEP_1)
	v_fmac_f32_e32 v13, v17, v11
	v_fma_f32 v9, -v9, v13, v15
	s_delay_alu instid0(VALU_DEP_1) | instskip(NEXT) | instid1(VALU_DEP_1)
	v_div_fmas_f32 v9, v9, v11, v13
	v_div_fixup_f32 v38, v9, v36, 1.0
	s_delay_alu instid0(VALU_DEP_1)
	v_xor_b32_e32 v40, 0x80000000, v38
	v_mul_f32_e64 v39, v1, -v38
.LBB79_17:
	s_or_b32 exec_lo, exec_lo, s1
	scratch_store_b64 v7, v[38:39], off
	scratch_load_b64 v[36:37], off, off offset:8
	v_xor_b32_e32 v41, 0x80000000, v39
	v_add_nc_u32_e32 v1, 0x80, v34
	s_wait_loadcnt 0x0
	ds_store_2addr_b64 v34, v[40:41], v[36:37] offset1:16
	s_wait_storecnt_dscnt 0x0
	s_barrier_signal -1
	s_barrier_wait -1
	s_wait_xcnt 0x0
	s_and_saveexec_b32 s1, s0
	s_cbranch_execz .LBB79_19
; %bb.18:
	scratch_load_b64 v[36:37], v7, off
	ds_load_b64 v[38:39], v1
	s_wait_loadcnt_dscnt 0x0
	v_pk_mul_f32 v[42:43], v[38:39], v[36:37] op_sel:[1,1] op_sel_hi:[0,1]
	s_delay_alu instid0(VALU_DEP_1) | instskip(SKIP_2) | instid1(VALU_DEP_3)
	v_pk_fma_f32 v[44:45], v[38:39], v[36:37], v[42:43] op_sel_hi:[1,0,1]
	v_mov_b32_e32 v9, 0
	v_pk_fma_f32 v[36:37], v[38:39], v[36:37], v[42:43] neg_lo:[0,0,1] neg_hi:[0,0,1]
	v_mov_b32_e32 v37, v45
	ds_load_b64 v[40:41], v9 offset:8
	v_pk_add_f32 v[36:37], v[36:37], 0 op_sel_hi:[1,0]
	s_wait_dscnt 0x0
	s_delay_alu instid0(VALU_DEP_1) | instskip(NEXT) | instid1(VALU_DEP_1)
	v_pk_mul_f32 v[38:39], v[36:37], v[40:41] op_sel:[1,1] op_sel_hi:[0,1]
	v_pk_fma_f32 v[42:43], v[36:37], v[40:41], v[38:39] op_sel_hi:[1,0,1]
	v_pk_fma_f32 v[36:37], v[36:37], v[40:41], v[38:39] neg_lo:[0,0,1] neg_hi:[0,0,1]
	s_delay_alu instid0(VALU_DEP_2)
	v_mov_b32_e32 v37, v43
	scratch_store_b64 off, v[36:37], off offset:8
.LBB79_19:
	s_wait_xcnt 0x0
	s_or_b32 exec_lo, exec_lo, s1
	s_wait_storecnt 0x0
	s_barrier_signal -1
	s_barrier_wait -1
	scratch_load_b64 v[36:37], off, off offset:16
	s_mov_b32 s1, exec_lo
	s_wait_loadcnt 0x0
	ds_store_b64 v1, v[36:37]
	s_wait_dscnt 0x0
	s_barrier_signal -1
	s_barrier_wait -1
	v_cmpx_gt_u32_e32 2, v0
	s_cbranch_execz .LBB79_23
; %bb.20:
	scratch_load_b64 v[36:37], v7, off
	ds_load_b64 v[38:39], v1
	s_wait_loadcnt_dscnt 0x0
	v_pk_mul_f32 v[40:41], v[38:39], v[36:37] op_sel:[1,1] op_sel_hi:[0,1]
	s_delay_alu instid0(VALU_DEP_1) | instskip(SKIP_1) | instid1(VALU_DEP_2)
	v_pk_fma_f32 v[42:43], v[38:39], v[36:37], v[40:41] op_sel_hi:[1,0,1]
	v_pk_fma_f32 v[36:37], v[38:39], v[36:37], v[40:41] neg_lo:[0,0,1] neg_hi:[0,0,1]
	v_mov_b32_e32 v37, v43
	s_delay_alu instid0(VALU_DEP_1)
	v_pk_add_f32 v[36:37], v[36:37], 0 op_sel_hi:[1,0]
	s_and_saveexec_b32 s4, s0
	s_cbranch_execz .LBB79_22
; %bb.21:
	scratch_load_b64 v[38:39], off, off offset:8
	v_mov_b32_e32 v7, 0
	ds_load_b64 v[40:41], v7 offset:136
	s_wait_loadcnt_dscnt 0x0
	v_pk_mul_f32 v[42:43], v[40:41], v[38:39] op_sel:[1,1] op_sel_hi:[0,1]
	s_delay_alu instid0(VALU_DEP_1) | instskip(SKIP_1) | instid1(VALU_DEP_2)
	v_pk_fma_f32 v[44:45], v[40:41], v[38:39], v[42:43] op_sel_hi:[1,0,1]
	v_pk_fma_f32 v[38:39], v[40:41], v[38:39], v[42:43] neg_lo:[0,0,1] neg_hi:[0,0,1]
	v_mov_b32_e32 v39, v45
	s_delay_alu instid0(VALU_DEP_1)
	v_pk_add_f32 v[36:37], v[36:37], v[38:39]
.LBB79_22:
	s_or_b32 exec_lo, exec_lo, s4
	v_mov_b32_e32 v7, 0
	ds_load_b64 v[38:39], v7 offset:16
	s_wait_dscnt 0x0
	v_pk_mul_f32 v[40:41], v[36:37], v[38:39] op_sel:[1,1] op_sel_hi:[0,1]
	s_delay_alu instid0(VALU_DEP_1) | instskip(SKIP_1) | instid1(VALU_DEP_2)
	v_pk_fma_f32 v[42:43], v[36:37], v[38:39], v[40:41] op_sel_hi:[1,0,1]
	v_pk_fma_f32 v[36:37], v[36:37], v[38:39], v[40:41] neg_lo:[0,0,1] neg_hi:[0,0,1]
	v_mov_b32_e32 v37, v43
	scratch_store_b64 off, v[36:37], off offset:16
.LBB79_23:
	s_wait_xcnt 0x0
	s_or_b32 exec_lo, exec_lo, s1
	s_wait_storecnt 0x0
	s_barrier_signal -1
	s_barrier_wait -1
	scratch_load_b64 v[36:37], off, off offset:24
	v_add_nc_u32_e32 v7, -1, v0
	s_mov_b32 s0, exec_lo
	s_wait_loadcnt 0x0
	ds_store_b64 v1, v[36:37]
	s_wait_dscnt 0x0
	s_barrier_signal -1
	s_barrier_wait -1
	v_cmpx_gt_u32_e32 3, v0
	s_cbranch_execz .LBB79_27
; %bb.24:
	v_dual_mov_b32 v36, 0 :: v_dual_add_nc_u32 v9, -1, v0
	v_add_nc_u32_e32 v11, 0x80, v34
	v_mov_b32_e32 v13, v34
	s_mov_b32 s1, 0
	s_delay_alu instid0(VALU_DEP_3)
	v_mov_b32_e32 v37, v36
.LBB79_25:                              ; =>This Inner Loop Header: Depth=1
	scratch_load_b64 v[38:39], v13, off
	ds_load_b64 v[40:41], v11
	s_wait_xcnt 0x0
	v_dual_add_nc_u32 v11, 8, v11 :: v_dual_add_nc_u32 v13, 8, v13
	s_wait_loadcnt_dscnt 0x0
	v_pk_mul_f32 v[42:43], v[40:41], v[38:39] op_sel:[1,1] op_sel_hi:[0,1]
	s_delay_alu instid0(VALU_DEP_1) | instskip(SKIP_2) | instid1(VALU_DEP_3)
	v_pk_fma_f32 v[44:45], v[40:41], v[38:39], v[42:43] op_sel_hi:[1,0,1]
	v_add_nc_u32_e32 v9, 1, v9
	v_pk_fma_f32 v[38:39], v[40:41], v[38:39], v[42:43] neg_lo:[0,0,1] neg_hi:[0,0,1]
	v_mov_b32_e32 v39, v45
	s_delay_alu instid0(VALU_DEP_3) | instskip(NEXT) | instid1(VALU_DEP_2)
	v_cmp_lt_u32_e32 vcc_lo, 1, v9
	v_pk_add_f32 v[36:37], v[36:37], v[38:39]
	s_or_b32 s1, vcc_lo, s1
	s_delay_alu instid0(SALU_CYCLE_1)
	s_and_not1_b32 exec_lo, exec_lo, s1
	s_cbranch_execnz .LBB79_25
; %bb.26:
	s_or_b32 exec_lo, exec_lo, s1
	v_mov_b32_e32 v9, 0
	ds_load_b64 v[38:39], v9 offset:24
	s_wait_dscnt 0x0
	v_pk_mul_f32 v[40:41], v[36:37], v[38:39] op_sel:[1,1] op_sel_hi:[0,1]
	s_delay_alu instid0(VALU_DEP_1) | instskip(SKIP_1) | instid1(VALU_DEP_2)
	v_pk_fma_f32 v[42:43], v[36:37], v[38:39], v[40:41] op_sel_hi:[1,0,1]
	v_pk_fma_f32 v[36:37], v[36:37], v[38:39], v[40:41] neg_lo:[0,0,1] neg_hi:[0,0,1]
	v_mov_b32_e32 v37, v43
	scratch_store_b64 off, v[36:37], off offset:24
.LBB79_27:
	s_wait_xcnt 0x0
	s_or_b32 exec_lo, exec_lo, s0
	s_wait_storecnt 0x0
	s_barrier_signal -1
	s_barrier_wait -1
	scratch_load_b64 v[36:37], off, off offset:32
	s_mov_b32 s0, exec_lo
	s_wait_loadcnt 0x0
	ds_store_b64 v1, v[36:37]
	s_wait_dscnt 0x0
	s_barrier_signal -1
	s_barrier_wait -1
	v_cmpx_gt_u32_e32 4, v0
	s_cbranch_execz .LBB79_31
; %bb.28:
	v_dual_mov_b32 v36, 0 :: v_dual_add_nc_u32 v9, -1, v0
	v_add_nc_u32_e32 v11, 0x80, v34
	v_mov_b32_e32 v13, v34
	s_mov_b32 s1, 0
	s_delay_alu instid0(VALU_DEP_3)
	v_mov_b32_e32 v37, v36
.LBB79_29:                              ; =>This Inner Loop Header: Depth=1
	scratch_load_b64 v[38:39], v13, off
	ds_load_b64 v[40:41], v11
	s_wait_xcnt 0x0
	v_dual_add_nc_u32 v11, 8, v11 :: v_dual_add_nc_u32 v13, 8, v13
	s_wait_loadcnt_dscnt 0x0
	v_pk_mul_f32 v[42:43], v[40:41], v[38:39] op_sel:[1,1] op_sel_hi:[0,1]
	s_delay_alu instid0(VALU_DEP_1) | instskip(SKIP_2) | instid1(VALU_DEP_3)
	v_pk_fma_f32 v[44:45], v[40:41], v[38:39], v[42:43] op_sel_hi:[1,0,1]
	v_add_nc_u32_e32 v9, 1, v9
	v_pk_fma_f32 v[38:39], v[40:41], v[38:39], v[42:43] neg_lo:[0,0,1] neg_hi:[0,0,1]
	v_mov_b32_e32 v39, v45
	s_delay_alu instid0(VALU_DEP_3) | instskip(NEXT) | instid1(VALU_DEP_2)
	v_cmp_lt_u32_e32 vcc_lo, 2, v9
	v_pk_add_f32 v[36:37], v[36:37], v[38:39]
	s_or_b32 s1, vcc_lo, s1
	s_delay_alu instid0(SALU_CYCLE_1)
	s_and_not1_b32 exec_lo, exec_lo, s1
	s_cbranch_execnz .LBB79_29
; %bb.30:
	s_or_b32 exec_lo, exec_lo, s1
	v_mov_b32_e32 v9, 0
	ds_load_b64 v[38:39], v9 offset:32
	s_wait_dscnt 0x0
	v_pk_mul_f32 v[40:41], v[36:37], v[38:39] op_sel:[1,1] op_sel_hi:[0,1]
	s_delay_alu instid0(VALU_DEP_1) | instskip(SKIP_1) | instid1(VALU_DEP_2)
	v_pk_fma_f32 v[42:43], v[36:37], v[38:39], v[40:41] op_sel_hi:[1,0,1]
	v_pk_fma_f32 v[36:37], v[36:37], v[38:39], v[40:41] neg_lo:[0,0,1] neg_hi:[0,0,1]
	v_mov_b32_e32 v37, v43
	scratch_store_b64 off, v[36:37], off offset:32
.LBB79_31:
	s_wait_xcnt 0x0
	s_or_b32 exec_lo, exec_lo, s0
	s_wait_storecnt 0x0
	s_barrier_signal -1
	s_barrier_wait -1
	scratch_load_b64 v[36:37], off, off offset:40
	;; [unrolled: 52-line block ×12, first 2 shown]
	s_mov_b32 s0, exec_lo
	s_wait_loadcnt 0x0
	ds_store_b64 v1, v[36:37]
	s_wait_dscnt 0x0
	s_barrier_signal -1
	s_barrier_wait -1
	v_cmpx_ne_u32_e32 15, v0
	s_cbranch_execz .LBB79_75
; %bb.72:
	v_dual_mov_b32 v36, 0 :: v_dual_mov_b32 v9, v34
	s_mov_b32 s1, 0
	s_delay_alu instid0(VALU_DEP_1)
	v_mov_b32_e32 v37, v36
.LBB79_73:                              ; =>This Inner Loop Header: Depth=1
	scratch_load_b64 v[34:35], v9, off
	ds_load_b64 v[38:39], v1
	v_add_nc_u32_e32 v1, 8, v1
	s_wait_xcnt 0x0
	v_add_nc_u32_e32 v9, 8, v9
	s_wait_loadcnt_dscnt 0x0
	v_pk_mul_f32 v[40:41], v[38:39], v[34:35] op_sel:[1,1] op_sel_hi:[0,1]
	s_delay_alu instid0(VALU_DEP_1) | instskip(SKIP_2) | instid1(VALU_DEP_3)
	v_pk_fma_f32 v[42:43], v[38:39], v[34:35], v[40:41] op_sel_hi:[1,0,1]
	v_add_nc_u32_e32 v7, 1, v7
	v_pk_fma_f32 v[34:35], v[38:39], v[34:35], v[40:41] neg_lo:[0,0,1] neg_hi:[0,0,1]
	v_mov_b32_e32 v35, v43
	s_delay_alu instid0(VALU_DEP_3) | instskip(NEXT) | instid1(VALU_DEP_2)
	v_cmp_lt_u32_e32 vcc_lo, 13, v7
	v_pk_add_f32 v[36:37], v[36:37], v[34:35]
	s_or_b32 s1, vcc_lo, s1
	s_delay_alu instid0(SALU_CYCLE_1)
	s_and_not1_b32 exec_lo, exec_lo, s1
	s_cbranch_execnz .LBB79_73
; %bb.74:
	s_or_b32 exec_lo, exec_lo, s1
	v_mov_b32_e32 v1, 0
	ds_load_b64 v[34:35], v1 offset:120
	s_wait_dscnt 0x0
	v_pk_mul_f32 v[38:39], v[36:37], v[34:35] op_sel:[1,1] op_sel_hi:[0,1]
	s_delay_alu instid0(VALU_DEP_1) | instskip(SKIP_1) | instid1(VALU_DEP_2)
	v_pk_fma_f32 v[40:41], v[36:37], v[34:35], v[38:39] op_sel_hi:[1,0,1]
	v_pk_fma_f32 v[34:35], v[36:37], v[34:35], v[38:39] neg_lo:[0,0,1] neg_hi:[0,0,1]
	v_mov_b32_e32 v35, v41
	scratch_store_b64 off, v[34:35], off offset:120
.LBB79_75:
	s_wait_xcnt 0x0
	s_or_b32 exec_lo, exec_lo, s0
	s_mov_b32 s1, -1
	s_wait_storecnt 0x0
	s_barrier_signal -1
	s_barrier_wait -1
.LBB79_76:
	s_and_b32 vcc_lo, exec_lo, s1
	s_cbranch_vccz .LBB79_78
; %bb.77:
	v_mov_b32_e32 v1, 0
	s_lshl_b64 s[0:1], s[10:11], 2
	s_delay_alu instid0(SALU_CYCLE_1)
	s_add_nc_u64 s[0:1], s[6:7], s[0:1]
	global_load_b32 v1, v1, s[0:1]
	s_wait_loadcnt 0x0
	v_cmp_ne_u32_e32 vcc_lo, 0, v1
	s_cbranch_vccz .LBB79_79
.LBB79_78:
	s_sendmsg sendmsg(MSG_DEALLOC_VGPRS)
	s_endpgm
.LBB79_79:
	s_wait_xcnt 0x0
	v_lshl_add_u32 v1, v0, 3, 0x80
	s_mov_b32 s0, exec_lo
	v_cmpx_eq_u32_e32 15, v0
	s_cbranch_execz .LBB79_81
; %bb.80:
	scratch_load_b64 v[34:35], off, off offset:112
	v_mov_b64_e32 v[36:37], 0
	scratch_store_b64 off, v[36:37], off offset:112
	s_wait_loadcnt 0x0
	ds_store_b64 v1, v[34:35]
.LBB79_81:
	s_wait_xcnt 0x0
	s_or_b32 exec_lo, exec_lo, s0
	s_wait_storecnt_dscnt 0x0
	s_barrier_signal -1
	s_barrier_wait -1
	s_clause 0x1
	scratch_load_b64 v[34:35], off, off offset:120
	scratch_load_b64 v[36:37], off, off offset:112
	v_mov_b32_e32 v7, 0
	s_mov_b32 s0, exec_lo
	ds_load_b64 v[38:39], v7 offset:248
	s_wait_loadcnt_dscnt 0x100
	v_pk_mul_f32 v[40:41], v[38:39], v[34:35] op_sel:[1,1] op_sel_hi:[0,1]
	s_delay_alu instid0(VALU_DEP_1) | instskip(SKIP_1) | instid1(VALU_DEP_2)
	v_pk_fma_f32 v[42:43], v[38:39], v[34:35], v[40:41] op_sel_hi:[1,0,1]
	v_pk_fma_f32 v[34:35], v[38:39], v[34:35], v[40:41] neg_lo:[0,0,1] neg_hi:[0,0,1]
	v_mov_b32_e32 v35, v43
	s_delay_alu instid0(VALU_DEP_1) | instskip(SKIP_1) | instid1(VALU_DEP_1)
	v_pk_add_f32 v[34:35], v[34:35], 0 op_sel_hi:[1,0]
	s_wait_loadcnt 0x0
	v_pk_add_f32 v[34:35], v[36:37], v[34:35] neg_lo:[0,1] neg_hi:[0,1]
	scratch_store_b64 off, v[34:35], off offset:112
	s_wait_xcnt 0x0
	v_cmpx_lt_u32_e32 13, v0
	s_cbranch_execz .LBB79_83
; %bb.82:
	scratch_load_b64 v[34:35], off, off offset:104
	v_mov_b64_e32 v[36:37], 0
	scratch_store_b64 off, v[36:37], off offset:104
	s_wait_loadcnt 0x0
	ds_store_b64 v1, v[34:35]
.LBB79_83:
	s_wait_xcnt 0x0
	s_or_b32 exec_lo, exec_lo, s0
	s_wait_storecnt_dscnt 0x0
	s_barrier_signal -1
	s_barrier_wait -1
	s_clause 0x1
	scratch_load_b128 v[34:37], off, off offset:112
	scratch_load_b64 v[42:43], off, off offset:104
	ds_load_b128 v[38:41], v7 offset:240
	s_mov_b32 s0, exec_lo
	s_wait_dscnt 0x0
	v_dual_mov_b32 v44, v41 :: v_dual_mov_b32 v45, v40
	s_wait_loadcnt 0x1
	v_pk_mul_f32 v[46:47], v[38:39], v[34:35] op_sel:[1,1] op_sel_hi:[0,1]
	s_delay_alu instid0(VALU_DEP_1) | instskip(SKIP_2) | instid1(VALU_DEP_3)
	v_pk_fma_f32 v[50:51], v[38:39], v[34:35], v[46:47] op_sel_hi:[1,0,1]
	v_mov_b32_e32 v48, v37
	v_pk_fma_f32 v[34:35], v[38:39], v[34:35], v[46:47] neg_lo:[0,0,1] neg_hi:[0,0,1]
	v_mov_b32_e32 v35, v51
	s_delay_alu instid0(VALU_DEP_3) | instskip(NEXT) | instid1(VALU_DEP_2)
	v_pk_mul_f32 v[44:45], v[44:45], v[48:49] op_sel_hi:[1,0]
	v_pk_add_f32 v[34:35], v[34:35], 0 op_sel_hi:[1,0]
	s_delay_alu instid0(VALU_DEP_2) | instskip(SKIP_1) | instid1(VALU_DEP_2)
	v_pk_fma_f32 v[38:39], v[40:41], v[36:37], v[44:45] op_sel_hi:[1,0,1]
	v_pk_fma_f32 v[36:37], v[40:41], v[36:37], v[44:45] neg_lo:[0,0,1] neg_hi:[0,0,1]
	v_mov_b32_e32 v37, v39
	s_delay_alu instid0(VALU_DEP_1) | instskip(SKIP_1) | instid1(VALU_DEP_1)
	v_pk_add_f32 v[34:35], v[34:35], v[36:37]
	s_wait_loadcnt 0x0
	v_pk_add_f32 v[34:35], v[42:43], v[34:35] neg_lo:[0,1] neg_hi:[0,1]
	scratch_store_b64 off, v[34:35], off offset:104
	s_wait_xcnt 0x0
	v_cmpx_lt_u32_e32 12, v0
	s_cbranch_execz .LBB79_85
; %bb.84:
	scratch_load_b64 v[34:35], off, off offset:96
	v_mov_b64_e32 v[36:37], 0
	scratch_store_b64 off, v[36:37], off offset:96
	s_wait_loadcnt 0x0
	ds_store_b64 v1, v[34:35]
.LBB79_85:
	s_wait_xcnt 0x0
	s_or_b32 exec_lo, exec_lo, s0
	s_wait_storecnt_dscnt 0x0
	s_barrier_signal -1
	s_barrier_wait -1
	s_clause 0x2
	scratch_load_b128 v[34:37], off, off offset:104
	scratch_load_b64 v[42:43], off, off offset:120
	scratch_load_b64 v[44:45], off, off offset:96
	v_mov_b32_e32 v7, 0
	ds_load_2addr_b64 v[38:41], v7 offset0:29 offset1:30
	ds_load_b64 v[46:47], v7 offset:248
	s_mov_b32 s0, exec_lo
	s_wait_dscnt 0x1
	v_dual_mov_b32 v48, v41 :: v_dual_mov_b32 v49, v40
	s_wait_loadcnt 0x2
	v_mov_b32_e32 v52, v37
	v_pk_mul_f32 v[50:51], v[38:39], v[34:35] op_sel:[1,1] op_sel_hi:[0,1]
	s_delay_alu instid0(VALU_DEP_2) | instskip(NEXT) | instid1(VALU_DEP_2)
	v_pk_mul_f32 v[48:49], v[48:49], v[52:53] op_sel_hi:[1,0]
	v_pk_fma_f32 v[54:55], v[38:39], v[34:35], v[50:51] op_sel_hi:[1,0,1]
	v_pk_fma_f32 v[34:35], v[38:39], v[34:35], v[50:51] neg_lo:[0,0,1] neg_hi:[0,0,1]
	s_wait_loadcnt_dscnt 0x100
	v_pk_mul_f32 v[50:51], v[46:47], v[42:43] op_sel:[1,1] op_sel_hi:[0,1]
	v_pk_fma_f32 v[38:39], v[40:41], v[36:37], v[48:49] op_sel_hi:[1,0,1]
	v_mov_b32_e32 v35, v55
	v_pk_fma_f32 v[36:37], v[40:41], v[36:37], v[48:49] neg_lo:[0,0,1] neg_hi:[0,0,1]
	s_delay_alu instid0(VALU_DEP_4) | instskip(NEXT) | instid1(VALU_DEP_4)
	v_pk_fma_f32 v[40:41], v[46:47], v[42:43], v[50:51] neg_lo:[0,0,1] neg_hi:[0,0,1]
	v_mov_b32_e32 v37, v39
	s_delay_alu instid0(VALU_DEP_4) | instskip(SKIP_1) | instid1(VALU_DEP_2)
	v_pk_add_f32 v[34:35], v[34:35], 0 op_sel_hi:[1,0]
	v_pk_fma_f32 v[38:39], v[46:47], v[42:43], v[50:51] op_sel_hi:[1,0,1]
	v_pk_add_f32 v[34:35], v[34:35], v[36:37]
	s_delay_alu instid0(VALU_DEP_2) | instskip(NEXT) | instid1(VALU_DEP_1)
	v_mov_b32_e32 v41, v39
	v_pk_add_f32 v[34:35], v[34:35], v[40:41]
	s_wait_loadcnt 0x0
	s_delay_alu instid0(VALU_DEP_1)
	v_pk_add_f32 v[34:35], v[44:45], v[34:35] neg_lo:[0,1] neg_hi:[0,1]
	scratch_store_b64 off, v[34:35], off offset:96
	s_wait_xcnt 0x0
	v_cmpx_lt_u32_e32 11, v0
	s_cbranch_execz .LBB79_87
; %bb.86:
	scratch_load_b64 v[34:35], off, off offset:88
	v_mov_b64_e32 v[36:37], 0
	scratch_store_b64 off, v[36:37], off offset:88
	s_wait_loadcnt 0x0
	ds_store_b64 v1, v[34:35]
.LBB79_87:
	s_wait_xcnt 0x0
	s_or_b32 exec_lo, exec_lo, s0
	s_wait_storecnt_dscnt 0x0
	s_barrier_signal -1
	s_barrier_wait -1
	s_clause 0x2
	scratch_load_b128 v[34:37], off, off offset:96
	scratch_load_b128 v[38:41], off, off offset:112
	scratch_load_b64 v[50:51], off, off offset:88
	ds_load_b128 v[42:45], v7 offset:224
	ds_load_b128 v[46:49], v7 offset:240
	s_mov_b32 s0, exec_lo
	s_wait_dscnt 0x1
	v_dual_mov_b32 v52, v45 :: v_dual_mov_b32 v53, v44
	s_wait_loadcnt_dscnt 0x200
	v_dual_mov_b32 v58, v49 :: v_dual_mov_b32 v56, v37
	v_pk_mul_f32 v[54:55], v[42:43], v[34:35] op_sel:[1,1] op_sel_hi:[0,1]
	s_delay_alu instid0(VALU_DEP_2) | instskip(NEXT) | instid1(VALU_DEP_2)
	v_pk_mul_f32 v[52:53], v[52:53], v[56:57] op_sel_hi:[1,0]
	v_pk_fma_f32 v[60:61], v[42:43], v[34:35], v[54:55] op_sel_hi:[1,0,1]
	v_pk_fma_f32 v[34:35], v[42:43], v[34:35], v[54:55] neg_lo:[0,0,1] neg_hi:[0,0,1]
	v_mov_b32_e32 v59, v48
	s_wait_loadcnt 0x1
	v_pk_mul_f32 v[56:57], v[46:47], v[38:39] op_sel:[1,1] op_sel_hi:[0,1]
	v_pk_fma_f32 v[42:43], v[44:45], v[36:37], v[52:53] op_sel_hi:[1,0,1]
	v_dual_mov_b32 v35, v61 :: v_dual_mov_b32 v42, v41
	v_pk_fma_f32 v[36:37], v[44:45], v[36:37], v[52:53] neg_lo:[0,0,1] neg_hi:[0,0,1]
	s_delay_alu instid0(VALU_DEP_4) | instskip(NEXT) | instid1(VALU_DEP_4)
	v_pk_fma_f32 v[54:55], v[46:47], v[38:39], v[56:57] op_sel_hi:[1,0,1]
	v_mov_b32_e32 v37, v43
	s_delay_alu instid0(VALU_DEP_4) | instskip(SKIP_2) | instid1(VALU_DEP_3)
	v_pk_add_f32 v[34:35], v[34:35], 0 op_sel_hi:[1,0]
	v_pk_mul_f32 v[42:43], v[58:59], v[42:43] op_sel_hi:[1,0]
	v_pk_fma_f32 v[38:39], v[46:47], v[38:39], v[56:57] neg_lo:[0,0,1] neg_hi:[0,0,1]
	v_pk_add_f32 v[34:35], v[34:35], v[36:37]
	s_delay_alu instid0(VALU_DEP_3) | instskip(SKIP_2) | instid1(VALU_DEP_3)
	v_pk_fma_f32 v[36:37], v[48:49], v[40:41], v[42:43] op_sel_hi:[1,0,1]
	v_mov_b32_e32 v39, v55
	v_pk_fma_f32 v[40:41], v[48:49], v[40:41], v[42:43] neg_lo:[0,0,1] neg_hi:[0,0,1]
	v_mov_b32_e32 v41, v37
	s_delay_alu instid0(VALU_DEP_3) | instskip(NEXT) | instid1(VALU_DEP_1)
	v_pk_add_f32 v[34:35], v[34:35], v[38:39]
	v_pk_add_f32 v[34:35], v[34:35], v[40:41]
	s_wait_loadcnt 0x0
	s_delay_alu instid0(VALU_DEP_1)
	v_pk_add_f32 v[34:35], v[50:51], v[34:35] neg_lo:[0,1] neg_hi:[0,1]
	scratch_store_b64 off, v[34:35], off offset:88
	s_wait_xcnt 0x0
	v_cmpx_lt_u32_e32 10, v0
	s_cbranch_execz .LBB79_89
; %bb.88:
	scratch_load_b64 v[34:35], off, off offset:80
	v_mov_b64_e32 v[36:37], 0
	scratch_store_b64 off, v[36:37], off offset:80
	s_wait_loadcnt 0x0
	ds_store_b64 v1, v[34:35]
.LBB79_89:
	s_wait_xcnt 0x0
	s_or_b32 exec_lo, exec_lo, s0
	s_wait_storecnt_dscnt 0x0
	s_barrier_signal -1
	s_barrier_wait -1
	s_clause 0x3
	scratch_load_b128 v[34:37], off, off offset:88
	scratch_load_b128 v[38:41], off, off offset:104
	scratch_load_b64 v[50:51], off, off offset:120
	scratch_load_b64 v[52:53], off, off offset:80
	v_mov_b32_e32 v7, 0
	ds_load_2addr_b64 v[42:45], v7 offset0:27 offset1:28
	ds_load_2addr_b64 v[46:49], v7 offset0:29 offset1:30
	s_mov_b32 s0, exec_lo
	s_wait_dscnt 0x1
	v_dual_mov_b32 v54, v45 :: v_dual_mov_b32 v55, v44
	ds_load_b64 v[60:61], v7 offset:248
	s_wait_dscnt 0x1
	v_dual_mov_b32 v62, v49 :: v_dual_mov_b32 v63, v48
	s_wait_loadcnt 0x3
	v_pk_mul_f32 v[56:57], v[42:43], v[34:35] op_sel:[1,1] op_sel_hi:[0,1]
	v_mov_b32_e32 v58, v37
	s_delay_alu instid0(VALU_DEP_2) | instskip(NEXT) | instid1(VALU_DEP_2)
	v_pk_fma_f32 v[64:65], v[42:43], v[34:35], v[56:57] op_sel_hi:[1,0,1]
	v_pk_mul_f32 v[54:55], v[54:55], v[58:59] op_sel_hi:[1,0]
	v_pk_fma_f32 v[34:35], v[42:43], v[34:35], v[56:57] neg_lo:[0,0,1] neg_hi:[0,0,1]
	s_wait_loadcnt 0x2
	v_pk_mul_f32 v[58:59], v[46:47], v[38:39] op_sel:[1,1] op_sel_hi:[0,1]
	v_dual_mov_b32 v64, v41 :: v_dual_mov_b32 v35, v65
	v_pk_fma_f32 v[42:43], v[44:45], v[36:37], v[54:55] op_sel_hi:[1,0,1]
	v_pk_fma_f32 v[36:37], v[44:45], v[36:37], v[54:55] neg_lo:[0,0,1] neg_hi:[0,0,1]
	s_delay_alu instid0(VALU_DEP_4) | instskip(NEXT) | instid1(VALU_DEP_4)
	v_pk_fma_f32 v[56:57], v[46:47], v[38:39], v[58:59] op_sel_hi:[1,0,1]
	v_pk_mul_f32 v[62:63], v[62:63], v[64:65] op_sel_hi:[1,0]
	v_pk_add_f32 v[34:35], v[34:35], 0 op_sel_hi:[1,0]
	v_mov_b32_e32 v37, v43
	v_pk_fma_f32 v[38:39], v[46:47], v[38:39], v[58:59] neg_lo:[0,0,1] neg_hi:[0,0,1]
	v_mov_b32_e32 v39, v57
	v_pk_fma_f32 v[42:43], v[48:49], v[40:41], v[62:63] op_sel_hi:[1,0,1]
	v_pk_fma_f32 v[40:41], v[48:49], v[40:41], v[62:63] neg_lo:[0,0,1] neg_hi:[0,0,1]
	v_pk_add_f32 v[34:35], v[34:35], v[36:37]
	s_wait_loadcnt_dscnt 0x100
	v_pk_mul_f32 v[36:37], v[60:61], v[50:51] op_sel:[1,1] op_sel_hi:[0,1]
	s_delay_alu instid0(VALU_DEP_2) | instskip(NEXT) | instid1(VALU_DEP_2)
	v_pk_add_f32 v[34:35], v[34:35], v[38:39]
	v_pk_fma_f32 v[38:39], v[60:61], v[50:51], v[36:37] op_sel_hi:[1,0,1]
	v_mov_b32_e32 v41, v43
	v_pk_fma_f32 v[36:37], v[60:61], v[50:51], v[36:37] neg_lo:[0,0,1] neg_hi:[0,0,1]
	s_delay_alu instid0(VALU_DEP_3) | instskip(NEXT) | instid1(VALU_DEP_3)
	v_mov_b32_e32 v37, v39
	v_pk_add_f32 v[34:35], v[34:35], v[40:41]
	s_delay_alu instid0(VALU_DEP_1) | instskip(SKIP_1) | instid1(VALU_DEP_1)
	v_pk_add_f32 v[34:35], v[34:35], v[36:37]
	s_wait_loadcnt 0x0
	v_pk_add_f32 v[34:35], v[52:53], v[34:35] neg_lo:[0,1] neg_hi:[0,1]
	scratch_store_b64 off, v[34:35], off offset:80
	s_wait_xcnt 0x0
	v_cmpx_lt_u32_e32 9, v0
	s_cbranch_execz .LBB79_91
; %bb.90:
	scratch_load_b64 v[34:35], off, off offset:72
	v_mov_b64_e32 v[36:37], 0
	scratch_store_b64 off, v[36:37], off offset:72
	s_wait_loadcnt 0x0
	ds_store_b64 v1, v[34:35]
.LBB79_91:
	s_wait_xcnt 0x0
	s_or_b32 exec_lo, exec_lo, s0
	s_wait_storecnt_dscnt 0x0
	s_barrier_signal -1
	s_barrier_wait -1
	s_clause 0x3
	scratch_load_b128 v[34:37], off, off offset:80
	scratch_load_b128 v[38:41], off, off offset:96
	;; [unrolled: 1-line block ×3, first 2 shown]
	scratch_load_b64 v[58:59], off, off offset:72
	ds_load_b128 v[46:49], v7 offset:208
	ds_load_b128 v[50:53], v7 offset:224
	;; [unrolled: 1-line block ×3, first 2 shown]
	s_mov_b32 s0, exec_lo
	s_wait_dscnt 0x2
	v_dual_mov_b32 v60, v49 :: v_dual_mov_b32 v61, v48
	s_wait_dscnt 0x1
	v_dual_mov_b32 v62, v53 :: v_dual_mov_b32 v63, v52
	;; [unrolled: 2-line block ×3, first 2 shown]
	s_wait_loadcnt 0x3
	v_pk_mul_f32 v[64:65], v[46:47], v[34:35] op_sel:[1,1] op_sel_hi:[0,1]
	v_mov_b32_e32 v66, v37
	s_delay_alu instid0(VALU_DEP_2) | instskip(NEXT) | instid1(VALU_DEP_2)
	v_pk_fma_f32 v[70:71], v[46:47], v[34:35], v[64:65] op_sel_hi:[1,0,1]
	v_pk_mul_f32 v[60:61], v[60:61], v[66:67] op_sel_hi:[1,0]
	v_pk_fma_f32 v[34:35], v[46:47], v[34:35], v[64:65] neg_lo:[0,0,1] neg_hi:[0,0,1]
	s_wait_loadcnt 0x2
	v_pk_mul_f32 v[66:67], v[50:51], v[38:39] op_sel:[1,1] op_sel_hi:[0,1]
	v_mov_b32_e32 v70, v41
	v_pk_fma_f32 v[46:47], v[48:49], v[36:37], v[60:61] op_sel_hi:[1,0,1]
	v_mov_b32_e32 v35, v71
	v_pk_fma_f32 v[36:37], v[48:49], v[36:37], v[60:61] neg_lo:[0,0,1] neg_hi:[0,0,1]
	v_pk_fma_f32 v[64:65], v[50:51], v[38:39], v[66:67] op_sel_hi:[1,0,1]
	v_pk_mul_f32 v[62:63], v[62:63], v[70:71] op_sel_hi:[1,0]
	v_mov_b32_e32 v37, v47
	v_pk_add_f32 v[34:35], v[34:35], 0 op_sel_hi:[1,0]
	v_pk_fma_f32 v[38:39], v[50:51], v[38:39], v[66:67] neg_lo:[0,0,1] neg_hi:[0,0,1]
	s_wait_loadcnt 0x1
	v_pk_mul_f32 v[46:47], v[54:55], v[42:43] op_sel:[1,1] op_sel_hi:[0,1]
	v_mov_b32_e32 v39, v65
	v_pk_fma_f32 v[48:49], v[52:53], v[40:41], v[62:63] op_sel_hi:[1,0,1]
	v_pk_add_f32 v[34:35], v[34:35], v[36:37]
	v_mov_b32_e32 v36, v45
	v_pk_fma_f32 v[40:41], v[52:53], v[40:41], v[62:63] neg_lo:[0,0,1] neg_hi:[0,0,1]
	v_pk_fma_f32 v[50:51], v[54:55], v[42:43], v[46:47] op_sel_hi:[1,0,1]
	v_mov_b32_e32 v41, v49
	v_pk_add_f32 v[34:35], v[34:35], v[38:39]
	v_pk_mul_f32 v[36:37], v[68:69], v[36:37] op_sel_hi:[1,0]
	v_pk_fma_f32 v[38:39], v[54:55], v[42:43], v[46:47] neg_lo:[0,0,1] neg_hi:[0,0,1]
	v_mov_b32_e32 v39, v51
	s_delay_alu instid0(VALU_DEP_4) | instskip(NEXT) | instid1(VALU_DEP_4)
	v_pk_add_f32 v[34:35], v[34:35], v[40:41]
	v_pk_fma_f32 v[40:41], v[56:57], v[44:45], v[36:37] op_sel_hi:[1,0,1]
	v_pk_fma_f32 v[36:37], v[56:57], v[44:45], v[36:37] neg_lo:[0,0,1] neg_hi:[0,0,1]
	s_delay_alu instid0(VALU_DEP_3) | instskip(NEXT) | instid1(VALU_DEP_3)
	v_pk_add_f32 v[34:35], v[34:35], v[38:39]
	v_mov_b32_e32 v37, v41
	s_delay_alu instid0(VALU_DEP_1) | instskip(SKIP_1) | instid1(VALU_DEP_1)
	v_pk_add_f32 v[34:35], v[34:35], v[36:37]
	s_wait_loadcnt 0x0
	v_pk_add_f32 v[34:35], v[58:59], v[34:35] neg_lo:[0,1] neg_hi:[0,1]
	scratch_store_b64 off, v[34:35], off offset:72
	s_wait_xcnt 0x0
	v_cmpx_lt_u32_e32 8, v0
	s_cbranch_execz .LBB79_93
; %bb.92:
	scratch_load_b64 v[34:35], off, off offset:64
	v_mov_b64_e32 v[36:37], 0
	scratch_store_b64 off, v[36:37], off offset:64
	s_wait_loadcnt 0x0
	ds_store_b64 v1, v[34:35]
.LBB79_93:
	s_wait_xcnt 0x0
	s_or_b32 exec_lo, exec_lo, s0
	s_wait_storecnt_dscnt 0x0
	s_barrier_signal -1
	s_barrier_wait -1
	s_clause 0x4
	scratch_load_b128 v[34:37], off, off offset:72
	scratch_load_b128 v[38:41], off, off offset:88
	;; [unrolled: 1-line block ×3, first 2 shown]
	scratch_load_b64 v[58:59], off, off offset:120
	scratch_load_b64 v[60:61], off, off offset:64
	v_mov_b32_e32 v7, 0
	ds_load_2addr_b64 v[46:49], v7 offset0:25 offset1:26
	ds_load_2addr_b64 v[50:53], v7 offset0:27 offset1:28
	;; [unrolled: 1-line block ×3, first 2 shown]
	ds_load_b64 v[62:63], v7 offset:248
	s_mov_b32 s0, exec_lo
	s_wait_dscnt 0x3
	v_dual_mov_b32 v64, v49 :: v_dual_mov_b32 v65, v48
	s_wait_dscnt 0x2
	v_dual_mov_b32 v66, v53 :: v_dual_mov_b32 v67, v52
	;; [unrolled: 2-line block ×3, first 2 shown]
	s_wait_loadcnt 0x4
	v_pk_mul_f32 v[68:69], v[46:47], v[34:35] op_sel:[1,1] op_sel_hi:[0,1]
	v_mov_b32_e32 v70, v37
	s_wait_loadcnt 0x3
	v_pk_mul_f32 v[74:75], v[50:51], v[38:39] op_sel:[1,1] op_sel_hi:[0,1]
	s_wait_loadcnt 0x2
	v_pk_mul_f32 v[78:79], v[54:55], v[42:43] op_sel:[1,1] op_sel_hi:[0,1]
	v_pk_fma_f32 v[76:77], v[46:47], v[34:35], v[68:69] op_sel_hi:[1,0,1]
	v_pk_mul_f32 v[64:65], v[64:65], v[70:71] op_sel_hi:[1,0]
	v_pk_fma_f32 v[34:35], v[46:47], v[34:35], v[68:69] neg_lo:[0,0,1] neg_hi:[0,0,1]
	v_mov_b32_e32 v70, v41
	v_pk_fma_f32 v[68:69], v[50:51], v[38:39], v[74:75] op_sel_hi:[1,0,1]
	v_mov_b32_e32 v35, v77
	v_pk_fma_f32 v[46:47], v[48:49], v[36:37], v[64:65] op_sel_hi:[1,0,1]
	v_pk_fma_f32 v[36:37], v[48:49], v[36:37], v[64:65] neg_lo:[0,0,1] neg_hi:[0,0,1]
	v_pk_mul_f32 v[66:67], v[66:67], v[70:71] op_sel_hi:[1,0]
	v_pk_fma_f32 v[38:39], v[50:51], v[38:39], v[74:75] neg_lo:[0,0,1] neg_hi:[0,0,1]
	v_pk_add_f32 v[34:35], v[34:35], 0 op_sel_hi:[1,0]
	v_dual_mov_b32 v37, v47 :: v_dual_mov_b32 v46, v45
	s_delay_alu instid0(VALU_DEP_4) | instskip(SKIP_2) | instid1(VALU_DEP_4)
	v_pk_fma_f32 v[48:49], v[52:53], v[40:41], v[66:67] op_sel_hi:[1,0,1]
	v_mov_b32_e32 v39, v69
	v_pk_fma_f32 v[40:41], v[52:53], v[40:41], v[66:67] neg_lo:[0,0,1] neg_hi:[0,0,1]
	v_pk_add_f32 v[34:35], v[34:35], v[36:37]
	v_pk_fma_f32 v[36:37], v[54:55], v[42:43], v[78:79] op_sel_hi:[1,0,1]
	v_pk_mul_f32 v[46:47], v[72:73], v[46:47] op_sel_hi:[1,0]
	v_mov_b32_e32 v41, v49
	s_delay_alu instid0(VALU_DEP_4)
	v_pk_add_f32 v[34:35], v[34:35], v[38:39]
	v_pk_fma_f32 v[38:39], v[54:55], v[42:43], v[78:79] neg_lo:[0,0,1] neg_hi:[0,0,1]
	v_mov_b32_e32 v39, v37
	v_pk_fma_f32 v[36:37], v[56:57], v[44:45], v[46:47] op_sel_hi:[1,0,1]
	v_pk_fma_f32 v[42:43], v[56:57], v[44:45], v[46:47] neg_lo:[0,0,1] neg_hi:[0,0,1]
	v_pk_add_f32 v[34:35], v[34:35], v[40:41]
	s_wait_loadcnt_dscnt 0x100
	v_pk_mul_f32 v[40:41], v[62:63], v[58:59] op_sel:[1,1] op_sel_hi:[0,1]
	v_mov_b32_e32 v43, v37
	s_delay_alu instid0(VALU_DEP_3) | instskip(NEXT) | instid1(VALU_DEP_3)
	v_pk_add_f32 v[34:35], v[34:35], v[38:39]
	v_pk_fma_f32 v[36:37], v[62:63], v[58:59], v[40:41] op_sel_hi:[1,0,1]
	v_pk_fma_f32 v[38:39], v[62:63], v[58:59], v[40:41] neg_lo:[0,0,1] neg_hi:[0,0,1]
	s_delay_alu instid0(VALU_DEP_3) | instskip(NEXT) | instid1(VALU_DEP_3)
	v_pk_add_f32 v[34:35], v[34:35], v[42:43]
	v_mov_b32_e32 v39, v37
	s_delay_alu instid0(VALU_DEP_1) | instskip(SKIP_1) | instid1(VALU_DEP_1)
	v_pk_add_f32 v[34:35], v[34:35], v[38:39]
	s_wait_loadcnt 0x0
	v_pk_add_f32 v[34:35], v[60:61], v[34:35] neg_lo:[0,1] neg_hi:[0,1]
	scratch_store_b64 off, v[34:35], off offset:64
	s_wait_xcnt 0x0
	v_cmpx_lt_u32_e32 7, v0
	s_cbranch_execz .LBB79_95
; %bb.94:
	scratch_load_b64 v[34:35], off, off offset:56
	v_mov_b64_e32 v[36:37], 0
	scratch_store_b64 off, v[36:37], off offset:56
	s_wait_loadcnt 0x0
	ds_store_b64 v1, v[34:35]
.LBB79_95:
	s_wait_xcnt 0x0
	s_or_b32 exec_lo, exec_lo, s0
	s_wait_storecnt_dscnt 0x0
	s_barrier_signal -1
	s_barrier_wait -1
	s_clause 0x4
	scratch_load_b128 v[34:37], off, off offset:64
	scratch_load_b128 v[38:41], off, off offset:80
	;; [unrolled: 1-line block ×4, first 2 shown]
	scratch_load_b64 v[66:67], off, off offset:56
	ds_load_b128 v[50:53], v7 offset:192
	ds_load_b128 v[54:57], v7 offset:208
	;; [unrolled: 1-line block ×4, first 2 shown]
	s_mov_b32 s0, exec_lo
	s_wait_dscnt 0x3
	v_dual_mov_b32 v68, v53 :: v_dual_mov_b32 v69, v52
	s_wait_dscnt 0x2
	v_dual_mov_b32 v70, v57 :: v_dual_mov_b32 v71, v56
	s_wait_dscnt 0x0
	v_dual_mov_b32 v79, v64 :: v_dual_mov_b32 v72, v61
	v_dual_mov_b32 v73, v60 :: v_dual_mov_b32 v78, v65
	s_wait_loadcnt 0x4
	v_mov_b32_e32 v76, v37
	v_pk_mul_f32 v[74:75], v[50:51], v[34:35] op_sel:[1,1] op_sel_hi:[0,1]
	s_wait_loadcnt 0x3
	v_pk_mul_f32 v[80:81], v[54:55], v[38:39] op_sel:[1,1] op_sel_hi:[0,1]
	s_wait_loadcnt 0x2
	v_pk_mul_f32 v[84:85], v[58:59], v[42:43] op_sel:[1,1] op_sel_hi:[0,1]
	v_pk_mul_f32 v[68:69], v[68:69], v[76:77] op_sel_hi:[1,0]
	v_pk_fma_f32 v[82:83], v[50:51], v[34:35], v[74:75] op_sel_hi:[1,0,1]
	v_pk_fma_f32 v[34:35], v[50:51], v[34:35], v[74:75] neg_lo:[0,0,1] neg_hi:[0,0,1]
	v_mov_b32_e32 v76, v41
	v_pk_fma_f32 v[74:75], v[54:55], v[38:39], v[80:81] op_sel_hi:[1,0,1]
	v_pk_fma_f32 v[50:51], v[52:53], v[36:37], v[68:69] op_sel_hi:[1,0,1]
	v_mov_b32_e32 v35, v83
	v_pk_fma_f32 v[36:37], v[52:53], v[36:37], v[68:69] neg_lo:[0,0,1] neg_hi:[0,0,1]
	v_pk_mul_f32 v[70:71], v[70:71], v[76:77] op_sel_hi:[1,0]
	s_delay_alu instid0(VALU_DEP_4) | instskip(NEXT) | instid1(VALU_DEP_4)
	v_dual_mov_b32 v50, v45 :: v_dual_mov_b32 v37, v51
	v_pk_add_f32 v[34:35], v[34:35], 0 op_sel_hi:[1,0]
	v_pk_fma_f32 v[38:39], v[54:55], v[38:39], v[80:81] neg_lo:[0,0,1] neg_hi:[0,0,1]
	v_mov_b32_e32 v39, v75
	v_pk_fma_f32 v[52:53], v[56:57], v[40:41], v[70:71] op_sel_hi:[1,0,1]
	v_pk_mul_f32 v[50:51], v[72:73], v[50:51] op_sel_hi:[1,0]
	v_pk_add_f32 v[34:35], v[34:35], v[36:37]
	v_pk_fma_f32 v[36:37], v[58:59], v[42:43], v[84:85] op_sel_hi:[1,0,1]
	v_pk_fma_f32 v[40:41], v[56:57], v[40:41], v[70:71] neg_lo:[0,0,1] neg_hi:[0,0,1]
	v_mov_b32_e32 v41, v53
	v_pk_fma_f32 v[42:43], v[58:59], v[42:43], v[84:85] neg_lo:[0,0,1] neg_hi:[0,0,1]
	v_pk_add_f32 v[34:35], v[34:35], v[38:39]
	v_mov_b32_e32 v43, v37
	v_pk_fma_f32 v[36:37], v[60:61], v[44:45], v[50:51] op_sel_hi:[1,0,1]
	s_wait_loadcnt 0x1
	v_pk_mul_f32 v[38:39], v[62:63], v[46:47] op_sel:[1,1] op_sel_hi:[0,1]
	v_mov_b32_e32 v36, v49
	v_pk_add_f32 v[34:35], v[34:35], v[40:41]
	v_pk_fma_f32 v[44:45], v[60:61], v[44:45], v[50:51] neg_lo:[0,0,1] neg_hi:[0,0,1]
	v_mov_b32_e32 v45, v37
	v_pk_fma_f32 v[40:41], v[62:63], v[46:47], v[38:39] op_sel_hi:[1,0,1]
	v_pk_mul_f32 v[36:37], v[78:79], v[36:37] op_sel_hi:[1,0]
	v_pk_add_f32 v[34:35], v[34:35], v[42:43]
	v_pk_fma_f32 v[38:39], v[62:63], v[46:47], v[38:39] neg_lo:[0,0,1] neg_hi:[0,0,1]
	s_delay_alu instid0(VALU_DEP_4) | instskip(NEXT) | instid1(VALU_DEP_4)
	v_mov_b32_e32 v39, v41
	v_pk_fma_f32 v[40:41], v[64:65], v[48:49], v[36:37] op_sel_hi:[1,0,1]
	s_delay_alu instid0(VALU_DEP_4) | instskip(SKIP_1) | instid1(VALU_DEP_3)
	v_pk_add_f32 v[34:35], v[34:35], v[44:45]
	v_pk_fma_f32 v[36:37], v[64:65], v[48:49], v[36:37] neg_lo:[0,0,1] neg_hi:[0,0,1]
	v_mov_b32_e32 v37, v41
	s_delay_alu instid0(VALU_DEP_3) | instskip(NEXT) | instid1(VALU_DEP_1)
	v_pk_add_f32 v[34:35], v[34:35], v[38:39]
	v_pk_add_f32 v[34:35], v[34:35], v[36:37]
	s_wait_loadcnt 0x0
	s_delay_alu instid0(VALU_DEP_1)
	v_pk_add_f32 v[34:35], v[66:67], v[34:35] neg_lo:[0,1] neg_hi:[0,1]
	scratch_store_b64 off, v[34:35], off offset:56
	s_wait_xcnt 0x0
	v_cmpx_lt_u32_e32 6, v0
	s_cbranch_execz .LBB79_97
; %bb.96:
	scratch_load_b64 v[34:35], off, off offset:48
	v_mov_b64_e32 v[36:37], 0
	scratch_store_b64 off, v[36:37], off offset:48
	s_wait_loadcnt 0x0
	ds_store_b64 v1, v[34:35]
.LBB79_97:
	s_wait_xcnt 0x0
	s_or_b32 exec_lo, exec_lo, s0
	s_wait_storecnt_dscnt 0x0
	s_barrier_signal -1
	s_barrier_wait -1
	s_clause 0x5
	scratch_load_b128 v[34:37], off, off offset:56
	scratch_load_b128 v[38:41], off, off offset:72
	;; [unrolled: 1-line block ×4, first 2 shown]
	scratch_load_b64 v[66:67], off, off offset:120
	scratch_load_b64 v[68:69], off, off offset:48
	v_mov_b32_e32 v7, 0
	ds_load_2addr_b64 v[50:53], v7 offset0:23 offset1:24
	ds_load_2addr_b64 v[54:57], v7 offset0:25 offset1:26
	;; [unrolled: 1-line block ×4, first 2 shown]
	ds_load_b64 v[70:71], v7 offset:248
	s_mov_b32 s0, exec_lo
	s_wait_dscnt 0x4
	v_dual_mov_b32 v72, v53 :: v_dual_mov_b32 v73, v52
	s_wait_dscnt 0x1
	v_dual_mov_b32 v74, v57 :: v_dual_mov_b32 v79, v64
	v_dual_mov_b32 v75, v56 :: v_dual_mov_b32 v76, v61
	;; [unrolled: 1-line block ×3, first 2 shown]
	s_wait_loadcnt 0x5
	v_dual_mov_b32 v80, v37 :: v_dual_mul_f32 v81, v50, v35
	v_mul_f32_e32 v9, v51, v35
	s_wait_loadcnt 0x4
	v_pk_mul_f32 v[82:83], v[54:55], v[38:39] op_sel:[1,1] op_sel_hi:[0,1]
	v_mov_b32_e32 v84, v41
	s_wait_loadcnt 0x3
	v_pk_mul_f32 v[86:87], v[58:59], v[42:43] op_sel:[1,1] op_sel_hi:[0,1]
	v_pk_mul_f32 v[72:73], v[72:73], v[80:81] op_sel_hi:[1,0]
	v_fmac_f32_e32 v81, v51, v34
	v_dual_fma_f32 v80, v50, v34, -v9 :: v_dual_mov_b32 v34, v45
	v_pk_fma_f32 v[88:89], v[54:55], v[38:39], v[82:83] op_sel_hi:[1,0,1]
	s_delay_alu instid0(VALU_DEP_4)
	v_pk_fma_f32 v[50:51], v[52:53], v[36:37], v[72:73] op_sel_hi:[1,0,1]
	v_pk_fma_f32 v[36:37], v[52:53], v[36:37], v[72:73] neg_lo:[0,0,1] neg_hi:[0,0,1]
	v_pk_mul_f32 v[74:75], v[74:75], v[84:85] op_sel_hi:[1,0]
	v_pk_add_f32 v[80:81], v[80:81], 0 op_sel_hi:[1,0]
	v_pk_fma_f32 v[38:39], v[54:55], v[38:39], v[82:83] neg_lo:[0,0,1] neg_hi:[0,0,1]
	v_dual_mov_b32 v37, v51 :: v_dual_mov_b32 v39, v89
	s_delay_alu instid0(VALU_DEP_4) | instskip(SKIP_2) | instid1(VALU_DEP_4)
	v_pk_fma_f32 v[52:53], v[56:57], v[40:41], v[74:75] op_sel_hi:[1,0,1]
	v_pk_fma_f32 v[40:41], v[56:57], v[40:41], v[74:75] neg_lo:[0,0,1] neg_hi:[0,0,1]
	v_pk_fma_f32 v[54:55], v[58:59], v[42:43], v[86:87] op_sel_hi:[1,0,1]
	v_pk_add_f32 v[36:37], v[80:81], v[36:37]
	v_pk_mul_f32 v[34:35], v[76:77], v[34:35] op_sel_hi:[1,0]
	v_mov_b32_e32 v41, v53
	v_pk_fma_f32 v[42:43], v[58:59], v[42:43], v[86:87] neg_lo:[0,0,1] neg_hi:[0,0,1]
	s_wait_loadcnt 0x2
	v_pk_mul_f32 v[50:51], v[62:63], v[46:47] op_sel:[1,1] op_sel_hi:[0,1]
	v_pk_add_f32 v[36:37], v[36:37], v[38:39]
	v_mov_b32_e32 v38, v49
	v_pk_fma_f32 v[52:53], v[60:61], v[44:45], v[34:35] op_sel_hi:[1,0,1]
	v_mov_b32_e32 v43, v55
	v_pk_fma_f32 v[34:35], v[60:61], v[44:45], v[34:35] neg_lo:[0,0,1] neg_hi:[0,0,1]
	v_pk_add_f32 v[36:37], v[36:37], v[40:41]
	v_pk_fma_f32 v[40:41], v[62:63], v[46:47], v[50:51] op_sel_hi:[1,0,1]
	v_pk_mul_f32 v[38:39], v[78:79], v[38:39] op_sel_hi:[1,0]
	v_mov_b32_e32 v35, v53
	s_delay_alu instid0(VALU_DEP_4)
	v_pk_add_f32 v[36:37], v[36:37], v[42:43]
	v_pk_fma_f32 v[42:43], v[62:63], v[46:47], v[50:51] neg_lo:[0,0,1] neg_hi:[0,0,1]
	v_mov_b32_e32 v43, v41
	v_pk_fma_f32 v[40:41], v[64:65], v[48:49], v[38:39] op_sel_hi:[1,0,1]
	v_pk_fma_f32 v[38:39], v[64:65], v[48:49], v[38:39] neg_lo:[0,0,1] neg_hi:[0,0,1]
	v_pk_add_f32 v[34:35], v[36:37], v[34:35]
	s_wait_loadcnt_dscnt 0x100
	v_pk_mul_f32 v[36:37], v[70:71], v[66:67] op_sel:[1,1] op_sel_hi:[0,1]
	v_mov_b32_e32 v39, v41
	s_delay_alu instid0(VALU_DEP_3) | instskip(NEXT) | instid1(VALU_DEP_3)
	v_pk_add_f32 v[34:35], v[34:35], v[42:43]
	v_pk_fma_f32 v[40:41], v[70:71], v[66:67], v[36:37] op_sel_hi:[1,0,1]
	v_pk_fma_f32 v[36:37], v[70:71], v[66:67], v[36:37] neg_lo:[0,0,1] neg_hi:[0,0,1]
	s_delay_alu instid0(VALU_DEP_3) | instskip(NEXT) | instid1(VALU_DEP_3)
	v_pk_add_f32 v[34:35], v[34:35], v[38:39]
	v_mov_b32_e32 v37, v41
	s_delay_alu instid0(VALU_DEP_1) | instskip(SKIP_1) | instid1(VALU_DEP_1)
	v_pk_add_f32 v[34:35], v[34:35], v[36:37]
	s_wait_loadcnt 0x0
	v_pk_add_f32 v[34:35], v[68:69], v[34:35] neg_lo:[0,1] neg_hi:[0,1]
	scratch_store_b64 off, v[34:35], off offset:48
	s_wait_xcnt 0x0
	v_cmpx_lt_u32_e32 5, v0
	s_cbranch_execz .LBB79_99
; %bb.98:
	scratch_load_b64 v[34:35], off, off offset:40
	v_mov_b64_e32 v[36:37], 0
	scratch_store_b64 off, v[36:37], off offset:40
	s_wait_loadcnt 0x0
	ds_store_b64 v1, v[34:35]
.LBB79_99:
	s_wait_xcnt 0x0
	s_or_b32 exec_lo, exec_lo, s0
	s_wait_storecnt_dscnt 0x0
	s_barrier_signal -1
	s_barrier_wait -1
	s_clause 0x5
	scratch_load_b128 v[34:37], off, off offset:48
	scratch_load_b128 v[38:41], off, off offset:64
	;; [unrolled: 1-line block ×5, first 2 shown]
	scratch_load_b64 v[74:75], off, off offset:40
	ds_load_b128 v[54:57], v7 offset:192
	ds_load_b128 v[58:61], v7 offset:208
	;; [unrolled: 1-line block ×5, first 2 shown]
	s_mov_b32 s0, exec_lo
	s_wait_dscnt 0x4
	v_dual_mov_b32 v76, v57 :: v_dual_mov_b32 v77, v56
	s_wait_dscnt 0x3
	v_dual_mov_b32 v78, v61 :: v_dual_mov_b32 v79, v60
	;; [unrolled: 2-line block ×4, first 2 shown]
	s_wait_loadcnt_dscnt 0x500
	v_dual_mul_f32 v85, v70, v35 :: v_dual_mul_f32 v87, v72, v37
	v_dual_mul_f32 v7, v71, v35 :: v_dual_mul_f32 v9, v73, v37
	s_wait_loadcnt 0x4
	v_pk_mul_f32 v[88:89], v[54:55], v[38:39] op_sel:[1,1] op_sel_hi:[0,1]
	s_wait_loadcnt 0x3
	v_dual_mov_b32 v90, v41 :: v_dual_mov_b32 v94, v45
	v_dual_fmac_f32 v85, v71, v34 :: v_dual_fma_f32 v84, v70, v34, -v7
	v_dual_fmac_f32 v87, v73, v36 :: v_dual_fma_f32 v86, v72, v36, -v9
	v_pk_fma_f32 v[34:35], v[54:55], v[38:39], v[88:89] op_sel_hi:[1,0,1]
	s_delay_alu instid0(VALU_DEP_4) | instskip(NEXT) | instid1(VALU_DEP_4)
	v_pk_mul_f32 v[36:37], v[76:77], v[90:91] op_sel_hi:[1,0]
	v_pk_add_f32 v[70:71], v[84:85], 0 op_sel_hi:[1,0]
	v_pk_fma_f32 v[38:39], v[54:55], v[38:39], v[88:89] neg_lo:[0,0,1] neg_hi:[0,0,1]
	v_pk_mul_f32 v[92:93], v[58:59], v[42:43] op_sel:[1,1] op_sel_hi:[0,1]
	v_mov_b32_e32 v39, v35
	v_pk_fma_f32 v[34:35], v[56:57], v[40:41], v[36:37] op_sel_hi:[1,0,1]
	v_pk_add_f32 v[54:55], v[70:71], v[86:87]
	v_pk_fma_f32 v[36:37], v[56:57], v[40:41], v[36:37] neg_lo:[0,0,1] neg_hi:[0,0,1]
	v_pk_fma_f32 v[70:71], v[58:59], v[42:43], v[92:93] op_sel_hi:[1,0,1]
	v_pk_mul_f32 v[76:77], v[78:79], v[94:95] op_sel_hi:[1,0]
	v_mov_b32_e32 v37, v35
	v_pk_add_f32 v[34:35], v[54:55], v[38:39]
	s_wait_loadcnt 0x2
	v_pk_mul_f32 v[72:73], v[62:63], v[46:47] op_sel:[1,1] op_sel_hi:[0,1]
	v_mov_b32_e32 v38, v49
	v_pk_fma_f32 v[40:41], v[58:59], v[42:43], v[92:93] neg_lo:[0,0,1] neg_hi:[0,0,1]
	v_mov_b32_e32 v41, v71
	v_pk_fma_f32 v[42:43], v[60:61], v[44:45], v[76:77] op_sel_hi:[1,0,1]
	v_pk_add_f32 v[34:35], v[34:35], v[36:37]
	v_pk_fma_f32 v[36:37], v[62:63], v[46:47], v[72:73] op_sel_hi:[1,0,1]
	v_pk_mul_f32 v[38:39], v[80:81], v[38:39] op_sel_hi:[1,0]
	v_pk_fma_f32 v[44:45], v[60:61], v[44:45], v[76:77] neg_lo:[0,0,1] neg_hi:[0,0,1]
	v_mov_b32_e32 v45, v43
	v_pk_add_f32 v[34:35], v[34:35], v[40:41]
	v_pk_fma_f32 v[42:43], v[62:63], v[46:47], v[72:73] neg_lo:[0,0,1] neg_hi:[0,0,1]
	v_mov_b32_e32 v43, v37
	v_pk_fma_f32 v[36:37], v[64:65], v[48:49], v[38:39] op_sel_hi:[1,0,1]
	s_wait_loadcnt 0x1
	v_pk_mul_f32 v[40:41], v[66:67], v[50:51] op_sel:[1,1] op_sel_hi:[0,1]
	v_pk_add_f32 v[34:35], v[34:35], v[44:45]
	v_mov_b32_e32 v36, v53
	v_pk_fma_f32 v[38:39], v[64:65], v[48:49], v[38:39] neg_lo:[0,0,1] neg_hi:[0,0,1]
	v_mov_b32_e32 v39, v37
	v_pk_fma_f32 v[44:45], v[66:67], v[50:51], v[40:41] op_sel_hi:[1,0,1]
	v_pk_add_f32 v[34:35], v[34:35], v[42:43]
	v_pk_mul_f32 v[36:37], v[82:83], v[36:37] op_sel_hi:[1,0]
	v_pk_fma_f32 v[40:41], v[66:67], v[50:51], v[40:41] neg_lo:[0,0,1] neg_hi:[0,0,1]
	s_delay_alu instid0(VALU_DEP_3) | instskip(NEXT) | instid1(VALU_DEP_3)
	v_pk_add_f32 v[34:35], v[34:35], v[38:39]
	v_pk_fma_f32 v[38:39], v[68:69], v[52:53], v[36:37] op_sel_hi:[1,0,1]
	v_mov_b32_e32 v41, v45
	v_pk_fma_f32 v[36:37], v[68:69], v[52:53], v[36:37] neg_lo:[0,0,1] neg_hi:[0,0,1]
	s_delay_alu instid0(VALU_DEP_3) | instskip(NEXT) | instid1(VALU_DEP_3)
	v_mov_b32_e32 v37, v39
	v_pk_add_f32 v[34:35], v[34:35], v[40:41]
	s_delay_alu instid0(VALU_DEP_1) | instskip(SKIP_1) | instid1(VALU_DEP_1)
	v_pk_add_f32 v[34:35], v[34:35], v[36:37]
	s_wait_loadcnt 0x0
	v_pk_add_f32 v[34:35], v[74:75], v[34:35] neg_lo:[0,1] neg_hi:[0,1]
	scratch_store_b64 off, v[34:35], off offset:40
	s_wait_xcnt 0x0
	v_cmpx_lt_u32_e32 4, v0
	s_cbranch_execz .LBB79_101
; %bb.100:
	scratch_load_b64 v[34:35], off, off offset:32
	v_mov_b64_e32 v[36:37], 0
	scratch_store_b64 off, v[36:37], off offset:32
	s_wait_loadcnt 0x0
	ds_store_b64 v1, v[34:35]
.LBB79_101:
	s_wait_xcnt 0x0
	s_or_b32 exec_lo, exec_lo, s0
	s_wait_storecnt_dscnt 0x0
	s_barrier_signal -1
	s_barrier_wait -1
	s_clause 0x6
	scratch_load_b128 v[34:37], off, off offset:40
	scratch_load_b128 v[38:41], off, off offset:56
	scratch_load_b128 v[42:45], off, off offset:72
	scratch_load_b128 v[46:49], off, off offset:88
	scratch_load_b128 v[50:53], off, off offset:104
	scratch_load_b64 v[74:75], off, off offset:120
	scratch_load_b64 v[76:77], off, off offset:32
	v_mov_b32_e32 v7, 0
	ds_load_2addr_b64 v[54:57], v7 offset0:23 offset1:24
	ds_load_2addr_b64 v[58:61], v7 offset0:25 offset1:26
	ds_load_2addr_b64 v[62:65], v7 offset0:27 offset1:28
	ds_load_2addr_b64 v[66:69], v7 offset0:29 offset1:30
	ds_load_2addr_b64 v[70:73], v7 offset0:21 offset1:22
	ds_load_b64 v[78:79], v7 offset:248
	s_mov_b32 s0, exec_lo
	s_wait_dscnt 0x5
	v_dual_mov_b32 v80, v57 :: v_dual_mov_b32 v81, v56
	s_wait_dscnt 0x2
	v_dual_mov_b32 v82, v61 :: v_dual_mov_b32 v87, v68
	v_dual_mov_b32 v83, v60 :: v_dual_mov_b32 v84, v65
	;; [unrolled: 1-line block ×3, first 2 shown]
	s_wait_loadcnt_dscnt 0x601
	v_dual_mul_f32 v9, v70, v35 :: v_dual_mul_f32 v11, v71, v35
	v_dual_mul_f32 v13, v73, v37 :: v_dual_mul_f32 v89, v72, v37
	s_wait_loadcnt 0x5
	v_dual_mul_f32 v91, v54, v39 :: v_dual_mul_f32 v15, v55, v39
	s_wait_loadcnt 0x4
	v_dual_mov_b32 v90, v41 :: v_dual_mov_b32 v94, v45
	v_dual_fmac_f32 v9, v71, v34 :: v_dual_fma_f32 v11, v70, v34, -v11
	v_fmac_f32_e32 v89, v73, v36
	v_pk_mul_f32 v[92:93], v[58:59], v[42:43] op_sel:[1,1] op_sel_hi:[0,1]
	s_delay_alu instid0(VALU_DEP_3)
	v_dual_fma_f32 v88, v72, v36, -v13 :: v_dual_add_f32 v37, 0, v9
	v_pk_mul_f32 v[34:35], v[80:81], v[90:91] op_sel_hi:[1,0]
	s_wait_loadcnt 0x3
	v_dual_add_f32 v36, 0, v11 :: v_dual_mov_b32 v70, v49
	v_fmac_f32_e32 v91, v55, v38
	v_fma_f32 v90, v54, v38, -v15
	v_pk_fma_f32 v[38:39], v[56:57], v[40:41], v[34:35] op_sel_hi:[1,0,1]
	s_delay_alu instid0(VALU_DEP_4) | instskip(SKIP_4) | instid1(VALU_DEP_4)
	v_pk_add_f32 v[36:37], v[36:37], v[88:89]
	v_pk_fma_f32 v[54:55], v[58:59], v[42:43], v[92:93] op_sel_hi:[1,0,1]
	v_pk_fma_f32 v[34:35], v[56:57], v[40:41], v[34:35] neg_lo:[0,0,1] neg_hi:[0,0,1]
	v_pk_fma_f32 v[40:41], v[58:59], v[42:43], v[92:93] neg_lo:[0,0,1] neg_hi:[0,0,1]
	v_pk_mul_f32 v[72:73], v[82:83], v[94:95] op_sel_hi:[1,0]
	v_dual_mov_b32 v35, v39 :: v_dual_mov_b32 v41, v55
	v_pk_add_f32 v[36:37], v[36:37], v[90:91]
	v_pk_mul_f32 v[96:97], v[62:63], v[46:47] op_sel:[1,1] op_sel_hi:[0,1]
	s_delay_alu instid0(VALU_DEP_4)
	v_pk_fma_f32 v[42:43], v[60:61], v[44:45], v[72:73] op_sel_hi:[1,0,1]
	v_pk_fma_f32 v[44:45], v[60:61], v[44:45], v[72:73] neg_lo:[0,0,1] neg_hi:[0,0,1]
	v_pk_mul_f32 v[54:55], v[84:85], v[70:71] op_sel_hi:[1,0]
	v_pk_add_f32 v[34:35], v[36:37], v[34:35]
	v_pk_fma_f32 v[36:37], v[62:63], v[46:47], v[96:97] op_sel_hi:[1,0,1]
	s_wait_loadcnt 0x2
	v_dual_mov_b32 v45, v43 :: v_dual_mov_b32 v36, v53
	v_pk_mul_f32 v[38:39], v[66:67], v[50:51] op_sel:[1,1] op_sel_hi:[0,1]
	v_pk_add_f32 v[34:35], v[34:35], v[40:41]
	v_pk_fma_f32 v[40:41], v[62:63], v[46:47], v[96:97] neg_lo:[0,0,1] neg_hi:[0,0,1]
	v_pk_fma_f32 v[42:43], v[64:65], v[48:49], v[54:55] op_sel_hi:[1,0,1]
	v_mov_b32_e32 v41, v37
	v_pk_fma_f32 v[46:47], v[64:65], v[48:49], v[54:55] neg_lo:[0,0,1] neg_hi:[0,0,1]
	v_pk_add_f32 v[34:35], v[34:35], v[44:45]
	v_pk_fma_f32 v[44:45], v[66:67], v[50:51], v[38:39] op_sel_hi:[1,0,1]
	v_pk_mul_f32 v[36:37], v[86:87], v[36:37] op_sel_hi:[1,0]
	v_mov_b32_e32 v47, v43
	v_pk_fma_f32 v[38:39], v[66:67], v[50:51], v[38:39] neg_lo:[0,0,1] neg_hi:[0,0,1]
	v_pk_add_f32 v[34:35], v[34:35], v[40:41]
	s_wait_loadcnt_dscnt 0x100
	v_pk_mul_f32 v[42:43], v[78:79], v[74:75] op_sel:[1,1] op_sel_hi:[0,1]
	v_pk_fma_f32 v[40:41], v[68:69], v[52:53], v[36:37] op_sel_hi:[1,0,1]
	v_mov_b32_e32 v39, v45
	v_pk_fma_f32 v[36:37], v[68:69], v[52:53], v[36:37] neg_lo:[0,0,1] neg_hi:[0,0,1]
	v_pk_add_f32 v[34:35], v[34:35], v[46:47]
	s_delay_alu instid0(VALU_DEP_4) | instskip(SKIP_1) | instid1(VALU_DEP_3)
	v_mov_b32_e32 v37, v41
	v_pk_fma_f32 v[40:41], v[78:79], v[74:75], v[42:43] neg_lo:[0,0,1] neg_hi:[0,0,1]
	v_pk_add_f32 v[34:35], v[34:35], v[38:39]
	v_pk_fma_f32 v[38:39], v[78:79], v[74:75], v[42:43] op_sel_hi:[1,0,1]
	s_delay_alu instid0(VALU_DEP_2) | instskip(NEXT) | instid1(VALU_DEP_2)
	v_pk_add_f32 v[34:35], v[34:35], v[36:37]
	v_mov_b32_e32 v41, v39
	s_delay_alu instid0(VALU_DEP_1) | instskip(SKIP_1) | instid1(VALU_DEP_1)
	v_pk_add_f32 v[34:35], v[34:35], v[40:41]
	s_wait_loadcnt 0x0
	v_pk_add_f32 v[34:35], v[76:77], v[34:35] neg_lo:[0,1] neg_hi:[0,1]
	scratch_store_b64 off, v[34:35], off offset:32
	s_wait_xcnt 0x0
	v_cmpx_lt_u32_e32 3, v0
	s_cbranch_execz .LBB79_103
; %bb.102:
	scratch_load_b64 v[34:35], off, off offset:24
	v_mov_b64_e32 v[36:37], 0
	scratch_store_b64 off, v[36:37], off offset:24
	s_wait_loadcnt 0x0
	ds_store_b64 v1, v[34:35]
.LBB79_103:
	s_wait_xcnt 0x0
	s_or_b32 exec_lo, exec_lo, s0
	s_wait_storecnt_dscnt 0x0
	s_barrier_signal -1
	s_barrier_wait -1
	s_clause 0x6
	scratch_load_b128 v[34:37], off, off offset:32
	scratch_load_b128 v[38:41], off, off offset:48
	;; [unrolled: 1-line block ×6, first 2 shown]
	scratch_load_b64 v[82:83], off, off offset:24
	ds_load_b128 v[58:61], v7 offset:192
	ds_load_b128 v[62:65], v7 offset:208
	;; [unrolled: 1-line block ×6, first 2 shown]
	s_mov_b32 s0, exec_lo
	s_wait_dscnt 0x5
	v_dual_mov_b32 v84, v61 :: v_dual_mov_b32 v85, v60
	s_wait_dscnt 0x4
	v_dual_mov_b32 v86, v65 :: v_dual_mov_b32 v87, v64
	;; [unrolled: 2-line block ×4, first 2 shown]
	s_wait_loadcnt_dscnt 0x601
	v_dual_mul_f32 v7, v74, v35 :: v_dual_mul_f32 v9, v76, v37
	v_dual_mul_f32 v11, v75, v35 :: v_dual_mul_f32 v13, v77, v37
	s_wait_loadcnt 0x4
	s_delay_alu instid0(VALU_DEP_2)
	v_dual_mov_b32 v98, v45 :: v_dual_fmac_f32 v7, v75, v34
	s_wait_dscnt 0x0
	v_dual_mul_f32 v93, v78, v39 :: v_dual_mul_f32 v95, v80, v41
	v_dual_fma_f32 v11, v74, v34, -v11 :: v_dual_fmac_f32 v9, v77, v36
	v_dual_mul_f32 v15, v79, v39 :: v_dual_mul_f32 v17, v81, v41
	v_dual_fma_f32 v13, v76, v36, -v13 :: v_dual_add_f32 v7, 0, v7
	s_wait_loadcnt 0x3
	s_delay_alu instid0(VALU_DEP_3) | instskip(SKIP_3) | instid1(VALU_DEP_4)
	v_dual_add_f32 v11, 0, v11 :: v_dual_mov_b32 v36, v49
	v_pk_mul_f32 v[96:97], v[58:59], v[42:43] op_sel:[1,1] op_sel_hi:[0,1]
	v_dual_fmac_f32 v93, v79, v38 :: v_dual_fma_f32 v92, v78, v38, -v15
	v_dual_add_f32 v39, v7, v9 :: v_dual_fmac_f32 v95, v81, v40
	v_dual_add_f32 v38, v11, v13 :: v_dual_fma_f32 v94, v80, v40, -v17
	s_delay_alu instid0(VALU_DEP_4) | instskip(SKIP_2) | instid1(VALU_DEP_4)
	v_pk_fma_f32 v[40:41], v[58:59], v[42:43], v[96:97] op_sel_hi:[1,0,1]
	v_pk_mul_f32 v[74:75], v[84:85], v[98:99] op_sel_hi:[1,0]
	v_pk_fma_f32 v[42:43], v[58:59], v[42:43], v[96:97] neg_lo:[0,0,1] neg_hi:[0,0,1]
	v_pk_add_f32 v[38:39], v[38:39], v[92:93]
	v_pk_mul_f32 v[34:35], v[62:63], v[46:47] op_sel:[1,1] op_sel_hi:[0,1]
	v_mov_b32_e32 v43, v41
	v_pk_fma_f32 v[40:41], v[60:61], v[44:45], v[74:75] op_sel_hi:[1,0,1]
	v_pk_fma_f32 v[44:45], v[60:61], v[44:45], v[74:75] neg_lo:[0,0,1] neg_hi:[0,0,1]
	v_pk_add_f32 v[38:39], v[38:39], v[94:95]
	v_pk_fma_f32 v[58:59], v[62:63], v[46:47], v[34:35] op_sel_hi:[1,0,1]
	v_pk_mul_f32 v[36:37], v[86:87], v[36:37] op_sel_hi:[1,0]
	v_mov_b32_e32 v45, v41
	v_pk_fma_f32 v[34:35], v[62:63], v[46:47], v[34:35] neg_lo:[0,0,1] neg_hi:[0,0,1]
	v_pk_add_f32 v[38:39], v[38:39], v[42:43]
	s_wait_loadcnt 0x2
	v_pk_mul_f32 v[76:77], v[66:67], v[50:51] op_sel:[1,1] op_sel_hi:[0,1]
	v_dual_mov_b32 v40, v53 :: v_dual_mov_b32 v35, v59
	v_pk_fma_f32 v[42:43], v[64:65], v[48:49], v[36:37] op_sel_hi:[1,0,1]
	v_pk_add_f32 v[38:39], v[38:39], v[44:45]
	v_pk_fma_f32 v[36:37], v[64:65], v[48:49], v[36:37] neg_lo:[0,0,1] neg_hi:[0,0,1]
	v_pk_fma_f32 v[44:45], v[66:67], v[50:51], v[76:77] op_sel_hi:[1,0,1]
	v_pk_mul_f32 v[40:41], v[88:89], v[40:41] op_sel_hi:[1,0]
	v_mov_b32_e32 v37, v43
	v_pk_add_f32 v[34:35], v[38:39], v[34:35]
	v_pk_fma_f32 v[42:43], v[66:67], v[50:51], v[76:77] neg_lo:[0,0,1] neg_hi:[0,0,1]
	s_wait_loadcnt 0x1
	v_pk_mul_f32 v[38:39], v[70:71], v[54:55] op_sel:[1,1] op_sel_hi:[0,1]
	v_mov_b32_e32 v43, v45
	v_pk_fma_f32 v[44:45], v[68:69], v[52:53], v[40:41] op_sel_hi:[1,0,1]
	v_pk_add_f32 v[34:35], v[34:35], v[36:37]
	v_mov_b32_e32 v36, v57
	v_pk_fma_f32 v[40:41], v[68:69], v[52:53], v[40:41] neg_lo:[0,0,1] neg_hi:[0,0,1]
	v_pk_fma_f32 v[46:47], v[70:71], v[54:55], v[38:39] op_sel_hi:[1,0,1]
	v_mov_b32_e32 v41, v45
	v_pk_add_f32 v[34:35], v[34:35], v[42:43]
	v_pk_mul_f32 v[36:37], v[90:91], v[36:37] op_sel_hi:[1,0]
	v_pk_fma_f32 v[38:39], v[70:71], v[54:55], v[38:39] neg_lo:[0,0,1] neg_hi:[0,0,1]
	s_delay_alu instid0(VALU_DEP_3) | instskip(NEXT) | instid1(VALU_DEP_3)
	v_pk_add_f32 v[34:35], v[34:35], v[40:41]
	v_pk_fma_f32 v[40:41], v[72:73], v[56:57], v[36:37] op_sel_hi:[1,0,1]
	v_mov_b32_e32 v39, v47
	v_pk_fma_f32 v[36:37], v[72:73], v[56:57], v[36:37] neg_lo:[0,0,1] neg_hi:[0,0,1]
	s_delay_alu instid0(VALU_DEP_3) | instskip(NEXT) | instid1(VALU_DEP_3)
	v_mov_b32_e32 v37, v41
	v_pk_add_f32 v[34:35], v[34:35], v[38:39]
	s_delay_alu instid0(VALU_DEP_1) | instskip(SKIP_1) | instid1(VALU_DEP_1)
	v_pk_add_f32 v[34:35], v[34:35], v[36:37]
	s_wait_loadcnt 0x0
	v_pk_add_f32 v[34:35], v[82:83], v[34:35] neg_lo:[0,1] neg_hi:[0,1]
	scratch_store_b64 off, v[34:35], off offset:24
	s_wait_xcnt 0x0
	v_cmpx_lt_u32_e32 2, v0
	s_cbranch_execz .LBB79_105
; %bb.104:
	scratch_load_b64 v[34:35], off, off offset:16
	v_mov_b64_e32 v[36:37], 0
	scratch_store_b64 off, v[36:37], off offset:16
	s_wait_loadcnt 0x0
	ds_store_b64 v1, v[34:35]
.LBB79_105:
	s_wait_xcnt 0x0
	s_or_b32 exec_lo, exec_lo, s0
	s_wait_storecnt_dscnt 0x0
	s_barrier_signal -1
	s_barrier_wait -1
	s_clause 0x7
	scratch_load_b128 v[34:37], off, off offset:24
	scratch_load_b128 v[38:41], off, off offset:40
	;; [unrolled: 1-line block ×6, first 2 shown]
	scratch_load_b64 v[82:83], off, off offset:120
	scratch_load_b64 v[84:85], off, off offset:16
	v_mov_b32_e32 v7, 0
	ds_load_2addr_b64 v[58:61], v7 offset0:23 offset1:24
	ds_load_2addr_b64 v[62:65], v7 offset0:25 offset1:26
	;; [unrolled: 1-line block ×6, first 2 shown]
	ds_load_b64 v[86:87], v7 offset:248
	s_mov_b32 s0, exec_lo
	s_wait_dscnt 0x6
	v_dual_mov_b32 v88, v61 :: v_dual_mov_b32 v89, v60
	s_wait_dscnt 0x3
	v_dual_mov_b32 v90, v65 :: v_dual_mov_b32 v95, v72
	v_dual_mov_b32 v91, v64 :: v_dual_mov_b32 v92, v69
	;; [unrolled: 1-line block ×3, first 2 shown]
	s_wait_loadcnt_dscnt 0x702
	v_dual_mul_f32 v9, v74, v35 :: v_dual_mul_f32 v15, v75, v35
	v_dual_mul_f32 v17, v77, v37 :: v_dual_mul_f32 v11, v76, v37
	s_wait_loadcnt_dscnt 0x601
	s_delay_alu instid0(VALU_DEP_2) | instskip(NEXT) | instid1(VALU_DEP_3)
	v_dual_mul_f32 v13, v78, v39 :: v_dual_fmac_f32 v9, v75, v34
	v_dual_fma_f32 v15, v74, v34, -v15 :: v_dual_mul_f32 v19, v79, v39
	v_mul_f32_e32 v21, v81, v41
	s_wait_loadcnt 0x4
	v_dual_mov_b32 v34, v49 :: v_dual_fma_f32 v17, v76, v36, -v17
	v_dual_fmac_f32 v11, v77, v36 :: v_dual_add_f32 v9, 0, v9
	v_dual_add_f32 v15, 0, v15 :: v_dual_fmac_f32 v13, v79, v38
	v_dual_mul_f32 v97, v80, v41 :: v_dual_mul_f32 v99, v58, v43
	v_dual_mul_f32 v23, v59, v43 :: v_dual_mov_b32 v98, v45
	s_delay_alu instid0(VALU_DEP_4) | instskip(NEXT) | instid1(VALU_DEP_3)
	v_dual_fma_f32 v19, v78, v38, -v19 :: v_dual_add_f32 v9, v9, v11
	v_dual_add_f32 v11, v15, v17 :: v_dual_fmac_f32 v97, v81, v40
	v_pk_mul_f32 v[100:101], v[62:63], v[46:47] op_sel:[1,1] op_sel_hi:[0,1]
	s_delay_alu instid0(VALU_DEP_3)
	v_dual_fma_f32 v96, v80, v40, -v21 :: v_dual_add_f32 v41, v9, v13
	v_pk_mul_f32 v[38:39], v[88:89], v[98:99] op_sel_hi:[1,0]
	s_wait_loadcnt 0x3
	v_dual_add_f32 v40, v11, v19 :: v_dual_mov_b32 v74, v53
	v_fmac_f32_e32 v99, v59, v42
	v_fma_f32 v98, v58, v42, -v23
	v_pk_fma_f32 v[42:43], v[60:61], v[44:45], v[38:39] op_sel_hi:[1,0,1]
	s_delay_alu instid0(VALU_DEP_4) | instskip(SKIP_4) | instid1(VALU_DEP_4)
	v_pk_add_f32 v[40:41], v[40:41], v[96:97]
	v_pk_fma_f32 v[58:59], v[62:63], v[46:47], v[100:101] op_sel_hi:[1,0,1]
	v_pk_fma_f32 v[38:39], v[60:61], v[44:45], v[38:39] neg_lo:[0,0,1] neg_hi:[0,0,1]
	v_pk_fma_f32 v[44:45], v[62:63], v[46:47], v[100:101] neg_lo:[0,0,1] neg_hi:[0,0,1]
	v_pk_mul_f32 v[34:35], v[90:91], v[34:35] op_sel_hi:[1,0]
	v_dual_mov_b32 v39, v43 :: v_dual_mov_b32 v45, v59
	v_pk_add_f32 v[40:41], v[40:41], v[98:99]
	v_pk_mul_f32 v[36:37], v[66:67], v[50:51] op_sel:[1,1] op_sel_hi:[0,1]
	s_delay_alu instid0(VALU_DEP_4)
	v_pk_fma_f32 v[46:47], v[64:65], v[48:49], v[34:35] op_sel_hi:[1,0,1]
	v_pk_fma_f32 v[34:35], v[64:65], v[48:49], v[34:35] neg_lo:[0,0,1] neg_hi:[0,0,1]
	v_pk_mul_f32 v[58:59], v[92:93], v[74:75] op_sel_hi:[1,0]
	v_pk_add_f32 v[38:39], v[40:41], v[38:39]
	v_pk_fma_f32 v[40:41], v[66:67], v[50:51], v[36:37] op_sel_hi:[1,0,1]
	s_wait_loadcnt 0x2
	v_dual_mov_b32 v35, v47 :: v_dual_mov_b32 v40, v57
	v_pk_fma_f32 v[36:37], v[66:67], v[50:51], v[36:37] neg_lo:[0,0,1] neg_hi:[0,0,1]
	v_pk_add_f32 v[38:39], v[38:39], v[44:45]
	v_pk_mul_f32 v[42:43], v[70:71], v[54:55] op_sel:[1,1] op_sel_hi:[0,1]
	v_pk_fma_f32 v[44:45], v[68:69], v[52:53], v[58:59] op_sel_hi:[1,0,1]
	v_mov_b32_e32 v37, v41
	v_pk_fma_f32 v[46:47], v[68:69], v[52:53], v[58:59] neg_lo:[0,0,1] neg_hi:[0,0,1]
	v_pk_add_f32 v[34:35], v[38:39], v[34:35]
	v_pk_fma_f32 v[38:39], v[70:71], v[54:55], v[42:43] op_sel_hi:[1,0,1]
	v_pk_mul_f32 v[40:41], v[94:95], v[40:41] op_sel_hi:[1,0]
	v_mov_b32_e32 v47, v45
	s_delay_alu instid0(VALU_DEP_4)
	v_pk_add_f32 v[34:35], v[34:35], v[36:37]
	v_pk_fma_f32 v[36:37], v[70:71], v[54:55], v[42:43] neg_lo:[0,0,1] neg_hi:[0,0,1]
	v_mov_b32_e32 v37, v39
	v_pk_fma_f32 v[38:39], v[72:73], v[56:57], v[40:41] op_sel_hi:[1,0,1]
	s_wait_loadcnt_dscnt 0x100
	v_pk_mul_f32 v[42:43], v[86:87], v[82:83] op_sel:[1,1] op_sel_hi:[0,1]
	v_pk_add_f32 v[34:35], v[34:35], v[46:47]
	v_pk_fma_f32 v[40:41], v[72:73], v[56:57], v[40:41] neg_lo:[0,0,1] neg_hi:[0,0,1]
	v_mov_b32_e32 v41, v39
	s_delay_alu instid0(VALU_DEP_4) | instskip(NEXT) | instid1(VALU_DEP_4)
	v_pk_fma_f32 v[38:39], v[86:87], v[82:83], v[42:43] neg_lo:[0,0,1] neg_hi:[0,0,1]
	v_pk_add_f32 v[34:35], v[34:35], v[36:37]
	v_pk_fma_f32 v[36:37], v[86:87], v[82:83], v[42:43] op_sel_hi:[1,0,1]
	s_delay_alu instid0(VALU_DEP_2) | instskip(NEXT) | instid1(VALU_DEP_2)
	v_pk_add_f32 v[34:35], v[34:35], v[40:41]
	v_mov_b32_e32 v39, v37
	s_delay_alu instid0(VALU_DEP_1) | instskip(SKIP_1) | instid1(VALU_DEP_1)
	v_pk_add_f32 v[34:35], v[34:35], v[38:39]
	s_wait_loadcnt 0x0
	v_pk_add_f32 v[34:35], v[84:85], v[34:35] neg_lo:[0,1] neg_hi:[0,1]
	scratch_store_b64 off, v[34:35], off offset:16
	s_wait_xcnt 0x0
	v_cmpx_lt_u32_e32 1, v0
	s_cbranch_execz .LBB79_107
; %bb.106:
	scratch_load_b64 v[34:35], off, off offset:8
	v_mov_b64_e32 v[36:37], 0
	scratch_store_b64 off, v[36:37], off offset:8
	s_wait_loadcnt 0x0
	ds_store_b64 v1, v[34:35]
.LBB79_107:
	s_wait_xcnt 0x0
	s_or_b32 exec_lo, exec_lo, s0
	s_wait_storecnt_dscnt 0x0
	s_barrier_signal -1
	s_barrier_wait -1
	s_clause 0x7
	scratch_load_b128 v[34:37], off, off offset:16
	scratch_load_b128 v[38:41], off, off offset:32
	;; [unrolled: 1-line block ×7, first 2 shown]
	scratch_load_b64 v[90:91], off, off offset:8
	ds_load_b128 v[62:65], v7 offset:192
	ds_load_b128 v[66:69], v7 offset:208
	;; [unrolled: 1-line block ×7, first 2 shown]
	v_ashrrev_i32_e32 v11, 31, v10
	v_dual_ashrrev_i32 v7, 31, v6 :: v_dual_ashrrev_i32 v9, 31, v8
	s_mov_b32 s0, exec_lo
	s_wait_dscnt 0x6
	v_dual_mov_b32 v92, v65 :: v_dual_ashrrev_i32 v33, 31, v32
	s_wait_dscnt 0x5
	v_dual_mov_b32 v93, v64 :: v_dual_mov_b32 v94, v69
	s_wait_dscnt 0x3
	v_dual_mov_b32 v99, v76 :: v_dual_mov_b32 v95, v68
	v_dual_mov_b32 v96, v73 :: v_dual_mov_b32 v97, v72
	s_wait_loadcnt_dscnt 0x702
	v_dual_mov_b32 v98, v77 :: v_dual_mul_f32 v13, v78, v35
	v_dual_mul_f32 v15, v80, v37 :: v_dual_mul_f32 v17, v79, v35
	s_wait_loadcnt_dscnt 0x601
	v_dual_mul_f32 v19, v81, v37 :: v_dual_mul_f32 v21, v82, v39
	s_delay_alu instid0(VALU_DEP_2) | instskip(NEXT) | instid1(VALU_DEP_2)
	v_dual_fmac_f32 v13, v79, v34 :: v_dual_fmac_f32 v15, v81, v36
	v_dual_fma_f32 v17, v78, v34, -v17 :: v_dual_fma_f32 v19, v80, v36, -v19
	v_dual_mul_f32 v23, v84, v41 :: v_dual_mul_f32 v25, v83, v39
	s_wait_loadcnt 0x4
	s_delay_alu instid0(VALU_DEP_3) | instskip(NEXT) | instid1(VALU_DEP_3)
	v_dual_add_f32 v13, 0, v13 :: v_dual_mov_b32 v80, v49
	v_add_f32_e32 v17, 0, v17
	s_wait_dscnt 0x0
	v_dual_mul_f32 v27, v85, v41 :: v_dual_mul_f32 v35, v86, v43
	v_dual_mul_f32 v37, v88, v45 :: v_dual_mul_f32 v29, v87, v43
	v_dual_mul_f32 v31, v89, v45 :: v_dual_fmac_f32 v21, v83, v38
	v_dual_fma_f32 v25, v82, v38, -v25 :: v_dual_add_f32 v13, v13, v15
	s_delay_alu instid0(VALU_DEP_3) | instskip(SKIP_1) | instid1(VALU_DEP_3)
	v_dual_add_f32 v15, v17, v19 :: v_dual_fma_f32 v34, v86, v42, -v29
	v_fmac_f32_e32 v23, v85, v40
	v_dual_fma_f32 v17, v84, v40, -v27 :: v_dual_add_f32 v13, v13, v21
	v_fmac_f32_e32 v35, v87, v42
	s_delay_alu instid0(VALU_DEP_4)
	v_add_f32_e32 v15, v15, v25
	v_pk_mul_f32 v[78:79], v[62:63], v[46:47] op_sel:[1,1] op_sel_hi:[0,1]
	s_wait_loadcnt 0x3
	v_mov_b32_e32 v40, v53
	v_dual_add_f32 v43, v13, v23 :: v_dual_fma_f32 v36, v88, v44, -v31
	v_dual_add_f32 v42, v15, v17 :: v_dual_fmac_f32 v37, v89, v44
	v_pk_fma_f32 v[44:45], v[62:63], v[46:47], v[78:79] op_sel_hi:[1,0,1]
	v_pk_mul_f32 v[80:81], v[92:93], v[80:81] op_sel_hi:[1,0]
	v_pk_fma_f32 v[46:47], v[62:63], v[46:47], v[78:79] neg_lo:[0,0,1] neg_hi:[0,0,1]
	s_delay_alu instid0(VALU_DEP_4)
	v_pk_add_f32 v[34:35], v[42:43], v[34:35]
	v_pk_mul_f32 v[38:39], v[66:67], v[50:51] op_sel:[1,1] op_sel_hi:[0,1]
	v_mov_b32_e32 v47, v45
	v_pk_fma_f32 v[44:45], v[64:65], v[48:49], v[80:81] op_sel_hi:[1,0,1]
	v_pk_fma_f32 v[48:49], v[64:65], v[48:49], v[80:81] neg_lo:[0,0,1] neg_hi:[0,0,1]
	v_pk_add_f32 v[34:35], v[34:35], v[36:37]
	v_pk_fma_f32 v[36:37], v[66:67], v[50:51], v[38:39] op_sel_hi:[1,0,1]
	v_pk_mul_f32 v[40:41], v[94:95], v[40:41] op_sel_hi:[1,0]
	v_mov_b32_e32 v49, v45
	v_pk_fma_f32 v[38:39], v[66:67], v[50:51], v[38:39] neg_lo:[0,0,1] neg_hi:[0,0,1]
	v_pk_add_f32 v[34:35], v[34:35], v[46:47]
	s_wait_loadcnt 0x2
	v_pk_mul_f32 v[42:43], v[70:71], v[54:55] op_sel:[1,1] op_sel_hi:[0,1]
	v_dual_mov_b32 v36, v57 :: v_dual_mov_b32 v39, v37
	v_pk_fma_f32 v[44:45], v[68:69], v[52:53], v[40:41] op_sel_hi:[1,0,1]
	v_pk_add_f32 v[34:35], v[34:35], v[48:49]
	v_pk_fma_f32 v[40:41], v[68:69], v[52:53], v[40:41] neg_lo:[0,0,1] neg_hi:[0,0,1]
	v_pk_fma_f32 v[46:47], v[70:71], v[54:55], v[42:43] op_sel_hi:[1,0,1]
	v_pk_mul_f32 v[36:37], v[96:97], v[36:37] op_sel_hi:[1,0]
	v_mov_b32_e32 v41, v45
	v_pk_add_f32 v[34:35], v[34:35], v[38:39]
	v_pk_fma_f32 v[42:43], v[70:71], v[54:55], v[42:43] neg_lo:[0,0,1] neg_hi:[0,0,1]
	s_wait_loadcnt 0x1
	v_pk_mul_f32 v[38:39], v[74:75], v[58:59] op_sel:[1,1] op_sel_hi:[0,1]
	v_mov_b32_e32 v43, v47
	v_pk_fma_f32 v[44:45], v[72:73], v[56:57], v[36:37] op_sel_hi:[1,0,1]
	v_pk_add_f32 v[34:35], v[34:35], v[40:41]
	v_mov_b32_e32 v40, v61
	v_pk_fma_f32 v[36:37], v[72:73], v[56:57], v[36:37] neg_lo:[0,0,1] neg_hi:[0,0,1]
	v_pk_fma_f32 v[46:47], v[74:75], v[58:59], v[38:39] op_sel_hi:[1,0,1]
	v_dual_mov_b32 v37, v45 :: v_dual_ashrrev_i32 v13, 31, v12
	v_pk_add_f32 v[34:35], v[34:35], v[42:43]
	v_pk_mul_f32 v[40:41], v[98:99], v[40:41] op_sel_hi:[1,0]
	v_pk_fma_f32 v[38:39], v[74:75], v[58:59], v[38:39] neg_lo:[0,0,1] neg_hi:[0,0,1]
	v_dual_mov_b32 v39, v47 :: v_dual_ashrrev_i32 v15, 31, v14
	s_delay_alu instid0(VALU_DEP_4) | instskip(NEXT) | instid1(VALU_DEP_4)
	v_pk_add_f32 v[34:35], v[34:35], v[36:37]
	v_pk_fma_f32 v[36:37], v[76:77], v[60:61], v[40:41] op_sel_hi:[1,0,1]
	v_pk_fma_f32 v[40:41], v[76:77], v[60:61], v[40:41] neg_lo:[0,0,1] neg_hi:[0,0,1]
	v_dual_ashrrev_i32 v17, 31, v16 :: v_dual_ashrrev_i32 v19, 31, v18
	v_ashrrev_i32_e32 v21, 31, v20
	v_pk_add_f32 v[34:35], v[34:35], v[38:39]
	v_dual_mov_b32 v41, v37 :: v_dual_ashrrev_i32 v23, 31, v22
	v_dual_ashrrev_i32 v25, 31, v24 :: v_dual_ashrrev_i32 v27, 31, v26
	v_ashrrev_i32_e32 v29, 31, v28
	s_delay_alu instid0(VALU_DEP_3) | instskip(SKIP_2) | instid1(VALU_DEP_2)
	v_pk_add_f32 v[34:35], v[34:35], v[40:41]
	v_ashrrev_i32_e32 v31, 31, v30
	s_wait_loadcnt 0x0
	v_pk_add_f32 v[34:35], v[90:91], v[34:35] neg_lo:[0,1] neg_hi:[0,1]
	scratch_store_b64 off, v[34:35], off offset:8
	s_wait_xcnt 0x0
	v_cmpx_ne_u32_e32 0, v0
	s_cbranch_execz .LBB79_109
; %bb.108:
	scratch_load_b64 v[34:35], off, off
	v_mov_b64_e32 v[36:37], 0
	scratch_store_b64 off, v[36:37], off
	s_wait_loadcnt 0x0
	ds_store_b64 v1, v[34:35]
.LBB79_109:
	s_wait_xcnt 0x0
	s_or_b32 exec_lo, exec_lo, s0
	s_wait_storecnt_dscnt 0x0
	s_barrier_signal -1
	s_barrier_wait -1
	s_clause 0x8
	scratch_load_b128 v[36:39], off, off offset:8
	scratch_load_b128 v[40:43], off, off offset:24
	;; [unrolled: 1-line block ×7, first 2 shown]
	scratch_load_b64 v[0:1], off, off offset:120
	scratch_load_b64 v[92:93], off, off
	v_mov_b32_e32 v34, 0
	ds_load_2addr_b64 v[64:67], v34 offset0:23 offset1:24
	ds_load_2addr_b64 v[68:71], v34 offset0:25 offset1:26
	;; [unrolled: 1-line block ×7, first 2 shown]
	ds_load_b64 v[94:95], v34 offset:248
	s_and_b32 vcc_lo, exec_lo, s12
	s_wait_dscnt 0x7
	v_dual_mov_b32 v96, v67 :: v_dual_mov_b32 v97, v66
	s_wait_dscnt 0x4
	v_dual_mov_b32 v98, v71 :: v_dual_mov_b32 v103, v78
	v_dual_mov_b32 v99, v70 :: v_dual_mov_b32 v100, v75
	;; [unrolled: 1-line block ×3, first 2 shown]
	s_wait_loadcnt_dscnt 0x803
	v_dual_mul_f32 v35, v80, v37 :: v_dual_mul_f32 v37, v81, v37
	s_wait_loadcnt_dscnt 0x702
	v_dual_mul_f32 v104, v82, v39 :: v_dual_mul_f32 v106, v84, v41
	;; [unrolled: 2-line block ×3, first 2 shown]
	v_dual_mul_f32 v39, v83, v39 :: v_dual_mul_f32 v49, v65, v49
	v_dual_fma_f32 v37, v80, v36, -v37 :: v_dual_fmac_f32 v35, v81, v36
	v_dual_mov_b32 v36, v51 :: v_dual_mul_f32 v41, v85, v41
	s_delay_alu instid0(VALU_DEP_3) | instskip(NEXT) | instid1(VALU_DEP_3)
	v_dual_fmac_f32 v104, v83, v38 :: v_dual_fma_f32 v80, v82, v38, -v39
	v_dual_add_f32 v35, 0, v35 :: v_dual_add_f32 v37, 0, v37
	v_dual_mul_f32 v108, v86, v43 :: v_dual_mul_f32 v109, v88, v45
	v_dual_mul_f32 v43, v87, v43 :: v_dual_fmac_f32 v106, v85, v40
	v_fma_f32 v41, v84, v40, -v41
	s_delay_alu instid0(VALU_DEP_4) | instskip(SKIP_3) | instid1(VALU_DEP_2)
	v_add_f32_e32 v35, v35, v104
	s_wait_loadcnt 0x4
	v_dual_add_f32 v37, v37, v80 :: v_dual_mov_b32 v40, v55
	v_dual_mul_f32 v45, v89, v45 :: v_dual_mul_f32 v47, v91, v47
	v_dual_fmac_f32 v108, v87, v42 :: v_dual_add_f32 v37, v37, v41
	v_fma_f32 v80, v86, v42, -v43
	v_dual_add_f32 v35, v35, v106 :: v_dual_fmac_f32 v109, v89, v44
	s_delay_alu instid0(VALU_DEP_4) | instskip(NEXT) | instid1(VALU_DEP_3)
	v_dual_fma_f32 v41, v88, v44, -v45 :: v_dual_fma_f32 v104, v90, v46, -v47
	v_dual_add_f32 v44, v37, v80 :: v_dual_fmac_f32 v105, v91, v46
	s_delay_alu instid0(VALU_DEP_3)
	v_add_f32_e32 v35, v35, v108
	v_pk_mul_f32 v[36:37], v[96:97], v[36:37] op_sel_hi:[1,0]
	v_pk_mul_f32 v[38:39], v[68:69], v[52:53] op_sel:[1,1] op_sel_hi:[0,1]
	s_wait_loadcnt 0x3
	v_dual_add_f32 v44, v44, v41 :: v_dual_mov_b32 v46, v59
	v_dual_fma_f32 v106, v64, v48, -v49 :: v_dual_add_f32 v45, v35, v109
	v_fmac_f32_e32 v107, v65, v48
	v_pk_fma_f32 v[48:49], v[66:67], v[50:51], v[36:37] op_sel_hi:[1,0,1]
	v_pk_fma_f32 v[36:37], v[66:67], v[50:51], v[36:37] neg_lo:[0,0,1] neg_hi:[0,0,1]
	v_pk_fma_f32 v[64:65], v[68:69], v[52:53], v[38:39] op_sel_hi:[1,0,1]
	v_pk_add_f32 v[44:45], v[44:45], v[104:105]
	v_pk_mul_f32 v[40:41], v[98:99], v[40:41] op_sel_hi:[1,0]
	v_mov_b32_e32 v37, v49
	v_pk_fma_f32 v[38:39], v[68:69], v[52:53], v[38:39] neg_lo:[0,0,1] neg_hi:[0,0,1]
	v_pk_mul_f32 v[42:43], v[72:73], v[56:57] op_sel:[1,1] op_sel_hi:[0,1]
	v_pk_add_f32 v[44:45], v[44:45], v[106:107]
	v_mov_b32_e32 v39, v65
	v_pk_fma_f32 v[50:51], v[70:71], v[54:55], v[40:41] op_sel_hi:[1,0,1]
	v_pk_fma_f32 v[40:41], v[70:71], v[54:55], v[40:41] neg_lo:[0,0,1] neg_hi:[0,0,1]
	v_pk_mul_f32 v[46:47], v[100:101], v[46:47] op_sel_hi:[1,0]
	v_pk_add_f32 v[36:37], v[44:45], v[36:37]
	v_pk_fma_f32 v[44:45], v[72:73], v[56:57], v[42:43] op_sel_hi:[1,0,1]
	v_mov_b32_e32 v41, v51
	v_pk_fma_f32 v[42:43], v[72:73], v[56:57], v[42:43] neg_lo:[0,0,1] neg_hi:[0,0,1]
	s_wait_loadcnt 0x2
	v_pk_mul_f32 v[48:49], v[76:77], v[60:61] op_sel:[1,1] op_sel_hi:[0,1]
	v_pk_add_f32 v[36:37], v[36:37], v[38:39]
	v_dual_mov_b32 v38, v63 :: v_dual_mov_b32 v43, v45
	v_pk_fma_f32 v[44:45], v[74:75], v[58:59], v[46:47] op_sel_hi:[1,0,1]
	v_pk_fma_f32 v[46:47], v[74:75], v[58:59], v[46:47] neg_lo:[0,0,1] neg_hi:[0,0,1]
	s_delay_alu instid0(VALU_DEP_4)
	v_pk_add_f32 v[36:37], v[36:37], v[40:41]
	v_pk_fma_f32 v[40:41], v[76:77], v[60:61], v[48:49] op_sel_hi:[1,0,1]
	v_pk_mul_f32 v[38:39], v[102:103], v[38:39] op_sel_hi:[1,0]
	v_mov_b32_e32 v47, v45
	v_pk_fma_f32 v[44:45], v[76:77], v[60:61], v[48:49] neg_lo:[0,0,1] neg_hi:[0,0,1]
	v_pk_add_f32 v[36:37], v[36:37], v[42:43]
	s_wait_loadcnt_dscnt 0x100
	v_pk_mul_f32 v[42:43], v[94:95], v[0:1] op_sel:[1,1] op_sel_hi:[0,1]
	v_mov_b32_e32 v45, v41
	v_pk_fma_f32 v[40:41], v[78:79], v[62:63], v[38:39] op_sel_hi:[1,0,1]
	v_pk_fma_f32 v[38:39], v[78:79], v[62:63], v[38:39] neg_lo:[0,0,1] neg_hi:[0,0,1]
	v_pk_add_f32 v[36:37], v[36:37], v[46:47]
	v_pk_fma_f32 v[46:47], v[94:95], v[0:1], v[42:43] op_sel_hi:[1,0,1]
	v_pk_fma_f32 v[0:1], v[94:95], v[0:1], v[42:43] neg_lo:[0,0,1] neg_hi:[0,0,1]
	v_mov_b32_e32 v39, v41
	s_delay_alu instid0(VALU_DEP_4) | instskip(NEXT) | instid1(VALU_DEP_4)
	v_pk_add_f32 v[36:37], v[36:37], v[44:45]
	v_mov_b32_e32 v1, v47
	s_delay_alu instid0(VALU_DEP_2) | instskip(NEXT) | instid1(VALU_DEP_1)
	v_pk_add_f32 v[36:37], v[36:37], v[38:39]
	v_pk_add_f32 v[0:1], v[36:37], v[0:1]
	s_wait_loadcnt 0x0
	s_delay_alu instid0(VALU_DEP_1)
	v_pk_add_f32 v[0:1], v[92:93], v[0:1] neg_lo:[0,1] neg_hi:[0,1]
	scratch_store_b64 off, v[0:1], off
	s_cbranch_vccz .LBB79_140
; %bb.110:
	global_load_b32 v0, v34, s[8:9] offset:56
	s_wait_loadcnt 0x0
	v_cmp_ne_u32_e32 vcc_lo, 15, v0
	s_cbranch_vccz .LBB79_112
; %bb.111:
	v_lshlrev_b32_e32 v0, 3, v0
	s_delay_alu instid0(VALU_DEP_1)
	v_mov_b32_e32 v36, v0
	scratch_load_b64 v[0:1], v36, off offset:-8
	scratch_load_b64 v[34:35], off, off offset:112
	s_wait_loadcnt 0x1
	scratch_store_b64 off, v[0:1], off offset:112
	s_wait_loadcnt 0x0
	scratch_store_b64 v36, v[34:35], off offset:-8
.LBB79_112:
	s_wait_xcnt 0x1
	v_mov_b32_e32 v0, 0
	global_load_b32 v1, v0, s[8:9] offset:52
	s_wait_loadcnt 0x0
	v_cmp_eq_u32_e32 vcc_lo, 14, v1
	s_cbranch_vccnz .LBB79_114
; %bb.113:
	v_lshlrev_b32_e32 v1, 3, v1
	scratch_load_b64 v[34:35], v1, off offset:-8
	scratch_load_b64 v[36:37], off, off offset:104
	s_wait_loadcnt 0x1
	scratch_store_b64 off, v[34:35], off offset:104
	s_wait_loadcnt 0x0
	scratch_store_b64 v1, v[36:37], off offset:-8
.LBB79_114:
	global_load_b32 v0, v0, s[8:9] offset:48
	s_wait_loadcnt 0x0
	v_cmp_eq_u32_e32 vcc_lo, 13, v0
	s_cbranch_vccnz .LBB79_116
; %bb.115:
	s_wait_xcnt 0x0
	v_lshlrev_b32_e32 v0, 3, v0
	s_delay_alu instid0(VALU_DEP_1)
	v_mov_b32_e32 v36, v0
	scratch_load_b64 v[0:1], v36, off offset:-8
	scratch_load_b64 v[34:35], off, off offset:96
	s_wait_loadcnt 0x1
	scratch_store_b64 off, v[0:1], off offset:96
	s_wait_loadcnt 0x0
	scratch_store_b64 v36, v[34:35], off offset:-8
.LBB79_116:
	s_wait_xcnt 0x0
	v_mov_b32_e32 v0, 0
	global_load_b32 v1, v0, s[8:9] offset:44
	s_wait_loadcnt 0x0
	v_cmp_eq_u32_e32 vcc_lo, 12, v1
	s_cbranch_vccnz .LBB79_118
; %bb.117:
	v_lshlrev_b32_e32 v1, 3, v1
	scratch_load_b64 v[34:35], v1, off offset:-8
	scratch_load_b64 v[36:37], off, off offset:88
	s_wait_loadcnt 0x1
	scratch_store_b64 off, v[34:35], off offset:88
	s_wait_loadcnt 0x0
	scratch_store_b64 v1, v[36:37], off offset:-8
.LBB79_118:
	global_load_b32 v0, v0, s[8:9] offset:40
	s_wait_loadcnt 0x0
	v_cmp_eq_u32_e32 vcc_lo, 11, v0
	s_cbranch_vccnz .LBB79_120
; %bb.119:
	s_wait_xcnt 0x0
	v_lshlrev_b32_e32 v0, 3, v0
	s_delay_alu instid0(VALU_DEP_1)
	v_mov_b32_e32 v36, v0
	scratch_load_b64 v[0:1], v36, off offset:-8
	scratch_load_b64 v[34:35], off, off offset:80
	s_wait_loadcnt 0x1
	scratch_store_b64 off, v[0:1], off offset:80
	s_wait_loadcnt 0x0
	scratch_store_b64 v36, v[34:35], off offset:-8
.LBB79_120:
	;; [unrolled: 31-line block ×6, first 2 shown]
	s_wait_xcnt 0x0
	v_mov_b32_e32 v0, 0
	global_load_b32 v1, v0, s[8:9] offset:4
	s_wait_loadcnt 0x0
	v_cmp_eq_u32_e32 vcc_lo, 2, v1
	s_cbranch_vccnz .LBB79_138
; %bb.137:
	v_lshlrev_b32_e32 v1, 3, v1
	scratch_load_b64 v[34:35], v1, off offset:-8
	scratch_load_b64 v[36:37], off, off offset:8
	s_wait_loadcnt 0x1
	scratch_store_b64 off, v[34:35], off offset:8
	s_wait_loadcnt 0x0
	scratch_store_b64 v1, v[36:37], off offset:-8
.LBB79_138:
	global_load_b32 v34, v0, s[8:9]
	scratch_load_b64 v[0:1], off, off
	s_wait_loadcnt 0x1
	v_cmp_eq_u32_e32 vcc_lo, 1, v34
	s_cbranch_vccnz .LBB79_140
; %bb.139:
	v_lshlrev_b32_e32 v34, 3, v34
	s_delay_alu instid0(VALU_DEP_1)
	v_mov_b32_e32 v36, v34
	scratch_load_b64 v[34:35], v36, off offset:-8
	s_wait_loadcnt 0x0
	scratch_store_b64 off, v[34:35], off
	scratch_store_b64 v36, v[0:1], off offset:-8
	scratch_load_b64 v[0:1], off, off
.LBB79_140:
	s_wait_loadcnt 0x0
	flat_store_b64 v[2:3], v[0:1]
	scratch_load_b64 v[0:1], off, off offset:8
	v_lshl_add_u64 v[46:47], v[6:7], 3, s[2:3]
	v_lshl_add_u64 v[44:45], v[8:9], 3, s[2:3]
	;; [unrolled: 1-line block ×14, first 2 shown]
	s_wait_loadcnt 0x0
	flat_store_b64 v[4:5], v[0:1]
	scratch_load_b64 v[0:1], off, off offset:16
	s_wait_loadcnt 0x0
	flat_store_b64 v[46:47], v[0:1]
	scratch_load_b64 v[0:1], off, off offset:24
	;; [unrolled: 3-line block ×14, first 2 shown]
	s_wait_loadcnt 0x0
	flat_store_b64 v[6:7], v[0:1]
	s_sendmsg sendmsg(MSG_DEALLOC_VGPRS)
	s_endpgm
	.section	.rodata,"a",@progbits
	.p2align	6, 0x0
	.amdhsa_kernel _ZN9rocsolver6v33100L18getri_kernel_smallILi16E19rocblas_complex_numIfEPKPS3_EEvT1_iilPiilS8_bb
		.amdhsa_group_segment_fixed_size 260
		.amdhsa_private_segment_fixed_size 144
		.amdhsa_kernarg_size 60
		.amdhsa_user_sgpr_count 2
		.amdhsa_user_sgpr_dispatch_ptr 0
		.amdhsa_user_sgpr_queue_ptr 0
		.amdhsa_user_sgpr_kernarg_segment_ptr 1
		.amdhsa_user_sgpr_dispatch_id 0
		.amdhsa_user_sgpr_kernarg_preload_length 0
		.amdhsa_user_sgpr_kernarg_preload_offset 0
		.amdhsa_user_sgpr_private_segment_size 0
		.amdhsa_wavefront_size32 1
		.amdhsa_uses_dynamic_stack 0
		.amdhsa_enable_private_segment 1
		.amdhsa_system_sgpr_workgroup_id_x 1
		.amdhsa_system_sgpr_workgroup_id_y 0
		.amdhsa_system_sgpr_workgroup_id_z 0
		.amdhsa_system_sgpr_workgroup_info 0
		.amdhsa_system_vgpr_workitem_id 0
		.amdhsa_next_free_vgpr 110
		.amdhsa_next_free_sgpr 19
		.amdhsa_named_barrier_count 0
		.amdhsa_reserve_vcc 1
		.amdhsa_float_round_mode_32 0
		.amdhsa_float_round_mode_16_64 0
		.amdhsa_float_denorm_mode_32 3
		.amdhsa_float_denorm_mode_16_64 3
		.amdhsa_fp16_overflow 0
		.amdhsa_memory_ordered 1
		.amdhsa_forward_progress 1
		.amdhsa_inst_pref_size 128
		.amdhsa_round_robin_scheduling 0
		.amdhsa_exception_fp_ieee_invalid_op 0
		.amdhsa_exception_fp_denorm_src 0
		.amdhsa_exception_fp_ieee_div_zero 0
		.amdhsa_exception_fp_ieee_overflow 0
		.amdhsa_exception_fp_ieee_underflow 0
		.amdhsa_exception_fp_ieee_inexact 0
		.amdhsa_exception_int_div_zero 0
	.end_amdhsa_kernel
	.section	.text._ZN9rocsolver6v33100L18getri_kernel_smallILi16E19rocblas_complex_numIfEPKPS3_EEvT1_iilPiilS8_bb,"axG",@progbits,_ZN9rocsolver6v33100L18getri_kernel_smallILi16E19rocblas_complex_numIfEPKPS3_EEvT1_iilPiilS8_bb,comdat
.Lfunc_end79:
	.size	_ZN9rocsolver6v33100L18getri_kernel_smallILi16E19rocblas_complex_numIfEPKPS3_EEvT1_iilPiilS8_bb, .Lfunc_end79-_ZN9rocsolver6v33100L18getri_kernel_smallILi16E19rocblas_complex_numIfEPKPS3_EEvT1_iilPiilS8_bb
                                        ; -- End function
	.set _ZN9rocsolver6v33100L18getri_kernel_smallILi16E19rocblas_complex_numIfEPKPS3_EEvT1_iilPiilS8_bb.num_vgpr, 110
	.set _ZN9rocsolver6v33100L18getri_kernel_smallILi16E19rocblas_complex_numIfEPKPS3_EEvT1_iilPiilS8_bb.num_agpr, 0
	.set _ZN9rocsolver6v33100L18getri_kernel_smallILi16E19rocblas_complex_numIfEPKPS3_EEvT1_iilPiilS8_bb.numbered_sgpr, 19
	.set _ZN9rocsolver6v33100L18getri_kernel_smallILi16E19rocblas_complex_numIfEPKPS3_EEvT1_iilPiilS8_bb.num_named_barrier, 0
	.set _ZN9rocsolver6v33100L18getri_kernel_smallILi16E19rocblas_complex_numIfEPKPS3_EEvT1_iilPiilS8_bb.private_seg_size, 144
	.set _ZN9rocsolver6v33100L18getri_kernel_smallILi16E19rocblas_complex_numIfEPKPS3_EEvT1_iilPiilS8_bb.uses_vcc, 1
	.set _ZN9rocsolver6v33100L18getri_kernel_smallILi16E19rocblas_complex_numIfEPKPS3_EEvT1_iilPiilS8_bb.uses_flat_scratch, 1
	.set _ZN9rocsolver6v33100L18getri_kernel_smallILi16E19rocblas_complex_numIfEPKPS3_EEvT1_iilPiilS8_bb.has_dyn_sized_stack, 0
	.set _ZN9rocsolver6v33100L18getri_kernel_smallILi16E19rocblas_complex_numIfEPKPS3_EEvT1_iilPiilS8_bb.has_recursion, 0
	.set _ZN9rocsolver6v33100L18getri_kernel_smallILi16E19rocblas_complex_numIfEPKPS3_EEvT1_iilPiilS8_bb.has_indirect_call, 0
	.section	.AMDGPU.csdata,"",@progbits
; Kernel info:
; codeLenInByte = 16308
; TotalNumSgprs: 21
; NumVgprs: 110
; ScratchSize: 144
; MemoryBound: 0
; FloatMode: 240
; IeeeMode: 1
; LDSByteSize: 260 bytes/workgroup (compile time only)
; SGPRBlocks: 0
; VGPRBlocks: 6
; NumSGPRsForWavesPerEU: 21
; NumVGPRsForWavesPerEU: 110
; NamedBarCnt: 0
; Occupancy: 9
; WaveLimiterHint : 1
; COMPUTE_PGM_RSRC2:SCRATCH_EN: 1
; COMPUTE_PGM_RSRC2:USER_SGPR: 2
; COMPUTE_PGM_RSRC2:TRAP_HANDLER: 0
; COMPUTE_PGM_RSRC2:TGID_X_EN: 1
; COMPUTE_PGM_RSRC2:TGID_Y_EN: 0
; COMPUTE_PGM_RSRC2:TGID_Z_EN: 0
; COMPUTE_PGM_RSRC2:TIDIG_COMP_CNT: 0
	.section	.text._ZN9rocsolver6v33100L18getri_kernel_smallILi17E19rocblas_complex_numIfEPKPS3_EEvT1_iilPiilS8_bb,"axG",@progbits,_ZN9rocsolver6v33100L18getri_kernel_smallILi17E19rocblas_complex_numIfEPKPS3_EEvT1_iilPiilS8_bb,comdat
	.globl	_ZN9rocsolver6v33100L18getri_kernel_smallILi17E19rocblas_complex_numIfEPKPS3_EEvT1_iilPiilS8_bb ; -- Begin function _ZN9rocsolver6v33100L18getri_kernel_smallILi17E19rocblas_complex_numIfEPKPS3_EEvT1_iilPiilS8_bb
	.p2align	8
	.type	_ZN9rocsolver6v33100L18getri_kernel_smallILi17E19rocblas_complex_numIfEPKPS3_EEvT1_iilPiilS8_bb,@function
_ZN9rocsolver6v33100L18getri_kernel_smallILi17E19rocblas_complex_numIfEPKPS3_EEvT1_iilPiilS8_bb: ; @_ZN9rocsolver6v33100L18getri_kernel_smallILi17E19rocblas_complex_numIfEPKPS3_EEvT1_iilPiilS8_bb
; %bb.0:
	s_mov_b32 s2, exec_lo
	v_cmpx_gt_u32_e32 17, v0
	s_cbranch_execz .LBB80_82
; %bb.1:
	s_clause 0x1
	s_load_b32 s13, s[0:1], 0x38
	s_load_b64 s[2:3], s[0:1], 0x0
	s_getreg_b32 s6, hwreg(HW_REG_IB_STS2, 6, 4)
	s_wait_kmcnt 0x0
	s_bitcmp1_b32 s13, 8
	s_cselect_b32 s12, -1, 0
	s_bfe_u32 s4, ttmp6, 0x4000c
	s_and_b32 s5, ttmp6, 15
	s_add_co_i32 s4, s4, 1
	s_delay_alu instid0(SALU_CYCLE_1) | instskip(NEXT) | instid1(SALU_CYCLE_1)
	s_mul_i32 s4, ttmp9, s4
	s_add_co_i32 s5, s5, s4
	s_cmp_eq_u32 s6, 0
	s_cselect_b32 s10, ttmp9, s5
	s_load_b128 s[4:7], s[0:1], 0x28
	s_ashr_i32 s11, s10, 31
	s_delay_alu instid0(SALU_CYCLE_1) | instskip(NEXT) | instid1(SALU_CYCLE_1)
	s_lshl_b64 s[8:9], s[10:11], 3
	s_add_nc_u64 s[2:3], s[2:3], s[8:9]
	s_bfe_u32 s8, s13, 0x10008
	s_load_b64 s[2:3], s[2:3], 0x0
	s_cmp_eq_u32 s8, 0
                                        ; implicit-def: $sgpr8_sgpr9
	s_cbranch_scc1 .LBB80_3
; %bb.2:
	s_load_b96 s[16:18], s[0:1], 0x18
	s_wait_kmcnt 0x0
	s_mul_u64 s[4:5], s[4:5], s[10:11]
	s_delay_alu instid0(SALU_CYCLE_1) | instskip(SKIP_4) | instid1(SALU_CYCLE_1)
	s_lshl_b64 s[4:5], s[4:5], 2
	s_ashr_i32 s9, s18, 31
	s_mov_b32 s8, s18
	s_add_nc_u64 s[4:5], s[16:17], s[4:5]
	s_lshl_b64 s[8:9], s[8:9], 2
	s_add_nc_u64 s[8:9], s[4:5], s[8:9]
.LBB80_3:
	s_wait_kmcnt 0x0
	s_clause 0x1
	s_load_b64 s[4:5], s[0:1], 0x8
	s_load_b32 s13, s[0:1], 0x38
	v_dual_mov_b32 v37, 0 :: v_dual_lshlrev_b32 v36, 3, v0
	s_wait_kmcnt 0x0
	s_ashr_i32 s1, s4, 31
	s_mov_b32 s0, s4
	s_delay_alu instid0(SALU_CYCLE_1) | instskip(NEXT) | instid1(SALU_CYCLE_1)
	s_lshl_b64 s[0:1], s[0:1], 3
	s_add_nc_u64 s[2:3], s[2:3], s[0:1]
	s_ashr_i32 s1, s5, 31
	flat_load_b64 v[6:7], v0, s[2:3] scale_offset
	v_add_nc_u64_e32 v[2:3], s[2:3], v[36:37]
	s_mov_b32 s0, s5
	s_bitcmp0_b32 s13, 0
	s_delay_alu instid0(VALU_DEP_1)
	v_lshl_add_u64 v[4:5], s[0:1], 3, v[2:3]
	s_mov_b32 s1, -1
	s_wait_loadcnt_dscnt 0x0
	scratch_store_b64 off, v[6:7], off
	flat_load_b64 v[8:9], v[4:5]
	s_wait_xcnt 0x1
	v_add3_u32 v6, s5, s5, v0
	s_wait_loadcnt_dscnt 0x0
	scratch_store_b64 off, v[8:9], off offset:8
	flat_load_b64 v[10:11], v6, s[2:3] scale_offset
	s_wait_xcnt 0x1
	v_add_nc_u32_e32 v8, s5, v6
	s_wait_loadcnt_dscnt 0x0
	scratch_store_b64 off, v[10:11], off offset:16
	flat_load_b64 v[12:13], v8, s[2:3] scale_offset
	s_wait_xcnt 0x1
	v_add_nc_u32_e32 v10, s5, v8
	;; [unrolled: 5-line block ×14, first 2 shown]
	s_wait_loadcnt_dscnt 0x0
	scratch_store_b64 off, v[38:39], off offset:120
	flat_load_b64 v[38:39], v34, s[2:3] scale_offset
	s_wait_loadcnt_dscnt 0x0
	scratch_store_b64 off, v[38:39], off offset:128
	s_cbranch_scc1 .LBB80_80
; %bb.4:
	v_cmp_eq_u32_e64 s0, 0, v0
	s_wait_xcnt 0x0
	s_and_saveexec_b32 s1, s0
; %bb.5:
	v_mov_b32_e32 v1, 0
	ds_store_b32 v1, v1 offset:136
; %bb.6:
	s_or_b32 exec_lo, exec_lo, s1
	s_wait_storecnt_dscnt 0x0
	s_barrier_signal -1
	s_barrier_wait -1
	scratch_load_b64 v[38:39], v0, off scale_offset
	s_wait_loadcnt 0x0
	v_cmp_eq_f32_e32 vcc_lo, 0, v38
	v_cmp_eq_f32_e64 s1, 0, v39
	s_and_b32 s1, vcc_lo, s1
	s_delay_alu instid0(SALU_CYCLE_1)
	s_and_saveexec_b32 s4, s1
	s_cbranch_execz .LBB80_10
; %bb.7:
	v_mov_b32_e32 v1, 0
	s_mov_b32 s5, 0
	ds_load_b32 v7, v1 offset:136
	s_wait_dscnt 0x0
	v_readfirstlane_b32 s1, v7
	v_add_nc_u32_e32 v7, 1, v0
	s_cmp_eq_u32 s1, 0
	s_delay_alu instid0(VALU_DEP_1) | instskip(SKIP_1) | instid1(SALU_CYCLE_1)
	v_cmp_gt_i32_e32 vcc_lo, s1, v7
	s_cselect_b32 s13, -1, 0
	s_or_b32 s13, s13, vcc_lo
	s_delay_alu instid0(SALU_CYCLE_1)
	s_and_b32 exec_lo, exec_lo, s13
	s_cbranch_execz .LBB80_10
; %bb.8:
	v_mov_b32_e32 v9, s1
.LBB80_9:                               ; =>This Inner Loop Header: Depth=1
	ds_cmpstore_rtn_b32 v9, v1, v7, v9 offset:136
	s_wait_dscnt 0x0
	v_cmp_ne_u32_e32 vcc_lo, 0, v9
	v_cmp_le_i32_e64 s1, v9, v7
	s_and_b32 s1, vcc_lo, s1
	s_delay_alu instid0(SALU_CYCLE_1) | instskip(NEXT) | instid1(SALU_CYCLE_1)
	s_and_b32 s1, exec_lo, s1
	s_or_b32 s5, s1, s5
	s_delay_alu instid0(SALU_CYCLE_1)
	s_and_not1_b32 exec_lo, exec_lo, s5
	s_cbranch_execnz .LBB80_9
.LBB80_10:
	s_or_b32 exec_lo, exec_lo, s4
	v_mov_b32_e32 v1, 0
	s_barrier_signal -1
	s_barrier_wait -1
	ds_load_b32 v7, v1 offset:136
	s_and_saveexec_b32 s1, s0
	s_cbranch_execz .LBB80_12
; %bb.11:
	s_lshl_b64 s[4:5], s[10:11], 2
	s_delay_alu instid0(SALU_CYCLE_1)
	s_add_nc_u64 s[4:5], s[6:7], s[4:5]
	s_wait_dscnt 0x0
	global_store_b32 v1, v7, s[4:5]
.LBB80_12:
	s_wait_xcnt 0x0
	s_or_b32 exec_lo, exec_lo, s1
	s_wait_dscnt 0x0
	v_cmp_ne_u32_e32 vcc_lo, 0, v7
	s_mov_b32 s1, 0
	s_cbranch_vccnz .LBB80_80
; %bb.13:
	v_lshl_add_u32 v7, v0, 3, 0
                                        ; implicit-def: $vgpr41
                                        ; implicit-def: $vgpr42
	scratch_load_b64 v[38:39], v7, off
	s_wait_loadcnt 0x0
	v_cmp_ngt_f32_e64 s1, |v38|, |v39|
	s_wait_xcnt 0x0
	s_and_saveexec_b32 s4, s1
	s_delay_alu instid0(SALU_CYCLE_1)
	s_xor_b32 s1, exec_lo, s4
	s_cbranch_execz .LBB80_15
; %bb.14:
	v_div_scale_f32 v1, null, v39, v39, v38
	v_div_scale_f32 v13, vcc_lo, v38, v39, v38
	s_delay_alu instid0(VALU_DEP_2) | instskip(SKIP_1) | instid1(TRANS32_DEP_1)
	v_rcp_f32_e32 v9, v1
	v_nop
	v_fma_f32 v11, -v1, v9, 1.0
	s_delay_alu instid0(VALU_DEP_1) | instskip(NEXT) | instid1(VALU_DEP_1)
	v_fmac_f32_e32 v9, v11, v9
	v_mul_f32_e32 v11, v13, v9
	s_delay_alu instid0(VALU_DEP_1) | instskip(NEXT) | instid1(VALU_DEP_1)
	v_fma_f32 v15, -v1, v11, v13
	v_fmac_f32_e32 v11, v15, v9
	s_delay_alu instid0(VALU_DEP_1) | instskip(NEXT) | instid1(VALU_DEP_1)
	v_fma_f32 v1, -v1, v11, v13
	v_div_fmas_f32 v1, v1, v9, v11
	s_delay_alu instid0(VALU_DEP_1) | instskip(NEXT) | instid1(VALU_DEP_1)
	v_div_fixup_f32 v1, v1, v39, v38
	v_fmac_f32_e32 v39, v38, v1
	s_delay_alu instid0(VALU_DEP_1) | instskip(NEXT) | instid1(VALU_DEP_1)
	v_div_scale_f32 v9, null, v39, v39, -1.0
	v_rcp_f32_e32 v11, v9
	v_nop
	s_delay_alu instid0(TRANS32_DEP_1) | instskip(NEXT) | instid1(VALU_DEP_1)
	v_fma_f32 v13, -v9, v11, 1.0
	v_fmac_f32_e32 v11, v13, v11
	v_div_scale_f32 v13, vcc_lo, -1.0, v39, -1.0
	s_delay_alu instid0(VALU_DEP_1) | instskip(NEXT) | instid1(VALU_DEP_1)
	v_mul_f32_e32 v15, v13, v11
	v_fma_f32 v17, -v9, v15, v13
	s_delay_alu instid0(VALU_DEP_1) | instskip(NEXT) | instid1(VALU_DEP_1)
	v_fmac_f32_e32 v15, v17, v11
	v_fma_f32 v9, -v9, v15, v13
	s_delay_alu instid0(VALU_DEP_1) | instskip(NEXT) | instid1(VALU_DEP_1)
	v_div_fmas_f32 v9, v9, v11, v15
	v_div_fixup_f32 v41, v9, v39, -1.0
                                        ; implicit-def: $vgpr38_vgpr39
	s_delay_alu instid0(VALU_DEP_1) | instskip(NEXT) | instid1(VALU_DEP_1)
	v_mul_f32_e32 v42, v1, v41
	v_xor_b32_e32 v40, 0x80000000, v42
.LBB80_15:
	s_and_not1_saveexec_b32 s1, s1
	s_cbranch_execz .LBB80_17
; %bb.16:
	v_div_scale_f32 v1, null, v38, v38, v39
	v_div_scale_f32 v13, vcc_lo, v39, v38, v39
	s_delay_alu instid0(VALU_DEP_2) | instskip(SKIP_1) | instid1(TRANS32_DEP_1)
	v_rcp_f32_e32 v9, v1
	v_nop
	v_fma_f32 v11, -v1, v9, 1.0
	s_delay_alu instid0(VALU_DEP_1) | instskip(NEXT) | instid1(VALU_DEP_1)
	v_fmac_f32_e32 v9, v11, v9
	v_mul_f32_e32 v11, v13, v9
	s_delay_alu instid0(VALU_DEP_1) | instskip(NEXT) | instid1(VALU_DEP_1)
	v_fma_f32 v15, -v1, v11, v13
	v_fmac_f32_e32 v11, v15, v9
	s_delay_alu instid0(VALU_DEP_1) | instskip(NEXT) | instid1(VALU_DEP_1)
	v_fma_f32 v1, -v1, v11, v13
	v_div_fmas_f32 v1, v1, v9, v11
	s_delay_alu instid0(VALU_DEP_1) | instskip(NEXT) | instid1(VALU_DEP_1)
	v_div_fixup_f32 v1, v1, v38, v39
	v_fmac_f32_e32 v38, v39, v1
	s_delay_alu instid0(VALU_DEP_1) | instskip(SKIP_1) | instid1(VALU_DEP_2)
	v_div_scale_f32 v9, null, v38, v38, 1.0
	v_div_scale_f32 v15, vcc_lo, 1.0, v38, 1.0
	v_rcp_f32_e32 v11, v9
	v_nop
	s_delay_alu instid0(TRANS32_DEP_1) | instskip(NEXT) | instid1(VALU_DEP_1)
	v_fma_f32 v13, -v9, v11, 1.0
	v_fmac_f32_e32 v11, v13, v11
	s_delay_alu instid0(VALU_DEP_1) | instskip(NEXT) | instid1(VALU_DEP_1)
	v_mul_f32_e32 v13, v15, v11
	v_fma_f32 v17, -v9, v13, v15
	s_delay_alu instid0(VALU_DEP_1) | instskip(NEXT) | instid1(VALU_DEP_1)
	v_fmac_f32_e32 v13, v17, v11
	v_fma_f32 v9, -v9, v13, v15
	s_delay_alu instid0(VALU_DEP_1) | instskip(NEXT) | instid1(VALU_DEP_1)
	v_div_fmas_f32 v9, v9, v11, v13
	v_div_fixup_f32 v40, v9, v38, 1.0
	s_delay_alu instid0(VALU_DEP_1)
	v_xor_b32_e32 v42, 0x80000000, v40
	v_mul_f32_e64 v41, v1, -v40
.LBB80_17:
	s_or_b32 exec_lo, exec_lo, s1
	scratch_store_b64 v7, v[40:41], off
	scratch_load_b64 v[38:39], off, off offset:8
	v_xor_b32_e32 v43, 0x80000000, v41
	v_add_nc_u32_e32 v1, 0x90, v36
	s_wait_loadcnt 0x0
	ds_store_2addr_b64 v36, v[42:43], v[38:39] offset1:18
	s_wait_storecnt_dscnt 0x0
	s_barrier_signal -1
	s_barrier_wait -1
	s_wait_xcnt 0x0
	s_and_saveexec_b32 s1, s0
	s_cbranch_execz .LBB80_19
; %bb.18:
	scratch_load_b64 v[38:39], v7, off
	ds_load_b64 v[40:41], v1
	s_wait_loadcnt_dscnt 0x0
	v_pk_mul_f32 v[44:45], v[40:41], v[38:39] op_sel:[1,1] op_sel_hi:[0,1]
	s_delay_alu instid0(VALU_DEP_1) | instskip(SKIP_2) | instid1(VALU_DEP_3)
	v_pk_fma_f32 v[46:47], v[40:41], v[38:39], v[44:45] op_sel_hi:[1,0,1]
	v_mov_b32_e32 v9, 0
	v_pk_fma_f32 v[38:39], v[40:41], v[38:39], v[44:45] neg_lo:[0,0,1] neg_hi:[0,0,1]
	v_mov_b32_e32 v39, v47
	ds_load_b64 v[42:43], v9 offset:8
	v_pk_add_f32 v[38:39], v[38:39], 0 op_sel_hi:[1,0]
	s_wait_dscnt 0x0
	s_delay_alu instid0(VALU_DEP_1) | instskip(NEXT) | instid1(VALU_DEP_1)
	v_pk_mul_f32 v[40:41], v[38:39], v[42:43] op_sel:[1,1] op_sel_hi:[0,1]
	v_pk_fma_f32 v[44:45], v[38:39], v[42:43], v[40:41] op_sel_hi:[1,0,1]
	v_pk_fma_f32 v[38:39], v[38:39], v[42:43], v[40:41] neg_lo:[0,0,1] neg_hi:[0,0,1]
	s_delay_alu instid0(VALU_DEP_2)
	v_mov_b32_e32 v39, v45
	scratch_store_b64 off, v[38:39], off offset:8
.LBB80_19:
	s_wait_xcnt 0x0
	s_or_b32 exec_lo, exec_lo, s1
	s_wait_storecnt 0x0
	s_barrier_signal -1
	s_barrier_wait -1
	scratch_load_b64 v[38:39], off, off offset:16
	s_mov_b32 s1, exec_lo
	s_wait_loadcnt 0x0
	ds_store_b64 v1, v[38:39]
	s_wait_dscnt 0x0
	s_barrier_signal -1
	s_barrier_wait -1
	v_cmpx_gt_u32_e32 2, v0
	s_cbranch_execz .LBB80_23
; %bb.20:
	scratch_load_b64 v[38:39], v7, off
	ds_load_b64 v[40:41], v1
	s_wait_loadcnt_dscnt 0x0
	v_pk_mul_f32 v[42:43], v[40:41], v[38:39] op_sel:[1,1] op_sel_hi:[0,1]
	s_delay_alu instid0(VALU_DEP_1) | instskip(SKIP_1) | instid1(VALU_DEP_2)
	v_pk_fma_f32 v[44:45], v[40:41], v[38:39], v[42:43] op_sel_hi:[1,0,1]
	v_pk_fma_f32 v[38:39], v[40:41], v[38:39], v[42:43] neg_lo:[0,0,1] neg_hi:[0,0,1]
	v_mov_b32_e32 v39, v45
	s_delay_alu instid0(VALU_DEP_1)
	v_pk_add_f32 v[38:39], v[38:39], 0 op_sel_hi:[1,0]
	s_and_saveexec_b32 s4, s0
	s_cbranch_execz .LBB80_22
; %bb.21:
	scratch_load_b64 v[40:41], off, off offset:8
	v_mov_b32_e32 v7, 0
	ds_load_b64 v[42:43], v7 offset:152
	s_wait_loadcnt_dscnt 0x0
	v_pk_mul_f32 v[44:45], v[42:43], v[40:41] op_sel:[1,1] op_sel_hi:[0,1]
	s_delay_alu instid0(VALU_DEP_1) | instskip(SKIP_1) | instid1(VALU_DEP_2)
	v_pk_fma_f32 v[46:47], v[42:43], v[40:41], v[44:45] op_sel_hi:[1,0,1]
	v_pk_fma_f32 v[40:41], v[42:43], v[40:41], v[44:45] neg_lo:[0,0,1] neg_hi:[0,0,1]
	v_mov_b32_e32 v41, v47
	s_delay_alu instid0(VALU_DEP_1)
	v_pk_add_f32 v[38:39], v[38:39], v[40:41]
.LBB80_22:
	s_or_b32 exec_lo, exec_lo, s4
	v_mov_b32_e32 v7, 0
	ds_load_b64 v[40:41], v7 offset:16
	s_wait_dscnt 0x0
	v_pk_mul_f32 v[42:43], v[38:39], v[40:41] op_sel:[1,1] op_sel_hi:[0,1]
	s_delay_alu instid0(VALU_DEP_1) | instskip(SKIP_1) | instid1(VALU_DEP_2)
	v_pk_fma_f32 v[44:45], v[38:39], v[40:41], v[42:43] op_sel_hi:[1,0,1]
	v_pk_fma_f32 v[38:39], v[38:39], v[40:41], v[42:43] neg_lo:[0,0,1] neg_hi:[0,0,1]
	v_mov_b32_e32 v39, v45
	scratch_store_b64 off, v[38:39], off offset:16
.LBB80_23:
	s_wait_xcnt 0x0
	s_or_b32 exec_lo, exec_lo, s1
	s_wait_storecnt 0x0
	s_barrier_signal -1
	s_barrier_wait -1
	scratch_load_b64 v[38:39], off, off offset:24
	v_add_nc_u32_e32 v7, -1, v0
	s_mov_b32 s0, exec_lo
	s_wait_loadcnt 0x0
	ds_store_b64 v1, v[38:39]
	s_wait_dscnt 0x0
	s_barrier_signal -1
	s_barrier_wait -1
	v_cmpx_gt_u32_e32 3, v0
	s_cbranch_execz .LBB80_27
; %bb.24:
	v_dual_mov_b32 v38, 0 :: v_dual_add_nc_u32 v9, -1, v0
	v_add_nc_u32_e32 v11, 0x90, v36
	v_mov_b32_e32 v13, v36
	s_mov_b32 s1, 0
	s_delay_alu instid0(VALU_DEP_3)
	v_mov_b32_e32 v39, v38
.LBB80_25:                              ; =>This Inner Loop Header: Depth=1
	scratch_load_b64 v[40:41], v13, off
	ds_load_b64 v[42:43], v11
	s_wait_xcnt 0x0
	v_dual_add_nc_u32 v11, 8, v11 :: v_dual_add_nc_u32 v13, 8, v13
	s_wait_loadcnt_dscnt 0x0
	v_pk_mul_f32 v[44:45], v[42:43], v[40:41] op_sel:[1,1] op_sel_hi:[0,1]
	s_delay_alu instid0(VALU_DEP_1) | instskip(SKIP_2) | instid1(VALU_DEP_3)
	v_pk_fma_f32 v[46:47], v[42:43], v[40:41], v[44:45] op_sel_hi:[1,0,1]
	v_add_nc_u32_e32 v9, 1, v9
	v_pk_fma_f32 v[40:41], v[42:43], v[40:41], v[44:45] neg_lo:[0,0,1] neg_hi:[0,0,1]
	v_mov_b32_e32 v41, v47
	s_delay_alu instid0(VALU_DEP_3) | instskip(NEXT) | instid1(VALU_DEP_2)
	v_cmp_lt_u32_e32 vcc_lo, 1, v9
	v_pk_add_f32 v[38:39], v[38:39], v[40:41]
	s_or_b32 s1, vcc_lo, s1
	s_delay_alu instid0(SALU_CYCLE_1)
	s_and_not1_b32 exec_lo, exec_lo, s1
	s_cbranch_execnz .LBB80_25
; %bb.26:
	s_or_b32 exec_lo, exec_lo, s1
	v_mov_b32_e32 v9, 0
	ds_load_b64 v[40:41], v9 offset:24
	s_wait_dscnt 0x0
	v_pk_mul_f32 v[42:43], v[38:39], v[40:41] op_sel:[1,1] op_sel_hi:[0,1]
	s_delay_alu instid0(VALU_DEP_1) | instskip(SKIP_1) | instid1(VALU_DEP_2)
	v_pk_fma_f32 v[44:45], v[38:39], v[40:41], v[42:43] op_sel_hi:[1,0,1]
	v_pk_fma_f32 v[38:39], v[38:39], v[40:41], v[42:43] neg_lo:[0,0,1] neg_hi:[0,0,1]
	v_mov_b32_e32 v39, v45
	scratch_store_b64 off, v[38:39], off offset:24
.LBB80_27:
	s_wait_xcnt 0x0
	s_or_b32 exec_lo, exec_lo, s0
	s_wait_storecnt 0x0
	s_barrier_signal -1
	s_barrier_wait -1
	scratch_load_b64 v[38:39], off, off offset:32
	s_mov_b32 s0, exec_lo
	s_wait_loadcnt 0x0
	ds_store_b64 v1, v[38:39]
	s_wait_dscnt 0x0
	s_barrier_signal -1
	s_barrier_wait -1
	v_cmpx_gt_u32_e32 4, v0
	s_cbranch_execz .LBB80_31
; %bb.28:
	v_dual_mov_b32 v38, 0 :: v_dual_add_nc_u32 v9, -1, v0
	v_add_nc_u32_e32 v11, 0x90, v36
	v_mov_b32_e32 v13, v36
	s_mov_b32 s1, 0
	s_delay_alu instid0(VALU_DEP_3)
	v_mov_b32_e32 v39, v38
.LBB80_29:                              ; =>This Inner Loop Header: Depth=1
	scratch_load_b64 v[40:41], v13, off
	ds_load_b64 v[42:43], v11
	s_wait_xcnt 0x0
	v_dual_add_nc_u32 v11, 8, v11 :: v_dual_add_nc_u32 v13, 8, v13
	s_wait_loadcnt_dscnt 0x0
	v_pk_mul_f32 v[44:45], v[42:43], v[40:41] op_sel:[1,1] op_sel_hi:[0,1]
	s_delay_alu instid0(VALU_DEP_1) | instskip(SKIP_2) | instid1(VALU_DEP_3)
	v_pk_fma_f32 v[46:47], v[42:43], v[40:41], v[44:45] op_sel_hi:[1,0,1]
	v_add_nc_u32_e32 v9, 1, v9
	v_pk_fma_f32 v[40:41], v[42:43], v[40:41], v[44:45] neg_lo:[0,0,1] neg_hi:[0,0,1]
	v_mov_b32_e32 v41, v47
	s_delay_alu instid0(VALU_DEP_3) | instskip(NEXT) | instid1(VALU_DEP_2)
	v_cmp_lt_u32_e32 vcc_lo, 2, v9
	v_pk_add_f32 v[38:39], v[38:39], v[40:41]
	s_or_b32 s1, vcc_lo, s1
	s_delay_alu instid0(SALU_CYCLE_1)
	s_and_not1_b32 exec_lo, exec_lo, s1
	s_cbranch_execnz .LBB80_29
; %bb.30:
	s_or_b32 exec_lo, exec_lo, s1
	v_mov_b32_e32 v9, 0
	ds_load_b64 v[40:41], v9 offset:32
	s_wait_dscnt 0x0
	v_pk_mul_f32 v[42:43], v[38:39], v[40:41] op_sel:[1,1] op_sel_hi:[0,1]
	s_delay_alu instid0(VALU_DEP_1) | instskip(SKIP_1) | instid1(VALU_DEP_2)
	v_pk_fma_f32 v[44:45], v[38:39], v[40:41], v[42:43] op_sel_hi:[1,0,1]
	v_pk_fma_f32 v[38:39], v[38:39], v[40:41], v[42:43] neg_lo:[0,0,1] neg_hi:[0,0,1]
	v_mov_b32_e32 v39, v45
	scratch_store_b64 off, v[38:39], off offset:32
.LBB80_31:
	s_wait_xcnt 0x0
	s_or_b32 exec_lo, exec_lo, s0
	s_wait_storecnt 0x0
	s_barrier_signal -1
	s_barrier_wait -1
	scratch_load_b64 v[38:39], off, off offset:40
	;; [unrolled: 52-line block ×13, first 2 shown]
	s_mov_b32 s0, exec_lo
	s_wait_loadcnt 0x0
	ds_store_b64 v1, v[38:39]
	s_wait_dscnt 0x0
	s_barrier_signal -1
	s_barrier_wait -1
	v_cmpx_ne_u32_e32 16, v0
	s_cbranch_execz .LBB80_79
; %bb.76:
	v_dual_mov_b32 v38, 0 :: v_dual_mov_b32 v9, v36
	s_mov_b32 s1, 0
	s_delay_alu instid0(VALU_DEP_1)
	v_mov_b32_e32 v39, v38
.LBB80_77:                              ; =>This Inner Loop Header: Depth=1
	scratch_load_b64 v[36:37], v9, off
	ds_load_b64 v[40:41], v1
	v_add_nc_u32_e32 v1, 8, v1
	s_wait_xcnt 0x0
	v_add_nc_u32_e32 v9, 8, v9
	s_wait_loadcnt_dscnt 0x0
	v_pk_mul_f32 v[42:43], v[40:41], v[36:37] op_sel:[1,1] op_sel_hi:[0,1]
	s_delay_alu instid0(VALU_DEP_1) | instskip(SKIP_2) | instid1(VALU_DEP_3)
	v_pk_fma_f32 v[44:45], v[40:41], v[36:37], v[42:43] op_sel_hi:[1,0,1]
	v_add_nc_u32_e32 v7, 1, v7
	v_pk_fma_f32 v[36:37], v[40:41], v[36:37], v[42:43] neg_lo:[0,0,1] neg_hi:[0,0,1]
	v_mov_b32_e32 v37, v45
	s_delay_alu instid0(VALU_DEP_3) | instskip(NEXT) | instid1(VALU_DEP_2)
	v_cmp_lt_u32_e32 vcc_lo, 14, v7
	v_pk_add_f32 v[38:39], v[38:39], v[36:37]
	s_or_b32 s1, vcc_lo, s1
	s_delay_alu instid0(SALU_CYCLE_1)
	s_and_not1_b32 exec_lo, exec_lo, s1
	s_cbranch_execnz .LBB80_77
; %bb.78:
	s_or_b32 exec_lo, exec_lo, s1
	v_mov_b32_e32 v1, 0
	ds_load_b64 v[36:37], v1 offset:128
	s_wait_dscnt 0x0
	v_pk_mul_f32 v[40:41], v[38:39], v[36:37] op_sel:[1,1] op_sel_hi:[0,1]
	s_delay_alu instid0(VALU_DEP_1) | instskip(SKIP_1) | instid1(VALU_DEP_2)
	v_pk_fma_f32 v[42:43], v[38:39], v[36:37], v[40:41] op_sel_hi:[1,0,1]
	v_pk_fma_f32 v[36:37], v[38:39], v[36:37], v[40:41] neg_lo:[0,0,1] neg_hi:[0,0,1]
	v_mov_b32_e32 v37, v43
	scratch_store_b64 off, v[36:37], off offset:128
.LBB80_79:
	s_wait_xcnt 0x0
	s_or_b32 exec_lo, exec_lo, s0
	s_mov_b32 s1, -1
	s_wait_storecnt 0x0
	s_barrier_signal -1
	s_barrier_wait -1
.LBB80_80:
	s_and_b32 vcc_lo, exec_lo, s1
	s_cbranch_vccz .LBB80_82
; %bb.81:
	v_mov_b32_e32 v1, 0
	s_lshl_b64 s[0:1], s[10:11], 2
	s_delay_alu instid0(SALU_CYCLE_1)
	s_add_nc_u64 s[0:1], s[6:7], s[0:1]
	global_load_b32 v1, v1, s[0:1]
	s_wait_loadcnt 0x0
	v_cmp_ne_u32_e32 vcc_lo, 0, v1
	s_cbranch_vccz .LBB80_83
.LBB80_82:
	s_sendmsg sendmsg(MSG_DEALLOC_VGPRS)
	s_endpgm
.LBB80_83:
	s_wait_xcnt 0x0
	v_lshl_add_u32 v1, v0, 3, 0x90
	s_mov_b32 s0, exec_lo
	v_cmpx_eq_u32_e32 16, v0
	s_cbranch_execz .LBB80_85
; %bb.84:
	scratch_load_b64 v[36:37], off, off offset:120
	v_mov_b64_e32 v[38:39], 0
	scratch_store_b64 off, v[38:39], off offset:120
	s_wait_loadcnt 0x0
	ds_store_b64 v1, v[36:37]
.LBB80_85:
	s_wait_xcnt 0x0
	s_or_b32 exec_lo, exec_lo, s0
	s_wait_storecnt_dscnt 0x0
	s_barrier_signal -1
	s_barrier_wait -1
	s_clause 0x1
	scratch_load_b64 v[36:37], off, off offset:128
	scratch_load_b64 v[38:39], off, off offset:120
	v_mov_b32_e32 v7, 0
	s_mov_b32 s0, exec_lo
	ds_load_b64 v[40:41], v7 offset:272
	s_wait_loadcnt_dscnt 0x100
	v_pk_mul_f32 v[42:43], v[40:41], v[36:37] op_sel:[1,1] op_sel_hi:[0,1]
	s_delay_alu instid0(VALU_DEP_1) | instskip(SKIP_1) | instid1(VALU_DEP_2)
	v_pk_fma_f32 v[44:45], v[40:41], v[36:37], v[42:43] op_sel_hi:[1,0,1]
	v_pk_fma_f32 v[36:37], v[40:41], v[36:37], v[42:43] neg_lo:[0,0,1] neg_hi:[0,0,1]
	v_mov_b32_e32 v37, v45
	s_delay_alu instid0(VALU_DEP_1) | instskip(SKIP_1) | instid1(VALU_DEP_1)
	v_pk_add_f32 v[36:37], v[36:37], 0 op_sel_hi:[1,0]
	s_wait_loadcnt 0x0
	v_pk_add_f32 v[36:37], v[38:39], v[36:37] neg_lo:[0,1] neg_hi:[0,1]
	scratch_store_b64 off, v[36:37], off offset:120
	s_wait_xcnt 0x0
	v_cmpx_lt_u32_e32 14, v0
	s_cbranch_execz .LBB80_87
; %bb.86:
	scratch_load_b64 v[36:37], off, off offset:112
	v_mov_b64_e32 v[38:39], 0
	scratch_store_b64 off, v[38:39], off offset:112
	s_wait_loadcnt 0x0
	ds_store_b64 v1, v[36:37]
.LBB80_87:
	s_wait_xcnt 0x0
	s_or_b32 exec_lo, exec_lo, s0
	s_wait_storecnt_dscnt 0x0
	s_barrier_signal -1
	s_barrier_wait -1
	s_clause 0x1
	scratch_load_b128 v[36:39], off, off offset:120
	scratch_load_b64 v[44:45], off, off offset:112
	ds_load_2addr_b64 v[40:43], v7 offset0:33 offset1:34
	s_mov_b32 s0, exec_lo
	s_wait_dscnt 0x0
	v_dual_mov_b32 v46, v43 :: v_dual_mov_b32 v47, v42
	s_wait_loadcnt 0x1
	v_pk_mul_f32 v[48:49], v[40:41], v[36:37] op_sel:[1,1] op_sel_hi:[0,1]
	s_delay_alu instid0(VALU_DEP_1) | instskip(SKIP_2) | instid1(VALU_DEP_3)
	v_pk_fma_f32 v[52:53], v[40:41], v[36:37], v[48:49] op_sel_hi:[1,0,1]
	v_mov_b32_e32 v50, v39
	v_pk_fma_f32 v[36:37], v[40:41], v[36:37], v[48:49] neg_lo:[0,0,1] neg_hi:[0,0,1]
	v_mov_b32_e32 v37, v53
	s_delay_alu instid0(VALU_DEP_3) | instskip(NEXT) | instid1(VALU_DEP_2)
	v_pk_mul_f32 v[46:47], v[46:47], v[50:51] op_sel_hi:[1,0]
	v_pk_add_f32 v[36:37], v[36:37], 0 op_sel_hi:[1,0]
	s_delay_alu instid0(VALU_DEP_2) | instskip(SKIP_1) | instid1(VALU_DEP_2)
	v_pk_fma_f32 v[40:41], v[42:43], v[38:39], v[46:47] op_sel_hi:[1,0,1]
	v_pk_fma_f32 v[38:39], v[42:43], v[38:39], v[46:47] neg_lo:[0,0,1] neg_hi:[0,0,1]
	v_mov_b32_e32 v39, v41
	s_delay_alu instid0(VALU_DEP_1) | instskip(SKIP_1) | instid1(VALU_DEP_1)
	v_pk_add_f32 v[36:37], v[36:37], v[38:39]
	s_wait_loadcnt 0x0
	v_pk_add_f32 v[36:37], v[44:45], v[36:37] neg_lo:[0,1] neg_hi:[0,1]
	scratch_store_b64 off, v[36:37], off offset:112
	s_wait_xcnt 0x0
	v_cmpx_lt_u32_e32 13, v0
	s_cbranch_execz .LBB80_89
; %bb.88:
	scratch_load_b64 v[36:37], off, off offset:104
	v_mov_b64_e32 v[38:39], 0
	scratch_store_b64 off, v[38:39], off offset:104
	s_wait_loadcnt 0x0
	ds_store_b64 v1, v[36:37]
.LBB80_89:
	s_wait_xcnt 0x0
	s_or_b32 exec_lo, exec_lo, s0
	s_wait_storecnt_dscnt 0x0
	s_barrier_signal -1
	s_barrier_wait -1
	s_clause 0x2
	scratch_load_b128 v[36:39], off, off offset:112
	scratch_load_b64 v[44:45], off, off offset:128
	scratch_load_b64 v[46:47], off, off offset:104
	v_mov_b32_e32 v7, 0
	ds_load_b128 v[40:43], v7 offset:256
	ds_load_b64 v[48:49], v7 offset:272
	s_mov_b32 s0, exec_lo
	s_wait_dscnt 0x1
	v_dual_mov_b32 v50, v43 :: v_dual_mov_b32 v51, v42
	s_wait_loadcnt 0x2
	v_mov_b32_e32 v54, v39
	v_pk_mul_f32 v[52:53], v[40:41], v[36:37] op_sel:[1,1] op_sel_hi:[0,1]
	s_delay_alu instid0(VALU_DEP_2) | instskip(NEXT) | instid1(VALU_DEP_2)
	v_pk_mul_f32 v[50:51], v[50:51], v[54:55] op_sel_hi:[1,0]
	v_pk_fma_f32 v[56:57], v[40:41], v[36:37], v[52:53] op_sel_hi:[1,0,1]
	v_pk_fma_f32 v[36:37], v[40:41], v[36:37], v[52:53] neg_lo:[0,0,1] neg_hi:[0,0,1]
	s_wait_loadcnt_dscnt 0x100
	v_pk_mul_f32 v[52:53], v[48:49], v[44:45] op_sel:[1,1] op_sel_hi:[0,1]
	v_pk_fma_f32 v[40:41], v[42:43], v[38:39], v[50:51] op_sel_hi:[1,0,1]
	v_mov_b32_e32 v37, v57
	v_pk_fma_f32 v[38:39], v[42:43], v[38:39], v[50:51] neg_lo:[0,0,1] neg_hi:[0,0,1]
	s_delay_alu instid0(VALU_DEP_4) | instskip(NEXT) | instid1(VALU_DEP_4)
	v_pk_fma_f32 v[42:43], v[48:49], v[44:45], v[52:53] neg_lo:[0,0,1] neg_hi:[0,0,1]
	v_mov_b32_e32 v39, v41
	s_delay_alu instid0(VALU_DEP_4) | instskip(SKIP_1) | instid1(VALU_DEP_2)
	v_pk_add_f32 v[36:37], v[36:37], 0 op_sel_hi:[1,0]
	v_pk_fma_f32 v[40:41], v[48:49], v[44:45], v[52:53] op_sel_hi:[1,0,1]
	v_pk_add_f32 v[36:37], v[36:37], v[38:39]
	s_delay_alu instid0(VALU_DEP_2) | instskip(NEXT) | instid1(VALU_DEP_1)
	v_mov_b32_e32 v43, v41
	v_pk_add_f32 v[36:37], v[36:37], v[42:43]
	s_wait_loadcnt 0x0
	s_delay_alu instid0(VALU_DEP_1)
	v_pk_add_f32 v[36:37], v[46:47], v[36:37] neg_lo:[0,1] neg_hi:[0,1]
	scratch_store_b64 off, v[36:37], off offset:104
	s_wait_xcnt 0x0
	v_cmpx_lt_u32_e32 12, v0
	s_cbranch_execz .LBB80_91
; %bb.90:
	scratch_load_b64 v[36:37], off, off offset:96
	v_mov_b64_e32 v[38:39], 0
	scratch_store_b64 off, v[38:39], off offset:96
	s_wait_loadcnt 0x0
	ds_store_b64 v1, v[36:37]
.LBB80_91:
	s_wait_xcnt 0x0
	s_or_b32 exec_lo, exec_lo, s0
	s_wait_storecnt_dscnt 0x0
	s_barrier_signal -1
	s_barrier_wait -1
	s_clause 0x2
	scratch_load_b128 v[36:39], off, off offset:104
	scratch_load_b128 v[40:43], off, off offset:120
	scratch_load_b64 v[52:53], off, off offset:96
	ds_load_2addr_b64 v[44:47], v7 offset0:31 offset1:32
	ds_load_2addr_b64 v[48:51], v7 offset0:33 offset1:34
	s_mov_b32 s0, exec_lo
	s_wait_dscnt 0x1
	v_dual_mov_b32 v54, v47 :: v_dual_mov_b32 v55, v46
	s_wait_loadcnt_dscnt 0x200
	v_dual_mov_b32 v60, v51 :: v_dual_mov_b32 v58, v39
	v_pk_mul_f32 v[56:57], v[44:45], v[36:37] op_sel:[1,1] op_sel_hi:[0,1]
	s_delay_alu instid0(VALU_DEP_2) | instskip(NEXT) | instid1(VALU_DEP_2)
	v_pk_mul_f32 v[54:55], v[54:55], v[58:59] op_sel_hi:[1,0]
	v_pk_fma_f32 v[62:63], v[44:45], v[36:37], v[56:57] op_sel_hi:[1,0,1]
	v_pk_fma_f32 v[36:37], v[44:45], v[36:37], v[56:57] neg_lo:[0,0,1] neg_hi:[0,0,1]
	v_mov_b32_e32 v61, v50
	s_wait_loadcnt 0x1
	v_pk_mul_f32 v[58:59], v[48:49], v[40:41] op_sel:[1,1] op_sel_hi:[0,1]
	v_pk_fma_f32 v[44:45], v[46:47], v[38:39], v[54:55] op_sel_hi:[1,0,1]
	v_dual_mov_b32 v37, v63 :: v_dual_mov_b32 v44, v43
	v_pk_fma_f32 v[38:39], v[46:47], v[38:39], v[54:55] neg_lo:[0,0,1] neg_hi:[0,0,1]
	s_delay_alu instid0(VALU_DEP_4) | instskip(NEXT) | instid1(VALU_DEP_4)
	v_pk_fma_f32 v[56:57], v[48:49], v[40:41], v[58:59] op_sel_hi:[1,0,1]
	v_mov_b32_e32 v39, v45
	s_delay_alu instid0(VALU_DEP_4) | instskip(SKIP_2) | instid1(VALU_DEP_3)
	v_pk_add_f32 v[36:37], v[36:37], 0 op_sel_hi:[1,0]
	v_pk_mul_f32 v[44:45], v[60:61], v[44:45] op_sel_hi:[1,0]
	v_pk_fma_f32 v[40:41], v[48:49], v[40:41], v[58:59] neg_lo:[0,0,1] neg_hi:[0,0,1]
	v_pk_add_f32 v[36:37], v[36:37], v[38:39]
	s_delay_alu instid0(VALU_DEP_3) | instskip(SKIP_2) | instid1(VALU_DEP_3)
	v_pk_fma_f32 v[38:39], v[50:51], v[42:43], v[44:45] op_sel_hi:[1,0,1]
	v_mov_b32_e32 v41, v57
	v_pk_fma_f32 v[42:43], v[50:51], v[42:43], v[44:45] neg_lo:[0,0,1] neg_hi:[0,0,1]
	v_mov_b32_e32 v43, v39
	s_delay_alu instid0(VALU_DEP_3) | instskip(NEXT) | instid1(VALU_DEP_1)
	v_pk_add_f32 v[36:37], v[36:37], v[40:41]
	v_pk_add_f32 v[36:37], v[36:37], v[42:43]
	s_wait_loadcnt 0x0
	s_delay_alu instid0(VALU_DEP_1)
	v_pk_add_f32 v[36:37], v[52:53], v[36:37] neg_lo:[0,1] neg_hi:[0,1]
	scratch_store_b64 off, v[36:37], off offset:96
	s_wait_xcnt 0x0
	v_cmpx_lt_u32_e32 11, v0
	s_cbranch_execz .LBB80_93
; %bb.92:
	scratch_load_b64 v[36:37], off, off offset:88
	v_mov_b64_e32 v[38:39], 0
	scratch_store_b64 off, v[38:39], off offset:88
	s_wait_loadcnt 0x0
	ds_store_b64 v1, v[36:37]
.LBB80_93:
	s_wait_xcnt 0x0
	s_or_b32 exec_lo, exec_lo, s0
	s_wait_storecnt_dscnt 0x0
	s_barrier_signal -1
	s_barrier_wait -1
	s_clause 0x3
	scratch_load_b128 v[36:39], off, off offset:96
	scratch_load_b128 v[40:43], off, off offset:112
	scratch_load_b64 v[52:53], off, off offset:128
	scratch_load_b64 v[54:55], off, off offset:88
	v_mov_b32_e32 v7, 0
	ds_load_b128 v[44:47], v7 offset:240
	ds_load_b128 v[48:51], v7 offset:256
	s_mov_b32 s0, exec_lo
	s_wait_dscnt 0x1
	v_dual_mov_b32 v56, v47 :: v_dual_mov_b32 v57, v46
	ds_load_b64 v[62:63], v7 offset:272
	s_wait_dscnt 0x1
	v_dual_mov_b32 v64, v51 :: v_dual_mov_b32 v65, v50
	s_wait_loadcnt 0x3
	v_pk_mul_f32 v[58:59], v[44:45], v[36:37] op_sel:[1,1] op_sel_hi:[0,1]
	v_mov_b32_e32 v60, v39
	s_delay_alu instid0(VALU_DEP_2) | instskip(NEXT) | instid1(VALU_DEP_2)
	v_pk_fma_f32 v[66:67], v[44:45], v[36:37], v[58:59] op_sel_hi:[1,0,1]
	v_pk_mul_f32 v[56:57], v[56:57], v[60:61] op_sel_hi:[1,0]
	v_pk_fma_f32 v[36:37], v[44:45], v[36:37], v[58:59] neg_lo:[0,0,1] neg_hi:[0,0,1]
	s_wait_loadcnt 0x2
	v_pk_mul_f32 v[60:61], v[48:49], v[40:41] op_sel:[1,1] op_sel_hi:[0,1]
	v_dual_mov_b32 v66, v43 :: v_dual_mov_b32 v37, v67
	v_pk_fma_f32 v[44:45], v[46:47], v[38:39], v[56:57] op_sel_hi:[1,0,1]
	v_pk_fma_f32 v[38:39], v[46:47], v[38:39], v[56:57] neg_lo:[0,0,1] neg_hi:[0,0,1]
	s_delay_alu instid0(VALU_DEP_4) | instskip(NEXT) | instid1(VALU_DEP_4)
	v_pk_fma_f32 v[58:59], v[48:49], v[40:41], v[60:61] op_sel_hi:[1,0,1]
	v_pk_mul_f32 v[64:65], v[64:65], v[66:67] op_sel_hi:[1,0]
	v_pk_add_f32 v[36:37], v[36:37], 0 op_sel_hi:[1,0]
	v_mov_b32_e32 v39, v45
	v_pk_fma_f32 v[40:41], v[48:49], v[40:41], v[60:61] neg_lo:[0,0,1] neg_hi:[0,0,1]
	v_mov_b32_e32 v41, v59
	v_pk_fma_f32 v[44:45], v[50:51], v[42:43], v[64:65] op_sel_hi:[1,0,1]
	v_pk_fma_f32 v[42:43], v[50:51], v[42:43], v[64:65] neg_lo:[0,0,1] neg_hi:[0,0,1]
	v_pk_add_f32 v[36:37], v[36:37], v[38:39]
	s_wait_loadcnt_dscnt 0x100
	v_pk_mul_f32 v[38:39], v[62:63], v[52:53] op_sel:[1,1] op_sel_hi:[0,1]
	s_delay_alu instid0(VALU_DEP_2) | instskip(NEXT) | instid1(VALU_DEP_2)
	v_pk_add_f32 v[36:37], v[36:37], v[40:41]
	v_pk_fma_f32 v[40:41], v[62:63], v[52:53], v[38:39] op_sel_hi:[1,0,1]
	v_mov_b32_e32 v43, v45
	v_pk_fma_f32 v[38:39], v[62:63], v[52:53], v[38:39] neg_lo:[0,0,1] neg_hi:[0,0,1]
	s_delay_alu instid0(VALU_DEP_3) | instskip(NEXT) | instid1(VALU_DEP_3)
	v_mov_b32_e32 v39, v41
	v_pk_add_f32 v[36:37], v[36:37], v[42:43]
	s_delay_alu instid0(VALU_DEP_1) | instskip(SKIP_1) | instid1(VALU_DEP_1)
	v_pk_add_f32 v[36:37], v[36:37], v[38:39]
	s_wait_loadcnt 0x0
	v_pk_add_f32 v[36:37], v[54:55], v[36:37] neg_lo:[0,1] neg_hi:[0,1]
	scratch_store_b64 off, v[36:37], off offset:88
	s_wait_xcnt 0x0
	v_cmpx_lt_u32_e32 10, v0
	s_cbranch_execz .LBB80_95
; %bb.94:
	scratch_load_b64 v[36:37], off, off offset:80
	v_mov_b64_e32 v[38:39], 0
	scratch_store_b64 off, v[38:39], off offset:80
	s_wait_loadcnt 0x0
	ds_store_b64 v1, v[36:37]
.LBB80_95:
	s_wait_xcnt 0x0
	s_or_b32 exec_lo, exec_lo, s0
	s_wait_storecnt_dscnt 0x0
	s_barrier_signal -1
	s_barrier_wait -1
	s_clause 0x3
	scratch_load_b128 v[36:39], off, off offset:88
	scratch_load_b128 v[40:43], off, off offset:104
	;; [unrolled: 1-line block ×3, first 2 shown]
	scratch_load_b64 v[60:61], off, off offset:80
	ds_load_2addr_b64 v[48:51], v7 offset0:29 offset1:30
	ds_load_2addr_b64 v[52:55], v7 offset0:31 offset1:32
	;; [unrolled: 1-line block ×3, first 2 shown]
	s_mov_b32 s0, exec_lo
	s_wait_dscnt 0x2
	v_dual_mov_b32 v62, v51 :: v_dual_mov_b32 v63, v50
	s_wait_dscnt 0x1
	v_dual_mov_b32 v64, v55 :: v_dual_mov_b32 v65, v54
	;; [unrolled: 2-line block ×3, first 2 shown]
	s_wait_loadcnt 0x3
	v_pk_mul_f32 v[66:67], v[48:49], v[36:37] op_sel:[1,1] op_sel_hi:[0,1]
	v_mov_b32_e32 v68, v39
	s_delay_alu instid0(VALU_DEP_2) | instskip(NEXT) | instid1(VALU_DEP_2)
	v_pk_fma_f32 v[72:73], v[48:49], v[36:37], v[66:67] op_sel_hi:[1,0,1]
	v_pk_mul_f32 v[62:63], v[62:63], v[68:69] op_sel_hi:[1,0]
	v_pk_fma_f32 v[36:37], v[48:49], v[36:37], v[66:67] neg_lo:[0,0,1] neg_hi:[0,0,1]
	s_wait_loadcnt 0x2
	v_pk_mul_f32 v[68:69], v[52:53], v[40:41] op_sel:[1,1] op_sel_hi:[0,1]
	v_mov_b32_e32 v72, v43
	v_pk_fma_f32 v[48:49], v[50:51], v[38:39], v[62:63] op_sel_hi:[1,0,1]
	v_mov_b32_e32 v37, v73
	v_pk_fma_f32 v[38:39], v[50:51], v[38:39], v[62:63] neg_lo:[0,0,1] neg_hi:[0,0,1]
	v_pk_fma_f32 v[66:67], v[52:53], v[40:41], v[68:69] op_sel_hi:[1,0,1]
	v_pk_mul_f32 v[64:65], v[64:65], v[72:73] op_sel_hi:[1,0]
	v_mov_b32_e32 v39, v49
	v_pk_add_f32 v[36:37], v[36:37], 0 op_sel_hi:[1,0]
	v_pk_fma_f32 v[40:41], v[52:53], v[40:41], v[68:69] neg_lo:[0,0,1] neg_hi:[0,0,1]
	s_wait_loadcnt 0x1
	v_pk_mul_f32 v[48:49], v[56:57], v[44:45] op_sel:[1,1] op_sel_hi:[0,1]
	v_mov_b32_e32 v41, v67
	v_pk_fma_f32 v[50:51], v[54:55], v[42:43], v[64:65] op_sel_hi:[1,0,1]
	v_pk_add_f32 v[36:37], v[36:37], v[38:39]
	v_mov_b32_e32 v38, v47
	v_pk_fma_f32 v[42:43], v[54:55], v[42:43], v[64:65] neg_lo:[0,0,1] neg_hi:[0,0,1]
	v_pk_fma_f32 v[52:53], v[56:57], v[44:45], v[48:49] op_sel_hi:[1,0,1]
	v_mov_b32_e32 v43, v51
	v_pk_add_f32 v[36:37], v[36:37], v[40:41]
	v_pk_mul_f32 v[38:39], v[70:71], v[38:39] op_sel_hi:[1,0]
	v_pk_fma_f32 v[40:41], v[56:57], v[44:45], v[48:49] neg_lo:[0,0,1] neg_hi:[0,0,1]
	v_mov_b32_e32 v41, v53
	s_delay_alu instid0(VALU_DEP_4) | instskip(NEXT) | instid1(VALU_DEP_4)
	v_pk_add_f32 v[36:37], v[36:37], v[42:43]
	v_pk_fma_f32 v[42:43], v[58:59], v[46:47], v[38:39] op_sel_hi:[1,0,1]
	v_pk_fma_f32 v[38:39], v[58:59], v[46:47], v[38:39] neg_lo:[0,0,1] neg_hi:[0,0,1]
	s_delay_alu instid0(VALU_DEP_3) | instskip(NEXT) | instid1(VALU_DEP_3)
	v_pk_add_f32 v[36:37], v[36:37], v[40:41]
	v_mov_b32_e32 v39, v43
	s_delay_alu instid0(VALU_DEP_1) | instskip(SKIP_1) | instid1(VALU_DEP_1)
	v_pk_add_f32 v[36:37], v[36:37], v[38:39]
	s_wait_loadcnt 0x0
	v_pk_add_f32 v[36:37], v[60:61], v[36:37] neg_lo:[0,1] neg_hi:[0,1]
	scratch_store_b64 off, v[36:37], off offset:80
	s_wait_xcnt 0x0
	v_cmpx_lt_u32_e32 9, v0
	s_cbranch_execz .LBB80_97
; %bb.96:
	scratch_load_b64 v[36:37], off, off offset:72
	v_mov_b64_e32 v[38:39], 0
	scratch_store_b64 off, v[38:39], off offset:72
	s_wait_loadcnt 0x0
	ds_store_b64 v1, v[36:37]
.LBB80_97:
	s_wait_xcnt 0x0
	s_or_b32 exec_lo, exec_lo, s0
	s_wait_storecnt_dscnt 0x0
	s_barrier_signal -1
	s_barrier_wait -1
	s_clause 0x4
	scratch_load_b128 v[36:39], off, off offset:80
	scratch_load_b128 v[40:43], off, off offset:96
	;; [unrolled: 1-line block ×3, first 2 shown]
	scratch_load_b64 v[60:61], off, off offset:128
	scratch_load_b64 v[62:63], off, off offset:72
	v_mov_b32_e32 v7, 0
	ds_load_b128 v[48:51], v7 offset:224
	ds_load_b128 v[52:55], v7 offset:240
	ds_load_b128 v[56:59], v7 offset:256
	ds_load_b64 v[64:65], v7 offset:272
	s_mov_b32 s0, exec_lo
	s_wait_dscnt 0x3
	v_dual_mov_b32 v66, v51 :: v_dual_mov_b32 v67, v50
	s_wait_dscnt 0x2
	v_dual_mov_b32 v68, v55 :: v_dual_mov_b32 v69, v54
	;; [unrolled: 2-line block ×3, first 2 shown]
	s_wait_loadcnt 0x4
	v_pk_mul_f32 v[70:71], v[48:49], v[36:37] op_sel:[1,1] op_sel_hi:[0,1]
	v_mov_b32_e32 v72, v39
	s_wait_loadcnt 0x3
	v_pk_mul_f32 v[76:77], v[52:53], v[40:41] op_sel:[1,1] op_sel_hi:[0,1]
	s_wait_loadcnt 0x2
	v_pk_mul_f32 v[80:81], v[56:57], v[44:45] op_sel:[1,1] op_sel_hi:[0,1]
	v_pk_fma_f32 v[78:79], v[48:49], v[36:37], v[70:71] op_sel_hi:[1,0,1]
	v_pk_mul_f32 v[66:67], v[66:67], v[72:73] op_sel_hi:[1,0]
	v_pk_fma_f32 v[36:37], v[48:49], v[36:37], v[70:71] neg_lo:[0,0,1] neg_hi:[0,0,1]
	v_mov_b32_e32 v72, v43
	v_pk_fma_f32 v[70:71], v[52:53], v[40:41], v[76:77] op_sel_hi:[1,0,1]
	v_mov_b32_e32 v37, v79
	v_pk_fma_f32 v[48:49], v[50:51], v[38:39], v[66:67] op_sel_hi:[1,0,1]
	v_pk_fma_f32 v[38:39], v[50:51], v[38:39], v[66:67] neg_lo:[0,0,1] neg_hi:[0,0,1]
	v_pk_mul_f32 v[68:69], v[68:69], v[72:73] op_sel_hi:[1,0]
	v_pk_fma_f32 v[40:41], v[52:53], v[40:41], v[76:77] neg_lo:[0,0,1] neg_hi:[0,0,1]
	v_pk_add_f32 v[36:37], v[36:37], 0 op_sel_hi:[1,0]
	v_dual_mov_b32 v39, v49 :: v_dual_mov_b32 v48, v47
	s_delay_alu instid0(VALU_DEP_4) | instskip(SKIP_2) | instid1(VALU_DEP_4)
	v_pk_fma_f32 v[50:51], v[54:55], v[42:43], v[68:69] op_sel_hi:[1,0,1]
	v_mov_b32_e32 v41, v71
	v_pk_fma_f32 v[42:43], v[54:55], v[42:43], v[68:69] neg_lo:[0,0,1] neg_hi:[0,0,1]
	v_pk_add_f32 v[36:37], v[36:37], v[38:39]
	v_pk_fma_f32 v[38:39], v[56:57], v[44:45], v[80:81] op_sel_hi:[1,0,1]
	v_pk_mul_f32 v[48:49], v[74:75], v[48:49] op_sel_hi:[1,0]
	v_mov_b32_e32 v43, v51
	s_delay_alu instid0(VALU_DEP_4)
	v_pk_add_f32 v[36:37], v[36:37], v[40:41]
	v_pk_fma_f32 v[40:41], v[56:57], v[44:45], v[80:81] neg_lo:[0,0,1] neg_hi:[0,0,1]
	v_mov_b32_e32 v41, v39
	v_pk_fma_f32 v[38:39], v[58:59], v[46:47], v[48:49] op_sel_hi:[1,0,1]
	v_pk_fma_f32 v[44:45], v[58:59], v[46:47], v[48:49] neg_lo:[0,0,1] neg_hi:[0,0,1]
	v_pk_add_f32 v[36:37], v[36:37], v[42:43]
	s_wait_loadcnt_dscnt 0x100
	v_pk_mul_f32 v[42:43], v[64:65], v[60:61] op_sel:[1,1] op_sel_hi:[0,1]
	v_mov_b32_e32 v45, v39
	s_delay_alu instid0(VALU_DEP_3) | instskip(NEXT) | instid1(VALU_DEP_3)
	v_pk_add_f32 v[36:37], v[36:37], v[40:41]
	v_pk_fma_f32 v[38:39], v[64:65], v[60:61], v[42:43] op_sel_hi:[1,0,1]
	v_pk_fma_f32 v[40:41], v[64:65], v[60:61], v[42:43] neg_lo:[0,0,1] neg_hi:[0,0,1]
	s_delay_alu instid0(VALU_DEP_3) | instskip(NEXT) | instid1(VALU_DEP_3)
	v_pk_add_f32 v[36:37], v[36:37], v[44:45]
	v_mov_b32_e32 v41, v39
	s_delay_alu instid0(VALU_DEP_1) | instskip(SKIP_1) | instid1(VALU_DEP_1)
	v_pk_add_f32 v[36:37], v[36:37], v[40:41]
	s_wait_loadcnt 0x0
	v_pk_add_f32 v[36:37], v[62:63], v[36:37] neg_lo:[0,1] neg_hi:[0,1]
	scratch_store_b64 off, v[36:37], off offset:72
	s_wait_xcnt 0x0
	v_cmpx_lt_u32_e32 8, v0
	s_cbranch_execz .LBB80_99
; %bb.98:
	scratch_load_b64 v[36:37], off, off offset:64
	v_mov_b64_e32 v[38:39], 0
	scratch_store_b64 off, v[38:39], off offset:64
	s_wait_loadcnt 0x0
	ds_store_b64 v1, v[36:37]
.LBB80_99:
	s_wait_xcnt 0x0
	s_or_b32 exec_lo, exec_lo, s0
	s_wait_storecnt_dscnt 0x0
	s_barrier_signal -1
	s_barrier_wait -1
	s_clause 0x4
	scratch_load_b128 v[36:39], off, off offset:72
	scratch_load_b128 v[40:43], off, off offset:88
	;; [unrolled: 1-line block ×4, first 2 shown]
	scratch_load_b64 v[68:69], off, off offset:64
	ds_load_2addr_b64 v[52:55], v7 offset0:27 offset1:28
	ds_load_2addr_b64 v[56:59], v7 offset0:29 offset1:30
	;; [unrolled: 1-line block ×4, first 2 shown]
	s_mov_b32 s0, exec_lo
	s_wait_dscnt 0x3
	v_dual_mov_b32 v70, v55 :: v_dual_mov_b32 v71, v54
	s_wait_dscnt 0x2
	v_dual_mov_b32 v72, v59 :: v_dual_mov_b32 v73, v58
	;; [unrolled: 2-line block ×3, first 2 shown]
	v_dual_mov_b32 v75, v62 :: v_dual_mov_b32 v80, v67
	s_wait_loadcnt 0x4
	v_mov_b32_e32 v78, v39
	v_pk_mul_f32 v[76:77], v[52:53], v[36:37] op_sel:[1,1] op_sel_hi:[0,1]
	s_wait_loadcnt 0x3
	v_pk_mul_f32 v[82:83], v[56:57], v[40:41] op_sel:[1,1] op_sel_hi:[0,1]
	s_wait_loadcnt 0x2
	v_pk_mul_f32 v[86:87], v[60:61], v[44:45] op_sel:[1,1] op_sel_hi:[0,1]
	v_pk_mul_f32 v[70:71], v[70:71], v[78:79] op_sel_hi:[1,0]
	v_pk_fma_f32 v[84:85], v[52:53], v[36:37], v[76:77] op_sel_hi:[1,0,1]
	v_pk_fma_f32 v[36:37], v[52:53], v[36:37], v[76:77] neg_lo:[0,0,1] neg_hi:[0,0,1]
	v_mov_b32_e32 v78, v43
	v_pk_fma_f32 v[76:77], v[56:57], v[40:41], v[82:83] op_sel_hi:[1,0,1]
	v_pk_fma_f32 v[52:53], v[54:55], v[38:39], v[70:71] op_sel_hi:[1,0,1]
	v_mov_b32_e32 v37, v85
	v_pk_fma_f32 v[38:39], v[54:55], v[38:39], v[70:71] neg_lo:[0,0,1] neg_hi:[0,0,1]
	v_pk_mul_f32 v[72:73], v[72:73], v[78:79] op_sel_hi:[1,0]
	s_delay_alu instid0(VALU_DEP_4) | instskip(NEXT) | instid1(VALU_DEP_4)
	v_dual_mov_b32 v52, v47 :: v_dual_mov_b32 v39, v53
	v_pk_add_f32 v[36:37], v[36:37], 0 op_sel_hi:[1,0]
	v_pk_fma_f32 v[40:41], v[56:57], v[40:41], v[82:83] neg_lo:[0,0,1] neg_hi:[0,0,1]
	v_mov_b32_e32 v41, v77
	v_pk_fma_f32 v[54:55], v[58:59], v[42:43], v[72:73] op_sel_hi:[1,0,1]
	v_pk_mul_f32 v[52:53], v[74:75], v[52:53] op_sel_hi:[1,0]
	v_pk_add_f32 v[36:37], v[36:37], v[38:39]
	v_pk_fma_f32 v[38:39], v[60:61], v[44:45], v[86:87] op_sel_hi:[1,0,1]
	v_pk_fma_f32 v[42:43], v[58:59], v[42:43], v[72:73] neg_lo:[0,0,1] neg_hi:[0,0,1]
	v_mov_b32_e32 v43, v55
	v_pk_fma_f32 v[44:45], v[60:61], v[44:45], v[86:87] neg_lo:[0,0,1] neg_hi:[0,0,1]
	v_pk_add_f32 v[36:37], v[36:37], v[40:41]
	v_mov_b32_e32 v45, v39
	v_pk_fma_f32 v[38:39], v[62:63], v[46:47], v[52:53] op_sel_hi:[1,0,1]
	s_wait_loadcnt 0x1
	v_pk_mul_f32 v[40:41], v[64:65], v[48:49] op_sel:[1,1] op_sel_hi:[0,1]
	v_mov_b32_e32 v38, v51
	v_pk_add_f32 v[36:37], v[36:37], v[42:43]
	v_pk_fma_f32 v[46:47], v[62:63], v[46:47], v[52:53] neg_lo:[0,0,1] neg_hi:[0,0,1]
	v_mov_b32_e32 v47, v39
	v_pk_fma_f32 v[42:43], v[64:65], v[48:49], v[40:41] op_sel_hi:[1,0,1]
	v_pk_mul_f32 v[38:39], v[80:81], v[38:39] op_sel_hi:[1,0]
	v_pk_add_f32 v[36:37], v[36:37], v[44:45]
	v_pk_fma_f32 v[40:41], v[64:65], v[48:49], v[40:41] neg_lo:[0,0,1] neg_hi:[0,0,1]
	s_delay_alu instid0(VALU_DEP_4) | instskip(NEXT) | instid1(VALU_DEP_4)
	v_mov_b32_e32 v41, v43
	v_pk_fma_f32 v[42:43], v[66:67], v[50:51], v[38:39] op_sel_hi:[1,0,1]
	s_delay_alu instid0(VALU_DEP_4) | instskip(SKIP_1) | instid1(VALU_DEP_3)
	v_pk_add_f32 v[36:37], v[36:37], v[46:47]
	v_pk_fma_f32 v[38:39], v[66:67], v[50:51], v[38:39] neg_lo:[0,0,1] neg_hi:[0,0,1]
	v_mov_b32_e32 v39, v43
	s_delay_alu instid0(VALU_DEP_3) | instskip(NEXT) | instid1(VALU_DEP_1)
	v_pk_add_f32 v[36:37], v[36:37], v[40:41]
	v_pk_add_f32 v[36:37], v[36:37], v[38:39]
	s_wait_loadcnt 0x0
	s_delay_alu instid0(VALU_DEP_1)
	v_pk_add_f32 v[36:37], v[68:69], v[36:37] neg_lo:[0,1] neg_hi:[0,1]
	scratch_store_b64 off, v[36:37], off offset:64
	s_wait_xcnt 0x0
	v_cmpx_lt_u32_e32 7, v0
	s_cbranch_execz .LBB80_101
; %bb.100:
	scratch_load_b64 v[36:37], off, off offset:56
	v_mov_b64_e32 v[38:39], 0
	scratch_store_b64 off, v[38:39], off offset:56
	s_wait_loadcnt 0x0
	ds_store_b64 v1, v[36:37]
.LBB80_101:
	s_wait_xcnt 0x0
	s_or_b32 exec_lo, exec_lo, s0
	s_wait_storecnt_dscnt 0x0
	s_barrier_signal -1
	s_barrier_wait -1
	s_clause 0x5
	scratch_load_b128 v[36:39], off, off offset:64
	scratch_load_b128 v[40:43], off, off offset:80
	;; [unrolled: 1-line block ×4, first 2 shown]
	scratch_load_b64 v[68:69], off, off offset:128
	scratch_load_b64 v[70:71], off, off offset:56
	v_mov_b32_e32 v7, 0
	ds_load_b128 v[52:55], v7 offset:208
	ds_load_b128 v[56:59], v7 offset:224
	;; [unrolled: 1-line block ×4, first 2 shown]
	ds_load_b64 v[72:73], v7 offset:272
	s_mov_b32 s0, exec_lo
	s_wait_dscnt 0x4
	v_dual_mov_b32 v74, v55 :: v_dual_mov_b32 v75, v54
	s_wait_dscnt 0x1
	v_dual_mov_b32 v76, v59 :: v_dual_mov_b32 v81, v66
	v_dual_mov_b32 v77, v58 :: v_dual_mov_b32 v78, v63
	;; [unrolled: 1-line block ×3, first 2 shown]
	s_wait_loadcnt 0x5
	v_dual_mov_b32 v82, v39 :: v_dual_mul_f32 v83, v52, v37
	v_mul_f32_e32 v9, v53, v37
	s_wait_loadcnt 0x4
	v_pk_mul_f32 v[84:85], v[56:57], v[40:41] op_sel:[1,1] op_sel_hi:[0,1]
	v_mov_b32_e32 v86, v43
	s_wait_loadcnt 0x3
	v_pk_mul_f32 v[88:89], v[60:61], v[44:45] op_sel:[1,1] op_sel_hi:[0,1]
	v_pk_mul_f32 v[74:75], v[74:75], v[82:83] op_sel_hi:[1,0]
	v_dual_fmac_f32 v83, v53, v36 :: v_dual_fma_f32 v82, v52, v36, -v9
	v_mov_b32_e32 v36, v47
	v_pk_fma_f32 v[90:91], v[56:57], v[40:41], v[84:85] op_sel_hi:[1,0,1]
	s_delay_alu instid0(VALU_DEP_4)
	v_pk_fma_f32 v[52:53], v[54:55], v[38:39], v[74:75] op_sel_hi:[1,0,1]
	v_pk_fma_f32 v[38:39], v[54:55], v[38:39], v[74:75] neg_lo:[0,0,1] neg_hi:[0,0,1]
	v_pk_mul_f32 v[76:77], v[76:77], v[86:87] op_sel_hi:[1,0]
	v_pk_add_f32 v[82:83], v[82:83], 0 op_sel_hi:[1,0]
	v_pk_fma_f32 v[40:41], v[56:57], v[40:41], v[84:85] neg_lo:[0,0,1] neg_hi:[0,0,1]
	v_dual_mov_b32 v39, v53 :: v_dual_mov_b32 v41, v91
	s_delay_alu instid0(VALU_DEP_4) | instskip(SKIP_2) | instid1(VALU_DEP_4)
	v_pk_fma_f32 v[54:55], v[58:59], v[42:43], v[76:77] op_sel_hi:[1,0,1]
	v_pk_fma_f32 v[42:43], v[58:59], v[42:43], v[76:77] neg_lo:[0,0,1] neg_hi:[0,0,1]
	v_pk_fma_f32 v[56:57], v[60:61], v[44:45], v[88:89] op_sel_hi:[1,0,1]
	v_pk_add_f32 v[38:39], v[82:83], v[38:39]
	v_pk_mul_f32 v[36:37], v[78:79], v[36:37] op_sel_hi:[1,0]
	v_mov_b32_e32 v43, v55
	v_pk_fma_f32 v[44:45], v[60:61], v[44:45], v[88:89] neg_lo:[0,0,1] neg_hi:[0,0,1]
	s_wait_loadcnt 0x2
	v_pk_mul_f32 v[52:53], v[64:65], v[48:49] op_sel:[1,1] op_sel_hi:[0,1]
	v_pk_add_f32 v[38:39], v[38:39], v[40:41]
	v_mov_b32_e32 v40, v51
	v_pk_fma_f32 v[54:55], v[62:63], v[46:47], v[36:37] op_sel_hi:[1,0,1]
	v_mov_b32_e32 v45, v57
	v_pk_fma_f32 v[36:37], v[62:63], v[46:47], v[36:37] neg_lo:[0,0,1] neg_hi:[0,0,1]
	v_pk_add_f32 v[38:39], v[38:39], v[42:43]
	v_pk_fma_f32 v[42:43], v[64:65], v[48:49], v[52:53] op_sel_hi:[1,0,1]
	v_pk_mul_f32 v[40:41], v[80:81], v[40:41] op_sel_hi:[1,0]
	v_mov_b32_e32 v37, v55
	s_delay_alu instid0(VALU_DEP_4)
	v_pk_add_f32 v[38:39], v[38:39], v[44:45]
	v_pk_fma_f32 v[44:45], v[64:65], v[48:49], v[52:53] neg_lo:[0,0,1] neg_hi:[0,0,1]
	v_mov_b32_e32 v45, v43
	v_pk_fma_f32 v[42:43], v[66:67], v[50:51], v[40:41] op_sel_hi:[1,0,1]
	v_pk_fma_f32 v[40:41], v[66:67], v[50:51], v[40:41] neg_lo:[0,0,1] neg_hi:[0,0,1]
	v_pk_add_f32 v[36:37], v[38:39], v[36:37]
	s_wait_loadcnt_dscnt 0x100
	v_pk_mul_f32 v[38:39], v[72:73], v[68:69] op_sel:[1,1] op_sel_hi:[0,1]
	v_mov_b32_e32 v41, v43
	s_delay_alu instid0(VALU_DEP_3) | instskip(NEXT) | instid1(VALU_DEP_3)
	v_pk_add_f32 v[36:37], v[36:37], v[44:45]
	v_pk_fma_f32 v[42:43], v[72:73], v[68:69], v[38:39] op_sel_hi:[1,0,1]
	v_pk_fma_f32 v[38:39], v[72:73], v[68:69], v[38:39] neg_lo:[0,0,1] neg_hi:[0,0,1]
	s_delay_alu instid0(VALU_DEP_3) | instskip(NEXT) | instid1(VALU_DEP_3)
	v_pk_add_f32 v[36:37], v[36:37], v[40:41]
	v_mov_b32_e32 v39, v43
	s_delay_alu instid0(VALU_DEP_1) | instskip(SKIP_1) | instid1(VALU_DEP_1)
	v_pk_add_f32 v[36:37], v[36:37], v[38:39]
	s_wait_loadcnt 0x0
	v_pk_add_f32 v[36:37], v[70:71], v[36:37] neg_lo:[0,1] neg_hi:[0,1]
	scratch_store_b64 off, v[36:37], off offset:56
	s_wait_xcnt 0x0
	v_cmpx_lt_u32_e32 6, v0
	s_cbranch_execz .LBB80_103
; %bb.102:
	scratch_load_b64 v[36:37], off, off offset:48
	v_mov_b64_e32 v[38:39], 0
	scratch_store_b64 off, v[38:39], off offset:48
	s_wait_loadcnt 0x0
	ds_store_b64 v1, v[36:37]
.LBB80_103:
	s_wait_xcnt 0x0
	s_or_b32 exec_lo, exec_lo, s0
	s_wait_storecnt_dscnt 0x0
	s_barrier_signal -1
	s_barrier_wait -1
	s_clause 0x5
	scratch_load_b128 v[36:39], off, off offset:56
	scratch_load_b128 v[40:43], off, off offset:72
	;; [unrolled: 1-line block ×5, first 2 shown]
	scratch_load_b64 v[76:77], off, off offset:48
	ds_load_2addr_b64 v[56:59], v7 offset0:27 offset1:28
	ds_load_2addr_b64 v[60:63], v7 offset0:29 offset1:30
	;; [unrolled: 1-line block ×5, first 2 shown]
	s_mov_b32 s0, exec_lo
	s_wait_dscnt 0x4
	v_dual_mov_b32 v78, v59 :: v_dual_mov_b32 v79, v58
	s_wait_dscnt 0x3
	v_dual_mov_b32 v80, v63 :: v_dual_mov_b32 v81, v62
	;; [unrolled: 2-line block ×4, first 2 shown]
	s_wait_loadcnt_dscnt 0x500
	v_dual_mul_f32 v87, v72, v37 :: v_dual_mul_f32 v89, v74, v39
	v_dual_mul_f32 v7, v73, v37 :: v_dual_mul_f32 v9, v75, v39
	s_wait_loadcnt 0x4
	v_pk_mul_f32 v[90:91], v[56:57], v[40:41] op_sel:[1,1] op_sel_hi:[0,1]
	s_wait_loadcnt 0x3
	v_dual_mov_b32 v92, v43 :: v_dual_mov_b32 v96, v47
	v_dual_fmac_f32 v87, v73, v36 :: v_dual_fmac_f32 v89, v75, v38
	v_dual_fma_f32 v86, v72, v36, -v7 :: v_dual_fma_f32 v88, v74, v38, -v9
	v_pk_fma_f32 v[36:37], v[56:57], v[40:41], v[90:91] op_sel_hi:[1,0,1]
	s_delay_alu instid0(VALU_DEP_4) | instskip(SKIP_1) | instid1(VALU_DEP_4)
	v_pk_mul_f32 v[38:39], v[78:79], v[92:93] op_sel_hi:[1,0]
	v_pk_fma_f32 v[40:41], v[56:57], v[40:41], v[90:91] neg_lo:[0,0,1] neg_hi:[0,0,1]
	v_pk_add_f32 v[72:73], v[86:87], 0 op_sel_hi:[1,0]
	v_pk_mul_f32 v[94:95], v[60:61], v[44:45] op_sel:[1,1] op_sel_hi:[0,1]
	v_mov_b32_e32 v41, v37
	v_pk_fma_f32 v[36:37], v[58:59], v[42:43], v[38:39] op_sel_hi:[1,0,1]
	v_pk_fma_f32 v[38:39], v[58:59], v[42:43], v[38:39] neg_lo:[0,0,1] neg_hi:[0,0,1]
	v_pk_add_f32 v[56:57], v[72:73], v[88:89]
	v_pk_fma_f32 v[72:73], v[60:61], v[44:45], v[94:95] op_sel_hi:[1,0,1]
	v_pk_mul_f32 v[78:79], v[80:81], v[96:97] op_sel_hi:[1,0]
	v_mov_b32_e32 v39, v37
	s_wait_loadcnt 0x2
	v_pk_mul_f32 v[74:75], v[64:65], v[48:49] op_sel:[1,1] op_sel_hi:[0,1]
	v_pk_add_f32 v[36:37], v[56:57], v[40:41]
	v_mov_b32_e32 v40, v51
	v_pk_fma_f32 v[42:43], v[60:61], v[44:45], v[94:95] neg_lo:[0,0,1] neg_hi:[0,0,1]
	v_mov_b32_e32 v43, v73
	v_pk_fma_f32 v[44:45], v[62:63], v[46:47], v[78:79] op_sel_hi:[1,0,1]
	v_pk_add_f32 v[36:37], v[36:37], v[38:39]
	v_pk_fma_f32 v[38:39], v[64:65], v[48:49], v[74:75] op_sel_hi:[1,0,1]
	v_pk_mul_f32 v[40:41], v[82:83], v[40:41] op_sel_hi:[1,0]
	v_pk_fma_f32 v[46:47], v[62:63], v[46:47], v[78:79] neg_lo:[0,0,1] neg_hi:[0,0,1]
	v_mov_b32_e32 v47, v45
	v_pk_add_f32 v[36:37], v[36:37], v[42:43]
	v_pk_fma_f32 v[44:45], v[64:65], v[48:49], v[74:75] neg_lo:[0,0,1] neg_hi:[0,0,1]
	v_mov_b32_e32 v45, v39
	v_pk_fma_f32 v[38:39], v[66:67], v[50:51], v[40:41] op_sel_hi:[1,0,1]
	s_wait_loadcnt 0x1
	v_pk_mul_f32 v[42:43], v[68:69], v[52:53] op_sel:[1,1] op_sel_hi:[0,1]
	v_pk_add_f32 v[36:37], v[36:37], v[46:47]
	v_mov_b32_e32 v38, v55
	v_pk_fma_f32 v[40:41], v[66:67], v[50:51], v[40:41] neg_lo:[0,0,1] neg_hi:[0,0,1]
	v_mov_b32_e32 v41, v39
	v_pk_fma_f32 v[46:47], v[68:69], v[52:53], v[42:43] op_sel_hi:[1,0,1]
	v_pk_add_f32 v[36:37], v[36:37], v[44:45]
	v_pk_mul_f32 v[38:39], v[84:85], v[38:39] op_sel_hi:[1,0]
	v_pk_fma_f32 v[42:43], v[68:69], v[52:53], v[42:43] neg_lo:[0,0,1] neg_hi:[0,0,1]
	s_delay_alu instid0(VALU_DEP_3) | instskip(NEXT) | instid1(VALU_DEP_3)
	v_pk_add_f32 v[36:37], v[36:37], v[40:41]
	v_pk_fma_f32 v[40:41], v[70:71], v[54:55], v[38:39] op_sel_hi:[1,0,1]
	v_mov_b32_e32 v43, v47
	v_pk_fma_f32 v[38:39], v[70:71], v[54:55], v[38:39] neg_lo:[0,0,1] neg_hi:[0,0,1]
	s_delay_alu instid0(VALU_DEP_3) | instskip(NEXT) | instid1(VALU_DEP_3)
	v_mov_b32_e32 v39, v41
	v_pk_add_f32 v[36:37], v[36:37], v[42:43]
	s_delay_alu instid0(VALU_DEP_1) | instskip(SKIP_1) | instid1(VALU_DEP_1)
	v_pk_add_f32 v[36:37], v[36:37], v[38:39]
	s_wait_loadcnt 0x0
	v_pk_add_f32 v[36:37], v[76:77], v[36:37] neg_lo:[0,1] neg_hi:[0,1]
	scratch_store_b64 off, v[36:37], off offset:48
	s_wait_xcnt 0x0
	v_cmpx_lt_u32_e32 5, v0
	s_cbranch_execz .LBB80_105
; %bb.104:
	scratch_load_b64 v[36:37], off, off offset:40
	v_mov_b64_e32 v[38:39], 0
	scratch_store_b64 off, v[38:39], off offset:40
	s_wait_loadcnt 0x0
	ds_store_b64 v1, v[36:37]
.LBB80_105:
	s_wait_xcnt 0x0
	s_or_b32 exec_lo, exec_lo, s0
	s_wait_storecnt_dscnt 0x0
	s_barrier_signal -1
	s_barrier_wait -1
	s_clause 0x6
	scratch_load_b128 v[36:39], off, off offset:48
	scratch_load_b128 v[40:43], off, off offset:64
	;; [unrolled: 1-line block ×5, first 2 shown]
	scratch_load_b64 v[76:77], off, off offset:128
	scratch_load_b64 v[78:79], off, off offset:40
	v_mov_b32_e32 v7, 0
	ds_load_b128 v[56:59], v7 offset:208
	ds_load_b128 v[60:63], v7 offset:224
	;; [unrolled: 1-line block ×5, first 2 shown]
	ds_load_b64 v[80:81], v7 offset:272
	s_mov_b32 s0, exec_lo
	s_wait_dscnt 0x5
	v_dual_mov_b32 v82, v59 :: v_dual_mov_b32 v83, v58
	s_wait_dscnt 0x2
	v_dual_mov_b32 v84, v63 :: v_dual_mov_b32 v89, v70
	v_dual_mov_b32 v85, v62 :: v_dual_mov_b32 v86, v67
	v_dual_mov_b32 v87, v66 :: v_dual_mov_b32 v88, v71
	s_wait_loadcnt_dscnt 0x601
	v_dual_mul_f32 v9, v72, v37 :: v_dual_mul_f32 v11, v73, v37
	v_dual_mul_f32 v13, v75, v39 :: v_dual_mul_f32 v91, v74, v39
	s_wait_loadcnt 0x5
	v_dual_mul_f32 v93, v56, v41 :: v_dual_mul_f32 v15, v57, v41
	s_wait_loadcnt 0x4
	v_dual_mov_b32 v92, v43 :: v_dual_mov_b32 v96, v47
	v_dual_fmac_f32 v9, v73, v36 :: v_dual_fma_f32 v11, v72, v36, -v11
	v_dual_fma_f32 v90, v74, v38, -v13 :: v_dual_fmac_f32 v91, v75, v38
	s_delay_alu instid0(VALU_DEP_3) | instskip(NEXT) | instid1(VALU_DEP_3)
	v_pk_mul_f32 v[36:37], v[82:83], v[92:93] op_sel_hi:[1,0]
	v_dual_add_f32 v39, 0, v9 :: v_dual_add_f32 v38, 0, v11
	s_wait_loadcnt 0x3
	v_mov_b32_e32 v72, v51
	v_pk_mul_f32 v[94:95], v[60:61], v[44:45] op_sel:[1,1] op_sel_hi:[0,1]
	v_dual_fmac_f32 v93, v57, v40 :: v_dual_fma_f32 v92, v56, v40, -v15
	v_pk_fma_f32 v[40:41], v[58:59], v[42:43], v[36:37] op_sel_hi:[1,0,1]
	v_pk_add_f32 v[38:39], v[38:39], v[90:91]
	v_pk_fma_f32 v[36:37], v[58:59], v[42:43], v[36:37] neg_lo:[0,0,1] neg_hi:[0,0,1]
	v_pk_fma_f32 v[56:57], v[60:61], v[44:45], v[94:95] op_sel_hi:[1,0,1]
	v_pk_mul_f32 v[74:75], v[84:85], v[96:97] op_sel_hi:[1,0]
	v_mov_b32_e32 v37, v41
	v_pk_add_f32 v[38:39], v[38:39], v[92:93]
	v_pk_fma_f32 v[42:43], v[60:61], v[44:45], v[94:95] neg_lo:[0,0,1] neg_hi:[0,0,1]
	v_pk_mul_f32 v[98:99], v[64:65], v[48:49] op_sel:[1,1] op_sel_hi:[0,1]
	v_mov_b32_e32 v43, v57
	v_pk_fma_f32 v[44:45], v[62:63], v[46:47], v[74:75] op_sel_hi:[1,0,1]
	v_pk_add_f32 v[36:37], v[38:39], v[36:37]
	v_pk_fma_f32 v[46:47], v[62:63], v[46:47], v[74:75] neg_lo:[0,0,1] neg_hi:[0,0,1]
	v_pk_fma_f32 v[38:39], v[64:65], v[48:49], v[98:99] op_sel_hi:[1,0,1]
	v_pk_mul_f32 v[56:57], v[86:87], v[72:73] op_sel_hi:[1,0]
	s_wait_loadcnt 0x2
	v_dual_mov_b32 v47, v45 :: v_dual_mov_b32 v38, v55
	v_pk_add_f32 v[36:37], v[36:37], v[42:43]
	v_pk_fma_f32 v[42:43], v[64:65], v[48:49], v[98:99] neg_lo:[0,0,1] neg_hi:[0,0,1]
	v_pk_mul_f32 v[40:41], v[68:69], v[52:53] op_sel:[1,1] op_sel_hi:[0,1]
	v_pk_fma_f32 v[44:45], v[66:67], v[50:51], v[56:57] op_sel_hi:[1,0,1]
	v_mov_b32_e32 v43, v39
	v_pk_add_f32 v[36:37], v[36:37], v[46:47]
	v_pk_fma_f32 v[48:49], v[66:67], v[50:51], v[56:57] neg_lo:[0,0,1] neg_hi:[0,0,1]
	v_pk_fma_f32 v[46:47], v[68:69], v[52:53], v[40:41] op_sel_hi:[1,0,1]
	v_pk_mul_f32 v[38:39], v[88:89], v[38:39] op_sel_hi:[1,0]
	v_mov_b32_e32 v49, v45
	v_pk_add_f32 v[36:37], v[36:37], v[42:43]
	v_pk_fma_f32 v[40:41], v[68:69], v[52:53], v[40:41] neg_lo:[0,0,1] neg_hi:[0,0,1]
	s_wait_loadcnt_dscnt 0x100
	v_pk_mul_f32 v[44:45], v[80:81], v[76:77] op_sel:[1,1] op_sel_hi:[0,1]
	v_pk_fma_f32 v[42:43], v[70:71], v[54:55], v[38:39] op_sel_hi:[1,0,1]
	v_mov_b32_e32 v41, v47
	v_pk_add_f32 v[36:37], v[36:37], v[48:49]
	v_pk_fma_f32 v[38:39], v[70:71], v[54:55], v[38:39] neg_lo:[0,0,1] neg_hi:[0,0,1]
	s_delay_alu instid0(VALU_DEP_4) | instskip(SKIP_1) | instid1(VALU_DEP_4)
	v_mov_b32_e32 v39, v43
	v_pk_fma_f32 v[42:43], v[80:81], v[76:77], v[44:45] neg_lo:[0,0,1] neg_hi:[0,0,1]
	v_pk_add_f32 v[36:37], v[36:37], v[40:41]
	v_pk_fma_f32 v[40:41], v[80:81], v[76:77], v[44:45] op_sel_hi:[1,0,1]
	s_delay_alu instid0(VALU_DEP_2) | instskip(NEXT) | instid1(VALU_DEP_2)
	v_pk_add_f32 v[36:37], v[36:37], v[38:39]
	v_mov_b32_e32 v43, v41
	s_delay_alu instid0(VALU_DEP_1) | instskip(SKIP_1) | instid1(VALU_DEP_1)
	v_pk_add_f32 v[36:37], v[36:37], v[42:43]
	s_wait_loadcnt 0x0
	v_pk_add_f32 v[36:37], v[78:79], v[36:37] neg_lo:[0,1] neg_hi:[0,1]
	scratch_store_b64 off, v[36:37], off offset:40
	s_wait_xcnt 0x0
	v_cmpx_lt_u32_e32 4, v0
	s_cbranch_execz .LBB80_107
; %bb.106:
	scratch_load_b64 v[36:37], off, off offset:32
	v_mov_b64_e32 v[38:39], 0
	scratch_store_b64 off, v[38:39], off offset:32
	s_wait_loadcnt 0x0
	ds_store_b64 v1, v[36:37]
.LBB80_107:
	s_wait_xcnt 0x0
	s_or_b32 exec_lo, exec_lo, s0
	s_wait_storecnt_dscnt 0x0
	s_barrier_signal -1
	s_barrier_wait -1
	s_clause 0x6
	scratch_load_b128 v[36:39], off, off offset:40
	scratch_load_b128 v[40:43], off, off offset:56
	;; [unrolled: 1-line block ×6, first 2 shown]
	scratch_load_b64 v[84:85], off, off offset:32
	ds_load_2addr_b64 v[60:63], v7 offset0:27 offset1:28
	ds_load_2addr_b64 v[64:67], v7 offset0:29 offset1:30
	;; [unrolled: 1-line block ×6, first 2 shown]
	s_mov_b32 s0, exec_lo
	s_wait_dscnt 0x5
	v_dual_mov_b32 v86, v63 :: v_dual_mov_b32 v87, v62
	s_wait_dscnt 0x4
	v_dual_mov_b32 v88, v67 :: v_dual_mov_b32 v89, v66
	;; [unrolled: 2-line block ×4, first 2 shown]
	s_wait_loadcnt_dscnt 0x601
	v_dual_mul_f32 v7, v76, v37 :: v_dual_mul_f32 v9, v78, v39
	v_dual_mul_f32 v11, v77, v37 :: v_dual_mul_f32 v13, v79, v39
	s_wait_loadcnt 0x4
	s_delay_alu instid0(VALU_DEP_2)
	v_dual_mov_b32 v100, v47 :: v_dual_fmac_f32 v7, v77, v36
	s_wait_dscnt 0x0
	v_dual_mul_f32 v95, v80, v41 :: v_dual_mul_f32 v97, v82, v43
	v_dual_fma_f32 v11, v76, v36, -v11 :: v_dual_fmac_f32 v9, v79, v38
	v_dual_mul_f32 v15, v81, v41 :: v_dual_mul_f32 v17, v83, v43
	v_dual_fma_f32 v13, v78, v38, -v13 :: v_dual_add_f32 v7, 0, v7
	s_wait_loadcnt 0x3
	s_delay_alu instid0(VALU_DEP_3) | instskip(SKIP_3) | instid1(VALU_DEP_4)
	v_dual_add_f32 v11, 0, v11 :: v_dual_mov_b32 v38, v51
	v_pk_mul_f32 v[98:99], v[60:61], v[44:45] op_sel:[1,1] op_sel_hi:[0,1]
	v_pk_mul_f32 v[36:37], v[64:65], v[48:49] op_sel:[1,1] op_sel_hi:[0,1]
	v_dual_fmac_f32 v95, v81, v40 :: v_dual_add_f32 v41, v7, v9
	v_dual_fma_f32 v94, v80, v40, -v15 :: v_dual_add_f32 v40, v11, v13
	v_fmac_f32_e32 v97, v83, v42
	v_fma_f32 v96, v82, v42, -v17
	v_pk_fma_f32 v[42:43], v[60:61], v[44:45], v[98:99] op_sel_hi:[1,0,1]
	v_pk_mul_f32 v[76:77], v[86:87], v[100:101] op_sel_hi:[1,0]
	v_pk_add_f32 v[40:41], v[40:41], v[94:95]
	v_pk_fma_f32 v[44:45], v[60:61], v[44:45], v[98:99] neg_lo:[0,0,1] neg_hi:[0,0,1]
	v_pk_fma_f32 v[60:61], v[64:65], v[48:49], v[36:37] op_sel_hi:[1,0,1]
	v_pk_fma_f32 v[36:37], v[64:65], v[48:49], v[36:37] neg_lo:[0,0,1] neg_hi:[0,0,1]
	v_mov_b32_e32 v45, v43
	v_pk_fma_f32 v[42:43], v[62:63], v[46:47], v[76:77] op_sel_hi:[1,0,1]
	v_pk_fma_f32 v[46:47], v[62:63], v[46:47], v[76:77] neg_lo:[0,0,1] neg_hi:[0,0,1]
	v_mov_b32_e32 v37, v61
	v_pk_add_f32 v[40:41], v[40:41], v[96:97]
	v_pk_mul_f32 v[38:39], v[88:89], v[38:39] op_sel_hi:[1,0]
	s_wait_loadcnt 0x2
	v_dual_mov_b32 v47, v43 :: v_dual_mov_b32 v42, v55
	v_pk_mul_f32 v[78:79], v[68:69], v[52:53] op_sel:[1,1] op_sel_hi:[0,1]
	v_pk_add_f32 v[40:41], v[40:41], v[44:45]
	v_pk_fma_f32 v[44:45], v[66:67], v[50:51], v[38:39] op_sel_hi:[1,0,1]
	v_pk_fma_f32 v[38:39], v[66:67], v[50:51], v[38:39] neg_lo:[0,0,1] neg_hi:[0,0,1]
	v_pk_mul_f32 v[42:43], v[90:91], v[42:43] op_sel_hi:[1,0]
	s_delay_alu instid0(VALU_DEP_4) | instskip(SKIP_3) | instid1(VALU_DEP_4)
	v_pk_add_f32 v[40:41], v[40:41], v[46:47]
	v_pk_fma_f32 v[46:47], v[68:69], v[52:53], v[78:79] op_sel_hi:[1,0,1]
	v_mov_b32_e32 v39, v45
	v_pk_fma_f32 v[44:45], v[68:69], v[52:53], v[78:79] neg_lo:[0,0,1] neg_hi:[0,0,1]
	v_pk_add_f32 v[36:37], v[40:41], v[36:37]
	s_wait_loadcnt 0x1
	v_pk_mul_f32 v[40:41], v[72:73], v[56:57] op_sel:[1,1] op_sel_hi:[0,1]
	v_mov_b32_e32 v45, v47
	v_pk_fma_f32 v[46:47], v[70:71], v[54:55], v[42:43] op_sel_hi:[1,0,1]
	v_pk_fma_f32 v[42:43], v[70:71], v[54:55], v[42:43] neg_lo:[0,0,1] neg_hi:[0,0,1]
	v_pk_add_f32 v[36:37], v[36:37], v[38:39]
	v_mov_b32_e32 v38, v59
	v_pk_fma_f32 v[48:49], v[72:73], v[56:57], v[40:41] op_sel_hi:[1,0,1]
	v_mov_b32_e32 v43, v47
	v_pk_fma_f32 v[40:41], v[72:73], v[56:57], v[40:41] neg_lo:[0,0,1] neg_hi:[0,0,1]
	v_pk_add_f32 v[36:37], v[36:37], v[44:45]
	v_pk_mul_f32 v[38:39], v[92:93], v[38:39] op_sel_hi:[1,0]
	s_delay_alu instid0(VALU_DEP_2) | instskip(NEXT) | instid1(VALU_DEP_2)
	v_pk_add_f32 v[36:37], v[36:37], v[42:43]
	v_pk_fma_f32 v[42:43], v[74:75], v[58:59], v[38:39] op_sel_hi:[1,0,1]
	v_mov_b32_e32 v41, v49
	v_pk_fma_f32 v[38:39], v[74:75], v[58:59], v[38:39] neg_lo:[0,0,1] neg_hi:[0,0,1]
	s_delay_alu instid0(VALU_DEP_3) | instskip(NEXT) | instid1(VALU_DEP_3)
	v_mov_b32_e32 v39, v43
	v_pk_add_f32 v[36:37], v[36:37], v[40:41]
	s_delay_alu instid0(VALU_DEP_1) | instskip(SKIP_1) | instid1(VALU_DEP_1)
	v_pk_add_f32 v[36:37], v[36:37], v[38:39]
	s_wait_loadcnt 0x0
	v_pk_add_f32 v[36:37], v[84:85], v[36:37] neg_lo:[0,1] neg_hi:[0,1]
	scratch_store_b64 off, v[36:37], off offset:32
	s_wait_xcnt 0x0
	v_cmpx_lt_u32_e32 3, v0
	s_cbranch_execz .LBB80_109
; %bb.108:
	scratch_load_b64 v[36:37], off, off offset:24
	v_mov_b64_e32 v[38:39], 0
	scratch_store_b64 off, v[38:39], off offset:24
	s_wait_loadcnt 0x0
	ds_store_b64 v1, v[36:37]
.LBB80_109:
	s_wait_xcnt 0x0
	s_or_b32 exec_lo, exec_lo, s0
	s_wait_storecnt_dscnt 0x0
	s_barrier_signal -1
	s_barrier_wait -1
	s_clause 0x7
	scratch_load_b128 v[36:39], off, off offset:32
	scratch_load_b128 v[40:43], off, off offset:48
	;; [unrolled: 1-line block ×6, first 2 shown]
	scratch_load_b64 v[84:85], off, off offset:128
	scratch_load_b64 v[86:87], off, off offset:24
	v_mov_b32_e32 v7, 0
	ds_load_b128 v[60:63], v7 offset:208
	ds_load_b128 v[64:67], v7 offset:224
	;; [unrolled: 1-line block ×6, first 2 shown]
	ds_load_b64 v[88:89], v7 offset:272
	s_mov_b32 s0, exec_lo
	s_wait_dscnt 0x6
	v_dual_mov_b32 v90, v63 :: v_dual_mov_b32 v91, v62
	s_wait_dscnt 0x3
	v_dual_mov_b32 v92, v67 :: v_dual_mov_b32 v97, v74
	v_dual_mov_b32 v93, v66 :: v_dual_mov_b32 v94, v71
	;; [unrolled: 1-line block ×3, first 2 shown]
	s_wait_loadcnt_dscnt 0x702
	v_dual_mul_f32 v9, v76, v37 :: v_dual_mul_f32 v15, v77, v37
	v_dual_mul_f32 v17, v79, v39 :: v_dual_mul_f32 v11, v78, v39
	s_wait_loadcnt_dscnt 0x601
	s_delay_alu instid0(VALU_DEP_2) | instskip(NEXT) | instid1(VALU_DEP_3)
	v_dual_mul_f32 v13, v80, v41 :: v_dual_fmac_f32 v9, v77, v36
	v_dual_fma_f32 v15, v76, v36, -v15 :: v_dual_mul_f32 v19, v81, v41
	v_mul_f32_e32 v21, v83, v43
	s_wait_loadcnt 0x4
	v_dual_mov_b32 v36, v51 :: v_dual_fma_f32 v17, v78, v38, -v17
	v_dual_fmac_f32 v11, v79, v38 :: v_dual_add_f32 v9, 0, v9
	v_dual_add_f32 v15, 0, v15 :: v_dual_fmac_f32 v13, v81, v40
	v_dual_mul_f32 v99, v82, v43 :: v_dual_mul_f32 v101, v60, v45
	v_dual_mul_f32 v23, v61, v45 :: v_dual_mov_b32 v100, v47
	s_delay_alu instid0(VALU_DEP_4) | instskip(NEXT) | instid1(VALU_DEP_4)
	v_dual_fma_f32 v19, v80, v40, -v19 :: v_dual_add_f32 v9, v9, v11
	v_dual_add_f32 v11, v15, v17 :: v_dual_fma_f32 v98, v82, v42, -v21
	s_delay_alu instid0(VALU_DEP_4) | instskip(NEXT) | instid1(VALU_DEP_4)
	v_fmac_f32_e32 v99, v83, v42
	v_pk_mul_f32 v[40:41], v[90:91], v[100:101] op_sel_hi:[1,0]
	s_delay_alu instid0(VALU_DEP_3)
	v_dual_add_f32 v43, v9, v13 :: v_dual_add_f32 v42, v11, v19
	v_fmac_f32_e32 v101, v61, v44
	v_pk_mul_f32 v[102:103], v[64:65], v[48:49] op_sel:[1,1] op_sel_hi:[0,1]
	s_wait_loadcnt 0x3
	v_dual_mov_b32 v76, v55 :: v_dual_fma_f32 v100, v60, v44, -v23
	v_pk_fma_f32 v[44:45], v[62:63], v[46:47], v[40:41] op_sel_hi:[1,0,1]
	v_pk_add_f32 v[42:43], v[42:43], v[98:99]
	v_pk_fma_f32 v[40:41], v[62:63], v[46:47], v[40:41] neg_lo:[0,0,1] neg_hi:[0,0,1]
	v_pk_fma_f32 v[60:61], v[64:65], v[48:49], v[102:103] op_sel_hi:[1,0,1]
	v_pk_mul_f32 v[36:37], v[92:93], v[36:37] op_sel_hi:[1,0]
	v_mov_b32_e32 v41, v45
	v_pk_add_f32 v[42:43], v[42:43], v[100:101]
	v_pk_fma_f32 v[46:47], v[64:65], v[48:49], v[102:103] neg_lo:[0,0,1] neg_hi:[0,0,1]
	v_pk_mul_f32 v[38:39], v[68:69], v[52:53] op_sel:[1,1] op_sel_hi:[0,1]
	v_mov_b32_e32 v47, v61
	v_pk_fma_f32 v[48:49], v[66:67], v[50:51], v[36:37] op_sel_hi:[1,0,1]
	v_pk_add_f32 v[40:41], v[42:43], v[40:41]
	v_pk_fma_f32 v[36:37], v[66:67], v[50:51], v[36:37] neg_lo:[0,0,1] neg_hi:[0,0,1]
	v_pk_fma_f32 v[42:43], v[68:69], v[52:53], v[38:39] op_sel_hi:[1,0,1]
	v_pk_mul_f32 v[60:61], v[94:95], v[76:77] op_sel_hi:[1,0]
	s_wait_loadcnt 0x2
	v_dual_mov_b32 v37, v49 :: v_dual_mov_b32 v42, v59
	v_pk_add_f32 v[40:41], v[40:41], v[46:47]
	v_pk_fma_f32 v[38:39], v[68:69], v[52:53], v[38:39] neg_lo:[0,0,1] neg_hi:[0,0,1]
	v_pk_mul_f32 v[44:45], v[72:73], v[56:57] op_sel:[1,1] op_sel_hi:[0,1]
	v_pk_fma_f32 v[46:47], v[70:71], v[54:55], v[60:61] op_sel_hi:[1,0,1]
	v_mov_b32_e32 v39, v43
	v_pk_add_f32 v[36:37], v[40:41], v[36:37]
	v_pk_fma_f32 v[48:49], v[70:71], v[54:55], v[60:61] neg_lo:[0,0,1] neg_hi:[0,0,1]
	v_pk_fma_f32 v[40:41], v[72:73], v[56:57], v[44:45] op_sel_hi:[1,0,1]
	v_pk_mul_f32 v[42:43], v[96:97], v[42:43] op_sel_hi:[1,0]
	v_mov_b32_e32 v49, v47
	v_pk_add_f32 v[36:37], v[36:37], v[38:39]
	v_pk_fma_f32 v[38:39], v[72:73], v[56:57], v[44:45] neg_lo:[0,0,1] neg_hi:[0,0,1]
	v_mov_b32_e32 v39, v41
	v_pk_fma_f32 v[40:41], v[74:75], v[58:59], v[42:43] op_sel_hi:[1,0,1]
	s_wait_loadcnt_dscnt 0x100
	v_pk_mul_f32 v[44:45], v[88:89], v[84:85] op_sel:[1,1] op_sel_hi:[0,1]
	v_pk_add_f32 v[36:37], v[36:37], v[48:49]
	v_pk_fma_f32 v[42:43], v[74:75], v[58:59], v[42:43] neg_lo:[0,0,1] neg_hi:[0,0,1]
	v_mov_b32_e32 v43, v41
	s_delay_alu instid0(VALU_DEP_4) | instskip(NEXT) | instid1(VALU_DEP_4)
	v_pk_fma_f32 v[40:41], v[88:89], v[84:85], v[44:45] neg_lo:[0,0,1] neg_hi:[0,0,1]
	v_pk_add_f32 v[36:37], v[36:37], v[38:39]
	v_pk_fma_f32 v[38:39], v[88:89], v[84:85], v[44:45] op_sel_hi:[1,0,1]
	s_delay_alu instid0(VALU_DEP_2) | instskip(NEXT) | instid1(VALU_DEP_2)
	v_pk_add_f32 v[36:37], v[36:37], v[42:43]
	v_mov_b32_e32 v41, v39
	s_delay_alu instid0(VALU_DEP_1) | instskip(SKIP_1) | instid1(VALU_DEP_1)
	v_pk_add_f32 v[36:37], v[36:37], v[40:41]
	s_wait_loadcnt 0x0
	v_pk_add_f32 v[36:37], v[86:87], v[36:37] neg_lo:[0,1] neg_hi:[0,1]
	scratch_store_b64 off, v[36:37], off offset:24
	s_wait_xcnt 0x0
	v_cmpx_lt_u32_e32 2, v0
	s_cbranch_execz .LBB80_111
; %bb.110:
	scratch_load_b64 v[36:37], off, off offset:16
	v_mov_b64_e32 v[38:39], 0
	scratch_store_b64 off, v[38:39], off offset:16
	s_wait_loadcnt 0x0
	ds_store_b64 v1, v[36:37]
.LBB80_111:
	s_wait_xcnt 0x0
	s_or_b32 exec_lo, exec_lo, s0
	s_wait_storecnt_dscnt 0x0
	s_barrier_signal -1
	s_barrier_wait -1
	s_clause 0x7
	scratch_load_b128 v[36:39], off, off offset:24
	scratch_load_b128 v[40:43], off, off offset:40
	;; [unrolled: 1-line block ×7, first 2 shown]
	scratch_load_b64 v[92:93], off, off offset:16
	ds_load_2addr_b64 v[64:67], v7 offset0:27 offset1:28
	ds_load_2addr_b64 v[68:71], v7 offset0:29 offset1:30
	ds_load_2addr_b64 v[72:75], v7 offset0:31 offset1:32
	ds_load_2addr_b64 v[76:79], v7 offset0:33 offset1:34
	ds_load_2addr_b64 v[80:83], v7 offset0:21 offset1:22
	ds_load_2addr_b64 v[84:87], v7 offset0:23 offset1:24
	ds_load_2addr_b64 v[88:91], v7 offset0:25 offset1:26
	s_mov_b32 s0, exec_lo
	s_wait_dscnt 0x6
	v_dual_mov_b32 v94, v67 :: v_dual_mov_b32 v95, v66
	s_wait_dscnt 0x5
	v_dual_mov_b32 v96, v71 :: v_dual_mov_b32 v97, v70
	;; [unrolled: 2-line block ×4, first 2 shown]
	s_wait_loadcnt_dscnt 0x702
	v_dual_mul_f32 v7, v80, v37 :: v_dual_mul_f32 v9, v82, v39
	v_dual_mul_f32 v15, v81, v37 :: v_dual_mul_f32 v17, v83, v39
	s_wait_loadcnt_dscnt 0x601
	v_dual_mul_f32 v11, v84, v41 :: v_dual_mul_f32 v13, v86, v43
	s_delay_alu instid0(VALU_DEP_3) | instskip(NEXT) | instid1(VALU_DEP_3)
	v_dual_fmac_f32 v7, v81, v36 :: v_dual_fmac_f32 v9, v83, v38
	v_dual_fma_f32 v15, v80, v36, -v15 :: v_dual_fma_f32 v17, v82, v38, -v17
	v_dual_mul_f32 v19, v85, v41 :: v_dual_mul_f32 v21, v87, v43
	s_wait_loadcnt 0x4
	s_delay_alu instid0(VALU_DEP_3) | instskip(NEXT) | instid1(VALU_DEP_3)
	v_dual_add_f32 v7, 0, v7 :: v_dual_mov_b32 v38, v51
	v_dual_add_f32 v15, 0, v15 :: v_dual_fmac_f32 v11, v85, v40
	s_delay_alu instid0(VALU_DEP_2) | instskip(SKIP_2) | instid1(VALU_DEP_3)
	v_dual_fma_f32 v19, v84, v40, -v19 :: v_dual_add_f32 v7, v7, v9
	s_wait_dscnt 0x0
	v_dual_mul_f32 v103, v88, v45 :: v_dual_mul_f32 v105, v90, v47
	v_dual_add_f32 v9, v15, v17 :: v_dual_fma_f32 v15, v86, v42, -v21
	v_dual_mul_f32 v23, v89, v45 :: v_dual_mul_f32 v25, v91, v47
	s_delay_alu instid0(VALU_DEP_2) | instskip(NEXT) | instid1(VALU_DEP_4)
	v_dual_fmac_f32 v13, v87, v42 :: v_dual_add_f32 v9, v9, v19
	v_dual_add_f32 v7, v7, v11 :: v_dual_fmac_f32 v103, v89, v44
	v_pk_mul_f32 v[36:37], v[64:65], v[48:49] op_sel:[1,1] op_sel_hi:[0,1]
	s_wait_loadcnt 0x3
	v_pk_mul_f32 v[40:41], v[68:69], v[52:53] op_sel:[1,1] op_sel_hi:[0,1]
	v_dual_mov_b32 v42, v55 :: v_dual_fma_f32 v102, v88, v44, -v23
	v_dual_add_f32 v45, v7, v13 :: v_dual_add_f32 v44, v9, v15
	v_fmac_f32_e32 v105, v91, v46
	v_fma_f32 v104, v90, v46, -v25
	v_pk_fma_f32 v[46:47], v[64:65], v[48:49], v[36:37] op_sel_hi:[1,0,1]
	v_pk_mul_f32 v[38:39], v[94:95], v[38:39] op_sel_hi:[1,0]
	v_pk_add_f32 v[44:45], v[44:45], v[102:103]
	v_pk_fma_f32 v[36:37], v[64:65], v[48:49], v[36:37] neg_lo:[0,0,1] neg_hi:[0,0,1]
	v_pk_fma_f32 v[48:49], v[68:69], v[52:53], v[40:41] op_sel_hi:[1,0,1]
	v_pk_fma_f32 v[40:41], v[68:69], v[52:53], v[40:41] neg_lo:[0,0,1] neg_hi:[0,0,1]
	v_mov_b32_e32 v37, v47
	v_pk_fma_f32 v[46:47], v[66:67], v[50:51], v[38:39] op_sel_hi:[1,0,1]
	v_pk_fma_f32 v[38:39], v[66:67], v[50:51], v[38:39] neg_lo:[0,0,1] neg_hi:[0,0,1]
	v_mov_b32_e32 v41, v49
	v_pk_add_f32 v[44:45], v[44:45], v[104:105]
	v_pk_mul_f32 v[42:43], v[96:97], v[42:43] op_sel_hi:[1,0]
	v_mov_b32_e32 v39, v47
	s_wait_loadcnt 0x2
	v_pk_mul_f32 v[80:81], v[72:73], v[56:57] op_sel:[1,1] op_sel_hi:[0,1]
	v_pk_add_f32 v[36:37], v[44:45], v[36:37]
	v_mov_b32_e32 v44, v59
	v_pk_fma_f32 v[46:47], v[70:71], v[54:55], v[42:43] op_sel_hi:[1,0,1]
	v_pk_fma_f32 v[42:43], v[70:71], v[54:55], v[42:43] neg_lo:[0,0,1] neg_hi:[0,0,1]
	s_delay_alu instid0(VALU_DEP_4)
	v_pk_add_f32 v[36:37], v[36:37], v[38:39]
	v_pk_fma_f32 v[38:39], v[72:73], v[56:57], v[80:81] op_sel_hi:[1,0,1]
	v_pk_mul_f32 v[44:45], v[98:99], v[44:45] op_sel_hi:[1,0]
	v_mov_b32_e32 v43, v47
	v_pk_fma_f32 v[46:47], v[72:73], v[56:57], v[80:81] neg_lo:[0,0,1] neg_hi:[0,0,1]
	v_pk_add_f32 v[36:37], v[36:37], v[40:41]
	v_mov_b32_e32 v47, v39
	v_pk_fma_f32 v[38:39], v[74:75], v[58:59], v[44:45] op_sel_hi:[1,0,1]
	s_wait_loadcnt 0x1
	v_pk_mul_f32 v[40:41], v[76:77], v[60:61] op_sel:[1,1] op_sel_hi:[0,1]
	v_mov_b32_e32 v38, v63
	v_pk_add_f32 v[36:37], v[36:37], v[42:43]
	v_pk_fma_f32 v[44:45], v[74:75], v[58:59], v[44:45] neg_lo:[0,0,1] neg_hi:[0,0,1]
	v_mov_b32_e32 v45, v39
	v_pk_fma_f32 v[42:43], v[76:77], v[60:61], v[40:41] op_sel_hi:[1,0,1]
	v_pk_mul_f32 v[38:39], v[100:101], v[38:39] op_sel_hi:[1,0]
	v_pk_add_f32 v[36:37], v[36:37], v[46:47]
	v_pk_fma_f32 v[40:41], v[76:77], v[60:61], v[40:41] neg_lo:[0,0,1] neg_hi:[0,0,1]
	s_delay_alu instid0(VALU_DEP_4) | instskip(NEXT) | instid1(VALU_DEP_4)
	v_mov_b32_e32 v41, v43
	v_pk_fma_f32 v[42:43], v[78:79], v[62:63], v[38:39] op_sel_hi:[1,0,1]
	s_delay_alu instid0(VALU_DEP_4) | instskip(SKIP_1) | instid1(VALU_DEP_3)
	v_pk_add_f32 v[36:37], v[36:37], v[44:45]
	v_pk_fma_f32 v[38:39], v[78:79], v[62:63], v[38:39] neg_lo:[0,0,1] neg_hi:[0,0,1]
	v_mov_b32_e32 v39, v43
	s_delay_alu instid0(VALU_DEP_3) | instskip(NEXT) | instid1(VALU_DEP_1)
	v_pk_add_f32 v[36:37], v[36:37], v[40:41]
	v_pk_add_f32 v[36:37], v[36:37], v[38:39]
	s_wait_loadcnt 0x0
	s_delay_alu instid0(VALU_DEP_1)
	v_pk_add_f32 v[36:37], v[92:93], v[36:37] neg_lo:[0,1] neg_hi:[0,1]
	scratch_store_b64 off, v[36:37], off offset:16
	s_wait_xcnt 0x0
	v_cmpx_lt_u32_e32 1, v0
	s_cbranch_execz .LBB80_113
; %bb.112:
	scratch_load_b64 v[36:37], off, off offset:8
	v_mov_b64_e32 v[38:39], 0
	scratch_store_b64 off, v[38:39], off offset:8
	s_wait_loadcnt 0x0
	ds_store_b64 v1, v[36:37]
.LBB80_113:
	s_wait_xcnt 0x0
	s_or_b32 exec_lo, exec_lo, s0
	s_wait_storecnt_dscnt 0x0
	s_barrier_signal -1
	s_barrier_wait -1
	s_clause 0x8
	scratch_load_b128 v[38:41], off, off offset:16
	scratch_load_b128 v[42:45], off, off offset:32
	;; [unrolled: 1-line block ×7, first 2 shown]
	scratch_load_b64 v[94:95], off, off offset:128
	scratch_load_b64 v[96:97], off, off offset:8
	v_dual_mov_b32 v36, 0 :: v_dual_ashrrev_i32 v7, 31, v6
	ds_load_b128 v[66:69], v36 offset:208
	ds_load_b128 v[70:73], v36 offset:224
	;; [unrolled: 1-line block ×7, first 2 shown]
	ds_load_b64 v[98:99], v36 offset:272
	v_dual_ashrrev_i32 v9, 31, v8 :: v_dual_ashrrev_i32 v11, 31, v10
	s_mov_b32 s0, exec_lo
	s_wait_dscnt 0x7
	v_dual_mov_b32 v100, v69 :: v_dual_mov_b32 v101, v68
	s_wait_dscnt 0x6
	v_dual_mov_b32 v102, v73 :: v_dual_mov_b32 v103, v72
	s_wait_dscnt 0x5
	v_dual_mov_b32 v104, v77 :: v_dual_mov_b32 v105, v76
	s_wait_dscnt 0x4
	v_dual_mov_b32 v106, v81 :: v_dual_mov_b32 v107, v80
	s_wait_loadcnt_dscnt 0x803
	v_dual_mul_f32 v13, v82, v39 :: v_dual_mul_f32 v15, v84, v41
	v_dual_mul_f32 v21, v83, v39 :: v_dual_mul_f32 v23, v85, v41
	s_wait_loadcnt_dscnt 0x702
	v_dual_mul_f32 v17, v86, v43 :: v_dual_mul_f32 v19, v88, v45
	s_delay_alu instid0(VALU_DEP_3) | instskip(NEXT) | instid1(VALU_DEP_3)
	v_fmac_f32_e32 v13, v83, v38
	v_dual_fma_f32 v21, v82, v38, -v21 :: v_dual_fmac_f32 v15, v85, v40
	v_dual_mul_f32 v25, v87, v43 :: v_dual_mul_f32 v27, v89, v45
	s_wait_loadcnt 0x5
	v_dual_mov_b32 v82, v53 :: v_dual_fma_f32 v23, v84, v40, -v23
	v_add_f32_e32 v13, 0, v13
	v_dual_add_f32 v21, 0, v21 :: v_dual_fmac_f32 v17, v87, v42
	s_wait_dscnt 0x1
	v_dual_fma_f32 v25, v86, v42, -v25 :: v_dual_mul_f32 v29, v93, v49
	v_mul_f32_e32 v31, v90, v47
	v_add_f32_e32 v13, v13, v15
	v_dual_add_f32 v15, v21, v23 :: v_dual_fma_f32 v21, v88, v44, -v27
	v_dual_mul_f32 v39, v92, v49 :: v_dual_mul_f32 v33, v91, v47
	s_wait_loadcnt 0x4
	s_delay_alu instid0(VALU_DEP_2) | instskip(SKIP_2) | instid1(VALU_DEP_3)
	v_dual_mov_b32 v42, v57 :: v_dual_add_f32 v15, v15, v25
	v_fmac_f32_e32 v19, v89, v44
	v_dual_add_f32 v13, v13, v17 :: v_dual_fmac_f32 v31, v91, v46
	v_dual_fma_f32 v17, v90, v46, -v33 :: v_dual_add_f32 v15, v15, v21
	v_dual_mul_f32 v41, v66, v51 :: v_dual_mul_f32 v35, v67, v51
	s_delay_alu instid0(VALU_DEP_3) | instskip(SKIP_3) | instid1(VALU_DEP_4)
	v_add_f32_e32 v13, v13, v19
	v_pk_mul_f32 v[84:85], v[70:71], v[54:55] op_sel:[1,1] op_sel_hi:[0,1]
	v_dual_fma_f32 v38, v92, v48, -v29 :: v_dual_fmac_f32 v39, v93, v48
	v_pk_mul_f32 v[46:47], v[100:101], v[82:83] op_sel_hi:[1,0]
	v_dual_add_f32 v49, v13, v31 :: v_dual_add_f32 v48, v15, v17
	s_wait_loadcnt 0x3
	v_dual_mov_b32 v82, v61 :: v_dual_fma_f32 v40, v66, v50, -v35
	v_pk_mul_f32 v[42:43], v[102:103], v[42:43] op_sel_hi:[1,0]
	v_pk_mul_f32 v[44:45], v[74:75], v[58:59] op_sel:[1,1] op_sel_hi:[0,1]
	v_pk_add_f32 v[38:39], v[48:49], v[38:39]
	v_pk_fma_f32 v[48:49], v[70:71], v[54:55], v[84:85] op_sel_hi:[1,0,1]
	v_fmac_f32_e32 v41, v67, v50
	v_pk_fma_f32 v[50:51], v[68:69], v[52:53], v[46:47] op_sel_hi:[1,0,1]
	v_pk_fma_f32 v[46:47], v[68:69], v[52:53], v[46:47] neg_lo:[0,0,1] neg_hi:[0,0,1]
	v_pk_mul_f32 v[52:53], v[104:105], v[82:83] op_sel_hi:[1,0]
	v_ashrrev_i32_e32 v13, 31, v12
	v_dual_ashrrev_i32 v21, 31, v20 :: v_dual_ashrrev_i32 v23, 31, v22
	v_mov_b32_e32 v47, v51
	v_pk_fma_f32 v[50:51], v[70:71], v[54:55], v[84:85] neg_lo:[0,0,1] neg_hi:[0,0,1]
	v_mov_b32_e32 v51, v49
	v_pk_add_f32 v[38:39], v[38:39], v[40:41]
	v_pk_fma_f32 v[48:49], v[72:73], v[56:57], v[42:43] op_sel_hi:[1,0,1]
	v_pk_fma_f32 v[42:43], v[72:73], v[56:57], v[42:43] neg_lo:[0,0,1] neg_hi:[0,0,1]
	s_wait_loadcnt 0x2
	v_pk_mul_f32 v[40:41], v[78:79], v[62:63] op_sel:[1,1] op_sel_hi:[0,1]
	v_dual_ashrrev_i32 v15, 31, v14 :: v_dual_ashrrev_i32 v25, 31, v24
	v_dual_ashrrev_i32 v27, 31, v26 :: v_dual_mov_b32 v43, v49
	v_pk_add_f32 v[38:39], v[38:39], v[46:47]
	v_pk_fma_f32 v[46:47], v[74:75], v[58:59], v[44:45] op_sel_hi:[1,0,1]
	v_pk_fma_f32 v[44:45], v[74:75], v[58:59], v[44:45] neg_lo:[0,0,1] neg_hi:[0,0,1]
	v_mov_b32_e32 v46, v65
	v_pk_fma_f32 v[48:49], v[76:77], v[60:61], v[52:53] op_sel_hi:[1,0,1]
	v_pk_add_f32 v[38:39], v[38:39], v[50:51]
	v_mov_b32_e32 v45, v47
	v_pk_fma_f32 v[50:51], v[76:77], v[60:61], v[52:53] neg_lo:[0,0,1] neg_hi:[0,0,1]
	v_pk_mul_f32 v[46:47], v[106:107], v[46:47] op_sel_hi:[1,0]
	v_mov_b32_e32 v51, v49
	v_pk_add_f32 v[38:39], v[38:39], v[42:43]
	v_pk_fma_f32 v[42:43], v[78:79], v[62:63], v[40:41] op_sel_hi:[1,0,1]
	v_pk_fma_f32 v[40:41], v[78:79], v[62:63], v[40:41] neg_lo:[0,0,1] neg_hi:[0,0,1]
	v_ashrrev_i32_e32 v17, 31, v16
	v_dual_ashrrev_i32 v29, 31, v28 :: v_dual_ashrrev_i32 v31, 31, v30
	v_pk_add_f32 v[38:39], v[38:39], v[44:45]
	v_mov_b32_e32 v41, v43
	v_pk_fma_f32 v[42:43], v[80:81], v[64:65], v[46:47] op_sel_hi:[1,0,1]
	s_wait_loadcnt_dscnt 0x100
	v_pk_mul_f32 v[44:45], v[98:99], v[94:95] op_sel:[1,1] op_sel_hi:[0,1]
	v_pk_fma_f32 v[46:47], v[80:81], v[64:65], v[46:47] neg_lo:[0,0,1] neg_hi:[0,0,1]
	v_pk_add_f32 v[38:39], v[38:39], v[50:51]
	v_dual_ashrrev_i32 v33, 31, v32 :: v_dual_ashrrev_i32 v35, 31, v34
	v_mov_b32_e32 v47, v43
	v_pk_fma_f32 v[42:43], v[98:99], v[94:95], v[44:45] neg_lo:[0,0,1] neg_hi:[0,0,1]
	s_delay_alu instid0(VALU_DEP_4) | instskip(SKIP_2) | instid1(VALU_DEP_3)
	v_pk_add_f32 v[38:39], v[38:39], v[40:41]
	v_pk_fma_f32 v[40:41], v[98:99], v[94:95], v[44:45] op_sel_hi:[1,0,1]
	v_ashrrev_i32_e32 v19, 31, v18
	v_pk_add_f32 v[38:39], v[38:39], v[46:47]
	s_delay_alu instid0(VALU_DEP_3) | instskip(NEXT) | instid1(VALU_DEP_1)
	v_mov_b32_e32 v43, v41
	v_pk_add_f32 v[38:39], v[38:39], v[42:43]
	s_wait_loadcnt 0x0
	s_delay_alu instid0(VALU_DEP_1)
	v_pk_add_f32 v[38:39], v[96:97], v[38:39] neg_lo:[0,1] neg_hi:[0,1]
	scratch_store_b64 off, v[38:39], off offset:8
	s_wait_xcnt 0x0
	v_cmpx_ne_u32_e32 0, v0
	s_cbranch_execz .LBB80_115
; %bb.114:
	scratch_load_b64 v[38:39], off, off
	v_mov_b64_e32 v[40:41], 0
	scratch_store_b64 off, v[40:41], off
	s_wait_loadcnt 0x0
	ds_store_b64 v1, v[38:39]
.LBB80_115:
	s_wait_xcnt 0x0
	s_or_b32 exec_lo, exec_lo, s0
	s_wait_storecnt_dscnt 0x0
	s_barrier_signal -1
	s_barrier_wait -1
	s_clause 0x8
	scratch_load_b128 v[38:41], off, off offset:8
	scratch_load_b128 v[42:45], off, off offset:24
	;; [unrolled: 1-line block ×8, first 2 shown]
	scratch_load_b64 v[0:1], off, off
	ds_load_2addr_b64 v[70:73], v36 offset0:27 offset1:28
	ds_load_2addr_b64 v[74:77], v36 offset0:29 offset1:30
	;; [unrolled: 1-line block ×8, first 2 shown]
	s_and_b32 vcc_lo, exec_lo, s12
	s_wait_dscnt 0x7
	v_dual_mov_b32 v36, v73 :: v_dual_mov_b32 v37, v72
	s_wait_dscnt 0x6
	v_dual_mov_b32 v102, v77 :: v_dual_mov_b32 v103, v76
	;; [unrolled: 2-line block ×4, first 2 shown]
	s_wait_loadcnt_dscnt 0x803
	v_dual_mul_f32 v108, v86, v39 :: v_dual_mul_f32 v110, v88, v41
	v_dual_mul_f32 v39, v87, v39 :: v_dual_mul_f32 v41, v89, v41
	s_wait_loadcnt_dscnt 0x702
	v_dual_mul_f32 v112, v90, v43 :: v_dual_mul_f32 v113, v92, v45
	s_wait_loadcnt_dscnt 0x500
	v_dual_fmac_f32 v108, v87, v38 :: v_dual_mul_f32 v109, v98, v51
	v_dual_mul_f32 v111, v100, v53 :: v_dual_mul_f32 v51, v99, v51
	v_dual_fma_f32 v38, v86, v38, -v39 :: v_dual_mul_f32 v53, v101, v53
	v_dual_fmac_f32 v110, v89, v40 :: v_dual_fma_f32 v40, v88, v40, -v41
	s_delay_alu instid0(VALU_DEP_2) | instskip(SKIP_2) | instid1(VALU_DEP_3)
	v_dual_add_f32 v41, 0, v108 :: v_dual_add_f32 v86, 0, v38
	v_dual_mul_f32 v43, v91, v43 :: v_dual_mul_f32 v45, v93, v45
	v_fmac_f32_e32 v112, v91, v42
	v_dual_add_f32 v41, v41, v110 :: v_dual_mul_f32 v114, v94, v47
	v_dual_mul_f32 v115, v96, v49 :: v_dual_mul_f32 v47, v95, v47
	s_delay_alu instid0(VALU_DEP_4)
	v_dual_mul_f32 v49, v97, v49 :: v_dual_fma_f32 v42, v90, v42, -v43
	v_add_f32_e32 v43, v86, v40
	v_fmac_f32_e32 v113, v93, v44
	v_dual_add_f32 v41, v41, v112 :: v_dual_fmac_f32 v114, v95, v46
	s_wait_loadcnt 0x4
	v_dual_mov_b32 v40, v57 :: v_dual_fma_f32 v44, v92, v44, -v45
	v_add_f32_e32 v45, v43, v42
	s_delay_alu instid0(VALU_DEP_3) | instskip(SKIP_1) | instid1(VALU_DEP_3)
	v_dual_fma_f32 v46, v94, v46, -v47 :: v_dual_add_f32 v41, v41, v113
	v_pk_mul_f32 v[38:39], v[70:71], v[54:55] op_sel:[1,1] op_sel_hi:[0,1]
	v_dual_fmac_f32 v109, v99, v50 :: v_dual_add_f32 v45, v45, v44
	s_delay_alu instid0(VALU_DEP_3) | instskip(SKIP_1) | instid1(VALU_DEP_4)
	v_dual_fma_f32 v110, v100, v52, -v53 :: v_dual_add_f32 v41, v41, v114
	v_fma_f32 v108, v98, v50, -v51
	v_pk_fma_f32 v[50:51], v[70:71], v[54:55], v[38:39] op_sel_hi:[1,0,1]
	v_pk_fma_f32 v[38:39], v[70:71], v[54:55], v[38:39] neg_lo:[0,0,1] neg_hi:[0,0,1]
	s_wait_loadcnt 0x3
	v_mov_b32_e32 v44, v61
	v_pk_mul_f32 v[36:37], v[36:37], v[40:41] op_sel_hi:[1,0]
	v_dual_fmac_f32 v115, v97, v48 :: v_dual_mov_b32 v39, v51
	v_fma_f32 v48, v96, v48, -v49
	v_fmac_f32_e32 v111, v101, v52
	s_delay_alu instid0(VALU_DEP_4) | instskip(SKIP_4) | instid1(VALU_DEP_4)
	v_pk_fma_f32 v[50:51], v[72:73], v[56:57], v[36:37] op_sel_hi:[1,0,1]
	v_add_f32_e32 v45, v45, v46
	v_pk_fma_f32 v[36:37], v[72:73], v[56:57], v[36:37] neg_lo:[0,0,1] neg_hi:[0,0,1]
	v_add_f32_e32 v49, v41, v115
	v_pk_mul_f32 v[42:43], v[74:75], v[58:59] op_sel:[1,1] op_sel_hi:[0,1]
	v_dual_mov_b32 v37, v51 :: v_dual_add_f32 v48, v45, v48
	v_pk_mul_f32 v[44:45], v[102:103], v[44:45] op_sel_hi:[1,0]
	s_wait_loadcnt 0x2
	v_pk_mul_f32 v[46:47], v[78:79], v[62:63] op_sel:[1,1] op_sel_hi:[0,1]
	v_pk_fma_f32 v[52:53], v[74:75], v[58:59], v[42:43] op_sel_hi:[1,0,1]
	v_pk_fma_f32 v[42:43], v[74:75], v[58:59], v[42:43] neg_lo:[0,0,1] neg_hi:[0,0,1]
	v_pk_fma_f32 v[50:51], v[76:77], v[60:61], v[44:45] op_sel_hi:[1,0,1]
	v_pk_fma_f32 v[44:45], v[76:77], v[60:61], v[44:45] neg_lo:[0,0,1] neg_hi:[0,0,1]
	s_delay_alu instid0(VALU_DEP_2) | instskip(SKIP_2) | instid1(VALU_DEP_2)
	v_dual_mov_b32 v43, v53 :: v_dual_mov_b32 v45, v51
	v_pk_add_f32 v[40:41], v[48:49], v[108:109]
	v_mov_b32_e32 v48, v65
	v_pk_add_f32 v[40:41], v[40:41], v[110:111]
	s_delay_alu instid0(VALU_DEP_2) | instskip(NEXT) | instid1(VALU_DEP_2)
	v_pk_mul_f32 v[48:49], v[104:105], v[48:49] op_sel_hi:[1,0]
	v_pk_add_f32 v[38:39], v[40:41], v[38:39]
	s_wait_loadcnt 0x1
	v_pk_mul_f32 v[40:41], v[82:83], v[66:67] op_sel:[1,1] op_sel_hi:[0,1]
	s_delay_alu instid0(VALU_DEP_2) | instskip(SKIP_1) | instid1(VALU_DEP_2)
	v_pk_add_f32 v[36:37], v[38:39], v[36:37]
	v_pk_fma_f32 v[38:39], v[78:79], v[62:63], v[46:47] op_sel_hi:[1,0,1]
	v_pk_add_f32 v[36:37], v[36:37], v[42:43]
	v_pk_fma_f32 v[42:43], v[78:79], v[62:63], v[46:47] neg_lo:[0,0,1] neg_hi:[0,0,1]
	s_delay_alu instid0(VALU_DEP_3)
	v_mov_b32_e32 v43, v39
	v_pk_fma_f32 v[46:47], v[80:81], v[64:65], v[48:49] op_sel_hi:[1,0,1]
	v_mov_b32_e32 v38, v69
	v_pk_add_f32 v[36:37], v[36:37], v[44:45]
	v_pk_fma_f32 v[48:49], v[80:81], v[64:65], v[48:49] neg_lo:[0,0,1] neg_hi:[0,0,1]
	v_pk_fma_f32 v[44:45], v[82:83], v[66:67], v[40:41] op_sel_hi:[1,0,1]
	v_mov_b32_e32 v49, v47
	v_pk_mul_f32 v[38:39], v[106:107], v[38:39] op_sel_hi:[1,0]
	v_pk_add_f32 v[36:37], v[36:37], v[42:43]
	v_pk_fma_f32 v[40:41], v[82:83], v[66:67], v[40:41] neg_lo:[0,0,1] neg_hi:[0,0,1]
	s_delay_alu instid0(VALU_DEP_3) | instskip(SKIP_1) | instid1(VALU_DEP_4)
	v_pk_fma_f32 v[42:43], v[84:85], v[68:69], v[38:39] op_sel_hi:[1,0,1]
	v_mov_b32_e32 v41, v45
	v_pk_add_f32 v[36:37], v[36:37], v[48:49]
	v_pk_fma_f32 v[38:39], v[84:85], v[68:69], v[38:39] neg_lo:[0,0,1] neg_hi:[0,0,1]
	s_delay_alu instid0(VALU_DEP_4) | instskip(NEXT) | instid1(VALU_DEP_3)
	v_mov_b32_e32 v39, v43
	v_pk_add_f32 v[36:37], v[36:37], v[40:41]
	s_delay_alu instid0(VALU_DEP_1) | instskip(SKIP_1) | instid1(VALU_DEP_1)
	v_pk_add_f32 v[36:37], v[36:37], v[38:39]
	s_wait_loadcnt 0x0
	v_pk_add_f32 v[0:1], v[0:1], v[36:37] neg_lo:[0,1] neg_hi:[0,1]
	scratch_store_b64 off, v[0:1], off
	s_cbranch_vccz .LBB80_148
; %bb.116:
	s_wait_xcnt 0x0
	v_mov_b32_e32 v0, 0
	global_load_b32 v1, v0, s[8:9] offset:60
	s_wait_loadcnt 0x0
	v_cmp_ne_u32_e32 vcc_lo, 16, v1
	s_cbranch_vccz .LBB80_118
; %bb.117:
	v_lshlrev_b32_e32 v1, 3, v1
	scratch_load_b64 v[36:37], v1, off offset:-8
	scratch_load_b64 v[38:39], off, off offset:120
	s_wait_loadcnt 0x1
	scratch_store_b64 off, v[36:37], off offset:120
	s_wait_loadcnt 0x0
	scratch_store_b64 v1, v[38:39], off offset:-8
.LBB80_118:
	global_load_b32 v0, v0, s[8:9] offset:56
	s_wait_loadcnt 0x0
	v_cmp_eq_u32_e32 vcc_lo, 15, v0
	s_cbranch_vccnz .LBB80_120
; %bb.119:
	s_wait_xcnt 0x0
	v_lshlrev_b32_e32 v0, 3, v0
	s_delay_alu instid0(VALU_DEP_1)
	v_mov_b32_e32 v38, v0
	scratch_load_b64 v[0:1], v38, off offset:-8
	scratch_load_b64 v[36:37], off, off offset:112
	s_wait_loadcnt 0x1
	scratch_store_b64 off, v[0:1], off offset:112
	s_wait_loadcnt 0x0
	scratch_store_b64 v38, v[36:37], off offset:-8
.LBB80_120:
	s_wait_xcnt 0x0
	v_mov_b32_e32 v0, 0
	global_load_b32 v1, v0, s[8:9] offset:52
	s_wait_loadcnt 0x0
	v_cmp_eq_u32_e32 vcc_lo, 14, v1
	s_cbranch_vccnz .LBB80_122
; %bb.121:
	v_lshlrev_b32_e32 v1, 3, v1
	scratch_load_b64 v[36:37], v1, off offset:-8
	scratch_load_b64 v[38:39], off, off offset:104
	s_wait_loadcnt 0x1
	scratch_store_b64 off, v[36:37], off offset:104
	s_wait_loadcnt 0x0
	scratch_store_b64 v1, v[38:39], off offset:-8
.LBB80_122:
	global_load_b32 v0, v0, s[8:9] offset:48
	s_wait_loadcnt 0x0
	v_cmp_eq_u32_e32 vcc_lo, 13, v0
	s_cbranch_vccnz .LBB80_124
; %bb.123:
	s_wait_xcnt 0x0
	v_lshlrev_b32_e32 v0, 3, v0
	s_delay_alu instid0(VALU_DEP_1)
	v_mov_b32_e32 v38, v0
	scratch_load_b64 v[0:1], v38, off offset:-8
	scratch_load_b64 v[36:37], off, off offset:96
	s_wait_loadcnt 0x1
	scratch_store_b64 off, v[0:1], off offset:96
	s_wait_loadcnt 0x0
	scratch_store_b64 v38, v[36:37], off offset:-8
.LBB80_124:
	s_wait_xcnt 0x0
	v_mov_b32_e32 v0, 0
	global_load_b32 v1, v0, s[8:9] offset:44
	s_wait_loadcnt 0x0
	v_cmp_eq_u32_e32 vcc_lo, 12, v1
	s_cbranch_vccnz .LBB80_126
; %bb.125:
	v_lshlrev_b32_e32 v1, 3, v1
	scratch_load_b64 v[36:37], v1, off offset:-8
	scratch_load_b64 v[38:39], off, off offset:88
	s_wait_loadcnt 0x1
	scratch_store_b64 off, v[36:37], off offset:88
	s_wait_loadcnt 0x0
	scratch_store_b64 v1, v[38:39], off offset:-8
.LBB80_126:
	;; [unrolled: 31-line block ×7, first 2 shown]
	global_load_b32 v36, v0, s[8:9]
	scratch_load_b64 v[0:1], off, off
	s_wait_loadcnt 0x1
	v_cmp_eq_u32_e32 vcc_lo, 1, v36
	s_cbranch_vccnz .LBB80_148
; %bb.147:
	v_lshlrev_b32_e32 v36, 3, v36
	s_delay_alu instid0(VALU_DEP_1)
	v_mov_b32_e32 v38, v36
	scratch_load_b64 v[36:37], v38, off offset:-8
	s_wait_loadcnt 0x0
	scratch_store_b64 off, v[36:37], off
	scratch_store_b64 v38, v[0:1], off offset:-8
	scratch_load_b64 v[0:1], off, off
.LBB80_148:
	s_wait_loadcnt 0x0
	flat_store_b64 v[2:3], v[0:1]
	scratch_load_b64 v[0:1], off, off offset:8
	v_lshl_add_u64 v[48:49], v[6:7], 3, s[2:3]
	v_lshl_add_u64 v[46:47], v[8:9], 3, s[2:3]
	;; [unrolled: 1-line block ×15, first 2 shown]
	s_wait_loadcnt 0x0
	flat_store_b64 v[4:5], v[0:1]
	scratch_load_b64 v[0:1], off, off offset:16
	s_wait_loadcnt 0x0
	flat_store_b64 v[48:49], v[0:1]
	scratch_load_b64 v[0:1], off, off offset:24
	s_wait_loadcnt 0x0
	flat_store_b64 v[46:47], v[0:1]
	scratch_load_b64 v[0:1], off, off offset:32
	s_wait_loadcnt 0x0
	flat_store_b64 v[44:45], v[0:1]
	scratch_load_b64 v[0:1], off, off offset:40
	s_wait_loadcnt 0x0
	flat_store_b64 v[42:43], v[0:1]
	scratch_load_b64 v[0:1], off, off offset:48
	s_wait_loadcnt 0x0
	flat_store_b64 v[40:41], v[0:1]
	scratch_load_b64 v[0:1], off, off offset:56
	s_wait_loadcnt 0x0
	flat_store_b64 v[38:39], v[0:1]
	scratch_load_b64 v[0:1], off, off offset:64
	s_wait_loadcnt 0x0
	flat_store_b64 v[36:37], v[0:1]
	scratch_load_b64 v[0:1], off, off offset:72
	s_wait_loadcnt 0x0
	flat_store_b64 v[20:21], v[0:1]
	scratch_load_b64 v[0:1], off, off offset:80
	s_wait_loadcnt 0x0
	flat_store_b64 v[18:19], v[0:1]
	scratch_load_b64 v[0:1], off, off offset:88
	s_wait_loadcnt 0x0
	flat_store_b64 v[16:17], v[0:1]
	scratch_load_b64 v[0:1], off, off offset:96
	s_wait_loadcnt 0x0
	flat_store_b64 v[14:15], v[0:1]
	scratch_load_b64 v[0:1], off, off offset:104
	s_wait_loadcnt 0x0
	flat_store_b64 v[12:13], v[0:1]
	scratch_load_b64 v[0:1], off, off offset:112
	s_wait_loadcnt 0x0
	flat_store_b64 v[10:11], v[0:1]
	scratch_load_b64 v[0:1], off, off offset:120
	s_wait_loadcnt 0x0
	flat_store_b64 v[8:9], v[0:1]
	scratch_load_b64 v[0:1], off, off offset:128
	s_wait_loadcnt 0x0
	flat_store_b64 v[6:7], v[0:1]
	s_sendmsg sendmsg(MSG_DEALLOC_VGPRS)
	s_endpgm
	.section	.rodata,"a",@progbits
	.p2align	6, 0x0
	.amdhsa_kernel _ZN9rocsolver6v33100L18getri_kernel_smallILi17E19rocblas_complex_numIfEPKPS3_EEvT1_iilPiilS8_bb
		.amdhsa_group_segment_fixed_size 280
		.amdhsa_private_segment_fixed_size 144
		.amdhsa_kernarg_size 60
		.amdhsa_user_sgpr_count 2
		.amdhsa_user_sgpr_dispatch_ptr 0
		.amdhsa_user_sgpr_queue_ptr 0
		.amdhsa_user_sgpr_kernarg_segment_ptr 1
		.amdhsa_user_sgpr_dispatch_id 0
		.amdhsa_user_sgpr_kernarg_preload_length 0
		.amdhsa_user_sgpr_kernarg_preload_offset 0
		.amdhsa_user_sgpr_private_segment_size 0
		.amdhsa_wavefront_size32 1
		.amdhsa_uses_dynamic_stack 0
		.amdhsa_enable_private_segment 1
		.amdhsa_system_sgpr_workgroup_id_x 1
		.amdhsa_system_sgpr_workgroup_id_y 0
		.amdhsa_system_sgpr_workgroup_id_z 0
		.amdhsa_system_sgpr_workgroup_info 0
		.amdhsa_system_vgpr_workitem_id 0
		.amdhsa_next_free_vgpr 116
		.amdhsa_next_free_sgpr 19
		.amdhsa_named_barrier_count 0
		.amdhsa_reserve_vcc 1
		.amdhsa_float_round_mode_32 0
		.amdhsa_float_round_mode_16_64 0
		.amdhsa_float_denorm_mode_32 3
		.amdhsa_float_denorm_mode_16_64 3
		.amdhsa_fp16_overflow 0
		.amdhsa_memory_ordered 1
		.amdhsa_forward_progress 1
		.amdhsa_inst_pref_size 139
		.amdhsa_round_robin_scheduling 0
		.amdhsa_exception_fp_ieee_invalid_op 0
		.amdhsa_exception_fp_denorm_src 0
		.amdhsa_exception_fp_ieee_div_zero 0
		.amdhsa_exception_fp_ieee_overflow 0
		.amdhsa_exception_fp_ieee_underflow 0
		.amdhsa_exception_fp_ieee_inexact 0
		.amdhsa_exception_int_div_zero 0
	.end_amdhsa_kernel
	.section	.text._ZN9rocsolver6v33100L18getri_kernel_smallILi17E19rocblas_complex_numIfEPKPS3_EEvT1_iilPiilS8_bb,"axG",@progbits,_ZN9rocsolver6v33100L18getri_kernel_smallILi17E19rocblas_complex_numIfEPKPS3_EEvT1_iilPiilS8_bb,comdat
.Lfunc_end80:
	.size	_ZN9rocsolver6v33100L18getri_kernel_smallILi17E19rocblas_complex_numIfEPKPS3_EEvT1_iilPiilS8_bb, .Lfunc_end80-_ZN9rocsolver6v33100L18getri_kernel_smallILi17E19rocblas_complex_numIfEPKPS3_EEvT1_iilPiilS8_bb
                                        ; -- End function
	.set _ZN9rocsolver6v33100L18getri_kernel_smallILi17E19rocblas_complex_numIfEPKPS3_EEvT1_iilPiilS8_bb.num_vgpr, 116
	.set _ZN9rocsolver6v33100L18getri_kernel_smallILi17E19rocblas_complex_numIfEPKPS3_EEvT1_iilPiilS8_bb.num_agpr, 0
	.set _ZN9rocsolver6v33100L18getri_kernel_smallILi17E19rocblas_complex_numIfEPKPS3_EEvT1_iilPiilS8_bb.numbered_sgpr, 19
	.set _ZN9rocsolver6v33100L18getri_kernel_smallILi17E19rocblas_complex_numIfEPKPS3_EEvT1_iilPiilS8_bb.num_named_barrier, 0
	.set _ZN9rocsolver6v33100L18getri_kernel_smallILi17E19rocblas_complex_numIfEPKPS3_EEvT1_iilPiilS8_bb.private_seg_size, 144
	.set _ZN9rocsolver6v33100L18getri_kernel_smallILi17E19rocblas_complex_numIfEPKPS3_EEvT1_iilPiilS8_bb.uses_vcc, 1
	.set _ZN9rocsolver6v33100L18getri_kernel_smallILi17E19rocblas_complex_numIfEPKPS3_EEvT1_iilPiilS8_bb.uses_flat_scratch, 1
	.set _ZN9rocsolver6v33100L18getri_kernel_smallILi17E19rocblas_complex_numIfEPKPS3_EEvT1_iilPiilS8_bb.has_dyn_sized_stack, 0
	.set _ZN9rocsolver6v33100L18getri_kernel_smallILi17E19rocblas_complex_numIfEPKPS3_EEvT1_iilPiilS8_bb.has_recursion, 0
	.set _ZN9rocsolver6v33100L18getri_kernel_smallILi17E19rocblas_complex_numIfEPKPS3_EEvT1_iilPiilS8_bb.has_indirect_call, 0
	.section	.AMDGPU.csdata,"",@progbits
; Kernel info:
; codeLenInByte = 17704
; TotalNumSgprs: 21
; NumVgprs: 116
; ScratchSize: 144
; MemoryBound: 0
; FloatMode: 240
; IeeeMode: 1
; LDSByteSize: 280 bytes/workgroup (compile time only)
; SGPRBlocks: 0
; VGPRBlocks: 7
; NumSGPRsForWavesPerEU: 21
; NumVGPRsForWavesPerEU: 116
; NamedBarCnt: 0
; Occupancy: 8
; WaveLimiterHint : 1
; COMPUTE_PGM_RSRC2:SCRATCH_EN: 1
; COMPUTE_PGM_RSRC2:USER_SGPR: 2
; COMPUTE_PGM_RSRC2:TRAP_HANDLER: 0
; COMPUTE_PGM_RSRC2:TGID_X_EN: 1
; COMPUTE_PGM_RSRC2:TGID_Y_EN: 0
; COMPUTE_PGM_RSRC2:TGID_Z_EN: 0
; COMPUTE_PGM_RSRC2:TIDIG_COMP_CNT: 0
	.section	.text._ZN9rocsolver6v33100L18getri_kernel_smallILi18E19rocblas_complex_numIfEPKPS3_EEvT1_iilPiilS8_bb,"axG",@progbits,_ZN9rocsolver6v33100L18getri_kernel_smallILi18E19rocblas_complex_numIfEPKPS3_EEvT1_iilPiilS8_bb,comdat
	.globl	_ZN9rocsolver6v33100L18getri_kernel_smallILi18E19rocblas_complex_numIfEPKPS3_EEvT1_iilPiilS8_bb ; -- Begin function _ZN9rocsolver6v33100L18getri_kernel_smallILi18E19rocblas_complex_numIfEPKPS3_EEvT1_iilPiilS8_bb
	.p2align	8
	.type	_ZN9rocsolver6v33100L18getri_kernel_smallILi18E19rocblas_complex_numIfEPKPS3_EEvT1_iilPiilS8_bb,@function
_ZN9rocsolver6v33100L18getri_kernel_smallILi18E19rocblas_complex_numIfEPKPS3_EEvT1_iilPiilS8_bb: ; @_ZN9rocsolver6v33100L18getri_kernel_smallILi18E19rocblas_complex_numIfEPKPS3_EEvT1_iilPiilS8_bb
; %bb.0:
	s_mov_b32 s2, exec_lo
	v_cmpx_gt_u32_e32 18, v0
	s_cbranch_execz .LBB81_86
; %bb.1:
	s_clause 0x1
	s_load_b32 s13, s[0:1], 0x38
	s_load_b64 s[2:3], s[0:1], 0x0
	s_getreg_b32 s6, hwreg(HW_REG_IB_STS2, 6, 4)
	s_wait_kmcnt 0x0
	s_bitcmp1_b32 s13, 8
	s_cselect_b32 s12, -1, 0
	s_bfe_u32 s4, ttmp6, 0x4000c
	s_and_b32 s5, ttmp6, 15
	s_add_co_i32 s4, s4, 1
	s_delay_alu instid0(SALU_CYCLE_1) | instskip(NEXT) | instid1(SALU_CYCLE_1)
	s_mul_i32 s4, ttmp9, s4
	s_add_co_i32 s5, s5, s4
	s_cmp_eq_u32 s6, 0
	s_cselect_b32 s10, ttmp9, s5
	s_load_b128 s[4:7], s[0:1], 0x28
	s_ashr_i32 s11, s10, 31
	s_delay_alu instid0(SALU_CYCLE_1) | instskip(NEXT) | instid1(SALU_CYCLE_1)
	s_lshl_b64 s[8:9], s[10:11], 3
	s_add_nc_u64 s[2:3], s[2:3], s[8:9]
	s_bfe_u32 s8, s13, 0x10008
	s_load_b64 s[2:3], s[2:3], 0x0
	s_cmp_eq_u32 s8, 0
                                        ; implicit-def: $sgpr8_sgpr9
	s_cbranch_scc1 .LBB81_3
; %bb.2:
	s_load_b96 s[16:18], s[0:1], 0x18
	s_wait_kmcnt 0x0
	s_mul_u64 s[4:5], s[4:5], s[10:11]
	s_delay_alu instid0(SALU_CYCLE_1) | instskip(SKIP_4) | instid1(SALU_CYCLE_1)
	s_lshl_b64 s[4:5], s[4:5], 2
	s_ashr_i32 s9, s18, 31
	s_mov_b32 s8, s18
	s_add_nc_u64 s[4:5], s[16:17], s[4:5]
	s_lshl_b64 s[8:9], s[8:9], 2
	s_add_nc_u64 s[8:9], s[4:5], s[8:9]
.LBB81_3:
	s_wait_kmcnt 0x0
	s_clause 0x1
	s_load_b64 s[4:5], s[0:1], 0x8
	s_load_b32 s13, s[0:1], 0x38
	v_dual_mov_b32 v39, 0 :: v_dual_lshlrev_b32 v38, 3, v0
	s_wait_kmcnt 0x0
	s_ashr_i32 s1, s4, 31
	s_mov_b32 s0, s4
	s_delay_alu instid0(SALU_CYCLE_1) | instskip(NEXT) | instid1(SALU_CYCLE_1)
	s_lshl_b64 s[0:1], s[0:1], 3
	s_add_nc_u64 s[2:3], s[2:3], s[0:1]
	s_ashr_i32 s1, s5, 31
	flat_load_b64 v[6:7], v0, s[2:3] scale_offset
	v_add_nc_u64_e32 v[2:3], s[2:3], v[38:39]
	s_mov_b32 s0, s5
	s_bitcmp0_b32 s13, 0
	s_delay_alu instid0(VALU_DEP_1)
	v_lshl_add_u64 v[4:5], s[0:1], 3, v[2:3]
	s_mov_b32 s1, -1
	s_wait_loadcnt_dscnt 0x0
	scratch_store_b64 off, v[6:7], off
	flat_load_b64 v[8:9], v[4:5]
	s_wait_xcnt 0x1
	v_add3_u32 v6, s5, s5, v0
	s_wait_loadcnt_dscnt 0x0
	scratch_store_b64 off, v[8:9], off offset:8
	flat_load_b64 v[10:11], v6, s[2:3] scale_offset
	s_wait_xcnt 0x1
	v_add_nc_u32_e32 v8, s5, v6
	s_wait_loadcnt_dscnt 0x0
	scratch_store_b64 off, v[10:11], off offset:16
	flat_load_b64 v[12:13], v8, s[2:3] scale_offset
	s_wait_xcnt 0x1
	v_add_nc_u32_e32 v10, s5, v8
	;; [unrolled: 5-line block ×15, first 2 shown]
	s_wait_loadcnt_dscnt 0x0
	scratch_store_b64 off, v[40:41], off offset:128
	flat_load_b64 v[40:41], v36, s[2:3] scale_offset
	s_wait_loadcnt_dscnt 0x0
	scratch_store_b64 off, v[40:41], off offset:136
	s_cbranch_scc1 .LBB81_84
; %bb.4:
	v_cmp_eq_u32_e64 s0, 0, v0
	s_wait_xcnt 0x0
	s_and_saveexec_b32 s1, s0
; %bb.5:
	v_mov_b32_e32 v1, 0
	ds_store_b32 v1, v1 offset:288
; %bb.6:
	s_or_b32 exec_lo, exec_lo, s1
	s_wait_storecnt_dscnt 0x0
	s_barrier_signal -1
	s_barrier_wait -1
	scratch_load_b64 v[40:41], v0, off scale_offset
	s_wait_loadcnt 0x0
	v_cmp_eq_f32_e32 vcc_lo, 0, v40
	v_cmp_eq_f32_e64 s1, 0, v41
	s_and_b32 s1, vcc_lo, s1
	s_delay_alu instid0(SALU_CYCLE_1)
	s_and_saveexec_b32 s4, s1
	s_cbranch_execz .LBB81_10
; %bb.7:
	v_mov_b32_e32 v1, 0
	s_mov_b32 s5, 0
	ds_load_b32 v7, v1 offset:288
	s_wait_dscnt 0x0
	v_readfirstlane_b32 s1, v7
	v_add_nc_u32_e32 v7, 1, v0
	s_cmp_eq_u32 s1, 0
	s_delay_alu instid0(VALU_DEP_1) | instskip(SKIP_1) | instid1(SALU_CYCLE_1)
	v_cmp_gt_i32_e32 vcc_lo, s1, v7
	s_cselect_b32 s13, -1, 0
	s_or_b32 s13, s13, vcc_lo
	s_delay_alu instid0(SALU_CYCLE_1)
	s_and_b32 exec_lo, exec_lo, s13
	s_cbranch_execz .LBB81_10
; %bb.8:
	v_mov_b32_e32 v9, s1
.LBB81_9:                               ; =>This Inner Loop Header: Depth=1
	ds_cmpstore_rtn_b32 v9, v1, v7, v9 offset:288
	s_wait_dscnt 0x0
	v_cmp_ne_u32_e32 vcc_lo, 0, v9
	v_cmp_le_i32_e64 s1, v9, v7
	s_and_b32 s1, vcc_lo, s1
	s_delay_alu instid0(SALU_CYCLE_1) | instskip(NEXT) | instid1(SALU_CYCLE_1)
	s_and_b32 s1, exec_lo, s1
	s_or_b32 s5, s1, s5
	s_delay_alu instid0(SALU_CYCLE_1)
	s_and_not1_b32 exec_lo, exec_lo, s5
	s_cbranch_execnz .LBB81_9
.LBB81_10:
	s_or_b32 exec_lo, exec_lo, s4
	v_mov_b32_e32 v1, 0
	s_barrier_signal -1
	s_barrier_wait -1
	ds_load_b32 v7, v1 offset:288
	s_and_saveexec_b32 s1, s0
	s_cbranch_execz .LBB81_12
; %bb.11:
	s_lshl_b64 s[4:5], s[10:11], 2
	s_delay_alu instid0(SALU_CYCLE_1)
	s_add_nc_u64 s[4:5], s[6:7], s[4:5]
	s_wait_dscnt 0x0
	global_store_b32 v1, v7, s[4:5]
.LBB81_12:
	s_wait_xcnt 0x0
	s_or_b32 exec_lo, exec_lo, s1
	s_wait_dscnt 0x0
	v_cmp_ne_u32_e32 vcc_lo, 0, v7
	s_mov_b32 s1, 0
	s_cbranch_vccnz .LBB81_84
; %bb.13:
	v_lshl_add_u32 v7, v0, 3, 0
                                        ; implicit-def: $vgpr43
                                        ; implicit-def: $vgpr44
	scratch_load_b64 v[40:41], v7, off
	s_wait_loadcnt 0x0
	v_cmp_ngt_f32_e64 s1, |v40|, |v41|
	s_wait_xcnt 0x0
	s_and_saveexec_b32 s4, s1
	s_delay_alu instid0(SALU_CYCLE_1)
	s_xor_b32 s1, exec_lo, s4
	s_cbranch_execz .LBB81_15
; %bb.14:
	v_div_scale_f32 v1, null, v41, v41, v40
	v_div_scale_f32 v13, vcc_lo, v40, v41, v40
	s_delay_alu instid0(VALU_DEP_2) | instskip(SKIP_1) | instid1(TRANS32_DEP_1)
	v_rcp_f32_e32 v9, v1
	v_nop
	v_fma_f32 v11, -v1, v9, 1.0
	s_delay_alu instid0(VALU_DEP_1) | instskip(NEXT) | instid1(VALU_DEP_1)
	v_fmac_f32_e32 v9, v11, v9
	v_mul_f32_e32 v11, v13, v9
	s_delay_alu instid0(VALU_DEP_1) | instskip(NEXT) | instid1(VALU_DEP_1)
	v_fma_f32 v15, -v1, v11, v13
	v_fmac_f32_e32 v11, v15, v9
	s_delay_alu instid0(VALU_DEP_1) | instskip(NEXT) | instid1(VALU_DEP_1)
	v_fma_f32 v1, -v1, v11, v13
	v_div_fmas_f32 v1, v1, v9, v11
	s_delay_alu instid0(VALU_DEP_1) | instskip(NEXT) | instid1(VALU_DEP_1)
	v_div_fixup_f32 v1, v1, v41, v40
	v_fmac_f32_e32 v41, v40, v1
	s_delay_alu instid0(VALU_DEP_1) | instskip(NEXT) | instid1(VALU_DEP_1)
	v_div_scale_f32 v9, null, v41, v41, -1.0
	v_rcp_f32_e32 v11, v9
	v_nop
	s_delay_alu instid0(TRANS32_DEP_1) | instskip(NEXT) | instid1(VALU_DEP_1)
	v_fma_f32 v13, -v9, v11, 1.0
	v_fmac_f32_e32 v11, v13, v11
	v_div_scale_f32 v13, vcc_lo, -1.0, v41, -1.0
	s_delay_alu instid0(VALU_DEP_1) | instskip(NEXT) | instid1(VALU_DEP_1)
	v_mul_f32_e32 v15, v13, v11
	v_fma_f32 v17, -v9, v15, v13
	s_delay_alu instid0(VALU_DEP_1) | instskip(NEXT) | instid1(VALU_DEP_1)
	v_fmac_f32_e32 v15, v17, v11
	v_fma_f32 v9, -v9, v15, v13
	s_delay_alu instid0(VALU_DEP_1) | instskip(NEXT) | instid1(VALU_DEP_1)
	v_div_fmas_f32 v9, v9, v11, v15
	v_div_fixup_f32 v43, v9, v41, -1.0
                                        ; implicit-def: $vgpr40_vgpr41
	s_delay_alu instid0(VALU_DEP_1) | instskip(NEXT) | instid1(VALU_DEP_1)
	v_mul_f32_e32 v44, v1, v43
	v_xor_b32_e32 v42, 0x80000000, v44
.LBB81_15:
	s_and_not1_saveexec_b32 s1, s1
	s_cbranch_execz .LBB81_17
; %bb.16:
	v_div_scale_f32 v1, null, v40, v40, v41
	v_div_scale_f32 v13, vcc_lo, v41, v40, v41
	s_delay_alu instid0(VALU_DEP_2) | instskip(SKIP_1) | instid1(TRANS32_DEP_1)
	v_rcp_f32_e32 v9, v1
	v_nop
	v_fma_f32 v11, -v1, v9, 1.0
	s_delay_alu instid0(VALU_DEP_1) | instskip(NEXT) | instid1(VALU_DEP_1)
	v_fmac_f32_e32 v9, v11, v9
	v_mul_f32_e32 v11, v13, v9
	s_delay_alu instid0(VALU_DEP_1) | instskip(NEXT) | instid1(VALU_DEP_1)
	v_fma_f32 v15, -v1, v11, v13
	v_fmac_f32_e32 v11, v15, v9
	s_delay_alu instid0(VALU_DEP_1) | instskip(NEXT) | instid1(VALU_DEP_1)
	v_fma_f32 v1, -v1, v11, v13
	v_div_fmas_f32 v1, v1, v9, v11
	s_delay_alu instid0(VALU_DEP_1) | instskip(NEXT) | instid1(VALU_DEP_1)
	v_div_fixup_f32 v1, v1, v40, v41
	v_fmac_f32_e32 v40, v41, v1
	s_delay_alu instid0(VALU_DEP_1) | instskip(SKIP_1) | instid1(VALU_DEP_2)
	v_div_scale_f32 v9, null, v40, v40, 1.0
	v_div_scale_f32 v15, vcc_lo, 1.0, v40, 1.0
	v_rcp_f32_e32 v11, v9
	v_nop
	s_delay_alu instid0(TRANS32_DEP_1) | instskip(NEXT) | instid1(VALU_DEP_1)
	v_fma_f32 v13, -v9, v11, 1.0
	v_fmac_f32_e32 v11, v13, v11
	s_delay_alu instid0(VALU_DEP_1) | instskip(NEXT) | instid1(VALU_DEP_1)
	v_mul_f32_e32 v13, v15, v11
	v_fma_f32 v17, -v9, v13, v15
	s_delay_alu instid0(VALU_DEP_1) | instskip(NEXT) | instid1(VALU_DEP_1)
	v_fmac_f32_e32 v13, v17, v11
	v_fma_f32 v9, -v9, v13, v15
	s_delay_alu instid0(VALU_DEP_1) | instskip(NEXT) | instid1(VALU_DEP_1)
	v_div_fmas_f32 v9, v9, v11, v13
	v_div_fixup_f32 v42, v9, v40, 1.0
	s_delay_alu instid0(VALU_DEP_1)
	v_xor_b32_e32 v44, 0x80000000, v42
	v_mul_f32_e64 v43, v1, -v42
.LBB81_17:
	s_or_b32 exec_lo, exec_lo, s1
	scratch_store_b64 v7, v[42:43], off
	scratch_load_b64 v[40:41], off, off offset:8
	v_xor_b32_e32 v45, 0x80000000, v43
	v_add_nc_u32_e32 v1, 0x90, v38
	s_wait_loadcnt 0x0
	ds_store_2addr_b64 v38, v[44:45], v[40:41] offset1:18
	s_wait_storecnt_dscnt 0x0
	s_barrier_signal -1
	s_barrier_wait -1
	s_wait_xcnt 0x0
	s_and_saveexec_b32 s1, s0
	s_cbranch_execz .LBB81_19
; %bb.18:
	scratch_load_b64 v[40:41], v7, off
	ds_load_b64 v[42:43], v1
	s_wait_loadcnt_dscnt 0x0
	v_pk_mul_f32 v[46:47], v[42:43], v[40:41] op_sel:[1,1] op_sel_hi:[0,1]
	s_delay_alu instid0(VALU_DEP_1) | instskip(SKIP_2) | instid1(VALU_DEP_3)
	v_pk_fma_f32 v[48:49], v[42:43], v[40:41], v[46:47] op_sel_hi:[1,0,1]
	v_mov_b32_e32 v9, 0
	v_pk_fma_f32 v[40:41], v[42:43], v[40:41], v[46:47] neg_lo:[0,0,1] neg_hi:[0,0,1]
	v_mov_b32_e32 v41, v49
	ds_load_b64 v[44:45], v9 offset:8
	v_pk_add_f32 v[40:41], v[40:41], 0 op_sel_hi:[1,0]
	s_wait_dscnt 0x0
	s_delay_alu instid0(VALU_DEP_1) | instskip(NEXT) | instid1(VALU_DEP_1)
	v_pk_mul_f32 v[42:43], v[40:41], v[44:45] op_sel:[1,1] op_sel_hi:[0,1]
	v_pk_fma_f32 v[46:47], v[40:41], v[44:45], v[42:43] op_sel_hi:[1,0,1]
	v_pk_fma_f32 v[40:41], v[40:41], v[44:45], v[42:43] neg_lo:[0,0,1] neg_hi:[0,0,1]
	s_delay_alu instid0(VALU_DEP_2)
	v_mov_b32_e32 v41, v47
	scratch_store_b64 off, v[40:41], off offset:8
.LBB81_19:
	s_wait_xcnt 0x0
	s_or_b32 exec_lo, exec_lo, s1
	s_wait_storecnt 0x0
	s_barrier_signal -1
	s_barrier_wait -1
	scratch_load_b64 v[40:41], off, off offset:16
	s_mov_b32 s1, exec_lo
	s_wait_loadcnt 0x0
	ds_store_b64 v1, v[40:41]
	s_wait_dscnt 0x0
	s_barrier_signal -1
	s_barrier_wait -1
	v_cmpx_gt_u32_e32 2, v0
	s_cbranch_execz .LBB81_23
; %bb.20:
	scratch_load_b64 v[40:41], v7, off
	ds_load_b64 v[42:43], v1
	s_wait_loadcnt_dscnt 0x0
	v_pk_mul_f32 v[44:45], v[42:43], v[40:41] op_sel:[1,1] op_sel_hi:[0,1]
	s_delay_alu instid0(VALU_DEP_1) | instskip(SKIP_1) | instid1(VALU_DEP_2)
	v_pk_fma_f32 v[46:47], v[42:43], v[40:41], v[44:45] op_sel_hi:[1,0,1]
	v_pk_fma_f32 v[40:41], v[42:43], v[40:41], v[44:45] neg_lo:[0,0,1] neg_hi:[0,0,1]
	v_mov_b32_e32 v41, v47
	s_delay_alu instid0(VALU_DEP_1)
	v_pk_add_f32 v[40:41], v[40:41], 0 op_sel_hi:[1,0]
	s_and_saveexec_b32 s4, s0
	s_cbranch_execz .LBB81_22
; %bb.21:
	scratch_load_b64 v[42:43], off, off offset:8
	v_mov_b32_e32 v7, 0
	ds_load_b64 v[44:45], v7 offset:152
	s_wait_loadcnt_dscnt 0x0
	v_pk_mul_f32 v[46:47], v[44:45], v[42:43] op_sel:[1,1] op_sel_hi:[0,1]
	s_delay_alu instid0(VALU_DEP_1) | instskip(SKIP_1) | instid1(VALU_DEP_2)
	v_pk_fma_f32 v[48:49], v[44:45], v[42:43], v[46:47] op_sel_hi:[1,0,1]
	v_pk_fma_f32 v[42:43], v[44:45], v[42:43], v[46:47] neg_lo:[0,0,1] neg_hi:[0,0,1]
	v_mov_b32_e32 v43, v49
	s_delay_alu instid0(VALU_DEP_1)
	v_pk_add_f32 v[40:41], v[40:41], v[42:43]
.LBB81_22:
	s_or_b32 exec_lo, exec_lo, s4
	v_mov_b32_e32 v7, 0
	ds_load_b64 v[42:43], v7 offset:16
	s_wait_dscnt 0x0
	v_pk_mul_f32 v[44:45], v[40:41], v[42:43] op_sel:[1,1] op_sel_hi:[0,1]
	s_delay_alu instid0(VALU_DEP_1) | instskip(SKIP_1) | instid1(VALU_DEP_2)
	v_pk_fma_f32 v[46:47], v[40:41], v[42:43], v[44:45] op_sel_hi:[1,0,1]
	v_pk_fma_f32 v[40:41], v[40:41], v[42:43], v[44:45] neg_lo:[0,0,1] neg_hi:[0,0,1]
	v_mov_b32_e32 v41, v47
	scratch_store_b64 off, v[40:41], off offset:16
.LBB81_23:
	s_wait_xcnt 0x0
	s_or_b32 exec_lo, exec_lo, s1
	s_wait_storecnt 0x0
	s_barrier_signal -1
	s_barrier_wait -1
	scratch_load_b64 v[40:41], off, off offset:24
	v_add_nc_u32_e32 v7, -1, v0
	s_mov_b32 s0, exec_lo
	s_wait_loadcnt 0x0
	ds_store_b64 v1, v[40:41]
	s_wait_dscnt 0x0
	s_barrier_signal -1
	s_barrier_wait -1
	v_cmpx_gt_u32_e32 3, v0
	s_cbranch_execz .LBB81_27
; %bb.24:
	v_dual_mov_b32 v40, 0 :: v_dual_add_nc_u32 v9, -1, v0
	v_add_nc_u32_e32 v11, 0x90, v38
	v_mov_b32_e32 v13, v38
	s_mov_b32 s1, 0
	s_delay_alu instid0(VALU_DEP_3)
	v_mov_b32_e32 v41, v40
.LBB81_25:                              ; =>This Inner Loop Header: Depth=1
	scratch_load_b64 v[42:43], v13, off
	ds_load_b64 v[44:45], v11
	s_wait_xcnt 0x0
	v_dual_add_nc_u32 v11, 8, v11 :: v_dual_add_nc_u32 v13, 8, v13
	s_wait_loadcnt_dscnt 0x0
	v_pk_mul_f32 v[46:47], v[44:45], v[42:43] op_sel:[1,1] op_sel_hi:[0,1]
	s_delay_alu instid0(VALU_DEP_1) | instskip(SKIP_2) | instid1(VALU_DEP_3)
	v_pk_fma_f32 v[48:49], v[44:45], v[42:43], v[46:47] op_sel_hi:[1,0,1]
	v_add_nc_u32_e32 v9, 1, v9
	v_pk_fma_f32 v[42:43], v[44:45], v[42:43], v[46:47] neg_lo:[0,0,1] neg_hi:[0,0,1]
	v_mov_b32_e32 v43, v49
	s_delay_alu instid0(VALU_DEP_3) | instskip(NEXT) | instid1(VALU_DEP_2)
	v_cmp_lt_u32_e32 vcc_lo, 1, v9
	v_pk_add_f32 v[40:41], v[40:41], v[42:43]
	s_or_b32 s1, vcc_lo, s1
	s_delay_alu instid0(SALU_CYCLE_1)
	s_and_not1_b32 exec_lo, exec_lo, s1
	s_cbranch_execnz .LBB81_25
; %bb.26:
	s_or_b32 exec_lo, exec_lo, s1
	v_mov_b32_e32 v9, 0
	ds_load_b64 v[42:43], v9 offset:24
	s_wait_dscnt 0x0
	v_pk_mul_f32 v[44:45], v[40:41], v[42:43] op_sel:[1,1] op_sel_hi:[0,1]
	s_delay_alu instid0(VALU_DEP_1) | instskip(SKIP_1) | instid1(VALU_DEP_2)
	v_pk_fma_f32 v[46:47], v[40:41], v[42:43], v[44:45] op_sel_hi:[1,0,1]
	v_pk_fma_f32 v[40:41], v[40:41], v[42:43], v[44:45] neg_lo:[0,0,1] neg_hi:[0,0,1]
	v_mov_b32_e32 v41, v47
	scratch_store_b64 off, v[40:41], off offset:24
.LBB81_27:
	s_wait_xcnt 0x0
	s_or_b32 exec_lo, exec_lo, s0
	s_wait_storecnt 0x0
	s_barrier_signal -1
	s_barrier_wait -1
	scratch_load_b64 v[40:41], off, off offset:32
	s_mov_b32 s0, exec_lo
	s_wait_loadcnt 0x0
	ds_store_b64 v1, v[40:41]
	s_wait_dscnt 0x0
	s_barrier_signal -1
	s_barrier_wait -1
	v_cmpx_gt_u32_e32 4, v0
	s_cbranch_execz .LBB81_31
; %bb.28:
	v_dual_mov_b32 v40, 0 :: v_dual_add_nc_u32 v9, -1, v0
	v_add_nc_u32_e32 v11, 0x90, v38
	v_mov_b32_e32 v13, v38
	s_mov_b32 s1, 0
	s_delay_alu instid0(VALU_DEP_3)
	v_mov_b32_e32 v41, v40
.LBB81_29:                              ; =>This Inner Loop Header: Depth=1
	scratch_load_b64 v[42:43], v13, off
	ds_load_b64 v[44:45], v11
	s_wait_xcnt 0x0
	v_dual_add_nc_u32 v11, 8, v11 :: v_dual_add_nc_u32 v13, 8, v13
	s_wait_loadcnt_dscnt 0x0
	v_pk_mul_f32 v[46:47], v[44:45], v[42:43] op_sel:[1,1] op_sel_hi:[0,1]
	s_delay_alu instid0(VALU_DEP_1) | instskip(SKIP_2) | instid1(VALU_DEP_3)
	v_pk_fma_f32 v[48:49], v[44:45], v[42:43], v[46:47] op_sel_hi:[1,0,1]
	v_add_nc_u32_e32 v9, 1, v9
	v_pk_fma_f32 v[42:43], v[44:45], v[42:43], v[46:47] neg_lo:[0,0,1] neg_hi:[0,0,1]
	v_mov_b32_e32 v43, v49
	s_delay_alu instid0(VALU_DEP_3) | instskip(NEXT) | instid1(VALU_DEP_2)
	v_cmp_lt_u32_e32 vcc_lo, 2, v9
	v_pk_add_f32 v[40:41], v[40:41], v[42:43]
	s_or_b32 s1, vcc_lo, s1
	s_delay_alu instid0(SALU_CYCLE_1)
	s_and_not1_b32 exec_lo, exec_lo, s1
	s_cbranch_execnz .LBB81_29
; %bb.30:
	s_or_b32 exec_lo, exec_lo, s1
	v_mov_b32_e32 v9, 0
	ds_load_b64 v[42:43], v9 offset:32
	s_wait_dscnt 0x0
	v_pk_mul_f32 v[44:45], v[40:41], v[42:43] op_sel:[1,1] op_sel_hi:[0,1]
	s_delay_alu instid0(VALU_DEP_1) | instskip(SKIP_1) | instid1(VALU_DEP_2)
	v_pk_fma_f32 v[46:47], v[40:41], v[42:43], v[44:45] op_sel_hi:[1,0,1]
	v_pk_fma_f32 v[40:41], v[40:41], v[42:43], v[44:45] neg_lo:[0,0,1] neg_hi:[0,0,1]
	v_mov_b32_e32 v41, v47
	scratch_store_b64 off, v[40:41], off offset:32
.LBB81_31:
	s_wait_xcnt 0x0
	s_or_b32 exec_lo, exec_lo, s0
	s_wait_storecnt 0x0
	s_barrier_signal -1
	s_barrier_wait -1
	scratch_load_b64 v[40:41], off, off offset:40
	;; [unrolled: 52-line block ×14, first 2 shown]
	s_mov_b32 s0, exec_lo
	s_wait_loadcnt 0x0
	ds_store_b64 v1, v[40:41]
	s_wait_dscnt 0x0
	s_barrier_signal -1
	s_barrier_wait -1
	v_cmpx_ne_u32_e32 17, v0
	s_cbranch_execz .LBB81_83
; %bb.80:
	v_dual_mov_b32 v40, 0 :: v_dual_mov_b32 v9, v38
	s_mov_b32 s1, 0
	s_delay_alu instid0(VALU_DEP_1)
	v_mov_b32_e32 v41, v40
.LBB81_81:                              ; =>This Inner Loop Header: Depth=1
	scratch_load_b64 v[38:39], v9, off
	ds_load_b64 v[42:43], v1
	v_add_nc_u32_e32 v1, 8, v1
	s_wait_xcnt 0x0
	v_add_nc_u32_e32 v9, 8, v9
	s_wait_loadcnt_dscnt 0x0
	v_pk_mul_f32 v[44:45], v[42:43], v[38:39] op_sel:[1,1] op_sel_hi:[0,1]
	s_delay_alu instid0(VALU_DEP_1) | instskip(SKIP_2) | instid1(VALU_DEP_3)
	v_pk_fma_f32 v[46:47], v[42:43], v[38:39], v[44:45] op_sel_hi:[1,0,1]
	v_add_nc_u32_e32 v7, 1, v7
	v_pk_fma_f32 v[38:39], v[42:43], v[38:39], v[44:45] neg_lo:[0,0,1] neg_hi:[0,0,1]
	v_mov_b32_e32 v39, v47
	s_delay_alu instid0(VALU_DEP_3) | instskip(NEXT) | instid1(VALU_DEP_2)
	v_cmp_lt_u32_e32 vcc_lo, 15, v7
	v_pk_add_f32 v[40:41], v[40:41], v[38:39]
	s_or_b32 s1, vcc_lo, s1
	s_delay_alu instid0(SALU_CYCLE_1)
	s_and_not1_b32 exec_lo, exec_lo, s1
	s_cbranch_execnz .LBB81_81
; %bb.82:
	s_or_b32 exec_lo, exec_lo, s1
	v_mov_b32_e32 v1, 0
	ds_load_b64 v[38:39], v1 offset:136
	s_wait_dscnt 0x0
	v_pk_mul_f32 v[42:43], v[40:41], v[38:39] op_sel:[1,1] op_sel_hi:[0,1]
	s_delay_alu instid0(VALU_DEP_1) | instskip(SKIP_1) | instid1(VALU_DEP_2)
	v_pk_fma_f32 v[44:45], v[40:41], v[38:39], v[42:43] op_sel_hi:[1,0,1]
	v_pk_fma_f32 v[38:39], v[40:41], v[38:39], v[42:43] neg_lo:[0,0,1] neg_hi:[0,0,1]
	v_mov_b32_e32 v39, v45
	scratch_store_b64 off, v[38:39], off offset:136
.LBB81_83:
	s_wait_xcnt 0x0
	s_or_b32 exec_lo, exec_lo, s0
	s_mov_b32 s1, -1
	s_wait_storecnt 0x0
	s_barrier_signal -1
	s_barrier_wait -1
.LBB81_84:
	s_and_b32 vcc_lo, exec_lo, s1
	s_cbranch_vccz .LBB81_86
; %bb.85:
	v_mov_b32_e32 v1, 0
	s_lshl_b64 s[0:1], s[10:11], 2
	s_delay_alu instid0(SALU_CYCLE_1)
	s_add_nc_u64 s[0:1], s[6:7], s[0:1]
	global_load_b32 v1, v1, s[0:1]
	s_wait_loadcnt 0x0
	v_cmp_ne_u32_e32 vcc_lo, 0, v1
	s_cbranch_vccz .LBB81_87
.LBB81_86:
	s_sendmsg sendmsg(MSG_DEALLOC_VGPRS)
	s_endpgm
.LBB81_87:
	s_wait_xcnt 0x0
	v_lshl_add_u32 v1, v0, 3, 0x90
	s_mov_b32 s0, exec_lo
	v_cmpx_eq_u32_e32 17, v0
	s_cbranch_execz .LBB81_89
; %bb.88:
	scratch_load_b64 v[38:39], off, off offset:128
	v_mov_b64_e32 v[40:41], 0
	scratch_store_b64 off, v[40:41], off offset:128
	s_wait_loadcnt 0x0
	ds_store_b64 v1, v[38:39]
.LBB81_89:
	s_wait_xcnt 0x0
	s_or_b32 exec_lo, exec_lo, s0
	s_wait_storecnt_dscnt 0x0
	s_barrier_signal -1
	s_barrier_wait -1
	s_clause 0x1
	scratch_load_b64 v[38:39], off, off offset:136
	scratch_load_b64 v[40:41], off, off offset:128
	v_mov_b32_e32 v7, 0
	s_mov_b32 s0, exec_lo
	ds_load_b64 v[42:43], v7 offset:280
	s_wait_loadcnt_dscnt 0x100
	v_pk_mul_f32 v[44:45], v[42:43], v[38:39] op_sel:[1,1] op_sel_hi:[0,1]
	s_delay_alu instid0(VALU_DEP_1) | instskip(SKIP_1) | instid1(VALU_DEP_2)
	v_pk_fma_f32 v[46:47], v[42:43], v[38:39], v[44:45] op_sel_hi:[1,0,1]
	v_pk_fma_f32 v[38:39], v[42:43], v[38:39], v[44:45] neg_lo:[0,0,1] neg_hi:[0,0,1]
	v_mov_b32_e32 v39, v47
	s_delay_alu instid0(VALU_DEP_1) | instskip(SKIP_1) | instid1(VALU_DEP_1)
	v_pk_add_f32 v[38:39], v[38:39], 0 op_sel_hi:[1,0]
	s_wait_loadcnt 0x0
	v_pk_add_f32 v[38:39], v[40:41], v[38:39] neg_lo:[0,1] neg_hi:[0,1]
	scratch_store_b64 off, v[38:39], off offset:128
	s_wait_xcnt 0x0
	v_cmpx_lt_u32_e32 15, v0
	s_cbranch_execz .LBB81_91
; %bb.90:
	scratch_load_b64 v[38:39], off, off offset:120
	v_mov_b64_e32 v[40:41], 0
	scratch_store_b64 off, v[40:41], off offset:120
	s_wait_loadcnt 0x0
	ds_store_b64 v1, v[38:39]
.LBB81_91:
	s_wait_xcnt 0x0
	s_or_b32 exec_lo, exec_lo, s0
	s_wait_storecnt_dscnt 0x0
	s_barrier_signal -1
	s_barrier_wait -1
	s_clause 0x1
	scratch_load_b128 v[38:41], off, off offset:128
	scratch_load_b64 v[46:47], off, off offset:120
	ds_load_b128 v[42:45], v7 offset:272
	s_mov_b32 s0, exec_lo
	s_wait_dscnt 0x0
	v_dual_mov_b32 v48, v45 :: v_dual_mov_b32 v49, v44
	s_wait_loadcnt 0x1
	v_pk_mul_f32 v[50:51], v[42:43], v[38:39] op_sel:[1,1] op_sel_hi:[0,1]
	s_delay_alu instid0(VALU_DEP_1) | instskip(SKIP_2) | instid1(VALU_DEP_3)
	v_pk_fma_f32 v[54:55], v[42:43], v[38:39], v[50:51] op_sel_hi:[1,0,1]
	v_mov_b32_e32 v52, v41
	v_pk_fma_f32 v[38:39], v[42:43], v[38:39], v[50:51] neg_lo:[0,0,1] neg_hi:[0,0,1]
	v_mov_b32_e32 v39, v55
	s_delay_alu instid0(VALU_DEP_3) | instskip(NEXT) | instid1(VALU_DEP_2)
	v_pk_mul_f32 v[48:49], v[48:49], v[52:53] op_sel_hi:[1,0]
	v_pk_add_f32 v[38:39], v[38:39], 0 op_sel_hi:[1,0]
	s_delay_alu instid0(VALU_DEP_2) | instskip(SKIP_1) | instid1(VALU_DEP_2)
	v_pk_fma_f32 v[42:43], v[44:45], v[40:41], v[48:49] op_sel_hi:[1,0,1]
	v_pk_fma_f32 v[40:41], v[44:45], v[40:41], v[48:49] neg_lo:[0,0,1] neg_hi:[0,0,1]
	v_mov_b32_e32 v41, v43
	s_delay_alu instid0(VALU_DEP_1) | instskip(SKIP_1) | instid1(VALU_DEP_1)
	v_pk_add_f32 v[38:39], v[38:39], v[40:41]
	s_wait_loadcnt 0x0
	v_pk_add_f32 v[38:39], v[46:47], v[38:39] neg_lo:[0,1] neg_hi:[0,1]
	scratch_store_b64 off, v[38:39], off offset:120
	s_wait_xcnt 0x0
	v_cmpx_lt_u32_e32 14, v0
	s_cbranch_execz .LBB81_93
; %bb.92:
	scratch_load_b64 v[38:39], off, off offset:112
	v_mov_b64_e32 v[40:41], 0
	scratch_store_b64 off, v[40:41], off offset:112
	s_wait_loadcnt 0x0
	ds_store_b64 v1, v[38:39]
.LBB81_93:
	s_wait_xcnt 0x0
	s_or_b32 exec_lo, exec_lo, s0
	s_wait_storecnt_dscnt 0x0
	s_barrier_signal -1
	s_barrier_wait -1
	s_clause 0x2
	scratch_load_b128 v[38:41], off, off offset:120
	scratch_load_b64 v[46:47], off, off offset:136
	scratch_load_b64 v[48:49], off, off offset:112
	v_mov_b32_e32 v7, 0
	ds_load_2addr_b64 v[42:45], v7 offset0:33 offset1:34
	ds_load_b64 v[50:51], v7 offset:280
	s_mov_b32 s0, exec_lo
	s_wait_dscnt 0x1
	v_dual_mov_b32 v52, v45 :: v_dual_mov_b32 v53, v44
	s_wait_loadcnt 0x2
	v_mov_b32_e32 v56, v41
	v_pk_mul_f32 v[54:55], v[42:43], v[38:39] op_sel:[1,1] op_sel_hi:[0,1]
	s_delay_alu instid0(VALU_DEP_2) | instskip(NEXT) | instid1(VALU_DEP_2)
	v_pk_mul_f32 v[52:53], v[52:53], v[56:57] op_sel_hi:[1,0]
	v_pk_fma_f32 v[58:59], v[42:43], v[38:39], v[54:55] op_sel_hi:[1,0,1]
	v_pk_fma_f32 v[38:39], v[42:43], v[38:39], v[54:55] neg_lo:[0,0,1] neg_hi:[0,0,1]
	s_wait_loadcnt_dscnt 0x100
	v_pk_mul_f32 v[54:55], v[50:51], v[46:47] op_sel:[1,1] op_sel_hi:[0,1]
	v_pk_fma_f32 v[42:43], v[44:45], v[40:41], v[52:53] op_sel_hi:[1,0,1]
	v_mov_b32_e32 v39, v59
	v_pk_fma_f32 v[40:41], v[44:45], v[40:41], v[52:53] neg_lo:[0,0,1] neg_hi:[0,0,1]
	s_delay_alu instid0(VALU_DEP_4) | instskip(NEXT) | instid1(VALU_DEP_4)
	v_pk_fma_f32 v[44:45], v[50:51], v[46:47], v[54:55] neg_lo:[0,0,1] neg_hi:[0,0,1]
	v_mov_b32_e32 v41, v43
	s_delay_alu instid0(VALU_DEP_4) | instskip(SKIP_1) | instid1(VALU_DEP_2)
	v_pk_add_f32 v[38:39], v[38:39], 0 op_sel_hi:[1,0]
	v_pk_fma_f32 v[42:43], v[50:51], v[46:47], v[54:55] op_sel_hi:[1,0,1]
	v_pk_add_f32 v[38:39], v[38:39], v[40:41]
	s_delay_alu instid0(VALU_DEP_2) | instskip(NEXT) | instid1(VALU_DEP_1)
	v_mov_b32_e32 v45, v43
	v_pk_add_f32 v[38:39], v[38:39], v[44:45]
	s_wait_loadcnt 0x0
	s_delay_alu instid0(VALU_DEP_1)
	v_pk_add_f32 v[38:39], v[48:49], v[38:39] neg_lo:[0,1] neg_hi:[0,1]
	scratch_store_b64 off, v[38:39], off offset:112
	s_wait_xcnt 0x0
	v_cmpx_lt_u32_e32 13, v0
	s_cbranch_execz .LBB81_95
; %bb.94:
	scratch_load_b64 v[38:39], off, off offset:104
	v_mov_b64_e32 v[40:41], 0
	scratch_store_b64 off, v[40:41], off offset:104
	s_wait_loadcnt 0x0
	ds_store_b64 v1, v[38:39]
.LBB81_95:
	s_wait_xcnt 0x0
	s_or_b32 exec_lo, exec_lo, s0
	s_wait_storecnt_dscnt 0x0
	s_barrier_signal -1
	s_barrier_wait -1
	s_clause 0x2
	scratch_load_b128 v[38:41], off, off offset:112
	scratch_load_b128 v[42:45], off, off offset:128
	scratch_load_b64 v[54:55], off, off offset:104
	ds_load_b128 v[46:49], v7 offset:256
	ds_load_b128 v[50:53], v7 offset:272
	s_mov_b32 s0, exec_lo
	s_wait_dscnt 0x1
	v_dual_mov_b32 v56, v49 :: v_dual_mov_b32 v57, v48
	s_wait_loadcnt_dscnt 0x200
	v_dual_mov_b32 v62, v53 :: v_dual_mov_b32 v60, v41
	v_pk_mul_f32 v[58:59], v[46:47], v[38:39] op_sel:[1,1] op_sel_hi:[0,1]
	s_delay_alu instid0(VALU_DEP_2) | instskip(NEXT) | instid1(VALU_DEP_2)
	v_pk_mul_f32 v[56:57], v[56:57], v[60:61] op_sel_hi:[1,0]
	v_pk_fma_f32 v[64:65], v[46:47], v[38:39], v[58:59] op_sel_hi:[1,0,1]
	v_pk_fma_f32 v[38:39], v[46:47], v[38:39], v[58:59] neg_lo:[0,0,1] neg_hi:[0,0,1]
	v_mov_b32_e32 v63, v52
	s_wait_loadcnt 0x1
	v_pk_mul_f32 v[60:61], v[50:51], v[42:43] op_sel:[1,1] op_sel_hi:[0,1]
	v_pk_fma_f32 v[46:47], v[48:49], v[40:41], v[56:57] op_sel_hi:[1,0,1]
	v_dual_mov_b32 v39, v65 :: v_dual_mov_b32 v46, v45
	v_pk_fma_f32 v[40:41], v[48:49], v[40:41], v[56:57] neg_lo:[0,0,1] neg_hi:[0,0,1]
	s_delay_alu instid0(VALU_DEP_4) | instskip(NEXT) | instid1(VALU_DEP_4)
	v_pk_fma_f32 v[58:59], v[50:51], v[42:43], v[60:61] op_sel_hi:[1,0,1]
	v_mov_b32_e32 v41, v47
	s_delay_alu instid0(VALU_DEP_4) | instskip(SKIP_2) | instid1(VALU_DEP_3)
	v_pk_add_f32 v[38:39], v[38:39], 0 op_sel_hi:[1,0]
	v_pk_mul_f32 v[46:47], v[62:63], v[46:47] op_sel_hi:[1,0]
	v_pk_fma_f32 v[42:43], v[50:51], v[42:43], v[60:61] neg_lo:[0,0,1] neg_hi:[0,0,1]
	v_pk_add_f32 v[38:39], v[38:39], v[40:41]
	s_delay_alu instid0(VALU_DEP_3) | instskip(SKIP_2) | instid1(VALU_DEP_3)
	v_pk_fma_f32 v[40:41], v[52:53], v[44:45], v[46:47] op_sel_hi:[1,0,1]
	v_mov_b32_e32 v43, v59
	v_pk_fma_f32 v[44:45], v[52:53], v[44:45], v[46:47] neg_lo:[0,0,1] neg_hi:[0,0,1]
	v_mov_b32_e32 v45, v41
	s_delay_alu instid0(VALU_DEP_3) | instskip(NEXT) | instid1(VALU_DEP_1)
	v_pk_add_f32 v[38:39], v[38:39], v[42:43]
	v_pk_add_f32 v[38:39], v[38:39], v[44:45]
	s_wait_loadcnt 0x0
	s_delay_alu instid0(VALU_DEP_1)
	v_pk_add_f32 v[38:39], v[54:55], v[38:39] neg_lo:[0,1] neg_hi:[0,1]
	scratch_store_b64 off, v[38:39], off offset:104
	s_wait_xcnt 0x0
	v_cmpx_lt_u32_e32 12, v0
	s_cbranch_execz .LBB81_97
; %bb.96:
	scratch_load_b64 v[38:39], off, off offset:96
	v_mov_b64_e32 v[40:41], 0
	scratch_store_b64 off, v[40:41], off offset:96
	s_wait_loadcnt 0x0
	ds_store_b64 v1, v[38:39]
.LBB81_97:
	s_wait_xcnt 0x0
	s_or_b32 exec_lo, exec_lo, s0
	s_wait_storecnt_dscnt 0x0
	s_barrier_signal -1
	s_barrier_wait -1
	s_clause 0x3
	scratch_load_b128 v[38:41], off, off offset:104
	scratch_load_b128 v[42:45], off, off offset:120
	scratch_load_b64 v[54:55], off, off offset:136
	scratch_load_b64 v[56:57], off, off offset:96
	v_mov_b32_e32 v7, 0
	ds_load_2addr_b64 v[46:49], v7 offset0:31 offset1:32
	ds_load_2addr_b64 v[50:53], v7 offset0:33 offset1:34
	s_mov_b32 s0, exec_lo
	s_wait_dscnt 0x1
	v_dual_mov_b32 v58, v49 :: v_dual_mov_b32 v59, v48
	ds_load_b64 v[64:65], v7 offset:280
	s_wait_dscnt 0x1
	v_dual_mov_b32 v66, v53 :: v_dual_mov_b32 v67, v52
	s_wait_loadcnt 0x3
	v_pk_mul_f32 v[60:61], v[46:47], v[38:39] op_sel:[1,1] op_sel_hi:[0,1]
	v_mov_b32_e32 v62, v41
	s_delay_alu instid0(VALU_DEP_2) | instskip(NEXT) | instid1(VALU_DEP_2)
	v_pk_fma_f32 v[68:69], v[46:47], v[38:39], v[60:61] op_sel_hi:[1,0,1]
	v_pk_mul_f32 v[58:59], v[58:59], v[62:63] op_sel_hi:[1,0]
	v_pk_fma_f32 v[38:39], v[46:47], v[38:39], v[60:61] neg_lo:[0,0,1] neg_hi:[0,0,1]
	s_wait_loadcnt 0x2
	v_pk_mul_f32 v[62:63], v[50:51], v[42:43] op_sel:[1,1] op_sel_hi:[0,1]
	v_dual_mov_b32 v68, v45 :: v_dual_mov_b32 v39, v69
	v_pk_fma_f32 v[46:47], v[48:49], v[40:41], v[58:59] op_sel_hi:[1,0,1]
	v_pk_fma_f32 v[40:41], v[48:49], v[40:41], v[58:59] neg_lo:[0,0,1] neg_hi:[0,0,1]
	s_delay_alu instid0(VALU_DEP_4) | instskip(NEXT) | instid1(VALU_DEP_4)
	v_pk_fma_f32 v[60:61], v[50:51], v[42:43], v[62:63] op_sel_hi:[1,0,1]
	v_pk_mul_f32 v[66:67], v[66:67], v[68:69] op_sel_hi:[1,0]
	v_pk_add_f32 v[38:39], v[38:39], 0 op_sel_hi:[1,0]
	v_mov_b32_e32 v41, v47
	v_pk_fma_f32 v[42:43], v[50:51], v[42:43], v[62:63] neg_lo:[0,0,1] neg_hi:[0,0,1]
	v_mov_b32_e32 v43, v61
	v_pk_fma_f32 v[46:47], v[52:53], v[44:45], v[66:67] op_sel_hi:[1,0,1]
	v_pk_fma_f32 v[44:45], v[52:53], v[44:45], v[66:67] neg_lo:[0,0,1] neg_hi:[0,0,1]
	v_pk_add_f32 v[38:39], v[38:39], v[40:41]
	s_wait_loadcnt_dscnt 0x100
	v_pk_mul_f32 v[40:41], v[64:65], v[54:55] op_sel:[1,1] op_sel_hi:[0,1]
	s_delay_alu instid0(VALU_DEP_2) | instskip(NEXT) | instid1(VALU_DEP_2)
	v_pk_add_f32 v[38:39], v[38:39], v[42:43]
	v_pk_fma_f32 v[42:43], v[64:65], v[54:55], v[40:41] op_sel_hi:[1,0,1]
	v_mov_b32_e32 v45, v47
	v_pk_fma_f32 v[40:41], v[64:65], v[54:55], v[40:41] neg_lo:[0,0,1] neg_hi:[0,0,1]
	s_delay_alu instid0(VALU_DEP_3) | instskip(NEXT) | instid1(VALU_DEP_3)
	v_mov_b32_e32 v41, v43
	v_pk_add_f32 v[38:39], v[38:39], v[44:45]
	s_delay_alu instid0(VALU_DEP_1) | instskip(SKIP_1) | instid1(VALU_DEP_1)
	v_pk_add_f32 v[38:39], v[38:39], v[40:41]
	s_wait_loadcnt 0x0
	v_pk_add_f32 v[38:39], v[56:57], v[38:39] neg_lo:[0,1] neg_hi:[0,1]
	scratch_store_b64 off, v[38:39], off offset:96
	s_wait_xcnt 0x0
	v_cmpx_lt_u32_e32 11, v0
	s_cbranch_execz .LBB81_99
; %bb.98:
	scratch_load_b64 v[38:39], off, off offset:88
	v_mov_b64_e32 v[40:41], 0
	scratch_store_b64 off, v[40:41], off offset:88
	s_wait_loadcnt 0x0
	ds_store_b64 v1, v[38:39]
.LBB81_99:
	s_wait_xcnt 0x0
	s_or_b32 exec_lo, exec_lo, s0
	s_wait_storecnt_dscnt 0x0
	s_barrier_signal -1
	s_barrier_wait -1
	s_clause 0x3
	scratch_load_b128 v[38:41], off, off offset:96
	scratch_load_b128 v[42:45], off, off offset:112
	;; [unrolled: 1-line block ×3, first 2 shown]
	scratch_load_b64 v[62:63], off, off offset:88
	ds_load_b128 v[50:53], v7 offset:240
	ds_load_b128 v[54:57], v7 offset:256
	;; [unrolled: 1-line block ×3, first 2 shown]
	s_mov_b32 s0, exec_lo
	s_wait_dscnt 0x2
	v_dual_mov_b32 v64, v53 :: v_dual_mov_b32 v65, v52
	s_wait_dscnt 0x1
	v_dual_mov_b32 v66, v57 :: v_dual_mov_b32 v67, v56
	;; [unrolled: 2-line block ×3, first 2 shown]
	s_wait_loadcnt 0x3
	v_pk_mul_f32 v[68:69], v[50:51], v[38:39] op_sel:[1,1] op_sel_hi:[0,1]
	v_mov_b32_e32 v70, v41
	s_delay_alu instid0(VALU_DEP_2) | instskip(NEXT) | instid1(VALU_DEP_2)
	v_pk_fma_f32 v[74:75], v[50:51], v[38:39], v[68:69] op_sel_hi:[1,0,1]
	v_pk_mul_f32 v[64:65], v[64:65], v[70:71] op_sel_hi:[1,0]
	v_pk_fma_f32 v[38:39], v[50:51], v[38:39], v[68:69] neg_lo:[0,0,1] neg_hi:[0,0,1]
	s_wait_loadcnt 0x2
	v_pk_mul_f32 v[70:71], v[54:55], v[42:43] op_sel:[1,1] op_sel_hi:[0,1]
	v_mov_b32_e32 v74, v45
	v_pk_fma_f32 v[50:51], v[52:53], v[40:41], v[64:65] op_sel_hi:[1,0,1]
	v_mov_b32_e32 v39, v75
	v_pk_fma_f32 v[40:41], v[52:53], v[40:41], v[64:65] neg_lo:[0,0,1] neg_hi:[0,0,1]
	v_pk_fma_f32 v[68:69], v[54:55], v[42:43], v[70:71] op_sel_hi:[1,0,1]
	v_pk_mul_f32 v[66:67], v[66:67], v[74:75] op_sel_hi:[1,0]
	v_mov_b32_e32 v41, v51
	v_pk_add_f32 v[38:39], v[38:39], 0 op_sel_hi:[1,0]
	v_pk_fma_f32 v[42:43], v[54:55], v[42:43], v[70:71] neg_lo:[0,0,1] neg_hi:[0,0,1]
	s_wait_loadcnt 0x1
	v_pk_mul_f32 v[50:51], v[58:59], v[46:47] op_sel:[1,1] op_sel_hi:[0,1]
	v_mov_b32_e32 v43, v69
	v_pk_fma_f32 v[52:53], v[56:57], v[44:45], v[66:67] op_sel_hi:[1,0,1]
	v_pk_add_f32 v[38:39], v[38:39], v[40:41]
	v_mov_b32_e32 v40, v49
	v_pk_fma_f32 v[44:45], v[56:57], v[44:45], v[66:67] neg_lo:[0,0,1] neg_hi:[0,0,1]
	v_pk_fma_f32 v[54:55], v[58:59], v[46:47], v[50:51] op_sel_hi:[1,0,1]
	v_mov_b32_e32 v45, v53
	v_pk_add_f32 v[38:39], v[38:39], v[42:43]
	v_pk_mul_f32 v[40:41], v[72:73], v[40:41] op_sel_hi:[1,0]
	v_pk_fma_f32 v[42:43], v[58:59], v[46:47], v[50:51] neg_lo:[0,0,1] neg_hi:[0,0,1]
	v_mov_b32_e32 v43, v55
	s_delay_alu instid0(VALU_DEP_4) | instskip(NEXT) | instid1(VALU_DEP_4)
	v_pk_add_f32 v[38:39], v[38:39], v[44:45]
	v_pk_fma_f32 v[44:45], v[60:61], v[48:49], v[40:41] op_sel_hi:[1,0,1]
	v_pk_fma_f32 v[40:41], v[60:61], v[48:49], v[40:41] neg_lo:[0,0,1] neg_hi:[0,0,1]
	s_delay_alu instid0(VALU_DEP_3) | instskip(NEXT) | instid1(VALU_DEP_3)
	v_pk_add_f32 v[38:39], v[38:39], v[42:43]
	v_mov_b32_e32 v41, v45
	s_delay_alu instid0(VALU_DEP_1) | instskip(SKIP_1) | instid1(VALU_DEP_1)
	v_pk_add_f32 v[38:39], v[38:39], v[40:41]
	s_wait_loadcnt 0x0
	v_pk_add_f32 v[38:39], v[62:63], v[38:39] neg_lo:[0,1] neg_hi:[0,1]
	scratch_store_b64 off, v[38:39], off offset:88
	s_wait_xcnt 0x0
	v_cmpx_lt_u32_e32 10, v0
	s_cbranch_execz .LBB81_101
; %bb.100:
	scratch_load_b64 v[38:39], off, off offset:80
	v_mov_b64_e32 v[40:41], 0
	scratch_store_b64 off, v[40:41], off offset:80
	s_wait_loadcnt 0x0
	ds_store_b64 v1, v[38:39]
.LBB81_101:
	s_wait_xcnt 0x0
	s_or_b32 exec_lo, exec_lo, s0
	s_wait_storecnt_dscnt 0x0
	s_barrier_signal -1
	s_barrier_wait -1
	s_clause 0x4
	scratch_load_b128 v[38:41], off, off offset:88
	scratch_load_b128 v[42:45], off, off offset:104
	;; [unrolled: 1-line block ×3, first 2 shown]
	scratch_load_b64 v[62:63], off, off offset:136
	scratch_load_b64 v[64:65], off, off offset:80
	v_mov_b32_e32 v7, 0
	ds_load_2addr_b64 v[50:53], v7 offset0:29 offset1:30
	ds_load_2addr_b64 v[54:57], v7 offset0:31 offset1:32
	;; [unrolled: 1-line block ×3, first 2 shown]
	ds_load_b64 v[66:67], v7 offset:280
	s_mov_b32 s0, exec_lo
	s_wait_dscnt 0x3
	v_dual_mov_b32 v68, v53 :: v_dual_mov_b32 v69, v52
	s_wait_dscnt 0x2
	v_dual_mov_b32 v70, v57 :: v_dual_mov_b32 v71, v56
	s_wait_dscnt 0x1
	v_dual_mov_b32 v76, v61 :: v_dual_mov_b32 v77, v60
	s_wait_loadcnt 0x4
	v_pk_mul_f32 v[72:73], v[50:51], v[38:39] op_sel:[1,1] op_sel_hi:[0,1]
	v_mov_b32_e32 v74, v41
	s_wait_loadcnt 0x3
	v_pk_mul_f32 v[78:79], v[54:55], v[42:43] op_sel:[1,1] op_sel_hi:[0,1]
	s_wait_loadcnt 0x2
	v_pk_mul_f32 v[82:83], v[58:59], v[46:47] op_sel:[1,1] op_sel_hi:[0,1]
	v_pk_fma_f32 v[80:81], v[50:51], v[38:39], v[72:73] op_sel_hi:[1,0,1]
	v_pk_mul_f32 v[68:69], v[68:69], v[74:75] op_sel_hi:[1,0]
	v_pk_fma_f32 v[38:39], v[50:51], v[38:39], v[72:73] neg_lo:[0,0,1] neg_hi:[0,0,1]
	v_mov_b32_e32 v74, v45
	v_pk_fma_f32 v[72:73], v[54:55], v[42:43], v[78:79] op_sel_hi:[1,0,1]
	v_mov_b32_e32 v39, v81
	v_pk_fma_f32 v[50:51], v[52:53], v[40:41], v[68:69] op_sel_hi:[1,0,1]
	v_pk_fma_f32 v[40:41], v[52:53], v[40:41], v[68:69] neg_lo:[0,0,1] neg_hi:[0,0,1]
	v_pk_mul_f32 v[70:71], v[70:71], v[74:75] op_sel_hi:[1,0]
	v_pk_fma_f32 v[42:43], v[54:55], v[42:43], v[78:79] neg_lo:[0,0,1] neg_hi:[0,0,1]
	v_pk_add_f32 v[38:39], v[38:39], 0 op_sel_hi:[1,0]
	v_dual_mov_b32 v41, v51 :: v_dual_mov_b32 v50, v49
	s_delay_alu instid0(VALU_DEP_4) | instskip(SKIP_2) | instid1(VALU_DEP_4)
	v_pk_fma_f32 v[52:53], v[56:57], v[44:45], v[70:71] op_sel_hi:[1,0,1]
	v_mov_b32_e32 v43, v73
	v_pk_fma_f32 v[44:45], v[56:57], v[44:45], v[70:71] neg_lo:[0,0,1] neg_hi:[0,0,1]
	v_pk_add_f32 v[38:39], v[38:39], v[40:41]
	v_pk_fma_f32 v[40:41], v[58:59], v[46:47], v[82:83] op_sel_hi:[1,0,1]
	v_pk_mul_f32 v[50:51], v[76:77], v[50:51] op_sel_hi:[1,0]
	v_mov_b32_e32 v45, v53
	s_delay_alu instid0(VALU_DEP_4)
	v_pk_add_f32 v[38:39], v[38:39], v[42:43]
	v_pk_fma_f32 v[42:43], v[58:59], v[46:47], v[82:83] neg_lo:[0,0,1] neg_hi:[0,0,1]
	v_mov_b32_e32 v43, v41
	v_pk_fma_f32 v[40:41], v[60:61], v[48:49], v[50:51] op_sel_hi:[1,0,1]
	v_pk_fma_f32 v[46:47], v[60:61], v[48:49], v[50:51] neg_lo:[0,0,1] neg_hi:[0,0,1]
	v_pk_add_f32 v[38:39], v[38:39], v[44:45]
	s_wait_loadcnt_dscnt 0x100
	v_pk_mul_f32 v[44:45], v[66:67], v[62:63] op_sel:[1,1] op_sel_hi:[0,1]
	v_mov_b32_e32 v47, v41
	s_delay_alu instid0(VALU_DEP_3) | instskip(NEXT) | instid1(VALU_DEP_3)
	v_pk_add_f32 v[38:39], v[38:39], v[42:43]
	v_pk_fma_f32 v[40:41], v[66:67], v[62:63], v[44:45] op_sel_hi:[1,0,1]
	v_pk_fma_f32 v[42:43], v[66:67], v[62:63], v[44:45] neg_lo:[0,0,1] neg_hi:[0,0,1]
	s_delay_alu instid0(VALU_DEP_3) | instskip(NEXT) | instid1(VALU_DEP_3)
	v_pk_add_f32 v[38:39], v[38:39], v[46:47]
	v_mov_b32_e32 v43, v41
	s_delay_alu instid0(VALU_DEP_1) | instskip(SKIP_1) | instid1(VALU_DEP_1)
	v_pk_add_f32 v[38:39], v[38:39], v[42:43]
	s_wait_loadcnt 0x0
	v_pk_add_f32 v[38:39], v[64:65], v[38:39] neg_lo:[0,1] neg_hi:[0,1]
	scratch_store_b64 off, v[38:39], off offset:80
	s_wait_xcnt 0x0
	v_cmpx_lt_u32_e32 9, v0
	s_cbranch_execz .LBB81_103
; %bb.102:
	scratch_load_b64 v[38:39], off, off offset:72
	v_mov_b64_e32 v[40:41], 0
	scratch_store_b64 off, v[40:41], off offset:72
	s_wait_loadcnt 0x0
	ds_store_b64 v1, v[38:39]
.LBB81_103:
	s_wait_xcnt 0x0
	s_or_b32 exec_lo, exec_lo, s0
	s_wait_storecnt_dscnt 0x0
	s_barrier_signal -1
	s_barrier_wait -1
	s_clause 0x4
	scratch_load_b128 v[38:41], off, off offset:80
	scratch_load_b128 v[42:45], off, off offset:96
	;; [unrolled: 1-line block ×4, first 2 shown]
	scratch_load_b64 v[70:71], off, off offset:72
	ds_load_b128 v[54:57], v7 offset:224
	ds_load_b128 v[58:61], v7 offset:240
	;; [unrolled: 1-line block ×4, first 2 shown]
	s_mov_b32 s0, exec_lo
	s_wait_dscnt 0x3
	v_dual_mov_b32 v72, v57 :: v_dual_mov_b32 v73, v56
	s_wait_dscnt 0x2
	v_dual_mov_b32 v74, v61 :: v_dual_mov_b32 v75, v60
	;; [unrolled: 2-line block ×3, first 2 shown]
	v_dual_mov_b32 v77, v64 :: v_dual_mov_b32 v82, v69
	s_wait_loadcnt 0x4
	v_mov_b32_e32 v80, v41
	v_pk_mul_f32 v[78:79], v[54:55], v[38:39] op_sel:[1,1] op_sel_hi:[0,1]
	s_wait_loadcnt 0x3
	v_pk_mul_f32 v[84:85], v[58:59], v[42:43] op_sel:[1,1] op_sel_hi:[0,1]
	s_wait_loadcnt 0x2
	v_pk_mul_f32 v[88:89], v[62:63], v[46:47] op_sel:[1,1] op_sel_hi:[0,1]
	v_pk_mul_f32 v[72:73], v[72:73], v[80:81] op_sel_hi:[1,0]
	v_pk_fma_f32 v[86:87], v[54:55], v[38:39], v[78:79] op_sel_hi:[1,0,1]
	v_pk_fma_f32 v[38:39], v[54:55], v[38:39], v[78:79] neg_lo:[0,0,1] neg_hi:[0,0,1]
	v_mov_b32_e32 v80, v45
	v_pk_fma_f32 v[78:79], v[58:59], v[42:43], v[84:85] op_sel_hi:[1,0,1]
	v_pk_fma_f32 v[54:55], v[56:57], v[40:41], v[72:73] op_sel_hi:[1,0,1]
	v_mov_b32_e32 v39, v87
	v_pk_fma_f32 v[40:41], v[56:57], v[40:41], v[72:73] neg_lo:[0,0,1] neg_hi:[0,0,1]
	v_pk_mul_f32 v[74:75], v[74:75], v[80:81] op_sel_hi:[1,0]
	s_delay_alu instid0(VALU_DEP_4) | instskip(NEXT) | instid1(VALU_DEP_4)
	v_dual_mov_b32 v54, v49 :: v_dual_mov_b32 v41, v55
	v_pk_add_f32 v[38:39], v[38:39], 0 op_sel_hi:[1,0]
	v_pk_fma_f32 v[42:43], v[58:59], v[42:43], v[84:85] neg_lo:[0,0,1] neg_hi:[0,0,1]
	v_mov_b32_e32 v43, v79
	v_pk_fma_f32 v[56:57], v[60:61], v[44:45], v[74:75] op_sel_hi:[1,0,1]
	v_pk_mul_f32 v[54:55], v[76:77], v[54:55] op_sel_hi:[1,0]
	v_pk_add_f32 v[38:39], v[38:39], v[40:41]
	v_pk_fma_f32 v[40:41], v[62:63], v[46:47], v[88:89] op_sel_hi:[1,0,1]
	v_pk_fma_f32 v[44:45], v[60:61], v[44:45], v[74:75] neg_lo:[0,0,1] neg_hi:[0,0,1]
	v_mov_b32_e32 v45, v57
	v_pk_fma_f32 v[46:47], v[62:63], v[46:47], v[88:89] neg_lo:[0,0,1] neg_hi:[0,0,1]
	v_pk_add_f32 v[38:39], v[38:39], v[42:43]
	v_mov_b32_e32 v47, v41
	v_pk_fma_f32 v[40:41], v[64:65], v[48:49], v[54:55] op_sel_hi:[1,0,1]
	s_wait_loadcnt 0x1
	v_pk_mul_f32 v[42:43], v[66:67], v[50:51] op_sel:[1,1] op_sel_hi:[0,1]
	v_mov_b32_e32 v40, v53
	v_pk_add_f32 v[38:39], v[38:39], v[44:45]
	v_pk_fma_f32 v[48:49], v[64:65], v[48:49], v[54:55] neg_lo:[0,0,1] neg_hi:[0,0,1]
	v_mov_b32_e32 v49, v41
	v_pk_fma_f32 v[44:45], v[66:67], v[50:51], v[42:43] op_sel_hi:[1,0,1]
	v_pk_mul_f32 v[40:41], v[82:83], v[40:41] op_sel_hi:[1,0]
	v_pk_add_f32 v[38:39], v[38:39], v[46:47]
	v_pk_fma_f32 v[42:43], v[66:67], v[50:51], v[42:43] neg_lo:[0,0,1] neg_hi:[0,0,1]
	s_delay_alu instid0(VALU_DEP_4) | instskip(NEXT) | instid1(VALU_DEP_4)
	v_mov_b32_e32 v43, v45
	v_pk_fma_f32 v[44:45], v[68:69], v[52:53], v[40:41] op_sel_hi:[1,0,1]
	s_delay_alu instid0(VALU_DEP_4) | instskip(SKIP_1) | instid1(VALU_DEP_3)
	v_pk_add_f32 v[38:39], v[38:39], v[48:49]
	v_pk_fma_f32 v[40:41], v[68:69], v[52:53], v[40:41] neg_lo:[0,0,1] neg_hi:[0,0,1]
	v_mov_b32_e32 v41, v45
	s_delay_alu instid0(VALU_DEP_3) | instskip(NEXT) | instid1(VALU_DEP_1)
	v_pk_add_f32 v[38:39], v[38:39], v[42:43]
	v_pk_add_f32 v[38:39], v[38:39], v[40:41]
	s_wait_loadcnt 0x0
	s_delay_alu instid0(VALU_DEP_1)
	v_pk_add_f32 v[38:39], v[70:71], v[38:39] neg_lo:[0,1] neg_hi:[0,1]
	scratch_store_b64 off, v[38:39], off offset:72
	s_wait_xcnt 0x0
	v_cmpx_lt_u32_e32 8, v0
	s_cbranch_execz .LBB81_105
; %bb.104:
	scratch_load_b64 v[38:39], off, off offset:64
	v_mov_b64_e32 v[40:41], 0
	scratch_store_b64 off, v[40:41], off offset:64
	s_wait_loadcnt 0x0
	ds_store_b64 v1, v[38:39]
.LBB81_105:
	s_wait_xcnt 0x0
	s_or_b32 exec_lo, exec_lo, s0
	s_wait_storecnt_dscnt 0x0
	s_barrier_signal -1
	s_barrier_wait -1
	s_clause 0x5
	scratch_load_b128 v[38:41], off, off offset:72
	scratch_load_b128 v[42:45], off, off offset:88
	;; [unrolled: 1-line block ×4, first 2 shown]
	scratch_load_b64 v[70:71], off, off offset:136
	scratch_load_b64 v[72:73], off, off offset:64
	v_mov_b32_e32 v7, 0
	ds_load_2addr_b64 v[54:57], v7 offset0:27 offset1:28
	ds_load_2addr_b64 v[58:61], v7 offset0:29 offset1:30
	;; [unrolled: 1-line block ×4, first 2 shown]
	ds_load_b64 v[74:75], v7 offset:280
	s_mov_b32 s0, exec_lo
	s_wait_dscnt 0x4
	v_dual_mov_b32 v76, v57 :: v_dual_mov_b32 v77, v56
	s_wait_dscnt 0x1
	v_dual_mov_b32 v78, v61 :: v_dual_mov_b32 v83, v68
	v_dual_mov_b32 v79, v60 :: v_dual_mov_b32 v80, v65
	;; [unrolled: 1-line block ×3, first 2 shown]
	s_wait_loadcnt 0x5
	v_dual_mov_b32 v84, v41 :: v_dual_mul_f32 v85, v54, v39
	v_mul_f32_e32 v9, v55, v39
	s_wait_loadcnt 0x4
	v_pk_mul_f32 v[86:87], v[58:59], v[42:43] op_sel:[1,1] op_sel_hi:[0,1]
	v_mov_b32_e32 v88, v45
	s_wait_loadcnt 0x3
	v_pk_mul_f32 v[90:91], v[62:63], v[46:47] op_sel:[1,1] op_sel_hi:[0,1]
	v_pk_mul_f32 v[76:77], v[76:77], v[84:85] op_sel_hi:[1,0]
	v_fmac_f32_e32 v85, v55, v38
	v_dual_fma_f32 v84, v54, v38, -v9 :: v_dual_mov_b32 v38, v49
	v_pk_fma_f32 v[92:93], v[58:59], v[42:43], v[86:87] op_sel_hi:[1,0,1]
	s_delay_alu instid0(VALU_DEP_4)
	v_pk_fma_f32 v[54:55], v[56:57], v[40:41], v[76:77] op_sel_hi:[1,0,1]
	v_pk_fma_f32 v[40:41], v[56:57], v[40:41], v[76:77] neg_lo:[0,0,1] neg_hi:[0,0,1]
	v_pk_mul_f32 v[78:79], v[78:79], v[88:89] op_sel_hi:[1,0]
	v_pk_add_f32 v[84:85], v[84:85], 0 op_sel_hi:[1,0]
	v_pk_fma_f32 v[42:43], v[58:59], v[42:43], v[86:87] neg_lo:[0,0,1] neg_hi:[0,0,1]
	v_dual_mov_b32 v41, v55 :: v_dual_mov_b32 v43, v93
	s_delay_alu instid0(VALU_DEP_4) | instskip(SKIP_2) | instid1(VALU_DEP_4)
	v_pk_fma_f32 v[56:57], v[60:61], v[44:45], v[78:79] op_sel_hi:[1,0,1]
	v_pk_fma_f32 v[44:45], v[60:61], v[44:45], v[78:79] neg_lo:[0,0,1] neg_hi:[0,0,1]
	v_pk_fma_f32 v[58:59], v[62:63], v[46:47], v[90:91] op_sel_hi:[1,0,1]
	v_pk_add_f32 v[40:41], v[84:85], v[40:41]
	v_pk_mul_f32 v[38:39], v[80:81], v[38:39] op_sel_hi:[1,0]
	v_mov_b32_e32 v45, v57
	v_pk_fma_f32 v[46:47], v[62:63], v[46:47], v[90:91] neg_lo:[0,0,1] neg_hi:[0,0,1]
	s_wait_loadcnt 0x2
	v_pk_mul_f32 v[54:55], v[66:67], v[50:51] op_sel:[1,1] op_sel_hi:[0,1]
	v_pk_add_f32 v[40:41], v[40:41], v[42:43]
	v_mov_b32_e32 v42, v53
	v_pk_fma_f32 v[56:57], v[64:65], v[48:49], v[38:39] op_sel_hi:[1,0,1]
	v_mov_b32_e32 v47, v59
	v_pk_fma_f32 v[38:39], v[64:65], v[48:49], v[38:39] neg_lo:[0,0,1] neg_hi:[0,0,1]
	v_pk_add_f32 v[40:41], v[40:41], v[44:45]
	v_pk_fma_f32 v[44:45], v[66:67], v[50:51], v[54:55] op_sel_hi:[1,0,1]
	v_pk_mul_f32 v[42:43], v[82:83], v[42:43] op_sel_hi:[1,0]
	v_mov_b32_e32 v39, v57
	s_delay_alu instid0(VALU_DEP_4)
	v_pk_add_f32 v[40:41], v[40:41], v[46:47]
	v_pk_fma_f32 v[46:47], v[66:67], v[50:51], v[54:55] neg_lo:[0,0,1] neg_hi:[0,0,1]
	v_mov_b32_e32 v47, v45
	v_pk_fma_f32 v[44:45], v[68:69], v[52:53], v[42:43] op_sel_hi:[1,0,1]
	v_pk_fma_f32 v[42:43], v[68:69], v[52:53], v[42:43] neg_lo:[0,0,1] neg_hi:[0,0,1]
	v_pk_add_f32 v[38:39], v[40:41], v[38:39]
	s_wait_loadcnt_dscnt 0x100
	v_pk_mul_f32 v[40:41], v[74:75], v[70:71] op_sel:[1,1] op_sel_hi:[0,1]
	v_mov_b32_e32 v43, v45
	s_delay_alu instid0(VALU_DEP_3) | instskip(NEXT) | instid1(VALU_DEP_3)
	v_pk_add_f32 v[38:39], v[38:39], v[46:47]
	v_pk_fma_f32 v[44:45], v[74:75], v[70:71], v[40:41] op_sel_hi:[1,0,1]
	v_pk_fma_f32 v[40:41], v[74:75], v[70:71], v[40:41] neg_lo:[0,0,1] neg_hi:[0,0,1]
	s_delay_alu instid0(VALU_DEP_3) | instskip(NEXT) | instid1(VALU_DEP_3)
	v_pk_add_f32 v[38:39], v[38:39], v[42:43]
	v_mov_b32_e32 v41, v45
	s_delay_alu instid0(VALU_DEP_1) | instskip(SKIP_1) | instid1(VALU_DEP_1)
	v_pk_add_f32 v[38:39], v[38:39], v[40:41]
	s_wait_loadcnt 0x0
	v_pk_add_f32 v[38:39], v[72:73], v[38:39] neg_lo:[0,1] neg_hi:[0,1]
	scratch_store_b64 off, v[38:39], off offset:64
	s_wait_xcnt 0x0
	v_cmpx_lt_u32_e32 7, v0
	s_cbranch_execz .LBB81_107
; %bb.106:
	scratch_load_b64 v[38:39], off, off offset:56
	v_mov_b64_e32 v[40:41], 0
	scratch_store_b64 off, v[40:41], off offset:56
	s_wait_loadcnt 0x0
	ds_store_b64 v1, v[38:39]
.LBB81_107:
	s_wait_xcnt 0x0
	s_or_b32 exec_lo, exec_lo, s0
	s_wait_storecnt_dscnt 0x0
	s_barrier_signal -1
	s_barrier_wait -1
	s_clause 0x5
	scratch_load_b128 v[38:41], off, off offset:64
	scratch_load_b128 v[42:45], off, off offset:80
	;; [unrolled: 1-line block ×5, first 2 shown]
	scratch_load_b64 v[78:79], off, off offset:56
	ds_load_b128 v[58:61], v7 offset:224
	ds_load_b128 v[62:65], v7 offset:240
	;; [unrolled: 1-line block ×5, first 2 shown]
	s_mov_b32 s0, exec_lo
	s_wait_dscnt 0x4
	v_dual_mov_b32 v80, v61 :: v_dual_mov_b32 v81, v60
	s_wait_dscnt 0x3
	v_dual_mov_b32 v82, v65 :: v_dual_mov_b32 v83, v64
	;; [unrolled: 2-line block ×4, first 2 shown]
	s_wait_loadcnt_dscnt 0x500
	v_dual_mul_f32 v89, v74, v39 :: v_dual_mul_f32 v91, v76, v41
	v_dual_mul_f32 v7, v75, v39 :: v_dual_mul_f32 v9, v77, v41
	s_wait_loadcnt 0x4
	v_pk_mul_f32 v[92:93], v[58:59], v[42:43] op_sel:[1,1] op_sel_hi:[0,1]
	s_wait_loadcnt 0x3
	v_dual_mov_b32 v94, v45 :: v_dual_mov_b32 v98, v49
	v_dual_fmac_f32 v89, v75, v38 :: v_dual_fma_f32 v88, v74, v38, -v7
	v_dual_fmac_f32 v91, v77, v40 :: v_dual_fma_f32 v90, v76, v40, -v9
	v_pk_fma_f32 v[38:39], v[58:59], v[42:43], v[92:93] op_sel_hi:[1,0,1]
	s_delay_alu instid0(VALU_DEP_4) | instskip(NEXT) | instid1(VALU_DEP_4)
	v_pk_mul_f32 v[40:41], v[80:81], v[94:95] op_sel_hi:[1,0]
	v_pk_add_f32 v[74:75], v[88:89], 0 op_sel_hi:[1,0]
	v_pk_fma_f32 v[42:43], v[58:59], v[42:43], v[92:93] neg_lo:[0,0,1] neg_hi:[0,0,1]
	v_pk_mul_f32 v[96:97], v[62:63], v[46:47] op_sel:[1,1] op_sel_hi:[0,1]
	v_mov_b32_e32 v43, v39
	v_pk_fma_f32 v[38:39], v[60:61], v[44:45], v[40:41] op_sel_hi:[1,0,1]
	v_pk_add_f32 v[58:59], v[74:75], v[90:91]
	v_pk_fma_f32 v[40:41], v[60:61], v[44:45], v[40:41] neg_lo:[0,0,1] neg_hi:[0,0,1]
	v_pk_fma_f32 v[74:75], v[62:63], v[46:47], v[96:97] op_sel_hi:[1,0,1]
	v_pk_mul_f32 v[80:81], v[82:83], v[98:99] op_sel_hi:[1,0]
	v_mov_b32_e32 v41, v39
	v_pk_add_f32 v[38:39], v[58:59], v[42:43]
	s_wait_loadcnt 0x2
	v_pk_mul_f32 v[76:77], v[66:67], v[50:51] op_sel:[1,1] op_sel_hi:[0,1]
	v_mov_b32_e32 v42, v53
	v_pk_fma_f32 v[44:45], v[62:63], v[46:47], v[96:97] neg_lo:[0,0,1] neg_hi:[0,0,1]
	v_mov_b32_e32 v45, v75
	v_pk_fma_f32 v[46:47], v[64:65], v[48:49], v[80:81] op_sel_hi:[1,0,1]
	v_pk_add_f32 v[38:39], v[38:39], v[40:41]
	v_pk_fma_f32 v[40:41], v[66:67], v[50:51], v[76:77] op_sel_hi:[1,0,1]
	v_pk_mul_f32 v[42:43], v[84:85], v[42:43] op_sel_hi:[1,0]
	v_pk_fma_f32 v[48:49], v[64:65], v[48:49], v[80:81] neg_lo:[0,0,1] neg_hi:[0,0,1]
	v_mov_b32_e32 v49, v47
	v_pk_add_f32 v[38:39], v[38:39], v[44:45]
	v_pk_fma_f32 v[46:47], v[66:67], v[50:51], v[76:77] neg_lo:[0,0,1] neg_hi:[0,0,1]
	v_mov_b32_e32 v47, v41
	v_pk_fma_f32 v[40:41], v[68:69], v[52:53], v[42:43] op_sel_hi:[1,0,1]
	s_wait_loadcnt 0x1
	v_pk_mul_f32 v[44:45], v[70:71], v[54:55] op_sel:[1,1] op_sel_hi:[0,1]
	v_pk_add_f32 v[38:39], v[38:39], v[48:49]
	v_mov_b32_e32 v40, v57
	v_pk_fma_f32 v[42:43], v[68:69], v[52:53], v[42:43] neg_lo:[0,0,1] neg_hi:[0,0,1]
	v_mov_b32_e32 v43, v41
	v_pk_fma_f32 v[48:49], v[70:71], v[54:55], v[44:45] op_sel_hi:[1,0,1]
	v_pk_add_f32 v[38:39], v[38:39], v[46:47]
	v_pk_mul_f32 v[40:41], v[86:87], v[40:41] op_sel_hi:[1,0]
	v_pk_fma_f32 v[44:45], v[70:71], v[54:55], v[44:45] neg_lo:[0,0,1] neg_hi:[0,0,1]
	s_delay_alu instid0(VALU_DEP_3) | instskip(NEXT) | instid1(VALU_DEP_3)
	v_pk_add_f32 v[38:39], v[38:39], v[42:43]
	v_pk_fma_f32 v[42:43], v[72:73], v[56:57], v[40:41] op_sel_hi:[1,0,1]
	v_mov_b32_e32 v45, v49
	v_pk_fma_f32 v[40:41], v[72:73], v[56:57], v[40:41] neg_lo:[0,0,1] neg_hi:[0,0,1]
	s_delay_alu instid0(VALU_DEP_3) | instskip(NEXT) | instid1(VALU_DEP_3)
	v_mov_b32_e32 v41, v43
	v_pk_add_f32 v[38:39], v[38:39], v[44:45]
	s_delay_alu instid0(VALU_DEP_1) | instskip(SKIP_1) | instid1(VALU_DEP_1)
	v_pk_add_f32 v[38:39], v[38:39], v[40:41]
	s_wait_loadcnt 0x0
	v_pk_add_f32 v[38:39], v[78:79], v[38:39] neg_lo:[0,1] neg_hi:[0,1]
	scratch_store_b64 off, v[38:39], off offset:56
	s_wait_xcnt 0x0
	v_cmpx_lt_u32_e32 6, v0
	s_cbranch_execz .LBB81_109
; %bb.108:
	scratch_load_b64 v[38:39], off, off offset:48
	v_mov_b64_e32 v[40:41], 0
	scratch_store_b64 off, v[40:41], off offset:48
	s_wait_loadcnt 0x0
	ds_store_b64 v1, v[38:39]
.LBB81_109:
	s_wait_xcnt 0x0
	s_or_b32 exec_lo, exec_lo, s0
	s_wait_storecnt_dscnt 0x0
	s_barrier_signal -1
	s_barrier_wait -1
	s_clause 0x6
	scratch_load_b128 v[38:41], off, off offset:56
	scratch_load_b128 v[42:45], off, off offset:72
	;; [unrolled: 1-line block ×5, first 2 shown]
	scratch_load_b64 v[78:79], off, off offset:136
	scratch_load_b64 v[80:81], off, off offset:48
	v_mov_b32_e32 v7, 0
	ds_load_2addr_b64 v[58:61], v7 offset0:27 offset1:28
	ds_load_2addr_b64 v[62:65], v7 offset0:29 offset1:30
	;; [unrolled: 1-line block ×5, first 2 shown]
	ds_load_b64 v[82:83], v7 offset:280
	s_mov_b32 s0, exec_lo
	s_wait_dscnt 0x5
	v_dual_mov_b32 v84, v61 :: v_dual_mov_b32 v85, v60
	s_wait_dscnt 0x2
	v_dual_mov_b32 v86, v65 :: v_dual_mov_b32 v91, v72
	v_dual_mov_b32 v87, v64 :: v_dual_mov_b32 v88, v69
	;; [unrolled: 1-line block ×3, first 2 shown]
	s_wait_loadcnt_dscnt 0x601
	v_dual_mul_f32 v9, v74, v39 :: v_dual_mul_f32 v11, v75, v39
	v_dual_mul_f32 v13, v77, v41 :: v_dual_mul_f32 v93, v76, v41
	s_wait_loadcnt 0x5
	v_dual_mul_f32 v95, v58, v43 :: v_dual_mul_f32 v15, v59, v43
	s_wait_loadcnt 0x4
	v_dual_mov_b32 v94, v45 :: v_dual_mov_b32 v98, v49
	v_dual_fmac_f32 v9, v75, v38 :: v_dual_fma_f32 v11, v74, v38, -v11
	v_fmac_f32_e32 v93, v77, v40
	v_pk_mul_f32 v[96:97], v[62:63], v[46:47] op_sel:[1,1] op_sel_hi:[0,1]
	s_delay_alu instid0(VALU_DEP_3)
	v_dual_fma_f32 v92, v76, v40, -v13 :: v_dual_add_f32 v41, 0, v9
	v_pk_mul_f32 v[38:39], v[84:85], v[94:95] op_sel_hi:[1,0]
	s_wait_loadcnt 0x3
	v_dual_add_f32 v40, 0, v11 :: v_dual_mov_b32 v74, v53
	v_fmac_f32_e32 v95, v59, v42
	v_fma_f32 v94, v58, v42, -v15
	v_pk_fma_f32 v[42:43], v[60:61], v[44:45], v[38:39] op_sel_hi:[1,0,1]
	s_delay_alu instid0(VALU_DEP_4) | instskip(SKIP_4) | instid1(VALU_DEP_4)
	v_pk_add_f32 v[40:41], v[40:41], v[92:93]
	v_pk_fma_f32 v[58:59], v[62:63], v[46:47], v[96:97] op_sel_hi:[1,0,1]
	v_pk_fma_f32 v[38:39], v[60:61], v[44:45], v[38:39] neg_lo:[0,0,1] neg_hi:[0,0,1]
	v_pk_fma_f32 v[44:45], v[62:63], v[46:47], v[96:97] neg_lo:[0,0,1] neg_hi:[0,0,1]
	v_pk_mul_f32 v[76:77], v[86:87], v[98:99] op_sel_hi:[1,0]
	v_dual_mov_b32 v39, v43 :: v_dual_mov_b32 v45, v59
	v_pk_add_f32 v[40:41], v[40:41], v[94:95]
	v_pk_mul_f32 v[100:101], v[66:67], v[50:51] op_sel:[1,1] op_sel_hi:[0,1]
	s_delay_alu instid0(VALU_DEP_4)
	v_pk_fma_f32 v[46:47], v[64:65], v[48:49], v[76:77] op_sel_hi:[1,0,1]
	v_pk_fma_f32 v[48:49], v[64:65], v[48:49], v[76:77] neg_lo:[0,0,1] neg_hi:[0,0,1]
	v_pk_mul_f32 v[58:59], v[88:89], v[74:75] op_sel_hi:[1,0]
	v_pk_add_f32 v[38:39], v[40:41], v[38:39]
	v_pk_fma_f32 v[40:41], v[66:67], v[50:51], v[100:101] op_sel_hi:[1,0,1]
	s_wait_loadcnt 0x2
	v_dual_mov_b32 v49, v47 :: v_dual_mov_b32 v40, v57
	v_pk_mul_f32 v[42:43], v[70:71], v[54:55] op_sel:[1,1] op_sel_hi:[0,1]
	v_pk_add_f32 v[38:39], v[38:39], v[44:45]
	v_pk_fma_f32 v[44:45], v[66:67], v[50:51], v[100:101] neg_lo:[0,0,1] neg_hi:[0,0,1]
	v_pk_fma_f32 v[46:47], v[68:69], v[52:53], v[58:59] op_sel_hi:[1,0,1]
	v_mov_b32_e32 v45, v41
	v_pk_fma_f32 v[50:51], v[68:69], v[52:53], v[58:59] neg_lo:[0,0,1] neg_hi:[0,0,1]
	v_pk_add_f32 v[38:39], v[38:39], v[48:49]
	v_pk_fma_f32 v[48:49], v[70:71], v[54:55], v[42:43] op_sel_hi:[1,0,1]
	v_pk_mul_f32 v[40:41], v[90:91], v[40:41] op_sel_hi:[1,0]
	v_mov_b32_e32 v51, v47
	v_pk_fma_f32 v[42:43], v[70:71], v[54:55], v[42:43] neg_lo:[0,0,1] neg_hi:[0,0,1]
	v_pk_add_f32 v[38:39], v[38:39], v[44:45]
	s_wait_loadcnt_dscnt 0x100
	v_pk_mul_f32 v[46:47], v[82:83], v[78:79] op_sel:[1,1] op_sel_hi:[0,1]
	v_pk_fma_f32 v[44:45], v[72:73], v[56:57], v[40:41] op_sel_hi:[1,0,1]
	v_mov_b32_e32 v43, v49
	v_pk_fma_f32 v[40:41], v[72:73], v[56:57], v[40:41] neg_lo:[0,0,1] neg_hi:[0,0,1]
	v_pk_add_f32 v[38:39], v[38:39], v[50:51]
	s_delay_alu instid0(VALU_DEP_4) | instskip(SKIP_1) | instid1(VALU_DEP_3)
	v_mov_b32_e32 v41, v45
	v_pk_fma_f32 v[44:45], v[82:83], v[78:79], v[46:47] neg_lo:[0,0,1] neg_hi:[0,0,1]
	v_pk_add_f32 v[38:39], v[38:39], v[42:43]
	v_pk_fma_f32 v[42:43], v[82:83], v[78:79], v[46:47] op_sel_hi:[1,0,1]
	s_delay_alu instid0(VALU_DEP_2) | instskip(NEXT) | instid1(VALU_DEP_2)
	v_pk_add_f32 v[38:39], v[38:39], v[40:41]
	v_mov_b32_e32 v45, v43
	s_delay_alu instid0(VALU_DEP_1) | instskip(SKIP_1) | instid1(VALU_DEP_1)
	v_pk_add_f32 v[38:39], v[38:39], v[44:45]
	s_wait_loadcnt 0x0
	v_pk_add_f32 v[38:39], v[80:81], v[38:39] neg_lo:[0,1] neg_hi:[0,1]
	scratch_store_b64 off, v[38:39], off offset:48
	s_wait_xcnt 0x0
	v_cmpx_lt_u32_e32 5, v0
	s_cbranch_execz .LBB81_111
; %bb.110:
	scratch_load_b64 v[38:39], off, off offset:40
	v_mov_b64_e32 v[40:41], 0
	scratch_store_b64 off, v[40:41], off offset:40
	s_wait_loadcnt 0x0
	ds_store_b64 v1, v[38:39]
.LBB81_111:
	s_wait_xcnt 0x0
	s_or_b32 exec_lo, exec_lo, s0
	s_wait_storecnt_dscnt 0x0
	s_barrier_signal -1
	s_barrier_wait -1
	s_clause 0x6
	scratch_load_b128 v[38:41], off, off offset:48
	scratch_load_b128 v[42:45], off, off offset:64
	;; [unrolled: 1-line block ×6, first 2 shown]
	scratch_load_b64 v[86:87], off, off offset:40
	ds_load_b128 v[62:65], v7 offset:224
	ds_load_b128 v[66:69], v7 offset:240
	;; [unrolled: 1-line block ×6, first 2 shown]
	s_mov_b32 s0, exec_lo
	s_wait_dscnt 0x5
	v_dual_mov_b32 v88, v65 :: v_dual_mov_b32 v89, v64
	s_wait_dscnt 0x4
	v_dual_mov_b32 v90, v69 :: v_dual_mov_b32 v91, v68
	;; [unrolled: 2-line block ×4, first 2 shown]
	s_wait_loadcnt_dscnt 0x601
	v_dual_mul_f32 v7, v78, v39 :: v_dual_mul_f32 v9, v80, v41
	v_dual_mul_f32 v11, v79, v39 :: v_dual_mul_f32 v13, v81, v41
	s_wait_loadcnt 0x4
	s_delay_alu instid0(VALU_DEP_2)
	v_dual_mov_b32 v102, v49 :: v_dual_fmac_f32 v7, v79, v38
	s_wait_dscnt 0x0
	v_dual_mul_f32 v97, v82, v43 :: v_dual_mul_f32 v99, v84, v45
	v_dual_fma_f32 v11, v78, v38, -v11 :: v_dual_fmac_f32 v9, v81, v40
	v_dual_mul_f32 v15, v83, v43 :: v_dual_mul_f32 v17, v85, v45
	v_dual_fma_f32 v13, v80, v40, -v13 :: v_dual_add_f32 v7, 0, v7
	s_wait_loadcnt 0x3
	s_delay_alu instid0(VALU_DEP_3) | instskip(SKIP_3) | instid1(VALU_DEP_4)
	v_dual_add_f32 v11, 0, v11 :: v_dual_mov_b32 v40, v53
	v_pk_mul_f32 v[100:101], v[62:63], v[46:47] op_sel:[1,1] op_sel_hi:[0,1]
	v_dual_fmac_f32 v97, v83, v42 :: v_dual_fma_f32 v96, v82, v42, -v15
	v_dual_add_f32 v43, v7, v9 :: v_dual_fmac_f32 v99, v85, v44
	v_dual_add_f32 v42, v11, v13 :: v_dual_fma_f32 v98, v84, v44, -v17
	s_delay_alu instid0(VALU_DEP_4) | instskip(SKIP_2) | instid1(VALU_DEP_4)
	v_pk_fma_f32 v[44:45], v[62:63], v[46:47], v[100:101] op_sel_hi:[1,0,1]
	v_pk_mul_f32 v[78:79], v[88:89], v[102:103] op_sel_hi:[1,0]
	v_pk_fma_f32 v[46:47], v[62:63], v[46:47], v[100:101] neg_lo:[0,0,1] neg_hi:[0,0,1]
	v_pk_add_f32 v[42:43], v[42:43], v[96:97]
	v_pk_mul_f32 v[38:39], v[66:67], v[50:51] op_sel:[1,1] op_sel_hi:[0,1]
	v_mov_b32_e32 v47, v45
	v_pk_fma_f32 v[44:45], v[64:65], v[48:49], v[78:79] op_sel_hi:[1,0,1]
	v_pk_fma_f32 v[48:49], v[64:65], v[48:49], v[78:79] neg_lo:[0,0,1] neg_hi:[0,0,1]
	v_pk_add_f32 v[42:43], v[42:43], v[98:99]
	v_pk_fma_f32 v[62:63], v[66:67], v[50:51], v[38:39] op_sel_hi:[1,0,1]
	v_pk_mul_f32 v[40:41], v[90:91], v[40:41] op_sel_hi:[1,0]
	v_mov_b32_e32 v49, v45
	v_pk_fma_f32 v[38:39], v[66:67], v[50:51], v[38:39] neg_lo:[0,0,1] neg_hi:[0,0,1]
	v_pk_add_f32 v[42:43], v[42:43], v[46:47]
	s_wait_loadcnt 0x2
	v_pk_mul_f32 v[80:81], v[70:71], v[54:55] op_sel:[1,1] op_sel_hi:[0,1]
	v_dual_mov_b32 v44, v57 :: v_dual_mov_b32 v39, v63
	v_pk_fma_f32 v[46:47], v[68:69], v[52:53], v[40:41] op_sel_hi:[1,0,1]
	v_pk_add_f32 v[42:43], v[42:43], v[48:49]
	v_pk_fma_f32 v[40:41], v[68:69], v[52:53], v[40:41] neg_lo:[0,0,1] neg_hi:[0,0,1]
	v_pk_fma_f32 v[48:49], v[70:71], v[54:55], v[80:81] op_sel_hi:[1,0,1]
	v_pk_mul_f32 v[44:45], v[92:93], v[44:45] op_sel_hi:[1,0]
	v_mov_b32_e32 v41, v47
	v_pk_add_f32 v[38:39], v[42:43], v[38:39]
	v_pk_fma_f32 v[46:47], v[70:71], v[54:55], v[80:81] neg_lo:[0,0,1] neg_hi:[0,0,1]
	s_wait_loadcnt 0x1
	v_pk_mul_f32 v[42:43], v[74:75], v[58:59] op_sel:[1,1] op_sel_hi:[0,1]
	v_mov_b32_e32 v47, v49
	v_pk_fma_f32 v[48:49], v[72:73], v[56:57], v[44:45] op_sel_hi:[1,0,1]
	v_pk_add_f32 v[38:39], v[38:39], v[40:41]
	v_mov_b32_e32 v40, v61
	v_pk_fma_f32 v[44:45], v[72:73], v[56:57], v[44:45] neg_lo:[0,0,1] neg_hi:[0,0,1]
	v_pk_fma_f32 v[50:51], v[74:75], v[58:59], v[42:43] op_sel_hi:[1,0,1]
	v_mov_b32_e32 v45, v49
	v_pk_add_f32 v[38:39], v[38:39], v[46:47]
	v_pk_mul_f32 v[40:41], v[94:95], v[40:41] op_sel_hi:[1,0]
	v_pk_fma_f32 v[42:43], v[74:75], v[58:59], v[42:43] neg_lo:[0,0,1] neg_hi:[0,0,1]
	s_delay_alu instid0(VALU_DEP_3) | instskip(NEXT) | instid1(VALU_DEP_3)
	v_pk_add_f32 v[38:39], v[38:39], v[44:45]
	v_pk_fma_f32 v[44:45], v[76:77], v[60:61], v[40:41] op_sel_hi:[1,0,1]
	v_mov_b32_e32 v43, v51
	v_pk_fma_f32 v[40:41], v[76:77], v[60:61], v[40:41] neg_lo:[0,0,1] neg_hi:[0,0,1]
	s_delay_alu instid0(VALU_DEP_3) | instskip(NEXT) | instid1(VALU_DEP_3)
	v_mov_b32_e32 v41, v45
	v_pk_add_f32 v[38:39], v[38:39], v[42:43]
	s_delay_alu instid0(VALU_DEP_1) | instskip(SKIP_1) | instid1(VALU_DEP_1)
	v_pk_add_f32 v[38:39], v[38:39], v[40:41]
	s_wait_loadcnt 0x0
	v_pk_add_f32 v[38:39], v[86:87], v[38:39] neg_lo:[0,1] neg_hi:[0,1]
	scratch_store_b64 off, v[38:39], off offset:40
	s_wait_xcnt 0x0
	v_cmpx_lt_u32_e32 4, v0
	s_cbranch_execz .LBB81_113
; %bb.112:
	scratch_load_b64 v[38:39], off, off offset:32
	v_mov_b64_e32 v[40:41], 0
	scratch_store_b64 off, v[40:41], off offset:32
	s_wait_loadcnt 0x0
	ds_store_b64 v1, v[38:39]
.LBB81_113:
	s_wait_xcnt 0x0
	s_or_b32 exec_lo, exec_lo, s0
	s_wait_storecnt_dscnt 0x0
	s_barrier_signal -1
	s_barrier_wait -1
	s_clause 0x7
	scratch_load_b128 v[38:41], off, off offset:40
	scratch_load_b128 v[42:45], off, off offset:56
	;; [unrolled: 1-line block ×6, first 2 shown]
	scratch_load_b64 v[86:87], off, off offset:136
	scratch_load_b64 v[88:89], off, off offset:32
	v_mov_b32_e32 v7, 0
	ds_load_2addr_b64 v[62:65], v7 offset0:27 offset1:28
	ds_load_2addr_b64 v[66:69], v7 offset0:29 offset1:30
	;; [unrolled: 1-line block ×6, first 2 shown]
	ds_load_b64 v[90:91], v7 offset:280
	s_mov_b32 s0, exec_lo
	s_wait_dscnt 0x6
	v_dual_mov_b32 v92, v65 :: v_dual_mov_b32 v93, v64
	s_wait_dscnt 0x3
	v_dual_mov_b32 v94, v69 :: v_dual_mov_b32 v99, v76
	v_dual_mov_b32 v95, v68 :: v_dual_mov_b32 v96, v73
	;; [unrolled: 1-line block ×3, first 2 shown]
	s_wait_loadcnt_dscnt 0x702
	v_dual_mul_f32 v9, v78, v39 :: v_dual_mul_f32 v15, v79, v39
	v_dual_mul_f32 v17, v81, v41 :: v_dual_mul_f32 v11, v80, v41
	s_wait_loadcnt_dscnt 0x601
	s_delay_alu instid0(VALU_DEP_2) | instskip(NEXT) | instid1(VALU_DEP_3)
	v_dual_mul_f32 v13, v82, v43 :: v_dual_fmac_f32 v9, v79, v38
	v_dual_fma_f32 v15, v78, v38, -v15 :: v_dual_mul_f32 v19, v83, v43
	v_mul_f32_e32 v21, v85, v45
	s_wait_loadcnt 0x4
	v_dual_mov_b32 v38, v53 :: v_dual_fma_f32 v17, v80, v40, -v17
	v_dual_fmac_f32 v11, v81, v40 :: v_dual_add_f32 v9, 0, v9
	v_dual_add_f32 v15, 0, v15 :: v_dual_fmac_f32 v13, v83, v42
	v_dual_mul_f32 v101, v84, v45 :: v_dual_mul_f32 v103, v62, v47
	v_dual_mul_f32 v23, v63, v47 :: v_dual_mov_b32 v102, v49
	s_delay_alu instid0(VALU_DEP_4) | instskip(NEXT) | instid1(VALU_DEP_3)
	v_dual_fma_f32 v19, v82, v42, -v19 :: v_dual_add_f32 v9, v9, v11
	v_dual_add_f32 v11, v15, v17 :: v_dual_fmac_f32 v101, v85, v44
	v_pk_mul_f32 v[104:105], v[66:67], v[50:51] op_sel:[1,1] op_sel_hi:[0,1]
	s_delay_alu instid0(VALU_DEP_3)
	v_dual_fma_f32 v100, v84, v44, -v21 :: v_dual_add_f32 v45, v9, v13
	v_pk_mul_f32 v[42:43], v[92:93], v[102:103] op_sel_hi:[1,0]
	s_wait_loadcnt 0x3
	v_dual_add_f32 v44, v11, v19 :: v_dual_mov_b32 v78, v57
	v_fmac_f32_e32 v103, v63, v46
	v_fma_f32 v102, v62, v46, -v23
	v_pk_fma_f32 v[46:47], v[64:65], v[48:49], v[42:43] op_sel_hi:[1,0,1]
	s_delay_alu instid0(VALU_DEP_4) | instskip(SKIP_4) | instid1(VALU_DEP_4)
	v_pk_add_f32 v[44:45], v[44:45], v[100:101]
	v_pk_fma_f32 v[62:63], v[66:67], v[50:51], v[104:105] op_sel_hi:[1,0,1]
	v_pk_fma_f32 v[42:43], v[64:65], v[48:49], v[42:43] neg_lo:[0,0,1] neg_hi:[0,0,1]
	v_pk_fma_f32 v[48:49], v[66:67], v[50:51], v[104:105] neg_lo:[0,0,1] neg_hi:[0,0,1]
	v_pk_mul_f32 v[38:39], v[94:95], v[38:39] op_sel_hi:[1,0]
	v_dual_mov_b32 v43, v47 :: v_dual_mov_b32 v49, v63
	v_pk_add_f32 v[44:45], v[44:45], v[102:103]
	v_pk_mul_f32 v[40:41], v[70:71], v[54:55] op_sel:[1,1] op_sel_hi:[0,1]
	s_delay_alu instid0(VALU_DEP_4)
	v_pk_fma_f32 v[50:51], v[68:69], v[52:53], v[38:39] op_sel_hi:[1,0,1]
	v_pk_fma_f32 v[38:39], v[68:69], v[52:53], v[38:39] neg_lo:[0,0,1] neg_hi:[0,0,1]
	v_pk_mul_f32 v[62:63], v[96:97], v[78:79] op_sel_hi:[1,0]
	v_pk_add_f32 v[42:43], v[44:45], v[42:43]
	v_pk_fma_f32 v[44:45], v[70:71], v[54:55], v[40:41] op_sel_hi:[1,0,1]
	s_wait_loadcnt 0x2
	v_dual_mov_b32 v39, v51 :: v_dual_mov_b32 v44, v61
	v_pk_fma_f32 v[40:41], v[70:71], v[54:55], v[40:41] neg_lo:[0,0,1] neg_hi:[0,0,1]
	v_pk_add_f32 v[42:43], v[42:43], v[48:49]
	v_pk_mul_f32 v[46:47], v[74:75], v[58:59] op_sel:[1,1] op_sel_hi:[0,1]
	v_pk_fma_f32 v[48:49], v[72:73], v[56:57], v[62:63] op_sel_hi:[1,0,1]
	v_mov_b32_e32 v41, v45
	v_pk_fma_f32 v[50:51], v[72:73], v[56:57], v[62:63] neg_lo:[0,0,1] neg_hi:[0,0,1]
	v_pk_add_f32 v[38:39], v[42:43], v[38:39]
	v_pk_fma_f32 v[42:43], v[74:75], v[58:59], v[46:47] op_sel_hi:[1,0,1]
	v_pk_mul_f32 v[44:45], v[98:99], v[44:45] op_sel_hi:[1,0]
	v_mov_b32_e32 v51, v49
	s_delay_alu instid0(VALU_DEP_4)
	v_pk_add_f32 v[38:39], v[38:39], v[40:41]
	v_pk_fma_f32 v[40:41], v[74:75], v[58:59], v[46:47] neg_lo:[0,0,1] neg_hi:[0,0,1]
	v_mov_b32_e32 v41, v43
	v_pk_fma_f32 v[42:43], v[76:77], v[60:61], v[44:45] op_sel_hi:[1,0,1]
	s_wait_loadcnt_dscnt 0x100
	v_pk_mul_f32 v[46:47], v[90:91], v[86:87] op_sel:[1,1] op_sel_hi:[0,1]
	v_pk_add_f32 v[38:39], v[38:39], v[50:51]
	v_pk_fma_f32 v[44:45], v[76:77], v[60:61], v[44:45] neg_lo:[0,0,1] neg_hi:[0,0,1]
	v_mov_b32_e32 v45, v43
	s_delay_alu instid0(VALU_DEP_4) | instskip(NEXT) | instid1(VALU_DEP_4)
	v_pk_fma_f32 v[42:43], v[90:91], v[86:87], v[46:47] neg_lo:[0,0,1] neg_hi:[0,0,1]
	v_pk_add_f32 v[38:39], v[38:39], v[40:41]
	v_pk_fma_f32 v[40:41], v[90:91], v[86:87], v[46:47] op_sel_hi:[1,0,1]
	s_delay_alu instid0(VALU_DEP_2) | instskip(NEXT) | instid1(VALU_DEP_2)
	v_pk_add_f32 v[38:39], v[38:39], v[44:45]
	v_mov_b32_e32 v43, v41
	s_delay_alu instid0(VALU_DEP_1) | instskip(SKIP_1) | instid1(VALU_DEP_1)
	v_pk_add_f32 v[38:39], v[38:39], v[42:43]
	s_wait_loadcnt 0x0
	v_pk_add_f32 v[38:39], v[88:89], v[38:39] neg_lo:[0,1] neg_hi:[0,1]
	scratch_store_b64 off, v[38:39], off offset:32
	s_wait_xcnt 0x0
	v_cmpx_lt_u32_e32 3, v0
	s_cbranch_execz .LBB81_115
; %bb.114:
	scratch_load_b64 v[38:39], off, off offset:24
	v_mov_b64_e32 v[40:41], 0
	scratch_store_b64 off, v[40:41], off offset:24
	s_wait_loadcnt 0x0
	ds_store_b64 v1, v[38:39]
.LBB81_115:
	s_wait_xcnt 0x0
	s_or_b32 exec_lo, exec_lo, s0
	s_wait_storecnt_dscnt 0x0
	s_barrier_signal -1
	s_barrier_wait -1
	s_clause 0x7
	scratch_load_b128 v[38:41], off, off offset:32
	scratch_load_b128 v[42:45], off, off offset:48
	;; [unrolled: 1-line block ×7, first 2 shown]
	scratch_load_b64 v[94:95], off, off offset:24
	ds_load_b128 v[66:69], v7 offset:224
	ds_load_b128 v[70:73], v7 offset:240
	;; [unrolled: 1-line block ×7, first 2 shown]
	s_mov_b32 s0, exec_lo
	s_wait_dscnt 0x6
	v_dual_mov_b32 v96, v69 :: v_dual_mov_b32 v97, v68
	s_wait_dscnt 0x5
	v_dual_mov_b32 v98, v73 :: v_dual_mov_b32 v99, v72
	;; [unrolled: 2-line block ×4, first 2 shown]
	s_wait_loadcnt_dscnt 0x702
	v_dual_mul_f32 v7, v82, v39 :: v_dual_mul_f32 v9, v84, v41
	v_dual_mul_f32 v15, v83, v39 :: v_dual_mul_f32 v17, v85, v41
	s_wait_loadcnt_dscnt 0x601
	v_dual_mul_f32 v11, v86, v43 :: v_dual_mul_f32 v13, v88, v45
	s_delay_alu instid0(VALU_DEP_3) | instskip(NEXT) | instid1(VALU_DEP_3)
	v_dual_fmac_f32 v7, v83, v38 :: v_dual_fmac_f32 v9, v85, v40
	v_dual_fma_f32 v15, v82, v38, -v15 :: v_dual_fma_f32 v17, v84, v40, -v17
	v_dual_mul_f32 v19, v87, v43 :: v_dual_mul_f32 v21, v89, v45
	s_wait_loadcnt 0x4
	s_delay_alu instid0(VALU_DEP_3) | instskip(NEXT) | instid1(VALU_DEP_3)
	v_dual_add_f32 v7, 0, v7 :: v_dual_mov_b32 v40, v53
	v_dual_add_f32 v15, 0, v15 :: v_dual_fmac_f32 v11, v87, v42
	s_delay_alu instid0(VALU_DEP_2) | instskip(SKIP_2) | instid1(VALU_DEP_3)
	v_dual_fma_f32 v19, v86, v42, -v19 :: v_dual_add_f32 v7, v7, v9
	s_wait_dscnt 0x0
	v_dual_mul_f32 v105, v90, v47 :: v_dual_mul_f32 v107, v92, v49
	v_dual_add_f32 v9, v15, v17 :: v_dual_fmac_f32 v13, v89, v44
	v_dual_mul_f32 v23, v91, v47 :: v_dual_mul_f32 v25, v93, v49
	v_dual_fma_f32 v15, v88, v44, -v21 :: v_dual_add_f32 v7, v7, v11
	s_delay_alu instid0(VALU_DEP_3) | instskip(SKIP_3) | instid1(VALU_DEP_3)
	v_dual_add_f32 v9, v9, v19 :: v_dual_fmac_f32 v105, v91, v46
	v_pk_mul_f32 v[38:39], v[66:67], v[50:51] op_sel:[1,1] op_sel_hi:[0,1]
	s_wait_loadcnt 0x3
	v_dual_mov_b32 v44, v57 :: v_dual_fma_f32 v104, v90, v46, -v23
	v_dual_add_f32 v47, v7, v13 :: v_dual_add_f32 v46, v9, v15
	v_dual_fmac_f32 v107, v93, v48 :: v_dual_fma_f32 v106, v92, v48, -v25
	v_pk_fma_f32 v[48:49], v[66:67], v[50:51], v[38:39] op_sel_hi:[1,0,1]
	v_pk_mul_f32 v[40:41], v[96:97], v[40:41] op_sel_hi:[1,0]
	s_delay_alu instid0(VALU_DEP_4)
	v_pk_add_f32 v[46:47], v[46:47], v[104:105]
	v_pk_fma_f32 v[38:39], v[66:67], v[50:51], v[38:39] neg_lo:[0,0,1] neg_hi:[0,0,1]
	v_pk_mul_f32 v[42:43], v[70:71], v[54:55] op_sel:[1,1] op_sel_hi:[0,1]
	v_mov_b32_e32 v39, v49
	v_pk_fma_f32 v[48:49], v[68:69], v[52:53], v[40:41] op_sel_hi:[1,0,1]
	v_pk_add_f32 v[46:47], v[46:47], v[106:107]
	v_pk_fma_f32 v[40:41], v[68:69], v[52:53], v[40:41] neg_lo:[0,0,1] neg_hi:[0,0,1]
	v_pk_fma_f32 v[50:51], v[70:71], v[54:55], v[42:43] op_sel_hi:[1,0,1]
	v_pk_mul_f32 v[44:45], v[98:99], v[44:45] op_sel_hi:[1,0]
	v_mov_b32_e32 v41, v49
	v_pk_add_f32 v[38:39], v[46:47], v[38:39]
	s_wait_loadcnt 0x2
	v_pk_mul_f32 v[82:83], v[74:75], v[58:59] op_sel:[1,1] op_sel_hi:[0,1]
	v_mov_b32_e32 v46, v61
	v_pk_fma_f32 v[42:43], v[70:71], v[54:55], v[42:43] neg_lo:[0,0,1] neg_hi:[0,0,1]
	v_mov_b32_e32 v43, v51
	v_pk_fma_f32 v[48:49], v[72:73], v[56:57], v[44:45] op_sel_hi:[1,0,1]
	v_pk_add_f32 v[38:39], v[38:39], v[40:41]
	v_pk_fma_f32 v[40:41], v[74:75], v[58:59], v[82:83] op_sel_hi:[1,0,1]
	v_pk_mul_f32 v[46:47], v[100:101], v[46:47] op_sel_hi:[1,0]
	v_pk_fma_f32 v[44:45], v[72:73], v[56:57], v[44:45] neg_lo:[0,0,1] neg_hi:[0,0,1]
	v_mov_b32_e32 v45, v49
	v_pk_add_f32 v[38:39], v[38:39], v[42:43]
	v_pk_fma_f32 v[48:49], v[74:75], v[58:59], v[82:83] neg_lo:[0,0,1] neg_hi:[0,0,1]
	v_mov_b32_e32 v49, v41
	v_pk_fma_f32 v[40:41], v[76:77], v[60:61], v[46:47] op_sel_hi:[1,0,1]
	s_wait_loadcnt 0x1
	v_pk_mul_f32 v[42:43], v[78:79], v[62:63] op_sel:[1,1] op_sel_hi:[0,1]
	v_pk_add_f32 v[38:39], v[38:39], v[44:45]
	v_mov_b32_e32 v40, v65
	v_pk_fma_f32 v[46:47], v[76:77], v[60:61], v[46:47] neg_lo:[0,0,1] neg_hi:[0,0,1]
	v_mov_b32_e32 v47, v41
	v_pk_fma_f32 v[44:45], v[78:79], v[62:63], v[42:43] op_sel_hi:[1,0,1]
	v_pk_add_f32 v[38:39], v[38:39], v[48:49]
	v_pk_mul_f32 v[40:41], v[102:103], v[40:41] op_sel_hi:[1,0]
	v_pk_fma_f32 v[42:43], v[78:79], v[62:63], v[42:43] neg_lo:[0,0,1] neg_hi:[0,0,1]
	s_delay_alu instid0(VALU_DEP_4) | instskip(NEXT) | instid1(VALU_DEP_4)
	v_mov_b32_e32 v43, v45
	v_pk_add_f32 v[38:39], v[38:39], v[46:47]
	s_delay_alu instid0(VALU_DEP_4) | instskip(SKIP_1) | instid1(VALU_DEP_2)
	v_pk_fma_f32 v[44:45], v[80:81], v[64:65], v[40:41] op_sel_hi:[1,0,1]
	v_pk_fma_f32 v[40:41], v[80:81], v[64:65], v[40:41] neg_lo:[0,0,1] neg_hi:[0,0,1]
	v_mov_b32_e32 v41, v45
	s_delay_alu instid0(VALU_DEP_4) | instskip(NEXT) | instid1(VALU_DEP_1)
	v_pk_add_f32 v[38:39], v[38:39], v[42:43]
	v_pk_add_f32 v[38:39], v[38:39], v[40:41]
	s_wait_loadcnt 0x0
	s_delay_alu instid0(VALU_DEP_1)
	v_pk_add_f32 v[38:39], v[94:95], v[38:39] neg_lo:[0,1] neg_hi:[0,1]
	scratch_store_b64 off, v[38:39], off offset:24
	s_wait_xcnt 0x0
	v_cmpx_lt_u32_e32 2, v0
	s_cbranch_execz .LBB81_117
; %bb.116:
	scratch_load_b64 v[38:39], off, off offset:16
	v_mov_b64_e32 v[40:41], 0
	scratch_store_b64 off, v[40:41], off offset:16
	s_wait_loadcnt 0x0
	ds_store_b64 v1, v[38:39]
.LBB81_117:
	s_wait_xcnt 0x0
	s_or_b32 exec_lo, exec_lo, s0
	s_wait_storecnt_dscnt 0x0
	s_barrier_signal -1
	s_barrier_wait -1
	s_clause 0x8
	scratch_load_b128 v[38:41], off, off offset:24
	scratch_load_b128 v[42:45], off, off offset:40
	;; [unrolled: 1-line block ×7, first 2 shown]
	scratch_load_b64 v[94:95], off, off offset:136
	scratch_load_b64 v[96:97], off, off offset:16
	v_mov_b32_e32 v15, 0
	ds_load_2addr_b64 v[66:69], v15 offset0:27 offset1:28
	ds_load_2addr_b64 v[70:73], v15 offset0:29 offset1:30
	;; [unrolled: 1-line block ×7, first 2 shown]
	ds_load_b64 v[98:99], v15 offset:280
	s_mov_b32 s0, exec_lo
	s_wait_dscnt 0x7
	v_dual_mov_b32 v100, v69 :: v_dual_mov_b32 v101, v68
	s_wait_dscnt 0x4
	v_dual_mov_b32 v102, v73 :: v_dual_mov_b32 v107, v80
	v_dual_mov_b32 v103, v72 :: v_dual_mov_b32 v104, v77
	;; [unrolled: 1-line block ×3, first 2 shown]
	s_wait_loadcnt_dscnt 0x803
	v_dual_mul_f32 v7, v82, v39 :: v_dual_mul_f32 v19, v83, v39
	v_dual_mul_f32 v21, v85, v41 :: v_dual_mul_f32 v9, v84, v41
	s_wait_loadcnt_dscnt 0x702
	v_mul_f32_e32 v11, v86, v43
	s_wait_loadcnt 0x5
	v_dual_mul_f32 v31, v67, v51 :: v_dual_fma_f32 v19, v82, v38, -v19
	v_dual_fmac_f32 v7, v83, v38 :: v_dual_mov_b32 v38, v53
	v_dual_mul_f32 v23, v87, v43 :: v_dual_mul_f32 v25, v89, v45
	s_delay_alu instid0(VALU_DEP_2) | instskip(NEXT) | instid1(VALU_DEP_4)
	v_dual_fmac_f32 v9, v85, v40 :: v_dual_add_f32 v7, 0, v7
	v_dual_fma_f32 v21, v84, v40, -v21 :: v_dual_add_f32 v19, 0, v19
	s_wait_dscnt 0x1
	v_dual_mul_f32 v13, v88, v45 :: v_dual_mul_f32 v17, v90, v47
	v_fmac_f32_e32 v11, v87, v42
	v_dual_fma_f32 v23, v86, v42, -v23 :: v_dual_add_f32 v7, v7, v9
	s_delay_alu instid0(VALU_DEP_3)
	v_dual_add_f32 v9, v19, v21 :: v_dual_fmac_f32 v13, v89, v44
	v_dual_mul_f32 v27, v91, v47 :: v_dual_mul_f32 v29, v93, v49
	s_wait_loadcnt 0x4
	v_dual_mov_b32 v42, v57 :: v_dual_fma_f32 v19, v88, v44, -v25
	v_add_f32_e32 v7, v7, v11
	v_dual_add_f32 v9, v9, v23 :: v_dual_fmac_f32 v17, v91, v46
	v_dual_mul_f32 v109, v92, v49 :: v_dual_mul_f32 v111, v66, v51
	s_delay_alu instid0(VALU_DEP_3) | instskip(NEXT) | instid1(VALU_DEP_3)
	v_dual_fma_f32 v11, v90, v46, -v27 :: v_dual_add_f32 v7, v7, v13
	v_dual_add_f32 v9, v9, v19 :: v_dual_fma_f32 v108, v92, v48, -v29
	s_delay_alu instid0(VALU_DEP_3) | instskip(SKIP_1) | instid1(VALU_DEP_3)
	v_fmac_f32_e32 v109, v93, v48
	v_pk_mul_f32 v[38:39], v[100:101], v[38:39] op_sel_hi:[1,0]
	v_dual_add_f32 v47, v7, v17 :: v_dual_add_f32 v46, v9, v11
	v_fmac_f32_e32 v111, v67, v50
	v_pk_mul_f32 v[40:41], v[70:71], v[54:55] op_sel:[1,1] op_sel_hi:[0,1]
	s_wait_loadcnt 0x3
	v_dual_mov_b32 v48, v61 :: v_dual_fma_f32 v110, v66, v50, -v31
	v_pk_fma_f32 v[50:51], v[68:69], v[52:53], v[38:39] op_sel_hi:[1,0,1]
	v_pk_add_f32 v[46:47], v[46:47], v[108:109]
	v_pk_fma_f32 v[38:39], v[68:69], v[52:53], v[38:39] neg_lo:[0,0,1] neg_hi:[0,0,1]
	v_pk_fma_f32 v[66:67], v[70:71], v[54:55], v[40:41] op_sel_hi:[1,0,1]
	v_pk_mul_f32 v[42:43], v[102:103], v[42:43] op_sel_hi:[1,0]
	v_mov_b32_e32 v39, v51
	v_pk_add_f32 v[46:47], v[46:47], v[110:111]
	v_pk_fma_f32 v[40:41], v[70:71], v[54:55], v[40:41] neg_lo:[0,0,1] neg_hi:[0,0,1]
	v_pk_mul_f32 v[44:45], v[74:75], v[58:59] op_sel:[1,1] op_sel_hi:[0,1]
	v_mov_b32_e32 v41, v67
	v_pk_fma_f32 v[52:53], v[72:73], v[56:57], v[42:43] op_sel_hi:[1,0,1]
	v_pk_add_f32 v[38:39], v[46:47], v[38:39]
	v_pk_fma_f32 v[42:43], v[72:73], v[56:57], v[42:43] neg_lo:[0,0,1] neg_hi:[0,0,1]
	v_pk_fma_f32 v[46:47], v[74:75], v[58:59], v[44:45] op_sel_hi:[1,0,1]
	v_pk_mul_f32 v[48:49], v[104:105], v[48:49] op_sel_hi:[1,0]
	v_mov_b32_e32 v43, v53
	v_pk_add_f32 v[38:39], v[38:39], v[40:41]
	v_pk_fma_f32 v[44:45], v[74:75], v[58:59], v[44:45] neg_lo:[0,0,1] neg_hi:[0,0,1]
	s_wait_loadcnt 0x2
	v_pk_mul_f32 v[50:51], v[78:79], v[62:63] op_sel:[1,1] op_sel_hi:[0,1]
	v_dual_mov_b32 v40, v65 :: v_dual_mov_b32 v45, v47
	v_pk_fma_f32 v[46:47], v[76:77], v[60:61], v[48:49] op_sel_hi:[1,0,1]
	v_pk_add_f32 v[38:39], v[38:39], v[42:43]
	v_pk_fma_f32 v[48:49], v[76:77], v[60:61], v[48:49] neg_lo:[0,0,1] neg_hi:[0,0,1]
	v_pk_fma_f32 v[42:43], v[78:79], v[62:63], v[50:51] op_sel_hi:[1,0,1]
	v_pk_mul_f32 v[40:41], v[106:107], v[40:41] op_sel_hi:[1,0]
	v_mov_b32_e32 v49, v47
	v_pk_add_f32 v[38:39], v[38:39], v[44:45]
	v_pk_fma_f32 v[44:45], v[78:79], v[62:63], v[50:51] neg_lo:[0,0,1] neg_hi:[0,0,1]
	v_mov_b32_e32 v45, v43
	v_pk_fma_f32 v[42:43], v[80:81], v[64:65], v[40:41] op_sel_hi:[1,0,1]
	s_wait_loadcnt_dscnt 0x100
	v_pk_mul_f32 v[46:47], v[98:99], v[94:95] op_sel:[1,1] op_sel_hi:[0,1]
	v_pk_add_f32 v[38:39], v[38:39], v[48:49]
	v_pk_fma_f32 v[40:41], v[80:81], v[64:65], v[40:41] neg_lo:[0,0,1] neg_hi:[0,0,1]
	v_mov_b32_e32 v41, v43
	s_delay_alu instid0(VALU_DEP_4) | instskip(NEXT) | instid1(VALU_DEP_4)
	v_pk_fma_f32 v[42:43], v[98:99], v[94:95], v[46:47] op_sel_hi:[1,0,1]
	v_pk_add_f32 v[38:39], v[38:39], v[44:45]
	v_pk_fma_f32 v[44:45], v[98:99], v[94:95], v[46:47] neg_lo:[0,0,1] neg_hi:[0,0,1]
	s_delay_alu instid0(VALU_DEP_3) | instskip(NEXT) | instid1(VALU_DEP_3)
	v_mov_b32_e32 v45, v43
	v_pk_add_f32 v[38:39], v[38:39], v[40:41]
	s_delay_alu instid0(VALU_DEP_1) | instskip(SKIP_1) | instid1(VALU_DEP_1)
	v_pk_add_f32 v[38:39], v[38:39], v[44:45]
	s_wait_loadcnt 0x0
	v_pk_add_f32 v[38:39], v[96:97], v[38:39] neg_lo:[0,1] neg_hi:[0,1]
	scratch_store_b64 off, v[38:39], off offset:16
	s_wait_xcnt 0x0
	v_cmpx_lt_u32_e32 1, v0
	s_cbranch_execz .LBB81_119
; %bb.118:
	scratch_load_b64 v[38:39], off, off offset:8
	v_mov_b64_e32 v[40:41], 0
	scratch_store_b64 off, v[40:41], off offset:8
	s_wait_loadcnt 0x0
	ds_store_b64 v1, v[38:39]
.LBB81_119:
	s_wait_xcnt 0x0
	s_or_b32 exec_lo, exec_lo, s0
	s_wait_storecnt_dscnt 0x0
	s_barrier_signal -1
	s_barrier_wait -1
	s_clause 0x8
	scratch_load_b128 v[38:41], off, off offset:16
	scratch_load_b128 v[42:45], off, off offset:32
	;; [unrolled: 1-line block ×8, first 2 shown]
	scratch_load_b64 v[102:103], off, off offset:8
	ds_load_b128 v[70:73], v15 offset:224
	ds_load_b128 v[74:77], v15 offset:240
	;; [unrolled: 1-line block ×8, first 2 shown]
	v_ashrrev_i32_e32 v15, 31, v14
	v_dual_ashrrev_i32 v7, 31, v6 :: v_dual_ashrrev_i32 v9, 31, v8
	v_dual_ashrrev_i32 v11, 31, v10 :: v_dual_ashrrev_i32 v13, 31, v12
	s_mov_b32 s0, exec_lo
	s_wait_dscnt 0x7
	v_dual_mov_b32 v104, v73 :: v_dual_mov_b32 v105, v72
	s_wait_dscnt 0x4
	v_dual_mov_b32 v106, v77 :: v_dual_mov_b32 v111, v84
	v_dual_mov_b32 v107, v76 :: v_dual_mov_b32 v108, v81
	;; [unrolled: 1-line block ×3, first 2 shown]
	s_wait_loadcnt_dscnt 0x803
	v_dual_mul_f32 v17, v86, v39 :: v_dual_mul_f32 v19, v88, v41
	v_dual_mul_f32 v21, v87, v39 :: v_dual_mul_f32 v23, v89, v41
	s_wait_loadcnt_dscnt 0x702
	v_dual_mul_f32 v25, v90, v43 :: v_dual_mul_f32 v27, v92, v45
	v_mul_f32_e32 v29, v91, v43
	s_wait_loadcnt_dscnt 0x601
	v_dual_mul_f32 v31, v94, v47 :: v_dual_mul_f32 v33, v93, v45
	v_dual_mul_f32 v45, v97, v49 :: v_dual_fmac_f32 v17, v87, v38
	s_wait_loadcnt_dscnt 0x500
	v_dual_fma_f32 v21, v86, v38, -v21 :: v_dual_mul_f32 v38, v99, v51
	v_fmac_f32_e32 v19, v89, v40
	s_delay_alu instid0(VALU_DEP_3) | instskip(NEXT) | instid1(VALU_DEP_3)
	v_dual_fma_f32 v23, v88, v40, -v23 :: v_dual_add_f32 v17, 0, v17
	v_add_f32_e32 v21, 0, v21
	v_dual_mul_f32 v40, v101, v53 :: v_dual_fmac_f32 v25, v91, v42
	s_delay_alu instid0(VALU_DEP_3) | instskip(NEXT) | instid1(VALU_DEP_3)
	v_dual_fma_f32 v29, v90, v42, -v29 :: v_dual_add_f32 v17, v17, v19
	v_dual_add_f32 v19, v21, v23 :: v_dual_fma_f32 v21, v92, v44, -v33
	v_dual_mul_f32 v41, v100, v53 :: v_dual_mul_f32 v37, v95, v47
	s_delay_alu instid0(VALU_DEP_2) | instskip(NEXT) | instid1(VALU_DEP_4)
	v_dual_fmac_f32 v27, v93, v44 :: v_dual_add_f32 v19, v19, v29
	v_dual_add_f32 v17, v17, v25 :: v_dual_fmac_f32 v31, v95, v46
	v_dual_mul_f32 v35, v96, v49 :: v_dual_mul_f32 v39, v98, v51
	s_wait_loadcnt 0x4
	v_dual_mov_b32 v44, v57 :: v_dual_fma_f32 v23, v94, v46, -v37
	s_delay_alu instid0(VALU_DEP_3) | instskip(NEXT) | instid1(VALU_DEP_3)
	v_dual_add_f32 v17, v17, v27 :: v_dual_add_f32 v19, v19, v21
	v_dual_fmac_f32 v35, v97, v48 :: v_dual_fma_f32 v21, v96, v48, -v45
	v_pk_mul_f32 v[42:43], v[70:71], v[54:55] op_sel:[1,1] op_sel_hi:[0,1]
	s_delay_alu instid0(VALU_DEP_3) | instskip(SKIP_2) | instid1(VALU_DEP_2)
	v_dual_add_f32 v17, v17, v31 :: v_dual_fmac_f32 v39, v99, v50
	s_wait_loadcnt 0x3
	v_dual_add_f32 v19, v19, v23 :: v_dual_mov_b32 v48, v61
	v_dual_fma_f32 v38, v98, v50, -v38 :: v_dual_add_f32 v51, v17, v35
	s_delay_alu instid0(VALU_DEP_2)
	v_dual_fmac_f32 v41, v101, v52 :: v_dual_add_f32 v50, v19, v21
	v_fma_f32 v40, v100, v52, -v40
	v_pk_fma_f32 v[52:53], v[70:71], v[54:55], v[42:43] op_sel_hi:[1,0,1]
	v_pk_mul_f32 v[44:45], v[104:105], v[44:45] op_sel_hi:[1,0]
	v_pk_fma_f32 v[42:43], v[70:71], v[54:55], v[42:43] neg_lo:[0,0,1] neg_hi:[0,0,1]
	v_pk_add_f32 v[38:39], v[50:51], v[38:39]
	v_pk_mul_f32 v[46:47], v[74:75], v[58:59] op_sel:[1,1] op_sel_hi:[0,1]
	v_mov_b32_e32 v43, v53
	v_pk_fma_f32 v[52:53], v[72:73], v[56:57], v[44:45] op_sel_hi:[1,0,1]
	v_pk_fma_f32 v[44:45], v[72:73], v[56:57], v[44:45] neg_lo:[0,0,1] neg_hi:[0,0,1]
	v_pk_add_f32 v[38:39], v[38:39], v[40:41]
	v_pk_fma_f32 v[40:41], v[74:75], v[58:59], v[46:47] op_sel_hi:[1,0,1]
	v_pk_mul_f32 v[48:49], v[106:107], v[48:49] op_sel_hi:[1,0]
	s_wait_loadcnt 0x2
	v_dual_mov_b32 v45, v53 :: v_dual_mov_b32 v40, v65
	v_pk_add_f32 v[38:39], v[38:39], v[42:43]
	v_pk_mul_f32 v[50:51], v[78:79], v[62:63] op_sel:[1,1] op_sel_hi:[0,1]
	v_pk_fma_f32 v[42:43], v[74:75], v[58:59], v[46:47] neg_lo:[0,0,1] neg_hi:[0,0,1]
	v_pk_fma_f32 v[46:47], v[76:77], v[60:61], v[48:49] op_sel_hi:[1,0,1]
	v_mov_b32_e32 v43, v41
	v_pk_add_f32 v[38:39], v[38:39], v[44:45]
	v_pk_fma_f32 v[44:45], v[78:79], v[62:63], v[50:51] op_sel_hi:[1,0,1]
	v_pk_mul_f32 v[40:41], v[108:109], v[40:41] op_sel_hi:[1,0]
	v_pk_fma_f32 v[48:49], v[76:77], v[60:61], v[48:49] neg_lo:[0,0,1] neg_hi:[0,0,1]
	v_mov_b32_e32 v49, v47
	v_pk_add_f32 v[38:39], v[38:39], v[42:43]
	v_pk_fma_f32 v[46:47], v[78:79], v[62:63], v[50:51] neg_lo:[0,0,1] neg_hi:[0,0,1]
	v_mov_b32_e32 v47, v45
	v_pk_fma_f32 v[44:45], v[80:81], v[64:65], v[40:41] op_sel_hi:[1,0,1]
	s_wait_loadcnt 0x1
	v_pk_mul_f32 v[42:43], v[82:83], v[66:67] op_sel:[1,1] op_sel_hi:[0,1]
	v_pk_add_f32 v[38:39], v[38:39], v[48:49]
	v_mov_b32_e32 v44, v69
	v_pk_fma_f32 v[40:41], v[80:81], v[64:65], v[40:41] neg_lo:[0,0,1] neg_hi:[0,0,1]
	v_dual_mov_b32 v41, v45 :: v_dual_ashrrev_i32 v17, 31, v16
	v_pk_fma_f32 v[48:49], v[82:83], v[66:67], v[42:43] op_sel_hi:[1,0,1]
	v_pk_add_f32 v[38:39], v[38:39], v[46:47]
	v_pk_mul_f32 v[44:45], v[110:111], v[44:45] op_sel_hi:[1,0]
	v_pk_fma_f32 v[42:43], v[82:83], v[66:67], v[42:43] neg_lo:[0,0,1] neg_hi:[0,0,1]
	s_delay_alu instid0(VALU_DEP_4) | instskip(NEXT) | instid1(VALU_DEP_4)
	v_dual_ashrrev_i32 v19, 31, v18 :: v_dual_mov_b32 v43, v49
	v_pk_add_f32 v[38:39], v[38:39], v[40:41]
	s_delay_alu instid0(VALU_DEP_4)
	v_pk_fma_f32 v[40:41], v[84:85], v[68:69], v[44:45] op_sel_hi:[1,0,1]
	v_pk_fma_f32 v[44:45], v[84:85], v[68:69], v[44:45] neg_lo:[0,0,1] neg_hi:[0,0,1]
	v_dual_ashrrev_i32 v21, 31, v20 :: v_dual_ashrrev_i32 v23, 31, v22
	v_ashrrev_i32_e32 v25, 31, v24
	v_pk_add_f32 v[38:39], v[38:39], v[42:43]
	v_dual_mov_b32 v45, v41 :: v_dual_ashrrev_i32 v27, 31, v26
	v_dual_ashrrev_i32 v29, 31, v28 :: v_dual_ashrrev_i32 v31, 31, v30
	v_ashrrev_i32_e32 v33, 31, v32
	s_delay_alu instid0(VALU_DEP_3) | instskip(SKIP_2) | instid1(VALU_DEP_2)
	v_pk_add_f32 v[38:39], v[38:39], v[44:45]
	v_dual_ashrrev_i32 v35, 31, v34 :: v_dual_ashrrev_i32 v37, 31, v36
	s_wait_loadcnt 0x0
	v_pk_add_f32 v[38:39], v[102:103], v[38:39] neg_lo:[0,1] neg_hi:[0,1]
	scratch_store_b64 off, v[38:39], off offset:8
	s_wait_xcnt 0x0
	v_cmpx_ne_u32_e32 0, v0
	s_cbranch_execz .LBB81_121
; %bb.120:
	scratch_load_b64 v[38:39], off, off
	v_mov_b64_e32 v[40:41], 0
	scratch_store_b64 off, v[40:41], off
	s_wait_loadcnt 0x0
	ds_store_b64 v1, v[38:39]
.LBB81_121:
	s_wait_xcnt 0x0
	s_or_b32 exec_lo, exec_lo, s0
	s_wait_storecnt_dscnt 0x0
	s_barrier_signal -1
	s_barrier_wait -1
	s_clause 0x9
	scratch_load_b128 v[40:43], off, off offset:8
	scratch_load_b128 v[44:47], off, off offset:24
	;; [unrolled: 1-line block ×8, first 2 shown]
	scratch_load_b64 v[0:1], off, off offset:136
	scratch_load_b64 v[104:105], off, off
	v_mov_b32_e32 v38, 0
	ds_load_2addr_b64 v[72:75], v38 offset0:27 offset1:28
	ds_load_2addr_b64 v[76:79], v38 offset0:29 offset1:30
	;; [unrolled: 1-line block ×8, first 2 shown]
	ds_load_b64 v[106:107], v38 offset:280
	s_and_b32 vcc_lo, exec_lo, s12
	s_wait_dscnt 0x8
	v_dual_mov_b32 v108, v75 :: v_dual_mov_b32 v109, v74
	s_wait_dscnt 0x5
	v_dual_mov_b32 v110, v79 :: v_dual_mov_b32 v115, v86
	v_dual_mov_b32 v111, v78 :: v_dual_mov_b32 v112, v83
	;; [unrolled: 1-line block ×3, first 2 shown]
	s_wait_loadcnt_dscnt 0x904
	v_dual_mul_f32 v39, v88, v41 :: v_dual_mul_f32 v41, v89, v41
	s_wait_loadcnt_dscnt 0x803
	v_dual_mul_f32 v116, v90, v43 :: v_dual_mul_f32 v118, v92, v45
	;; [unrolled: 2-line block ×3, first 2 shown]
	v_dual_mul_f32 v43, v91, v43 :: v_dual_mul_f32 v53, v101, v53
	v_dual_fmac_f32 v39, v89, v40 :: v_dual_fma_f32 v40, v88, v40, -v41
	v_dual_mul_f32 v45, v93, v45 :: v_dual_mul_f32 v41, v103, v55
	s_delay_alu instid0(VALU_DEP_3) | instskip(NEXT) | instid1(VALU_DEP_3)
	v_dual_fmac_f32 v116, v91, v42 :: v_dual_fma_f32 v42, v90, v42, -v43
	v_dual_add_f32 v39, 0, v39 :: v_dual_add_f32 v40, 0, v40
	v_dual_mul_f32 v120, v94, v47 :: v_dual_mul_f32 v121, v96, v49
	s_wait_loadcnt 0x5
	v_dual_mul_f32 v117, v102, v55 :: v_dual_mul_f32 v119, v72, v57
	v_dual_mul_f32 v47, v95, v47 :: v_dual_mul_f32 v55, v73, v57
	v_dual_fma_f32 v43, v92, v44, -v45 :: v_dual_fmac_f32 v118, v93, v44
	v_dual_add_f32 v42, v40, v42 :: v_dual_add_f32 v39, v39, v116
	s_delay_alu instid0(VALU_DEP_3) | instskip(SKIP_1) | instid1(VALU_DEP_3)
	v_dual_fma_f32 v44, v94, v46, -v47 :: v_dual_mul_f32 v49, v97, v49
	v_mul_f32_e32 v51, v99, v51
	v_dual_mov_b32 v40, v59 :: v_dual_add_f32 v45, v42, v43
	v_dual_fmac_f32 v120, v95, v46 :: v_dual_fmac_f32 v121, v97, v48
	s_delay_alu instid0(VALU_DEP_4) | instskip(SKIP_1) | instid1(VALU_DEP_3)
	v_dual_add_f32 v39, v39, v118 :: v_dual_fma_f32 v46, v96, v48, -v49
	s_wait_loadcnt 0x4
	v_dual_add_f32 v45, v45, v44 :: v_dual_mov_b32 v44, v63
	v_dual_fmac_f32 v122, v99, v50 :: v_dual_fmac_f32 v123, v101, v52
	s_delay_alu instid0(VALU_DEP_3) | instskip(NEXT) | instid1(VALU_DEP_3)
	v_dual_add_f32 v39, v39, v120 :: v_dual_fma_f32 v48, v98, v50, -v51
	v_add_f32_e32 v45, v45, v46
	v_pk_mul_f32 v[42:43], v[76:77], v[60:61] op_sel:[1,1] op_sel_hi:[0,1]
	v_fmac_f32_e32 v117, v103, v54
	s_delay_alu instid0(VALU_DEP_4) | instskip(NEXT) | instid1(VALU_DEP_4)
	v_dual_add_f32 v39, v39, v121 :: v_dual_fma_f32 v50, v100, v52, -v53
	v_add_f32_e32 v45, v45, v48
	s_wait_loadcnt 0x3
	v_pk_mul_f32 v[46:47], v[80:81], v[64:65] op_sel:[1,1] op_sel_hi:[0,1]
	s_delay_alu instid0(VALU_DEP_3) | instskip(SKIP_3) | instid1(VALU_DEP_4)
	v_add_f32_e32 v39, v39, v122
	v_fma_f32 v116, v102, v54, -v41
	v_pk_mul_f32 v[40:41], v[108:109], v[40:41] op_sel_hi:[1,0]
	v_dual_add_f32 v48, v45, v50 :: v_dual_mov_b32 v50, v67
	v_add_f32_e32 v49, v39, v123
	v_pk_mul_f32 v[44:45], v[110:111], v[44:45] op_sel_hi:[1,0]
	s_delay_alu instid0(VALU_DEP_4)
	v_pk_fma_f32 v[52:53], v[74:75], v[58:59], v[40:41] op_sel_hi:[1,0,1]
	v_fma_f32 v118, v72, v56, -v55
	v_pk_fma_f32 v[54:55], v[76:77], v[60:61], v[42:43] op_sel_hi:[1,0,1]
	v_fmac_f32_e32 v119, v73, v56
	v_pk_add_f32 v[48:49], v[48:49], v[116:117]
	v_pk_fma_f32 v[40:41], v[74:75], v[58:59], v[40:41] neg_lo:[0,0,1] neg_hi:[0,0,1]
	v_pk_fma_f32 v[42:43], v[76:77], v[60:61], v[42:43] neg_lo:[0,0,1] neg_hi:[0,0,1]
	v_dual_mov_b32 v41, v53 :: v_dual_mov_b32 v43, v55
	s_delay_alu instid0(VALU_DEP_4)
	v_pk_add_f32 v[48:49], v[48:49], v[118:119]
	v_pk_fma_f32 v[54:55], v[78:79], v[62:63], v[44:45] op_sel_hi:[1,0,1]
	v_pk_fma_f32 v[44:45], v[78:79], v[62:63], v[44:45] neg_lo:[0,0,1] neg_hi:[0,0,1]
	v_pk_mul_f32 v[50:51], v[112:113], v[50:51] op_sel_hi:[1,0]
	s_wait_loadcnt 0x2
	v_pk_mul_f32 v[52:53], v[84:85], v[68:69] op_sel:[1,1] op_sel_hi:[0,1]
	v_pk_add_f32 v[40:41], v[48:49], v[40:41]
	v_pk_fma_f32 v[48:49], v[80:81], v[64:65], v[46:47] op_sel_hi:[1,0,1]
	v_mov_b32_e32 v45, v55
	v_pk_fma_f32 v[46:47], v[80:81], v[64:65], v[46:47] neg_lo:[0,0,1] neg_hi:[0,0,1]
	s_delay_alu instid0(VALU_DEP_4) | instskip(NEXT) | instid1(VALU_DEP_4)
	v_pk_add_f32 v[40:41], v[40:41], v[42:43]
	v_dual_mov_b32 v42, v71 :: v_dual_mov_b32 v47, v49
	v_pk_fma_f32 v[48:49], v[82:83], v[66:67], v[50:51] op_sel_hi:[1,0,1]
	v_pk_fma_f32 v[50:51], v[82:83], v[66:67], v[50:51] neg_lo:[0,0,1] neg_hi:[0,0,1]
	s_delay_alu instid0(VALU_DEP_4)
	v_pk_add_f32 v[40:41], v[40:41], v[44:45]
	v_pk_fma_f32 v[44:45], v[84:85], v[68:69], v[52:53] op_sel_hi:[1,0,1]
	v_pk_mul_f32 v[42:43], v[114:115], v[42:43] op_sel_hi:[1,0]
	v_mov_b32_e32 v51, v49
	v_pk_fma_f32 v[48:49], v[84:85], v[68:69], v[52:53] neg_lo:[0,0,1] neg_hi:[0,0,1]
	v_pk_add_f32 v[40:41], v[40:41], v[46:47]
	s_wait_loadcnt_dscnt 0x100
	v_pk_mul_f32 v[46:47], v[106:107], v[0:1] op_sel:[1,1] op_sel_hi:[0,1]
	v_mov_b32_e32 v49, v45
	v_pk_fma_f32 v[44:45], v[86:87], v[70:71], v[42:43] op_sel_hi:[1,0,1]
	v_pk_fma_f32 v[42:43], v[86:87], v[70:71], v[42:43] neg_lo:[0,0,1] neg_hi:[0,0,1]
	v_pk_add_f32 v[40:41], v[40:41], v[50:51]
	v_pk_fma_f32 v[50:51], v[106:107], v[0:1], v[46:47] op_sel_hi:[1,0,1]
	v_pk_fma_f32 v[0:1], v[106:107], v[0:1], v[46:47] neg_lo:[0,0,1] neg_hi:[0,0,1]
	v_mov_b32_e32 v43, v45
	s_delay_alu instid0(VALU_DEP_4) | instskip(NEXT) | instid1(VALU_DEP_4)
	v_pk_add_f32 v[40:41], v[40:41], v[48:49]
	v_mov_b32_e32 v1, v51
	s_delay_alu instid0(VALU_DEP_2) | instskip(NEXT) | instid1(VALU_DEP_1)
	v_pk_add_f32 v[40:41], v[40:41], v[42:43]
	v_pk_add_f32 v[0:1], v[40:41], v[0:1]
	s_wait_loadcnt 0x0
	s_delay_alu instid0(VALU_DEP_1)
	v_pk_add_f32 v[0:1], v[104:105], v[0:1] neg_lo:[0,1] neg_hi:[0,1]
	scratch_store_b64 off, v[0:1], off
	s_cbranch_vccz .LBB81_156
; %bb.122:
	global_load_b32 v0, v38, s[8:9] offset:64
	s_wait_loadcnt 0x0
	v_cmp_ne_u32_e32 vcc_lo, 17, v0
	s_cbranch_vccz .LBB81_124
; %bb.123:
	v_lshlrev_b32_e32 v0, 3, v0
	s_delay_alu instid0(VALU_DEP_1)
	v_mov_b32_e32 v40, v0
	scratch_load_b64 v[0:1], v40, off offset:-8
	scratch_load_b64 v[38:39], off, off offset:128
	s_wait_loadcnt 0x1
	scratch_store_b64 off, v[0:1], off offset:128
	s_wait_loadcnt 0x0
	scratch_store_b64 v40, v[38:39], off offset:-8
.LBB81_124:
	s_wait_xcnt 0x1
	v_mov_b32_e32 v0, 0
	global_load_b32 v1, v0, s[8:9] offset:60
	s_wait_loadcnt 0x0
	v_cmp_eq_u32_e32 vcc_lo, 16, v1
	s_cbranch_vccnz .LBB81_126
; %bb.125:
	v_lshlrev_b32_e32 v1, 3, v1
	scratch_load_b64 v[38:39], v1, off offset:-8
	scratch_load_b64 v[40:41], off, off offset:120
	s_wait_loadcnt 0x1
	scratch_store_b64 off, v[38:39], off offset:120
	s_wait_loadcnt 0x0
	scratch_store_b64 v1, v[40:41], off offset:-8
.LBB81_126:
	global_load_b32 v0, v0, s[8:9] offset:56
	s_wait_loadcnt 0x0
	v_cmp_eq_u32_e32 vcc_lo, 15, v0
	s_cbranch_vccnz .LBB81_128
; %bb.127:
	s_wait_xcnt 0x0
	v_lshlrev_b32_e32 v0, 3, v0
	s_delay_alu instid0(VALU_DEP_1)
	v_mov_b32_e32 v40, v0
	scratch_load_b64 v[0:1], v40, off offset:-8
	scratch_load_b64 v[38:39], off, off offset:112
	s_wait_loadcnt 0x1
	scratch_store_b64 off, v[0:1], off offset:112
	s_wait_loadcnt 0x0
	scratch_store_b64 v40, v[38:39], off offset:-8
.LBB81_128:
	s_wait_xcnt 0x0
	v_mov_b32_e32 v0, 0
	global_load_b32 v1, v0, s[8:9] offset:52
	s_wait_loadcnt 0x0
	v_cmp_eq_u32_e32 vcc_lo, 14, v1
	s_cbranch_vccnz .LBB81_130
; %bb.129:
	v_lshlrev_b32_e32 v1, 3, v1
	scratch_load_b64 v[38:39], v1, off offset:-8
	scratch_load_b64 v[40:41], off, off offset:104
	s_wait_loadcnt 0x1
	scratch_store_b64 off, v[38:39], off offset:104
	s_wait_loadcnt 0x0
	scratch_store_b64 v1, v[40:41], off offset:-8
.LBB81_130:
	global_load_b32 v0, v0, s[8:9] offset:48
	s_wait_loadcnt 0x0
	v_cmp_eq_u32_e32 vcc_lo, 13, v0
	s_cbranch_vccnz .LBB81_132
; %bb.131:
	s_wait_xcnt 0x0
	v_lshlrev_b32_e32 v0, 3, v0
	s_delay_alu instid0(VALU_DEP_1)
	v_mov_b32_e32 v40, v0
	scratch_load_b64 v[0:1], v40, off offset:-8
	scratch_load_b64 v[38:39], off, off offset:96
	s_wait_loadcnt 0x1
	scratch_store_b64 off, v[0:1], off offset:96
	s_wait_loadcnt 0x0
	scratch_store_b64 v40, v[38:39], off offset:-8
.LBB81_132:
	;; [unrolled: 31-line block ×7, first 2 shown]
	s_wait_xcnt 0x0
	v_mov_b32_e32 v0, 0
	global_load_b32 v1, v0, s[8:9] offset:4
	s_wait_loadcnt 0x0
	v_cmp_eq_u32_e32 vcc_lo, 2, v1
	s_cbranch_vccnz .LBB81_154
; %bb.153:
	v_lshlrev_b32_e32 v1, 3, v1
	scratch_load_b64 v[38:39], v1, off offset:-8
	scratch_load_b64 v[40:41], off, off offset:8
	s_wait_loadcnt 0x1
	scratch_store_b64 off, v[38:39], off offset:8
	s_wait_loadcnt 0x0
	scratch_store_b64 v1, v[40:41], off offset:-8
.LBB81_154:
	global_load_b32 v38, v0, s[8:9]
	scratch_load_b64 v[0:1], off, off
	s_wait_loadcnt 0x1
	v_cmp_eq_u32_e32 vcc_lo, 1, v38
	s_cbranch_vccnz .LBB81_156
; %bb.155:
	v_lshlrev_b32_e32 v38, 3, v38
	s_delay_alu instid0(VALU_DEP_1)
	v_mov_b32_e32 v40, v38
	scratch_load_b64 v[38:39], v40, off offset:-8
	s_wait_loadcnt 0x0
	scratch_store_b64 off, v[38:39], off
	scratch_store_b64 v40, v[0:1], off offset:-8
	scratch_load_b64 v[0:1], off, off
.LBB81_156:
	s_wait_loadcnt 0x0
	flat_store_b64 v[2:3], v[0:1]
	scratch_load_b64 v[0:1], off, off offset:8
	v_lshl_add_u64 v[52:53], v[6:7], 3, s[2:3]
	v_lshl_add_u64 v[50:51], v[8:9], 3, s[2:3]
	;; [unrolled: 1-line block ×16, first 2 shown]
	s_wait_loadcnt 0x0
	flat_store_b64 v[4:5], v[0:1]
	scratch_load_b64 v[0:1], off, off offset:16
	s_wait_loadcnt 0x0
	flat_store_b64 v[52:53], v[0:1]
	scratch_load_b64 v[0:1], off, off offset:24
	;; [unrolled: 3-line block ×16, first 2 shown]
	s_wait_loadcnt 0x0
	flat_store_b64 v[6:7], v[0:1]
	s_sendmsg sendmsg(MSG_DEALLOC_VGPRS)
	s_endpgm
	.section	.rodata,"a",@progbits
	.p2align	6, 0x0
	.amdhsa_kernel _ZN9rocsolver6v33100L18getri_kernel_smallILi18E19rocblas_complex_numIfEPKPS3_EEvT1_iilPiilS8_bb
		.amdhsa_group_segment_fixed_size 292
		.amdhsa_private_segment_fixed_size 160
		.amdhsa_kernarg_size 60
		.amdhsa_user_sgpr_count 2
		.amdhsa_user_sgpr_dispatch_ptr 0
		.amdhsa_user_sgpr_queue_ptr 0
		.amdhsa_user_sgpr_kernarg_segment_ptr 1
		.amdhsa_user_sgpr_dispatch_id 0
		.amdhsa_user_sgpr_kernarg_preload_length 0
		.amdhsa_user_sgpr_kernarg_preload_offset 0
		.amdhsa_user_sgpr_private_segment_size 0
		.amdhsa_wavefront_size32 1
		.amdhsa_uses_dynamic_stack 0
		.amdhsa_enable_private_segment 1
		.amdhsa_system_sgpr_workgroup_id_x 1
		.amdhsa_system_sgpr_workgroup_id_y 0
		.amdhsa_system_sgpr_workgroup_id_z 0
		.amdhsa_system_sgpr_workgroup_info 0
		.amdhsa_system_vgpr_workitem_id 0
		.amdhsa_next_free_vgpr 124
		.amdhsa_next_free_sgpr 19
		.amdhsa_named_barrier_count 0
		.amdhsa_reserve_vcc 1
		.amdhsa_float_round_mode_32 0
		.amdhsa_float_round_mode_16_64 0
		.amdhsa_float_denorm_mode_32 3
		.amdhsa_float_denorm_mode_16_64 3
		.amdhsa_fp16_overflow 0
		.amdhsa_memory_ordered 1
		.amdhsa_forward_progress 1
		.amdhsa_inst_pref_size 150
		.amdhsa_round_robin_scheduling 0
		.amdhsa_exception_fp_ieee_invalid_op 0
		.amdhsa_exception_fp_denorm_src 0
		.amdhsa_exception_fp_ieee_div_zero 0
		.amdhsa_exception_fp_ieee_overflow 0
		.amdhsa_exception_fp_ieee_underflow 0
		.amdhsa_exception_fp_ieee_inexact 0
		.amdhsa_exception_int_div_zero 0
	.end_amdhsa_kernel
	.section	.text._ZN9rocsolver6v33100L18getri_kernel_smallILi18E19rocblas_complex_numIfEPKPS3_EEvT1_iilPiilS8_bb,"axG",@progbits,_ZN9rocsolver6v33100L18getri_kernel_smallILi18E19rocblas_complex_numIfEPKPS3_EEvT1_iilPiilS8_bb,comdat
.Lfunc_end81:
	.size	_ZN9rocsolver6v33100L18getri_kernel_smallILi18E19rocblas_complex_numIfEPKPS3_EEvT1_iilPiilS8_bb, .Lfunc_end81-_ZN9rocsolver6v33100L18getri_kernel_smallILi18E19rocblas_complex_numIfEPKPS3_EEvT1_iilPiilS8_bb
                                        ; -- End function
	.set _ZN9rocsolver6v33100L18getri_kernel_smallILi18E19rocblas_complex_numIfEPKPS3_EEvT1_iilPiilS8_bb.num_vgpr, 124
	.set _ZN9rocsolver6v33100L18getri_kernel_smallILi18E19rocblas_complex_numIfEPKPS3_EEvT1_iilPiilS8_bb.num_agpr, 0
	.set _ZN9rocsolver6v33100L18getri_kernel_smallILi18E19rocblas_complex_numIfEPKPS3_EEvT1_iilPiilS8_bb.numbered_sgpr, 19
	.set _ZN9rocsolver6v33100L18getri_kernel_smallILi18E19rocblas_complex_numIfEPKPS3_EEvT1_iilPiilS8_bb.num_named_barrier, 0
	.set _ZN9rocsolver6v33100L18getri_kernel_smallILi18E19rocblas_complex_numIfEPKPS3_EEvT1_iilPiilS8_bb.private_seg_size, 160
	.set _ZN9rocsolver6v33100L18getri_kernel_smallILi18E19rocblas_complex_numIfEPKPS3_EEvT1_iilPiilS8_bb.uses_vcc, 1
	.set _ZN9rocsolver6v33100L18getri_kernel_smallILi18E19rocblas_complex_numIfEPKPS3_EEvT1_iilPiilS8_bb.uses_flat_scratch, 1
	.set _ZN9rocsolver6v33100L18getri_kernel_smallILi18E19rocblas_complex_numIfEPKPS3_EEvT1_iilPiilS8_bb.has_dyn_sized_stack, 0
	.set _ZN9rocsolver6v33100L18getri_kernel_smallILi18E19rocblas_complex_numIfEPKPS3_EEvT1_iilPiilS8_bb.has_recursion, 0
	.set _ZN9rocsolver6v33100L18getri_kernel_smallILi18E19rocblas_complex_numIfEPKPS3_EEvT1_iilPiilS8_bb.has_indirect_call, 0
	.section	.AMDGPU.csdata,"",@progbits
; Kernel info:
; codeLenInByte = 19196
; TotalNumSgprs: 21
; NumVgprs: 124
; ScratchSize: 160
; MemoryBound: 0
; FloatMode: 240
; IeeeMode: 1
; LDSByteSize: 292 bytes/workgroup (compile time only)
; SGPRBlocks: 0
; VGPRBlocks: 7
; NumSGPRsForWavesPerEU: 21
; NumVGPRsForWavesPerEU: 124
; NamedBarCnt: 0
; Occupancy: 8
; WaveLimiterHint : 1
; COMPUTE_PGM_RSRC2:SCRATCH_EN: 1
; COMPUTE_PGM_RSRC2:USER_SGPR: 2
; COMPUTE_PGM_RSRC2:TRAP_HANDLER: 0
; COMPUTE_PGM_RSRC2:TGID_X_EN: 1
; COMPUTE_PGM_RSRC2:TGID_Y_EN: 0
; COMPUTE_PGM_RSRC2:TGID_Z_EN: 0
; COMPUTE_PGM_RSRC2:TIDIG_COMP_CNT: 0
	.section	.text._ZN9rocsolver6v33100L18getri_kernel_smallILi19E19rocblas_complex_numIfEPKPS3_EEvT1_iilPiilS8_bb,"axG",@progbits,_ZN9rocsolver6v33100L18getri_kernel_smallILi19E19rocblas_complex_numIfEPKPS3_EEvT1_iilPiilS8_bb,comdat
	.globl	_ZN9rocsolver6v33100L18getri_kernel_smallILi19E19rocblas_complex_numIfEPKPS3_EEvT1_iilPiilS8_bb ; -- Begin function _ZN9rocsolver6v33100L18getri_kernel_smallILi19E19rocblas_complex_numIfEPKPS3_EEvT1_iilPiilS8_bb
	.p2align	8
	.type	_ZN9rocsolver6v33100L18getri_kernel_smallILi19E19rocblas_complex_numIfEPKPS3_EEvT1_iilPiilS8_bb,@function
_ZN9rocsolver6v33100L18getri_kernel_smallILi19E19rocblas_complex_numIfEPKPS3_EEvT1_iilPiilS8_bb: ; @_ZN9rocsolver6v33100L18getri_kernel_smallILi19E19rocblas_complex_numIfEPKPS3_EEvT1_iilPiilS8_bb
; %bb.0:
	s_mov_b32 s2, exec_lo
	v_cmpx_gt_u32_e32 19, v0
	s_cbranch_execz .LBB82_90
; %bb.1:
	s_clause 0x1
	s_load_b32 s13, s[0:1], 0x38
	s_load_b64 s[2:3], s[0:1], 0x0
	s_getreg_b32 s6, hwreg(HW_REG_IB_STS2, 6, 4)
	s_wait_kmcnt 0x0
	s_bitcmp1_b32 s13, 8
	s_cselect_b32 s12, -1, 0
	s_bfe_u32 s4, ttmp6, 0x4000c
	s_and_b32 s5, ttmp6, 15
	s_add_co_i32 s4, s4, 1
	s_delay_alu instid0(SALU_CYCLE_1) | instskip(NEXT) | instid1(SALU_CYCLE_1)
	s_mul_i32 s4, ttmp9, s4
	s_add_co_i32 s5, s5, s4
	s_cmp_eq_u32 s6, 0
	s_cselect_b32 s10, ttmp9, s5
	s_load_b128 s[4:7], s[0:1], 0x28
	s_ashr_i32 s11, s10, 31
	s_delay_alu instid0(SALU_CYCLE_1) | instskip(NEXT) | instid1(SALU_CYCLE_1)
	s_lshl_b64 s[8:9], s[10:11], 3
	s_add_nc_u64 s[2:3], s[2:3], s[8:9]
	s_bfe_u32 s8, s13, 0x10008
	s_load_b64 s[2:3], s[2:3], 0x0
	s_cmp_eq_u32 s8, 0
                                        ; implicit-def: $sgpr8_sgpr9
	s_cbranch_scc1 .LBB82_3
; %bb.2:
	s_load_b96 s[16:18], s[0:1], 0x18
	s_wait_kmcnt 0x0
	s_mul_u64 s[4:5], s[4:5], s[10:11]
	s_delay_alu instid0(SALU_CYCLE_1) | instskip(SKIP_4) | instid1(SALU_CYCLE_1)
	s_lshl_b64 s[4:5], s[4:5], 2
	s_ashr_i32 s9, s18, 31
	s_mov_b32 s8, s18
	s_add_nc_u64 s[4:5], s[16:17], s[4:5]
	s_lshl_b64 s[8:9], s[8:9], 2
	s_add_nc_u64 s[8:9], s[4:5], s[8:9]
.LBB82_3:
	s_wait_kmcnt 0x0
	s_clause 0x1
	s_load_b64 s[4:5], s[0:1], 0x8
	s_load_b32 s13, s[0:1], 0x38
	v_dual_mov_b32 v41, 0 :: v_dual_lshlrev_b32 v40, 3, v0
	s_wait_kmcnt 0x0
	s_ashr_i32 s1, s4, 31
	s_mov_b32 s0, s4
	s_delay_alu instid0(SALU_CYCLE_1) | instskip(NEXT) | instid1(SALU_CYCLE_1)
	s_lshl_b64 s[0:1], s[0:1], 3
	s_add_nc_u64 s[2:3], s[2:3], s[0:1]
	s_ashr_i32 s1, s5, 31
	flat_load_b64 v[6:7], v0, s[2:3] scale_offset
	v_add_nc_u64_e32 v[2:3], s[2:3], v[40:41]
	s_mov_b32 s0, s5
	s_bitcmp0_b32 s13, 0
	s_delay_alu instid0(VALU_DEP_1)
	v_lshl_add_u64 v[4:5], s[0:1], 3, v[2:3]
	s_mov_b32 s1, -1
	s_wait_loadcnt_dscnt 0x0
	scratch_store_b64 off, v[6:7], off
	flat_load_b64 v[8:9], v[4:5]
	s_wait_xcnt 0x1
	v_add3_u32 v6, s5, s5, v0
	s_wait_loadcnt_dscnt 0x0
	scratch_store_b64 off, v[8:9], off offset:8
	flat_load_b64 v[10:11], v6, s[2:3] scale_offset
	s_wait_xcnt 0x1
	v_add_nc_u32_e32 v8, s5, v6
	s_wait_loadcnt_dscnt 0x0
	scratch_store_b64 off, v[10:11], off offset:16
	flat_load_b64 v[12:13], v8, s[2:3] scale_offset
	s_wait_xcnt 0x1
	v_add_nc_u32_e32 v10, s5, v8
	;; [unrolled: 5-line block ×16, first 2 shown]
	s_wait_loadcnt_dscnt 0x0
	scratch_store_b64 off, v[42:43], off offset:136
	flat_load_b64 v[42:43], v38, s[2:3] scale_offset
	s_wait_loadcnt_dscnt 0x0
	scratch_store_b64 off, v[42:43], off offset:144
	s_cbranch_scc1 .LBB82_88
; %bb.4:
	v_cmp_eq_u32_e64 s0, 0, v0
	s_wait_xcnt 0x0
	s_and_saveexec_b32 s1, s0
; %bb.5:
	v_mov_b32_e32 v1, 0
	ds_store_b32 v1, v1 offset:152
; %bb.6:
	s_or_b32 exec_lo, exec_lo, s1
	s_wait_storecnt_dscnt 0x0
	s_barrier_signal -1
	s_barrier_wait -1
	scratch_load_b64 v[42:43], v0, off scale_offset
	s_wait_loadcnt 0x0
	v_cmp_eq_f32_e32 vcc_lo, 0, v42
	v_cmp_eq_f32_e64 s1, 0, v43
	s_and_b32 s1, vcc_lo, s1
	s_delay_alu instid0(SALU_CYCLE_1)
	s_and_saveexec_b32 s4, s1
	s_cbranch_execz .LBB82_10
; %bb.7:
	v_mov_b32_e32 v1, 0
	s_mov_b32 s5, 0
	ds_load_b32 v7, v1 offset:152
	s_wait_dscnt 0x0
	v_readfirstlane_b32 s1, v7
	v_add_nc_u32_e32 v7, 1, v0
	s_cmp_eq_u32 s1, 0
	s_delay_alu instid0(VALU_DEP_1) | instskip(SKIP_1) | instid1(SALU_CYCLE_1)
	v_cmp_gt_i32_e32 vcc_lo, s1, v7
	s_cselect_b32 s13, -1, 0
	s_or_b32 s13, s13, vcc_lo
	s_delay_alu instid0(SALU_CYCLE_1)
	s_and_b32 exec_lo, exec_lo, s13
	s_cbranch_execz .LBB82_10
; %bb.8:
	v_mov_b32_e32 v9, s1
.LBB82_9:                               ; =>This Inner Loop Header: Depth=1
	ds_cmpstore_rtn_b32 v9, v1, v7, v9 offset:152
	s_wait_dscnt 0x0
	v_cmp_ne_u32_e32 vcc_lo, 0, v9
	v_cmp_le_i32_e64 s1, v9, v7
	s_and_b32 s1, vcc_lo, s1
	s_delay_alu instid0(SALU_CYCLE_1) | instskip(NEXT) | instid1(SALU_CYCLE_1)
	s_and_b32 s1, exec_lo, s1
	s_or_b32 s5, s1, s5
	s_delay_alu instid0(SALU_CYCLE_1)
	s_and_not1_b32 exec_lo, exec_lo, s5
	s_cbranch_execnz .LBB82_9
.LBB82_10:
	s_or_b32 exec_lo, exec_lo, s4
	v_mov_b32_e32 v1, 0
	s_barrier_signal -1
	s_barrier_wait -1
	ds_load_b32 v7, v1 offset:152
	s_and_saveexec_b32 s1, s0
	s_cbranch_execz .LBB82_12
; %bb.11:
	s_lshl_b64 s[4:5], s[10:11], 2
	s_delay_alu instid0(SALU_CYCLE_1)
	s_add_nc_u64 s[4:5], s[6:7], s[4:5]
	s_wait_dscnt 0x0
	global_store_b32 v1, v7, s[4:5]
.LBB82_12:
	s_wait_xcnt 0x0
	s_or_b32 exec_lo, exec_lo, s1
	s_wait_dscnt 0x0
	v_cmp_ne_u32_e32 vcc_lo, 0, v7
	s_mov_b32 s1, 0
	s_cbranch_vccnz .LBB82_88
; %bb.13:
	v_lshl_add_u32 v7, v0, 3, 0
                                        ; implicit-def: $vgpr45
                                        ; implicit-def: $vgpr46
	scratch_load_b64 v[42:43], v7, off
	s_wait_loadcnt 0x0
	v_cmp_ngt_f32_e64 s1, |v42|, |v43|
	s_wait_xcnt 0x0
	s_and_saveexec_b32 s4, s1
	s_delay_alu instid0(SALU_CYCLE_1)
	s_xor_b32 s1, exec_lo, s4
	s_cbranch_execz .LBB82_15
; %bb.14:
	v_div_scale_f32 v1, null, v43, v43, v42
	v_div_scale_f32 v13, vcc_lo, v42, v43, v42
	s_delay_alu instid0(VALU_DEP_2) | instskip(SKIP_1) | instid1(TRANS32_DEP_1)
	v_rcp_f32_e32 v9, v1
	v_nop
	v_fma_f32 v11, -v1, v9, 1.0
	s_delay_alu instid0(VALU_DEP_1) | instskip(NEXT) | instid1(VALU_DEP_1)
	v_fmac_f32_e32 v9, v11, v9
	v_mul_f32_e32 v11, v13, v9
	s_delay_alu instid0(VALU_DEP_1) | instskip(NEXT) | instid1(VALU_DEP_1)
	v_fma_f32 v15, -v1, v11, v13
	v_fmac_f32_e32 v11, v15, v9
	s_delay_alu instid0(VALU_DEP_1) | instskip(NEXT) | instid1(VALU_DEP_1)
	v_fma_f32 v1, -v1, v11, v13
	v_div_fmas_f32 v1, v1, v9, v11
	s_delay_alu instid0(VALU_DEP_1) | instskip(NEXT) | instid1(VALU_DEP_1)
	v_div_fixup_f32 v1, v1, v43, v42
	v_fmac_f32_e32 v43, v42, v1
	s_delay_alu instid0(VALU_DEP_1) | instskip(NEXT) | instid1(VALU_DEP_1)
	v_div_scale_f32 v9, null, v43, v43, -1.0
	v_rcp_f32_e32 v11, v9
	v_nop
	s_delay_alu instid0(TRANS32_DEP_1) | instskip(NEXT) | instid1(VALU_DEP_1)
	v_fma_f32 v13, -v9, v11, 1.0
	v_fmac_f32_e32 v11, v13, v11
	v_div_scale_f32 v13, vcc_lo, -1.0, v43, -1.0
	s_delay_alu instid0(VALU_DEP_1) | instskip(NEXT) | instid1(VALU_DEP_1)
	v_mul_f32_e32 v15, v13, v11
	v_fma_f32 v17, -v9, v15, v13
	s_delay_alu instid0(VALU_DEP_1) | instskip(NEXT) | instid1(VALU_DEP_1)
	v_fmac_f32_e32 v15, v17, v11
	v_fma_f32 v9, -v9, v15, v13
	s_delay_alu instid0(VALU_DEP_1) | instskip(NEXT) | instid1(VALU_DEP_1)
	v_div_fmas_f32 v9, v9, v11, v15
	v_div_fixup_f32 v45, v9, v43, -1.0
                                        ; implicit-def: $vgpr42_vgpr43
	s_delay_alu instid0(VALU_DEP_1) | instskip(NEXT) | instid1(VALU_DEP_1)
	v_mul_f32_e32 v46, v1, v45
	v_xor_b32_e32 v44, 0x80000000, v46
.LBB82_15:
	s_and_not1_saveexec_b32 s1, s1
	s_cbranch_execz .LBB82_17
; %bb.16:
	v_div_scale_f32 v1, null, v42, v42, v43
	v_div_scale_f32 v13, vcc_lo, v43, v42, v43
	s_delay_alu instid0(VALU_DEP_2) | instskip(SKIP_1) | instid1(TRANS32_DEP_1)
	v_rcp_f32_e32 v9, v1
	v_nop
	v_fma_f32 v11, -v1, v9, 1.0
	s_delay_alu instid0(VALU_DEP_1) | instskip(NEXT) | instid1(VALU_DEP_1)
	v_fmac_f32_e32 v9, v11, v9
	v_mul_f32_e32 v11, v13, v9
	s_delay_alu instid0(VALU_DEP_1) | instskip(NEXT) | instid1(VALU_DEP_1)
	v_fma_f32 v15, -v1, v11, v13
	v_fmac_f32_e32 v11, v15, v9
	s_delay_alu instid0(VALU_DEP_1) | instskip(NEXT) | instid1(VALU_DEP_1)
	v_fma_f32 v1, -v1, v11, v13
	v_div_fmas_f32 v1, v1, v9, v11
	s_delay_alu instid0(VALU_DEP_1) | instskip(NEXT) | instid1(VALU_DEP_1)
	v_div_fixup_f32 v1, v1, v42, v43
	v_fmac_f32_e32 v42, v43, v1
	s_delay_alu instid0(VALU_DEP_1) | instskip(SKIP_1) | instid1(VALU_DEP_2)
	v_div_scale_f32 v9, null, v42, v42, 1.0
	v_div_scale_f32 v15, vcc_lo, 1.0, v42, 1.0
	v_rcp_f32_e32 v11, v9
	v_nop
	s_delay_alu instid0(TRANS32_DEP_1) | instskip(NEXT) | instid1(VALU_DEP_1)
	v_fma_f32 v13, -v9, v11, 1.0
	v_fmac_f32_e32 v11, v13, v11
	s_delay_alu instid0(VALU_DEP_1) | instskip(NEXT) | instid1(VALU_DEP_1)
	v_mul_f32_e32 v13, v15, v11
	v_fma_f32 v17, -v9, v13, v15
	s_delay_alu instid0(VALU_DEP_1) | instskip(NEXT) | instid1(VALU_DEP_1)
	v_fmac_f32_e32 v13, v17, v11
	v_fma_f32 v9, -v9, v13, v15
	s_delay_alu instid0(VALU_DEP_1) | instskip(NEXT) | instid1(VALU_DEP_1)
	v_div_fmas_f32 v9, v9, v11, v13
	v_div_fixup_f32 v44, v9, v42, 1.0
	s_delay_alu instid0(VALU_DEP_1)
	v_xor_b32_e32 v46, 0x80000000, v44
	v_mul_f32_e64 v45, v1, -v44
.LBB82_17:
	s_or_b32 exec_lo, exec_lo, s1
	scratch_store_b64 v7, v[44:45], off
	scratch_load_b64 v[42:43], off, off offset:8
	v_xor_b32_e32 v47, 0x80000000, v45
	v_add_nc_u32_e32 v1, 0xa0, v40
	s_wait_loadcnt 0x0
	ds_store_2addr_b64 v40, v[46:47], v[42:43] offset1:20
	s_wait_storecnt_dscnt 0x0
	s_barrier_signal -1
	s_barrier_wait -1
	s_wait_xcnt 0x0
	s_and_saveexec_b32 s1, s0
	s_cbranch_execz .LBB82_19
; %bb.18:
	scratch_load_b64 v[42:43], v7, off
	ds_load_b64 v[44:45], v1
	s_wait_loadcnt_dscnt 0x0
	v_pk_mul_f32 v[48:49], v[44:45], v[42:43] op_sel:[1,1] op_sel_hi:[0,1]
	s_delay_alu instid0(VALU_DEP_1) | instskip(SKIP_2) | instid1(VALU_DEP_3)
	v_pk_fma_f32 v[50:51], v[44:45], v[42:43], v[48:49] op_sel_hi:[1,0,1]
	v_mov_b32_e32 v9, 0
	v_pk_fma_f32 v[42:43], v[44:45], v[42:43], v[48:49] neg_lo:[0,0,1] neg_hi:[0,0,1]
	v_mov_b32_e32 v43, v51
	ds_load_b64 v[46:47], v9 offset:8
	v_pk_add_f32 v[42:43], v[42:43], 0 op_sel_hi:[1,0]
	s_wait_dscnt 0x0
	s_delay_alu instid0(VALU_DEP_1) | instskip(NEXT) | instid1(VALU_DEP_1)
	v_pk_mul_f32 v[44:45], v[42:43], v[46:47] op_sel:[1,1] op_sel_hi:[0,1]
	v_pk_fma_f32 v[48:49], v[42:43], v[46:47], v[44:45] op_sel_hi:[1,0,1]
	v_pk_fma_f32 v[42:43], v[42:43], v[46:47], v[44:45] neg_lo:[0,0,1] neg_hi:[0,0,1]
	s_delay_alu instid0(VALU_DEP_2)
	v_mov_b32_e32 v43, v49
	scratch_store_b64 off, v[42:43], off offset:8
.LBB82_19:
	s_wait_xcnt 0x0
	s_or_b32 exec_lo, exec_lo, s1
	s_wait_storecnt 0x0
	s_barrier_signal -1
	s_barrier_wait -1
	scratch_load_b64 v[42:43], off, off offset:16
	s_mov_b32 s1, exec_lo
	s_wait_loadcnt 0x0
	ds_store_b64 v1, v[42:43]
	s_wait_dscnt 0x0
	s_barrier_signal -1
	s_barrier_wait -1
	v_cmpx_gt_u32_e32 2, v0
	s_cbranch_execz .LBB82_23
; %bb.20:
	scratch_load_b64 v[42:43], v7, off
	ds_load_b64 v[44:45], v1
	s_wait_loadcnt_dscnt 0x0
	v_pk_mul_f32 v[46:47], v[44:45], v[42:43] op_sel:[1,1] op_sel_hi:[0,1]
	s_delay_alu instid0(VALU_DEP_1) | instskip(SKIP_1) | instid1(VALU_DEP_2)
	v_pk_fma_f32 v[48:49], v[44:45], v[42:43], v[46:47] op_sel_hi:[1,0,1]
	v_pk_fma_f32 v[42:43], v[44:45], v[42:43], v[46:47] neg_lo:[0,0,1] neg_hi:[0,0,1]
	v_mov_b32_e32 v43, v49
	s_delay_alu instid0(VALU_DEP_1)
	v_pk_add_f32 v[42:43], v[42:43], 0 op_sel_hi:[1,0]
	s_and_saveexec_b32 s4, s0
	s_cbranch_execz .LBB82_22
; %bb.21:
	scratch_load_b64 v[44:45], off, off offset:8
	v_mov_b32_e32 v7, 0
	ds_load_b64 v[46:47], v7 offset:168
	s_wait_loadcnt_dscnt 0x0
	v_pk_mul_f32 v[48:49], v[46:47], v[44:45] op_sel:[1,1] op_sel_hi:[0,1]
	s_delay_alu instid0(VALU_DEP_1) | instskip(SKIP_1) | instid1(VALU_DEP_2)
	v_pk_fma_f32 v[50:51], v[46:47], v[44:45], v[48:49] op_sel_hi:[1,0,1]
	v_pk_fma_f32 v[44:45], v[46:47], v[44:45], v[48:49] neg_lo:[0,0,1] neg_hi:[0,0,1]
	v_mov_b32_e32 v45, v51
	s_delay_alu instid0(VALU_DEP_1)
	v_pk_add_f32 v[42:43], v[42:43], v[44:45]
.LBB82_22:
	s_or_b32 exec_lo, exec_lo, s4
	v_mov_b32_e32 v7, 0
	ds_load_b64 v[44:45], v7 offset:16
	s_wait_dscnt 0x0
	v_pk_mul_f32 v[46:47], v[42:43], v[44:45] op_sel:[1,1] op_sel_hi:[0,1]
	s_delay_alu instid0(VALU_DEP_1) | instskip(SKIP_1) | instid1(VALU_DEP_2)
	v_pk_fma_f32 v[48:49], v[42:43], v[44:45], v[46:47] op_sel_hi:[1,0,1]
	v_pk_fma_f32 v[42:43], v[42:43], v[44:45], v[46:47] neg_lo:[0,0,1] neg_hi:[0,0,1]
	v_mov_b32_e32 v43, v49
	scratch_store_b64 off, v[42:43], off offset:16
.LBB82_23:
	s_wait_xcnt 0x0
	s_or_b32 exec_lo, exec_lo, s1
	s_wait_storecnt 0x0
	s_barrier_signal -1
	s_barrier_wait -1
	scratch_load_b64 v[42:43], off, off offset:24
	v_add_nc_u32_e32 v7, -1, v0
	s_mov_b32 s0, exec_lo
	s_wait_loadcnt 0x0
	ds_store_b64 v1, v[42:43]
	s_wait_dscnt 0x0
	s_barrier_signal -1
	s_barrier_wait -1
	v_cmpx_gt_u32_e32 3, v0
	s_cbranch_execz .LBB82_27
; %bb.24:
	v_dual_mov_b32 v42, 0 :: v_dual_add_nc_u32 v9, -1, v0
	v_add_nc_u32_e32 v11, 0xa0, v40
	v_mov_b32_e32 v13, v40
	s_mov_b32 s1, 0
	s_delay_alu instid0(VALU_DEP_3)
	v_mov_b32_e32 v43, v42
.LBB82_25:                              ; =>This Inner Loop Header: Depth=1
	scratch_load_b64 v[44:45], v13, off
	ds_load_b64 v[46:47], v11
	s_wait_xcnt 0x0
	v_dual_add_nc_u32 v11, 8, v11 :: v_dual_add_nc_u32 v13, 8, v13
	s_wait_loadcnt_dscnt 0x0
	v_pk_mul_f32 v[48:49], v[46:47], v[44:45] op_sel:[1,1] op_sel_hi:[0,1]
	s_delay_alu instid0(VALU_DEP_1) | instskip(SKIP_2) | instid1(VALU_DEP_3)
	v_pk_fma_f32 v[50:51], v[46:47], v[44:45], v[48:49] op_sel_hi:[1,0,1]
	v_add_nc_u32_e32 v9, 1, v9
	v_pk_fma_f32 v[44:45], v[46:47], v[44:45], v[48:49] neg_lo:[0,0,1] neg_hi:[0,0,1]
	v_mov_b32_e32 v45, v51
	s_delay_alu instid0(VALU_DEP_3) | instskip(NEXT) | instid1(VALU_DEP_2)
	v_cmp_lt_u32_e32 vcc_lo, 1, v9
	v_pk_add_f32 v[42:43], v[42:43], v[44:45]
	s_or_b32 s1, vcc_lo, s1
	s_delay_alu instid0(SALU_CYCLE_1)
	s_and_not1_b32 exec_lo, exec_lo, s1
	s_cbranch_execnz .LBB82_25
; %bb.26:
	s_or_b32 exec_lo, exec_lo, s1
	v_mov_b32_e32 v9, 0
	ds_load_b64 v[44:45], v9 offset:24
	s_wait_dscnt 0x0
	v_pk_mul_f32 v[46:47], v[42:43], v[44:45] op_sel:[1,1] op_sel_hi:[0,1]
	s_delay_alu instid0(VALU_DEP_1) | instskip(SKIP_1) | instid1(VALU_DEP_2)
	v_pk_fma_f32 v[48:49], v[42:43], v[44:45], v[46:47] op_sel_hi:[1,0,1]
	v_pk_fma_f32 v[42:43], v[42:43], v[44:45], v[46:47] neg_lo:[0,0,1] neg_hi:[0,0,1]
	v_mov_b32_e32 v43, v49
	scratch_store_b64 off, v[42:43], off offset:24
.LBB82_27:
	s_wait_xcnt 0x0
	s_or_b32 exec_lo, exec_lo, s0
	s_wait_storecnt 0x0
	s_barrier_signal -1
	s_barrier_wait -1
	scratch_load_b64 v[42:43], off, off offset:32
	s_mov_b32 s0, exec_lo
	s_wait_loadcnt 0x0
	ds_store_b64 v1, v[42:43]
	s_wait_dscnt 0x0
	s_barrier_signal -1
	s_barrier_wait -1
	v_cmpx_gt_u32_e32 4, v0
	s_cbranch_execz .LBB82_31
; %bb.28:
	v_dual_mov_b32 v42, 0 :: v_dual_add_nc_u32 v9, -1, v0
	v_add_nc_u32_e32 v11, 0xa0, v40
	v_mov_b32_e32 v13, v40
	s_mov_b32 s1, 0
	s_delay_alu instid0(VALU_DEP_3)
	v_mov_b32_e32 v43, v42
.LBB82_29:                              ; =>This Inner Loop Header: Depth=1
	scratch_load_b64 v[44:45], v13, off
	ds_load_b64 v[46:47], v11
	s_wait_xcnt 0x0
	v_dual_add_nc_u32 v11, 8, v11 :: v_dual_add_nc_u32 v13, 8, v13
	s_wait_loadcnt_dscnt 0x0
	v_pk_mul_f32 v[48:49], v[46:47], v[44:45] op_sel:[1,1] op_sel_hi:[0,1]
	s_delay_alu instid0(VALU_DEP_1) | instskip(SKIP_2) | instid1(VALU_DEP_3)
	v_pk_fma_f32 v[50:51], v[46:47], v[44:45], v[48:49] op_sel_hi:[1,0,1]
	v_add_nc_u32_e32 v9, 1, v9
	v_pk_fma_f32 v[44:45], v[46:47], v[44:45], v[48:49] neg_lo:[0,0,1] neg_hi:[0,0,1]
	v_mov_b32_e32 v45, v51
	s_delay_alu instid0(VALU_DEP_3) | instskip(NEXT) | instid1(VALU_DEP_2)
	v_cmp_lt_u32_e32 vcc_lo, 2, v9
	v_pk_add_f32 v[42:43], v[42:43], v[44:45]
	s_or_b32 s1, vcc_lo, s1
	s_delay_alu instid0(SALU_CYCLE_1)
	s_and_not1_b32 exec_lo, exec_lo, s1
	s_cbranch_execnz .LBB82_29
; %bb.30:
	s_or_b32 exec_lo, exec_lo, s1
	v_mov_b32_e32 v9, 0
	ds_load_b64 v[44:45], v9 offset:32
	s_wait_dscnt 0x0
	v_pk_mul_f32 v[46:47], v[42:43], v[44:45] op_sel:[1,1] op_sel_hi:[0,1]
	s_delay_alu instid0(VALU_DEP_1) | instskip(SKIP_1) | instid1(VALU_DEP_2)
	v_pk_fma_f32 v[48:49], v[42:43], v[44:45], v[46:47] op_sel_hi:[1,0,1]
	v_pk_fma_f32 v[42:43], v[42:43], v[44:45], v[46:47] neg_lo:[0,0,1] neg_hi:[0,0,1]
	v_mov_b32_e32 v43, v49
	scratch_store_b64 off, v[42:43], off offset:32
.LBB82_31:
	s_wait_xcnt 0x0
	s_or_b32 exec_lo, exec_lo, s0
	s_wait_storecnt 0x0
	s_barrier_signal -1
	s_barrier_wait -1
	scratch_load_b64 v[42:43], off, off offset:40
	;; [unrolled: 52-line block ×15, first 2 shown]
	s_mov_b32 s0, exec_lo
	s_wait_loadcnt 0x0
	ds_store_b64 v1, v[42:43]
	s_wait_dscnt 0x0
	s_barrier_signal -1
	s_barrier_wait -1
	v_cmpx_ne_u32_e32 18, v0
	s_cbranch_execz .LBB82_87
; %bb.84:
	v_dual_mov_b32 v42, 0 :: v_dual_mov_b32 v9, v40
	s_mov_b32 s1, 0
	s_delay_alu instid0(VALU_DEP_1)
	v_mov_b32_e32 v43, v42
.LBB82_85:                              ; =>This Inner Loop Header: Depth=1
	scratch_load_b64 v[40:41], v9, off
	ds_load_b64 v[44:45], v1
	v_add_nc_u32_e32 v1, 8, v1
	s_wait_xcnt 0x0
	v_add_nc_u32_e32 v9, 8, v9
	s_wait_loadcnt_dscnt 0x0
	v_pk_mul_f32 v[46:47], v[44:45], v[40:41] op_sel:[1,1] op_sel_hi:[0,1]
	s_delay_alu instid0(VALU_DEP_1) | instskip(SKIP_2) | instid1(VALU_DEP_3)
	v_pk_fma_f32 v[48:49], v[44:45], v[40:41], v[46:47] op_sel_hi:[1,0,1]
	v_add_nc_u32_e32 v7, 1, v7
	v_pk_fma_f32 v[40:41], v[44:45], v[40:41], v[46:47] neg_lo:[0,0,1] neg_hi:[0,0,1]
	v_mov_b32_e32 v41, v49
	s_delay_alu instid0(VALU_DEP_3) | instskip(NEXT) | instid1(VALU_DEP_2)
	v_cmp_lt_u32_e32 vcc_lo, 16, v7
	v_pk_add_f32 v[42:43], v[42:43], v[40:41]
	s_or_b32 s1, vcc_lo, s1
	s_delay_alu instid0(SALU_CYCLE_1)
	s_and_not1_b32 exec_lo, exec_lo, s1
	s_cbranch_execnz .LBB82_85
; %bb.86:
	s_or_b32 exec_lo, exec_lo, s1
	v_mov_b32_e32 v1, 0
	ds_load_b64 v[40:41], v1 offset:144
	s_wait_dscnt 0x0
	v_pk_mul_f32 v[44:45], v[42:43], v[40:41] op_sel:[1,1] op_sel_hi:[0,1]
	s_delay_alu instid0(VALU_DEP_1) | instskip(SKIP_1) | instid1(VALU_DEP_2)
	v_pk_fma_f32 v[46:47], v[42:43], v[40:41], v[44:45] op_sel_hi:[1,0,1]
	v_pk_fma_f32 v[40:41], v[42:43], v[40:41], v[44:45] neg_lo:[0,0,1] neg_hi:[0,0,1]
	v_mov_b32_e32 v41, v47
	scratch_store_b64 off, v[40:41], off offset:144
.LBB82_87:
	s_wait_xcnt 0x0
	s_or_b32 exec_lo, exec_lo, s0
	s_mov_b32 s1, -1
	s_wait_storecnt 0x0
	s_barrier_signal -1
	s_barrier_wait -1
.LBB82_88:
	s_and_b32 vcc_lo, exec_lo, s1
	s_cbranch_vccz .LBB82_90
; %bb.89:
	v_mov_b32_e32 v1, 0
	s_lshl_b64 s[0:1], s[10:11], 2
	s_delay_alu instid0(SALU_CYCLE_1)
	s_add_nc_u64 s[0:1], s[6:7], s[0:1]
	global_load_b32 v1, v1, s[0:1]
	s_wait_loadcnt 0x0
	v_cmp_ne_u32_e32 vcc_lo, 0, v1
	s_cbranch_vccz .LBB82_91
.LBB82_90:
	s_sendmsg sendmsg(MSG_DEALLOC_VGPRS)
	s_endpgm
.LBB82_91:
	s_wait_xcnt 0x0
	v_lshl_add_u32 v1, v0, 3, 0xa0
	s_mov_b32 s0, exec_lo
	v_cmpx_eq_u32_e32 18, v0
	s_cbranch_execz .LBB82_93
; %bb.92:
	scratch_load_b64 v[40:41], off, off offset:136
	v_mov_b64_e32 v[42:43], 0
	scratch_store_b64 off, v[42:43], off offset:136
	s_wait_loadcnt 0x0
	ds_store_b64 v1, v[40:41]
.LBB82_93:
	s_wait_xcnt 0x0
	s_or_b32 exec_lo, exec_lo, s0
	s_wait_storecnt_dscnt 0x0
	s_barrier_signal -1
	s_barrier_wait -1
	s_clause 0x1
	scratch_load_b64 v[40:41], off, off offset:144
	scratch_load_b64 v[42:43], off, off offset:136
	v_mov_b32_e32 v7, 0
	s_mov_b32 s0, exec_lo
	ds_load_b64 v[44:45], v7 offset:304
	s_wait_loadcnt_dscnt 0x100
	v_pk_mul_f32 v[46:47], v[44:45], v[40:41] op_sel:[1,1] op_sel_hi:[0,1]
	s_delay_alu instid0(VALU_DEP_1) | instskip(SKIP_1) | instid1(VALU_DEP_2)
	v_pk_fma_f32 v[48:49], v[44:45], v[40:41], v[46:47] op_sel_hi:[1,0,1]
	v_pk_fma_f32 v[40:41], v[44:45], v[40:41], v[46:47] neg_lo:[0,0,1] neg_hi:[0,0,1]
	v_mov_b32_e32 v41, v49
	s_delay_alu instid0(VALU_DEP_1) | instskip(SKIP_1) | instid1(VALU_DEP_1)
	v_pk_add_f32 v[40:41], v[40:41], 0 op_sel_hi:[1,0]
	s_wait_loadcnt 0x0
	v_pk_add_f32 v[40:41], v[42:43], v[40:41] neg_lo:[0,1] neg_hi:[0,1]
	scratch_store_b64 off, v[40:41], off offset:136
	s_wait_xcnt 0x0
	v_cmpx_lt_u32_e32 16, v0
	s_cbranch_execz .LBB82_95
; %bb.94:
	scratch_load_b64 v[40:41], off, off offset:128
	v_mov_b64_e32 v[42:43], 0
	scratch_store_b64 off, v[42:43], off offset:128
	s_wait_loadcnt 0x0
	ds_store_b64 v1, v[40:41]
.LBB82_95:
	s_wait_xcnt 0x0
	s_or_b32 exec_lo, exec_lo, s0
	s_wait_storecnt_dscnt 0x0
	s_barrier_signal -1
	s_barrier_wait -1
	s_clause 0x1
	scratch_load_b128 v[40:43], off, off offset:136
	scratch_load_b64 v[48:49], off, off offset:128
	ds_load_2addr_b64 v[44:47], v7 offset0:37 offset1:38
	s_mov_b32 s0, exec_lo
	s_wait_dscnt 0x0
	v_dual_mov_b32 v50, v47 :: v_dual_mov_b32 v51, v46
	s_wait_loadcnt 0x1
	v_pk_mul_f32 v[52:53], v[44:45], v[40:41] op_sel:[1,1] op_sel_hi:[0,1]
	s_delay_alu instid0(VALU_DEP_1) | instskip(SKIP_2) | instid1(VALU_DEP_3)
	v_pk_fma_f32 v[56:57], v[44:45], v[40:41], v[52:53] op_sel_hi:[1,0,1]
	v_mov_b32_e32 v54, v43
	v_pk_fma_f32 v[40:41], v[44:45], v[40:41], v[52:53] neg_lo:[0,0,1] neg_hi:[0,0,1]
	v_mov_b32_e32 v41, v57
	s_delay_alu instid0(VALU_DEP_3) | instskip(NEXT) | instid1(VALU_DEP_2)
	v_pk_mul_f32 v[50:51], v[50:51], v[54:55] op_sel_hi:[1,0]
	v_pk_add_f32 v[40:41], v[40:41], 0 op_sel_hi:[1,0]
	s_delay_alu instid0(VALU_DEP_2) | instskip(SKIP_1) | instid1(VALU_DEP_2)
	v_pk_fma_f32 v[44:45], v[46:47], v[42:43], v[50:51] op_sel_hi:[1,0,1]
	v_pk_fma_f32 v[42:43], v[46:47], v[42:43], v[50:51] neg_lo:[0,0,1] neg_hi:[0,0,1]
	v_mov_b32_e32 v43, v45
	s_delay_alu instid0(VALU_DEP_1) | instskip(SKIP_1) | instid1(VALU_DEP_1)
	v_pk_add_f32 v[40:41], v[40:41], v[42:43]
	s_wait_loadcnt 0x0
	v_pk_add_f32 v[40:41], v[48:49], v[40:41] neg_lo:[0,1] neg_hi:[0,1]
	scratch_store_b64 off, v[40:41], off offset:128
	s_wait_xcnt 0x0
	v_cmpx_lt_u32_e32 15, v0
	s_cbranch_execz .LBB82_97
; %bb.96:
	scratch_load_b64 v[40:41], off, off offset:120
	v_mov_b64_e32 v[42:43], 0
	scratch_store_b64 off, v[42:43], off offset:120
	s_wait_loadcnt 0x0
	ds_store_b64 v1, v[40:41]
.LBB82_97:
	s_wait_xcnt 0x0
	s_or_b32 exec_lo, exec_lo, s0
	s_wait_storecnt_dscnt 0x0
	s_barrier_signal -1
	s_barrier_wait -1
	s_clause 0x2
	scratch_load_b128 v[40:43], off, off offset:128
	scratch_load_b64 v[48:49], off, off offset:144
	scratch_load_b64 v[50:51], off, off offset:120
	v_mov_b32_e32 v7, 0
	ds_load_b128 v[44:47], v7 offset:288
	ds_load_b64 v[52:53], v7 offset:304
	s_mov_b32 s0, exec_lo
	s_wait_dscnt 0x1
	v_dual_mov_b32 v54, v47 :: v_dual_mov_b32 v55, v46
	s_wait_loadcnt 0x2
	v_mov_b32_e32 v58, v43
	v_pk_mul_f32 v[56:57], v[44:45], v[40:41] op_sel:[1,1] op_sel_hi:[0,1]
	s_delay_alu instid0(VALU_DEP_2) | instskip(NEXT) | instid1(VALU_DEP_2)
	v_pk_mul_f32 v[54:55], v[54:55], v[58:59] op_sel_hi:[1,0]
	v_pk_fma_f32 v[60:61], v[44:45], v[40:41], v[56:57] op_sel_hi:[1,0,1]
	v_pk_fma_f32 v[40:41], v[44:45], v[40:41], v[56:57] neg_lo:[0,0,1] neg_hi:[0,0,1]
	s_wait_loadcnt_dscnt 0x100
	v_pk_mul_f32 v[56:57], v[52:53], v[48:49] op_sel:[1,1] op_sel_hi:[0,1]
	v_pk_fma_f32 v[44:45], v[46:47], v[42:43], v[54:55] op_sel_hi:[1,0,1]
	v_mov_b32_e32 v41, v61
	v_pk_fma_f32 v[42:43], v[46:47], v[42:43], v[54:55] neg_lo:[0,0,1] neg_hi:[0,0,1]
	s_delay_alu instid0(VALU_DEP_4) | instskip(NEXT) | instid1(VALU_DEP_4)
	v_pk_fma_f32 v[46:47], v[52:53], v[48:49], v[56:57] neg_lo:[0,0,1] neg_hi:[0,0,1]
	v_mov_b32_e32 v43, v45
	s_delay_alu instid0(VALU_DEP_4) | instskip(SKIP_1) | instid1(VALU_DEP_2)
	v_pk_add_f32 v[40:41], v[40:41], 0 op_sel_hi:[1,0]
	v_pk_fma_f32 v[44:45], v[52:53], v[48:49], v[56:57] op_sel_hi:[1,0,1]
	v_pk_add_f32 v[40:41], v[40:41], v[42:43]
	s_delay_alu instid0(VALU_DEP_2) | instskip(NEXT) | instid1(VALU_DEP_1)
	v_mov_b32_e32 v47, v45
	v_pk_add_f32 v[40:41], v[40:41], v[46:47]
	s_wait_loadcnt 0x0
	s_delay_alu instid0(VALU_DEP_1)
	v_pk_add_f32 v[40:41], v[50:51], v[40:41] neg_lo:[0,1] neg_hi:[0,1]
	scratch_store_b64 off, v[40:41], off offset:120
	s_wait_xcnt 0x0
	v_cmpx_lt_u32_e32 14, v0
	s_cbranch_execz .LBB82_99
; %bb.98:
	scratch_load_b64 v[40:41], off, off offset:112
	v_mov_b64_e32 v[42:43], 0
	scratch_store_b64 off, v[42:43], off offset:112
	s_wait_loadcnt 0x0
	ds_store_b64 v1, v[40:41]
.LBB82_99:
	s_wait_xcnt 0x0
	s_or_b32 exec_lo, exec_lo, s0
	s_wait_storecnt_dscnt 0x0
	s_barrier_signal -1
	s_barrier_wait -1
	s_clause 0x2
	scratch_load_b128 v[40:43], off, off offset:120
	scratch_load_b128 v[44:47], off, off offset:136
	scratch_load_b64 v[56:57], off, off offset:112
	ds_load_2addr_b64 v[48:51], v7 offset0:35 offset1:36
	ds_load_2addr_b64 v[52:55], v7 offset0:37 offset1:38
	s_mov_b32 s0, exec_lo
	s_wait_dscnt 0x1
	v_dual_mov_b32 v58, v51 :: v_dual_mov_b32 v59, v50
	s_wait_loadcnt_dscnt 0x200
	v_dual_mov_b32 v64, v55 :: v_dual_mov_b32 v62, v43
	v_pk_mul_f32 v[60:61], v[48:49], v[40:41] op_sel:[1,1] op_sel_hi:[0,1]
	s_delay_alu instid0(VALU_DEP_2) | instskip(NEXT) | instid1(VALU_DEP_2)
	v_pk_mul_f32 v[58:59], v[58:59], v[62:63] op_sel_hi:[1,0]
	v_pk_fma_f32 v[66:67], v[48:49], v[40:41], v[60:61] op_sel_hi:[1,0,1]
	v_pk_fma_f32 v[40:41], v[48:49], v[40:41], v[60:61] neg_lo:[0,0,1] neg_hi:[0,0,1]
	v_mov_b32_e32 v65, v54
	s_wait_loadcnt 0x1
	v_pk_mul_f32 v[62:63], v[52:53], v[44:45] op_sel:[1,1] op_sel_hi:[0,1]
	v_pk_fma_f32 v[48:49], v[50:51], v[42:43], v[58:59] op_sel_hi:[1,0,1]
	v_dual_mov_b32 v41, v67 :: v_dual_mov_b32 v48, v47
	v_pk_fma_f32 v[42:43], v[50:51], v[42:43], v[58:59] neg_lo:[0,0,1] neg_hi:[0,0,1]
	s_delay_alu instid0(VALU_DEP_4) | instskip(NEXT) | instid1(VALU_DEP_4)
	v_pk_fma_f32 v[60:61], v[52:53], v[44:45], v[62:63] op_sel_hi:[1,0,1]
	v_mov_b32_e32 v43, v49
	s_delay_alu instid0(VALU_DEP_4) | instskip(SKIP_2) | instid1(VALU_DEP_3)
	v_pk_add_f32 v[40:41], v[40:41], 0 op_sel_hi:[1,0]
	v_pk_mul_f32 v[48:49], v[64:65], v[48:49] op_sel_hi:[1,0]
	v_pk_fma_f32 v[44:45], v[52:53], v[44:45], v[62:63] neg_lo:[0,0,1] neg_hi:[0,0,1]
	v_pk_add_f32 v[40:41], v[40:41], v[42:43]
	s_delay_alu instid0(VALU_DEP_3) | instskip(SKIP_2) | instid1(VALU_DEP_3)
	v_pk_fma_f32 v[42:43], v[54:55], v[46:47], v[48:49] op_sel_hi:[1,0,1]
	v_mov_b32_e32 v45, v61
	v_pk_fma_f32 v[46:47], v[54:55], v[46:47], v[48:49] neg_lo:[0,0,1] neg_hi:[0,0,1]
	v_mov_b32_e32 v47, v43
	s_delay_alu instid0(VALU_DEP_3) | instskip(NEXT) | instid1(VALU_DEP_1)
	v_pk_add_f32 v[40:41], v[40:41], v[44:45]
	v_pk_add_f32 v[40:41], v[40:41], v[46:47]
	s_wait_loadcnt 0x0
	s_delay_alu instid0(VALU_DEP_1)
	v_pk_add_f32 v[40:41], v[56:57], v[40:41] neg_lo:[0,1] neg_hi:[0,1]
	scratch_store_b64 off, v[40:41], off offset:112
	s_wait_xcnt 0x0
	v_cmpx_lt_u32_e32 13, v0
	s_cbranch_execz .LBB82_101
; %bb.100:
	scratch_load_b64 v[40:41], off, off offset:104
	v_mov_b64_e32 v[42:43], 0
	scratch_store_b64 off, v[42:43], off offset:104
	s_wait_loadcnt 0x0
	ds_store_b64 v1, v[40:41]
.LBB82_101:
	s_wait_xcnt 0x0
	s_or_b32 exec_lo, exec_lo, s0
	s_wait_storecnt_dscnt 0x0
	s_barrier_signal -1
	s_barrier_wait -1
	s_clause 0x3
	scratch_load_b128 v[40:43], off, off offset:112
	scratch_load_b128 v[44:47], off, off offset:128
	scratch_load_b64 v[56:57], off, off offset:144
	scratch_load_b64 v[58:59], off, off offset:104
	v_mov_b32_e32 v7, 0
	ds_load_b128 v[48:51], v7 offset:272
	ds_load_b128 v[52:55], v7 offset:288
	s_mov_b32 s0, exec_lo
	s_wait_dscnt 0x1
	v_dual_mov_b32 v60, v51 :: v_dual_mov_b32 v61, v50
	ds_load_b64 v[66:67], v7 offset:304
	s_wait_dscnt 0x1
	v_dual_mov_b32 v68, v55 :: v_dual_mov_b32 v69, v54
	s_wait_loadcnt 0x3
	v_pk_mul_f32 v[62:63], v[48:49], v[40:41] op_sel:[1,1] op_sel_hi:[0,1]
	v_mov_b32_e32 v64, v43
	s_delay_alu instid0(VALU_DEP_2) | instskip(NEXT) | instid1(VALU_DEP_2)
	v_pk_fma_f32 v[70:71], v[48:49], v[40:41], v[62:63] op_sel_hi:[1,0,1]
	v_pk_mul_f32 v[60:61], v[60:61], v[64:65] op_sel_hi:[1,0]
	v_pk_fma_f32 v[40:41], v[48:49], v[40:41], v[62:63] neg_lo:[0,0,1] neg_hi:[0,0,1]
	s_wait_loadcnt 0x2
	v_pk_mul_f32 v[64:65], v[52:53], v[44:45] op_sel:[1,1] op_sel_hi:[0,1]
	v_dual_mov_b32 v70, v47 :: v_dual_mov_b32 v41, v71
	v_pk_fma_f32 v[48:49], v[50:51], v[42:43], v[60:61] op_sel_hi:[1,0,1]
	v_pk_fma_f32 v[42:43], v[50:51], v[42:43], v[60:61] neg_lo:[0,0,1] neg_hi:[0,0,1]
	s_delay_alu instid0(VALU_DEP_4) | instskip(NEXT) | instid1(VALU_DEP_4)
	v_pk_fma_f32 v[62:63], v[52:53], v[44:45], v[64:65] op_sel_hi:[1,0,1]
	v_pk_mul_f32 v[68:69], v[68:69], v[70:71] op_sel_hi:[1,0]
	v_pk_add_f32 v[40:41], v[40:41], 0 op_sel_hi:[1,0]
	v_mov_b32_e32 v43, v49
	v_pk_fma_f32 v[44:45], v[52:53], v[44:45], v[64:65] neg_lo:[0,0,1] neg_hi:[0,0,1]
	v_mov_b32_e32 v45, v63
	v_pk_fma_f32 v[48:49], v[54:55], v[46:47], v[68:69] op_sel_hi:[1,0,1]
	v_pk_fma_f32 v[46:47], v[54:55], v[46:47], v[68:69] neg_lo:[0,0,1] neg_hi:[0,0,1]
	v_pk_add_f32 v[40:41], v[40:41], v[42:43]
	s_wait_loadcnt_dscnt 0x100
	v_pk_mul_f32 v[42:43], v[66:67], v[56:57] op_sel:[1,1] op_sel_hi:[0,1]
	s_delay_alu instid0(VALU_DEP_2) | instskip(NEXT) | instid1(VALU_DEP_2)
	v_pk_add_f32 v[40:41], v[40:41], v[44:45]
	v_pk_fma_f32 v[44:45], v[66:67], v[56:57], v[42:43] op_sel_hi:[1,0,1]
	v_mov_b32_e32 v47, v49
	v_pk_fma_f32 v[42:43], v[66:67], v[56:57], v[42:43] neg_lo:[0,0,1] neg_hi:[0,0,1]
	s_delay_alu instid0(VALU_DEP_3) | instskip(NEXT) | instid1(VALU_DEP_3)
	v_mov_b32_e32 v43, v45
	v_pk_add_f32 v[40:41], v[40:41], v[46:47]
	s_delay_alu instid0(VALU_DEP_1) | instskip(SKIP_1) | instid1(VALU_DEP_1)
	v_pk_add_f32 v[40:41], v[40:41], v[42:43]
	s_wait_loadcnt 0x0
	v_pk_add_f32 v[40:41], v[58:59], v[40:41] neg_lo:[0,1] neg_hi:[0,1]
	scratch_store_b64 off, v[40:41], off offset:104
	s_wait_xcnt 0x0
	v_cmpx_lt_u32_e32 12, v0
	s_cbranch_execz .LBB82_103
; %bb.102:
	scratch_load_b64 v[40:41], off, off offset:96
	v_mov_b64_e32 v[42:43], 0
	scratch_store_b64 off, v[42:43], off offset:96
	s_wait_loadcnt 0x0
	ds_store_b64 v1, v[40:41]
.LBB82_103:
	s_wait_xcnt 0x0
	s_or_b32 exec_lo, exec_lo, s0
	s_wait_storecnt_dscnt 0x0
	s_barrier_signal -1
	s_barrier_wait -1
	s_clause 0x3
	scratch_load_b128 v[40:43], off, off offset:104
	scratch_load_b128 v[44:47], off, off offset:120
	scratch_load_b128 v[48:51], off, off offset:136
	scratch_load_b64 v[64:65], off, off offset:96
	ds_load_2addr_b64 v[52:55], v7 offset0:33 offset1:34
	ds_load_2addr_b64 v[56:59], v7 offset0:35 offset1:36
	;; [unrolled: 1-line block ×3, first 2 shown]
	s_mov_b32 s0, exec_lo
	s_wait_dscnt 0x2
	v_dual_mov_b32 v66, v55 :: v_dual_mov_b32 v67, v54
	s_wait_dscnt 0x1
	v_dual_mov_b32 v68, v59 :: v_dual_mov_b32 v69, v58
	;; [unrolled: 2-line block ×3, first 2 shown]
	s_wait_loadcnt 0x3
	v_pk_mul_f32 v[70:71], v[52:53], v[40:41] op_sel:[1,1] op_sel_hi:[0,1]
	v_mov_b32_e32 v72, v43
	s_delay_alu instid0(VALU_DEP_2) | instskip(NEXT) | instid1(VALU_DEP_2)
	v_pk_fma_f32 v[76:77], v[52:53], v[40:41], v[70:71] op_sel_hi:[1,0,1]
	v_pk_mul_f32 v[66:67], v[66:67], v[72:73] op_sel_hi:[1,0]
	v_pk_fma_f32 v[40:41], v[52:53], v[40:41], v[70:71] neg_lo:[0,0,1] neg_hi:[0,0,1]
	s_wait_loadcnt 0x2
	v_pk_mul_f32 v[72:73], v[56:57], v[44:45] op_sel:[1,1] op_sel_hi:[0,1]
	v_mov_b32_e32 v76, v47
	v_pk_fma_f32 v[52:53], v[54:55], v[42:43], v[66:67] op_sel_hi:[1,0,1]
	v_mov_b32_e32 v41, v77
	v_pk_fma_f32 v[42:43], v[54:55], v[42:43], v[66:67] neg_lo:[0,0,1] neg_hi:[0,0,1]
	v_pk_fma_f32 v[70:71], v[56:57], v[44:45], v[72:73] op_sel_hi:[1,0,1]
	v_pk_mul_f32 v[68:69], v[68:69], v[76:77] op_sel_hi:[1,0]
	v_mov_b32_e32 v43, v53
	v_pk_add_f32 v[40:41], v[40:41], 0 op_sel_hi:[1,0]
	v_pk_fma_f32 v[44:45], v[56:57], v[44:45], v[72:73] neg_lo:[0,0,1] neg_hi:[0,0,1]
	s_wait_loadcnt 0x1
	v_pk_mul_f32 v[52:53], v[60:61], v[48:49] op_sel:[1,1] op_sel_hi:[0,1]
	v_mov_b32_e32 v45, v71
	v_pk_fma_f32 v[54:55], v[58:59], v[46:47], v[68:69] op_sel_hi:[1,0,1]
	v_pk_add_f32 v[40:41], v[40:41], v[42:43]
	v_mov_b32_e32 v42, v51
	v_pk_fma_f32 v[46:47], v[58:59], v[46:47], v[68:69] neg_lo:[0,0,1] neg_hi:[0,0,1]
	v_pk_fma_f32 v[56:57], v[60:61], v[48:49], v[52:53] op_sel_hi:[1,0,1]
	v_mov_b32_e32 v47, v55
	v_pk_add_f32 v[40:41], v[40:41], v[44:45]
	v_pk_mul_f32 v[42:43], v[74:75], v[42:43] op_sel_hi:[1,0]
	v_pk_fma_f32 v[44:45], v[60:61], v[48:49], v[52:53] neg_lo:[0,0,1] neg_hi:[0,0,1]
	v_mov_b32_e32 v45, v57
	s_delay_alu instid0(VALU_DEP_4) | instskip(NEXT) | instid1(VALU_DEP_4)
	v_pk_add_f32 v[40:41], v[40:41], v[46:47]
	v_pk_fma_f32 v[46:47], v[62:63], v[50:51], v[42:43] op_sel_hi:[1,0,1]
	v_pk_fma_f32 v[42:43], v[62:63], v[50:51], v[42:43] neg_lo:[0,0,1] neg_hi:[0,0,1]
	s_delay_alu instid0(VALU_DEP_3) | instskip(NEXT) | instid1(VALU_DEP_3)
	v_pk_add_f32 v[40:41], v[40:41], v[44:45]
	v_mov_b32_e32 v43, v47
	s_delay_alu instid0(VALU_DEP_1) | instskip(SKIP_1) | instid1(VALU_DEP_1)
	v_pk_add_f32 v[40:41], v[40:41], v[42:43]
	s_wait_loadcnt 0x0
	v_pk_add_f32 v[40:41], v[64:65], v[40:41] neg_lo:[0,1] neg_hi:[0,1]
	scratch_store_b64 off, v[40:41], off offset:96
	s_wait_xcnt 0x0
	v_cmpx_lt_u32_e32 11, v0
	s_cbranch_execz .LBB82_105
; %bb.104:
	scratch_load_b64 v[40:41], off, off offset:88
	v_mov_b64_e32 v[42:43], 0
	scratch_store_b64 off, v[42:43], off offset:88
	s_wait_loadcnt 0x0
	ds_store_b64 v1, v[40:41]
.LBB82_105:
	s_wait_xcnt 0x0
	s_or_b32 exec_lo, exec_lo, s0
	s_wait_storecnt_dscnt 0x0
	s_barrier_signal -1
	s_barrier_wait -1
	s_clause 0x4
	scratch_load_b128 v[40:43], off, off offset:96
	scratch_load_b128 v[44:47], off, off offset:112
	;; [unrolled: 1-line block ×3, first 2 shown]
	scratch_load_b64 v[64:65], off, off offset:144
	scratch_load_b64 v[66:67], off, off offset:88
	v_mov_b32_e32 v7, 0
	ds_load_b128 v[52:55], v7 offset:256
	ds_load_b128 v[56:59], v7 offset:272
	;; [unrolled: 1-line block ×3, first 2 shown]
	ds_load_b64 v[68:69], v7 offset:304
	s_mov_b32 s0, exec_lo
	s_wait_dscnt 0x3
	v_dual_mov_b32 v70, v55 :: v_dual_mov_b32 v71, v54
	s_wait_dscnt 0x2
	v_dual_mov_b32 v72, v59 :: v_dual_mov_b32 v73, v58
	;; [unrolled: 2-line block ×3, first 2 shown]
	s_wait_loadcnt 0x4
	v_pk_mul_f32 v[74:75], v[52:53], v[40:41] op_sel:[1,1] op_sel_hi:[0,1]
	v_mov_b32_e32 v76, v43
	s_wait_loadcnt 0x3
	v_pk_mul_f32 v[80:81], v[56:57], v[44:45] op_sel:[1,1] op_sel_hi:[0,1]
	s_wait_loadcnt 0x2
	v_pk_mul_f32 v[84:85], v[60:61], v[48:49] op_sel:[1,1] op_sel_hi:[0,1]
	v_pk_fma_f32 v[82:83], v[52:53], v[40:41], v[74:75] op_sel_hi:[1,0,1]
	v_pk_mul_f32 v[70:71], v[70:71], v[76:77] op_sel_hi:[1,0]
	v_pk_fma_f32 v[40:41], v[52:53], v[40:41], v[74:75] neg_lo:[0,0,1] neg_hi:[0,0,1]
	v_mov_b32_e32 v76, v47
	v_pk_fma_f32 v[74:75], v[56:57], v[44:45], v[80:81] op_sel_hi:[1,0,1]
	v_mov_b32_e32 v41, v83
	v_pk_fma_f32 v[52:53], v[54:55], v[42:43], v[70:71] op_sel_hi:[1,0,1]
	v_pk_fma_f32 v[42:43], v[54:55], v[42:43], v[70:71] neg_lo:[0,0,1] neg_hi:[0,0,1]
	v_pk_mul_f32 v[72:73], v[72:73], v[76:77] op_sel_hi:[1,0]
	v_pk_fma_f32 v[44:45], v[56:57], v[44:45], v[80:81] neg_lo:[0,0,1] neg_hi:[0,0,1]
	v_pk_add_f32 v[40:41], v[40:41], 0 op_sel_hi:[1,0]
	v_dual_mov_b32 v43, v53 :: v_dual_mov_b32 v52, v51
	s_delay_alu instid0(VALU_DEP_4) | instskip(SKIP_2) | instid1(VALU_DEP_4)
	v_pk_fma_f32 v[54:55], v[58:59], v[46:47], v[72:73] op_sel_hi:[1,0,1]
	v_mov_b32_e32 v45, v75
	v_pk_fma_f32 v[46:47], v[58:59], v[46:47], v[72:73] neg_lo:[0,0,1] neg_hi:[0,0,1]
	v_pk_add_f32 v[40:41], v[40:41], v[42:43]
	v_pk_fma_f32 v[42:43], v[60:61], v[48:49], v[84:85] op_sel_hi:[1,0,1]
	v_pk_mul_f32 v[52:53], v[78:79], v[52:53] op_sel_hi:[1,0]
	v_mov_b32_e32 v47, v55
	s_delay_alu instid0(VALU_DEP_4)
	v_pk_add_f32 v[40:41], v[40:41], v[44:45]
	v_pk_fma_f32 v[44:45], v[60:61], v[48:49], v[84:85] neg_lo:[0,0,1] neg_hi:[0,0,1]
	v_mov_b32_e32 v45, v43
	v_pk_fma_f32 v[42:43], v[62:63], v[50:51], v[52:53] op_sel_hi:[1,0,1]
	v_pk_fma_f32 v[48:49], v[62:63], v[50:51], v[52:53] neg_lo:[0,0,1] neg_hi:[0,0,1]
	v_pk_add_f32 v[40:41], v[40:41], v[46:47]
	s_wait_loadcnt_dscnt 0x100
	v_pk_mul_f32 v[46:47], v[68:69], v[64:65] op_sel:[1,1] op_sel_hi:[0,1]
	v_mov_b32_e32 v49, v43
	s_delay_alu instid0(VALU_DEP_3) | instskip(NEXT) | instid1(VALU_DEP_3)
	v_pk_add_f32 v[40:41], v[40:41], v[44:45]
	v_pk_fma_f32 v[42:43], v[68:69], v[64:65], v[46:47] op_sel_hi:[1,0,1]
	v_pk_fma_f32 v[44:45], v[68:69], v[64:65], v[46:47] neg_lo:[0,0,1] neg_hi:[0,0,1]
	s_delay_alu instid0(VALU_DEP_3) | instskip(NEXT) | instid1(VALU_DEP_3)
	v_pk_add_f32 v[40:41], v[40:41], v[48:49]
	v_mov_b32_e32 v45, v43
	s_delay_alu instid0(VALU_DEP_1) | instskip(SKIP_1) | instid1(VALU_DEP_1)
	v_pk_add_f32 v[40:41], v[40:41], v[44:45]
	s_wait_loadcnt 0x0
	v_pk_add_f32 v[40:41], v[66:67], v[40:41] neg_lo:[0,1] neg_hi:[0,1]
	scratch_store_b64 off, v[40:41], off offset:88
	s_wait_xcnt 0x0
	v_cmpx_lt_u32_e32 10, v0
	s_cbranch_execz .LBB82_107
; %bb.106:
	scratch_load_b64 v[40:41], off, off offset:80
	v_mov_b64_e32 v[42:43], 0
	scratch_store_b64 off, v[42:43], off offset:80
	s_wait_loadcnt 0x0
	ds_store_b64 v1, v[40:41]
.LBB82_107:
	s_wait_xcnt 0x0
	s_or_b32 exec_lo, exec_lo, s0
	s_wait_storecnt_dscnt 0x0
	s_barrier_signal -1
	s_barrier_wait -1
	s_clause 0x4
	scratch_load_b128 v[40:43], off, off offset:88
	scratch_load_b128 v[44:47], off, off offset:104
	;; [unrolled: 1-line block ×4, first 2 shown]
	scratch_load_b64 v[72:73], off, off offset:80
	ds_load_2addr_b64 v[56:59], v7 offset0:31 offset1:32
	ds_load_2addr_b64 v[60:63], v7 offset0:33 offset1:34
	;; [unrolled: 1-line block ×4, first 2 shown]
	s_mov_b32 s0, exec_lo
	s_wait_dscnt 0x3
	v_dual_mov_b32 v74, v59 :: v_dual_mov_b32 v75, v58
	s_wait_dscnt 0x2
	v_dual_mov_b32 v76, v63 :: v_dual_mov_b32 v77, v62
	;; [unrolled: 2-line block ×3, first 2 shown]
	v_dual_mov_b32 v79, v66 :: v_dual_mov_b32 v84, v71
	s_wait_loadcnt 0x4
	v_mov_b32_e32 v82, v43
	v_pk_mul_f32 v[80:81], v[56:57], v[40:41] op_sel:[1,1] op_sel_hi:[0,1]
	s_wait_loadcnt 0x3
	v_pk_mul_f32 v[86:87], v[60:61], v[44:45] op_sel:[1,1] op_sel_hi:[0,1]
	s_wait_loadcnt 0x2
	v_pk_mul_f32 v[90:91], v[64:65], v[48:49] op_sel:[1,1] op_sel_hi:[0,1]
	v_pk_mul_f32 v[74:75], v[74:75], v[82:83] op_sel_hi:[1,0]
	v_pk_fma_f32 v[88:89], v[56:57], v[40:41], v[80:81] op_sel_hi:[1,0,1]
	v_pk_fma_f32 v[40:41], v[56:57], v[40:41], v[80:81] neg_lo:[0,0,1] neg_hi:[0,0,1]
	v_mov_b32_e32 v82, v47
	v_pk_fma_f32 v[80:81], v[60:61], v[44:45], v[86:87] op_sel_hi:[1,0,1]
	v_pk_fma_f32 v[56:57], v[58:59], v[42:43], v[74:75] op_sel_hi:[1,0,1]
	v_mov_b32_e32 v41, v89
	v_pk_fma_f32 v[42:43], v[58:59], v[42:43], v[74:75] neg_lo:[0,0,1] neg_hi:[0,0,1]
	v_pk_mul_f32 v[76:77], v[76:77], v[82:83] op_sel_hi:[1,0]
	s_delay_alu instid0(VALU_DEP_4) | instskip(NEXT) | instid1(VALU_DEP_4)
	v_dual_mov_b32 v56, v51 :: v_dual_mov_b32 v43, v57
	v_pk_add_f32 v[40:41], v[40:41], 0 op_sel_hi:[1,0]
	v_pk_fma_f32 v[44:45], v[60:61], v[44:45], v[86:87] neg_lo:[0,0,1] neg_hi:[0,0,1]
	v_mov_b32_e32 v45, v81
	v_pk_fma_f32 v[58:59], v[62:63], v[46:47], v[76:77] op_sel_hi:[1,0,1]
	v_pk_mul_f32 v[56:57], v[78:79], v[56:57] op_sel_hi:[1,0]
	v_pk_add_f32 v[40:41], v[40:41], v[42:43]
	v_pk_fma_f32 v[42:43], v[64:65], v[48:49], v[90:91] op_sel_hi:[1,0,1]
	v_pk_fma_f32 v[46:47], v[62:63], v[46:47], v[76:77] neg_lo:[0,0,1] neg_hi:[0,0,1]
	v_mov_b32_e32 v47, v59
	v_pk_fma_f32 v[48:49], v[64:65], v[48:49], v[90:91] neg_lo:[0,0,1] neg_hi:[0,0,1]
	v_pk_add_f32 v[40:41], v[40:41], v[44:45]
	v_mov_b32_e32 v49, v43
	v_pk_fma_f32 v[42:43], v[66:67], v[50:51], v[56:57] op_sel_hi:[1,0,1]
	s_wait_loadcnt 0x1
	v_pk_mul_f32 v[44:45], v[68:69], v[52:53] op_sel:[1,1] op_sel_hi:[0,1]
	v_mov_b32_e32 v42, v55
	v_pk_add_f32 v[40:41], v[40:41], v[46:47]
	v_pk_fma_f32 v[50:51], v[66:67], v[50:51], v[56:57] neg_lo:[0,0,1] neg_hi:[0,0,1]
	v_mov_b32_e32 v51, v43
	v_pk_fma_f32 v[46:47], v[68:69], v[52:53], v[44:45] op_sel_hi:[1,0,1]
	v_pk_mul_f32 v[42:43], v[84:85], v[42:43] op_sel_hi:[1,0]
	v_pk_add_f32 v[40:41], v[40:41], v[48:49]
	v_pk_fma_f32 v[44:45], v[68:69], v[52:53], v[44:45] neg_lo:[0,0,1] neg_hi:[0,0,1]
	s_delay_alu instid0(VALU_DEP_4) | instskip(NEXT) | instid1(VALU_DEP_4)
	v_mov_b32_e32 v45, v47
	v_pk_fma_f32 v[46:47], v[70:71], v[54:55], v[42:43] op_sel_hi:[1,0,1]
	s_delay_alu instid0(VALU_DEP_4) | instskip(SKIP_1) | instid1(VALU_DEP_3)
	v_pk_add_f32 v[40:41], v[40:41], v[50:51]
	v_pk_fma_f32 v[42:43], v[70:71], v[54:55], v[42:43] neg_lo:[0,0,1] neg_hi:[0,0,1]
	v_mov_b32_e32 v43, v47
	s_delay_alu instid0(VALU_DEP_3) | instskip(NEXT) | instid1(VALU_DEP_1)
	v_pk_add_f32 v[40:41], v[40:41], v[44:45]
	v_pk_add_f32 v[40:41], v[40:41], v[42:43]
	s_wait_loadcnt 0x0
	s_delay_alu instid0(VALU_DEP_1)
	v_pk_add_f32 v[40:41], v[72:73], v[40:41] neg_lo:[0,1] neg_hi:[0,1]
	scratch_store_b64 off, v[40:41], off offset:80
	s_wait_xcnt 0x0
	v_cmpx_lt_u32_e32 9, v0
	s_cbranch_execz .LBB82_109
; %bb.108:
	scratch_load_b64 v[40:41], off, off offset:72
	v_mov_b64_e32 v[42:43], 0
	scratch_store_b64 off, v[42:43], off offset:72
	s_wait_loadcnt 0x0
	ds_store_b64 v1, v[40:41]
.LBB82_109:
	s_wait_xcnt 0x0
	s_or_b32 exec_lo, exec_lo, s0
	s_wait_storecnt_dscnt 0x0
	s_barrier_signal -1
	s_barrier_wait -1
	s_clause 0x5
	scratch_load_b128 v[40:43], off, off offset:80
	scratch_load_b128 v[44:47], off, off offset:96
	;; [unrolled: 1-line block ×4, first 2 shown]
	scratch_load_b64 v[72:73], off, off offset:144
	scratch_load_b64 v[74:75], off, off offset:72
	v_mov_b32_e32 v7, 0
	ds_load_b128 v[56:59], v7 offset:240
	ds_load_b128 v[60:63], v7 offset:256
	;; [unrolled: 1-line block ×4, first 2 shown]
	ds_load_b64 v[76:77], v7 offset:304
	s_mov_b32 s0, exec_lo
	s_wait_dscnt 0x4
	v_dual_mov_b32 v78, v59 :: v_dual_mov_b32 v79, v58
	s_wait_dscnt 0x1
	v_dual_mov_b32 v80, v63 :: v_dual_mov_b32 v85, v70
	v_dual_mov_b32 v81, v62 :: v_dual_mov_b32 v82, v67
	;; [unrolled: 1-line block ×3, first 2 shown]
	s_wait_loadcnt 0x5
	v_dual_mov_b32 v86, v43 :: v_dual_mul_f32 v87, v56, v41
	v_mul_f32_e32 v9, v57, v41
	s_wait_loadcnt 0x4
	v_pk_mul_f32 v[88:89], v[60:61], v[44:45] op_sel:[1,1] op_sel_hi:[0,1]
	v_mov_b32_e32 v90, v47
	s_wait_loadcnt 0x3
	v_pk_mul_f32 v[92:93], v[64:65], v[48:49] op_sel:[1,1] op_sel_hi:[0,1]
	v_pk_mul_f32 v[78:79], v[78:79], v[86:87] op_sel_hi:[1,0]
	v_dual_fmac_f32 v87, v57, v40 :: v_dual_fma_f32 v86, v56, v40, -v9
	v_mov_b32_e32 v40, v51
	v_pk_fma_f32 v[94:95], v[60:61], v[44:45], v[88:89] op_sel_hi:[1,0,1]
	s_delay_alu instid0(VALU_DEP_4)
	v_pk_fma_f32 v[56:57], v[58:59], v[42:43], v[78:79] op_sel_hi:[1,0,1]
	v_pk_fma_f32 v[42:43], v[58:59], v[42:43], v[78:79] neg_lo:[0,0,1] neg_hi:[0,0,1]
	v_pk_mul_f32 v[80:81], v[80:81], v[90:91] op_sel_hi:[1,0]
	v_pk_add_f32 v[86:87], v[86:87], 0 op_sel_hi:[1,0]
	v_pk_fma_f32 v[44:45], v[60:61], v[44:45], v[88:89] neg_lo:[0,0,1] neg_hi:[0,0,1]
	v_dual_mov_b32 v43, v57 :: v_dual_mov_b32 v45, v95
	s_delay_alu instid0(VALU_DEP_4) | instskip(SKIP_2) | instid1(VALU_DEP_4)
	v_pk_fma_f32 v[58:59], v[62:63], v[46:47], v[80:81] op_sel_hi:[1,0,1]
	v_pk_fma_f32 v[46:47], v[62:63], v[46:47], v[80:81] neg_lo:[0,0,1] neg_hi:[0,0,1]
	v_pk_fma_f32 v[60:61], v[64:65], v[48:49], v[92:93] op_sel_hi:[1,0,1]
	v_pk_add_f32 v[42:43], v[86:87], v[42:43]
	v_pk_mul_f32 v[40:41], v[82:83], v[40:41] op_sel_hi:[1,0]
	v_mov_b32_e32 v47, v59
	v_pk_fma_f32 v[48:49], v[64:65], v[48:49], v[92:93] neg_lo:[0,0,1] neg_hi:[0,0,1]
	s_wait_loadcnt 0x2
	v_pk_mul_f32 v[56:57], v[68:69], v[52:53] op_sel:[1,1] op_sel_hi:[0,1]
	v_pk_add_f32 v[42:43], v[42:43], v[44:45]
	v_mov_b32_e32 v44, v55
	v_pk_fma_f32 v[58:59], v[66:67], v[50:51], v[40:41] op_sel_hi:[1,0,1]
	v_mov_b32_e32 v49, v61
	v_pk_fma_f32 v[40:41], v[66:67], v[50:51], v[40:41] neg_lo:[0,0,1] neg_hi:[0,0,1]
	v_pk_add_f32 v[42:43], v[42:43], v[46:47]
	v_pk_fma_f32 v[46:47], v[68:69], v[52:53], v[56:57] op_sel_hi:[1,0,1]
	v_pk_mul_f32 v[44:45], v[84:85], v[44:45] op_sel_hi:[1,0]
	v_mov_b32_e32 v41, v59
	s_delay_alu instid0(VALU_DEP_4)
	v_pk_add_f32 v[42:43], v[42:43], v[48:49]
	v_pk_fma_f32 v[48:49], v[68:69], v[52:53], v[56:57] neg_lo:[0,0,1] neg_hi:[0,0,1]
	v_mov_b32_e32 v49, v47
	v_pk_fma_f32 v[46:47], v[70:71], v[54:55], v[44:45] op_sel_hi:[1,0,1]
	v_pk_fma_f32 v[44:45], v[70:71], v[54:55], v[44:45] neg_lo:[0,0,1] neg_hi:[0,0,1]
	v_pk_add_f32 v[40:41], v[42:43], v[40:41]
	s_wait_loadcnt_dscnt 0x100
	v_pk_mul_f32 v[42:43], v[76:77], v[72:73] op_sel:[1,1] op_sel_hi:[0,1]
	v_mov_b32_e32 v45, v47
	s_delay_alu instid0(VALU_DEP_3) | instskip(NEXT) | instid1(VALU_DEP_3)
	v_pk_add_f32 v[40:41], v[40:41], v[48:49]
	v_pk_fma_f32 v[46:47], v[76:77], v[72:73], v[42:43] op_sel_hi:[1,0,1]
	v_pk_fma_f32 v[42:43], v[76:77], v[72:73], v[42:43] neg_lo:[0,0,1] neg_hi:[0,0,1]
	s_delay_alu instid0(VALU_DEP_3) | instskip(NEXT) | instid1(VALU_DEP_3)
	v_pk_add_f32 v[40:41], v[40:41], v[44:45]
	v_mov_b32_e32 v43, v47
	s_delay_alu instid0(VALU_DEP_1) | instskip(SKIP_1) | instid1(VALU_DEP_1)
	v_pk_add_f32 v[40:41], v[40:41], v[42:43]
	s_wait_loadcnt 0x0
	v_pk_add_f32 v[40:41], v[74:75], v[40:41] neg_lo:[0,1] neg_hi:[0,1]
	scratch_store_b64 off, v[40:41], off offset:72
	s_wait_xcnt 0x0
	v_cmpx_lt_u32_e32 8, v0
	s_cbranch_execz .LBB82_111
; %bb.110:
	scratch_load_b64 v[40:41], off, off offset:64
	v_mov_b64_e32 v[42:43], 0
	scratch_store_b64 off, v[42:43], off offset:64
	s_wait_loadcnt 0x0
	ds_store_b64 v1, v[40:41]
.LBB82_111:
	s_wait_xcnt 0x0
	s_or_b32 exec_lo, exec_lo, s0
	s_wait_storecnt_dscnt 0x0
	s_barrier_signal -1
	s_barrier_wait -1
	s_clause 0x5
	scratch_load_b128 v[40:43], off, off offset:72
	scratch_load_b128 v[44:47], off, off offset:88
	;; [unrolled: 1-line block ×5, first 2 shown]
	scratch_load_b64 v[80:81], off, off offset:64
	ds_load_2addr_b64 v[60:63], v7 offset0:31 offset1:32
	ds_load_2addr_b64 v[64:67], v7 offset0:33 offset1:34
	ds_load_2addr_b64 v[68:71], v7 offset0:35 offset1:36
	ds_load_2addr_b64 v[72:75], v7 offset0:37 offset1:38
	ds_load_2addr_b64 v[76:79], v7 offset0:29 offset1:30
	s_mov_b32 s0, exec_lo
	s_wait_dscnt 0x4
	v_dual_mov_b32 v82, v63 :: v_dual_mov_b32 v83, v62
	s_wait_dscnt 0x3
	v_dual_mov_b32 v84, v67 :: v_dual_mov_b32 v85, v66
	;; [unrolled: 2-line block ×4, first 2 shown]
	s_wait_loadcnt_dscnt 0x500
	v_dual_mul_f32 v91, v76, v41 :: v_dual_mul_f32 v93, v78, v43
	v_dual_mul_f32 v7, v77, v41 :: v_dual_mul_f32 v9, v79, v43
	s_wait_loadcnt 0x4
	v_pk_mul_f32 v[94:95], v[60:61], v[44:45] op_sel:[1,1] op_sel_hi:[0,1]
	s_wait_loadcnt 0x3
	v_dual_mov_b32 v96, v47 :: v_dual_mov_b32 v100, v51
	v_dual_fmac_f32 v91, v77, v40 :: v_dual_fmac_f32 v93, v79, v42
	v_dual_fma_f32 v90, v76, v40, -v7 :: v_dual_fma_f32 v92, v78, v42, -v9
	v_pk_fma_f32 v[40:41], v[60:61], v[44:45], v[94:95] op_sel_hi:[1,0,1]
	s_delay_alu instid0(VALU_DEP_4) | instskip(SKIP_1) | instid1(VALU_DEP_4)
	v_pk_mul_f32 v[42:43], v[82:83], v[96:97] op_sel_hi:[1,0]
	v_pk_fma_f32 v[44:45], v[60:61], v[44:45], v[94:95] neg_lo:[0,0,1] neg_hi:[0,0,1]
	v_pk_add_f32 v[76:77], v[90:91], 0 op_sel_hi:[1,0]
	v_pk_mul_f32 v[98:99], v[64:65], v[48:49] op_sel:[1,1] op_sel_hi:[0,1]
	v_mov_b32_e32 v45, v41
	v_pk_fma_f32 v[40:41], v[62:63], v[46:47], v[42:43] op_sel_hi:[1,0,1]
	v_pk_fma_f32 v[42:43], v[62:63], v[46:47], v[42:43] neg_lo:[0,0,1] neg_hi:[0,0,1]
	v_pk_add_f32 v[60:61], v[76:77], v[92:93]
	v_pk_fma_f32 v[76:77], v[64:65], v[48:49], v[98:99] op_sel_hi:[1,0,1]
	v_pk_mul_f32 v[82:83], v[84:85], v[100:101] op_sel_hi:[1,0]
	v_mov_b32_e32 v43, v41
	s_wait_loadcnt 0x2
	v_pk_mul_f32 v[78:79], v[68:69], v[52:53] op_sel:[1,1] op_sel_hi:[0,1]
	v_pk_add_f32 v[40:41], v[60:61], v[44:45]
	v_mov_b32_e32 v44, v55
	v_pk_fma_f32 v[46:47], v[64:65], v[48:49], v[98:99] neg_lo:[0,0,1] neg_hi:[0,0,1]
	v_mov_b32_e32 v47, v77
	v_pk_fma_f32 v[48:49], v[66:67], v[50:51], v[82:83] op_sel_hi:[1,0,1]
	v_pk_add_f32 v[40:41], v[40:41], v[42:43]
	v_pk_fma_f32 v[42:43], v[68:69], v[52:53], v[78:79] op_sel_hi:[1,0,1]
	v_pk_mul_f32 v[44:45], v[86:87], v[44:45] op_sel_hi:[1,0]
	v_pk_fma_f32 v[50:51], v[66:67], v[50:51], v[82:83] neg_lo:[0,0,1] neg_hi:[0,0,1]
	v_mov_b32_e32 v51, v49
	v_pk_add_f32 v[40:41], v[40:41], v[46:47]
	v_pk_fma_f32 v[48:49], v[68:69], v[52:53], v[78:79] neg_lo:[0,0,1] neg_hi:[0,0,1]
	v_mov_b32_e32 v49, v43
	v_pk_fma_f32 v[42:43], v[70:71], v[54:55], v[44:45] op_sel_hi:[1,0,1]
	s_wait_loadcnt 0x1
	v_pk_mul_f32 v[46:47], v[72:73], v[56:57] op_sel:[1,1] op_sel_hi:[0,1]
	v_pk_add_f32 v[40:41], v[40:41], v[50:51]
	v_mov_b32_e32 v42, v59
	v_pk_fma_f32 v[44:45], v[70:71], v[54:55], v[44:45] neg_lo:[0,0,1] neg_hi:[0,0,1]
	v_mov_b32_e32 v45, v43
	v_pk_fma_f32 v[50:51], v[72:73], v[56:57], v[46:47] op_sel_hi:[1,0,1]
	v_pk_add_f32 v[40:41], v[40:41], v[48:49]
	v_pk_mul_f32 v[42:43], v[88:89], v[42:43] op_sel_hi:[1,0]
	v_pk_fma_f32 v[46:47], v[72:73], v[56:57], v[46:47] neg_lo:[0,0,1] neg_hi:[0,0,1]
	s_delay_alu instid0(VALU_DEP_3) | instskip(NEXT) | instid1(VALU_DEP_3)
	v_pk_add_f32 v[40:41], v[40:41], v[44:45]
	v_pk_fma_f32 v[44:45], v[74:75], v[58:59], v[42:43] op_sel_hi:[1,0,1]
	v_mov_b32_e32 v47, v51
	v_pk_fma_f32 v[42:43], v[74:75], v[58:59], v[42:43] neg_lo:[0,0,1] neg_hi:[0,0,1]
	s_delay_alu instid0(VALU_DEP_3) | instskip(NEXT) | instid1(VALU_DEP_3)
	v_mov_b32_e32 v43, v45
	v_pk_add_f32 v[40:41], v[40:41], v[46:47]
	s_delay_alu instid0(VALU_DEP_1) | instskip(SKIP_1) | instid1(VALU_DEP_1)
	v_pk_add_f32 v[40:41], v[40:41], v[42:43]
	s_wait_loadcnt 0x0
	v_pk_add_f32 v[40:41], v[80:81], v[40:41] neg_lo:[0,1] neg_hi:[0,1]
	scratch_store_b64 off, v[40:41], off offset:64
	s_wait_xcnt 0x0
	v_cmpx_lt_u32_e32 7, v0
	s_cbranch_execz .LBB82_113
; %bb.112:
	scratch_load_b64 v[40:41], off, off offset:56
	v_mov_b64_e32 v[42:43], 0
	scratch_store_b64 off, v[42:43], off offset:56
	s_wait_loadcnt 0x0
	ds_store_b64 v1, v[40:41]
.LBB82_113:
	s_wait_xcnt 0x0
	s_or_b32 exec_lo, exec_lo, s0
	s_wait_storecnt_dscnt 0x0
	s_barrier_signal -1
	s_barrier_wait -1
	s_clause 0x6
	scratch_load_b128 v[40:43], off, off offset:64
	scratch_load_b128 v[44:47], off, off offset:80
	;; [unrolled: 1-line block ×5, first 2 shown]
	scratch_load_b64 v[80:81], off, off offset:144
	scratch_load_b64 v[82:83], off, off offset:56
	v_mov_b32_e32 v7, 0
	ds_load_b128 v[60:63], v7 offset:240
	ds_load_b128 v[64:67], v7 offset:256
	;; [unrolled: 1-line block ×5, first 2 shown]
	ds_load_b64 v[84:85], v7 offset:304
	s_mov_b32 s0, exec_lo
	s_wait_dscnt 0x5
	v_dual_mov_b32 v86, v63 :: v_dual_mov_b32 v87, v62
	s_wait_dscnt 0x2
	v_dual_mov_b32 v88, v67 :: v_dual_mov_b32 v93, v74
	v_dual_mov_b32 v89, v66 :: v_dual_mov_b32 v90, v71
	v_dual_mov_b32 v91, v70 :: v_dual_mov_b32 v92, v75
	s_wait_loadcnt_dscnt 0x601
	v_dual_mul_f32 v9, v76, v41 :: v_dual_mul_f32 v11, v77, v41
	v_dual_mul_f32 v13, v79, v43 :: v_dual_mul_f32 v95, v78, v43
	s_wait_loadcnt 0x5
	v_dual_mul_f32 v97, v60, v45 :: v_dual_mul_f32 v15, v61, v45
	s_wait_loadcnt 0x4
	v_dual_mov_b32 v96, v47 :: v_dual_mov_b32 v100, v51
	v_dual_fmac_f32 v9, v77, v40 :: v_dual_fma_f32 v11, v76, v40, -v11
	v_dual_fma_f32 v94, v78, v42, -v13 :: v_dual_fmac_f32 v95, v79, v42
	s_delay_alu instid0(VALU_DEP_3) | instskip(NEXT) | instid1(VALU_DEP_3)
	v_pk_mul_f32 v[40:41], v[86:87], v[96:97] op_sel_hi:[1,0]
	v_dual_add_f32 v43, 0, v9 :: v_dual_add_f32 v42, 0, v11
	s_wait_loadcnt 0x3
	v_mov_b32_e32 v76, v55
	v_pk_mul_f32 v[98:99], v[64:65], v[48:49] op_sel:[1,1] op_sel_hi:[0,1]
	v_dual_fmac_f32 v97, v61, v44 :: v_dual_fma_f32 v96, v60, v44, -v15
	v_pk_fma_f32 v[44:45], v[62:63], v[46:47], v[40:41] op_sel_hi:[1,0,1]
	v_pk_add_f32 v[42:43], v[42:43], v[94:95]
	v_pk_fma_f32 v[40:41], v[62:63], v[46:47], v[40:41] neg_lo:[0,0,1] neg_hi:[0,0,1]
	v_pk_fma_f32 v[60:61], v[64:65], v[48:49], v[98:99] op_sel_hi:[1,0,1]
	v_pk_mul_f32 v[78:79], v[88:89], v[100:101] op_sel_hi:[1,0]
	v_mov_b32_e32 v41, v45
	v_pk_add_f32 v[42:43], v[42:43], v[96:97]
	v_pk_fma_f32 v[46:47], v[64:65], v[48:49], v[98:99] neg_lo:[0,0,1] neg_hi:[0,0,1]
	v_pk_mul_f32 v[102:103], v[68:69], v[52:53] op_sel:[1,1] op_sel_hi:[0,1]
	v_mov_b32_e32 v47, v61
	v_pk_fma_f32 v[48:49], v[66:67], v[50:51], v[78:79] op_sel_hi:[1,0,1]
	v_pk_add_f32 v[40:41], v[42:43], v[40:41]
	v_pk_fma_f32 v[50:51], v[66:67], v[50:51], v[78:79] neg_lo:[0,0,1] neg_hi:[0,0,1]
	v_pk_fma_f32 v[42:43], v[68:69], v[52:53], v[102:103] op_sel_hi:[1,0,1]
	v_pk_mul_f32 v[60:61], v[90:91], v[76:77] op_sel_hi:[1,0]
	s_wait_loadcnt 0x2
	v_dual_mov_b32 v51, v49 :: v_dual_mov_b32 v42, v59
	v_pk_add_f32 v[40:41], v[40:41], v[46:47]
	v_pk_fma_f32 v[46:47], v[68:69], v[52:53], v[102:103] neg_lo:[0,0,1] neg_hi:[0,0,1]
	v_pk_mul_f32 v[44:45], v[72:73], v[56:57] op_sel:[1,1] op_sel_hi:[0,1]
	v_pk_fma_f32 v[48:49], v[70:71], v[54:55], v[60:61] op_sel_hi:[1,0,1]
	v_mov_b32_e32 v47, v43
	v_pk_add_f32 v[40:41], v[40:41], v[50:51]
	v_pk_fma_f32 v[52:53], v[70:71], v[54:55], v[60:61] neg_lo:[0,0,1] neg_hi:[0,0,1]
	v_pk_fma_f32 v[50:51], v[72:73], v[56:57], v[44:45] op_sel_hi:[1,0,1]
	v_pk_mul_f32 v[42:43], v[92:93], v[42:43] op_sel_hi:[1,0]
	v_mov_b32_e32 v53, v49
	v_pk_add_f32 v[40:41], v[40:41], v[46:47]
	v_pk_fma_f32 v[44:45], v[72:73], v[56:57], v[44:45] neg_lo:[0,0,1] neg_hi:[0,0,1]
	s_wait_loadcnt_dscnt 0x100
	v_pk_mul_f32 v[48:49], v[84:85], v[80:81] op_sel:[1,1] op_sel_hi:[0,1]
	v_pk_fma_f32 v[46:47], v[74:75], v[58:59], v[42:43] op_sel_hi:[1,0,1]
	v_mov_b32_e32 v45, v51
	v_pk_add_f32 v[40:41], v[40:41], v[52:53]
	v_pk_fma_f32 v[42:43], v[74:75], v[58:59], v[42:43] neg_lo:[0,0,1] neg_hi:[0,0,1]
	s_delay_alu instid0(VALU_DEP_4) | instskip(SKIP_1) | instid1(VALU_DEP_4)
	v_mov_b32_e32 v43, v47
	v_pk_fma_f32 v[46:47], v[84:85], v[80:81], v[48:49] neg_lo:[0,0,1] neg_hi:[0,0,1]
	v_pk_add_f32 v[40:41], v[40:41], v[44:45]
	v_pk_fma_f32 v[44:45], v[84:85], v[80:81], v[48:49] op_sel_hi:[1,0,1]
	s_delay_alu instid0(VALU_DEP_2) | instskip(NEXT) | instid1(VALU_DEP_2)
	v_pk_add_f32 v[40:41], v[40:41], v[42:43]
	v_mov_b32_e32 v47, v45
	s_delay_alu instid0(VALU_DEP_1) | instskip(SKIP_1) | instid1(VALU_DEP_1)
	v_pk_add_f32 v[40:41], v[40:41], v[46:47]
	s_wait_loadcnt 0x0
	v_pk_add_f32 v[40:41], v[82:83], v[40:41] neg_lo:[0,1] neg_hi:[0,1]
	scratch_store_b64 off, v[40:41], off offset:56
	s_wait_xcnt 0x0
	v_cmpx_lt_u32_e32 6, v0
	s_cbranch_execz .LBB82_115
; %bb.114:
	scratch_load_b64 v[40:41], off, off offset:48
	v_mov_b64_e32 v[42:43], 0
	scratch_store_b64 off, v[42:43], off offset:48
	s_wait_loadcnt 0x0
	ds_store_b64 v1, v[40:41]
.LBB82_115:
	s_wait_xcnt 0x0
	s_or_b32 exec_lo, exec_lo, s0
	s_wait_storecnt_dscnt 0x0
	s_barrier_signal -1
	s_barrier_wait -1
	s_clause 0x6
	scratch_load_b128 v[40:43], off, off offset:56
	scratch_load_b128 v[44:47], off, off offset:72
	;; [unrolled: 1-line block ×6, first 2 shown]
	scratch_load_b64 v[88:89], off, off offset:48
	ds_load_2addr_b64 v[64:67], v7 offset0:31 offset1:32
	ds_load_2addr_b64 v[68:71], v7 offset0:33 offset1:34
	;; [unrolled: 1-line block ×6, first 2 shown]
	s_mov_b32 s0, exec_lo
	s_wait_dscnt 0x5
	v_dual_mov_b32 v90, v67 :: v_dual_mov_b32 v91, v66
	s_wait_dscnt 0x4
	v_dual_mov_b32 v92, v71 :: v_dual_mov_b32 v93, v70
	;; [unrolled: 2-line block ×4, first 2 shown]
	s_wait_loadcnt_dscnt 0x601
	v_dual_mul_f32 v7, v80, v41 :: v_dual_mul_f32 v9, v82, v43
	v_dual_mul_f32 v11, v81, v41 :: v_dual_mul_f32 v13, v83, v43
	s_wait_loadcnt 0x4
	s_delay_alu instid0(VALU_DEP_2)
	v_dual_mov_b32 v104, v51 :: v_dual_fmac_f32 v7, v81, v40
	s_wait_dscnt 0x0
	v_dual_mul_f32 v99, v84, v45 :: v_dual_mul_f32 v101, v86, v47
	v_dual_fma_f32 v11, v80, v40, -v11 :: v_dual_fmac_f32 v9, v83, v42
	v_dual_mul_f32 v15, v85, v45 :: v_dual_mul_f32 v17, v87, v47
	v_dual_fma_f32 v13, v82, v42, -v13 :: v_dual_add_f32 v7, 0, v7
	s_wait_loadcnt 0x3
	s_delay_alu instid0(VALU_DEP_3) | instskip(SKIP_3) | instid1(VALU_DEP_4)
	v_dual_add_f32 v11, 0, v11 :: v_dual_mov_b32 v42, v55
	v_pk_mul_f32 v[102:103], v[64:65], v[48:49] op_sel:[1,1] op_sel_hi:[0,1]
	v_pk_mul_f32 v[40:41], v[68:69], v[52:53] op_sel:[1,1] op_sel_hi:[0,1]
	v_dual_fmac_f32 v99, v85, v44 :: v_dual_add_f32 v45, v7, v9
	v_dual_fma_f32 v98, v84, v44, -v15 :: v_dual_add_f32 v44, v11, v13
	v_fmac_f32_e32 v101, v87, v46
	v_fma_f32 v100, v86, v46, -v17
	v_pk_fma_f32 v[46:47], v[64:65], v[48:49], v[102:103] op_sel_hi:[1,0,1]
	v_pk_mul_f32 v[80:81], v[90:91], v[104:105] op_sel_hi:[1,0]
	v_pk_add_f32 v[44:45], v[44:45], v[98:99]
	v_pk_fma_f32 v[48:49], v[64:65], v[48:49], v[102:103] neg_lo:[0,0,1] neg_hi:[0,0,1]
	v_pk_fma_f32 v[64:65], v[68:69], v[52:53], v[40:41] op_sel_hi:[1,0,1]
	v_pk_fma_f32 v[40:41], v[68:69], v[52:53], v[40:41] neg_lo:[0,0,1] neg_hi:[0,0,1]
	v_mov_b32_e32 v49, v47
	v_pk_fma_f32 v[46:47], v[66:67], v[50:51], v[80:81] op_sel_hi:[1,0,1]
	v_pk_fma_f32 v[50:51], v[66:67], v[50:51], v[80:81] neg_lo:[0,0,1] neg_hi:[0,0,1]
	v_mov_b32_e32 v41, v65
	v_pk_add_f32 v[44:45], v[44:45], v[100:101]
	v_pk_mul_f32 v[42:43], v[92:93], v[42:43] op_sel_hi:[1,0]
	s_wait_loadcnt 0x2
	v_dual_mov_b32 v51, v47 :: v_dual_mov_b32 v46, v59
	v_pk_mul_f32 v[82:83], v[72:73], v[56:57] op_sel:[1,1] op_sel_hi:[0,1]
	v_pk_add_f32 v[44:45], v[44:45], v[48:49]
	v_pk_fma_f32 v[48:49], v[70:71], v[54:55], v[42:43] op_sel_hi:[1,0,1]
	v_pk_fma_f32 v[42:43], v[70:71], v[54:55], v[42:43] neg_lo:[0,0,1] neg_hi:[0,0,1]
	v_pk_mul_f32 v[46:47], v[94:95], v[46:47] op_sel_hi:[1,0]
	s_delay_alu instid0(VALU_DEP_4) | instskip(SKIP_3) | instid1(VALU_DEP_4)
	v_pk_add_f32 v[44:45], v[44:45], v[50:51]
	v_pk_fma_f32 v[50:51], v[72:73], v[56:57], v[82:83] op_sel_hi:[1,0,1]
	v_mov_b32_e32 v43, v49
	v_pk_fma_f32 v[48:49], v[72:73], v[56:57], v[82:83] neg_lo:[0,0,1] neg_hi:[0,0,1]
	v_pk_add_f32 v[40:41], v[44:45], v[40:41]
	s_wait_loadcnt 0x1
	v_pk_mul_f32 v[44:45], v[76:77], v[60:61] op_sel:[1,1] op_sel_hi:[0,1]
	v_mov_b32_e32 v49, v51
	v_pk_fma_f32 v[50:51], v[74:75], v[58:59], v[46:47] op_sel_hi:[1,0,1]
	v_pk_fma_f32 v[46:47], v[74:75], v[58:59], v[46:47] neg_lo:[0,0,1] neg_hi:[0,0,1]
	v_pk_add_f32 v[40:41], v[40:41], v[42:43]
	v_mov_b32_e32 v42, v63
	v_pk_fma_f32 v[52:53], v[76:77], v[60:61], v[44:45] op_sel_hi:[1,0,1]
	v_mov_b32_e32 v47, v51
	v_pk_fma_f32 v[44:45], v[76:77], v[60:61], v[44:45] neg_lo:[0,0,1] neg_hi:[0,0,1]
	v_pk_add_f32 v[40:41], v[40:41], v[48:49]
	v_pk_mul_f32 v[42:43], v[96:97], v[42:43] op_sel_hi:[1,0]
	s_delay_alu instid0(VALU_DEP_2) | instskip(NEXT) | instid1(VALU_DEP_2)
	v_pk_add_f32 v[40:41], v[40:41], v[46:47]
	v_pk_fma_f32 v[46:47], v[78:79], v[62:63], v[42:43] op_sel_hi:[1,0,1]
	v_mov_b32_e32 v45, v53
	v_pk_fma_f32 v[42:43], v[78:79], v[62:63], v[42:43] neg_lo:[0,0,1] neg_hi:[0,0,1]
	s_delay_alu instid0(VALU_DEP_3) | instskip(NEXT) | instid1(VALU_DEP_3)
	v_mov_b32_e32 v43, v47
	v_pk_add_f32 v[40:41], v[40:41], v[44:45]
	s_delay_alu instid0(VALU_DEP_1) | instskip(SKIP_1) | instid1(VALU_DEP_1)
	v_pk_add_f32 v[40:41], v[40:41], v[42:43]
	s_wait_loadcnt 0x0
	v_pk_add_f32 v[40:41], v[88:89], v[40:41] neg_lo:[0,1] neg_hi:[0,1]
	scratch_store_b64 off, v[40:41], off offset:48
	s_wait_xcnt 0x0
	v_cmpx_lt_u32_e32 5, v0
	s_cbranch_execz .LBB82_117
; %bb.116:
	scratch_load_b64 v[40:41], off, off offset:40
	v_mov_b64_e32 v[42:43], 0
	scratch_store_b64 off, v[42:43], off offset:40
	s_wait_loadcnt 0x0
	ds_store_b64 v1, v[40:41]
.LBB82_117:
	s_wait_xcnt 0x0
	s_or_b32 exec_lo, exec_lo, s0
	s_wait_storecnt_dscnt 0x0
	s_barrier_signal -1
	s_barrier_wait -1
	s_clause 0x7
	scratch_load_b128 v[40:43], off, off offset:48
	scratch_load_b128 v[44:47], off, off offset:64
	;; [unrolled: 1-line block ×6, first 2 shown]
	scratch_load_b64 v[88:89], off, off offset:144
	scratch_load_b64 v[90:91], off, off offset:40
	v_mov_b32_e32 v7, 0
	ds_load_b128 v[64:67], v7 offset:240
	ds_load_b128 v[68:71], v7 offset:256
	;; [unrolled: 1-line block ×6, first 2 shown]
	ds_load_b64 v[92:93], v7 offset:304
	s_mov_b32 s0, exec_lo
	s_wait_dscnt 0x6
	v_dual_mov_b32 v94, v67 :: v_dual_mov_b32 v95, v66
	s_wait_dscnt 0x3
	v_dual_mov_b32 v96, v71 :: v_dual_mov_b32 v101, v78
	v_dual_mov_b32 v97, v70 :: v_dual_mov_b32 v98, v75
	;; [unrolled: 1-line block ×3, first 2 shown]
	s_wait_loadcnt_dscnt 0x702
	v_dual_mul_f32 v9, v80, v41 :: v_dual_mul_f32 v15, v81, v41
	v_dual_mul_f32 v17, v83, v43 :: v_dual_mul_f32 v11, v82, v43
	s_wait_loadcnt_dscnt 0x601
	s_delay_alu instid0(VALU_DEP_2) | instskip(NEXT) | instid1(VALU_DEP_3)
	v_dual_mul_f32 v13, v84, v45 :: v_dual_fmac_f32 v9, v81, v40
	v_dual_fma_f32 v15, v80, v40, -v15 :: v_dual_mul_f32 v19, v85, v45
	v_mul_f32_e32 v21, v87, v47
	s_wait_loadcnt 0x4
	v_dual_mov_b32 v40, v55 :: v_dual_fma_f32 v17, v82, v42, -v17
	v_dual_fmac_f32 v11, v83, v42 :: v_dual_add_f32 v9, 0, v9
	v_dual_add_f32 v15, 0, v15 :: v_dual_fmac_f32 v13, v85, v44
	v_dual_mul_f32 v103, v86, v47 :: v_dual_mul_f32 v105, v64, v49
	v_dual_mul_f32 v23, v65, v49 :: v_dual_mov_b32 v104, v51
	s_delay_alu instid0(VALU_DEP_4) | instskip(NEXT) | instid1(VALU_DEP_4)
	v_dual_fma_f32 v19, v84, v44, -v19 :: v_dual_add_f32 v9, v9, v11
	v_dual_add_f32 v11, v15, v17 :: v_dual_fma_f32 v102, v86, v46, -v21
	s_delay_alu instid0(VALU_DEP_4) | instskip(NEXT) | instid1(VALU_DEP_4)
	v_fmac_f32_e32 v103, v87, v46
	v_pk_mul_f32 v[44:45], v[94:95], v[104:105] op_sel_hi:[1,0]
	s_delay_alu instid0(VALU_DEP_3)
	v_dual_add_f32 v47, v9, v13 :: v_dual_add_f32 v46, v11, v19
	v_fmac_f32_e32 v105, v65, v48
	v_pk_mul_f32 v[106:107], v[68:69], v[52:53] op_sel:[1,1] op_sel_hi:[0,1]
	s_wait_loadcnt 0x3
	v_dual_mov_b32 v80, v59 :: v_dual_fma_f32 v104, v64, v48, -v23
	v_pk_fma_f32 v[48:49], v[66:67], v[50:51], v[44:45] op_sel_hi:[1,0,1]
	v_pk_add_f32 v[46:47], v[46:47], v[102:103]
	v_pk_fma_f32 v[44:45], v[66:67], v[50:51], v[44:45] neg_lo:[0,0,1] neg_hi:[0,0,1]
	v_pk_fma_f32 v[64:65], v[68:69], v[52:53], v[106:107] op_sel_hi:[1,0,1]
	v_pk_mul_f32 v[40:41], v[96:97], v[40:41] op_sel_hi:[1,0]
	v_mov_b32_e32 v45, v49
	v_pk_add_f32 v[46:47], v[46:47], v[104:105]
	v_pk_fma_f32 v[50:51], v[68:69], v[52:53], v[106:107] neg_lo:[0,0,1] neg_hi:[0,0,1]
	v_pk_mul_f32 v[42:43], v[72:73], v[56:57] op_sel:[1,1] op_sel_hi:[0,1]
	v_mov_b32_e32 v51, v65
	v_pk_fma_f32 v[52:53], v[70:71], v[54:55], v[40:41] op_sel_hi:[1,0,1]
	v_pk_add_f32 v[44:45], v[46:47], v[44:45]
	v_pk_fma_f32 v[40:41], v[70:71], v[54:55], v[40:41] neg_lo:[0,0,1] neg_hi:[0,0,1]
	v_pk_fma_f32 v[46:47], v[72:73], v[56:57], v[42:43] op_sel_hi:[1,0,1]
	v_pk_mul_f32 v[64:65], v[98:99], v[80:81] op_sel_hi:[1,0]
	s_wait_loadcnt 0x2
	v_dual_mov_b32 v41, v53 :: v_dual_mov_b32 v46, v63
	v_pk_add_f32 v[44:45], v[44:45], v[50:51]
	v_pk_fma_f32 v[42:43], v[72:73], v[56:57], v[42:43] neg_lo:[0,0,1] neg_hi:[0,0,1]
	v_pk_mul_f32 v[48:49], v[76:77], v[60:61] op_sel:[1,1] op_sel_hi:[0,1]
	v_pk_fma_f32 v[50:51], v[74:75], v[58:59], v[64:65] op_sel_hi:[1,0,1]
	v_mov_b32_e32 v43, v47
	v_pk_add_f32 v[40:41], v[44:45], v[40:41]
	v_pk_fma_f32 v[52:53], v[74:75], v[58:59], v[64:65] neg_lo:[0,0,1] neg_hi:[0,0,1]
	v_pk_fma_f32 v[44:45], v[76:77], v[60:61], v[48:49] op_sel_hi:[1,0,1]
	v_pk_mul_f32 v[46:47], v[100:101], v[46:47] op_sel_hi:[1,0]
	v_mov_b32_e32 v53, v51
	v_pk_add_f32 v[40:41], v[40:41], v[42:43]
	v_pk_fma_f32 v[42:43], v[76:77], v[60:61], v[48:49] neg_lo:[0,0,1] neg_hi:[0,0,1]
	v_mov_b32_e32 v43, v45
	v_pk_fma_f32 v[44:45], v[78:79], v[62:63], v[46:47] op_sel_hi:[1,0,1]
	s_wait_loadcnt_dscnt 0x100
	v_pk_mul_f32 v[48:49], v[92:93], v[88:89] op_sel:[1,1] op_sel_hi:[0,1]
	v_pk_add_f32 v[40:41], v[40:41], v[52:53]
	v_pk_fma_f32 v[46:47], v[78:79], v[62:63], v[46:47] neg_lo:[0,0,1] neg_hi:[0,0,1]
	v_mov_b32_e32 v47, v45
	s_delay_alu instid0(VALU_DEP_4) | instskip(NEXT) | instid1(VALU_DEP_4)
	v_pk_fma_f32 v[44:45], v[92:93], v[88:89], v[48:49] neg_lo:[0,0,1] neg_hi:[0,0,1]
	v_pk_add_f32 v[40:41], v[40:41], v[42:43]
	v_pk_fma_f32 v[42:43], v[92:93], v[88:89], v[48:49] op_sel_hi:[1,0,1]
	s_delay_alu instid0(VALU_DEP_2) | instskip(NEXT) | instid1(VALU_DEP_2)
	v_pk_add_f32 v[40:41], v[40:41], v[46:47]
	v_mov_b32_e32 v45, v43
	s_delay_alu instid0(VALU_DEP_1) | instskip(SKIP_1) | instid1(VALU_DEP_1)
	v_pk_add_f32 v[40:41], v[40:41], v[44:45]
	s_wait_loadcnt 0x0
	v_pk_add_f32 v[40:41], v[90:91], v[40:41] neg_lo:[0,1] neg_hi:[0,1]
	scratch_store_b64 off, v[40:41], off offset:40
	s_wait_xcnt 0x0
	v_cmpx_lt_u32_e32 4, v0
	s_cbranch_execz .LBB82_119
; %bb.118:
	scratch_load_b64 v[40:41], off, off offset:32
	v_mov_b64_e32 v[42:43], 0
	scratch_store_b64 off, v[42:43], off offset:32
	s_wait_loadcnt 0x0
	ds_store_b64 v1, v[40:41]
.LBB82_119:
	s_wait_xcnt 0x0
	s_or_b32 exec_lo, exec_lo, s0
	s_wait_storecnt_dscnt 0x0
	s_barrier_signal -1
	s_barrier_wait -1
	s_clause 0x7
	scratch_load_b128 v[40:43], off, off offset:40
	scratch_load_b128 v[44:47], off, off offset:56
	;; [unrolled: 1-line block ×7, first 2 shown]
	scratch_load_b64 v[96:97], off, off offset:32
	ds_load_2addr_b64 v[68:71], v7 offset0:31 offset1:32
	ds_load_2addr_b64 v[72:75], v7 offset0:33 offset1:34
	;; [unrolled: 1-line block ×7, first 2 shown]
	s_mov_b32 s0, exec_lo
	s_wait_dscnt 0x6
	v_dual_mov_b32 v98, v71 :: v_dual_mov_b32 v99, v70
	s_wait_dscnt 0x5
	v_dual_mov_b32 v100, v75 :: v_dual_mov_b32 v101, v74
	;; [unrolled: 2-line block ×4, first 2 shown]
	s_wait_loadcnt_dscnt 0x702
	v_dual_mul_f32 v7, v84, v41 :: v_dual_mul_f32 v9, v86, v43
	v_dual_mul_f32 v15, v85, v41 :: v_dual_mul_f32 v17, v87, v43
	s_wait_loadcnt_dscnt 0x601
	v_dual_mul_f32 v11, v88, v45 :: v_dual_mul_f32 v13, v90, v47
	s_delay_alu instid0(VALU_DEP_3) | instskip(NEXT) | instid1(VALU_DEP_3)
	v_dual_fmac_f32 v7, v85, v40 :: v_dual_fmac_f32 v9, v87, v42
	v_dual_fma_f32 v15, v84, v40, -v15 :: v_dual_fma_f32 v17, v86, v42, -v17
	v_dual_mul_f32 v19, v89, v45 :: v_dual_mul_f32 v21, v91, v47
	s_wait_loadcnt 0x4
	s_delay_alu instid0(VALU_DEP_3) | instskip(NEXT) | instid1(VALU_DEP_3)
	v_dual_add_f32 v7, 0, v7 :: v_dual_mov_b32 v42, v55
	v_dual_add_f32 v15, 0, v15 :: v_dual_fmac_f32 v11, v89, v44
	s_delay_alu instid0(VALU_DEP_2) | instskip(SKIP_2) | instid1(VALU_DEP_3)
	v_dual_fma_f32 v19, v88, v44, -v19 :: v_dual_add_f32 v7, v7, v9
	s_wait_dscnt 0x0
	v_dual_mul_f32 v107, v92, v49 :: v_dual_mul_f32 v109, v94, v51
	v_dual_add_f32 v9, v15, v17 :: v_dual_fma_f32 v15, v90, v46, -v21
	v_dual_mul_f32 v23, v93, v49 :: v_dual_mul_f32 v25, v95, v51
	s_delay_alu instid0(VALU_DEP_2) | instskip(NEXT) | instid1(VALU_DEP_4)
	v_dual_fmac_f32 v13, v91, v46 :: v_dual_add_f32 v9, v9, v19
	v_dual_add_f32 v7, v7, v11 :: v_dual_fmac_f32 v107, v93, v48
	v_pk_mul_f32 v[40:41], v[68:69], v[52:53] op_sel:[1,1] op_sel_hi:[0,1]
	s_wait_loadcnt 0x3
	v_pk_mul_f32 v[44:45], v[72:73], v[56:57] op_sel:[1,1] op_sel_hi:[0,1]
	v_dual_mov_b32 v46, v59 :: v_dual_fma_f32 v106, v92, v48, -v23
	v_dual_add_f32 v49, v7, v13 :: v_dual_add_f32 v48, v9, v15
	v_fmac_f32_e32 v109, v95, v50
	v_fma_f32 v108, v94, v50, -v25
	v_pk_fma_f32 v[50:51], v[68:69], v[52:53], v[40:41] op_sel_hi:[1,0,1]
	v_pk_mul_f32 v[42:43], v[98:99], v[42:43] op_sel_hi:[1,0]
	v_pk_add_f32 v[48:49], v[48:49], v[106:107]
	v_pk_fma_f32 v[40:41], v[68:69], v[52:53], v[40:41] neg_lo:[0,0,1] neg_hi:[0,0,1]
	v_pk_fma_f32 v[52:53], v[72:73], v[56:57], v[44:45] op_sel_hi:[1,0,1]
	v_pk_fma_f32 v[44:45], v[72:73], v[56:57], v[44:45] neg_lo:[0,0,1] neg_hi:[0,0,1]
	v_mov_b32_e32 v41, v51
	v_pk_fma_f32 v[50:51], v[70:71], v[54:55], v[42:43] op_sel_hi:[1,0,1]
	v_pk_fma_f32 v[42:43], v[70:71], v[54:55], v[42:43] neg_lo:[0,0,1] neg_hi:[0,0,1]
	v_mov_b32_e32 v45, v53
	v_pk_add_f32 v[48:49], v[48:49], v[108:109]
	v_pk_mul_f32 v[46:47], v[100:101], v[46:47] op_sel_hi:[1,0]
	v_mov_b32_e32 v43, v51
	s_wait_loadcnt 0x2
	v_pk_mul_f32 v[84:85], v[76:77], v[60:61] op_sel:[1,1] op_sel_hi:[0,1]
	v_pk_add_f32 v[40:41], v[48:49], v[40:41]
	v_mov_b32_e32 v48, v63
	v_pk_fma_f32 v[50:51], v[74:75], v[58:59], v[46:47] op_sel_hi:[1,0,1]
	v_pk_fma_f32 v[46:47], v[74:75], v[58:59], v[46:47] neg_lo:[0,0,1] neg_hi:[0,0,1]
	s_delay_alu instid0(VALU_DEP_4)
	v_pk_add_f32 v[40:41], v[40:41], v[42:43]
	v_pk_fma_f32 v[42:43], v[76:77], v[60:61], v[84:85] op_sel_hi:[1,0,1]
	v_pk_mul_f32 v[48:49], v[102:103], v[48:49] op_sel_hi:[1,0]
	v_mov_b32_e32 v47, v51
	v_pk_fma_f32 v[50:51], v[76:77], v[60:61], v[84:85] neg_lo:[0,0,1] neg_hi:[0,0,1]
	v_pk_add_f32 v[40:41], v[40:41], v[44:45]
	v_mov_b32_e32 v51, v43
	v_pk_fma_f32 v[42:43], v[78:79], v[62:63], v[48:49] op_sel_hi:[1,0,1]
	s_wait_loadcnt 0x1
	v_pk_mul_f32 v[44:45], v[80:81], v[64:65] op_sel:[1,1] op_sel_hi:[0,1]
	v_mov_b32_e32 v42, v67
	v_pk_add_f32 v[40:41], v[40:41], v[46:47]
	v_pk_fma_f32 v[48:49], v[78:79], v[62:63], v[48:49] neg_lo:[0,0,1] neg_hi:[0,0,1]
	v_mov_b32_e32 v49, v43
	v_pk_fma_f32 v[46:47], v[80:81], v[64:65], v[44:45] op_sel_hi:[1,0,1]
	v_pk_mul_f32 v[42:43], v[104:105], v[42:43] op_sel_hi:[1,0]
	v_pk_add_f32 v[40:41], v[40:41], v[50:51]
	v_pk_fma_f32 v[44:45], v[80:81], v[64:65], v[44:45] neg_lo:[0,0,1] neg_hi:[0,0,1]
	s_delay_alu instid0(VALU_DEP_4) | instskip(NEXT) | instid1(VALU_DEP_4)
	v_mov_b32_e32 v45, v47
	v_pk_fma_f32 v[46:47], v[82:83], v[66:67], v[42:43] op_sel_hi:[1,0,1]
	s_delay_alu instid0(VALU_DEP_4) | instskip(SKIP_1) | instid1(VALU_DEP_3)
	v_pk_add_f32 v[40:41], v[40:41], v[48:49]
	v_pk_fma_f32 v[42:43], v[82:83], v[66:67], v[42:43] neg_lo:[0,0,1] neg_hi:[0,0,1]
	v_mov_b32_e32 v43, v47
	s_delay_alu instid0(VALU_DEP_3) | instskip(NEXT) | instid1(VALU_DEP_1)
	v_pk_add_f32 v[40:41], v[40:41], v[44:45]
	v_pk_add_f32 v[40:41], v[40:41], v[42:43]
	s_wait_loadcnt 0x0
	s_delay_alu instid0(VALU_DEP_1)
	v_pk_add_f32 v[40:41], v[96:97], v[40:41] neg_lo:[0,1] neg_hi:[0,1]
	scratch_store_b64 off, v[40:41], off offset:32
	s_wait_xcnt 0x0
	v_cmpx_lt_u32_e32 3, v0
	s_cbranch_execz .LBB82_121
; %bb.120:
	scratch_load_b64 v[40:41], off, off offset:24
	v_mov_b64_e32 v[42:43], 0
	scratch_store_b64 off, v[42:43], off offset:24
	s_wait_loadcnt 0x0
	ds_store_b64 v1, v[40:41]
.LBB82_121:
	s_wait_xcnt 0x0
	s_or_b32 exec_lo, exec_lo, s0
	s_wait_storecnt_dscnt 0x0
	s_barrier_signal -1
	s_barrier_wait -1
	s_clause 0x8
	scratch_load_b128 v[40:43], off, off offset:32
	scratch_load_b128 v[44:47], off, off offset:48
	;; [unrolled: 1-line block ×7, first 2 shown]
	scratch_load_b64 v[96:97], off, off offset:144
	scratch_load_b64 v[98:99], off, off offset:24
	v_mov_b32_e32 v7, 0
	ds_load_b128 v[68:71], v7 offset:240
	ds_load_b128 v[72:75], v7 offset:256
	;; [unrolled: 1-line block ×7, first 2 shown]
	ds_load_b64 v[100:101], v7 offset:304
	s_mov_b32 s0, exec_lo
	s_wait_dscnt 0x7
	v_dual_mov_b32 v102, v71 :: v_dual_mov_b32 v103, v70
	s_wait_dscnt 0x4
	v_dual_mov_b32 v104, v75 :: v_dual_mov_b32 v109, v82
	v_dual_mov_b32 v105, v74 :: v_dual_mov_b32 v106, v79
	;; [unrolled: 1-line block ×3, first 2 shown]
	s_wait_loadcnt_dscnt 0x803
	v_dual_mul_f32 v9, v84, v41 :: v_dual_mul_f32 v19, v85, v41
	v_dual_mul_f32 v21, v87, v43 :: v_dual_mul_f32 v11, v86, v43
	s_wait_loadcnt_dscnt 0x702
	v_mul_f32_e32 v13, v88, v45
	s_wait_loadcnt 0x5
	v_dual_mul_f32 v31, v69, v53 :: v_dual_fma_f32 v19, v84, v40, -v19
	v_dual_fmac_f32 v9, v85, v40 :: v_dual_mov_b32 v40, v55
	v_dual_mul_f32 v23, v89, v45 :: v_dual_mul_f32 v25, v91, v47
	v_dual_fmac_f32 v11, v87, v42 :: v_dual_fma_f32 v21, v86, v42, -v21
	s_delay_alu instid0(VALU_DEP_3) | instskip(SKIP_3) | instid1(VALU_DEP_3)
	v_dual_add_f32 v9, 0, v9 :: v_dual_add_f32 v19, 0, v19
	s_wait_dscnt 0x1
	v_dual_mul_f32 v15, v90, v47 :: v_dual_mul_f32 v17, v92, v49
	v_dual_fmac_f32 v13, v89, v44 :: v_dual_fma_f32 v23, v88, v44, -v23
	v_dual_add_f32 v9, v9, v11 :: v_dual_add_f32 v11, v19, v21
	v_dual_mul_f32 v27, v93, v49 :: v_dual_mul_f32 v29, v95, v51
	s_wait_loadcnt 0x4
	v_dual_mov_b32 v44, v59 :: v_dual_fma_f32 v19, v90, v46, -v25
	s_delay_alu instid0(VALU_DEP_3) | instskip(SKIP_2) | instid1(VALU_DEP_3)
	v_dual_fmac_f32 v15, v91, v46 :: v_dual_add_f32 v9, v9, v13
	v_dual_add_f32 v11, v11, v23 :: v_dual_fmac_f32 v17, v93, v48
	v_dual_mul_f32 v111, v94, v51 :: v_dual_mul_f32 v113, v68, v53
	v_dual_fma_f32 v13, v92, v48, -v27 :: v_dual_add_f32 v9, v9, v15
	s_delay_alu instid0(VALU_DEP_3) | instskip(NEXT) | instid1(VALU_DEP_3)
	v_dual_add_f32 v11, v11, v19 :: v_dual_fma_f32 v110, v94, v50, -v29
	v_fmac_f32_e32 v111, v95, v50
	v_pk_mul_f32 v[40:41], v[102:103], v[40:41] op_sel_hi:[1,0]
	s_delay_alu instid0(VALU_DEP_4) | instskip(NEXT) | instid1(VALU_DEP_4)
	v_add_f32_e32 v49, v9, v17
	v_dual_add_f32 v48, v11, v13 :: v_dual_fmac_f32 v113, v69, v52
	v_pk_mul_f32 v[42:43], v[72:73], v[56:57] op_sel:[1,1] op_sel_hi:[0,1]
	s_wait_loadcnt 0x3
	v_dual_mov_b32 v50, v63 :: v_dual_fma_f32 v112, v68, v52, -v31
	v_pk_fma_f32 v[52:53], v[70:71], v[54:55], v[40:41] op_sel_hi:[1,0,1]
	v_pk_add_f32 v[48:49], v[48:49], v[110:111]
	v_pk_fma_f32 v[40:41], v[70:71], v[54:55], v[40:41] neg_lo:[0,0,1] neg_hi:[0,0,1]
	v_pk_fma_f32 v[68:69], v[72:73], v[56:57], v[42:43] op_sel_hi:[1,0,1]
	v_pk_mul_f32 v[44:45], v[104:105], v[44:45] op_sel_hi:[1,0]
	v_mov_b32_e32 v41, v53
	v_pk_add_f32 v[48:49], v[48:49], v[112:113]
	v_pk_fma_f32 v[42:43], v[72:73], v[56:57], v[42:43] neg_lo:[0,0,1] neg_hi:[0,0,1]
	v_pk_mul_f32 v[46:47], v[76:77], v[60:61] op_sel:[1,1] op_sel_hi:[0,1]
	v_mov_b32_e32 v43, v69
	v_pk_fma_f32 v[54:55], v[74:75], v[58:59], v[44:45] op_sel_hi:[1,0,1]
	v_pk_add_f32 v[40:41], v[48:49], v[40:41]
	v_pk_fma_f32 v[44:45], v[74:75], v[58:59], v[44:45] neg_lo:[0,0,1] neg_hi:[0,0,1]
	v_pk_fma_f32 v[48:49], v[76:77], v[60:61], v[46:47] op_sel_hi:[1,0,1]
	v_pk_mul_f32 v[50:51], v[106:107], v[50:51] op_sel_hi:[1,0]
	v_mov_b32_e32 v45, v55
	v_pk_add_f32 v[40:41], v[40:41], v[42:43]
	v_pk_fma_f32 v[46:47], v[76:77], v[60:61], v[46:47] neg_lo:[0,0,1] neg_hi:[0,0,1]
	s_wait_loadcnt 0x2
	v_pk_mul_f32 v[52:53], v[80:81], v[64:65] op_sel:[1,1] op_sel_hi:[0,1]
	v_dual_mov_b32 v42, v67 :: v_dual_mov_b32 v47, v49
	v_pk_fma_f32 v[48:49], v[78:79], v[62:63], v[50:51] op_sel_hi:[1,0,1]
	v_pk_add_f32 v[40:41], v[40:41], v[44:45]
	v_pk_fma_f32 v[50:51], v[78:79], v[62:63], v[50:51] neg_lo:[0,0,1] neg_hi:[0,0,1]
	v_pk_fma_f32 v[44:45], v[80:81], v[64:65], v[52:53] op_sel_hi:[1,0,1]
	v_pk_mul_f32 v[42:43], v[108:109], v[42:43] op_sel_hi:[1,0]
	v_mov_b32_e32 v51, v49
	v_pk_add_f32 v[40:41], v[40:41], v[46:47]
	v_pk_fma_f32 v[46:47], v[80:81], v[64:65], v[52:53] neg_lo:[0,0,1] neg_hi:[0,0,1]
	v_mov_b32_e32 v47, v45
	v_pk_fma_f32 v[44:45], v[82:83], v[66:67], v[42:43] op_sel_hi:[1,0,1]
	s_wait_loadcnt_dscnt 0x100
	v_pk_mul_f32 v[48:49], v[100:101], v[96:97] op_sel:[1,1] op_sel_hi:[0,1]
	v_pk_add_f32 v[40:41], v[40:41], v[50:51]
	v_pk_fma_f32 v[42:43], v[82:83], v[66:67], v[42:43] neg_lo:[0,0,1] neg_hi:[0,0,1]
	v_mov_b32_e32 v43, v45
	s_delay_alu instid0(VALU_DEP_4) | instskip(NEXT) | instid1(VALU_DEP_4)
	v_pk_fma_f32 v[44:45], v[100:101], v[96:97], v[48:49] op_sel_hi:[1,0,1]
	v_pk_add_f32 v[40:41], v[40:41], v[46:47]
	v_pk_fma_f32 v[46:47], v[100:101], v[96:97], v[48:49] neg_lo:[0,0,1] neg_hi:[0,0,1]
	s_delay_alu instid0(VALU_DEP_3) | instskip(NEXT) | instid1(VALU_DEP_3)
	v_mov_b32_e32 v47, v45
	v_pk_add_f32 v[40:41], v[40:41], v[42:43]
	s_delay_alu instid0(VALU_DEP_1) | instskip(SKIP_1) | instid1(VALU_DEP_1)
	v_pk_add_f32 v[40:41], v[40:41], v[46:47]
	s_wait_loadcnt 0x0
	v_pk_add_f32 v[40:41], v[98:99], v[40:41] neg_lo:[0,1] neg_hi:[0,1]
	scratch_store_b64 off, v[40:41], off offset:24
	s_wait_xcnt 0x0
	v_cmpx_lt_u32_e32 2, v0
	s_cbranch_execz .LBB82_123
; %bb.122:
	scratch_load_b64 v[40:41], off, off offset:16
	v_mov_b64_e32 v[42:43], 0
	scratch_store_b64 off, v[42:43], off offset:16
	s_wait_loadcnt 0x0
	ds_store_b64 v1, v[40:41]
.LBB82_123:
	s_wait_xcnt 0x0
	s_or_b32 exec_lo, exec_lo, s0
	s_wait_storecnt_dscnt 0x0
	s_barrier_signal -1
	s_barrier_wait -1
	s_clause 0x8
	scratch_load_b128 v[40:43], off, off offset:24
	scratch_load_b128 v[44:47], off, off offset:40
	;; [unrolled: 1-line block ×8, first 2 shown]
	scratch_load_b64 v[104:105], off, off offset:16
	ds_load_2addr_b64 v[72:75], v7 offset0:31 offset1:32
	ds_load_2addr_b64 v[76:79], v7 offset0:33 offset1:34
	;; [unrolled: 1-line block ×8, first 2 shown]
	s_mov_b32 s0, exec_lo
	s_wait_dscnt 0x7
	v_dual_mov_b32 v106, v75 :: v_dual_mov_b32 v107, v74
	s_wait_dscnt 0x6
	v_dual_mov_b32 v108, v79 :: v_dual_mov_b32 v109, v78
	;; [unrolled: 2-line block ×4, first 2 shown]
	s_wait_loadcnt_dscnt 0x803
	v_dual_mul_f32 v7, v88, v41 :: v_dual_mul_f32 v9, v90, v43
	v_dual_mul_f32 v19, v89, v41 :: v_dual_mul_f32 v21, v91, v43
	s_wait_loadcnt_dscnt 0x702
	v_dual_mul_f32 v11, v92, v45 :: v_dual_mul_f32 v13, v94, v47
	s_delay_alu instid0(VALU_DEP_3) | instskip(SKIP_3) | instid1(VALU_DEP_3)
	v_dual_fmac_f32 v7, v89, v40 :: v_dual_fmac_f32 v9, v91, v42
	s_wait_loadcnt_dscnt 0x500
	v_dual_fma_f32 v19, v88, v40, -v19 :: v_dual_mul_f32 v31, v101, v53
	v_dual_mul_f32 v23, v93, v45 :: v_dual_mul_f32 v25, v95, v47
	v_dual_fma_f32 v21, v90, v42, -v21 :: v_dual_add_f32 v7, 0, v7
	s_delay_alu instid0(VALU_DEP_3) | instskip(SKIP_1) | instid1(VALU_DEP_4)
	v_dual_add_f32 v19, 0, v19 :: v_dual_fmac_f32 v11, v93, v44
	v_dual_mul_f32 v15, v96, v49 :: v_dual_mul_f32 v17, v98, v51
	v_dual_mul_f32 v33, v103, v55 :: v_dual_fma_f32 v23, v92, v44, -v23
	s_delay_alu instid0(VALU_DEP_4) | instskip(NEXT) | instid1(VALU_DEP_3)
	v_add_f32_e32 v7, v7, v9
	v_dual_add_f32 v9, v19, v21 :: v_dual_fmac_f32 v15, v97, v48
	v_dual_mul_f32 v27, v97, v49 :: v_dual_mul_f32 v29, v99, v51
	s_delay_alu instid0(VALU_DEP_2) | instskip(NEXT) | instid1(VALU_DEP_4)
	v_dual_fmac_f32 v13, v95, v46 :: v_dual_add_f32 v9, v9, v23
	v_dual_fma_f32 v19, v94, v46, -v25 :: v_dual_add_f32 v7, v7, v11
	s_wait_loadcnt 0x4
	s_delay_alu instid0(VALU_DEP_3) | instskip(SKIP_1) | instid1(VALU_DEP_3)
	v_dual_fma_f32 v11, v96, v48, -v27 :: v_dual_mov_b32 v42, v59
	v_dual_mul_f32 v115, v100, v53 :: v_dual_mul_f32 v117, v102, v55
	v_dual_add_f32 v7, v7, v13 :: v_dual_fma_f32 v13, v98, v50, -v29
	v_dual_add_f32 v9, v9, v19 :: v_dual_fmac_f32 v17, v99, v50
	v_pk_mul_f32 v[40:41], v[72:73], v[56:57] op_sel:[1,1] op_sel_hi:[0,1]
	s_delay_alu instid0(VALU_DEP_3) | instskip(SKIP_1) | instid1(VALU_DEP_3)
	v_dual_add_f32 v7, v7, v15 :: v_dual_fmac_f32 v115, v101, v52
	s_wait_loadcnt 0x3
	v_dual_add_f32 v9, v9, v11 :: v_dual_mov_b32 v46, v63
	s_delay_alu instid0(VALU_DEP_2) | instskip(NEXT) | instid1(VALU_DEP_2)
	v_dual_fma_f32 v114, v100, v52, -v31 :: v_dual_add_f32 v49, v7, v17
	v_dual_fma_f32 v116, v102, v54, -v33 :: v_dual_add_f32 v48, v9, v13
	v_fmac_f32_e32 v117, v103, v54
	v_pk_fma_f32 v[50:51], v[72:73], v[56:57], v[40:41] op_sel_hi:[1,0,1]
	v_pk_mul_f32 v[42:43], v[106:107], v[42:43] op_sel_hi:[1,0]
	v_pk_fma_f32 v[40:41], v[72:73], v[56:57], v[40:41] neg_lo:[0,0,1] neg_hi:[0,0,1]
	v_pk_add_f32 v[48:49], v[48:49], v[114:115]
	v_pk_mul_f32 v[44:45], v[76:77], v[60:61] op_sel:[1,1] op_sel_hi:[0,1]
	v_mov_b32_e32 v41, v51
	v_pk_fma_f32 v[50:51], v[74:75], v[58:59], v[42:43] op_sel_hi:[1,0,1]
	v_pk_fma_f32 v[42:43], v[74:75], v[58:59], v[42:43] neg_lo:[0,0,1] neg_hi:[0,0,1]
	v_pk_add_f32 v[48:49], v[48:49], v[116:117]
	v_pk_fma_f32 v[54:55], v[76:77], v[60:61], v[44:45] op_sel_hi:[1,0,1]
	v_pk_mul_f32 v[46:47], v[108:109], v[46:47] op_sel_hi:[1,0]
	v_mov_b32_e32 v43, v51
	s_wait_loadcnt 0x2
	v_pk_mul_f32 v[52:53], v[80:81], v[64:65] op_sel:[1,1] op_sel_hi:[0,1]
	v_pk_add_f32 v[40:41], v[48:49], v[40:41]
	v_mov_b32_e32 v48, v67
	v_pk_fma_f32 v[44:45], v[76:77], v[60:61], v[44:45] neg_lo:[0,0,1] neg_hi:[0,0,1]
	v_mov_b32_e32 v45, v55
	v_pk_fma_f32 v[50:51], v[78:79], v[62:63], v[46:47] op_sel_hi:[1,0,1]
	v_pk_add_f32 v[40:41], v[40:41], v[42:43]
	v_pk_fma_f32 v[42:43], v[80:81], v[64:65], v[52:53] op_sel_hi:[1,0,1]
	v_pk_mul_f32 v[48:49], v[110:111], v[48:49] op_sel_hi:[1,0]
	v_pk_fma_f32 v[46:47], v[78:79], v[62:63], v[46:47] neg_lo:[0,0,1] neg_hi:[0,0,1]
	v_mov_b32_e32 v47, v51
	v_pk_add_f32 v[40:41], v[40:41], v[44:45]
	v_pk_fma_f32 v[50:51], v[80:81], v[64:65], v[52:53] neg_lo:[0,0,1] neg_hi:[0,0,1]
	v_mov_b32_e32 v51, v43
	v_pk_fma_f32 v[42:43], v[82:83], v[66:67], v[48:49] op_sel_hi:[1,0,1]
	s_wait_loadcnt 0x1
	v_pk_mul_f32 v[44:45], v[84:85], v[68:69] op_sel:[1,1] op_sel_hi:[0,1]
	v_pk_add_f32 v[40:41], v[40:41], v[46:47]
	v_mov_b32_e32 v42, v71
	v_pk_fma_f32 v[48:49], v[82:83], v[66:67], v[48:49] neg_lo:[0,0,1] neg_hi:[0,0,1]
	v_mov_b32_e32 v49, v43
	v_pk_fma_f32 v[46:47], v[84:85], v[68:69], v[44:45] op_sel_hi:[1,0,1]
	v_pk_add_f32 v[40:41], v[40:41], v[50:51]
	v_pk_mul_f32 v[42:43], v[112:113], v[42:43] op_sel_hi:[1,0]
	v_pk_fma_f32 v[44:45], v[84:85], v[68:69], v[44:45] neg_lo:[0,0,1] neg_hi:[0,0,1]
	s_delay_alu instid0(VALU_DEP_4) | instskip(NEXT) | instid1(VALU_DEP_4)
	v_mov_b32_e32 v45, v47
	v_pk_add_f32 v[40:41], v[40:41], v[48:49]
	s_delay_alu instid0(VALU_DEP_4) | instskip(SKIP_1) | instid1(VALU_DEP_2)
	v_pk_fma_f32 v[46:47], v[86:87], v[70:71], v[42:43] op_sel_hi:[1,0,1]
	v_pk_fma_f32 v[42:43], v[86:87], v[70:71], v[42:43] neg_lo:[0,0,1] neg_hi:[0,0,1]
	v_mov_b32_e32 v43, v47
	s_delay_alu instid0(VALU_DEP_4) | instskip(NEXT) | instid1(VALU_DEP_1)
	v_pk_add_f32 v[40:41], v[40:41], v[44:45]
	v_pk_add_f32 v[40:41], v[40:41], v[42:43]
	s_wait_loadcnt 0x0
	s_delay_alu instid0(VALU_DEP_1)
	v_pk_add_f32 v[40:41], v[104:105], v[40:41] neg_lo:[0,1] neg_hi:[0,1]
	scratch_store_b64 off, v[40:41], off offset:16
	s_wait_xcnt 0x0
	v_cmpx_lt_u32_e32 1, v0
	s_cbranch_execz .LBB82_125
; %bb.124:
	scratch_load_b64 v[40:41], off, off offset:8
	v_mov_b64_e32 v[42:43], 0
	scratch_store_b64 off, v[42:43], off offset:8
	s_wait_loadcnt 0x0
	ds_store_b64 v1, v[40:41]
.LBB82_125:
	s_wait_xcnt 0x0
	s_or_b32 exec_lo, exec_lo, s0
	s_wait_storecnt_dscnt 0x0
	s_barrier_signal -1
	s_barrier_wait -1
	s_clause 0x9
	scratch_load_b128 v[42:45], off, off offset:16
	scratch_load_b128 v[46:49], off, off offset:32
	;; [unrolled: 1-line block ×8, first 2 shown]
	scratch_load_b64 v[106:107], off, off offset:144
	scratch_load_b64 v[108:109], off, off offset:8
	v_dual_mov_b32 v40, 0 :: v_dual_ashrrev_i32 v7, 31, v6
	ds_load_b128 v[74:77], v40 offset:240
	ds_load_b128 v[78:81], v40 offset:256
	;; [unrolled: 1-line block ×8, first 2 shown]
	ds_load_b64 v[110:111], v40 offset:304
	v_dual_ashrrev_i32 v9, 31, v8 :: v_dual_ashrrev_i32 v11, 31, v10
	v_dual_ashrrev_i32 v13, 31, v12 :: v_dual_ashrrev_i32 v15, 31, v14
	s_mov_b32 s0, exec_lo
	s_wait_dscnt 0x8
	v_dual_mov_b32 v112, v77 :: v_dual_mov_b32 v113, v76
	s_wait_dscnt 0x7
	v_dual_mov_b32 v114, v81 :: v_dual_mov_b32 v115, v80
	;; [unrolled: 2-line block ×4, first 2 shown]
	s_wait_loadcnt_dscnt 0x904
	v_dual_mul_f32 v17, v90, v43 :: v_dual_mul_f32 v19, v92, v45
	v_dual_mul_f32 v21, v91, v43 :: v_dual_mul_f32 v23, v93, v45
	s_wait_loadcnt_dscnt 0x803
	v_dual_mul_f32 v25, v94, v47 :: v_dual_mul_f32 v27, v96, v49
	v_dual_mul_f32 v29, v95, v47 :: v_dual_mul_f32 v31, v97, v49
	s_wait_loadcnt 0x5
	v_dual_mul_f32 v45, v74, v59 :: v_dual_fmac_f32 v17, v91, v42
	s_wait_dscnt 0x1
	v_dual_mul_f32 v49, v103, v55 :: v_dual_fma_f32 v21, v90, v42, -v21
	v_dual_mul_f32 v42, v105, v57 :: v_dual_fma_f32 v23, v92, v44, -v23
	s_delay_alu instid0(VALU_DEP_3) | instskip(NEXT) | instid1(VALU_DEP_3)
	v_dual_fmac_f32 v19, v93, v44 :: v_dual_add_f32 v17, 0, v17
	v_dual_add_f32 v21, 0, v21 :: v_dual_mul_f32 v39, v99, v51
	v_dual_mul_f32 v43, v104, v57 :: v_dual_mul_f32 v57, v75, v59
	s_delay_alu instid0(VALU_DEP_3) | instskip(NEXT) | instid1(VALU_DEP_3)
	v_dual_fmac_f32 v25, v95, v46 :: v_dual_add_f32 v17, v17, v19
	v_dual_fma_f32 v29, v94, v46, -v29 :: v_dual_add_f32 v19, v21, v23
	v_dual_mul_f32 v33, v98, v51 :: v_dual_mul_f32 v35, v100, v53
	v_dual_mov_b32 v44, v61 :: v_dual_fma_f32 v21, v96, v48, -v31
	s_delay_alu instid0(VALU_DEP_3) | instskip(NEXT) | instid1(VALU_DEP_3)
	v_dual_fmac_f32 v27, v97, v48 :: v_dual_add_f32 v19, v19, v29
	v_dual_add_f32 v17, v17, v25 :: v_dual_fmac_f32 v33, v99, v50
	v_dual_mul_f32 v37, v102, v55 :: v_dual_mul_f32 v41, v101, v53
	s_delay_alu instid0(VALU_DEP_2) | instskip(SKIP_2) | instid1(VALU_DEP_3)
	v_dual_fma_f32 v23, v98, v50, -v39 :: v_dual_add_f32 v17, v17, v27
	s_wait_loadcnt 0x4
	v_dual_add_f32 v19, v19, v21 :: v_dual_mov_b32 v48, v65
	v_dual_fmac_f32 v35, v101, v52 :: v_dual_fma_f32 v21, v100, v52, -v41
	s_delay_alu instid0(VALU_DEP_2) | instskip(SKIP_2) | instid1(VALU_DEP_3)
	v_dual_add_f32 v17, v17, v33 :: v_dual_add_f32 v19, v19, v23
	v_fmac_f32_e32 v37, v103, v54
	v_dual_fma_f32 v23, v102, v54, -v49 :: v_dual_fmac_f32 v43, v105, v56
	v_dual_fma_f32 v42, v104, v56, -v42 :: v_dual_add_f32 v17, v17, v35
	s_delay_alu instid0(VALU_DEP_4)
	v_add_f32_e32 v19, v19, v21
	v_pk_mul_f32 v[52:53], v[112:113], v[44:45] op_sel_hi:[1,0]
	v_pk_mul_f32 v[46:47], v[78:79], v[62:63] op_sel:[1,1] op_sel_hi:[0,1]
	s_wait_loadcnt 0x3
	v_dual_mov_b32 v56, v69 :: v_dual_fmac_f32 v45, v75, v58
	v_dual_add_f32 v55, v17, v37 :: v_dual_add_f32 v54, v19, v23
	v_fma_f32 v44, v74, v58, -v57
	v_pk_fma_f32 v[58:59], v[76:77], v[60:61], v[52:53] op_sel_hi:[1,0,1]
	v_pk_fma_f32 v[52:53], v[76:77], v[60:61], v[52:53] neg_lo:[0,0,1] neg_hi:[0,0,1]
	v_pk_mul_f32 v[48:49], v[114:115], v[48:49] op_sel_hi:[1,0]
	v_pk_add_f32 v[42:43], v[54:55], v[42:43]
	v_pk_fma_f32 v[54:55], v[78:79], v[62:63], v[46:47] op_sel_hi:[1,0,1]
	v_mov_b32_e32 v53, v59
	v_pk_fma_f32 v[46:47], v[78:79], v[62:63], v[46:47] neg_lo:[0,0,1] neg_hi:[0,0,1]
	v_pk_mul_f32 v[50:51], v[82:83], v[66:67] op_sel:[1,1] op_sel_hi:[0,1]
	v_pk_add_f32 v[42:43], v[42:43], v[44:45]
	v_mov_b32_e32 v47, v55
	v_pk_fma_f32 v[54:55], v[80:81], v[64:65], v[48:49] op_sel_hi:[1,0,1]
	v_pk_fma_f32 v[48:49], v[80:81], v[64:65], v[48:49] neg_lo:[0,0,1] neg_hi:[0,0,1]
	v_pk_mul_f32 v[56:57], v[116:117], v[56:57] op_sel_hi:[1,0]
	v_pk_add_f32 v[42:43], v[42:43], v[52:53]
	v_pk_fma_f32 v[52:53], v[82:83], v[66:67], v[50:51] op_sel_hi:[1,0,1]
	v_mov_b32_e32 v49, v55
	v_pk_fma_f32 v[50:51], v[82:83], v[66:67], v[50:51] neg_lo:[0,0,1] neg_hi:[0,0,1]
	s_wait_loadcnt 0x2
	v_pk_mul_f32 v[44:45], v[86:87], v[70:71] op_sel:[1,1] op_sel_hi:[0,1]
	v_pk_add_f32 v[42:43], v[42:43], v[46:47]
	v_dual_mov_b32 v46, v73 :: v_dual_mov_b32 v51, v53
	v_pk_fma_f32 v[52:53], v[84:85], v[68:69], v[56:57] op_sel_hi:[1,0,1]
	v_pk_fma_f32 v[54:55], v[84:85], v[68:69], v[56:57] neg_lo:[0,0,1] neg_hi:[0,0,1]
	s_delay_alu instid0(VALU_DEP_4) | instskip(SKIP_3) | instid1(VALU_DEP_4)
	v_pk_add_f32 v[42:43], v[42:43], v[48:49]
	v_pk_fma_f32 v[48:49], v[86:87], v[70:71], v[44:45] op_sel_hi:[1,0,1]
	v_pk_mul_f32 v[46:47], v[118:119], v[46:47] op_sel_hi:[1,0]
	v_dual_mov_b32 v55, v53 :: v_dual_ashrrev_i32 v17, 31, v16
	v_pk_add_f32 v[42:43], v[42:43], v[50:51]
	v_pk_fma_f32 v[44:45], v[86:87], v[70:71], v[44:45] neg_lo:[0,0,1] neg_hi:[0,0,1]
	v_dual_mov_b32 v45, v49 :: v_dual_ashrrev_i32 v19, 31, v18
	v_pk_fma_f32 v[48:49], v[88:89], v[72:73], v[46:47] op_sel_hi:[1,0,1]
	s_delay_alu instid0(VALU_DEP_4)
	v_pk_add_f32 v[42:43], v[42:43], v[54:55]
	s_wait_loadcnt_dscnt 0x100
	v_pk_mul_f32 v[50:51], v[110:111], v[106:107] op_sel:[1,1] op_sel_hi:[0,1]
	v_pk_fma_f32 v[46:47], v[88:89], v[72:73], v[46:47] neg_lo:[0,0,1] neg_hi:[0,0,1]
	v_dual_ashrrev_i32 v21, 31, v20 :: v_dual_mov_b32 v47, v49
	v_pk_add_f32 v[42:43], v[42:43], v[44:45]
	s_delay_alu instid0(VALU_DEP_4)
	v_pk_fma_f32 v[44:45], v[110:111], v[106:107], v[50:51] op_sel_hi:[1,0,1]
	v_pk_fma_f32 v[48:49], v[110:111], v[106:107], v[50:51] neg_lo:[0,0,1] neg_hi:[0,0,1]
	v_dual_ashrrev_i32 v23, 31, v22 :: v_dual_ashrrev_i32 v25, 31, v24
	v_ashrrev_i32_e32 v27, 31, v26
	v_pk_add_f32 v[42:43], v[42:43], v[46:47]
	v_dual_mov_b32 v49, v45 :: v_dual_ashrrev_i32 v29, 31, v28
	v_dual_ashrrev_i32 v31, 31, v30 :: v_dual_ashrrev_i32 v33, 31, v32
	v_ashrrev_i32_e32 v35, 31, v34
	s_delay_alu instid0(VALU_DEP_3) | instskip(SKIP_2) | instid1(VALU_DEP_2)
	v_pk_add_f32 v[42:43], v[42:43], v[48:49]
	v_dual_ashrrev_i32 v37, 31, v36 :: v_dual_ashrrev_i32 v39, 31, v38
	s_wait_loadcnt 0x0
	v_pk_add_f32 v[42:43], v[108:109], v[42:43] neg_lo:[0,1] neg_hi:[0,1]
	scratch_store_b64 off, v[42:43], off offset:8
	s_wait_xcnt 0x0
	v_cmpx_ne_u32_e32 0, v0
	s_cbranch_execz .LBB82_127
; %bb.126:
	scratch_load_b64 v[42:43], off, off
	v_mov_b64_e32 v[44:45], 0
	scratch_store_b64 off, v[44:45], off
	s_wait_loadcnt 0x0
	ds_store_b64 v1, v[42:43]
.LBB82_127:
	s_wait_xcnt 0x0
	s_or_b32 exec_lo, exec_lo, s0
	s_wait_storecnt_dscnt 0x0
	s_barrier_signal -1
	s_barrier_wait -1
	s_clause 0x9
	scratch_load_b128 v[42:45], off, off offset:8
	scratch_load_b128 v[46:49], off, off offset:24
	;; [unrolled: 1-line block ×9, first 2 shown]
	scratch_load_b64 v[0:1], off, off
	ds_load_2addr_b64 v[78:81], v40 offset0:31 offset1:32
	ds_load_2addr_b64 v[82:85], v40 offset0:33 offset1:34
	;; [unrolled: 1-line block ×9, first 2 shown]
	s_and_b32 vcc_lo, exec_lo, s12
	s_wait_dscnt 0x8
	v_dual_mov_b32 v40, v81 :: v_dual_mov_b32 v41, v80
	s_wait_dscnt 0x7
	v_dual_mov_b32 v114, v85 :: v_dual_mov_b32 v115, v84
	;; [unrolled: 2-line block ×4, first 2 shown]
	s_wait_loadcnt_dscnt 0x904
	v_dual_mul_f32 v120, v94, v43 :: v_dual_mul_f32 v122, v96, v45
	v_dual_mul_f32 v43, v95, v43 :: v_dual_mul_f32 v45, v97, v45
	s_wait_loadcnt_dscnt 0x601
	v_dual_mul_f32 v128, v106, v55 :: v_dual_mul_f32 v129, v108, v57
	v_mul_f32_e32 v55, v107, v55
	v_dual_fmac_f32 v120, v95, v42 :: v_dual_mul_f32 v57, v109, v57
	v_fma_f32 v42, v94, v42, -v43
	v_dual_mul_f32 v124, v98, v47 :: v_dual_mul_f32 v125, v100, v49
	v_dual_mul_f32 v47, v99, v47 :: v_dual_mul_f32 v49, v101, v49
	v_dual_fmac_f32 v122, v97, v44 :: v_dual_fma_f32 v43, v96, v44, -v45
	s_delay_alu instid0(VALU_DEP_4) | instskip(SKIP_3) | instid1(VALU_DEP_3)
	v_dual_add_f32 v44, 0, v120 :: v_dual_add_f32 v42, 0, v42
	s_wait_loadcnt_dscnt 0x500
	v_mul_f32_e32 v45, v111, v59
	v_dual_fmac_f32 v124, v99, v46 :: v_dual_fma_f32 v46, v98, v46, -v47
	v_dual_add_f32 v44, v44, v122 :: v_dual_add_f32 v42, v42, v43
	v_dual_mul_f32 v126, v102, v51 :: v_dual_mul_f32 v127, v104, v53
	v_dual_mul_f32 v121, v110, v59 :: v_dual_mul_f32 v123, v112, v61
	;; [unrolled: 1-line block ×3, first 2 shown]
	v_mul_f32_e32 v59, v113, v61
	v_dual_fmac_f32 v125, v101, v48 :: v_dual_add_f32 v46, v42, v46
	v_dual_fma_f32 v47, v100, v48, -v49 :: v_dual_fmac_f32 v126, v103, v50
	s_delay_alu instid0(VALU_DEP_4) | instskip(SKIP_1) | instid1(VALU_DEP_2)
	v_dual_add_f32 v44, v44, v124 :: v_dual_fma_f32 v48, v102, v50, -v51
	v_dual_fmac_f32 v127, v105, v52 :: v_dual_fmac_f32 v128, v107, v54
	v_dual_add_f32 v46, v46, v47 :: v_dual_add_f32 v49, v44, v125
	s_wait_loadcnt 0x4
	v_dual_mov_b32 v44, v65 :: v_dual_fma_f32 v50, v104, v52, -v53
	v_pk_mul_f32 v[42:43], v[78:79], v[62:63] op_sel:[1,1] op_sel_hi:[0,1]
	s_delay_alu instid0(VALU_DEP_3) | instskip(SKIP_3) | instid1(VALU_DEP_4)
	v_dual_add_f32 v48, v46, v48 :: v_dual_add_f32 v49, v49, v126
	v_fma_f32 v51, v106, v54, -v55
	v_fmac_f32_e32 v121, v111, v58
	v_dual_fma_f32 v120, v110, v58, -v45 :: v_dual_fmac_f32 v123, v113, v60
	v_dual_add_f32 v49, v49, v127 :: v_dual_add_f32 v50, v48, v50
	s_wait_loadcnt 0x3
	v_mov_b32_e32 v48, v69
	v_fmac_f32_e32 v129, v109, v56
	v_fma_f32 v122, v112, v60, -v59
	v_dual_add_f32 v49, v49, v128 :: v_dual_add_f32 v54, v50, v51
	v_fma_f32 v52, v108, v56, -v57
	v_pk_mul_f32 v[40:41], v[40:41], v[44:45] op_sel_hi:[1,0]
	v_pk_mul_f32 v[46:47], v[82:83], v[66:67] op_sel:[1,1] op_sel_hi:[0,1]
	s_delay_alu instid0(VALU_DEP_4)
	v_add_f32_e32 v53, v49, v129
	v_pk_mul_f32 v[48:49], v[114:115], v[48:49] op_sel_hi:[1,0]
	v_add_f32_e32 v52, v54, v52
	v_pk_fma_f32 v[54:55], v[78:79], v[62:63], v[42:43] op_sel_hi:[1,0,1]
	v_pk_fma_f32 v[42:43], v[78:79], v[62:63], v[42:43] neg_lo:[0,0,1] neg_hi:[0,0,1]
	v_pk_fma_f32 v[56:57], v[82:83], v[66:67], v[46:47] op_sel_hi:[1,0,1]
	v_pk_fma_f32 v[46:47], v[82:83], v[66:67], v[46:47] neg_lo:[0,0,1] neg_hi:[0,0,1]
	s_wait_loadcnt 0x2
	v_pk_mul_f32 v[50:51], v[86:87], v[70:71] op_sel:[1,1] op_sel_hi:[0,1]
	v_mov_b32_e32 v43, v55
	v_pk_add_f32 v[44:45], v[52:53], v[120:121]
	v_mov_b32_e32 v52, v73
	v_pk_fma_f32 v[54:55], v[80:81], v[64:65], v[40:41] op_sel_hi:[1,0,1]
	v_pk_fma_f32 v[40:41], v[80:81], v[64:65], v[40:41] neg_lo:[0,0,1] neg_hi:[0,0,1]
	v_mov_b32_e32 v47, v57
	v_pk_add_f32 v[44:45], v[44:45], v[122:123]
	v_pk_mul_f32 v[52:53], v[116:117], v[52:53] op_sel_hi:[1,0]
	v_mov_b32_e32 v41, v55
	v_pk_fma_f32 v[54:55], v[84:85], v[68:69], v[48:49] op_sel_hi:[1,0,1]
	v_pk_fma_f32 v[48:49], v[84:85], v[68:69], v[48:49] neg_lo:[0,0,1] neg_hi:[0,0,1]
	v_pk_add_f32 v[42:43], v[44:45], v[42:43]
	s_wait_loadcnt 0x1
	v_pk_mul_f32 v[44:45], v[90:91], v[74:75] op_sel:[1,1] op_sel_hi:[0,1]
	v_mov_b32_e32 v49, v55
	s_delay_alu instid0(VALU_DEP_3) | instskip(SKIP_2) | instid1(VALU_DEP_3)
	v_pk_add_f32 v[40:41], v[42:43], v[40:41]
	v_pk_fma_f32 v[42:43], v[86:87], v[70:71], v[50:51] op_sel_hi:[1,0,1]
	v_mov_b32_e32 v42, v77
	v_pk_add_f32 v[40:41], v[40:41], v[46:47]
	v_pk_fma_f32 v[46:47], v[86:87], v[70:71], v[50:51] neg_lo:[0,0,1] neg_hi:[0,0,1]
	v_pk_fma_f32 v[50:51], v[88:89], v[72:73], v[52:53] op_sel_hi:[1,0,1]
	v_mov_b32_e32 v47, v43
	v_pk_fma_f32 v[52:53], v[88:89], v[72:73], v[52:53] neg_lo:[0,0,1] neg_hi:[0,0,1]
	v_pk_add_f32 v[40:41], v[40:41], v[48:49]
	v_pk_fma_f32 v[48:49], v[90:91], v[74:75], v[44:45] op_sel_hi:[1,0,1]
	v_pk_mul_f32 v[42:43], v[118:119], v[42:43] op_sel_hi:[1,0]
	v_mov_b32_e32 v53, v51
	v_pk_fma_f32 v[44:45], v[90:91], v[74:75], v[44:45] neg_lo:[0,0,1] neg_hi:[0,0,1]
	v_pk_add_f32 v[40:41], v[40:41], v[46:47]
	s_delay_alu instid0(VALU_DEP_4) | instskip(SKIP_2) | instid1(VALU_DEP_4)
	v_pk_fma_f32 v[46:47], v[92:93], v[76:77], v[42:43] op_sel_hi:[1,0,1]
	v_mov_b32_e32 v45, v49
	v_pk_fma_f32 v[42:43], v[92:93], v[76:77], v[42:43] neg_lo:[0,0,1] neg_hi:[0,0,1]
	v_pk_add_f32 v[40:41], v[40:41], v[52:53]
	s_delay_alu instid0(VALU_DEP_4) | instskip(NEXT) | instid1(VALU_DEP_2)
	v_mov_b32_e32 v43, v47
	v_pk_add_f32 v[40:41], v[40:41], v[44:45]
	s_delay_alu instid0(VALU_DEP_1) | instskip(SKIP_1) | instid1(VALU_DEP_1)
	v_pk_add_f32 v[40:41], v[40:41], v[42:43]
	s_wait_loadcnt 0x0
	v_pk_add_f32 v[0:1], v[0:1], v[40:41] neg_lo:[0,1] neg_hi:[0,1]
	scratch_store_b64 off, v[0:1], off
	s_cbranch_vccz .LBB82_164
; %bb.128:
	s_wait_xcnt 0x0
	v_mov_b32_e32 v0, 0
	global_load_b32 v1, v0, s[8:9] offset:68
	s_wait_loadcnt 0x0
	v_cmp_ne_u32_e32 vcc_lo, 18, v1
	s_cbranch_vccz .LBB82_130
; %bb.129:
	v_lshlrev_b32_e32 v1, 3, v1
	scratch_load_b64 v[40:41], v1, off offset:-8
	scratch_load_b64 v[42:43], off, off offset:136
	s_wait_loadcnt 0x1
	scratch_store_b64 off, v[40:41], off offset:136
	s_wait_loadcnt 0x0
	scratch_store_b64 v1, v[42:43], off offset:-8
.LBB82_130:
	global_load_b32 v0, v0, s[8:9] offset:64
	s_wait_loadcnt 0x0
	v_cmp_eq_u32_e32 vcc_lo, 17, v0
	s_cbranch_vccnz .LBB82_132
; %bb.131:
	s_wait_xcnt 0x0
	v_lshlrev_b32_e32 v0, 3, v0
	s_delay_alu instid0(VALU_DEP_1)
	v_mov_b32_e32 v42, v0
	scratch_load_b64 v[0:1], v42, off offset:-8
	scratch_load_b64 v[40:41], off, off offset:128
	s_wait_loadcnt 0x1
	scratch_store_b64 off, v[0:1], off offset:128
	s_wait_loadcnt 0x0
	scratch_store_b64 v42, v[40:41], off offset:-8
.LBB82_132:
	s_wait_xcnt 0x0
	v_mov_b32_e32 v0, 0
	global_load_b32 v1, v0, s[8:9] offset:60
	s_wait_loadcnt 0x0
	v_cmp_eq_u32_e32 vcc_lo, 16, v1
	s_cbranch_vccnz .LBB82_134
; %bb.133:
	v_lshlrev_b32_e32 v1, 3, v1
	scratch_load_b64 v[40:41], v1, off offset:-8
	scratch_load_b64 v[42:43], off, off offset:120
	s_wait_loadcnt 0x1
	scratch_store_b64 off, v[40:41], off offset:120
	s_wait_loadcnt 0x0
	scratch_store_b64 v1, v[42:43], off offset:-8
.LBB82_134:
	global_load_b32 v0, v0, s[8:9] offset:56
	s_wait_loadcnt 0x0
	v_cmp_eq_u32_e32 vcc_lo, 15, v0
	s_cbranch_vccnz .LBB82_136
; %bb.135:
	s_wait_xcnt 0x0
	v_lshlrev_b32_e32 v0, 3, v0
	s_delay_alu instid0(VALU_DEP_1)
	v_mov_b32_e32 v42, v0
	scratch_load_b64 v[0:1], v42, off offset:-8
	scratch_load_b64 v[40:41], off, off offset:112
	s_wait_loadcnt 0x1
	scratch_store_b64 off, v[0:1], off offset:112
	s_wait_loadcnt 0x0
	scratch_store_b64 v42, v[40:41], off offset:-8
.LBB82_136:
	s_wait_xcnt 0x0
	v_mov_b32_e32 v0, 0
	global_load_b32 v1, v0, s[8:9] offset:52
	s_wait_loadcnt 0x0
	v_cmp_eq_u32_e32 vcc_lo, 14, v1
	s_cbranch_vccnz .LBB82_138
; %bb.137:
	v_lshlrev_b32_e32 v1, 3, v1
	scratch_load_b64 v[40:41], v1, off offset:-8
	scratch_load_b64 v[42:43], off, off offset:104
	s_wait_loadcnt 0x1
	scratch_store_b64 off, v[40:41], off offset:104
	s_wait_loadcnt 0x0
	scratch_store_b64 v1, v[42:43], off offset:-8
.LBB82_138:
	;; [unrolled: 31-line block ×8, first 2 shown]
	global_load_b32 v40, v0, s[8:9]
	scratch_load_b64 v[0:1], off, off
	s_wait_loadcnt 0x1
	v_cmp_eq_u32_e32 vcc_lo, 1, v40
	s_cbranch_vccnz .LBB82_164
; %bb.163:
	v_lshlrev_b32_e32 v40, 3, v40
	s_delay_alu instid0(VALU_DEP_1)
	v_mov_b32_e32 v42, v40
	scratch_load_b64 v[40:41], v42, off offset:-8
	s_wait_loadcnt 0x0
	scratch_store_b64 off, v[40:41], off
	scratch_store_b64 v42, v[0:1], off offset:-8
	scratch_load_b64 v[0:1], off, off
.LBB82_164:
	s_wait_loadcnt 0x0
	flat_store_b64 v[2:3], v[0:1]
	scratch_load_b64 v[0:1], off, off offset:8
	v_lshl_add_u64 v[54:55], v[6:7], 3, s[2:3]
	v_lshl_add_u64 v[52:53], v[8:9], 3, s[2:3]
	;; [unrolled: 1-line block ×17, first 2 shown]
	s_wait_loadcnt 0x0
	flat_store_b64 v[4:5], v[0:1]
	scratch_load_b64 v[0:1], off, off offset:16
	s_wait_loadcnt 0x0
	flat_store_b64 v[54:55], v[0:1]
	scratch_load_b64 v[0:1], off, off offset:24
	;; [unrolled: 3-line block ×17, first 2 shown]
	s_wait_loadcnt 0x0
	flat_store_b64 v[6:7], v[0:1]
	s_sendmsg sendmsg(MSG_DEALLOC_VGPRS)
	s_endpgm
	.section	.rodata,"a",@progbits
	.p2align	6, 0x0
	.amdhsa_kernel _ZN9rocsolver6v33100L18getri_kernel_smallILi19E19rocblas_complex_numIfEPKPS3_EEvT1_iilPiilS8_bb
		.amdhsa_group_segment_fixed_size 312
		.amdhsa_private_segment_fixed_size 160
		.amdhsa_kernarg_size 60
		.amdhsa_user_sgpr_count 2
		.amdhsa_user_sgpr_dispatch_ptr 0
		.amdhsa_user_sgpr_queue_ptr 0
		.amdhsa_user_sgpr_kernarg_segment_ptr 1
		.amdhsa_user_sgpr_dispatch_id 0
		.amdhsa_user_sgpr_kernarg_preload_length 0
		.amdhsa_user_sgpr_kernarg_preload_offset 0
		.amdhsa_user_sgpr_private_segment_size 0
		.amdhsa_wavefront_size32 1
		.amdhsa_uses_dynamic_stack 0
		.amdhsa_enable_private_segment 1
		.amdhsa_system_sgpr_workgroup_id_x 1
		.amdhsa_system_sgpr_workgroup_id_y 0
		.amdhsa_system_sgpr_workgroup_id_z 0
		.amdhsa_system_sgpr_workgroup_info 0
		.amdhsa_system_vgpr_workitem_id 0
		.amdhsa_next_free_vgpr 130
		.amdhsa_next_free_sgpr 19
		.amdhsa_named_barrier_count 0
		.amdhsa_reserve_vcc 1
		.amdhsa_float_round_mode_32 0
		.amdhsa_float_round_mode_16_64 0
		.amdhsa_float_denorm_mode_32 3
		.amdhsa_float_denorm_mode_16_64 3
		.amdhsa_fp16_overflow 0
		.amdhsa_memory_ordered 1
		.amdhsa_forward_progress 1
		.amdhsa_inst_pref_size 162
		.amdhsa_round_robin_scheduling 0
		.amdhsa_exception_fp_ieee_invalid_op 0
		.amdhsa_exception_fp_denorm_src 0
		.amdhsa_exception_fp_ieee_div_zero 0
		.amdhsa_exception_fp_ieee_overflow 0
		.amdhsa_exception_fp_ieee_underflow 0
		.amdhsa_exception_fp_ieee_inexact 0
		.amdhsa_exception_int_div_zero 0
	.end_amdhsa_kernel
	.section	.text._ZN9rocsolver6v33100L18getri_kernel_smallILi19E19rocblas_complex_numIfEPKPS3_EEvT1_iilPiilS8_bb,"axG",@progbits,_ZN9rocsolver6v33100L18getri_kernel_smallILi19E19rocblas_complex_numIfEPKPS3_EEvT1_iilPiilS8_bb,comdat
.Lfunc_end82:
	.size	_ZN9rocsolver6v33100L18getri_kernel_smallILi19E19rocblas_complex_numIfEPKPS3_EEvT1_iilPiilS8_bb, .Lfunc_end82-_ZN9rocsolver6v33100L18getri_kernel_smallILi19E19rocblas_complex_numIfEPKPS3_EEvT1_iilPiilS8_bb
                                        ; -- End function
	.set _ZN9rocsolver6v33100L18getri_kernel_smallILi19E19rocblas_complex_numIfEPKPS3_EEvT1_iilPiilS8_bb.num_vgpr, 130
	.set _ZN9rocsolver6v33100L18getri_kernel_smallILi19E19rocblas_complex_numIfEPKPS3_EEvT1_iilPiilS8_bb.num_agpr, 0
	.set _ZN9rocsolver6v33100L18getri_kernel_smallILi19E19rocblas_complex_numIfEPKPS3_EEvT1_iilPiilS8_bb.numbered_sgpr, 19
	.set _ZN9rocsolver6v33100L18getri_kernel_smallILi19E19rocblas_complex_numIfEPKPS3_EEvT1_iilPiilS8_bb.num_named_barrier, 0
	.set _ZN9rocsolver6v33100L18getri_kernel_smallILi19E19rocblas_complex_numIfEPKPS3_EEvT1_iilPiilS8_bb.private_seg_size, 160
	.set _ZN9rocsolver6v33100L18getri_kernel_smallILi19E19rocblas_complex_numIfEPKPS3_EEvT1_iilPiilS8_bb.uses_vcc, 1
	.set _ZN9rocsolver6v33100L18getri_kernel_smallILi19E19rocblas_complex_numIfEPKPS3_EEvT1_iilPiilS8_bb.uses_flat_scratch, 1
	.set _ZN9rocsolver6v33100L18getri_kernel_smallILi19E19rocblas_complex_numIfEPKPS3_EEvT1_iilPiilS8_bb.has_dyn_sized_stack, 0
	.set _ZN9rocsolver6v33100L18getri_kernel_smallILi19E19rocblas_complex_numIfEPKPS3_EEvT1_iilPiilS8_bb.has_recursion, 0
	.set _ZN9rocsolver6v33100L18getri_kernel_smallILi19E19rocblas_complex_numIfEPKPS3_EEvT1_iilPiilS8_bb.has_indirect_call, 0
	.section	.AMDGPU.csdata,"",@progbits
; Kernel info:
; codeLenInByte = 20668
; TotalNumSgprs: 21
; NumVgprs: 130
; ScratchSize: 160
; MemoryBound: 0
; FloatMode: 240
; IeeeMode: 1
; LDSByteSize: 312 bytes/workgroup (compile time only)
; SGPRBlocks: 0
; VGPRBlocks: 8
; NumSGPRsForWavesPerEU: 21
; NumVGPRsForWavesPerEU: 130
; NamedBarCnt: 0
; Occupancy: 7
; WaveLimiterHint : 1
; COMPUTE_PGM_RSRC2:SCRATCH_EN: 1
; COMPUTE_PGM_RSRC2:USER_SGPR: 2
; COMPUTE_PGM_RSRC2:TRAP_HANDLER: 0
; COMPUTE_PGM_RSRC2:TGID_X_EN: 1
; COMPUTE_PGM_RSRC2:TGID_Y_EN: 0
; COMPUTE_PGM_RSRC2:TGID_Z_EN: 0
; COMPUTE_PGM_RSRC2:TIDIG_COMP_CNT: 0
	.section	.text._ZN9rocsolver6v33100L18getri_kernel_smallILi20E19rocblas_complex_numIfEPKPS3_EEvT1_iilPiilS8_bb,"axG",@progbits,_ZN9rocsolver6v33100L18getri_kernel_smallILi20E19rocblas_complex_numIfEPKPS3_EEvT1_iilPiilS8_bb,comdat
	.globl	_ZN9rocsolver6v33100L18getri_kernel_smallILi20E19rocblas_complex_numIfEPKPS3_EEvT1_iilPiilS8_bb ; -- Begin function _ZN9rocsolver6v33100L18getri_kernel_smallILi20E19rocblas_complex_numIfEPKPS3_EEvT1_iilPiilS8_bb
	.p2align	8
	.type	_ZN9rocsolver6v33100L18getri_kernel_smallILi20E19rocblas_complex_numIfEPKPS3_EEvT1_iilPiilS8_bb,@function
_ZN9rocsolver6v33100L18getri_kernel_smallILi20E19rocblas_complex_numIfEPKPS3_EEvT1_iilPiilS8_bb: ; @_ZN9rocsolver6v33100L18getri_kernel_smallILi20E19rocblas_complex_numIfEPKPS3_EEvT1_iilPiilS8_bb
; %bb.0:
	s_mov_b32 s2, exec_lo
	v_cmpx_gt_u32_e32 20, v0
	s_cbranch_execz .LBB83_94
; %bb.1:
	s_clause 0x1
	s_load_b32 s13, s[0:1], 0x38
	s_load_b64 s[2:3], s[0:1], 0x0
	s_getreg_b32 s6, hwreg(HW_REG_IB_STS2, 6, 4)
	s_wait_kmcnt 0x0
	s_bitcmp1_b32 s13, 8
	s_cselect_b32 s12, -1, 0
	s_bfe_u32 s4, ttmp6, 0x4000c
	s_and_b32 s5, ttmp6, 15
	s_add_co_i32 s4, s4, 1
	s_delay_alu instid0(SALU_CYCLE_1) | instskip(NEXT) | instid1(SALU_CYCLE_1)
	s_mul_i32 s4, ttmp9, s4
	s_add_co_i32 s5, s5, s4
	s_cmp_eq_u32 s6, 0
	s_cselect_b32 s10, ttmp9, s5
	s_load_b128 s[4:7], s[0:1], 0x28
	s_ashr_i32 s11, s10, 31
	s_delay_alu instid0(SALU_CYCLE_1) | instskip(NEXT) | instid1(SALU_CYCLE_1)
	s_lshl_b64 s[8:9], s[10:11], 3
	s_add_nc_u64 s[2:3], s[2:3], s[8:9]
	s_bfe_u32 s8, s13, 0x10008
	s_load_b64 s[2:3], s[2:3], 0x0
	s_cmp_eq_u32 s8, 0
                                        ; implicit-def: $sgpr8_sgpr9
	s_cbranch_scc1 .LBB83_3
; %bb.2:
	s_load_b96 s[16:18], s[0:1], 0x18
	s_wait_kmcnt 0x0
	s_mul_u64 s[4:5], s[4:5], s[10:11]
	s_delay_alu instid0(SALU_CYCLE_1) | instskip(SKIP_4) | instid1(SALU_CYCLE_1)
	s_lshl_b64 s[4:5], s[4:5], 2
	s_ashr_i32 s9, s18, 31
	s_mov_b32 s8, s18
	s_add_nc_u64 s[4:5], s[16:17], s[4:5]
	s_lshl_b64 s[8:9], s[8:9], 2
	s_add_nc_u64 s[8:9], s[4:5], s[8:9]
.LBB83_3:
	s_wait_kmcnt 0x0
	s_clause 0x1
	s_load_b64 s[4:5], s[0:1], 0x8
	s_load_b32 s13, s[0:1], 0x38
	v_dual_mov_b32 v43, 0 :: v_dual_lshlrev_b32 v42, 3, v0
	s_wait_kmcnt 0x0
	s_ashr_i32 s1, s4, 31
	s_mov_b32 s0, s4
	s_delay_alu instid0(SALU_CYCLE_1) | instskip(NEXT) | instid1(SALU_CYCLE_1)
	s_lshl_b64 s[0:1], s[0:1], 3
	s_add_nc_u64 s[2:3], s[2:3], s[0:1]
	s_ashr_i32 s1, s5, 31
	flat_load_b64 v[6:7], v0, s[2:3] scale_offset
	v_add_nc_u64_e32 v[2:3], s[2:3], v[42:43]
	s_mov_b32 s0, s5
	s_bitcmp0_b32 s13, 0
	s_delay_alu instid0(VALU_DEP_1)
	v_lshl_add_u64 v[4:5], s[0:1], 3, v[2:3]
	s_mov_b32 s1, -1
	s_wait_loadcnt_dscnt 0x0
	scratch_store_b64 off, v[6:7], off
	flat_load_b64 v[8:9], v[4:5]
	s_wait_xcnt 0x1
	v_add3_u32 v6, s5, s5, v0
	s_wait_loadcnt_dscnt 0x0
	scratch_store_b64 off, v[8:9], off offset:8
	flat_load_b64 v[10:11], v6, s[2:3] scale_offset
	s_wait_xcnt 0x1
	v_add_nc_u32_e32 v8, s5, v6
	s_wait_loadcnt_dscnt 0x0
	scratch_store_b64 off, v[10:11], off offset:16
	flat_load_b64 v[12:13], v8, s[2:3] scale_offset
	s_wait_xcnt 0x1
	v_add_nc_u32_e32 v10, s5, v8
	;; [unrolled: 5-line block ×17, first 2 shown]
	s_wait_loadcnt_dscnt 0x0
	scratch_store_b64 off, v[44:45], off offset:144
	flat_load_b64 v[44:45], v40, s[2:3] scale_offset
	s_wait_loadcnt_dscnt 0x0
	scratch_store_b64 off, v[44:45], off offset:152
	s_cbranch_scc1 .LBB83_92
; %bb.4:
	v_cmp_eq_u32_e64 s0, 0, v0
	s_wait_xcnt 0x0
	s_and_saveexec_b32 s1, s0
; %bb.5:
	v_mov_b32_e32 v1, 0
	ds_store_b32 v1, v1 offset:320
; %bb.6:
	s_or_b32 exec_lo, exec_lo, s1
	s_wait_storecnt_dscnt 0x0
	s_barrier_signal -1
	s_barrier_wait -1
	scratch_load_b64 v[44:45], v0, off scale_offset
	s_wait_loadcnt 0x0
	v_cmp_eq_f32_e32 vcc_lo, 0, v44
	v_cmp_eq_f32_e64 s1, 0, v45
	s_and_b32 s1, vcc_lo, s1
	s_delay_alu instid0(SALU_CYCLE_1)
	s_and_saveexec_b32 s4, s1
	s_cbranch_execz .LBB83_10
; %bb.7:
	v_mov_b32_e32 v1, 0
	s_mov_b32 s5, 0
	ds_load_b32 v7, v1 offset:320
	s_wait_dscnt 0x0
	v_readfirstlane_b32 s1, v7
	v_add_nc_u32_e32 v7, 1, v0
	s_cmp_eq_u32 s1, 0
	s_delay_alu instid0(VALU_DEP_1) | instskip(SKIP_1) | instid1(SALU_CYCLE_1)
	v_cmp_gt_i32_e32 vcc_lo, s1, v7
	s_cselect_b32 s13, -1, 0
	s_or_b32 s13, s13, vcc_lo
	s_delay_alu instid0(SALU_CYCLE_1)
	s_and_b32 exec_lo, exec_lo, s13
	s_cbranch_execz .LBB83_10
; %bb.8:
	v_mov_b32_e32 v9, s1
.LBB83_9:                               ; =>This Inner Loop Header: Depth=1
	ds_cmpstore_rtn_b32 v9, v1, v7, v9 offset:320
	s_wait_dscnt 0x0
	v_cmp_ne_u32_e32 vcc_lo, 0, v9
	v_cmp_le_i32_e64 s1, v9, v7
	s_and_b32 s1, vcc_lo, s1
	s_delay_alu instid0(SALU_CYCLE_1) | instskip(NEXT) | instid1(SALU_CYCLE_1)
	s_and_b32 s1, exec_lo, s1
	s_or_b32 s5, s1, s5
	s_delay_alu instid0(SALU_CYCLE_1)
	s_and_not1_b32 exec_lo, exec_lo, s5
	s_cbranch_execnz .LBB83_9
.LBB83_10:
	s_or_b32 exec_lo, exec_lo, s4
	v_mov_b32_e32 v1, 0
	s_barrier_signal -1
	s_barrier_wait -1
	ds_load_b32 v7, v1 offset:320
	s_and_saveexec_b32 s1, s0
	s_cbranch_execz .LBB83_12
; %bb.11:
	s_lshl_b64 s[4:5], s[10:11], 2
	s_delay_alu instid0(SALU_CYCLE_1)
	s_add_nc_u64 s[4:5], s[6:7], s[4:5]
	s_wait_dscnt 0x0
	global_store_b32 v1, v7, s[4:5]
.LBB83_12:
	s_wait_xcnt 0x0
	s_or_b32 exec_lo, exec_lo, s1
	s_wait_dscnt 0x0
	v_cmp_ne_u32_e32 vcc_lo, 0, v7
	s_mov_b32 s1, 0
	s_cbranch_vccnz .LBB83_92
; %bb.13:
	v_lshl_add_u32 v7, v0, 3, 0
                                        ; implicit-def: $vgpr47
                                        ; implicit-def: $vgpr48
	scratch_load_b64 v[44:45], v7, off
	s_wait_loadcnt 0x0
	v_cmp_ngt_f32_e64 s1, |v44|, |v45|
	s_wait_xcnt 0x0
	s_and_saveexec_b32 s4, s1
	s_delay_alu instid0(SALU_CYCLE_1)
	s_xor_b32 s1, exec_lo, s4
	s_cbranch_execz .LBB83_15
; %bb.14:
	v_div_scale_f32 v1, null, v45, v45, v44
	v_div_scale_f32 v13, vcc_lo, v44, v45, v44
	s_delay_alu instid0(VALU_DEP_2) | instskip(SKIP_1) | instid1(TRANS32_DEP_1)
	v_rcp_f32_e32 v9, v1
	v_nop
	v_fma_f32 v11, -v1, v9, 1.0
	s_delay_alu instid0(VALU_DEP_1) | instskip(NEXT) | instid1(VALU_DEP_1)
	v_fmac_f32_e32 v9, v11, v9
	v_mul_f32_e32 v11, v13, v9
	s_delay_alu instid0(VALU_DEP_1) | instskip(NEXT) | instid1(VALU_DEP_1)
	v_fma_f32 v15, -v1, v11, v13
	v_fmac_f32_e32 v11, v15, v9
	s_delay_alu instid0(VALU_DEP_1) | instskip(NEXT) | instid1(VALU_DEP_1)
	v_fma_f32 v1, -v1, v11, v13
	v_div_fmas_f32 v1, v1, v9, v11
	s_delay_alu instid0(VALU_DEP_1) | instskip(NEXT) | instid1(VALU_DEP_1)
	v_div_fixup_f32 v1, v1, v45, v44
	v_fmac_f32_e32 v45, v44, v1
	s_delay_alu instid0(VALU_DEP_1) | instskip(NEXT) | instid1(VALU_DEP_1)
	v_div_scale_f32 v9, null, v45, v45, -1.0
	v_rcp_f32_e32 v11, v9
	v_nop
	s_delay_alu instid0(TRANS32_DEP_1) | instskip(NEXT) | instid1(VALU_DEP_1)
	v_fma_f32 v13, -v9, v11, 1.0
	v_fmac_f32_e32 v11, v13, v11
	v_div_scale_f32 v13, vcc_lo, -1.0, v45, -1.0
	s_delay_alu instid0(VALU_DEP_1) | instskip(NEXT) | instid1(VALU_DEP_1)
	v_mul_f32_e32 v15, v13, v11
	v_fma_f32 v17, -v9, v15, v13
	s_delay_alu instid0(VALU_DEP_1) | instskip(NEXT) | instid1(VALU_DEP_1)
	v_fmac_f32_e32 v15, v17, v11
	v_fma_f32 v9, -v9, v15, v13
	s_delay_alu instid0(VALU_DEP_1) | instskip(NEXT) | instid1(VALU_DEP_1)
	v_div_fmas_f32 v9, v9, v11, v15
	v_div_fixup_f32 v47, v9, v45, -1.0
                                        ; implicit-def: $vgpr44_vgpr45
	s_delay_alu instid0(VALU_DEP_1) | instskip(NEXT) | instid1(VALU_DEP_1)
	v_mul_f32_e32 v48, v1, v47
	v_xor_b32_e32 v46, 0x80000000, v48
.LBB83_15:
	s_and_not1_saveexec_b32 s1, s1
	s_cbranch_execz .LBB83_17
; %bb.16:
	v_div_scale_f32 v1, null, v44, v44, v45
	v_div_scale_f32 v13, vcc_lo, v45, v44, v45
	s_delay_alu instid0(VALU_DEP_2) | instskip(SKIP_1) | instid1(TRANS32_DEP_1)
	v_rcp_f32_e32 v9, v1
	v_nop
	v_fma_f32 v11, -v1, v9, 1.0
	s_delay_alu instid0(VALU_DEP_1) | instskip(NEXT) | instid1(VALU_DEP_1)
	v_fmac_f32_e32 v9, v11, v9
	v_mul_f32_e32 v11, v13, v9
	s_delay_alu instid0(VALU_DEP_1) | instskip(NEXT) | instid1(VALU_DEP_1)
	v_fma_f32 v15, -v1, v11, v13
	v_fmac_f32_e32 v11, v15, v9
	s_delay_alu instid0(VALU_DEP_1) | instskip(NEXT) | instid1(VALU_DEP_1)
	v_fma_f32 v1, -v1, v11, v13
	v_div_fmas_f32 v1, v1, v9, v11
	s_delay_alu instid0(VALU_DEP_1) | instskip(NEXT) | instid1(VALU_DEP_1)
	v_div_fixup_f32 v1, v1, v44, v45
	v_fmac_f32_e32 v44, v45, v1
	s_delay_alu instid0(VALU_DEP_1) | instskip(SKIP_1) | instid1(VALU_DEP_2)
	v_div_scale_f32 v9, null, v44, v44, 1.0
	v_div_scale_f32 v15, vcc_lo, 1.0, v44, 1.0
	v_rcp_f32_e32 v11, v9
	v_nop
	s_delay_alu instid0(TRANS32_DEP_1) | instskip(NEXT) | instid1(VALU_DEP_1)
	v_fma_f32 v13, -v9, v11, 1.0
	v_fmac_f32_e32 v11, v13, v11
	s_delay_alu instid0(VALU_DEP_1) | instskip(NEXT) | instid1(VALU_DEP_1)
	v_mul_f32_e32 v13, v15, v11
	v_fma_f32 v17, -v9, v13, v15
	s_delay_alu instid0(VALU_DEP_1) | instskip(NEXT) | instid1(VALU_DEP_1)
	v_fmac_f32_e32 v13, v17, v11
	v_fma_f32 v9, -v9, v13, v15
	s_delay_alu instid0(VALU_DEP_1) | instskip(NEXT) | instid1(VALU_DEP_1)
	v_div_fmas_f32 v9, v9, v11, v13
	v_div_fixup_f32 v46, v9, v44, 1.0
	s_delay_alu instid0(VALU_DEP_1)
	v_xor_b32_e32 v48, 0x80000000, v46
	v_mul_f32_e64 v47, v1, -v46
.LBB83_17:
	s_or_b32 exec_lo, exec_lo, s1
	scratch_store_b64 v7, v[46:47], off
	scratch_load_b64 v[44:45], off, off offset:8
	v_xor_b32_e32 v49, 0x80000000, v47
	v_add_nc_u32_e32 v1, 0xa0, v42
	s_wait_loadcnt 0x0
	ds_store_2addr_b64 v42, v[48:49], v[44:45] offset1:20
	s_wait_storecnt_dscnt 0x0
	s_barrier_signal -1
	s_barrier_wait -1
	s_wait_xcnt 0x0
	s_and_saveexec_b32 s1, s0
	s_cbranch_execz .LBB83_19
; %bb.18:
	scratch_load_b64 v[44:45], v7, off
	ds_load_b64 v[46:47], v1
	s_wait_loadcnt_dscnt 0x0
	v_pk_mul_f32 v[50:51], v[46:47], v[44:45] op_sel:[1,1] op_sel_hi:[0,1]
	s_delay_alu instid0(VALU_DEP_1) | instskip(SKIP_2) | instid1(VALU_DEP_3)
	v_pk_fma_f32 v[52:53], v[46:47], v[44:45], v[50:51] op_sel_hi:[1,0,1]
	v_mov_b32_e32 v9, 0
	v_pk_fma_f32 v[44:45], v[46:47], v[44:45], v[50:51] neg_lo:[0,0,1] neg_hi:[0,0,1]
	v_mov_b32_e32 v45, v53
	ds_load_b64 v[48:49], v9 offset:8
	v_pk_add_f32 v[44:45], v[44:45], 0 op_sel_hi:[1,0]
	s_wait_dscnt 0x0
	s_delay_alu instid0(VALU_DEP_1) | instskip(NEXT) | instid1(VALU_DEP_1)
	v_pk_mul_f32 v[46:47], v[44:45], v[48:49] op_sel:[1,1] op_sel_hi:[0,1]
	v_pk_fma_f32 v[50:51], v[44:45], v[48:49], v[46:47] op_sel_hi:[1,0,1]
	v_pk_fma_f32 v[44:45], v[44:45], v[48:49], v[46:47] neg_lo:[0,0,1] neg_hi:[0,0,1]
	s_delay_alu instid0(VALU_DEP_2)
	v_mov_b32_e32 v45, v51
	scratch_store_b64 off, v[44:45], off offset:8
.LBB83_19:
	s_wait_xcnt 0x0
	s_or_b32 exec_lo, exec_lo, s1
	s_wait_storecnt 0x0
	s_barrier_signal -1
	s_barrier_wait -1
	scratch_load_b64 v[44:45], off, off offset:16
	s_mov_b32 s1, exec_lo
	s_wait_loadcnt 0x0
	ds_store_b64 v1, v[44:45]
	s_wait_dscnt 0x0
	s_barrier_signal -1
	s_barrier_wait -1
	v_cmpx_gt_u32_e32 2, v0
	s_cbranch_execz .LBB83_23
; %bb.20:
	scratch_load_b64 v[44:45], v7, off
	ds_load_b64 v[46:47], v1
	s_wait_loadcnt_dscnt 0x0
	v_pk_mul_f32 v[48:49], v[46:47], v[44:45] op_sel:[1,1] op_sel_hi:[0,1]
	s_delay_alu instid0(VALU_DEP_1) | instskip(SKIP_1) | instid1(VALU_DEP_2)
	v_pk_fma_f32 v[50:51], v[46:47], v[44:45], v[48:49] op_sel_hi:[1,0,1]
	v_pk_fma_f32 v[44:45], v[46:47], v[44:45], v[48:49] neg_lo:[0,0,1] neg_hi:[0,0,1]
	v_mov_b32_e32 v45, v51
	s_delay_alu instid0(VALU_DEP_1)
	v_pk_add_f32 v[44:45], v[44:45], 0 op_sel_hi:[1,0]
	s_and_saveexec_b32 s4, s0
	s_cbranch_execz .LBB83_22
; %bb.21:
	scratch_load_b64 v[46:47], off, off offset:8
	v_mov_b32_e32 v7, 0
	ds_load_b64 v[48:49], v7 offset:168
	s_wait_loadcnt_dscnt 0x0
	v_pk_mul_f32 v[50:51], v[48:49], v[46:47] op_sel:[1,1] op_sel_hi:[0,1]
	s_delay_alu instid0(VALU_DEP_1) | instskip(SKIP_1) | instid1(VALU_DEP_2)
	v_pk_fma_f32 v[52:53], v[48:49], v[46:47], v[50:51] op_sel_hi:[1,0,1]
	v_pk_fma_f32 v[46:47], v[48:49], v[46:47], v[50:51] neg_lo:[0,0,1] neg_hi:[0,0,1]
	v_mov_b32_e32 v47, v53
	s_delay_alu instid0(VALU_DEP_1)
	v_pk_add_f32 v[44:45], v[44:45], v[46:47]
.LBB83_22:
	s_or_b32 exec_lo, exec_lo, s4
	v_mov_b32_e32 v7, 0
	ds_load_b64 v[46:47], v7 offset:16
	s_wait_dscnt 0x0
	v_pk_mul_f32 v[48:49], v[44:45], v[46:47] op_sel:[1,1] op_sel_hi:[0,1]
	s_delay_alu instid0(VALU_DEP_1) | instskip(SKIP_1) | instid1(VALU_DEP_2)
	v_pk_fma_f32 v[50:51], v[44:45], v[46:47], v[48:49] op_sel_hi:[1,0,1]
	v_pk_fma_f32 v[44:45], v[44:45], v[46:47], v[48:49] neg_lo:[0,0,1] neg_hi:[0,0,1]
	v_mov_b32_e32 v45, v51
	scratch_store_b64 off, v[44:45], off offset:16
.LBB83_23:
	s_wait_xcnt 0x0
	s_or_b32 exec_lo, exec_lo, s1
	s_wait_storecnt 0x0
	s_barrier_signal -1
	s_barrier_wait -1
	scratch_load_b64 v[44:45], off, off offset:24
	v_add_nc_u32_e32 v7, -1, v0
	s_mov_b32 s0, exec_lo
	s_wait_loadcnt 0x0
	ds_store_b64 v1, v[44:45]
	s_wait_dscnt 0x0
	s_barrier_signal -1
	s_barrier_wait -1
	v_cmpx_gt_u32_e32 3, v0
	s_cbranch_execz .LBB83_27
; %bb.24:
	v_dual_mov_b32 v44, 0 :: v_dual_add_nc_u32 v9, -1, v0
	v_add_nc_u32_e32 v11, 0xa0, v42
	v_mov_b32_e32 v13, v42
	s_mov_b32 s1, 0
	s_delay_alu instid0(VALU_DEP_3)
	v_mov_b32_e32 v45, v44
.LBB83_25:                              ; =>This Inner Loop Header: Depth=1
	scratch_load_b64 v[46:47], v13, off
	ds_load_b64 v[48:49], v11
	s_wait_xcnt 0x0
	v_dual_add_nc_u32 v11, 8, v11 :: v_dual_add_nc_u32 v13, 8, v13
	s_wait_loadcnt_dscnt 0x0
	v_pk_mul_f32 v[50:51], v[48:49], v[46:47] op_sel:[1,1] op_sel_hi:[0,1]
	s_delay_alu instid0(VALU_DEP_1) | instskip(SKIP_2) | instid1(VALU_DEP_3)
	v_pk_fma_f32 v[52:53], v[48:49], v[46:47], v[50:51] op_sel_hi:[1,0,1]
	v_add_nc_u32_e32 v9, 1, v9
	v_pk_fma_f32 v[46:47], v[48:49], v[46:47], v[50:51] neg_lo:[0,0,1] neg_hi:[0,0,1]
	v_mov_b32_e32 v47, v53
	s_delay_alu instid0(VALU_DEP_3) | instskip(NEXT) | instid1(VALU_DEP_2)
	v_cmp_lt_u32_e32 vcc_lo, 1, v9
	v_pk_add_f32 v[44:45], v[44:45], v[46:47]
	s_or_b32 s1, vcc_lo, s1
	s_delay_alu instid0(SALU_CYCLE_1)
	s_and_not1_b32 exec_lo, exec_lo, s1
	s_cbranch_execnz .LBB83_25
; %bb.26:
	s_or_b32 exec_lo, exec_lo, s1
	v_mov_b32_e32 v9, 0
	ds_load_b64 v[46:47], v9 offset:24
	s_wait_dscnt 0x0
	v_pk_mul_f32 v[48:49], v[44:45], v[46:47] op_sel:[1,1] op_sel_hi:[0,1]
	s_delay_alu instid0(VALU_DEP_1) | instskip(SKIP_1) | instid1(VALU_DEP_2)
	v_pk_fma_f32 v[50:51], v[44:45], v[46:47], v[48:49] op_sel_hi:[1,0,1]
	v_pk_fma_f32 v[44:45], v[44:45], v[46:47], v[48:49] neg_lo:[0,0,1] neg_hi:[0,0,1]
	v_mov_b32_e32 v45, v51
	scratch_store_b64 off, v[44:45], off offset:24
.LBB83_27:
	s_wait_xcnt 0x0
	s_or_b32 exec_lo, exec_lo, s0
	s_wait_storecnt 0x0
	s_barrier_signal -1
	s_barrier_wait -1
	scratch_load_b64 v[44:45], off, off offset:32
	s_mov_b32 s0, exec_lo
	s_wait_loadcnt 0x0
	ds_store_b64 v1, v[44:45]
	s_wait_dscnt 0x0
	s_barrier_signal -1
	s_barrier_wait -1
	v_cmpx_gt_u32_e32 4, v0
	s_cbranch_execz .LBB83_31
; %bb.28:
	v_dual_mov_b32 v44, 0 :: v_dual_add_nc_u32 v9, -1, v0
	v_add_nc_u32_e32 v11, 0xa0, v42
	v_mov_b32_e32 v13, v42
	s_mov_b32 s1, 0
	s_delay_alu instid0(VALU_DEP_3)
	v_mov_b32_e32 v45, v44
.LBB83_29:                              ; =>This Inner Loop Header: Depth=1
	scratch_load_b64 v[46:47], v13, off
	ds_load_b64 v[48:49], v11
	s_wait_xcnt 0x0
	v_dual_add_nc_u32 v11, 8, v11 :: v_dual_add_nc_u32 v13, 8, v13
	s_wait_loadcnt_dscnt 0x0
	v_pk_mul_f32 v[50:51], v[48:49], v[46:47] op_sel:[1,1] op_sel_hi:[0,1]
	s_delay_alu instid0(VALU_DEP_1) | instskip(SKIP_2) | instid1(VALU_DEP_3)
	v_pk_fma_f32 v[52:53], v[48:49], v[46:47], v[50:51] op_sel_hi:[1,0,1]
	v_add_nc_u32_e32 v9, 1, v9
	v_pk_fma_f32 v[46:47], v[48:49], v[46:47], v[50:51] neg_lo:[0,0,1] neg_hi:[0,0,1]
	v_mov_b32_e32 v47, v53
	s_delay_alu instid0(VALU_DEP_3) | instskip(NEXT) | instid1(VALU_DEP_2)
	v_cmp_lt_u32_e32 vcc_lo, 2, v9
	v_pk_add_f32 v[44:45], v[44:45], v[46:47]
	s_or_b32 s1, vcc_lo, s1
	s_delay_alu instid0(SALU_CYCLE_1)
	s_and_not1_b32 exec_lo, exec_lo, s1
	s_cbranch_execnz .LBB83_29
; %bb.30:
	s_or_b32 exec_lo, exec_lo, s1
	v_mov_b32_e32 v9, 0
	ds_load_b64 v[46:47], v9 offset:32
	s_wait_dscnt 0x0
	v_pk_mul_f32 v[48:49], v[44:45], v[46:47] op_sel:[1,1] op_sel_hi:[0,1]
	s_delay_alu instid0(VALU_DEP_1) | instskip(SKIP_1) | instid1(VALU_DEP_2)
	v_pk_fma_f32 v[50:51], v[44:45], v[46:47], v[48:49] op_sel_hi:[1,0,1]
	v_pk_fma_f32 v[44:45], v[44:45], v[46:47], v[48:49] neg_lo:[0,0,1] neg_hi:[0,0,1]
	v_mov_b32_e32 v45, v51
	scratch_store_b64 off, v[44:45], off offset:32
.LBB83_31:
	s_wait_xcnt 0x0
	s_or_b32 exec_lo, exec_lo, s0
	s_wait_storecnt 0x0
	s_barrier_signal -1
	s_barrier_wait -1
	scratch_load_b64 v[44:45], off, off offset:40
	;; [unrolled: 52-line block ×16, first 2 shown]
	s_mov_b32 s0, exec_lo
	s_wait_loadcnt 0x0
	ds_store_b64 v1, v[44:45]
	s_wait_dscnt 0x0
	s_barrier_signal -1
	s_barrier_wait -1
	v_cmpx_ne_u32_e32 19, v0
	s_cbranch_execz .LBB83_91
; %bb.88:
	v_dual_mov_b32 v44, 0 :: v_dual_mov_b32 v9, v42
	s_mov_b32 s1, 0
	s_delay_alu instid0(VALU_DEP_1)
	v_mov_b32_e32 v45, v44
.LBB83_89:                              ; =>This Inner Loop Header: Depth=1
	scratch_load_b64 v[42:43], v9, off
	ds_load_b64 v[46:47], v1
	v_add_nc_u32_e32 v1, 8, v1
	s_wait_xcnt 0x0
	v_add_nc_u32_e32 v9, 8, v9
	s_wait_loadcnt_dscnt 0x0
	v_pk_mul_f32 v[48:49], v[46:47], v[42:43] op_sel:[1,1] op_sel_hi:[0,1]
	s_delay_alu instid0(VALU_DEP_1) | instskip(SKIP_2) | instid1(VALU_DEP_3)
	v_pk_fma_f32 v[50:51], v[46:47], v[42:43], v[48:49] op_sel_hi:[1,0,1]
	v_add_nc_u32_e32 v7, 1, v7
	v_pk_fma_f32 v[42:43], v[46:47], v[42:43], v[48:49] neg_lo:[0,0,1] neg_hi:[0,0,1]
	v_mov_b32_e32 v43, v51
	s_delay_alu instid0(VALU_DEP_3) | instskip(NEXT) | instid1(VALU_DEP_2)
	v_cmp_lt_u32_e32 vcc_lo, 17, v7
	v_pk_add_f32 v[44:45], v[44:45], v[42:43]
	s_or_b32 s1, vcc_lo, s1
	s_delay_alu instid0(SALU_CYCLE_1)
	s_and_not1_b32 exec_lo, exec_lo, s1
	s_cbranch_execnz .LBB83_89
; %bb.90:
	s_or_b32 exec_lo, exec_lo, s1
	v_mov_b32_e32 v1, 0
	ds_load_b64 v[42:43], v1 offset:152
	s_wait_dscnt 0x0
	v_pk_mul_f32 v[46:47], v[44:45], v[42:43] op_sel:[1,1] op_sel_hi:[0,1]
	s_delay_alu instid0(VALU_DEP_1) | instskip(SKIP_1) | instid1(VALU_DEP_2)
	v_pk_fma_f32 v[48:49], v[44:45], v[42:43], v[46:47] op_sel_hi:[1,0,1]
	v_pk_fma_f32 v[42:43], v[44:45], v[42:43], v[46:47] neg_lo:[0,0,1] neg_hi:[0,0,1]
	v_mov_b32_e32 v43, v49
	scratch_store_b64 off, v[42:43], off offset:152
.LBB83_91:
	s_wait_xcnt 0x0
	s_or_b32 exec_lo, exec_lo, s0
	s_mov_b32 s1, -1
	s_wait_storecnt 0x0
	s_barrier_signal -1
	s_barrier_wait -1
.LBB83_92:
	s_and_b32 vcc_lo, exec_lo, s1
	s_cbranch_vccz .LBB83_94
; %bb.93:
	v_mov_b32_e32 v1, 0
	s_lshl_b64 s[0:1], s[10:11], 2
	s_delay_alu instid0(SALU_CYCLE_1)
	s_add_nc_u64 s[0:1], s[6:7], s[0:1]
	global_load_b32 v1, v1, s[0:1]
	s_wait_loadcnt 0x0
	v_cmp_ne_u32_e32 vcc_lo, 0, v1
	s_cbranch_vccz .LBB83_95
.LBB83_94:
	s_sendmsg sendmsg(MSG_DEALLOC_VGPRS)
	s_endpgm
.LBB83_95:
	s_wait_xcnt 0x0
	v_lshl_add_u32 v1, v0, 3, 0xa0
	s_mov_b32 s0, exec_lo
	v_cmpx_eq_u32_e32 19, v0
	s_cbranch_execz .LBB83_97
; %bb.96:
	scratch_load_b64 v[42:43], off, off offset:144
	v_mov_b64_e32 v[44:45], 0
	scratch_store_b64 off, v[44:45], off offset:144
	s_wait_loadcnt 0x0
	ds_store_b64 v1, v[42:43]
.LBB83_97:
	s_wait_xcnt 0x0
	s_or_b32 exec_lo, exec_lo, s0
	s_wait_storecnt_dscnt 0x0
	s_barrier_signal -1
	s_barrier_wait -1
	s_clause 0x1
	scratch_load_b64 v[42:43], off, off offset:152
	scratch_load_b64 v[44:45], off, off offset:144
	v_mov_b32_e32 v7, 0
	s_mov_b32 s0, exec_lo
	ds_load_b64 v[46:47], v7 offset:312
	s_wait_loadcnt_dscnt 0x100
	v_pk_mul_f32 v[48:49], v[46:47], v[42:43] op_sel:[1,1] op_sel_hi:[0,1]
	s_delay_alu instid0(VALU_DEP_1) | instskip(SKIP_1) | instid1(VALU_DEP_2)
	v_pk_fma_f32 v[50:51], v[46:47], v[42:43], v[48:49] op_sel_hi:[1,0,1]
	v_pk_fma_f32 v[42:43], v[46:47], v[42:43], v[48:49] neg_lo:[0,0,1] neg_hi:[0,0,1]
	v_mov_b32_e32 v43, v51
	s_delay_alu instid0(VALU_DEP_1) | instskip(SKIP_1) | instid1(VALU_DEP_1)
	v_pk_add_f32 v[42:43], v[42:43], 0 op_sel_hi:[1,0]
	s_wait_loadcnt 0x0
	v_pk_add_f32 v[42:43], v[44:45], v[42:43] neg_lo:[0,1] neg_hi:[0,1]
	scratch_store_b64 off, v[42:43], off offset:144
	s_wait_xcnt 0x0
	v_cmpx_lt_u32_e32 17, v0
	s_cbranch_execz .LBB83_99
; %bb.98:
	scratch_load_b64 v[42:43], off, off offset:136
	v_mov_b64_e32 v[44:45], 0
	scratch_store_b64 off, v[44:45], off offset:136
	s_wait_loadcnt 0x0
	ds_store_b64 v1, v[42:43]
.LBB83_99:
	s_wait_xcnt 0x0
	s_or_b32 exec_lo, exec_lo, s0
	s_wait_storecnt_dscnt 0x0
	s_barrier_signal -1
	s_barrier_wait -1
	s_clause 0x1
	scratch_load_b128 v[42:45], off, off offset:144
	scratch_load_b64 v[50:51], off, off offset:136
	ds_load_b128 v[46:49], v7 offset:304
	s_mov_b32 s0, exec_lo
	s_wait_dscnt 0x0
	v_dual_mov_b32 v52, v49 :: v_dual_mov_b32 v53, v48
	s_wait_loadcnt 0x1
	v_pk_mul_f32 v[54:55], v[46:47], v[42:43] op_sel:[1,1] op_sel_hi:[0,1]
	s_delay_alu instid0(VALU_DEP_1) | instskip(SKIP_2) | instid1(VALU_DEP_3)
	v_pk_fma_f32 v[58:59], v[46:47], v[42:43], v[54:55] op_sel_hi:[1,0,1]
	v_mov_b32_e32 v56, v45
	v_pk_fma_f32 v[42:43], v[46:47], v[42:43], v[54:55] neg_lo:[0,0,1] neg_hi:[0,0,1]
	v_mov_b32_e32 v43, v59
	s_delay_alu instid0(VALU_DEP_3) | instskip(NEXT) | instid1(VALU_DEP_2)
	v_pk_mul_f32 v[52:53], v[52:53], v[56:57] op_sel_hi:[1,0]
	v_pk_add_f32 v[42:43], v[42:43], 0 op_sel_hi:[1,0]
	s_delay_alu instid0(VALU_DEP_2) | instskip(SKIP_1) | instid1(VALU_DEP_2)
	v_pk_fma_f32 v[46:47], v[48:49], v[44:45], v[52:53] op_sel_hi:[1,0,1]
	v_pk_fma_f32 v[44:45], v[48:49], v[44:45], v[52:53] neg_lo:[0,0,1] neg_hi:[0,0,1]
	v_mov_b32_e32 v45, v47
	s_delay_alu instid0(VALU_DEP_1) | instskip(SKIP_1) | instid1(VALU_DEP_1)
	v_pk_add_f32 v[42:43], v[42:43], v[44:45]
	s_wait_loadcnt 0x0
	v_pk_add_f32 v[42:43], v[50:51], v[42:43] neg_lo:[0,1] neg_hi:[0,1]
	scratch_store_b64 off, v[42:43], off offset:136
	s_wait_xcnt 0x0
	v_cmpx_lt_u32_e32 16, v0
	s_cbranch_execz .LBB83_101
; %bb.100:
	scratch_load_b64 v[42:43], off, off offset:128
	v_mov_b64_e32 v[44:45], 0
	scratch_store_b64 off, v[44:45], off offset:128
	s_wait_loadcnt 0x0
	ds_store_b64 v1, v[42:43]
.LBB83_101:
	s_wait_xcnt 0x0
	s_or_b32 exec_lo, exec_lo, s0
	s_wait_storecnt_dscnt 0x0
	s_barrier_signal -1
	s_barrier_wait -1
	s_clause 0x2
	scratch_load_b128 v[42:45], off, off offset:136
	scratch_load_b64 v[50:51], off, off offset:152
	scratch_load_b64 v[52:53], off, off offset:128
	v_mov_b32_e32 v7, 0
	ds_load_2addr_b64 v[46:49], v7 offset0:37 offset1:38
	ds_load_b64 v[54:55], v7 offset:312
	s_mov_b32 s0, exec_lo
	s_wait_dscnt 0x1
	v_dual_mov_b32 v56, v49 :: v_dual_mov_b32 v57, v48
	s_wait_loadcnt 0x2
	v_mov_b32_e32 v60, v45
	v_pk_mul_f32 v[58:59], v[46:47], v[42:43] op_sel:[1,1] op_sel_hi:[0,1]
	s_delay_alu instid0(VALU_DEP_2) | instskip(NEXT) | instid1(VALU_DEP_2)
	v_pk_mul_f32 v[56:57], v[56:57], v[60:61] op_sel_hi:[1,0]
	v_pk_fma_f32 v[62:63], v[46:47], v[42:43], v[58:59] op_sel_hi:[1,0,1]
	v_pk_fma_f32 v[42:43], v[46:47], v[42:43], v[58:59] neg_lo:[0,0,1] neg_hi:[0,0,1]
	s_wait_loadcnt_dscnt 0x100
	v_pk_mul_f32 v[58:59], v[54:55], v[50:51] op_sel:[1,1] op_sel_hi:[0,1]
	v_pk_fma_f32 v[46:47], v[48:49], v[44:45], v[56:57] op_sel_hi:[1,0,1]
	v_mov_b32_e32 v43, v63
	v_pk_fma_f32 v[44:45], v[48:49], v[44:45], v[56:57] neg_lo:[0,0,1] neg_hi:[0,0,1]
	s_delay_alu instid0(VALU_DEP_4) | instskip(NEXT) | instid1(VALU_DEP_4)
	v_pk_fma_f32 v[48:49], v[54:55], v[50:51], v[58:59] neg_lo:[0,0,1] neg_hi:[0,0,1]
	v_mov_b32_e32 v45, v47
	s_delay_alu instid0(VALU_DEP_4) | instskip(SKIP_1) | instid1(VALU_DEP_2)
	v_pk_add_f32 v[42:43], v[42:43], 0 op_sel_hi:[1,0]
	v_pk_fma_f32 v[46:47], v[54:55], v[50:51], v[58:59] op_sel_hi:[1,0,1]
	v_pk_add_f32 v[42:43], v[42:43], v[44:45]
	s_delay_alu instid0(VALU_DEP_2) | instskip(NEXT) | instid1(VALU_DEP_1)
	v_mov_b32_e32 v49, v47
	v_pk_add_f32 v[42:43], v[42:43], v[48:49]
	s_wait_loadcnt 0x0
	s_delay_alu instid0(VALU_DEP_1)
	v_pk_add_f32 v[42:43], v[52:53], v[42:43] neg_lo:[0,1] neg_hi:[0,1]
	scratch_store_b64 off, v[42:43], off offset:128
	s_wait_xcnt 0x0
	v_cmpx_lt_u32_e32 15, v0
	s_cbranch_execz .LBB83_103
; %bb.102:
	scratch_load_b64 v[42:43], off, off offset:120
	v_mov_b64_e32 v[44:45], 0
	scratch_store_b64 off, v[44:45], off offset:120
	s_wait_loadcnt 0x0
	ds_store_b64 v1, v[42:43]
.LBB83_103:
	s_wait_xcnt 0x0
	s_or_b32 exec_lo, exec_lo, s0
	s_wait_storecnt_dscnt 0x0
	s_barrier_signal -1
	s_barrier_wait -1
	s_clause 0x2
	scratch_load_b128 v[42:45], off, off offset:128
	scratch_load_b128 v[46:49], off, off offset:144
	scratch_load_b64 v[58:59], off, off offset:120
	ds_load_b128 v[50:53], v7 offset:288
	ds_load_b128 v[54:57], v7 offset:304
	s_mov_b32 s0, exec_lo
	s_wait_dscnt 0x1
	v_dual_mov_b32 v60, v53 :: v_dual_mov_b32 v61, v52
	s_wait_loadcnt_dscnt 0x200
	v_dual_mov_b32 v66, v57 :: v_dual_mov_b32 v64, v45
	v_pk_mul_f32 v[62:63], v[50:51], v[42:43] op_sel:[1,1] op_sel_hi:[0,1]
	s_delay_alu instid0(VALU_DEP_2) | instskip(NEXT) | instid1(VALU_DEP_2)
	v_pk_mul_f32 v[60:61], v[60:61], v[64:65] op_sel_hi:[1,0]
	v_pk_fma_f32 v[68:69], v[50:51], v[42:43], v[62:63] op_sel_hi:[1,0,1]
	v_pk_fma_f32 v[42:43], v[50:51], v[42:43], v[62:63] neg_lo:[0,0,1] neg_hi:[0,0,1]
	v_mov_b32_e32 v67, v56
	s_wait_loadcnt 0x1
	v_pk_mul_f32 v[64:65], v[54:55], v[46:47] op_sel:[1,1] op_sel_hi:[0,1]
	v_pk_fma_f32 v[50:51], v[52:53], v[44:45], v[60:61] op_sel_hi:[1,0,1]
	v_dual_mov_b32 v43, v69 :: v_dual_mov_b32 v50, v49
	v_pk_fma_f32 v[44:45], v[52:53], v[44:45], v[60:61] neg_lo:[0,0,1] neg_hi:[0,0,1]
	s_delay_alu instid0(VALU_DEP_4) | instskip(NEXT) | instid1(VALU_DEP_4)
	v_pk_fma_f32 v[62:63], v[54:55], v[46:47], v[64:65] op_sel_hi:[1,0,1]
	v_mov_b32_e32 v45, v51
	s_delay_alu instid0(VALU_DEP_4) | instskip(SKIP_2) | instid1(VALU_DEP_3)
	v_pk_add_f32 v[42:43], v[42:43], 0 op_sel_hi:[1,0]
	v_pk_mul_f32 v[50:51], v[66:67], v[50:51] op_sel_hi:[1,0]
	v_pk_fma_f32 v[46:47], v[54:55], v[46:47], v[64:65] neg_lo:[0,0,1] neg_hi:[0,0,1]
	v_pk_add_f32 v[42:43], v[42:43], v[44:45]
	s_delay_alu instid0(VALU_DEP_3) | instskip(SKIP_2) | instid1(VALU_DEP_3)
	v_pk_fma_f32 v[44:45], v[56:57], v[48:49], v[50:51] op_sel_hi:[1,0,1]
	v_mov_b32_e32 v47, v63
	v_pk_fma_f32 v[48:49], v[56:57], v[48:49], v[50:51] neg_lo:[0,0,1] neg_hi:[0,0,1]
	v_mov_b32_e32 v49, v45
	s_delay_alu instid0(VALU_DEP_3) | instskip(NEXT) | instid1(VALU_DEP_1)
	v_pk_add_f32 v[42:43], v[42:43], v[46:47]
	v_pk_add_f32 v[42:43], v[42:43], v[48:49]
	s_wait_loadcnt 0x0
	s_delay_alu instid0(VALU_DEP_1)
	v_pk_add_f32 v[42:43], v[58:59], v[42:43] neg_lo:[0,1] neg_hi:[0,1]
	scratch_store_b64 off, v[42:43], off offset:120
	s_wait_xcnt 0x0
	v_cmpx_lt_u32_e32 14, v0
	s_cbranch_execz .LBB83_105
; %bb.104:
	scratch_load_b64 v[42:43], off, off offset:112
	v_mov_b64_e32 v[44:45], 0
	scratch_store_b64 off, v[44:45], off offset:112
	s_wait_loadcnt 0x0
	ds_store_b64 v1, v[42:43]
.LBB83_105:
	s_wait_xcnt 0x0
	s_or_b32 exec_lo, exec_lo, s0
	s_wait_storecnt_dscnt 0x0
	s_barrier_signal -1
	s_barrier_wait -1
	s_clause 0x3
	scratch_load_b128 v[42:45], off, off offset:120
	scratch_load_b128 v[46:49], off, off offset:136
	scratch_load_b64 v[58:59], off, off offset:152
	scratch_load_b64 v[60:61], off, off offset:112
	v_mov_b32_e32 v7, 0
	ds_load_2addr_b64 v[50:53], v7 offset0:35 offset1:36
	ds_load_2addr_b64 v[54:57], v7 offset0:37 offset1:38
	s_mov_b32 s0, exec_lo
	s_wait_dscnt 0x1
	v_dual_mov_b32 v62, v53 :: v_dual_mov_b32 v63, v52
	ds_load_b64 v[68:69], v7 offset:312
	s_wait_dscnt 0x1
	v_dual_mov_b32 v70, v57 :: v_dual_mov_b32 v71, v56
	s_wait_loadcnt 0x3
	v_pk_mul_f32 v[64:65], v[50:51], v[42:43] op_sel:[1,1] op_sel_hi:[0,1]
	v_mov_b32_e32 v66, v45
	s_delay_alu instid0(VALU_DEP_2) | instskip(NEXT) | instid1(VALU_DEP_2)
	v_pk_fma_f32 v[72:73], v[50:51], v[42:43], v[64:65] op_sel_hi:[1,0,1]
	v_pk_mul_f32 v[62:63], v[62:63], v[66:67] op_sel_hi:[1,0]
	v_pk_fma_f32 v[42:43], v[50:51], v[42:43], v[64:65] neg_lo:[0,0,1] neg_hi:[0,0,1]
	s_wait_loadcnt 0x2
	v_pk_mul_f32 v[66:67], v[54:55], v[46:47] op_sel:[1,1] op_sel_hi:[0,1]
	v_dual_mov_b32 v72, v49 :: v_dual_mov_b32 v43, v73
	v_pk_fma_f32 v[50:51], v[52:53], v[44:45], v[62:63] op_sel_hi:[1,0,1]
	v_pk_fma_f32 v[44:45], v[52:53], v[44:45], v[62:63] neg_lo:[0,0,1] neg_hi:[0,0,1]
	s_delay_alu instid0(VALU_DEP_4) | instskip(NEXT) | instid1(VALU_DEP_4)
	v_pk_fma_f32 v[64:65], v[54:55], v[46:47], v[66:67] op_sel_hi:[1,0,1]
	v_pk_mul_f32 v[70:71], v[70:71], v[72:73] op_sel_hi:[1,0]
	v_pk_add_f32 v[42:43], v[42:43], 0 op_sel_hi:[1,0]
	v_mov_b32_e32 v45, v51
	v_pk_fma_f32 v[46:47], v[54:55], v[46:47], v[66:67] neg_lo:[0,0,1] neg_hi:[0,0,1]
	v_mov_b32_e32 v47, v65
	v_pk_fma_f32 v[50:51], v[56:57], v[48:49], v[70:71] op_sel_hi:[1,0,1]
	v_pk_fma_f32 v[48:49], v[56:57], v[48:49], v[70:71] neg_lo:[0,0,1] neg_hi:[0,0,1]
	v_pk_add_f32 v[42:43], v[42:43], v[44:45]
	s_wait_loadcnt_dscnt 0x100
	v_pk_mul_f32 v[44:45], v[68:69], v[58:59] op_sel:[1,1] op_sel_hi:[0,1]
	s_delay_alu instid0(VALU_DEP_2) | instskip(NEXT) | instid1(VALU_DEP_2)
	v_pk_add_f32 v[42:43], v[42:43], v[46:47]
	v_pk_fma_f32 v[46:47], v[68:69], v[58:59], v[44:45] op_sel_hi:[1,0,1]
	v_mov_b32_e32 v49, v51
	v_pk_fma_f32 v[44:45], v[68:69], v[58:59], v[44:45] neg_lo:[0,0,1] neg_hi:[0,0,1]
	s_delay_alu instid0(VALU_DEP_3) | instskip(NEXT) | instid1(VALU_DEP_3)
	v_mov_b32_e32 v45, v47
	v_pk_add_f32 v[42:43], v[42:43], v[48:49]
	s_delay_alu instid0(VALU_DEP_1) | instskip(SKIP_1) | instid1(VALU_DEP_1)
	v_pk_add_f32 v[42:43], v[42:43], v[44:45]
	s_wait_loadcnt 0x0
	v_pk_add_f32 v[42:43], v[60:61], v[42:43] neg_lo:[0,1] neg_hi:[0,1]
	scratch_store_b64 off, v[42:43], off offset:112
	s_wait_xcnt 0x0
	v_cmpx_lt_u32_e32 13, v0
	s_cbranch_execz .LBB83_107
; %bb.106:
	scratch_load_b64 v[42:43], off, off offset:104
	v_mov_b64_e32 v[44:45], 0
	scratch_store_b64 off, v[44:45], off offset:104
	s_wait_loadcnt 0x0
	ds_store_b64 v1, v[42:43]
.LBB83_107:
	s_wait_xcnt 0x0
	s_or_b32 exec_lo, exec_lo, s0
	s_wait_storecnt_dscnt 0x0
	s_barrier_signal -1
	s_barrier_wait -1
	s_clause 0x3
	scratch_load_b128 v[42:45], off, off offset:112
	scratch_load_b128 v[46:49], off, off offset:128
	;; [unrolled: 1-line block ×3, first 2 shown]
	scratch_load_b64 v[66:67], off, off offset:104
	ds_load_b128 v[54:57], v7 offset:272
	ds_load_b128 v[58:61], v7 offset:288
	;; [unrolled: 1-line block ×3, first 2 shown]
	s_mov_b32 s0, exec_lo
	s_wait_dscnt 0x2
	v_dual_mov_b32 v68, v57 :: v_dual_mov_b32 v69, v56
	s_wait_dscnt 0x1
	v_dual_mov_b32 v70, v61 :: v_dual_mov_b32 v71, v60
	;; [unrolled: 2-line block ×3, first 2 shown]
	s_wait_loadcnt 0x3
	v_pk_mul_f32 v[72:73], v[54:55], v[42:43] op_sel:[1,1] op_sel_hi:[0,1]
	v_mov_b32_e32 v74, v45
	s_delay_alu instid0(VALU_DEP_2) | instskip(NEXT) | instid1(VALU_DEP_2)
	v_pk_fma_f32 v[78:79], v[54:55], v[42:43], v[72:73] op_sel_hi:[1,0,1]
	v_pk_mul_f32 v[68:69], v[68:69], v[74:75] op_sel_hi:[1,0]
	v_pk_fma_f32 v[42:43], v[54:55], v[42:43], v[72:73] neg_lo:[0,0,1] neg_hi:[0,0,1]
	s_wait_loadcnt 0x2
	v_pk_mul_f32 v[74:75], v[58:59], v[46:47] op_sel:[1,1] op_sel_hi:[0,1]
	v_mov_b32_e32 v78, v49
	v_pk_fma_f32 v[54:55], v[56:57], v[44:45], v[68:69] op_sel_hi:[1,0,1]
	v_mov_b32_e32 v43, v79
	v_pk_fma_f32 v[44:45], v[56:57], v[44:45], v[68:69] neg_lo:[0,0,1] neg_hi:[0,0,1]
	v_pk_fma_f32 v[72:73], v[58:59], v[46:47], v[74:75] op_sel_hi:[1,0,1]
	v_pk_mul_f32 v[70:71], v[70:71], v[78:79] op_sel_hi:[1,0]
	v_mov_b32_e32 v45, v55
	v_pk_add_f32 v[42:43], v[42:43], 0 op_sel_hi:[1,0]
	v_pk_fma_f32 v[46:47], v[58:59], v[46:47], v[74:75] neg_lo:[0,0,1] neg_hi:[0,0,1]
	s_wait_loadcnt 0x1
	v_pk_mul_f32 v[54:55], v[62:63], v[50:51] op_sel:[1,1] op_sel_hi:[0,1]
	v_mov_b32_e32 v47, v73
	v_pk_fma_f32 v[56:57], v[60:61], v[48:49], v[70:71] op_sel_hi:[1,0,1]
	v_pk_add_f32 v[42:43], v[42:43], v[44:45]
	v_mov_b32_e32 v44, v53
	v_pk_fma_f32 v[48:49], v[60:61], v[48:49], v[70:71] neg_lo:[0,0,1] neg_hi:[0,0,1]
	v_pk_fma_f32 v[58:59], v[62:63], v[50:51], v[54:55] op_sel_hi:[1,0,1]
	v_mov_b32_e32 v49, v57
	v_pk_add_f32 v[42:43], v[42:43], v[46:47]
	v_pk_mul_f32 v[44:45], v[76:77], v[44:45] op_sel_hi:[1,0]
	v_pk_fma_f32 v[46:47], v[62:63], v[50:51], v[54:55] neg_lo:[0,0,1] neg_hi:[0,0,1]
	v_mov_b32_e32 v47, v59
	s_delay_alu instid0(VALU_DEP_4) | instskip(NEXT) | instid1(VALU_DEP_4)
	v_pk_add_f32 v[42:43], v[42:43], v[48:49]
	v_pk_fma_f32 v[48:49], v[64:65], v[52:53], v[44:45] op_sel_hi:[1,0,1]
	v_pk_fma_f32 v[44:45], v[64:65], v[52:53], v[44:45] neg_lo:[0,0,1] neg_hi:[0,0,1]
	s_delay_alu instid0(VALU_DEP_3) | instskip(NEXT) | instid1(VALU_DEP_3)
	v_pk_add_f32 v[42:43], v[42:43], v[46:47]
	v_mov_b32_e32 v45, v49
	s_delay_alu instid0(VALU_DEP_1) | instskip(SKIP_1) | instid1(VALU_DEP_1)
	v_pk_add_f32 v[42:43], v[42:43], v[44:45]
	s_wait_loadcnt 0x0
	v_pk_add_f32 v[42:43], v[66:67], v[42:43] neg_lo:[0,1] neg_hi:[0,1]
	scratch_store_b64 off, v[42:43], off offset:104
	s_wait_xcnt 0x0
	v_cmpx_lt_u32_e32 12, v0
	s_cbranch_execz .LBB83_109
; %bb.108:
	scratch_load_b64 v[42:43], off, off offset:96
	v_mov_b64_e32 v[44:45], 0
	scratch_store_b64 off, v[44:45], off offset:96
	s_wait_loadcnt 0x0
	ds_store_b64 v1, v[42:43]
.LBB83_109:
	s_wait_xcnt 0x0
	s_or_b32 exec_lo, exec_lo, s0
	s_wait_storecnt_dscnt 0x0
	s_barrier_signal -1
	s_barrier_wait -1
	s_clause 0x4
	scratch_load_b128 v[42:45], off, off offset:104
	scratch_load_b128 v[46:49], off, off offset:120
	scratch_load_b128 v[50:53], off, off offset:136
	scratch_load_b64 v[66:67], off, off offset:152
	scratch_load_b64 v[68:69], off, off offset:96
	v_mov_b32_e32 v7, 0
	ds_load_2addr_b64 v[54:57], v7 offset0:33 offset1:34
	ds_load_2addr_b64 v[58:61], v7 offset0:35 offset1:36
	;; [unrolled: 1-line block ×3, first 2 shown]
	ds_load_b64 v[70:71], v7 offset:312
	s_mov_b32 s0, exec_lo
	s_wait_dscnt 0x3
	v_dual_mov_b32 v72, v57 :: v_dual_mov_b32 v73, v56
	s_wait_dscnt 0x2
	v_dual_mov_b32 v74, v61 :: v_dual_mov_b32 v75, v60
	;; [unrolled: 2-line block ×3, first 2 shown]
	s_wait_loadcnt 0x4
	v_pk_mul_f32 v[76:77], v[54:55], v[42:43] op_sel:[1,1] op_sel_hi:[0,1]
	v_mov_b32_e32 v78, v45
	s_wait_loadcnt 0x3
	v_pk_mul_f32 v[82:83], v[58:59], v[46:47] op_sel:[1,1] op_sel_hi:[0,1]
	s_wait_loadcnt 0x2
	v_pk_mul_f32 v[86:87], v[62:63], v[50:51] op_sel:[1,1] op_sel_hi:[0,1]
	v_pk_fma_f32 v[84:85], v[54:55], v[42:43], v[76:77] op_sel_hi:[1,0,1]
	v_pk_mul_f32 v[72:73], v[72:73], v[78:79] op_sel_hi:[1,0]
	v_pk_fma_f32 v[42:43], v[54:55], v[42:43], v[76:77] neg_lo:[0,0,1] neg_hi:[0,0,1]
	v_mov_b32_e32 v78, v49
	v_pk_fma_f32 v[76:77], v[58:59], v[46:47], v[82:83] op_sel_hi:[1,0,1]
	v_mov_b32_e32 v43, v85
	v_pk_fma_f32 v[54:55], v[56:57], v[44:45], v[72:73] op_sel_hi:[1,0,1]
	v_pk_fma_f32 v[44:45], v[56:57], v[44:45], v[72:73] neg_lo:[0,0,1] neg_hi:[0,0,1]
	v_pk_mul_f32 v[74:75], v[74:75], v[78:79] op_sel_hi:[1,0]
	v_pk_fma_f32 v[46:47], v[58:59], v[46:47], v[82:83] neg_lo:[0,0,1] neg_hi:[0,0,1]
	v_pk_add_f32 v[42:43], v[42:43], 0 op_sel_hi:[1,0]
	v_dual_mov_b32 v45, v55 :: v_dual_mov_b32 v54, v53
	s_delay_alu instid0(VALU_DEP_4) | instskip(SKIP_2) | instid1(VALU_DEP_4)
	v_pk_fma_f32 v[56:57], v[60:61], v[48:49], v[74:75] op_sel_hi:[1,0,1]
	v_mov_b32_e32 v47, v77
	v_pk_fma_f32 v[48:49], v[60:61], v[48:49], v[74:75] neg_lo:[0,0,1] neg_hi:[0,0,1]
	v_pk_add_f32 v[42:43], v[42:43], v[44:45]
	v_pk_fma_f32 v[44:45], v[62:63], v[50:51], v[86:87] op_sel_hi:[1,0,1]
	v_pk_mul_f32 v[54:55], v[80:81], v[54:55] op_sel_hi:[1,0]
	v_mov_b32_e32 v49, v57
	s_delay_alu instid0(VALU_DEP_4)
	v_pk_add_f32 v[42:43], v[42:43], v[46:47]
	v_pk_fma_f32 v[46:47], v[62:63], v[50:51], v[86:87] neg_lo:[0,0,1] neg_hi:[0,0,1]
	v_mov_b32_e32 v47, v45
	v_pk_fma_f32 v[44:45], v[64:65], v[52:53], v[54:55] op_sel_hi:[1,0,1]
	v_pk_fma_f32 v[50:51], v[64:65], v[52:53], v[54:55] neg_lo:[0,0,1] neg_hi:[0,0,1]
	v_pk_add_f32 v[42:43], v[42:43], v[48:49]
	s_wait_loadcnt_dscnt 0x100
	v_pk_mul_f32 v[48:49], v[70:71], v[66:67] op_sel:[1,1] op_sel_hi:[0,1]
	v_mov_b32_e32 v51, v45
	s_delay_alu instid0(VALU_DEP_3) | instskip(NEXT) | instid1(VALU_DEP_3)
	v_pk_add_f32 v[42:43], v[42:43], v[46:47]
	v_pk_fma_f32 v[44:45], v[70:71], v[66:67], v[48:49] op_sel_hi:[1,0,1]
	v_pk_fma_f32 v[46:47], v[70:71], v[66:67], v[48:49] neg_lo:[0,0,1] neg_hi:[0,0,1]
	s_delay_alu instid0(VALU_DEP_3) | instskip(NEXT) | instid1(VALU_DEP_3)
	v_pk_add_f32 v[42:43], v[42:43], v[50:51]
	v_mov_b32_e32 v47, v45
	s_delay_alu instid0(VALU_DEP_1) | instskip(SKIP_1) | instid1(VALU_DEP_1)
	v_pk_add_f32 v[42:43], v[42:43], v[46:47]
	s_wait_loadcnt 0x0
	v_pk_add_f32 v[42:43], v[68:69], v[42:43] neg_lo:[0,1] neg_hi:[0,1]
	scratch_store_b64 off, v[42:43], off offset:96
	s_wait_xcnt 0x0
	v_cmpx_lt_u32_e32 11, v0
	s_cbranch_execz .LBB83_111
; %bb.110:
	scratch_load_b64 v[42:43], off, off offset:88
	v_mov_b64_e32 v[44:45], 0
	scratch_store_b64 off, v[44:45], off offset:88
	s_wait_loadcnt 0x0
	ds_store_b64 v1, v[42:43]
.LBB83_111:
	s_wait_xcnt 0x0
	s_or_b32 exec_lo, exec_lo, s0
	s_wait_storecnt_dscnt 0x0
	s_barrier_signal -1
	s_barrier_wait -1
	s_clause 0x4
	scratch_load_b128 v[42:45], off, off offset:96
	scratch_load_b128 v[46:49], off, off offset:112
	;; [unrolled: 1-line block ×4, first 2 shown]
	scratch_load_b64 v[74:75], off, off offset:88
	ds_load_b128 v[58:61], v7 offset:256
	ds_load_b128 v[62:65], v7 offset:272
	;; [unrolled: 1-line block ×4, first 2 shown]
	s_mov_b32 s0, exec_lo
	s_wait_dscnt 0x3
	v_dual_mov_b32 v76, v61 :: v_dual_mov_b32 v77, v60
	s_wait_dscnt 0x2
	v_dual_mov_b32 v78, v65 :: v_dual_mov_b32 v79, v64
	;; [unrolled: 2-line block ×3, first 2 shown]
	v_dual_mov_b32 v81, v68 :: v_dual_mov_b32 v86, v73
	s_wait_loadcnt 0x4
	v_mov_b32_e32 v84, v45
	v_pk_mul_f32 v[82:83], v[58:59], v[42:43] op_sel:[1,1] op_sel_hi:[0,1]
	s_wait_loadcnt 0x3
	v_pk_mul_f32 v[88:89], v[62:63], v[46:47] op_sel:[1,1] op_sel_hi:[0,1]
	s_wait_loadcnt 0x2
	v_pk_mul_f32 v[92:93], v[66:67], v[50:51] op_sel:[1,1] op_sel_hi:[0,1]
	v_pk_mul_f32 v[76:77], v[76:77], v[84:85] op_sel_hi:[1,0]
	v_pk_fma_f32 v[90:91], v[58:59], v[42:43], v[82:83] op_sel_hi:[1,0,1]
	v_pk_fma_f32 v[42:43], v[58:59], v[42:43], v[82:83] neg_lo:[0,0,1] neg_hi:[0,0,1]
	v_mov_b32_e32 v84, v49
	v_pk_fma_f32 v[82:83], v[62:63], v[46:47], v[88:89] op_sel_hi:[1,0,1]
	v_pk_fma_f32 v[58:59], v[60:61], v[44:45], v[76:77] op_sel_hi:[1,0,1]
	v_mov_b32_e32 v43, v91
	v_pk_fma_f32 v[44:45], v[60:61], v[44:45], v[76:77] neg_lo:[0,0,1] neg_hi:[0,0,1]
	v_pk_mul_f32 v[78:79], v[78:79], v[84:85] op_sel_hi:[1,0]
	s_delay_alu instid0(VALU_DEP_4) | instskip(NEXT) | instid1(VALU_DEP_4)
	v_dual_mov_b32 v58, v53 :: v_dual_mov_b32 v45, v59
	v_pk_add_f32 v[42:43], v[42:43], 0 op_sel_hi:[1,0]
	v_pk_fma_f32 v[46:47], v[62:63], v[46:47], v[88:89] neg_lo:[0,0,1] neg_hi:[0,0,1]
	v_mov_b32_e32 v47, v83
	v_pk_fma_f32 v[60:61], v[64:65], v[48:49], v[78:79] op_sel_hi:[1,0,1]
	v_pk_mul_f32 v[58:59], v[80:81], v[58:59] op_sel_hi:[1,0]
	v_pk_add_f32 v[42:43], v[42:43], v[44:45]
	v_pk_fma_f32 v[44:45], v[66:67], v[50:51], v[92:93] op_sel_hi:[1,0,1]
	v_pk_fma_f32 v[48:49], v[64:65], v[48:49], v[78:79] neg_lo:[0,0,1] neg_hi:[0,0,1]
	v_mov_b32_e32 v49, v61
	v_pk_fma_f32 v[50:51], v[66:67], v[50:51], v[92:93] neg_lo:[0,0,1] neg_hi:[0,0,1]
	v_pk_add_f32 v[42:43], v[42:43], v[46:47]
	v_mov_b32_e32 v51, v45
	v_pk_fma_f32 v[44:45], v[68:69], v[52:53], v[58:59] op_sel_hi:[1,0,1]
	s_wait_loadcnt 0x1
	v_pk_mul_f32 v[46:47], v[70:71], v[54:55] op_sel:[1,1] op_sel_hi:[0,1]
	v_mov_b32_e32 v44, v57
	v_pk_add_f32 v[42:43], v[42:43], v[48:49]
	v_pk_fma_f32 v[52:53], v[68:69], v[52:53], v[58:59] neg_lo:[0,0,1] neg_hi:[0,0,1]
	v_mov_b32_e32 v53, v45
	v_pk_fma_f32 v[48:49], v[70:71], v[54:55], v[46:47] op_sel_hi:[1,0,1]
	v_pk_mul_f32 v[44:45], v[86:87], v[44:45] op_sel_hi:[1,0]
	v_pk_add_f32 v[42:43], v[42:43], v[50:51]
	v_pk_fma_f32 v[46:47], v[70:71], v[54:55], v[46:47] neg_lo:[0,0,1] neg_hi:[0,0,1]
	s_delay_alu instid0(VALU_DEP_4) | instskip(NEXT) | instid1(VALU_DEP_4)
	v_mov_b32_e32 v47, v49
	v_pk_fma_f32 v[48:49], v[72:73], v[56:57], v[44:45] op_sel_hi:[1,0,1]
	s_delay_alu instid0(VALU_DEP_4) | instskip(SKIP_1) | instid1(VALU_DEP_3)
	v_pk_add_f32 v[42:43], v[42:43], v[52:53]
	v_pk_fma_f32 v[44:45], v[72:73], v[56:57], v[44:45] neg_lo:[0,0,1] neg_hi:[0,0,1]
	v_mov_b32_e32 v45, v49
	s_delay_alu instid0(VALU_DEP_3) | instskip(NEXT) | instid1(VALU_DEP_1)
	v_pk_add_f32 v[42:43], v[42:43], v[46:47]
	v_pk_add_f32 v[42:43], v[42:43], v[44:45]
	s_wait_loadcnt 0x0
	s_delay_alu instid0(VALU_DEP_1)
	v_pk_add_f32 v[42:43], v[74:75], v[42:43] neg_lo:[0,1] neg_hi:[0,1]
	scratch_store_b64 off, v[42:43], off offset:88
	s_wait_xcnt 0x0
	v_cmpx_lt_u32_e32 10, v0
	s_cbranch_execz .LBB83_113
; %bb.112:
	scratch_load_b64 v[42:43], off, off offset:80
	v_mov_b64_e32 v[44:45], 0
	scratch_store_b64 off, v[44:45], off offset:80
	s_wait_loadcnt 0x0
	ds_store_b64 v1, v[42:43]
.LBB83_113:
	s_wait_xcnt 0x0
	s_or_b32 exec_lo, exec_lo, s0
	s_wait_storecnt_dscnt 0x0
	s_barrier_signal -1
	s_barrier_wait -1
	s_clause 0x5
	scratch_load_b128 v[42:45], off, off offset:88
	scratch_load_b128 v[46:49], off, off offset:104
	;; [unrolled: 1-line block ×4, first 2 shown]
	scratch_load_b64 v[74:75], off, off offset:152
	scratch_load_b64 v[76:77], off, off offset:80
	v_mov_b32_e32 v7, 0
	ds_load_2addr_b64 v[58:61], v7 offset0:31 offset1:32
	ds_load_2addr_b64 v[62:65], v7 offset0:33 offset1:34
	;; [unrolled: 1-line block ×4, first 2 shown]
	ds_load_b64 v[78:79], v7 offset:312
	s_mov_b32 s0, exec_lo
	s_wait_dscnt 0x4
	v_dual_mov_b32 v80, v61 :: v_dual_mov_b32 v81, v60
	s_wait_dscnt 0x1
	v_dual_mov_b32 v82, v65 :: v_dual_mov_b32 v87, v72
	v_dual_mov_b32 v83, v64 :: v_dual_mov_b32 v84, v69
	;; [unrolled: 1-line block ×3, first 2 shown]
	s_wait_loadcnt 0x5
	v_dual_mov_b32 v88, v45 :: v_dual_mul_f32 v89, v58, v43
	v_mul_f32_e32 v9, v59, v43
	s_wait_loadcnt 0x4
	v_pk_mul_f32 v[90:91], v[62:63], v[46:47] op_sel:[1,1] op_sel_hi:[0,1]
	v_mov_b32_e32 v92, v49
	s_wait_loadcnt 0x3
	v_pk_mul_f32 v[94:95], v[66:67], v[50:51] op_sel:[1,1] op_sel_hi:[0,1]
	v_pk_mul_f32 v[80:81], v[80:81], v[88:89] op_sel_hi:[1,0]
	v_fmac_f32_e32 v89, v59, v42
	v_dual_fma_f32 v88, v58, v42, -v9 :: v_dual_mov_b32 v42, v53
	v_pk_fma_f32 v[96:97], v[62:63], v[46:47], v[90:91] op_sel_hi:[1,0,1]
	s_delay_alu instid0(VALU_DEP_4)
	v_pk_fma_f32 v[58:59], v[60:61], v[44:45], v[80:81] op_sel_hi:[1,0,1]
	v_pk_fma_f32 v[44:45], v[60:61], v[44:45], v[80:81] neg_lo:[0,0,1] neg_hi:[0,0,1]
	v_pk_mul_f32 v[82:83], v[82:83], v[92:93] op_sel_hi:[1,0]
	v_pk_add_f32 v[88:89], v[88:89], 0 op_sel_hi:[1,0]
	v_pk_fma_f32 v[46:47], v[62:63], v[46:47], v[90:91] neg_lo:[0,0,1] neg_hi:[0,0,1]
	v_dual_mov_b32 v45, v59 :: v_dual_mov_b32 v47, v97
	s_delay_alu instid0(VALU_DEP_4) | instskip(SKIP_2) | instid1(VALU_DEP_4)
	v_pk_fma_f32 v[60:61], v[64:65], v[48:49], v[82:83] op_sel_hi:[1,0,1]
	v_pk_fma_f32 v[48:49], v[64:65], v[48:49], v[82:83] neg_lo:[0,0,1] neg_hi:[0,0,1]
	v_pk_fma_f32 v[62:63], v[66:67], v[50:51], v[94:95] op_sel_hi:[1,0,1]
	v_pk_add_f32 v[44:45], v[88:89], v[44:45]
	v_pk_mul_f32 v[42:43], v[84:85], v[42:43] op_sel_hi:[1,0]
	v_mov_b32_e32 v49, v61
	v_pk_fma_f32 v[50:51], v[66:67], v[50:51], v[94:95] neg_lo:[0,0,1] neg_hi:[0,0,1]
	s_wait_loadcnt 0x2
	v_pk_mul_f32 v[58:59], v[70:71], v[54:55] op_sel:[1,1] op_sel_hi:[0,1]
	v_pk_add_f32 v[44:45], v[44:45], v[46:47]
	v_mov_b32_e32 v46, v57
	v_pk_fma_f32 v[60:61], v[68:69], v[52:53], v[42:43] op_sel_hi:[1,0,1]
	v_mov_b32_e32 v51, v63
	v_pk_fma_f32 v[42:43], v[68:69], v[52:53], v[42:43] neg_lo:[0,0,1] neg_hi:[0,0,1]
	v_pk_add_f32 v[44:45], v[44:45], v[48:49]
	v_pk_fma_f32 v[48:49], v[70:71], v[54:55], v[58:59] op_sel_hi:[1,0,1]
	v_pk_mul_f32 v[46:47], v[86:87], v[46:47] op_sel_hi:[1,0]
	v_mov_b32_e32 v43, v61
	s_delay_alu instid0(VALU_DEP_4)
	v_pk_add_f32 v[44:45], v[44:45], v[50:51]
	v_pk_fma_f32 v[50:51], v[70:71], v[54:55], v[58:59] neg_lo:[0,0,1] neg_hi:[0,0,1]
	v_mov_b32_e32 v51, v49
	v_pk_fma_f32 v[48:49], v[72:73], v[56:57], v[46:47] op_sel_hi:[1,0,1]
	v_pk_fma_f32 v[46:47], v[72:73], v[56:57], v[46:47] neg_lo:[0,0,1] neg_hi:[0,0,1]
	v_pk_add_f32 v[42:43], v[44:45], v[42:43]
	s_wait_loadcnt_dscnt 0x100
	v_pk_mul_f32 v[44:45], v[78:79], v[74:75] op_sel:[1,1] op_sel_hi:[0,1]
	v_mov_b32_e32 v47, v49
	s_delay_alu instid0(VALU_DEP_3) | instskip(NEXT) | instid1(VALU_DEP_3)
	v_pk_add_f32 v[42:43], v[42:43], v[50:51]
	v_pk_fma_f32 v[48:49], v[78:79], v[74:75], v[44:45] op_sel_hi:[1,0,1]
	v_pk_fma_f32 v[44:45], v[78:79], v[74:75], v[44:45] neg_lo:[0,0,1] neg_hi:[0,0,1]
	s_delay_alu instid0(VALU_DEP_3) | instskip(NEXT) | instid1(VALU_DEP_3)
	v_pk_add_f32 v[42:43], v[42:43], v[46:47]
	v_mov_b32_e32 v45, v49
	s_delay_alu instid0(VALU_DEP_1) | instskip(SKIP_1) | instid1(VALU_DEP_1)
	v_pk_add_f32 v[42:43], v[42:43], v[44:45]
	s_wait_loadcnt 0x0
	v_pk_add_f32 v[42:43], v[76:77], v[42:43] neg_lo:[0,1] neg_hi:[0,1]
	scratch_store_b64 off, v[42:43], off offset:80
	s_wait_xcnt 0x0
	v_cmpx_lt_u32_e32 9, v0
	s_cbranch_execz .LBB83_115
; %bb.114:
	scratch_load_b64 v[42:43], off, off offset:72
	v_mov_b64_e32 v[44:45], 0
	scratch_store_b64 off, v[44:45], off offset:72
	s_wait_loadcnt 0x0
	ds_store_b64 v1, v[42:43]
.LBB83_115:
	s_wait_xcnt 0x0
	s_or_b32 exec_lo, exec_lo, s0
	s_wait_storecnt_dscnt 0x0
	s_barrier_signal -1
	s_barrier_wait -1
	s_clause 0x5
	scratch_load_b128 v[42:45], off, off offset:80
	scratch_load_b128 v[46:49], off, off offset:96
	;; [unrolled: 1-line block ×5, first 2 shown]
	scratch_load_b64 v[82:83], off, off offset:72
	ds_load_b128 v[62:65], v7 offset:256
	ds_load_b128 v[66:69], v7 offset:272
	;; [unrolled: 1-line block ×5, first 2 shown]
	s_mov_b32 s0, exec_lo
	s_wait_dscnt 0x4
	v_dual_mov_b32 v84, v65 :: v_dual_mov_b32 v85, v64
	s_wait_dscnt 0x3
	v_dual_mov_b32 v86, v69 :: v_dual_mov_b32 v87, v68
	;; [unrolled: 2-line block ×4, first 2 shown]
	s_wait_loadcnt_dscnt 0x500
	v_dual_mul_f32 v93, v78, v43 :: v_dual_mul_f32 v95, v80, v45
	v_dual_mul_f32 v7, v79, v43 :: v_dual_mul_f32 v9, v81, v45
	s_wait_loadcnt 0x4
	v_pk_mul_f32 v[96:97], v[62:63], v[46:47] op_sel:[1,1] op_sel_hi:[0,1]
	s_wait_loadcnt 0x3
	v_dual_mov_b32 v98, v49 :: v_dual_mov_b32 v102, v53
	v_dual_fmac_f32 v93, v79, v42 :: v_dual_fma_f32 v92, v78, v42, -v7
	v_dual_fmac_f32 v95, v81, v44 :: v_dual_fma_f32 v94, v80, v44, -v9
	v_pk_fma_f32 v[42:43], v[62:63], v[46:47], v[96:97] op_sel_hi:[1,0,1]
	s_delay_alu instid0(VALU_DEP_4) | instskip(NEXT) | instid1(VALU_DEP_4)
	v_pk_mul_f32 v[44:45], v[84:85], v[98:99] op_sel_hi:[1,0]
	v_pk_add_f32 v[78:79], v[92:93], 0 op_sel_hi:[1,0]
	v_pk_fma_f32 v[46:47], v[62:63], v[46:47], v[96:97] neg_lo:[0,0,1] neg_hi:[0,0,1]
	v_pk_mul_f32 v[100:101], v[66:67], v[50:51] op_sel:[1,1] op_sel_hi:[0,1]
	v_mov_b32_e32 v47, v43
	v_pk_fma_f32 v[42:43], v[64:65], v[48:49], v[44:45] op_sel_hi:[1,0,1]
	v_pk_add_f32 v[62:63], v[78:79], v[94:95]
	v_pk_fma_f32 v[44:45], v[64:65], v[48:49], v[44:45] neg_lo:[0,0,1] neg_hi:[0,0,1]
	v_pk_fma_f32 v[78:79], v[66:67], v[50:51], v[100:101] op_sel_hi:[1,0,1]
	v_pk_mul_f32 v[84:85], v[86:87], v[102:103] op_sel_hi:[1,0]
	v_mov_b32_e32 v45, v43
	v_pk_add_f32 v[42:43], v[62:63], v[46:47]
	s_wait_loadcnt 0x2
	v_pk_mul_f32 v[80:81], v[70:71], v[54:55] op_sel:[1,1] op_sel_hi:[0,1]
	v_mov_b32_e32 v46, v57
	v_pk_fma_f32 v[48:49], v[66:67], v[50:51], v[100:101] neg_lo:[0,0,1] neg_hi:[0,0,1]
	v_mov_b32_e32 v49, v79
	v_pk_fma_f32 v[50:51], v[68:69], v[52:53], v[84:85] op_sel_hi:[1,0,1]
	v_pk_add_f32 v[42:43], v[42:43], v[44:45]
	v_pk_fma_f32 v[44:45], v[70:71], v[54:55], v[80:81] op_sel_hi:[1,0,1]
	v_pk_mul_f32 v[46:47], v[88:89], v[46:47] op_sel_hi:[1,0]
	v_pk_fma_f32 v[52:53], v[68:69], v[52:53], v[84:85] neg_lo:[0,0,1] neg_hi:[0,0,1]
	v_mov_b32_e32 v53, v51
	v_pk_add_f32 v[42:43], v[42:43], v[48:49]
	v_pk_fma_f32 v[50:51], v[70:71], v[54:55], v[80:81] neg_lo:[0,0,1] neg_hi:[0,0,1]
	v_mov_b32_e32 v51, v45
	v_pk_fma_f32 v[44:45], v[72:73], v[56:57], v[46:47] op_sel_hi:[1,0,1]
	s_wait_loadcnt 0x1
	v_pk_mul_f32 v[48:49], v[74:75], v[58:59] op_sel:[1,1] op_sel_hi:[0,1]
	v_pk_add_f32 v[42:43], v[42:43], v[52:53]
	v_mov_b32_e32 v44, v61
	v_pk_fma_f32 v[46:47], v[72:73], v[56:57], v[46:47] neg_lo:[0,0,1] neg_hi:[0,0,1]
	v_mov_b32_e32 v47, v45
	v_pk_fma_f32 v[52:53], v[74:75], v[58:59], v[48:49] op_sel_hi:[1,0,1]
	v_pk_add_f32 v[42:43], v[42:43], v[50:51]
	v_pk_mul_f32 v[44:45], v[90:91], v[44:45] op_sel_hi:[1,0]
	v_pk_fma_f32 v[48:49], v[74:75], v[58:59], v[48:49] neg_lo:[0,0,1] neg_hi:[0,0,1]
	s_delay_alu instid0(VALU_DEP_3) | instskip(NEXT) | instid1(VALU_DEP_3)
	v_pk_add_f32 v[42:43], v[42:43], v[46:47]
	v_pk_fma_f32 v[46:47], v[76:77], v[60:61], v[44:45] op_sel_hi:[1,0,1]
	v_mov_b32_e32 v49, v53
	v_pk_fma_f32 v[44:45], v[76:77], v[60:61], v[44:45] neg_lo:[0,0,1] neg_hi:[0,0,1]
	s_delay_alu instid0(VALU_DEP_3) | instskip(NEXT) | instid1(VALU_DEP_3)
	v_mov_b32_e32 v45, v47
	v_pk_add_f32 v[42:43], v[42:43], v[48:49]
	s_delay_alu instid0(VALU_DEP_1) | instskip(SKIP_1) | instid1(VALU_DEP_1)
	v_pk_add_f32 v[42:43], v[42:43], v[44:45]
	s_wait_loadcnt 0x0
	v_pk_add_f32 v[42:43], v[82:83], v[42:43] neg_lo:[0,1] neg_hi:[0,1]
	scratch_store_b64 off, v[42:43], off offset:72
	s_wait_xcnt 0x0
	v_cmpx_lt_u32_e32 8, v0
	s_cbranch_execz .LBB83_117
; %bb.116:
	scratch_load_b64 v[42:43], off, off offset:64
	v_mov_b64_e32 v[44:45], 0
	scratch_store_b64 off, v[44:45], off offset:64
	s_wait_loadcnt 0x0
	ds_store_b64 v1, v[42:43]
.LBB83_117:
	s_wait_xcnt 0x0
	s_or_b32 exec_lo, exec_lo, s0
	s_wait_storecnt_dscnt 0x0
	s_barrier_signal -1
	s_barrier_wait -1
	s_clause 0x6
	scratch_load_b128 v[42:45], off, off offset:72
	scratch_load_b128 v[46:49], off, off offset:88
	;; [unrolled: 1-line block ×5, first 2 shown]
	scratch_load_b64 v[82:83], off, off offset:152
	scratch_load_b64 v[84:85], off, off offset:64
	v_mov_b32_e32 v7, 0
	ds_load_2addr_b64 v[62:65], v7 offset0:31 offset1:32
	ds_load_2addr_b64 v[66:69], v7 offset0:33 offset1:34
	;; [unrolled: 1-line block ×5, first 2 shown]
	ds_load_b64 v[86:87], v7 offset:312
	s_mov_b32 s0, exec_lo
	s_wait_dscnt 0x5
	v_dual_mov_b32 v88, v65 :: v_dual_mov_b32 v89, v64
	s_wait_dscnt 0x2
	v_dual_mov_b32 v90, v69 :: v_dual_mov_b32 v95, v76
	v_dual_mov_b32 v91, v68 :: v_dual_mov_b32 v92, v73
	;; [unrolled: 1-line block ×3, first 2 shown]
	s_wait_loadcnt_dscnt 0x601
	v_dual_mul_f32 v9, v78, v43 :: v_dual_mul_f32 v11, v79, v43
	v_dual_mul_f32 v13, v81, v45 :: v_dual_mul_f32 v97, v80, v45
	s_wait_loadcnt 0x5
	v_dual_mul_f32 v99, v62, v47 :: v_dual_mul_f32 v15, v63, v47
	s_wait_loadcnt 0x4
	v_dual_mov_b32 v98, v49 :: v_dual_mov_b32 v102, v53
	v_dual_fmac_f32 v9, v79, v42 :: v_dual_fma_f32 v11, v78, v42, -v11
	v_fmac_f32_e32 v97, v81, v44
	v_pk_mul_f32 v[100:101], v[66:67], v[50:51] op_sel:[1,1] op_sel_hi:[0,1]
	s_delay_alu instid0(VALU_DEP_3)
	v_dual_fma_f32 v96, v80, v44, -v13 :: v_dual_add_f32 v45, 0, v9
	v_pk_mul_f32 v[42:43], v[88:89], v[98:99] op_sel_hi:[1,0]
	s_wait_loadcnt 0x3
	v_dual_add_f32 v44, 0, v11 :: v_dual_mov_b32 v78, v57
	v_fmac_f32_e32 v99, v63, v46
	v_fma_f32 v98, v62, v46, -v15
	v_pk_fma_f32 v[46:47], v[64:65], v[48:49], v[42:43] op_sel_hi:[1,0,1]
	s_delay_alu instid0(VALU_DEP_4) | instskip(SKIP_4) | instid1(VALU_DEP_4)
	v_pk_add_f32 v[44:45], v[44:45], v[96:97]
	v_pk_fma_f32 v[62:63], v[66:67], v[50:51], v[100:101] op_sel_hi:[1,0,1]
	v_pk_fma_f32 v[42:43], v[64:65], v[48:49], v[42:43] neg_lo:[0,0,1] neg_hi:[0,0,1]
	v_pk_fma_f32 v[48:49], v[66:67], v[50:51], v[100:101] neg_lo:[0,0,1] neg_hi:[0,0,1]
	v_pk_mul_f32 v[80:81], v[90:91], v[102:103] op_sel_hi:[1,0]
	v_dual_mov_b32 v43, v47 :: v_dual_mov_b32 v49, v63
	v_pk_add_f32 v[44:45], v[44:45], v[98:99]
	v_pk_mul_f32 v[104:105], v[70:71], v[54:55] op_sel:[1,1] op_sel_hi:[0,1]
	s_delay_alu instid0(VALU_DEP_4)
	v_pk_fma_f32 v[50:51], v[68:69], v[52:53], v[80:81] op_sel_hi:[1,0,1]
	v_pk_fma_f32 v[52:53], v[68:69], v[52:53], v[80:81] neg_lo:[0,0,1] neg_hi:[0,0,1]
	v_pk_mul_f32 v[62:63], v[92:93], v[78:79] op_sel_hi:[1,0]
	v_pk_add_f32 v[42:43], v[44:45], v[42:43]
	v_pk_fma_f32 v[44:45], v[70:71], v[54:55], v[104:105] op_sel_hi:[1,0,1]
	s_wait_loadcnt 0x2
	v_dual_mov_b32 v53, v51 :: v_dual_mov_b32 v44, v61
	v_pk_mul_f32 v[46:47], v[74:75], v[58:59] op_sel:[1,1] op_sel_hi:[0,1]
	v_pk_add_f32 v[42:43], v[42:43], v[48:49]
	v_pk_fma_f32 v[48:49], v[70:71], v[54:55], v[104:105] neg_lo:[0,0,1] neg_hi:[0,0,1]
	v_pk_fma_f32 v[50:51], v[72:73], v[56:57], v[62:63] op_sel_hi:[1,0,1]
	v_mov_b32_e32 v49, v45
	v_pk_fma_f32 v[54:55], v[72:73], v[56:57], v[62:63] neg_lo:[0,0,1] neg_hi:[0,0,1]
	v_pk_add_f32 v[42:43], v[42:43], v[52:53]
	v_pk_fma_f32 v[52:53], v[74:75], v[58:59], v[46:47] op_sel_hi:[1,0,1]
	v_pk_mul_f32 v[44:45], v[94:95], v[44:45] op_sel_hi:[1,0]
	v_mov_b32_e32 v55, v51
	v_pk_fma_f32 v[46:47], v[74:75], v[58:59], v[46:47] neg_lo:[0,0,1] neg_hi:[0,0,1]
	v_pk_add_f32 v[42:43], v[42:43], v[48:49]
	s_wait_loadcnt_dscnt 0x100
	v_pk_mul_f32 v[50:51], v[86:87], v[82:83] op_sel:[1,1] op_sel_hi:[0,1]
	v_pk_fma_f32 v[48:49], v[76:77], v[60:61], v[44:45] op_sel_hi:[1,0,1]
	v_mov_b32_e32 v47, v53
	v_pk_fma_f32 v[44:45], v[76:77], v[60:61], v[44:45] neg_lo:[0,0,1] neg_hi:[0,0,1]
	v_pk_add_f32 v[42:43], v[42:43], v[54:55]
	s_delay_alu instid0(VALU_DEP_4) | instskip(SKIP_1) | instid1(VALU_DEP_3)
	v_mov_b32_e32 v45, v49
	v_pk_fma_f32 v[48:49], v[86:87], v[82:83], v[50:51] neg_lo:[0,0,1] neg_hi:[0,0,1]
	v_pk_add_f32 v[42:43], v[42:43], v[46:47]
	v_pk_fma_f32 v[46:47], v[86:87], v[82:83], v[50:51] op_sel_hi:[1,0,1]
	s_delay_alu instid0(VALU_DEP_2) | instskip(NEXT) | instid1(VALU_DEP_2)
	v_pk_add_f32 v[42:43], v[42:43], v[44:45]
	v_mov_b32_e32 v49, v47
	s_delay_alu instid0(VALU_DEP_1) | instskip(SKIP_1) | instid1(VALU_DEP_1)
	v_pk_add_f32 v[42:43], v[42:43], v[48:49]
	s_wait_loadcnt 0x0
	v_pk_add_f32 v[42:43], v[84:85], v[42:43] neg_lo:[0,1] neg_hi:[0,1]
	scratch_store_b64 off, v[42:43], off offset:64
	s_wait_xcnt 0x0
	v_cmpx_lt_u32_e32 7, v0
	s_cbranch_execz .LBB83_119
; %bb.118:
	scratch_load_b64 v[42:43], off, off offset:56
	v_mov_b64_e32 v[44:45], 0
	scratch_store_b64 off, v[44:45], off offset:56
	s_wait_loadcnt 0x0
	ds_store_b64 v1, v[42:43]
.LBB83_119:
	s_wait_xcnt 0x0
	s_or_b32 exec_lo, exec_lo, s0
	s_wait_storecnt_dscnt 0x0
	s_barrier_signal -1
	s_barrier_wait -1
	s_clause 0x6
	scratch_load_b128 v[42:45], off, off offset:64
	scratch_load_b128 v[46:49], off, off offset:80
	;; [unrolled: 1-line block ×6, first 2 shown]
	scratch_load_b64 v[90:91], off, off offset:56
	ds_load_b128 v[66:69], v7 offset:256
	ds_load_b128 v[70:73], v7 offset:272
	;; [unrolled: 1-line block ×6, first 2 shown]
	s_mov_b32 s0, exec_lo
	s_wait_dscnt 0x5
	v_dual_mov_b32 v92, v69 :: v_dual_mov_b32 v93, v68
	s_wait_dscnt 0x4
	v_dual_mov_b32 v94, v73 :: v_dual_mov_b32 v95, v72
	;; [unrolled: 2-line block ×4, first 2 shown]
	s_wait_loadcnt_dscnt 0x601
	v_dual_mul_f32 v7, v82, v43 :: v_dual_mul_f32 v9, v84, v45
	v_dual_mul_f32 v11, v83, v43 :: v_dual_mul_f32 v13, v85, v45
	s_wait_loadcnt 0x4
	s_delay_alu instid0(VALU_DEP_2)
	v_dual_mov_b32 v106, v53 :: v_dual_fmac_f32 v7, v83, v42
	s_wait_dscnt 0x0
	v_dual_mul_f32 v101, v86, v47 :: v_dual_mul_f32 v103, v88, v49
	v_dual_fma_f32 v11, v82, v42, -v11 :: v_dual_fmac_f32 v9, v85, v44
	v_dual_mul_f32 v15, v87, v47 :: v_dual_mul_f32 v17, v89, v49
	v_dual_fma_f32 v13, v84, v44, -v13 :: v_dual_add_f32 v7, 0, v7
	s_wait_loadcnt 0x3
	s_delay_alu instid0(VALU_DEP_3) | instskip(SKIP_3) | instid1(VALU_DEP_4)
	v_dual_add_f32 v11, 0, v11 :: v_dual_mov_b32 v44, v57
	v_pk_mul_f32 v[104:105], v[66:67], v[50:51] op_sel:[1,1] op_sel_hi:[0,1]
	v_dual_fmac_f32 v101, v87, v46 :: v_dual_fma_f32 v100, v86, v46, -v15
	v_dual_add_f32 v47, v7, v9 :: v_dual_fmac_f32 v103, v89, v48
	v_dual_add_f32 v46, v11, v13 :: v_dual_fma_f32 v102, v88, v48, -v17
	s_delay_alu instid0(VALU_DEP_4) | instskip(SKIP_2) | instid1(VALU_DEP_4)
	v_pk_fma_f32 v[48:49], v[66:67], v[50:51], v[104:105] op_sel_hi:[1,0,1]
	v_pk_mul_f32 v[82:83], v[92:93], v[106:107] op_sel_hi:[1,0]
	v_pk_fma_f32 v[50:51], v[66:67], v[50:51], v[104:105] neg_lo:[0,0,1] neg_hi:[0,0,1]
	v_pk_add_f32 v[46:47], v[46:47], v[100:101]
	v_pk_mul_f32 v[42:43], v[70:71], v[54:55] op_sel:[1,1] op_sel_hi:[0,1]
	v_mov_b32_e32 v51, v49
	v_pk_fma_f32 v[48:49], v[68:69], v[52:53], v[82:83] op_sel_hi:[1,0,1]
	v_pk_fma_f32 v[52:53], v[68:69], v[52:53], v[82:83] neg_lo:[0,0,1] neg_hi:[0,0,1]
	v_pk_add_f32 v[46:47], v[46:47], v[102:103]
	v_pk_fma_f32 v[66:67], v[70:71], v[54:55], v[42:43] op_sel_hi:[1,0,1]
	v_pk_mul_f32 v[44:45], v[94:95], v[44:45] op_sel_hi:[1,0]
	v_mov_b32_e32 v53, v49
	v_pk_fma_f32 v[42:43], v[70:71], v[54:55], v[42:43] neg_lo:[0,0,1] neg_hi:[0,0,1]
	v_pk_add_f32 v[46:47], v[46:47], v[50:51]
	s_wait_loadcnt 0x2
	v_pk_mul_f32 v[84:85], v[74:75], v[58:59] op_sel:[1,1] op_sel_hi:[0,1]
	v_dual_mov_b32 v48, v61 :: v_dual_mov_b32 v43, v67
	v_pk_fma_f32 v[50:51], v[72:73], v[56:57], v[44:45] op_sel_hi:[1,0,1]
	v_pk_add_f32 v[46:47], v[46:47], v[52:53]
	v_pk_fma_f32 v[44:45], v[72:73], v[56:57], v[44:45] neg_lo:[0,0,1] neg_hi:[0,0,1]
	v_pk_fma_f32 v[52:53], v[74:75], v[58:59], v[84:85] op_sel_hi:[1,0,1]
	v_pk_mul_f32 v[48:49], v[96:97], v[48:49] op_sel_hi:[1,0]
	v_mov_b32_e32 v45, v51
	v_pk_add_f32 v[42:43], v[46:47], v[42:43]
	v_pk_fma_f32 v[50:51], v[74:75], v[58:59], v[84:85] neg_lo:[0,0,1] neg_hi:[0,0,1]
	s_wait_loadcnt 0x1
	v_pk_mul_f32 v[46:47], v[78:79], v[62:63] op_sel:[1,1] op_sel_hi:[0,1]
	v_mov_b32_e32 v51, v53
	v_pk_fma_f32 v[52:53], v[76:77], v[60:61], v[48:49] op_sel_hi:[1,0,1]
	v_pk_add_f32 v[42:43], v[42:43], v[44:45]
	v_mov_b32_e32 v44, v65
	v_pk_fma_f32 v[48:49], v[76:77], v[60:61], v[48:49] neg_lo:[0,0,1] neg_hi:[0,0,1]
	v_pk_fma_f32 v[54:55], v[78:79], v[62:63], v[46:47] op_sel_hi:[1,0,1]
	v_mov_b32_e32 v49, v53
	v_pk_add_f32 v[42:43], v[42:43], v[50:51]
	v_pk_mul_f32 v[44:45], v[98:99], v[44:45] op_sel_hi:[1,0]
	v_pk_fma_f32 v[46:47], v[78:79], v[62:63], v[46:47] neg_lo:[0,0,1] neg_hi:[0,0,1]
	s_delay_alu instid0(VALU_DEP_3) | instskip(NEXT) | instid1(VALU_DEP_3)
	v_pk_add_f32 v[42:43], v[42:43], v[48:49]
	v_pk_fma_f32 v[48:49], v[80:81], v[64:65], v[44:45] op_sel_hi:[1,0,1]
	v_mov_b32_e32 v47, v55
	v_pk_fma_f32 v[44:45], v[80:81], v[64:65], v[44:45] neg_lo:[0,0,1] neg_hi:[0,0,1]
	s_delay_alu instid0(VALU_DEP_3) | instskip(NEXT) | instid1(VALU_DEP_3)
	v_mov_b32_e32 v45, v49
	v_pk_add_f32 v[42:43], v[42:43], v[46:47]
	s_delay_alu instid0(VALU_DEP_1) | instskip(SKIP_1) | instid1(VALU_DEP_1)
	v_pk_add_f32 v[42:43], v[42:43], v[44:45]
	s_wait_loadcnt 0x0
	v_pk_add_f32 v[42:43], v[90:91], v[42:43] neg_lo:[0,1] neg_hi:[0,1]
	scratch_store_b64 off, v[42:43], off offset:56
	s_wait_xcnt 0x0
	v_cmpx_lt_u32_e32 6, v0
	s_cbranch_execz .LBB83_121
; %bb.120:
	scratch_load_b64 v[42:43], off, off offset:48
	v_mov_b64_e32 v[44:45], 0
	scratch_store_b64 off, v[44:45], off offset:48
	s_wait_loadcnt 0x0
	ds_store_b64 v1, v[42:43]
.LBB83_121:
	s_wait_xcnt 0x0
	s_or_b32 exec_lo, exec_lo, s0
	s_wait_storecnt_dscnt 0x0
	s_barrier_signal -1
	s_barrier_wait -1
	s_clause 0x7
	scratch_load_b128 v[42:45], off, off offset:56
	scratch_load_b128 v[46:49], off, off offset:72
	scratch_load_b128 v[50:53], off, off offset:88
	scratch_load_b128 v[54:57], off, off offset:104
	scratch_load_b128 v[58:61], off, off offset:120
	scratch_load_b128 v[62:65], off, off offset:136
	scratch_load_b64 v[90:91], off, off offset:152
	scratch_load_b64 v[92:93], off, off offset:48
	v_mov_b32_e32 v7, 0
	ds_load_2addr_b64 v[66:69], v7 offset0:31 offset1:32
	ds_load_2addr_b64 v[70:73], v7 offset0:33 offset1:34
	;; [unrolled: 1-line block ×6, first 2 shown]
	ds_load_b64 v[94:95], v7 offset:312
	s_mov_b32 s0, exec_lo
	s_wait_dscnt 0x6
	v_dual_mov_b32 v96, v69 :: v_dual_mov_b32 v97, v68
	s_wait_dscnt 0x3
	v_dual_mov_b32 v98, v73 :: v_dual_mov_b32 v103, v80
	v_dual_mov_b32 v99, v72 :: v_dual_mov_b32 v100, v77
	v_dual_mov_b32 v101, v76 :: v_dual_mov_b32 v102, v81
	s_wait_loadcnt_dscnt 0x702
	v_dual_mul_f32 v9, v82, v43 :: v_dual_mul_f32 v15, v83, v43
	v_dual_mul_f32 v17, v85, v45 :: v_dual_mul_f32 v11, v84, v45
	s_wait_loadcnt_dscnt 0x601
	s_delay_alu instid0(VALU_DEP_2) | instskip(NEXT) | instid1(VALU_DEP_3)
	v_dual_mul_f32 v13, v86, v47 :: v_dual_fmac_f32 v9, v83, v42
	v_dual_fma_f32 v15, v82, v42, -v15 :: v_dual_mul_f32 v19, v87, v47
	v_mul_f32_e32 v21, v89, v49
	s_wait_loadcnt 0x4
	v_dual_mov_b32 v42, v57 :: v_dual_fma_f32 v17, v84, v44, -v17
	v_dual_fmac_f32 v11, v85, v44 :: v_dual_add_f32 v9, 0, v9
	v_dual_add_f32 v15, 0, v15 :: v_dual_fmac_f32 v13, v87, v46
	v_dual_mul_f32 v105, v88, v49 :: v_dual_mul_f32 v107, v66, v51
	v_dual_mul_f32 v23, v67, v51 :: v_dual_mov_b32 v106, v53
	s_delay_alu instid0(VALU_DEP_4) | instskip(NEXT) | instid1(VALU_DEP_3)
	v_dual_fma_f32 v19, v86, v46, -v19 :: v_dual_add_f32 v9, v9, v11
	v_dual_add_f32 v11, v15, v17 :: v_dual_fmac_f32 v105, v89, v48
	v_pk_mul_f32 v[108:109], v[70:71], v[54:55] op_sel:[1,1] op_sel_hi:[0,1]
	s_delay_alu instid0(VALU_DEP_3)
	v_dual_fma_f32 v104, v88, v48, -v21 :: v_dual_add_f32 v49, v9, v13
	v_pk_mul_f32 v[46:47], v[96:97], v[106:107] op_sel_hi:[1,0]
	s_wait_loadcnt 0x3
	v_dual_add_f32 v48, v11, v19 :: v_dual_mov_b32 v82, v61
	v_fmac_f32_e32 v107, v67, v50
	v_fma_f32 v106, v66, v50, -v23
	v_pk_fma_f32 v[50:51], v[68:69], v[52:53], v[46:47] op_sel_hi:[1,0,1]
	s_delay_alu instid0(VALU_DEP_4) | instskip(SKIP_4) | instid1(VALU_DEP_4)
	v_pk_add_f32 v[48:49], v[48:49], v[104:105]
	v_pk_fma_f32 v[66:67], v[70:71], v[54:55], v[108:109] op_sel_hi:[1,0,1]
	v_pk_fma_f32 v[46:47], v[68:69], v[52:53], v[46:47] neg_lo:[0,0,1] neg_hi:[0,0,1]
	v_pk_fma_f32 v[52:53], v[70:71], v[54:55], v[108:109] neg_lo:[0,0,1] neg_hi:[0,0,1]
	v_pk_mul_f32 v[42:43], v[98:99], v[42:43] op_sel_hi:[1,0]
	v_dual_mov_b32 v47, v51 :: v_dual_mov_b32 v53, v67
	v_pk_add_f32 v[48:49], v[48:49], v[106:107]
	v_pk_mul_f32 v[44:45], v[74:75], v[58:59] op_sel:[1,1] op_sel_hi:[0,1]
	s_delay_alu instid0(VALU_DEP_4)
	v_pk_fma_f32 v[54:55], v[72:73], v[56:57], v[42:43] op_sel_hi:[1,0,1]
	v_pk_fma_f32 v[42:43], v[72:73], v[56:57], v[42:43] neg_lo:[0,0,1] neg_hi:[0,0,1]
	v_pk_mul_f32 v[66:67], v[100:101], v[82:83] op_sel_hi:[1,0]
	v_pk_add_f32 v[46:47], v[48:49], v[46:47]
	v_pk_fma_f32 v[48:49], v[74:75], v[58:59], v[44:45] op_sel_hi:[1,0,1]
	s_wait_loadcnt 0x2
	v_dual_mov_b32 v43, v55 :: v_dual_mov_b32 v48, v65
	v_pk_fma_f32 v[44:45], v[74:75], v[58:59], v[44:45] neg_lo:[0,0,1] neg_hi:[0,0,1]
	v_pk_add_f32 v[46:47], v[46:47], v[52:53]
	v_pk_mul_f32 v[50:51], v[78:79], v[62:63] op_sel:[1,1] op_sel_hi:[0,1]
	v_pk_fma_f32 v[52:53], v[76:77], v[60:61], v[66:67] op_sel_hi:[1,0,1]
	v_mov_b32_e32 v45, v49
	v_pk_fma_f32 v[54:55], v[76:77], v[60:61], v[66:67] neg_lo:[0,0,1] neg_hi:[0,0,1]
	v_pk_add_f32 v[42:43], v[46:47], v[42:43]
	v_pk_fma_f32 v[46:47], v[78:79], v[62:63], v[50:51] op_sel_hi:[1,0,1]
	v_pk_mul_f32 v[48:49], v[102:103], v[48:49] op_sel_hi:[1,0]
	v_mov_b32_e32 v55, v53
	s_delay_alu instid0(VALU_DEP_4)
	v_pk_add_f32 v[42:43], v[42:43], v[44:45]
	v_pk_fma_f32 v[44:45], v[78:79], v[62:63], v[50:51] neg_lo:[0,0,1] neg_hi:[0,0,1]
	v_mov_b32_e32 v45, v47
	v_pk_fma_f32 v[46:47], v[80:81], v[64:65], v[48:49] op_sel_hi:[1,0,1]
	s_wait_loadcnt_dscnt 0x100
	v_pk_mul_f32 v[50:51], v[94:95], v[90:91] op_sel:[1,1] op_sel_hi:[0,1]
	v_pk_add_f32 v[42:43], v[42:43], v[54:55]
	v_pk_fma_f32 v[48:49], v[80:81], v[64:65], v[48:49] neg_lo:[0,0,1] neg_hi:[0,0,1]
	v_mov_b32_e32 v49, v47
	s_delay_alu instid0(VALU_DEP_4) | instskip(NEXT) | instid1(VALU_DEP_4)
	v_pk_fma_f32 v[46:47], v[94:95], v[90:91], v[50:51] neg_lo:[0,0,1] neg_hi:[0,0,1]
	v_pk_add_f32 v[42:43], v[42:43], v[44:45]
	v_pk_fma_f32 v[44:45], v[94:95], v[90:91], v[50:51] op_sel_hi:[1,0,1]
	s_delay_alu instid0(VALU_DEP_2) | instskip(NEXT) | instid1(VALU_DEP_2)
	v_pk_add_f32 v[42:43], v[42:43], v[48:49]
	v_mov_b32_e32 v47, v45
	s_delay_alu instid0(VALU_DEP_1) | instskip(SKIP_1) | instid1(VALU_DEP_1)
	v_pk_add_f32 v[42:43], v[42:43], v[46:47]
	s_wait_loadcnt 0x0
	v_pk_add_f32 v[42:43], v[92:93], v[42:43] neg_lo:[0,1] neg_hi:[0,1]
	scratch_store_b64 off, v[42:43], off offset:48
	s_wait_xcnt 0x0
	v_cmpx_lt_u32_e32 5, v0
	s_cbranch_execz .LBB83_123
; %bb.122:
	scratch_load_b64 v[42:43], off, off offset:40
	v_mov_b64_e32 v[44:45], 0
	scratch_store_b64 off, v[44:45], off offset:40
	s_wait_loadcnt 0x0
	ds_store_b64 v1, v[42:43]
.LBB83_123:
	s_wait_xcnt 0x0
	s_or_b32 exec_lo, exec_lo, s0
	s_wait_storecnt_dscnt 0x0
	s_barrier_signal -1
	s_barrier_wait -1
	s_clause 0x7
	scratch_load_b128 v[42:45], off, off offset:48
	scratch_load_b128 v[46:49], off, off offset:64
	;; [unrolled: 1-line block ×7, first 2 shown]
	scratch_load_b64 v[98:99], off, off offset:40
	ds_load_b128 v[70:73], v7 offset:256
	ds_load_b128 v[74:77], v7 offset:272
	;; [unrolled: 1-line block ×7, first 2 shown]
	s_mov_b32 s0, exec_lo
	s_wait_dscnt 0x6
	v_dual_mov_b32 v100, v73 :: v_dual_mov_b32 v101, v72
	s_wait_dscnt 0x5
	v_dual_mov_b32 v102, v77 :: v_dual_mov_b32 v103, v76
	;; [unrolled: 2-line block ×4, first 2 shown]
	s_wait_loadcnt_dscnt 0x702
	v_dual_mul_f32 v7, v86, v43 :: v_dual_mul_f32 v9, v88, v45
	v_dual_mul_f32 v15, v87, v43 :: v_dual_mul_f32 v17, v89, v45
	s_wait_loadcnt_dscnt 0x601
	v_dual_mul_f32 v11, v90, v47 :: v_dual_mul_f32 v13, v92, v49
	s_delay_alu instid0(VALU_DEP_3) | instskip(NEXT) | instid1(VALU_DEP_3)
	v_dual_fmac_f32 v7, v87, v42 :: v_dual_fmac_f32 v9, v89, v44
	v_dual_fma_f32 v15, v86, v42, -v15 :: v_dual_fma_f32 v17, v88, v44, -v17
	v_dual_mul_f32 v19, v91, v47 :: v_dual_mul_f32 v21, v93, v49
	s_wait_loadcnt 0x4
	s_delay_alu instid0(VALU_DEP_3) | instskip(NEXT) | instid1(VALU_DEP_3)
	v_dual_add_f32 v7, 0, v7 :: v_dual_mov_b32 v44, v57
	v_dual_add_f32 v15, 0, v15 :: v_dual_fmac_f32 v11, v91, v46
	s_delay_alu instid0(VALU_DEP_2) | instskip(SKIP_2) | instid1(VALU_DEP_3)
	v_dual_fma_f32 v19, v90, v46, -v19 :: v_dual_add_f32 v7, v7, v9
	s_wait_dscnt 0x0
	v_dual_mul_f32 v109, v94, v51 :: v_dual_mul_f32 v111, v96, v53
	v_dual_add_f32 v9, v15, v17 :: v_dual_fmac_f32 v13, v93, v48
	v_dual_mul_f32 v23, v95, v51 :: v_dual_mul_f32 v25, v97, v53
	v_dual_fma_f32 v15, v92, v48, -v21 :: v_dual_add_f32 v7, v7, v11
	s_delay_alu instid0(VALU_DEP_3) | instskip(SKIP_3) | instid1(VALU_DEP_3)
	v_dual_add_f32 v9, v9, v19 :: v_dual_fmac_f32 v109, v95, v50
	v_pk_mul_f32 v[42:43], v[70:71], v[54:55] op_sel:[1,1] op_sel_hi:[0,1]
	s_wait_loadcnt 0x3
	v_dual_mov_b32 v48, v61 :: v_dual_fma_f32 v108, v94, v50, -v23
	v_dual_add_f32 v51, v7, v13 :: v_dual_add_f32 v50, v9, v15
	v_dual_fmac_f32 v111, v97, v52 :: v_dual_fma_f32 v110, v96, v52, -v25
	v_pk_fma_f32 v[52:53], v[70:71], v[54:55], v[42:43] op_sel_hi:[1,0,1]
	v_pk_mul_f32 v[44:45], v[100:101], v[44:45] op_sel_hi:[1,0]
	s_delay_alu instid0(VALU_DEP_4)
	v_pk_add_f32 v[50:51], v[50:51], v[108:109]
	v_pk_fma_f32 v[42:43], v[70:71], v[54:55], v[42:43] neg_lo:[0,0,1] neg_hi:[0,0,1]
	v_pk_mul_f32 v[46:47], v[74:75], v[58:59] op_sel:[1,1] op_sel_hi:[0,1]
	v_mov_b32_e32 v43, v53
	v_pk_fma_f32 v[52:53], v[72:73], v[56:57], v[44:45] op_sel_hi:[1,0,1]
	v_pk_add_f32 v[50:51], v[50:51], v[110:111]
	v_pk_fma_f32 v[44:45], v[72:73], v[56:57], v[44:45] neg_lo:[0,0,1] neg_hi:[0,0,1]
	v_pk_fma_f32 v[54:55], v[74:75], v[58:59], v[46:47] op_sel_hi:[1,0,1]
	v_pk_mul_f32 v[48:49], v[102:103], v[48:49] op_sel_hi:[1,0]
	v_mov_b32_e32 v45, v53
	v_pk_add_f32 v[42:43], v[50:51], v[42:43]
	s_wait_loadcnt 0x2
	v_pk_mul_f32 v[86:87], v[78:79], v[62:63] op_sel:[1,1] op_sel_hi:[0,1]
	v_mov_b32_e32 v50, v65
	v_pk_fma_f32 v[46:47], v[74:75], v[58:59], v[46:47] neg_lo:[0,0,1] neg_hi:[0,0,1]
	v_mov_b32_e32 v47, v55
	v_pk_fma_f32 v[52:53], v[76:77], v[60:61], v[48:49] op_sel_hi:[1,0,1]
	v_pk_add_f32 v[42:43], v[42:43], v[44:45]
	v_pk_fma_f32 v[44:45], v[78:79], v[62:63], v[86:87] op_sel_hi:[1,0,1]
	v_pk_mul_f32 v[50:51], v[104:105], v[50:51] op_sel_hi:[1,0]
	v_pk_fma_f32 v[48:49], v[76:77], v[60:61], v[48:49] neg_lo:[0,0,1] neg_hi:[0,0,1]
	v_mov_b32_e32 v49, v53
	v_pk_add_f32 v[42:43], v[42:43], v[46:47]
	v_pk_fma_f32 v[52:53], v[78:79], v[62:63], v[86:87] neg_lo:[0,0,1] neg_hi:[0,0,1]
	v_mov_b32_e32 v53, v45
	v_pk_fma_f32 v[44:45], v[80:81], v[64:65], v[50:51] op_sel_hi:[1,0,1]
	s_wait_loadcnt 0x1
	v_pk_mul_f32 v[46:47], v[82:83], v[66:67] op_sel:[1,1] op_sel_hi:[0,1]
	v_pk_add_f32 v[42:43], v[42:43], v[48:49]
	v_mov_b32_e32 v44, v69
	v_pk_fma_f32 v[50:51], v[80:81], v[64:65], v[50:51] neg_lo:[0,0,1] neg_hi:[0,0,1]
	v_mov_b32_e32 v51, v45
	v_pk_fma_f32 v[48:49], v[82:83], v[66:67], v[46:47] op_sel_hi:[1,0,1]
	v_pk_add_f32 v[42:43], v[42:43], v[52:53]
	v_pk_mul_f32 v[44:45], v[106:107], v[44:45] op_sel_hi:[1,0]
	v_pk_fma_f32 v[46:47], v[82:83], v[66:67], v[46:47] neg_lo:[0,0,1] neg_hi:[0,0,1]
	s_delay_alu instid0(VALU_DEP_4) | instskip(NEXT) | instid1(VALU_DEP_4)
	v_mov_b32_e32 v47, v49
	v_pk_add_f32 v[42:43], v[42:43], v[50:51]
	s_delay_alu instid0(VALU_DEP_4) | instskip(SKIP_1) | instid1(VALU_DEP_2)
	v_pk_fma_f32 v[48:49], v[84:85], v[68:69], v[44:45] op_sel_hi:[1,0,1]
	v_pk_fma_f32 v[44:45], v[84:85], v[68:69], v[44:45] neg_lo:[0,0,1] neg_hi:[0,0,1]
	v_mov_b32_e32 v45, v49
	s_delay_alu instid0(VALU_DEP_4) | instskip(NEXT) | instid1(VALU_DEP_1)
	v_pk_add_f32 v[42:43], v[42:43], v[46:47]
	v_pk_add_f32 v[42:43], v[42:43], v[44:45]
	s_wait_loadcnt 0x0
	s_delay_alu instid0(VALU_DEP_1)
	v_pk_add_f32 v[42:43], v[98:99], v[42:43] neg_lo:[0,1] neg_hi:[0,1]
	scratch_store_b64 off, v[42:43], off offset:40
	s_wait_xcnt 0x0
	v_cmpx_lt_u32_e32 4, v0
	s_cbranch_execz .LBB83_125
; %bb.124:
	scratch_load_b64 v[42:43], off, off offset:32
	v_mov_b64_e32 v[44:45], 0
	scratch_store_b64 off, v[44:45], off offset:32
	s_wait_loadcnt 0x0
	ds_store_b64 v1, v[42:43]
.LBB83_125:
	s_wait_xcnt 0x0
	s_or_b32 exec_lo, exec_lo, s0
	s_wait_storecnt_dscnt 0x0
	s_barrier_signal -1
	s_barrier_wait -1
	s_clause 0x8
	scratch_load_b128 v[42:45], off, off offset:40
	scratch_load_b128 v[46:49], off, off offset:56
	;; [unrolled: 1-line block ×7, first 2 shown]
	scratch_load_b64 v[98:99], off, off offset:152
	scratch_load_b64 v[100:101], off, off offset:32
	v_mov_b32_e32 v7, 0
	ds_load_2addr_b64 v[70:73], v7 offset0:31 offset1:32
	ds_load_2addr_b64 v[74:77], v7 offset0:33 offset1:34
	;; [unrolled: 1-line block ×7, first 2 shown]
	ds_load_b64 v[102:103], v7 offset:312
	s_mov_b32 s0, exec_lo
	s_wait_dscnt 0x7
	v_dual_mov_b32 v104, v73 :: v_dual_mov_b32 v105, v72
	s_wait_dscnt 0x4
	v_dual_mov_b32 v106, v77 :: v_dual_mov_b32 v111, v84
	v_dual_mov_b32 v107, v76 :: v_dual_mov_b32 v108, v81
	;; [unrolled: 1-line block ×3, first 2 shown]
	s_wait_loadcnt_dscnt 0x803
	v_dual_mul_f32 v9, v86, v43 :: v_dual_mul_f32 v19, v87, v43
	v_dual_mul_f32 v21, v89, v45 :: v_dual_mul_f32 v11, v88, v45
	s_wait_loadcnt_dscnt 0x702
	v_mul_f32_e32 v13, v90, v47
	s_wait_loadcnt 0x5
	v_dual_mul_f32 v31, v71, v55 :: v_dual_fma_f32 v19, v86, v42, -v19
	v_dual_fmac_f32 v9, v87, v42 :: v_dual_mov_b32 v42, v57
	v_dual_mul_f32 v23, v91, v47 :: v_dual_mul_f32 v25, v93, v49
	v_dual_fmac_f32 v11, v89, v44 :: v_dual_fma_f32 v21, v88, v44, -v21
	s_delay_alu instid0(VALU_DEP_3) | instskip(SKIP_3) | instid1(VALU_DEP_3)
	v_dual_add_f32 v9, 0, v9 :: v_dual_add_f32 v19, 0, v19
	s_wait_dscnt 0x1
	v_dual_mul_f32 v15, v92, v49 :: v_dual_mul_f32 v17, v94, v51
	v_dual_fmac_f32 v13, v91, v46 :: v_dual_fma_f32 v23, v90, v46, -v23
	v_dual_add_f32 v9, v9, v11 :: v_dual_add_f32 v11, v19, v21
	v_dual_mul_f32 v27, v95, v51 :: v_dual_mul_f32 v29, v97, v53
	s_wait_loadcnt 0x4
	v_dual_mov_b32 v46, v61 :: v_dual_fma_f32 v19, v92, v48, -v25
	s_delay_alu instid0(VALU_DEP_3) | instskip(SKIP_2) | instid1(VALU_DEP_2)
	v_dual_fmac_f32 v15, v93, v48 :: v_dual_add_f32 v11, v11, v23
	v_dual_add_f32 v9, v9, v13 :: v_dual_fmac_f32 v17, v95, v50
	v_dual_mul_f32 v113, v96, v53 :: v_dual_mul_f32 v115, v70, v55
	v_dual_fma_f32 v13, v94, v50, -v27 :: v_dual_add_f32 v9, v9, v15
	s_delay_alu instid0(VALU_DEP_2) | instskip(SKIP_1) | instid1(VALU_DEP_3)
	v_dual_add_f32 v11, v11, v19 :: v_dual_fmac_f32 v113, v97, v52
	v_pk_mul_f32 v[44:45], v[74:75], v[58:59] op_sel:[1,1] op_sel_hi:[0,1]
	v_dual_fma_f32 v112, v96, v52, -v29 :: v_dual_add_f32 v51, v9, v17
	v_pk_mul_f32 v[42:43], v[104:105], v[42:43] op_sel_hi:[1,0]
	s_wait_loadcnt 0x3
	v_dual_add_f32 v50, v11, v13 :: v_dual_mov_b32 v52, v65
	v_fmac_f32_e32 v115, v71, v54
	v_fma_f32 v114, v70, v54, -v31
	v_pk_fma_f32 v[54:55], v[72:73], v[56:57], v[42:43] op_sel_hi:[1,0,1]
	s_delay_alu instid0(VALU_DEP_4) | instskip(SKIP_4) | instid1(VALU_DEP_4)
	v_pk_add_f32 v[50:51], v[50:51], v[112:113]
	v_pk_fma_f32 v[70:71], v[74:75], v[58:59], v[44:45] op_sel_hi:[1,0,1]
	v_pk_fma_f32 v[42:43], v[72:73], v[56:57], v[42:43] neg_lo:[0,0,1] neg_hi:[0,0,1]
	v_pk_fma_f32 v[44:45], v[74:75], v[58:59], v[44:45] neg_lo:[0,0,1] neg_hi:[0,0,1]
	v_pk_mul_f32 v[46:47], v[106:107], v[46:47] op_sel_hi:[1,0]
	v_dual_mov_b32 v43, v55 :: v_dual_mov_b32 v45, v71
	v_pk_add_f32 v[50:51], v[50:51], v[114:115]
	v_pk_mul_f32 v[48:49], v[78:79], v[62:63] op_sel:[1,1] op_sel_hi:[0,1]
	s_delay_alu instid0(VALU_DEP_4)
	v_pk_fma_f32 v[56:57], v[76:77], v[60:61], v[46:47] op_sel_hi:[1,0,1]
	v_pk_fma_f32 v[46:47], v[76:77], v[60:61], v[46:47] neg_lo:[0,0,1] neg_hi:[0,0,1]
	v_pk_mul_f32 v[52:53], v[108:109], v[52:53] op_sel_hi:[1,0]
	v_pk_add_f32 v[42:43], v[50:51], v[42:43]
	v_pk_fma_f32 v[50:51], v[78:79], v[62:63], v[48:49] op_sel_hi:[1,0,1]
	v_mov_b32_e32 v47, v57
	v_pk_fma_f32 v[48:49], v[78:79], v[62:63], v[48:49] neg_lo:[0,0,1] neg_hi:[0,0,1]
	s_wait_loadcnt 0x2
	v_pk_mul_f32 v[54:55], v[82:83], v[66:67] op_sel:[1,1] op_sel_hi:[0,1]
	v_pk_add_f32 v[42:43], v[42:43], v[44:45]
	v_dual_mov_b32 v44, v69 :: v_dual_mov_b32 v49, v51
	v_pk_fma_f32 v[50:51], v[80:81], v[64:65], v[52:53] op_sel_hi:[1,0,1]
	v_pk_fma_f32 v[52:53], v[80:81], v[64:65], v[52:53] neg_lo:[0,0,1] neg_hi:[0,0,1]
	s_delay_alu instid0(VALU_DEP_4)
	v_pk_add_f32 v[42:43], v[42:43], v[46:47]
	v_pk_fma_f32 v[46:47], v[82:83], v[66:67], v[54:55] op_sel_hi:[1,0,1]
	v_pk_mul_f32 v[44:45], v[110:111], v[44:45] op_sel_hi:[1,0]
	v_mov_b32_e32 v53, v51
	s_wait_loadcnt_dscnt 0x100
	v_pk_mul_f32 v[50:51], v[102:103], v[98:99] op_sel:[1,1] op_sel_hi:[0,1]
	v_pk_add_f32 v[42:43], v[42:43], v[48:49]
	v_pk_fma_f32 v[48:49], v[82:83], v[66:67], v[54:55] neg_lo:[0,0,1] neg_hi:[0,0,1]
	v_mov_b32_e32 v49, v47
	v_pk_fma_f32 v[46:47], v[84:85], v[68:69], v[44:45] op_sel_hi:[1,0,1]
	v_pk_fma_f32 v[44:45], v[84:85], v[68:69], v[44:45] neg_lo:[0,0,1] neg_hi:[0,0,1]
	v_pk_add_f32 v[42:43], v[42:43], v[52:53]
	s_delay_alu instid0(VALU_DEP_3) | instskip(SKIP_1) | instid1(VALU_DEP_3)
	v_mov_b32_e32 v45, v47
	v_pk_fma_f32 v[46:47], v[102:103], v[98:99], v[50:51] op_sel_hi:[1,0,1]
	v_pk_add_f32 v[42:43], v[42:43], v[48:49]
	v_pk_fma_f32 v[48:49], v[102:103], v[98:99], v[50:51] neg_lo:[0,0,1] neg_hi:[0,0,1]
	s_delay_alu instid0(VALU_DEP_3) | instskip(NEXT) | instid1(VALU_DEP_3)
	v_mov_b32_e32 v49, v47
	v_pk_add_f32 v[42:43], v[42:43], v[44:45]
	s_delay_alu instid0(VALU_DEP_1) | instskip(SKIP_1) | instid1(VALU_DEP_1)
	v_pk_add_f32 v[42:43], v[42:43], v[48:49]
	s_wait_loadcnt 0x0
	v_pk_add_f32 v[42:43], v[100:101], v[42:43] neg_lo:[0,1] neg_hi:[0,1]
	scratch_store_b64 off, v[42:43], off offset:32
	s_wait_xcnt 0x0
	v_cmpx_lt_u32_e32 3, v0
	s_cbranch_execz .LBB83_127
; %bb.126:
	scratch_load_b64 v[42:43], off, off offset:24
	v_mov_b64_e32 v[44:45], 0
	scratch_store_b64 off, v[44:45], off offset:24
	s_wait_loadcnt 0x0
	ds_store_b64 v1, v[42:43]
.LBB83_127:
	s_wait_xcnt 0x0
	s_or_b32 exec_lo, exec_lo, s0
	s_wait_storecnt_dscnt 0x0
	s_barrier_signal -1
	s_barrier_wait -1
	s_clause 0x8
	scratch_load_b128 v[42:45], off, off offset:32
	scratch_load_b128 v[46:49], off, off offset:48
	;; [unrolled: 1-line block ×8, first 2 shown]
	scratch_load_b64 v[106:107], off, off offset:24
	ds_load_b128 v[74:77], v7 offset:256
	ds_load_b128 v[78:81], v7 offset:272
	;; [unrolled: 1-line block ×8, first 2 shown]
	s_mov_b32 s0, exec_lo
	s_wait_dscnt 0x7
	v_dual_mov_b32 v108, v77 :: v_dual_mov_b32 v109, v76
	s_wait_dscnt 0x6
	v_dual_mov_b32 v110, v81 :: v_dual_mov_b32 v111, v80
	;; [unrolled: 2-line block ×4, first 2 shown]
	s_wait_loadcnt_dscnt 0x803
	v_dual_mul_f32 v7, v90, v43 :: v_dual_mul_f32 v9, v92, v45
	v_dual_mul_f32 v19, v91, v43 :: v_dual_mul_f32 v21, v93, v45
	s_wait_loadcnt_dscnt 0x702
	v_dual_mul_f32 v11, v94, v47 :: v_dual_mul_f32 v13, v96, v49
	s_delay_alu instid0(VALU_DEP_3) | instskip(SKIP_3) | instid1(VALU_DEP_3)
	v_dual_fmac_f32 v7, v91, v42 :: v_dual_fmac_f32 v9, v93, v44
	s_wait_loadcnt_dscnt 0x500
	v_dual_fma_f32 v19, v90, v42, -v19 :: v_dual_mul_f32 v31, v103, v55
	v_dual_mul_f32 v23, v95, v47 :: v_dual_mul_f32 v25, v97, v49
	v_dual_fma_f32 v21, v92, v44, -v21 :: v_dual_add_f32 v7, 0, v7
	s_delay_alu instid0(VALU_DEP_3) | instskip(SKIP_1) | instid1(VALU_DEP_3)
	v_dual_add_f32 v19, 0, v19 :: v_dual_mul_f32 v33, v105, v57
	v_dual_fmac_f32 v11, v95, v46 :: v_dual_fmac_f32 v13, v97, v48
	v_dual_fma_f32 v23, v94, v46, -v23 :: v_dual_add_f32 v7, v7, v9
	s_delay_alu instid0(VALU_DEP_3) | instskip(SKIP_4) | instid1(VALU_DEP_3)
	v_dual_add_f32 v9, v19, v21 :: v_dual_fma_f32 v19, v96, v48, -v25
	v_dual_mul_f32 v15, v98, v51 :: v_dual_mul_f32 v17, v100, v53
	v_dual_mul_f32 v27, v99, v51 :: v_dual_mul_f32 v29, v101, v53
	s_wait_loadcnt 0x4
	v_dual_add_f32 v7, v7, v11 :: v_dual_mov_b32 v44, v61
	v_dual_add_f32 v9, v9, v23 :: v_dual_fmac_f32 v15, v99, v50
	s_delay_alu instid0(VALU_DEP_2) | instskip(SKIP_1) | instid1(VALU_DEP_3)
	v_dual_fma_f32 v11, v98, v50, -v27 :: v_dual_add_f32 v7, v7, v13
	v_dual_mul_f32 v117, v102, v55 :: v_dual_mul_f32 v119, v104, v57
	v_dual_add_f32 v9, v9, v19 :: v_dual_fma_f32 v13, v100, v52, -v29
	s_delay_alu instid0(VALU_DEP_3) | instskip(SKIP_1) | instid1(VALU_DEP_3)
	v_dual_fmac_f32 v17, v101, v52 :: v_dual_add_f32 v7, v7, v15
	v_pk_mul_f32 v[42:43], v[74:75], v[58:59] op_sel:[1,1] op_sel_hi:[0,1]
	v_dual_add_f32 v9, v9, v11 :: v_dual_fmac_f32 v117, v103, v54
	s_wait_loadcnt 0x3
	v_dual_mov_b32 v48, v65 :: v_dual_fma_f32 v116, v102, v54, -v31
	v_dual_add_f32 v51, v7, v17 :: v_dual_fmac_f32 v119, v105, v56
	s_delay_alu instid0(VALU_DEP_3) | instskip(SKIP_3) | instid1(VALU_DEP_4)
	v_dual_add_f32 v50, v9, v13 :: v_dual_fma_f32 v118, v104, v56, -v33
	v_pk_fma_f32 v[52:53], v[74:75], v[58:59], v[42:43] op_sel_hi:[1,0,1]
	v_pk_mul_f32 v[44:45], v[108:109], v[44:45] op_sel_hi:[1,0]
	v_pk_fma_f32 v[42:43], v[74:75], v[58:59], v[42:43] neg_lo:[0,0,1] neg_hi:[0,0,1]
	v_pk_add_f32 v[50:51], v[50:51], v[116:117]
	v_pk_mul_f32 v[46:47], v[78:79], v[62:63] op_sel:[1,1] op_sel_hi:[0,1]
	v_mov_b32_e32 v43, v53
	v_pk_fma_f32 v[52:53], v[76:77], v[60:61], v[44:45] op_sel_hi:[1,0,1]
	v_pk_fma_f32 v[44:45], v[76:77], v[60:61], v[44:45] neg_lo:[0,0,1] neg_hi:[0,0,1]
	v_pk_add_f32 v[50:51], v[50:51], v[118:119]
	v_pk_fma_f32 v[56:57], v[78:79], v[62:63], v[46:47] op_sel_hi:[1,0,1]
	v_pk_mul_f32 v[48:49], v[110:111], v[48:49] op_sel_hi:[1,0]
	v_mov_b32_e32 v45, v53
	s_wait_loadcnt 0x2
	v_pk_mul_f32 v[54:55], v[82:83], v[66:67] op_sel:[1,1] op_sel_hi:[0,1]
	v_pk_add_f32 v[42:43], v[50:51], v[42:43]
	v_mov_b32_e32 v50, v69
	v_pk_fma_f32 v[46:47], v[78:79], v[62:63], v[46:47] neg_lo:[0,0,1] neg_hi:[0,0,1]
	v_mov_b32_e32 v47, v57
	v_pk_fma_f32 v[52:53], v[80:81], v[64:65], v[48:49] op_sel_hi:[1,0,1]
	v_pk_add_f32 v[42:43], v[42:43], v[44:45]
	v_pk_fma_f32 v[44:45], v[82:83], v[66:67], v[54:55] op_sel_hi:[1,0,1]
	v_pk_mul_f32 v[50:51], v[112:113], v[50:51] op_sel_hi:[1,0]
	v_pk_fma_f32 v[48:49], v[80:81], v[64:65], v[48:49] neg_lo:[0,0,1] neg_hi:[0,0,1]
	v_mov_b32_e32 v49, v53
	v_pk_add_f32 v[42:43], v[42:43], v[46:47]
	v_pk_fma_f32 v[52:53], v[82:83], v[66:67], v[54:55] neg_lo:[0,0,1] neg_hi:[0,0,1]
	v_mov_b32_e32 v53, v45
	v_pk_fma_f32 v[44:45], v[84:85], v[68:69], v[50:51] op_sel_hi:[1,0,1]
	s_wait_loadcnt 0x1
	v_pk_mul_f32 v[46:47], v[86:87], v[70:71] op_sel:[1,1] op_sel_hi:[0,1]
	v_pk_add_f32 v[42:43], v[42:43], v[48:49]
	v_mov_b32_e32 v44, v73
	v_pk_fma_f32 v[50:51], v[84:85], v[68:69], v[50:51] neg_lo:[0,0,1] neg_hi:[0,0,1]
	v_mov_b32_e32 v51, v45
	v_pk_fma_f32 v[48:49], v[86:87], v[70:71], v[46:47] op_sel_hi:[1,0,1]
	v_pk_add_f32 v[42:43], v[42:43], v[52:53]
	v_pk_mul_f32 v[44:45], v[114:115], v[44:45] op_sel_hi:[1,0]
	v_pk_fma_f32 v[46:47], v[86:87], v[70:71], v[46:47] neg_lo:[0,0,1] neg_hi:[0,0,1]
	s_delay_alu instid0(VALU_DEP_4) | instskip(NEXT) | instid1(VALU_DEP_4)
	v_mov_b32_e32 v47, v49
	v_pk_add_f32 v[42:43], v[42:43], v[50:51]
	s_delay_alu instid0(VALU_DEP_4) | instskip(SKIP_1) | instid1(VALU_DEP_2)
	v_pk_fma_f32 v[48:49], v[88:89], v[72:73], v[44:45] op_sel_hi:[1,0,1]
	v_pk_fma_f32 v[44:45], v[88:89], v[72:73], v[44:45] neg_lo:[0,0,1] neg_hi:[0,0,1]
	v_mov_b32_e32 v45, v49
	s_delay_alu instid0(VALU_DEP_4) | instskip(NEXT) | instid1(VALU_DEP_1)
	v_pk_add_f32 v[42:43], v[42:43], v[46:47]
	v_pk_add_f32 v[42:43], v[42:43], v[44:45]
	s_wait_loadcnt 0x0
	s_delay_alu instid0(VALU_DEP_1)
	v_pk_add_f32 v[42:43], v[106:107], v[42:43] neg_lo:[0,1] neg_hi:[0,1]
	scratch_store_b64 off, v[42:43], off offset:24
	s_wait_xcnt 0x0
	v_cmpx_lt_u32_e32 2, v0
	s_cbranch_execz .LBB83_129
; %bb.128:
	scratch_load_b64 v[42:43], off, off offset:16
	v_mov_b64_e32 v[44:45], 0
	scratch_store_b64 off, v[44:45], off offset:16
	s_wait_loadcnt 0x0
	ds_store_b64 v1, v[42:43]
.LBB83_129:
	s_wait_xcnt 0x0
	s_or_b32 exec_lo, exec_lo, s0
	s_wait_storecnt_dscnt 0x0
	s_barrier_signal -1
	s_barrier_wait -1
	s_clause 0x9
	scratch_load_b128 v[42:45], off, off offset:24
	scratch_load_b128 v[46:49], off, off offset:40
	;; [unrolled: 1-line block ×8, first 2 shown]
	scratch_load_b64 v[106:107], off, off offset:152
	scratch_load_b64 v[108:109], off, off offset:16
	v_mov_b32_e32 v15, 0
	ds_load_2addr_b64 v[74:77], v15 offset0:31 offset1:32
	ds_load_2addr_b64 v[78:81], v15 offset0:33 offset1:34
	;; [unrolled: 1-line block ×8, first 2 shown]
	ds_load_b64 v[110:111], v15 offset:312
	s_mov_b32 s0, exec_lo
	s_wait_dscnt 0x8
	v_dual_mov_b32 v112, v77 :: v_dual_mov_b32 v113, v76
	s_wait_dscnt 0x5
	v_dual_mov_b32 v114, v81 :: v_dual_mov_b32 v119, v88
	v_dual_mov_b32 v115, v80 :: v_dual_mov_b32 v116, v85
	;; [unrolled: 1-line block ×3, first 2 shown]
	s_wait_loadcnt_dscnt 0x904
	v_dual_mul_f32 v7, v90, v43 :: v_dual_mul_f32 v23, v91, v43
	v_dual_mul_f32 v25, v93, v45 :: v_dual_mul_f32 v9, v92, v45
	s_wait_loadcnt_dscnt 0x803
	v_mul_f32_e32 v11, v94, v47
	s_wait_loadcnt_dscnt 0x601
	v_dual_mul_f32 v35, v103, v55 :: v_dual_fma_f32 v23, v90, v42, -v23
	v_dual_fmac_f32 v7, v91, v42 :: v_dual_mul_f32 v37, v105, v57
	v_dual_mul_f32 v27, v95, v47 :: v_dual_mul_f32 v29, v97, v49
	s_delay_alu instid0(VALU_DEP_2) | instskip(NEXT) | instid1(VALU_DEP_4)
	v_dual_fmac_f32 v9, v93, v44 :: v_dual_add_f32 v7, 0, v7
	v_dual_fma_f32 v25, v92, v44, -v25 :: v_dual_add_f32 v23, 0, v23
	v_dual_mul_f32 v13, v96, v49 :: v_dual_mul_f32 v17, v98, v51
	s_wait_loadcnt 0x5
	v_dual_mul_f32 v39, v75, v59 :: v_dual_fma_f32 v27, v94, v46, -v27
	v_dual_fmac_f32 v11, v95, v46 :: v_dual_mov_b32 v42, v61
	s_delay_alu instid0(VALU_DEP_3) | instskip(SKIP_2) | instid1(VALU_DEP_3)
	v_dual_add_f32 v7, v7, v9 :: v_dual_fmac_f32 v13, v97, v48
	v_dual_add_f32 v9, v23, v25 :: v_dual_fma_f32 v23, v96, v48, -v29
	v_dual_mul_f32 v31, v99, v51 :: v_dual_mul_f32 v33, v101, v53
	v_add_f32_e32 v7, v7, v11
	s_delay_alu instid0(VALU_DEP_3) | instskip(SKIP_1) | instid1(VALU_DEP_3)
	v_dual_add_f32 v9, v9, v27 :: v_dual_fmac_f32 v17, v99, v50
	v_dual_mul_f32 v19, v100, v53 :: v_dual_mul_f32 v21, v102, v55
	v_dual_fma_f32 v11, v98, v50, -v31 :: v_dual_add_f32 v7, v7, v13
	s_delay_alu instid0(VALU_DEP_3) | instskip(SKIP_2) | instid1(VALU_DEP_3)
	v_add_f32_e32 v9, v9, v23
	s_wait_loadcnt 0x4
	v_dual_mov_b32 v46, v65 :: v_dual_fma_f32 v13, v100, v52, -v33
	v_dual_fmac_f32 v19, v101, v52 :: v_dual_add_f32 v7, v7, v17
	s_delay_alu instid0(VALU_DEP_3) | instskip(SKIP_1) | instid1(VALU_DEP_3)
	v_dual_add_f32 v9, v9, v11 :: v_dual_fmac_f32 v21, v103, v54
	v_dual_mul_f32 v121, v104, v57 :: v_dual_mul_f32 v123, v74, v59
	v_dual_fma_f32 v11, v102, v54, -v35 :: v_dual_add_f32 v7, v7, v19
	s_delay_alu instid0(VALU_DEP_3) | instskip(NEXT) | instid1(VALU_DEP_3)
	v_dual_add_f32 v9, v9, v13 :: v_dual_fma_f32 v120, v104, v56, -v37
	v_fmac_f32_e32 v121, v105, v56
	v_pk_mul_f32 v[42:43], v[112:113], v[42:43] op_sel_hi:[1,0]
	s_delay_alu instid0(VALU_DEP_3)
	v_dual_add_f32 v51, v7, v21 :: v_dual_add_f32 v50, v9, v11
	v_fmac_f32_e32 v123, v75, v58
	v_pk_mul_f32 v[44:45], v[78:79], v[62:63] op_sel:[1,1] op_sel_hi:[0,1]
	s_wait_loadcnt 0x3
	v_dual_mov_b32 v52, v69 :: v_dual_fma_f32 v122, v74, v58, -v39
	v_pk_fma_f32 v[54:55], v[76:77], v[60:61], v[42:43] op_sel_hi:[1,0,1]
	v_pk_add_f32 v[50:51], v[50:51], v[120:121]
	v_pk_fma_f32 v[42:43], v[76:77], v[60:61], v[42:43] neg_lo:[0,0,1] neg_hi:[0,0,1]
	v_pk_fma_f32 v[56:57], v[78:79], v[62:63], v[44:45] op_sel_hi:[1,0,1]
	v_pk_mul_f32 v[46:47], v[114:115], v[46:47] op_sel_hi:[1,0]
	v_mov_b32_e32 v43, v55
	v_pk_add_f32 v[50:51], v[50:51], v[122:123]
	v_pk_fma_f32 v[44:45], v[78:79], v[62:63], v[44:45] neg_lo:[0,0,1] neg_hi:[0,0,1]
	v_pk_mul_f32 v[48:49], v[82:83], v[66:67] op_sel:[1,1] op_sel_hi:[0,1]
	v_mov_b32_e32 v45, v57
	v_pk_fma_f32 v[56:57], v[80:81], v[64:65], v[46:47] op_sel_hi:[1,0,1]
	v_pk_add_f32 v[42:43], v[50:51], v[42:43]
	v_pk_fma_f32 v[46:47], v[80:81], v[64:65], v[46:47] neg_lo:[0,0,1] neg_hi:[0,0,1]
	v_pk_fma_f32 v[50:51], v[82:83], v[66:67], v[48:49] op_sel_hi:[1,0,1]
	v_pk_mul_f32 v[52:53], v[116:117], v[52:53] op_sel_hi:[1,0]
	v_mov_b32_e32 v47, v57
	v_pk_add_f32 v[42:43], v[42:43], v[44:45]
	v_pk_fma_f32 v[48:49], v[82:83], v[66:67], v[48:49] neg_lo:[0,0,1] neg_hi:[0,0,1]
	s_wait_loadcnt 0x2
	v_pk_mul_f32 v[54:55], v[86:87], v[70:71] op_sel:[1,1] op_sel_hi:[0,1]
	v_dual_mov_b32 v44, v73 :: v_dual_mov_b32 v49, v51
	v_pk_fma_f32 v[50:51], v[84:85], v[68:69], v[52:53] op_sel_hi:[1,0,1]
	v_pk_add_f32 v[42:43], v[42:43], v[46:47]
	v_pk_fma_f32 v[52:53], v[84:85], v[68:69], v[52:53] neg_lo:[0,0,1] neg_hi:[0,0,1]
	v_pk_fma_f32 v[46:47], v[86:87], v[70:71], v[54:55] op_sel_hi:[1,0,1]
	v_pk_mul_f32 v[44:45], v[118:119], v[44:45] op_sel_hi:[1,0]
	v_mov_b32_e32 v53, v51
	v_pk_add_f32 v[42:43], v[42:43], v[48:49]
	v_pk_fma_f32 v[48:49], v[86:87], v[70:71], v[54:55] neg_lo:[0,0,1] neg_hi:[0,0,1]
	v_mov_b32_e32 v49, v47
	v_pk_fma_f32 v[46:47], v[88:89], v[72:73], v[44:45] op_sel_hi:[1,0,1]
	s_wait_loadcnt_dscnt 0x100
	v_pk_mul_f32 v[50:51], v[110:111], v[106:107] op_sel:[1,1] op_sel_hi:[0,1]
	v_pk_add_f32 v[42:43], v[42:43], v[52:53]
	v_pk_fma_f32 v[44:45], v[88:89], v[72:73], v[44:45] neg_lo:[0,0,1] neg_hi:[0,0,1]
	v_mov_b32_e32 v45, v47
	s_delay_alu instid0(VALU_DEP_4) | instskip(NEXT) | instid1(VALU_DEP_4)
	v_pk_fma_f32 v[46:47], v[110:111], v[106:107], v[50:51] op_sel_hi:[1,0,1]
	v_pk_add_f32 v[42:43], v[42:43], v[48:49]
	v_pk_fma_f32 v[48:49], v[110:111], v[106:107], v[50:51] neg_lo:[0,0,1] neg_hi:[0,0,1]
	s_delay_alu instid0(VALU_DEP_3) | instskip(NEXT) | instid1(VALU_DEP_3)
	v_mov_b32_e32 v49, v47
	v_pk_add_f32 v[42:43], v[42:43], v[44:45]
	s_delay_alu instid0(VALU_DEP_1) | instskip(SKIP_1) | instid1(VALU_DEP_1)
	v_pk_add_f32 v[42:43], v[42:43], v[48:49]
	s_wait_loadcnt 0x0
	v_pk_add_f32 v[42:43], v[108:109], v[42:43] neg_lo:[0,1] neg_hi:[0,1]
	scratch_store_b64 off, v[42:43], off offset:16
	s_wait_xcnt 0x0
	v_cmpx_lt_u32_e32 1, v0
	s_cbranch_execz .LBB83_131
; %bb.130:
	scratch_load_b64 v[42:43], off, off offset:8
	v_mov_b64_e32 v[44:45], 0
	scratch_store_b64 off, v[44:45], off offset:8
	s_wait_loadcnt 0x0
	ds_store_b64 v1, v[42:43]
.LBB83_131:
	s_wait_xcnt 0x0
	s_or_b32 exec_lo, exec_lo, s0
	s_wait_storecnt_dscnt 0x0
	s_barrier_signal -1
	s_barrier_wait -1
	s_clause 0x9
	scratch_load_b128 v[42:45], off, off offset:16
	scratch_load_b128 v[46:49], off, off offset:32
	;; [unrolled: 1-line block ×9, first 2 shown]
	scratch_load_b64 v[114:115], off, off offset:8
	ds_load_b128 v[78:81], v15 offset:256
	ds_load_b128 v[82:85], v15 offset:272
	ds_load_b128 v[86:89], v15 offset:288
	ds_load_b128 v[90:93], v15 offset:304
	ds_load_b128 v[94:97], v15 offset:176
	ds_load_b128 v[98:101], v15 offset:240
	ds_load_b128 v[102:105], v15 offset:192
	ds_load_b128 v[106:109], v15 offset:208
	ds_load_b128 v[110:113], v15 offset:224
	v_ashrrev_i32_e32 v19, 31, v18
	v_dual_ashrrev_i32 v7, 31, v6 :: v_dual_ashrrev_i32 v9, 31, v8
	v_dual_ashrrev_i32 v11, 31, v10 :: v_dual_ashrrev_i32 v13, 31, v12
	;; [unrolled: 1-line block ×3, first 2 shown]
	s_mov_b32 s0, exec_lo
	s_wait_dscnt 0x8
	v_dual_mov_b32 v116, v81 :: v_dual_mov_b32 v117, v80
	s_wait_dscnt 0x5
	v_dual_mov_b32 v118, v85 :: v_dual_mov_b32 v123, v92
	v_dual_mov_b32 v119, v84 :: v_dual_mov_b32 v120, v89
	;; [unrolled: 1-line block ×3, first 2 shown]
	s_wait_loadcnt_dscnt 0x904
	v_dual_mul_f32 v21, v94, v43 :: v_dual_mul_f32 v23, v96, v45
	v_dual_mul_f32 v25, v95, v43 :: v_dual_mul_f32 v27, v97, v45
	s_wait_loadcnt_dscnt 0x802
	v_dual_mul_f32 v29, v102, v47 :: v_dual_mul_f32 v31, v104, v49
	s_wait_loadcnt_dscnt 0x701
	v_mul_f32_e32 v33, v106, v51
	v_dual_mul_f32 v39, v103, v47 :: v_dual_mul_f32 v41, v105, v49
	s_wait_loadcnt 0x5
	v_dual_mul_f32 v45, v100, v61 :: v_dual_mul_f32 v47, v107, v51
	v_dual_mul_f32 v51, v109, v53 :: v_dual_fmac_f32 v21, v95, v42
	s_wait_dscnt 0x0
	v_dual_fma_f32 v25, v94, v42, -v25 :: v_dual_mul_f32 v42, v111, v55
	v_fmac_f32_e32 v23, v97, v44
	s_delay_alu instid0(VALU_DEP_3) | instskip(NEXT) | instid1(VALU_DEP_3)
	v_dual_fma_f32 v27, v96, v44, -v27 :: v_dual_add_f32 v21, 0, v21
	v_add_f32_e32 v25, 0, v25
	v_dual_mul_f32 v44, v113, v57 :: v_dual_fmac_f32 v29, v103, v46
	s_delay_alu instid0(VALU_DEP_3) | instskip(NEXT) | instid1(VALU_DEP_3)
	v_dual_fma_f32 v39, v102, v46, -v39 :: v_dual_add_f32 v21, v21, v23
	v_dual_add_f32 v23, v25, v27 :: v_dual_fma_f32 v27, v104, v48, -v41
	v_dual_mul_f32 v25, v99, v59 :: v_dual_fmac_f32 v31, v105, v48
	s_delay_alu instid0(VALU_DEP_2) | instskip(SKIP_2) | instid1(VALU_DEP_3)
	v_dual_add_f32 v21, v21, v29 :: v_dual_add_f32 v23, v23, v39
	v_dual_mul_f32 v35, v108, v53 :: v_dual_mul_f32 v37, v110, v55
	v_dual_mul_f32 v29, v101, v61 :: v_dual_fmac_f32 v33, v107, v50
	v_dual_fma_f32 v39, v106, v50, -v47 :: v_dual_add_f32 v21, v21, v31
	s_delay_alu instid0(VALU_DEP_3) | instskip(SKIP_2) | instid1(VALU_DEP_3)
	v_dual_add_f32 v23, v23, v27 :: v_dual_fmac_f32 v35, v109, v52
	v_fma_f32 v27, v108, v52, -v51
	v_dual_mul_f32 v49, v112, v57 :: v_dual_mul_f32 v43, v98, v59
	v_dual_add_f32 v21, v21, v33 :: v_dual_add_f32 v23, v23, v39
	s_wait_loadcnt 0x4
	v_dual_mov_b32 v48, v65 :: v_dual_fmac_f32 v37, v111, v54
	s_delay_alu instid0(VALU_DEP_2) | instskip(NEXT) | instid1(VALU_DEP_3)
	v_dual_fma_f32 v31, v110, v54, -v42 :: v_dual_add_f32 v21, v21, v35
	v_dual_add_f32 v23, v23, v27 :: v_dual_fmac_f32 v49, v113, v56
	v_fma_f32 v27, v112, v56, -v44
	v_pk_mul_f32 v[46:47], v[78:79], v[62:63] op_sel:[1,1] op_sel_hi:[0,1]
	s_delay_alu instid0(VALU_DEP_3) | instskip(SKIP_2) | instid1(VALU_DEP_2)
	v_dual_add_f32 v21, v21, v37 :: v_dual_add_f32 v23, v23, v31
	s_wait_loadcnt 0x3
	v_dual_mov_b32 v52, v69 :: v_dual_fmac_f32 v43, v99, v58
	v_dual_fma_f32 v42, v98, v58, -v25 :: v_dual_add_f32 v55, v21, v49
	s_delay_alu instid0(VALU_DEP_3) | instskip(SKIP_3) | instid1(VALU_DEP_4)
	v_dual_add_f32 v54, v23, v27 :: v_dual_fmac_f32 v45, v101, v60
	v_pk_fma_f32 v[56:57], v[78:79], v[62:63], v[46:47] op_sel_hi:[1,0,1]
	v_fma_f32 v44, v100, v60, -v29
	v_pk_mul_f32 v[48:49], v[116:117], v[48:49] op_sel_hi:[1,0]
	v_pk_add_f32 v[42:43], v[54:55], v[42:43]
	v_pk_fma_f32 v[46:47], v[78:79], v[62:63], v[46:47] neg_lo:[0,0,1] neg_hi:[0,0,1]
	v_pk_mul_f32 v[50:51], v[82:83], v[66:67] op_sel:[1,1] op_sel_hi:[0,1]
	v_mov_b32_e32 v47, v57
	v_pk_fma_f32 v[56:57], v[80:81], v[64:65], v[48:49] op_sel_hi:[1,0,1]
	v_pk_add_f32 v[42:43], v[42:43], v[44:45]
	v_pk_fma_f32 v[48:49], v[80:81], v[64:65], v[48:49] neg_lo:[0,0,1] neg_hi:[0,0,1]
	v_pk_fma_f32 v[44:45], v[82:83], v[66:67], v[50:51] op_sel_hi:[1,0,1]
	v_pk_mul_f32 v[52:53], v[118:119], v[52:53] op_sel_hi:[1,0]
	s_wait_loadcnt 0x2
	v_dual_mov_b32 v49, v57 :: v_dual_mov_b32 v44, v73
	v_pk_add_f32 v[42:43], v[42:43], v[46:47]
	v_pk_mul_f32 v[54:55], v[86:87], v[70:71] op_sel:[1,1] op_sel_hi:[0,1]
	v_pk_fma_f32 v[46:47], v[82:83], v[66:67], v[50:51] neg_lo:[0,0,1] neg_hi:[0,0,1]
	v_pk_fma_f32 v[50:51], v[84:85], v[68:69], v[52:53] op_sel_hi:[1,0,1]
	v_mov_b32_e32 v47, v45
	v_pk_add_f32 v[42:43], v[42:43], v[48:49]
	v_pk_fma_f32 v[48:49], v[86:87], v[70:71], v[54:55] op_sel_hi:[1,0,1]
	v_pk_mul_f32 v[44:45], v[120:121], v[44:45] op_sel_hi:[1,0]
	v_pk_fma_f32 v[52:53], v[84:85], v[68:69], v[52:53] neg_lo:[0,0,1] neg_hi:[0,0,1]
	v_mov_b32_e32 v53, v51
	v_pk_add_f32 v[42:43], v[42:43], v[46:47]
	v_pk_fma_f32 v[50:51], v[86:87], v[70:71], v[54:55] neg_lo:[0,0,1] neg_hi:[0,0,1]
	v_mov_b32_e32 v51, v49
	v_pk_fma_f32 v[48:49], v[88:89], v[72:73], v[44:45] op_sel_hi:[1,0,1]
	s_wait_loadcnt 0x1
	v_pk_mul_f32 v[46:47], v[90:91], v[74:75] op_sel:[1,1] op_sel_hi:[0,1]
	v_pk_add_f32 v[42:43], v[42:43], v[52:53]
	v_mov_b32_e32 v48, v77
	v_pk_fma_f32 v[44:45], v[88:89], v[72:73], v[44:45] neg_lo:[0,0,1] neg_hi:[0,0,1]
	v_dual_mov_b32 v45, v49 :: v_dual_ashrrev_i32 v21, 31, v20
	v_pk_fma_f32 v[52:53], v[90:91], v[74:75], v[46:47] op_sel_hi:[1,0,1]
	v_pk_add_f32 v[42:43], v[42:43], v[50:51]
	v_pk_mul_f32 v[48:49], v[122:123], v[48:49] op_sel_hi:[1,0]
	v_pk_fma_f32 v[46:47], v[90:91], v[74:75], v[46:47] neg_lo:[0,0,1] neg_hi:[0,0,1]
	s_delay_alu instid0(VALU_DEP_4) | instskip(NEXT) | instid1(VALU_DEP_4)
	v_dual_ashrrev_i32 v23, 31, v22 :: v_dual_mov_b32 v47, v53
	v_pk_add_f32 v[42:43], v[42:43], v[44:45]
	s_delay_alu instid0(VALU_DEP_4)
	v_pk_fma_f32 v[44:45], v[92:93], v[76:77], v[48:49] op_sel_hi:[1,0,1]
	v_pk_fma_f32 v[48:49], v[92:93], v[76:77], v[48:49] neg_lo:[0,0,1] neg_hi:[0,0,1]
	v_dual_ashrrev_i32 v25, 31, v24 :: v_dual_ashrrev_i32 v27, 31, v26
	v_ashrrev_i32_e32 v29, 31, v28
	v_pk_add_f32 v[42:43], v[42:43], v[46:47]
	v_dual_mov_b32 v49, v45 :: v_dual_ashrrev_i32 v31, 31, v30
	v_dual_ashrrev_i32 v33, 31, v32 :: v_dual_ashrrev_i32 v35, 31, v34
	v_ashrrev_i32_e32 v37, 31, v36
	s_delay_alu instid0(VALU_DEP_3) | instskip(SKIP_2) | instid1(VALU_DEP_2)
	v_pk_add_f32 v[42:43], v[42:43], v[48:49]
	v_dual_ashrrev_i32 v39, 31, v38 :: v_dual_ashrrev_i32 v41, 31, v40
	s_wait_loadcnt 0x0
	v_pk_add_f32 v[42:43], v[114:115], v[42:43] neg_lo:[0,1] neg_hi:[0,1]
	scratch_store_b64 off, v[42:43], off offset:8
	s_wait_xcnt 0x0
	v_cmpx_ne_u32_e32 0, v0
	s_cbranch_execz .LBB83_133
; %bb.132:
	scratch_load_b64 v[42:43], off, off
	v_mov_b64_e32 v[44:45], 0
	scratch_store_b64 off, v[44:45], off
	s_wait_loadcnt 0x0
	ds_store_b64 v1, v[42:43]
.LBB83_133:
	s_wait_xcnt 0x0
	s_or_b32 exec_lo, exec_lo, s0
	s_wait_storecnt_dscnt 0x0
	s_barrier_signal -1
	s_barrier_wait -1
	s_clause 0xa
	scratch_load_b128 v[44:47], off, off offset:8
	scratch_load_b128 v[48:51], off, off offset:24
	;; [unrolled: 1-line block ×9, first 2 shown]
	scratch_load_b64 v[0:1], off, off offset:152
	scratch_load_b64 v[116:117], off, off
	v_mov_b32_e32 v42, 0
	ds_load_2addr_b64 v[80:83], v42 offset0:31 offset1:32
	ds_load_2addr_b64 v[84:87], v42 offset0:33 offset1:34
	;; [unrolled: 1-line block ×9, first 2 shown]
	ds_load_b64 v[118:119], v42 offset:312
	s_and_b32 vcc_lo, exec_lo, s12
	s_wait_dscnt 0x9
	v_dual_mov_b32 v120, v83 :: v_dual_mov_b32 v121, v82
	s_wait_dscnt 0x6
	v_dual_mov_b32 v122, v87 :: v_dual_mov_b32 v127, v94
	v_dual_mov_b32 v123, v86 :: v_dual_mov_b32 v124, v91
	;; [unrolled: 1-line block ×3, first 2 shown]
	s_wait_loadcnt_dscnt 0xa05
	v_dual_mul_f32 v43, v96, v45 :: v_dual_mul_f32 v45, v97, v45
	s_wait_loadcnt_dscnt 0x904
	v_dual_mul_f32 v128, v98, v47 :: v_dual_mul_f32 v130, v100, v49
	;; [unrolled: 2-line block ×3, first 2 shown]
	v_dual_mul_f32 v47, v99, v47 :: v_dual_mul_f32 v57, v109, v57
	v_dual_fmac_f32 v43, v97, v44 :: v_dual_fma_f32 v44, v96, v44, -v45
	v_dual_mul_f32 v49, v101, v49 :: v_dual_mul_f32 v45, v111, v59
	s_delay_alu instid0(VALU_DEP_3) | instskip(NEXT) | instid1(VALU_DEP_3)
	v_dual_fmac_f32 v128, v99, v46 :: v_dual_fma_f32 v46, v98, v46, -v47
	v_dual_add_f32 v43, 0, v43 :: v_dual_add_f32 v44, 0, v44
	v_dual_mul_f32 v132, v102, v51 :: v_dual_mul_f32 v133, v104, v53
	s_wait_loadcnt_dscnt 0x601
	v_dual_mul_f32 v136, v110, v59 :: v_dual_mul_f32 v137, v112, v61
	v_dual_mul_f32 v51, v103, v51 :: v_dual_mul_f32 v59, v113, v61
	v_dual_fma_f32 v47, v100, v48, -v49 :: v_dual_fmac_f32 v130, v101, v48
	v_dual_add_f32 v44, v44, v46 :: v_dual_add_f32 v43, v43, v128
	s_delay_alu instid0(VALU_DEP_3) | instskip(SKIP_1) | instid1(VALU_DEP_3)
	v_dual_fma_f32 v46, v102, v50, -v51 :: v_dual_mul_f32 v53, v105, v53
	v_mul_f32_e32 v55, v107, v55
	v_dual_fmac_f32 v132, v103, v50 :: v_dual_add_f32 v44, v44, v47
	s_delay_alu instid0(VALU_DEP_4) | instskip(NEXT) | instid1(VALU_DEP_4)
	v_dual_add_f32 v43, v43, v130 :: v_dual_fmac_f32 v133, v105, v52
	v_dual_fma_f32 v47, v104, v52, -v53 :: v_dual_fmac_f32 v134, v107, v54
	s_delay_alu instid0(VALU_DEP_2) | instskip(SKIP_3) | instid1(VALU_DEP_2)
	v_dual_fma_f32 v48, v106, v54, -v55 :: v_dual_add_f32 v43, v43, v132
	s_wait_loadcnt 0x5
	v_dual_add_f32 v46, v44, v46 :: v_dual_mov_b32 v44, v67
	v_dual_fmac_f32 v135, v109, v56 :: v_dual_fma_f32 v51, v108, v56, -v57
	v_dual_add_f32 v43, v43, v133 :: v_dual_add_f32 v50, v46, v47
	v_fma_f32 v45, v110, v58, -v45
	v_dual_mul_f32 v129, v114, v63 :: v_dual_mul_f32 v131, v80, v65
	s_delay_alu instid0(VALU_DEP_3)
	v_dual_add_f32 v43, v43, v134 :: v_dual_add_f32 v50, v50, v48
	s_wait_loadcnt 0x4
	v_mov_b32_e32 v48, v71
	v_fmac_f32_e32 v136, v111, v58
	v_dual_mul_f32 v49, v115, v63 :: v_dual_mul_f32 v61, v81, v65
	v_dual_add_f32 v43, v43, v135 :: v_dual_fmac_f32 v137, v113, v60
	v_dual_add_f32 v52, v50, v51 :: v_dual_fma_f32 v54, v112, v60, -v59
	v_fmac_f32_e32 v129, v115, v62
	s_delay_alu instid0(VALU_DEP_3) | instskip(SKIP_1) | instid1(VALU_DEP_4)
	v_add_f32_e32 v43, v43, v136
	v_pk_mul_f32 v[46:47], v[84:85], v[68:69] op_sel:[1,1] op_sel_hi:[0,1]
	v_dual_add_f32 v52, v52, v45 :: v_dual_fma_f32 v128, v114, v62, -v49
	v_pk_mul_f32 v[44:45], v[120:121], v[44:45] op_sel_hi:[1,0]
	s_delay_alu instid0(VALU_DEP_4)
	v_dual_add_f32 v53, v43, v137 :: v_dual_fmac_f32 v131, v81, v64
	v_fma_f32 v130, v80, v64, -v61
	s_wait_loadcnt 0x3
	v_dual_add_f32 v52, v52, v54 :: v_dual_mov_b32 v54, v75
	v_pk_fma_f32 v[56:57], v[82:83], v[66:67], v[44:45] op_sel_hi:[1,0,1]
	v_pk_fma_f32 v[44:45], v[82:83], v[66:67], v[44:45] neg_lo:[0,0,1] neg_hi:[0,0,1]
	v_pk_fma_f32 v[58:59], v[84:85], v[68:69], v[46:47] op_sel_hi:[1,0,1]
	s_delay_alu instid0(VALU_DEP_4)
	v_pk_add_f32 v[52:53], v[52:53], v[128:129]
	v_pk_mul_f32 v[48:49], v[122:123], v[48:49] op_sel_hi:[1,0]
	v_mov_b32_e32 v45, v57
	v_pk_fma_f32 v[46:47], v[84:85], v[68:69], v[46:47] neg_lo:[0,0,1] neg_hi:[0,0,1]
	v_pk_mul_f32 v[50:51], v[88:89], v[72:73] op_sel:[1,1] op_sel_hi:[0,1]
	v_pk_add_f32 v[52:53], v[52:53], v[130:131]
	v_mov_b32_e32 v47, v59
	v_pk_fma_f32 v[58:59], v[86:87], v[70:71], v[48:49] op_sel_hi:[1,0,1]
	v_pk_fma_f32 v[48:49], v[86:87], v[70:71], v[48:49] neg_lo:[0,0,1] neg_hi:[0,0,1]
	v_pk_mul_f32 v[54:55], v[124:125], v[54:55] op_sel_hi:[1,0]
	v_pk_add_f32 v[44:45], v[52:53], v[44:45]
	v_pk_fma_f32 v[52:53], v[88:89], v[72:73], v[50:51] op_sel_hi:[1,0,1]
	v_mov_b32_e32 v49, v59
	v_pk_fma_f32 v[50:51], v[88:89], v[72:73], v[50:51] neg_lo:[0,0,1] neg_hi:[0,0,1]
	s_wait_loadcnt 0x2
	v_pk_mul_f32 v[56:57], v[92:93], v[76:77] op_sel:[1,1] op_sel_hi:[0,1]
	v_pk_add_f32 v[44:45], v[44:45], v[46:47]
	v_dual_mov_b32 v46, v79 :: v_dual_mov_b32 v51, v53
	v_pk_fma_f32 v[52:53], v[90:91], v[74:75], v[54:55] op_sel_hi:[1,0,1]
	v_pk_fma_f32 v[54:55], v[90:91], v[74:75], v[54:55] neg_lo:[0,0,1] neg_hi:[0,0,1]
	s_delay_alu instid0(VALU_DEP_4)
	v_pk_add_f32 v[44:45], v[44:45], v[48:49]
	v_pk_fma_f32 v[48:49], v[92:93], v[76:77], v[56:57] op_sel_hi:[1,0,1]
	v_pk_mul_f32 v[46:47], v[126:127], v[46:47] op_sel_hi:[1,0]
	v_mov_b32_e32 v55, v53
	v_pk_fma_f32 v[52:53], v[92:93], v[76:77], v[56:57] neg_lo:[0,0,1] neg_hi:[0,0,1]
	v_pk_add_f32 v[44:45], v[44:45], v[50:51]
	s_wait_loadcnt_dscnt 0x100
	v_pk_mul_f32 v[50:51], v[118:119], v[0:1] op_sel:[1,1] op_sel_hi:[0,1]
	v_mov_b32_e32 v53, v49
	v_pk_fma_f32 v[48:49], v[94:95], v[78:79], v[46:47] op_sel_hi:[1,0,1]
	v_pk_fma_f32 v[46:47], v[94:95], v[78:79], v[46:47] neg_lo:[0,0,1] neg_hi:[0,0,1]
	v_pk_add_f32 v[44:45], v[44:45], v[54:55]
	v_pk_fma_f32 v[54:55], v[118:119], v[0:1], v[50:51] op_sel_hi:[1,0,1]
	v_pk_fma_f32 v[0:1], v[118:119], v[0:1], v[50:51] neg_lo:[0,0,1] neg_hi:[0,0,1]
	v_mov_b32_e32 v47, v49
	s_delay_alu instid0(VALU_DEP_4) | instskip(NEXT) | instid1(VALU_DEP_4)
	v_pk_add_f32 v[44:45], v[44:45], v[52:53]
	v_mov_b32_e32 v1, v55
	s_delay_alu instid0(VALU_DEP_2) | instskip(NEXT) | instid1(VALU_DEP_1)
	v_pk_add_f32 v[44:45], v[44:45], v[46:47]
	v_pk_add_f32 v[0:1], v[44:45], v[0:1]
	s_wait_loadcnt 0x0
	s_delay_alu instid0(VALU_DEP_1)
	v_pk_add_f32 v[0:1], v[116:117], v[0:1] neg_lo:[0,1] neg_hi:[0,1]
	scratch_store_b64 off, v[0:1], off
	s_cbranch_vccz .LBB83_172
; %bb.134:
	global_load_b32 v0, v42, s[8:9] offset:72
	s_wait_loadcnt 0x0
	v_cmp_ne_u32_e32 vcc_lo, 19, v0
	s_cbranch_vccz .LBB83_136
; %bb.135:
	v_lshlrev_b32_e32 v0, 3, v0
	s_delay_alu instid0(VALU_DEP_1)
	v_mov_b32_e32 v44, v0
	scratch_load_b64 v[0:1], v44, off offset:-8
	scratch_load_b64 v[42:43], off, off offset:144
	s_wait_loadcnt 0x1
	scratch_store_b64 off, v[0:1], off offset:144
	s_wait_loadcnt 0x0
	scratch_store_b64 v44, v[42:43], off offset:-8
.LBB83_136:
	s_wait_xcnt 0x1
	v_mov_b32_e32 v0, 0
	global_load_b32 v1, v0, s[8:9] offset:68
	s_wait_loadcnt 0x0
	v_cmp_eq_u32_e32 vcc_lo, 18, v1
	s_cbranch_vccnz .LBB83_138
; %bb.137:
	v_lshlrev_b32_e32 v1, 3, v1
	scratch_load_b64 v[42:43], v1, off offset:-8
	scratch_load_b64 v[44:45], off, off offset:136
	s_wait_loadcnt 0x1
	scratch_store_b64 off, v[42:43], off offset:136
	s_wait_loadcnt 0x0
	scratch_store_b64 v1, v[44:45], off offset:-8
.LBB83_138:
	global_load_b32 v0, v0, s[8:9] offset:64
	s_wait_loadcnt 0x0
	v_cmp_eq_u32_e32 vcc_lo, 17, v0
	s_cbranch_vccnz .LBB83_140
; %bb.139:
	s_wait_xcnt 0x0
	v_lshlrev_b32_e32 v0, 3, v0
	s_delay_alu instid0(VALU_DEP_1)
	v_mov_b32_e32 v44, v0
	scratch_load_b64 v[0:1], v44, off offset:-8
	scratch_load_b64 v[42:43], off, off offset:128
	s_wait_loadcnt 0x1
	scratch_store_b64 off, v[0:1], off offset:128
	s_wait_loadcnt 0x0
	scratch_store_b64 v44, v[42:43], off offset:-8
.LBB83_140:
	s_wait_xcnt 0x0
	v_mov_b32_e32 v0, 0
	global_load_b32 v1, v0, s[8:9] offset:60
	s_wait_loadcnt 0x0
	v_cmp_eq_u32_e32 vcc_lo, 16, v1
	s_cbranch_vccnz .LBB83_142
; %bb.141:
	v_lshlrev_b32_e32 v1, 3, v1
	scratch_load_b64 v[42:43], v1, off offset:-8
	scratch_load_b64 v[44:45], off, off offset:120
	s_wait_loadcnt 0x1
	scratch_store_b64 off, v[42:43], off offset:120
	s_wait_loadcnt 0x0
	scratch_store_b64 v1, v[44:45], off offset:-8
.LBB83_142:
	global_load_b32 v0, v0, s[8:9] offset:56
	s_wait_loadcnt 0x0
	v_cmp_eq_u32_e32 vcc_lo, 15, v0
	s_cbranch_vccnz .LBB83_144
; %bb.143:
	s_wait_xcnt 0x0
	v_lshlrev_b32_e32 v0, 3, v0
	s_delay_alu instid0(VALU_DEP_1)
	v_mov_b32_e32 v44, v0
	scratch_load_b64 v[0:1], v44, off offset:-8
	scratch_load_b64 v[42:43], off, off offset:112
	s_wait_loadcnt 0x1
	scratch_store_b64 off, v[0:1], off offset:112
	s_wait_loadcnt 0x0
	scratch_store_b64 v44, v[42:43], off offset:-8
.LBB83_144:
	s_wait_xcnt 0x0
	v_mov_b32_e32 v0, 0
	global_load_b32 v1, v0, s[8:9] offset:52
	s_wait_loadcnt 0x0
	v_cmp_eq_u32_e32 vcc_lo, 14, v1
	s_cbranch_vccnz .LBB83_146
; %bb.145:
	v_lshlrev_b32_e32 v1, 3, v1
	scratch_load_b64 v[42:43], v1, off offset:-8
	scratch_load_b64 v[44:45], off, off offset:104
	s_wait_loadcnt 0x1
	scratch_store_b64 off, v[42:43], off offset:104
	s_wait_loadcnt 0x0
	scratch_store_b64 v1, v[44:45], off offset:-8
.LBB83_146:
	global_load_b32 v0, v0, s[8:9] offset:48
	s_wait_loadcnt 0x0
	v_cmp_eq_u32_e32 vcc_lo, 13, v0
	s_cbranch_vccnz .LBB83_148
; %bb.147:
	s_wait_xcnt 0x0
	v_lshlrev_b32_e32 v0, 3, v0
	s_delay_alu instid0(VALU_DEP_1)
	v_mov_b32_e32 v44, v0
	scratch_load_b64 v[0:1], v44, off offset:-8
	scratch_load_b64 v[42:43], off, off offset:96
	s_wait_loadcnt 0x1
	scratch_store_b64 off, v[0:1], off offset:96
	s_wait_loadcnt 0x0
	scratch_store_b64 v44, v[42:43], off offset:-8
.LBB83_148:
	s_wait_xcnt 0x0
	v_mov_b32_e32 v0, 0
	global_load_b32 v1, v0, s[8:9] offset:44
	s_wait_loadcnt 0x0
	v_cmp_eq_u32_e32 vcc_lo, 12, v1
	s_cbranch_vccnz .LBB83_150
; %bb.149:
	v_lshlrev_b32_e32 v1, 3, v1
	scratch_load_b64 v[42:43], v1, off offset:-8
	scratch_load_b64 v[44:45], off, off offset:88
	s_wait_loadcnt 0x1
	scratch_store_b64 off, v[42:43], off offset:88
	s_wait_loadcnt 0x0
	scratch_store_b64 v1, v[44:45], off offset:-8
.LBB83_150:
	global_load_b32 v0, v0, s[8:9] offset:40
	s_wait_loadcnt 0x0
	v_cmp_eq_u32_e32 vcc_lo, 11, v0
	s_cbranch_vccnz .LBB83_152
; %bb.151:
	s_wait_xcnt 0x0
	v_lshlrev_b32_e32 v0, 3, v0
	s_delay_alu instid0(VALU_DEP_1)
	v_mov_b32_e32 v44, v0
	scratch_load_b64 v[0:1], v44, off offset:-8
	scratch_load_b64 v[42:43], off, off offset:80
	s_wait_loadcnt 0x1
	scratch_store_b64 off, v[0:1], off offset:80
	s_wait_loadcnt 0x0
	scratch_store_b64 v44, v[42:43], off offset:-8
.LBB83_152:
	s_wait_xcnt 0x0
	v_mov_b32_e32 v0, 0
	global_load_b32 v1, v0, s[8:9] offset:36
	s_wait_loadcnt 0x0
	v_cmp_eq_u32_e32 vcc_lo, 10, v1
	s_cbranch_vccnz .LBB83_154
; %bb.153:
	v_lshlrev_b32_e32 v1, 3, v1
	scratch_load_b64 v[42:43], v1, off offset:-8
	scratch_load_b64 v[44:45], off, off offset:72
	s_wait_loadcnt 0x1
	scratch_store_b64 off, v[42:43], off offset:72
	s_wait_loadcnt 0x0
	scratch_store_b64 v1, v[44:45], off offset:-8
.LBB83_154:
	global_load_b32 v0, v0, s[8:9] offset:32
	s_wait_loadcnt 0x0
	v_cmp_eq_u32_e32 vcc_lo, 9, v0
	s_cbranch_vccnz .LBB83_156
; %bb.155:
	s_wait_xcnt 0x0
	v_lshlrev_b32_e32 v0, 3, v0
	s_delay_alu instid0(VALU_DEP_1)
	v_mov_b32_e32 v44, v0
	scratch_load_b64 v[0:1], v44, off offset:-8
	scratch_load_b64 v[42:43], off, off offset:64
	s_wait_loadcnt 0x1
	scratch_store_b64 off, v[0:1], off offset:64
	s_wait_loadcnt 0x0
	scratch_store_b64 v44, v[42:43], off offset:-8
.LBB83_156:
	s_wait_xcnt 0x0
	v_mov_b32_e32 v0, 0
	global_load_b32 v1, v0, s[8:9] offset:28
	s_wait_loadcnt 0x0
	v_cmp_eq_u32_e32 vcc_lo, 8, v1
	s_cbranch_vccnz .LBB83_158
; %bb.157:
	v_lshlrev_b32_e32 v1, 3, v1
	scratch_load_b64 v[42:43], v1, off offset:-8
	scratch_load_b64 v[44:45], off, off offset:56
	s_wait_loadcnt 0x1
	scratch_store_b64 off, v[42:43], off offset:56
	s_wait_loadcnt 0x0
	scratch_store_b64 v1, v[44:45], off offset:-8
.LBB83_158:
	global_load_b32 v0, v0, s[8:9] offset:24
	s_wait_loadcnt 0x0
	v_cmp_eq_u32_e32 vcc_lo, 7, v0
	s_cbranch_vccnz .LBB83_160
; %bb.159:
	s_wait_xcnt 0x0
	v_lshlrev_b32_e32 v0, 3, v0
	s_delay_alu instid0(VALU_DEP_1)
	v_mov_b32_e32 v44, v0
	scratch_load_b64 v[0:1], v44, off offset:-8
	scratch_load_b64 v[42:43], off, off offset:48
	s_wait_loadcnt 0x1
	scratch_store_b64 off, v[0:1], off offset:48
	s_wait_loadcnt 0x0
	scratch_store_b64 v44, v[42:43], off offset:-8
.LBB83_160:
	s_wait_xcnt 0x0
	v_mov_b32_e32 v0, 0
	global_load_b32 v1, v0, s[8:9] offset:20
	s_wait_loadcnt 0x0
	v_cmp_eq_u32_e32 vcc_lo, 6, v1
	s_cbranch_vccnz .LBB83_162
; %bb.161:
	v_lshlrev_b32_e32 v1, 3, v1
	scratch_load_b64 v[42:43], v1, off offset:-8
	scratch_load_b64 v[44:45], off, off offset:40
	s_wait_loadcnt 0x1
	scratch_store_b64 off, v[42:43], off offset:40
	s_wait_loadcnt 0x0
	scratch_store_b64 v1, v[44:45], off offset:-8
.LBB83_162:
	global_load_b32 v0, v0, s[8:9] offset:16
	s_wait_loadcnt 0x0
	v_cmp_eq_u32_e32 vcc_lo, 5, v0
	s_cbranch_vccnz .LBB83_164
; %bb.163:
	s_wait_xcnt 0x0
	v_lshlrev_b32_e32 v0, 3, v0
	s_delay_alu instid0(VALU_DEP_1)
	v_mov_b32_e32 v44, v0
	scratch_load_b64 v[0:1], v44, off offset:-8
	scratch_load_b64 v[42:43], off, off offset:32
	s_wait_loadcnt 0x1
	scratch_store_b64 off, v[0:1], off offset:32
	s_wait_loadcnt 0x0
	scratch_store_b64 v44, v[42:43], off offset:-8
.LBB83_164:
	s_wait_xcnt 0x0
	v_mov_b32_e32 v0, 0
	global_load_b32 v1, v0, s[8:9] offset:12
	s_wait_loadcnt 0x0
	v_cmp_eq_u32_e32 vcc_lo, 4, v1
	s_cbranch_vccnz .LBB83_166
; %bb.165:
	v_lshlrev_b32_e32 v1, 3, v1
	scratch_load_b64 v[42:43], v1, off offset:-8
	scratch_load_b64 v[44:45], off, off offset:24
	s_wait_loadcnt 0x1
	scratch_store_b64 off, v[42:43], off offset:24
	s_wait_loadcnt 0x0
	scratch_store_b64 v1, v[44:45], off offset:-8
.LBB83_166:
	global_load_b32 v0, v0, s[8:9] offset:8
	s_wait_loadcnt 0x0
	v_cmp_eq_u32_e32 vcc_lo, 3, v0
	s_cbranch_vccnz .LBB83_168
; %bb.167:
	s_wait_xcnt 0x0
	v_lshlrev_b32_e32 v0, 3, v0
	s_delay_alu instid0(VALU_DEP_1)
	v_mov_b32_e32 v44, v0
	scratch_load_b64 v[0:1], v44, off offset:-8
	scratch_load_b64 v[42:43], off, off offset:16
	s_wait_loadcnt 0x1
	scratch_store_b64 off, v[0:1], off offset:16
	s_wait_loadcnt 0x0
	scratch_store_b64 v44, v[42:43], off offset:-8
.LBB83_168:
	s_wait_xcnt 0x0
	v_mov_b32_e32 v0, 0
	global_load_b32 v1, v0, s[8:9] offset:4
	s_wait_loadcnt 0x0
	v_cmp_eq_u32_e32 vcc_lo, 2, v1
	s_cbranch_vccnz .LBB83_170
; %bb.169:
	v_lshlrev_b32_e32 v1, 3, v1
	scratch_load_b64 v[42:43], v1, off offset:-8
	scratch_load_b64 v[44:45], off, off offset:8
	s_wait_loadcnt 0x1
	scratch_store_b64 off, v[42:43], off offset:8
	s_wait_loadcnt 0x0
	scratch_store_b64 v1, v[44:45], off offset:-8
.LBB83_170:
	global_load_b32 v42, v0, s[8:9]
	scratch_load_b64 v[0:1], off, off
	s_wait_loadcnt 0x1
	v_cmp_eq_u32_e32 vcc_lo, 1, v42
	s_cbranch_vccnz .LBB83_172
; %bb.171:
	v_lshlrev_b32_e32 v42, 3, v42
	s_delay_alu instid0(VALU_DEP_1)
	v_mov_b32_e32 v44, v42
	scratch_load_b64 v[42:43], v44, off offset:-8
	s_wait_loadcnt 0x0
	scratch_store_b64 off, v[42:43], off
	scratch_store_b64 v44, v[0:1], off offset:-8
	scratch_load_b64 v[0:1], off, off
.LBB83_172:
	s_wait_loadcnt 0x0
	flat_store_b64 v[2:3], v[0:1]
	scratch_load_b64 v[0:1], off, off offset:8
	v_lshl_add_u64 v[58:59], v[6:7], 3, s[2:3]
	v_lshl_add_u64 v[56:57], v[8:9], 3, s[2:3]
	v_lshl_add_u64 v[54:55], v[10:11], 3, s[2:3]
	v_lshl_add_u64 v[52:53], v[12:13], 3, s[2:3]
	v_lshl_add_u64 v[50:51], v[14:15], 3, s[2:3]
	v_lshl_add_u64 v[48:49], v[16:17], 3, s[2:3]
	v_lshl_add_u64 v[46:47], v[18:19], 3, s[2:3]
	v_lshl_add_u64 v[44:45], v[20:21], 3, s[2:3]
	v_lshl_add_u64 v[42:43], v[22:23], 3, s[2:3]
	v_lshl_add_u64 v[22:23], v[24:25], 3, s[2:3]
	v_lshl_add_u64 v[20:21], v[26:27], 3, s[2:3]
	v_lshl_add_u64 v[18:19], v[28:29], 3, s[2:3]
	v_lshl_add_u64 v[16:17], v[30:31], 3, s[2:3]
	v_lshl_add_u64 v[14:15], v[32:33], 3, s[2:3]
	v_lshl_add_u64 v[12:13], v[34:35], 3, s[2:3]
	v_lshl_add_u64 v[10:11], v[36:37], 3, s[2:3]
	v_lshl_add_u64 v[8:9], v[38:39], 3, s[2:3]
	v_lshl_add_u64 v[6:7], v[40:41], 3, s[2:3]
	s_wait_loadcnt 0x0
	flat_store_b64 v[4:5], v[0:1]
	scratch_load_b64 v[0:1], off, off offset:16
	s_wait_loadcnt 0x0
	flat_store_b64 v[58:59], v[0:1]
	scratch_load_b64 v[0:1], off, off offset:24
	;; [unrolled: 3-line block ×18, first 2 shown]
	s_wait_loadcnt 0x0
	flat_store_b64 v[6:7], v[0:1]
	s_sendmsg sendmsg(MSG_DEALLOC_VGPRS)
	s_endpgm
	.section	.rodata,"a",@progbits
	.p2align	6, 0x0
	.amdhsa_kernel _ZN9rocsolver6v33100L18getri_kernel_smallILi20E19rocblas_complex_numIfEPKPS3_EEvT1_iilPiilS8_bb
		.amdhsa_group_segment_fixed_size 324
		.amdhsa_private_segment_fixed_size 176
		.amdhsa_kernarg_size 60
		.amdhsa_user_sgpr_count 2
		.amdhsa_user_sgpr_dispatch_ptr 0
		.amdhsa_user_sgpr_queue_ptr 0
		.amdhsa_user_sgpr_kernarg_segment_ptr 1
		.amdhsa_user_sgpr_dispatch_id 0
		.amdhsa_user_sgpr_kernarg_preload_length 0
		.amdhsa_user_sgpr_kernarg_preload_offset 0
		.amdhsa_user_sgpr_private_segment_size 0
		.amdhsa_wavefront_size32 1
		.amdhsa_uses_dynamic_stack 0
		.amdhsa_enable_private_segment 1
		.amdhsa_system_sgpr_workgroup_id_x 1
		.amdhsa_system_sgpr_workgroup_id_y 0
		.amdhsa_system_sgpr_workgroup_id_z 0
		.amdhsa_system_sgpr_workgroup_info 0
		.amdhsa_system_vgpr_workitem_id 0
		.amdhsa_next_free_vgpr 138
		.amdhsa_next_free_sgpr 19
		.amdhsa_named_barrier_count 0
		.amdhsa_reserve_vcc 1
		.amdhsa_float_round_mode_32 0
		.amdhsa_float_round_mode_16_64 0
		.amdhsa_float_denorm_mode_32 3
		.amdhsa_float_denorm_mode_16_64 3
		.amdhsa_fp16_overflow 0
		.amdhsa_memory_ordered 1
		.amdhsa_forward_progress 1
		.amdhsa_inst_pref_size 175
		.amdhsa_round_robin_scheduling 0
		.amdhsa_exception_fp_ieee_invalid_op 0
		.amdhsa_exception_fp_denorm_src 0
		.amdhsa_exception_fp_ieee_div_zero 0
		.amdhsa_exception_fp_ieee_overflow 0
		.amdhsa_exception_fp_ieee_underflow 0
		.amdhsa_exception_fp_ieee_inexact 0
		.amdhsa_exception_int_div_zero 0
	.end_amdhsa_kernel
	.section	.text._ZN9rocsolver6v33100L18getri_kernel_smallILi20E19rocblas_complex_numIfEPKPS3_EEvT1_iilPiilS8_bb,"axG",@progbits,_ZN9rocsolver6v33100L18getri_kernel_smallILi20E19rocblas_complex_numIfEPKPS3_EEvT1_iilPiilS8_bb,comdat
.Lfunc_end83:
	.size	_ZN9rocsolver6v33100L18getri_kernel_smallILi20E19rocblas_complex_numIfEPKPS3_EEvT1_iilPiilS8_bb, .Lfunc_end83-_ZN9rocsolver6v33100L18getri_kernel_smallILi20E19rocblas_complex_numIfEPKPS3_EEvT1_iilPiilS8_bb
                                        ; -- End function
	.set _ZN9rocsolver6v33100L18getri_kernel_smallILi20E19rocblas_complex_numIfEPKPS3_EEvT1_iilPiilS8_bb.num_vgpr, 138
	.set _ZN9rocsolver6v33100L18getri_kernel_smallILi20E19rocblas_complex_numIfEPKPS3_EEvT1_iilPiilS8_bb.num_agpr, 0
	.set _ZN9rocsolver6v33100L18getri_kernel_smallILi20E19rocblas_complex_numIfEPKPS3_EEvT1_iilPiilS8_bb.numbered_sgpr, 19
	.set _ZN9rocsolver6v33100L18getri_kernel_smallILi20E19rocblas_complex_numIfEPKPS3_EEvT1_iilPiilS8_bb.num_named_barrier, 0
	.set _ZN9rocsolver6v33100L18getri_kernel_smallILi20E19rocblas_complex_numIfEPKPS3_EEvT1_iilPiilS8_bb.private_seg_size, 176
	.set _ZN9rocsolver6v33100L18getri_kernel_smallILi20E19rocblas_complex_numIfEPKPS3_EEvT1_iilPiilS8_bb.uses_vcc, 1
	.set _ZN9rocsolver6v33100L18getri_kernel_smallILi20E19rocblas_complex_numIfEPKPS3_EEvT1_iilPiilS8_bb.uses_flat_scratch, 1
	.set _ZN9rocsolver6v33100L18getri_kernel_smallILi20E19rocblas_complex_numIfEPKPS3_EEvT1_iilPiilS8_bb.has_dyn_sized_stack, 0
	.set _ZN9rocsolver6v33100L18getri_kernel_smallILi20E19rocblas_complex_numIfEPKPS3_EEvT1_iilPiilS8_bb.has_recursion, 0
	.set _ZN9rocsolver6v33100L18getri_kernel_smallILi20E19rocblas_complex_numIfEPKPS3_EEvT1_iilPiilS8_bb.has_indirect_call, 0
	.section	.AMDGPU.csdata,"",@progbits
; Kernel info:
; codeLenInByte = 22300
; TotalNumSgprs: 21
; NumVgprs: 138
; ScratchSize: 176
; MemoryBound: 0
; FloatMode: 240
; IeeeMode: 1
; LDSByteSize: 324 bytes/workgroup (compile time only)
; SGPRBlocks: 0
; VGPRBlocks: 8
; NumSGPRsForWavesPerEU: 21
; NumVGPRsForWavesPerEU: 138
; NamedBarCnt: 0
; Occupancy: 7
; WaveLimiterHint : 1
; COMPUTE_PGM_RSRC2:SCRATCH_EN: 1
; COMPUTE_PGM_RSRC2:USER_SGPR: 2
; COMPUTE_PGM_RSRC2:TRAP_HANDLER: 0
; COMPUTE_PGM_RSRC2:TGID_X_EN: 1
; COMPUTE_PGM_RSRC2:TGID_Y_EN: 0
; COMPUTE_PGM_RSRC2:TGID_Z_EN: 0
; COMPUTE_PGM_RSRC2:TIDIG_COMP_CNT: 0
	.section	.text._ZN9rocsolver6v33100L18getri_kernel_smallILi21E19rocblas_complex_numIfEPKPS3_EEvT1_iilPiilS8_bb,"axG",@progbits,_ZN9rocsolver6v33100L18getri_kernel_smallILi21E19rocblas_complex_numIfEPKPS3_EEvT1_iilPiilS8_bb,comdat
	.globl	_ZN9rocsolver6v33100L18getri_kernel_smallILi21E19rocblas_complex_numIfEPKPS3_EEvT1_iilPiilS8_bb ; -- Begin function _ZN9rocsolver6v33100L18getri_kernel_smallILi21E19rocblas_complex_numIfEPKPS3_EEvT1_iilPiilS8_bb
	.p2align	8
	.type	_ZN9rocsolver6v33100L18getri_kernel_smallILi21E19rocblas_complex_numIfEPKPS3_EEvT1_iilPiilS8_bb,@function
_ZN9rocsolver6v33100L18getri_kernel_smallILi21E19rocblas_complex_numIfEPKPS3_EEvT1_iilPiilS8_bb: ; @_ZN9rocsolver6v33100L18getri_kernel_smallILi21E19rocblas_complex_numIfEPKPS3_EEvT1_iilPiilS8_bb
; %bb.0:
	s_mov_b32 s2, exec_lo
	v_cmpx_gt_u32_e32 21, v0
	s_cbranch_execz .LBB84_98
; %bb.1:
	s_clause 0x1
	s_load_b32 s13, s[0:1], 0x38
	s_load_b64 s[2:3], s[0:1], 0x0
	s_getreg_b32 s6, hwreg(HW_REG_IB_STS2, 6, 4)
	s_wait_kmcnt 0x0
	s_bitcmp1_b32 s13, 8
	s_cselect_b32 s12, -1, 0
	s_bfe_u32 s4, ttmp6, 0x4000c
	s_and_b32 s5, ttmp6, 15
	s_add_co_i32 s4, s4, 1
	s_delay_alu instid0(SALU_CYCLE_1) | instskip(NEXT) | instid1(SALU_CYCLE_1)
	s_mul_i32 s4, ttmp9, s4
	s_add_co_i32 s5, s5, s4
	s_cmp_eq_u32 s6, 0
	s_cselect_b32 s10, ttmp9, s5
	s_load_b128 s[4:7], s[0:1], 0x28
	s_ashr_i32 s11, s10, 31
	s_delay_alu instid0(SALU_CYCLE_1) | instskip(NEXT) | instid1(SALU_CYCLE_1)
	s_lshl_b64 s[8:9], s[10:11], 3
	s_add_nc_u64 s[2:3], s[2:3], s[8:9]
	s_bfe_u32 s8, s13, 0x10008
	s_load_b64 s[2:3], s[2:3], 0x0
	s_cmp_eq_u32 s8, 0
                                        ; implicit-def: $sgpr8_sgpr9
	s_cbranch_scc1 .LBB84_3
; %bb.2:
	s_load_b96 s[16:18], s[0:1], 0x18
	s_wait_kmcnt 0x0
	s_mul_u64 s[4:5], s[4:5], s[10:11]
	s_delay_alu instid0(SALU_CYCLE_1) | instskip(SKIP_4) | instid1(SALU_CYCLE_1)
	s_lshl_b64 s[4:5], s[4:5], 2
	s_ashr_i32 s9, s18, 31
	s_mov_b32 s8, s18
	s_add_nc_u64 s[4:5], s[16:17], s[4:5]
	s_lshl_b64 s[8:9], s[8:9], 2
	s_add_nc_u64 s[8:9], s[4:5], s[8:9]
.LBB84_3:
	s_wait_kmcnt 0x0
	s_clause 0x1
	s_load_b64 s[4:5], s[0:1], 0x8
	s_load_b32 s13, s[0:1], 0x38
	v_dual_mov_b32 v45, 0 :: v_dual_lshlrev_b32 v44, 3, v0
	s_wait_kmcnt 0x0
	s_ashr_i32 s1, s4, 31
	s_mov_b32 s0, s4
	s_delay_alu instid0(SALU_CYCLE_1) | instskip(NEXT) | instid1(SALU_CYCLE_1)
	s_lshl_b64 s[0:1], s[0:1], 3
	s_add_nc_u64 s[2:3], s[2:3], s[0:1]
	s_ashr_i32 s1, s5, 31
	flat_load_b64 v[6:7], v0, s[2:3] scale_offset
	v_add_nc_u64_e32 v[2:3], s[2:3], v[44:45]
	s_mov_b32 s0, s5
	s_bitcmp0_b32 s13, 0
	s_delay_alu instid0(VALU_DEP_1)
	v_lshl_add_u64 v[4:5], s[0:1], 3, v[2:3]
	s_mov_b32 s1, -1
	s_wait_loadcnt_dscnt 0x0
	scratch_store_b64 off, v[6:7], off
	flat_load_b64 v[8:9], v[4:5]
	s_wait_xcnt 0x1
	v_add3_u32 v6, s5, s5, v0
	s_wait_loadcnt_dscnt 0x0
	scratch_store_b64 off, v[8:9], off offset:8
	flat_load_b64 v[10:11], v6, s[2:3] scale_offset
	s_wait_xcnt 0x1
	v_add_nc_u32_e32 v8, s5, v6
	s_wait_loadcnt_dscnt 0x0
	scratch_store_b64 off, v[10:11], off offset:16
	flat_load_b64 v[12:13], v8, s[2:3] scale_offset
	s_wait_xcnt 0x1
	v_add_nc_u32_e32 v10, s5, v8
	;; [unrolled: 5-line block ×18, first 2 shown]
	s_wait_loadcnt_dscnt 0x0
	scratch_store_b64 off, v[46:47], off offset:152
	flat_load_b64 v[46:47], v42, s[2:3] scale_offset
	s_wait_loadcnt_dscnt 0x0
	scratch_store_b64 off, v[46:47], off offset:160
	s_cbranch_scc1 .LBB84_96
; %bb.4:
	v_cmp_eq_u32_e64 s0, 0, v0
	s_wait_xcnt 0x0
	s_and_saveexec_b32 s1, s0
; %bb.5:
	v_mov_b32_e32 v1, 0
	ds_store_b32 v1, v1 offset:168
; %bb.6:
	s_or_b32 exec_lo, exec_lo, s1
	s_wait_storecnt_dscnt 0x0
	s_barrier_signal -1
	s_barrier_wait -1
	scratch_load_b64 v[46:47], v0, off scale_offset
	s_wait_loadcnt 0x0
	v_cmp_eq_f32_e32 vcc_lo, 0, v46
	v_cmp_eq_f32_e64 s1, 0, v47
	s_and_b32 s1, vcc_lo, s1
	s_delay_alu instid0(SALU_CYCLE_1)
	s_and_saveexec_b32 s4, s1
	s_cbranch_execz .LBB84_10
; %bb.7:
	v_mov_b32_e32 v1, 0
	s_mov_b32 s5, 0
	ds_load_b32 v7, v1 offset:168
	s_wait_dscnt 0x0
	v_readfirstlane_b32 s1, v7
	v_add_nc_u32_e32 v7, 1, v0
	s_cmp_eq_u32 s1, 0
	s_delay_alu instid0(VALU_DEP_1) | instskip(SKIP_1) | instid1(SALU_CYCLE_1)
	v_cmp_gt_i32_e32 vcc_lo, s1, v7
	s_cselect_b32 s13, -1, 0
	s_or_b32 s13, s13, vcc_lo
	s_delay_alu instid0(SALU_CYCLE_1)
	s_and_b32 exec_lo, exec_lo, s13
	s_cbranch_execz .LBB84_10
; %bb.8:
	v_mov_b32_e32 v9, s1
.LBB84_9:                               ; =>This Inner Loop Header: Depth=1
	ds_cmpstore_rtn_b32 v9, v1, v7, v9 offset:168
	s_wait_dscnt 0x0
	v_cmp_ne_u32_e32 vcc_lo, 0, v9
	v_cmp_le_i32_e64 s1, v9, v7
	s_and_b32 s1, vcc_lo, s1
	s_delay_alu instid0(SALU_CYCLE_1) | instskip(NEXT) | instid1(SALU_CYCLE_1)
	s_and_b32 s1, exec_lo, s1
	s_or_b32 s5, s1, s5
	s_delay_alu instid0(SALU_CYCLE_1)
	s_and_not1_b32 exec_lo, exec_lo, s5
	s_cbranch_execnz .LBB84_9
.LBB84_10:
	s_or_b32 exec_lo, exec_lo, s4
	v_mov_b32_e32 v1, 0
	s_barrier_signal -1
	s_barrier_wait -1
	ds_load_b32 v7, v1 offset:168
	s_and_saveexec_b32 s1, s0
	s_cbranch_execz .LBB84_12
; %bb.11:
	s_lshl_b64 s[4:5], s[10:11], 2
	s_delay_alu instid0(SALU_CYCLE_1)
	s_add_nc_u64 s[4:5], s[6:7], s[4:5]
	s_wait_dscnt 0x0
	global_store_b32 v1, v7, s[4:5]
.LBB84_12:
	s_wait_xcnt 0x0
	s_or_b32 exec_lo, exec_lo, s1
	s_wait_dscnt 0x0
	v_cmp_ne_u32_e32 vcc_lo, 0, v7
	s_mov_b32 s1, 0
	s_cbranch_vccnz .LBB84_96
; %bb.13:
	v_lshl_add_u32 v7, v0, 3, 0
                                        ; implicit-def: $vgpr49
                                        ; implicit-def: $vgpr50
	scratch_load_b64 v[46:47], v7, off
	s_wait_loadcnt 0x0
	v_cmp_ngt_f32_e64 s1, |v46|, |v47|
	s_wait_xcnt 0x0
	s_and_saveexec_b32 s4, s1
	s_delay_alu instid0(SALU_CYCLE_1)
	s_xor_b32 s1, exec_lo, s4
	s_cbranch_execz .LBB84_15
; %bb.14:
	v_div_scale_f32 v1, null, v47, v47, v46
	v_div_scale_f32 v13, vcc_lo, v46, v47, v46
	s_delay_alu instid0(VALU_DEP_2) | instskip(SKIP_1) | instid1(TRANS32_DEP_1)
	v_rcp_f32_e32 v9, v1
	v_nop
	v_fma_f32 v11, -v1, v9, 1.0
	s_delay_alu instid0(VALU_DEP_1) | instskip(NEXT) | instid1(VALU_DEP_1)
	v_fmac_f32_e32 v9, v11, v9
	v_mul_f32_e32 v11, v13, v9
	s_delay_alu instid0(VALU_DEP_1) | instskip(NEXT) | instid1(VALU_DEP_1)
	v_fma_f32 v15, -v1, v11, v13
	v_fmac_f32_e32 v11, v15, v9
	s_delay_alu instid0(VALU_DEP_1) | instskip(NEXT) | instid1(VALU_DEP_1)
	v_fma_f32 v1, -v1, v11, v13
	v_div_fmas_f32 v1, v1, v9, v11
	s_delay_alu instid0(VALU_DEP_1) | instskip(NEXT) | instid1(VALU_DEP_1)
	v_div_fixup_f32 v1, v1, v47, v46
	v_fmac_f32_e32 v47, v46, v1
	s_delay_alu instid0(VALU_DEP_1) | instskip(NEXT) | instid1(VALU_DEP_1)
	v_div_scale_f32 v9, null, v47, v47, -1.0
	v_rcp_f32_e32 v11, v9
	v_nop
	s_delay_alu instid0(TRANS32_DEP_1) | instskip(NEXT) | instid1(VALU_DEP_1)
	v_fma_f32 v13, -v9, v11, 1.0
	v_fmac_f32_e32 v11, v13, v11
	v_div_scale_f32 v13, vcc_lo, -1.0, v47, -1.0
	s_delay_alu instid0(VALU_DEP_1) | instskip(NEXT) | instid1(VALU_DEP_1)
	v_mul_f32_e32 v15, v13, v11
	v_fma_f32 v17, -v9, v15, v13
	s_delay_alu instid0(VALU_DEP_1) | instskip(NEXT) | instid1(VALU_DEP_1)
	v_fmac_f32_e32 v15, v17, v11
	v_fma_f32 v9, -v9, v15, v13
	s_delay_alu instid0(VALU_DEP_1) | instskip(NEXT) | instid1(VALU_DEP_1)
	v_div_fmas_f32 v9, v9, v11, v15
	v_div_fixup_f32 v49, v9, v47, -1.0
                                        ; implicit-def: $vgpr46_vgpr47
	s_delay_alu instid0(VALU_DEP_1) | instskip(NEXT) | instid1(VALU_DEP_1)
	v_mul_f32_e32 v50, v1, v49
	v_xor_b32_e32 v48, 0x80000000, v50
.LBB84_15:
	s_and_not1_saveexec_b32 s1, s1
	s_cbranch_execz .LBB84_17
; %bb.16:
	v_div_scale_f32 v1, null, v46, v46, v47
	v_div_scale_f32 v13, vcc_lo, v47, v46, v47
	s_delay_alu instid0(VALU_DEP_2) | instskip(SKIP_1) | instid1(TRANS32_DEP_1)
	v_rcp_f32_e32 v9, v1
	v_nop
	v_fma_f32 v11, -v1, v9, 1.0
	s_delay_alu instid0(VALU_DEP_1) | instskip(NEXT) | instid1(VALU_DEP_1)
	v_fmac_f32_e32 v9, v11, v9
	v_mul_f32_e32 v11, v13, v9
	s_delay_alu instid0(VALU_DEP_1) | instskip(NEXT) | instid1(VALU_DEP_1)
	v_fma_f32 v15, -v1, v11, v13
	v_fmac_f32_e32 v11, v15, v9
	s_delay_alu instid0(VALU_DEP_1) | instskip(NEXT) | instid1(VALU_DEP_1)
	v_fma_f32 v1, -v1, v11, v13
	v_div_fmas_f32 v1, v1, v9, v11
	s_delay_alu instid0(VALU_DEP_1) | instskip(NEXT) | instid1(VALU_DEP_1)
	v_div_fixup_f32 v1, v1, v46, v47
	v_fmac_f32_e32 v46, v47, v1
	s_delay_alu instid0(VALU_DEP_1) | instskip(SKIP_1) | instid1(VALU_DEP_2)
	v_div_scale_f32 v9, null, v46, v46, 1.0
	v_div_scale_f32 v15, vcc_lo, 1.0, v46, 1.0
	v_rcp_f32_e32 v11, v9
	v_nop
	s_delay_alu instid0(TRANS32_DEP_1) | instskip(NEXT) | instid1(VALU_DEP_1)
	v_fma_f32 v13, -v9, v11, 1.0
	v_fmac_f32_e32 v11, v13, v11
	s_delay_alu instid0(VALU_DEP_1) | instskip(NEXT) | instid1(VALU_DEP_1)
	v_mul_f32_e32 v13, v15, v11
	v_fma_f32 v17, -v9, v13, v15
	s_delay_alu instid0(VALU_DEP_1) | instskip(NEXT) | instid1(VALU_DEP_1)
	v_fmac_f32_e32 v13, v17, v11
	v_fma_f32 v9, -v9, v13, v15
	s_delay_alu instid0(VALU_DEP_1) | instskip(NEXT) | instid1(VALU_DEP_1)
	v_div_fmas_f32 v9, v9, v11, v13
	v_div_fixup_f32 v48, v9, v46, 1.0
	s_delay_alu instid0(VALU_DEP_1)
	v_xor_b32_e32 v50, 0x80000000, v48
	v_mul_f32_e64 v49, v1, -v48
.LBB84_17:
	s_or_b32 exec_lo, exec_lo, s1
	scratch_store_b64 v7, v[48:49], off
	scratch_load_b64 v[46:47], off, off offset:8
	v_xor_b32_e32 v51, 0x80000000, v49
	v_add_nc_u32_e32 v1, 0xb0, v44
	s_wait_loadcnt 0x0
	ds_store_2addr_b64 v44, v[50:51], v[46:47] offset1:22
	s_wait_storecnt_dscnt 0x0
	s_barrier_signal -1
	s_barrier_wait -1
	s_wait_xcnt 0x0
	s_and_saveexec_b32 s1, s0
	s_cbranch_execz .LBB84_19
; %bb.18:
	scratch_load_b64 v[46:47], v7, off
	ds_load_b64 v[48:49], v1
	s_wait_loadcnt_dscnt 0x0
	v_pk_mul_f32 v[52:53], v[48:49], v[46:47] op_sel:[1,1] op_sel_hi:[0,1]
	s_delay_alu instid0(VALU_DEP_1) | instskip(SKIP_2) | instid1(VALU_DEP_3)
	v_pk_fma_f32 v[54:55], v[48:49], v[46:47], v[52:53] op_sel_hi:[1,0,1]
	v_mov_b32_e32 v9, 0
	v_pk_fma_f32 v[46:47], v[48:49], v[46:47], v[52:53] neg_lo:[0,0,1] neg_hi:[0,0,1]
	v_mov_b32_e32 v47, v55
	ds_load_b64 v[50:51], v9 offset:8
	v_pk_add_f32 v[46:47], v[46:47], 0 op_sel_hi:[1,0]
	s_wait_dscnt 0x0
	s_delay_alu instid0(VALU_DEP_1) | instskip(NEXT) | instid1(VALU_DEP_1)
	v_pk_mul_f32 v[48:49], v[46:47], v[50:51] op_sel:[1,1] op_sel_hi:[0,1]
	v_pk_fma_f32 v[52:53], v[46:47], v[50:51], v[48:49] op_sel_hi:[1,0,1]
	v_pk_fma_f32 v[46:47], v[46:47], v[50:51], v[48:49] neg_lo:[0,0,1] neg_hi:[0,0,1]
	s_delay_alu instid0(VALU_DEP_2)
	v_mov_b32_e32 v47, v53
	scratch_store_b64 off, v[46:47], off offset:8
.LBB84_19:
	s_wait_xcnt 0x0
	s_or_b32 exec_lo, exec_lo, s1
	s_wait_storecnt 0x0
	s_barrier_signal -1
	s_barrier_wait -1
	scratch_load_b64 v[46:47], off, off offset:16
	s_mov_b32 s1, exec_lo
	s_wait_loadcnt 0x0
	ds_store_b64 v1, v[46:47]
	s_wait_dscnt 0x0
	s_barrier_signal -1
	s_barrier_wait -1
	v_cmpx_gt_u32_e32 2, v0
	s_cbranch_execz .LBB84_23
; %bb.20:
	scratch_load_b64 v[46:47], v7, off
	ds_load_b64 v[48:49], v1
	s_wait_loadcnt_dscnt 0x0
	v_pk_mul_f32 v[50:51], v[48:49], v[46:47] op_sel:[1,1] op_sel_hi:[0,1]
	s_delay_alu instid0(VALU_DEP_1) | instskip(SKIP_1) | instid1(VALU_DEP_2)
	v_pk_fma_f32 v[52:53], v[48:49], v[46:47], v[50:51] op_sel_hi:[1,0,1]
	v_pk_fma_f32 v[46:47], v[48:49], v[46:47], v[50:51] neg_lo:[0,0,1] neg_hi:[0,0,1]
	v_mov_b32_e32 v47, v53
	s_delay_alu instid0(VALU_DEP_1)
	v_pk_add_f32 v[46:47], v[46:47], 0 op_sel_hi:[1,0]
	s_and_saveexec_b32 s4, s0
	s_cbranch_execz .LBB84_22
; %bb.21:
	scratch_load_b64 v[48:49], off, off offset:8
	v_mov_b32_e32 v7, 0
	ds_load_b64 v[50:51], v7 offset:184
	s_wait_loadcnt_dscnt 0x0
	v_pk_mul_f32 v[52:53], v[50:51], v[48:49] op_sel:[1,1] op_sel_hi:[0,1]
	s_delay_alu instid0(VALU_DEP_1) | instskip(SKIP_1) | instid1(VALU_DEP_2)
	v_pk_fma_f32 v[54:55], v[50:51], v[48:49], v[52:53] op_sel_hi:[1,0,1]
	v_pk_fma_f32 v[48:49], v[50:51], v[48:49], v[52:53] neg_lo:[0,0,1] neg_hi:[0,0,1]
	v_mov_b32_e32 v49, v55
	s_delay_alu instid0(VALU_DEP_1)
	v_pk_add_f32 v[46:47], v[46:47], v[48:49]
.LBB84_22:
	s_or_b32 exec_lo, exec_lo, s4
	v_mov_b32_e32 v7, 0
	ds_load_b64 v[48:49], v7 offset:16
	s_wait_dscnt 0x0
	v_pk_mul_f32 v[50:51], v[46:47], v[48:49] op_sel:[1,1] op_sel_hi:[0,1]
	s_delay_alu instid0(VALU_DEP_1) | instskip(SKIP_1) | instid1(VALU_DEP_2)
	v_pk_fma_f32 v[52:53], v[46:47], v[48:49], v[50:51] op_sel_hi:[1,0,1]
	v_pk_fma_f32 v[46:47], v[46:47], v[48:49], v[50:51] neg_lo:[0,0,1] neg_hi:[0,0,1]
	v_mov_b32_e32 v47, v53
	scratch_store_b64 off, v[46:47], off offset:16
.LBB84_23:
	s_wait_xcnt 0x0
	s_or_b32 exec_lo, exec_lo, s1
	s_wait_storecnt 0x0
	s_barrier_signal -1
	s_barrier_wait -1
	scratch_load_b64 v[46:47], off, off offset:24
	v_add_nc_u32_e32 v7, -1, v0
	s_mov_b32 s0, exec_lo
	s_wait_loadcnt 0x0
	ds_store_b64 v1, v[46:47]
	s_wait_dscnt 0x0
	s_barrier_signal -1
	s_barrier_wait -1
	v_cmpx_gt_u32_e32 3, v0
	s_cbranch_execz .LBB84_27
; %bb.24:
	v_dual_mov_b32 v46, 0 :: v_dual_add_nc_u32 v9, -1, v0
	v_add_nc_u32_e32 v11, 0xb0, v44
	v_mov_b32_e32 v13, v44
	s_mov_b32 s1, 0
	s_delay_alu instid0(VALU_DEP_3)
	v_mov_b32_e32 v47, v46
.LBB84_25:                              ; =>This Inner Loop Header: Depth=1
	scratch_load_b64 v[48:49], v13, off
	ds_load_b64 v[50:51], v11
	s_wait_xcnt 0x0
	v_dual_add_nc_u32 v11, 8, v11 :: v_dual_add_nc_u32 v13, 8, v13
	s_wait_loadcnt_dscnt 0x0
	v_pk_mul_f32 v[52:53], v[50:51], v[48:49] op_sel:[1,1] op_sel_hi:[0,1]
	s_delay_alu instid0(VALU_DEP_1) | instskip(SKIP_2) | instid1(VALU_DEP_3)
	v_pk_fma_f32 v[54:55], v[50:51], v[48:49], v[52:53] op_sel_hi:[1,0,1]
	v_add_nc_u32_e32 v9, 1, v9
	v_pk_fma_f32 v[48:49], v[50:51], v[48:49], v[52:53] neg_lo:[0,0,1] neg_hi:[0,0,1]
	v_mov_b32_e32 v49, v55
	s_delay_alu instid0(VALU_DEP_3) | instskip(NEXT) | instid1(VALU_DEP_2)
	v_cmp_lt_u32_e32 vcc_lo, 1, v9
	v_pk_add_f32 v[46:47], v[46:47], v[48:49]
	s_or_b32 s1, vcc_lo, s1
	s_delay_alu instid0(SALU_CYCLE_1)
	s_and_not1_b32 exec_lo, exec_lo, s1
	s_cbranch_execnz .LBB84_25
; %bb.26:
	s_or_b32 exec_lo, exec_lo, s1
	v_mov_b32_e32 v9, 0
	ds_load_b64 v[48:49], v9 offset:24
	s_wait_dscnt 0x0
	v_pk_mul_f32 v[50:51], v[46:47], v[48:49] op_sel:[1,1] op_sel_hi:[0,1]
	s_delay_alu instid0(VALU_DEP_1) | instskip(SKIP_1) | instid1(VALU_DEP_2)
	v_pk_fma_f32 v[52:53], v[46:47], v[48:49], v[50:51] op_sel_hi:[1,0,1]
	v_pk_fma_f32 v[46:47], v[46:47], v[48:49], v[50:51] neg_lo:[0,0,1] neg_hi:[0,0,1]
	v_mov_b32_e32 v47, v53
	scratch_store_b64 off, v[46:47], off offset:24
.LBB84_27:
	s_wait_xcnt 0x0
	s_or_b32 exec_lo, exec_lo, s0
	s_wait_storecnt 0x0
	s_barrier_signal -1
	s_barrier_wait -1
	scratch_load_b64 v[46:47], off, off offset:32
	s_mov_b32 s0, exec_lo
	s_wait_loadcnt 0x0
	ds_store_b64 v1, v[46:47]
	s_wait_dscnt 0x0
	s_barrier_signal -1
	s_barrier_wait -1
	v_cmpx_gt_u32_e32 4, v0
	s_cbranch_execz .LBB84_31
; %bb.28:
	v_dual_mov_b32 v46, 0 :: v_dual_add_nc_u32 v9, -1, v0
	v_add_nc_u32_e32 v11, 0xb0, v44
	v_mov_b32_e32 v13, v44
	s_mov_b32 s1, 0
	s_delay_alu instid0(VALU_DEP_3)
	v_mov_b32_e32 v47, v46
.LBB84_29:                              ; =>This Inner Loop Header: Depth=1
	scratch_load_b64 v[48:49], v13, off
	ds_load_b64 v[50:51], v11
	s_wait_xcnt 0x0
	v_dual_add_nc_u32 v11, 8, v11 :: v_dual_add_nc_u32 v13, 8, v13
	s_wait_loadcnt_dscnt 0x0
	v_pk_mul_f32 v[52:53], v[50:51], v[48:49] op_sel:[1,1] op_sel_hi:[0,1]
	s_delay_alu instid0(VALU_DEP_1) | instskip(SKIP_2) | instid1(VALU_DEP_3)
	v_pk_fma_f32 v[54:55], v[50:51], v[48:49], v[52:53] op_sel_hi:[1,0,1]
	v_add_nc_u32_e32 v9, 1, v9
	v_pk_fma_f32 v[48:49], v[50:51], v[48:49], v[52:53] neg_lo:[0,0,1] neg_hi:[0,0,1]
	v_mov_b32_e32 v49, v55
	s_delay_alu instid0(VALU_DEP_3) | instskip(NEXT) | instid1(VALU_DEP_2)
	v_cmp_lt_u32_e32 vcc_lo, 2, v9
	v_pk_add_f32 v[46:47], v[46:47], v[48:49]
	s_or_b32 s1, vcc_lo, s1
	s_delay_alu instid0(SALU_CYCLE_1)
	s_and_not1_b32 exec_lo, exec_lo, s1
	s_cbranch_execnz .LBB84_29
; %bb.30:
	s_or_b32 exec_lo, exec_lo, s1
	v_mov_b32_e32 v9, 0
	ds_load_b64 v[48:49], v9 offset:32
	s_wait_dscnt 0x0
	v_pk_mul_f32 v[50:51], v[46:47], v[48:49] op_sel:[1,1] op_sel_hi:[0,1]
	s_delay_alu instid0(VALU_DEP_1) | instskip(SKIP_1) | instid1(VALU_DEP_2)
	v_pk_fma_f32 v[52:53], v[46:47], v[48:49], v[50:51] op_sel_hi:[1,0,1]
	v_pk_fma_f32 v[46:47], v[46:47], v[48:49], v[50:51] neg_lo:[0,0,1] neg_hi:[0,0,1]
	v_mov_b32_e32 v47, v53
	scratch_store_b64 off, v[46:47], off offset:32
.LBB84_31:
	s_wait_xcnt 0x0
	s_or_b32 exec_lo, exec_lo, s0
	s_wait_storecnt 0x0
	s_barrier_signal -1
	s_barrier_wait -1
	scratch_load_b64 v[46:47], off, off offset:40
	;; [unrolled: 52-line block ×17, first 2 shown]
	s_mov_b32 s0, exec_lo
	s_wait_loadcnt 0x0
	ds_store_b64 v1, v[46:47]
	s_wait_dscnt 0x0
	s_barrier_signal -1
	s_barrier_wait -1
	v_cmpx_ne_u32_e32 20, v0
	s_cbranch_execz .LBB84_95
; %bb.92:
	v_dual_mov_b32 v46, 0 :: v_dual_mov_b32 v9, v44
	s_mov_b32 s1, 0
	s_delay_alu instid0(VALU_DEP_1)
	v_mov_b32_e32 v47, v46
.LBB84_93:                              ; =>This Inner Loop Header: Depth=1
	scratch_load_b64 v[44:45], v9, off
	ds_load_b64 v[48:49], v1
	v_add_nc_u32_e32 v1, 8, v1
	s_wait_xcnt 0x0
	v_add_nc_u32_e32 v9, 8, v9
	s_wait_loadcnt_dscnt 0x0
	v_pk_mul_f32 v[50:51], v[48:49], v[44:45] op_sel:[1,1] op_sel_hi:[0,1]
	s_delay_alu instid0(VALU_DEP_1) | instskip(SKIP_2) | instid1(VALU_DEP_3)
	v_pk_fma_f32 v[52:53], v[48:49], v[44:45], v[50:51] op_sel_hi:[1,0,1]
	v_add_nc_u32_e32 v7, 1, v7
	v_pk_fma_f32 v[44:45], v[48:49], v[44:45], v[50:51] neg_lo:[0,0,1] neg_hi:[0,0,1]
	v_mov_b32_e32 v45, v53
	s_delay_alu instid0(VALU_DEP_3) | instskip(NEXT) | instid1(VALU_DEP_2)
	v_cmp_lt_u32_e32 vcc_lo, 18, v7
	v_pk_add_f32 v[46:47], v[46:47], v[44:45]
	s_or_b32 s1, vcc_lo, s1
	s_delay_alu instid0(SALU_CYCLE_1)
	s_and_not1_b32 exec_lo, exec_lo, s1
	s_cbranch_execnz .LBB84_93
; %bb.94:
	s_or_b32 exec_lo, exec_lo, s1
	v_mov_b32_e32 v1, 0
	ds_load_b64 v[44:45], v1 offset:160
	s_wait_dscnt 0x0
	v_pk_mul_f32 v[48:49], v[46:47], v[44:45] op_sel:[1,1] op_sel_hi:[0,1]
	s_delay_alu instid0(VALU_DEP_1) | instskip(SKIP_1) | instid1(VALU_DEP_2)
	v_pk_fma_f32 v[50:51], v[46:47], v[44:45], v[48:49] op_sel_hi:[1,0,1]
	v_pk_fma_f32 v[44:45], v[46:47], v[44:45], v[48:49] neg_lo:[0,0,1] neg_hi:[0,0,1]
	v_mov_b32_e32 v45, v51
	scratch_store_b64 off, v[44:45], off offset:160
.LBB84_95:
	s_wait_xcnt 0x0
	s_or_b32 exec_lo, exec_lo, s0
	s_mov_b32 s1, -1
	s_wait_storecnt 0x0
	s_barrier_signal -1
	s_barrier_wait -1
.LBB84_96:
	s_and_b32 vcc_lo, exec_lo, s1
	s_cbranch_vccz .LBB84_98
; %bb.97:
	v_mov_b32_e32 v1, 0
	s_lshl_b64 s[0:1], s[10:11], 2
	s_delay_alu instid0(SALU_CYCLE_1)
	s_add_nc_u64 s[0:1], s[6:7], s[0:1]
	global_load_b32 v1, v1, s[0:1]
	s_wait_loadcnt 0x0
	v_cmp_ne_u32_e32 vcc_lo, 0, v1
	s_cbranch_vccz .LBB84_99
.LBB84_98:
	s_sendmsg sendmsg(MSG_DEALLOC_VGPRS)
	s_endpgm
.LBB84_99:
	s_wait_xcnt 0x0
	v_lshl_add_u32 v1, v0, 3, 0xb0
	s_mov_b32 s0, exec_lo
	v_cmpx_eq_u32_e32 20, v0
	s_cbranch_execz .LBB84_101
; %bb.100:
	scratch_load_b64 v[44:45], off, off offset:152
	v_mov_b64_e32 v[46:47], 0
	scratch_store_b64 off, v[46:47], off offset:152
	s_wait_loadcnt 0x0
	ds_store_b64 v1, v[44:45]
.LBB84_101:
	s_wait_xcnt 0x0
	s_or_b32 exec_lo, exec_lo, s0
	s_wait_storecnt_dscnt 0x0
	s_barrier_signal -1
	s_barrier_wait -1
	s_clause 0x1
	scratch_load_b64 v[44:45], off, off offset:160
	scratch_load_b64 v[46:47], off, off offset:152
	v_mov_b32_e32 v7, 0
	s_mov_b32 s0, exec_lo
	ds_load_b64 v[48:49], v7 offset:336
	s_wait_loadcnt_dscnt 0x100
	v_pk_mul_f32 v[50:51], v[48:49], v[44:45] op_sel:[1,1] op_sel_hi:[0,1]
	s_delay_alu instid0(VALU_DEP_1) | instskip(SKIP_1) | instid1(VALU_DEP_2)
	v_pk_fma_f32 v[52:53], v[48:49], v[44:45], v[50:51] op_sel_hi:[1,0,1]
	v_pk_fma_f32 v[44:45], v[48:49], v[44:45], v[50:51] neg_lo:[0,0,1] neg_hi:[0,0,1]
	v_mov_b32_e32 v45, v53
	s_delay_alu instid0(VALU_DEP_1) | instskip(SKIP_1) | instid1(VALU_DEP_1)
	v_pk_add_f32 v[44:45], v[44:45], 0 op_sel_hi:[1,0]
	s_wait_loadcnt 0x0
	v_pk_add_f32 v[44:45], v[46:47], v[44:45] neg_lo:[0,1] neg_hi:[0,1]
	scratch_store_b64 off, v[44:45], off offset:152
	s_wait_xcnt 0x0
	v_cmpx_lt_u32_e32 18, v0
	s_cbranch_execz .LBB84_103
; %bb.102:
	scratch_load_b64 v[44:45], off, off offset:144
	v_mov_b64_e32 v[46:47], 0
	scratch_store_b64 off, v[46:47], off offset:144
	s_wait_loadcnt 0x0
	ds_store_b64 v1, v[44:45]
.LBB84_103:
	s_wait_xcnt 0x0
	s_or_b32 exec_lo, exec_lo, s0
	s_wait_storecnt_dscnt 0x0
	s_barrier_signal -1
	s_barrier_wait -1
	s_clause 0x1
	scratch_load_b128 v[44:47], off, off offset:152
	scratch_load_b64 v[52:53], off, off offset:144
	ds_load_2addr_b64 v[48:51], v7 offset0:41 offset1:42
	s_mov_b32 s0, exec_lo
	s_wait_dscnt 0x0
	v_dual_mov_b32 v54, v51 :: v_dual_mov_b32 v55, v50
	s_wait_loadcnt 0x1
	v_pk_mul_f32 v[56:57], v[48:49], v[44:45] op_sel:[1,1] op_sel_hi:[0,1]
	s_delay_alu instid0(VALU_DEP_1) | instskip(SKIP_2) | instid1(VALU_DEP_3)
	v_pk_fma_f32 v[60:61], v[48:49], v[44:45], v[56:57] op_sel_hi:[1,0,1]
	v_mov_b32_e32 v58, v47
	v_pk_fma_f32 v[44:45], v[48:49], v[44:45], v[56:57] neg_lo:[0,0,1] neg_hi:[0,0,1]
	v_mov_b32_e32 v45, v61
	s_delay_alu instid0(VALU_DEP_3) | instskip(NEXT) | instid1(VALU_DEP_2)
	v_pk_mul_f32 v[54:55], v[54:55], v[58:59] op_sel_hi:[1,0]
	v_pk_add_f32 v[44:45], v[44:45], 0 op_sel_hi:[1,0]
	s_delay_alu instid0(VALU_DEP_2) | instskip(SKIP_1) | instid1(VALU_DEP_2)
	v_pk_fma_f32 v[48:49], v[50:51], v[46:47], v[54:55] op_sel_hi:[1,0,1]
	v_pk_fma_f32 v[46:47], v[50:51], v[46:47], v[54:55] neg_lo:[0,0,1] neg_hi:[0,0,1]
	v_mov_b32_e32 v47, v49
	s_delay_alu instid0(VALU_DEP_1) | instskip(SKIP_1) | instid1(VALU_DEP_1)
	v_pk_add_f32 v[44:45], v[44:45], v[46:47]
	s_wait_loadcnt 0x0
	v_pk_add_f32 v[44:45], v[52:53], v[44:45] neg_lo:[0,1] neg_hi:[0,1]
	scratch_store_b64 off, v[44:45], off offset:144
	s_wait_xcnt 0x0
	v_cmpx_lt_u32_e32 17, v0
	s_cbranch_execz .LBB84_105
; %bb.104:
	scratch_load_b64 v[44:45], off, off offset:136
	v_mov_b64_e32 v[46:47], 0
	scratch_store_b64 off, v[46:47], off offset:136
	s_wait_loadcnt 0x0
	ds_store_b64 v1, v[44:45]
.LBB84_105:
	s_wait_xcnt 0x0
	s_or_b32 exec_lo, exec_lo, s0
	s_wait_storecnt_dscnt 0x0
	s_barrier_signal -1
	s_barrier_wait -1
	s_clause 0x2
	scratch_load_b128 v[44:47], off, off offset:144
	scratch_load_b64 v[52:53], off, off offset:160
	scratch_load_b64 v[54:55], off, off offset:136
	v_mov_b32_e32 v7, 0
	ds_load_b128 v[48:51], v7 offset:320
	ds_load_b64 v[56:57], v7 offset:336
	s_mov_b32 s0, exec_lo
	s_wait_dscnt 0x1
	v_dual_mov_b32 v58, v51 :: v_dual_mov_b32 v59, v50
	s_wait_loadcnt 0x2
	v_mov_b32_e32 v62, v47
	v_pk_mul_f32 v[60:61], v[48:49], v[44:45] op_sel:[1,1] op_sel_hi:[0,1]
	s_delay_alu instid0(VALU_DEP_2) | instskip(NEXT) | instid1(VALU_DEP_2)
	v_pk_mul_f32 v[58:59], v[58:59], v[62:63] op_sel_hi:[1,0]
	v_pk_fma_f32 v[64:65], v[48:49], v[44:45], v[60:61] op_sel_hi:[1,0,1]
	v_pk_fma_f32 v[44:45], v[48:49], v[44:45], v[60:61] neg_lo:[0,0,1] neg_hi:[0,0,1]
	s_wait_loadcnt_dscnt 0x100
	v_pk_mul_f32 v[60:61], v[56:57], v[52:53] op_sel:[1,1] op_sel_hi:[0,1]
	v_pk_fma_f32 v[48:49], v[50:51], v[46:47], v[58:59] op_sel_hi:[1,0,1]
	v_mov_b32_e32 v45, v65
	v_pk_fma_f32 v[46:47], v[50:51], v[46:47], v[58:59] neg_lo:[0,0,1] neg_hi:[0,0,1]
	s_delay_alu instid0(VALU_DEP_4) | instskip(NEXT) | instid1(VALU_DEP_4)
	v_pk_fma_f32 v[50:51], v[56:57], v[52:53], v[60:61] neg_lo:[0,0,1] neg_hi:[0,0,1]
	v_mov_b32_e32 v47, v49
	s_delay_alu instid0(VALU_DEP_4) | instskip(SKIP_1) | instid1(VALU_DEP_2)
	v_pk_add_f32 v[44:45], v[44:45], 0 op_sel_hi:[1,0]
	v_pk_fma_f32 v[48:49], v[56:57], v[52:53], v[60:61] op_sel_hi:[1,0,1]
	v_pk_add_f32 v[44:45], v[44:45], v[46:47]
	s_delay_alu instid0(VALU_DEP_2) | instskip(NEXT) | instid1(VALU_DEP_1)
	v_mov_b32_e32 v51, v49
	v_pk_add_f32 v[44:45], v[44:45], v[50:51]
	s_wait_loadcnt 0x0
	s_delay_alu instid0(VALU_DEP_1)
	v_pk_add_f32 v[44:45], v[54:55], v[44:45] neg_lo:[0,1] neg_hi:[0,1]
	scratch_store_b64 off, v[44:45], off offset:136
	s_wait_xcnt 0x0
	v_cmpx_lt_u32_e32 16, v0
	s_cbranch_execz .LBB84_107
; %bb.106:
	scratch_load_b64 v[44:45], off, off offset:128
	v_mov_b64_e32 v[46:47], 0
	scratch_store_b64 off, v[46:47], off offset:128
	s_wait_loadcnt 0x0
	ds_store_b64 v1, v[44:45]
.LBB84_107:
	s_wait_xcnt 0x0
	s_or_b32 exec_lo, exec_lo, s0
	s_wait_storecnt_dscnt 0x0
	s_barrier_signal -1
	s_barrier_wait -1
	s_clause 0x2
	scratch_load_b128 v[44:47], off, off offset:136
	scratch_load_b128 v[48:51], off, off offset:152
	scratch_load_b64 v[60:61], off, off offset:128
	ds_load_2addr_b64 v[52:55], v7 offset0:39 offset1:40
	ds_load_2addr_b64 v[56:59], v7 offset0:41 offset1:42
	s_mov_b32 s0, exec_lo
	s_wait_dscnt 0x1
	v_dual_mov_b32 v62, v55 :: v_dual_mov_b32 v63, v54
	s_wait_loadcnt_dscnt 0x200
	v_dual_mov_b32 v68, v59 :: v_dual_mov_b32 v66, v47
	v_pk_mul_f32 v[64:65], v[52:53], v[44:45] op_sel:[1,1] op_sel_hi:[0,1]
	s_delay_alu instid0(VALU_DEP_2) | instskip(NEXT) | instid1(VALU_DEP_2)
	v_pk_mul_f32 v[62:63], v[62:63], v[66:67] op_sel_hi:[1,0]
	v_pk_fma_f32 v[70:71], v[52:53], v[44:45], v[64:65] op_sel_hi:[1,0,1]
	v_pk_fma_f32 v[44:45], v[52:53], v[44:45], v[64:65] neg_lo:[0,0,1] neg_hi:[0,0,1]
	v_mov_b32_e32 v69, v58
	s_wait_loadcnt 0x1
	v_pk_mul_f32 v[66:67], v[56:57], v[48:49] op_sel:[1,1] op_sel_hi:[0,1]
	v_pk_fma_f32 v[52:53], v[54:55], v[46:47], v[62:63] op_sel_hi:[1,0,1]
	v_dual_mov_b32 v45, v71 :: v_dual_mov_b32 v52, v51
	v_pk_fma_f32 v[46:47], v[54:55], v[46:47], v[62:63] neg_lo:[0,0,1] neg_hi:[0,0,1]
	s_delay_alu instid0(VALU_DEP_4) | instskip(NEXT) | instid1(VALU_DEP_4)
	v_pk_fma_f32 v[64:65], v[56:57], v[48:49], v[66:67] op_sel_hi:[1,0,1]
	v_mov_b32_e32 v47, v53
	s_delay_alu instid0(VALU_DEP_4) | instskip(SKIP_2) | instid1(VALU_DEP_3)
	v_pk_add_f32 v[44:45], v[44:45], 0 op_sel_hi:[1,0]
	v_pk_mul_f32 v[52:53], v[68:69], v[52:53] op_sel_hi:[1,0]
	v_pk_fma_f32 v[48:49], v[56:57], v[48:49], v[66:67] neg_lo:[0,0,1] neg_hi:[0,0,1]
	v_pk_add_f32 v[44:45], v[44:45], v[46:47]
	s_delay_alu instid0(VALU_DEP_3) | instskip(SKIP_2) | instid1(VALU_DEP_3)
	v_pk_fma_f32 v[46:47], v[58:59], v[50:51], v[52:53] op_sel_hi:[1,0,1]
	v_mov_b32_e32 v49, v65
	v_pk_fma_f32 v[50:51], v[58:59], v[50:51], v[52:53] neg_lo:[0,0,1] neg_hi:[0,0,1]
	v_mov_b32_e32 v51, v47
	s_delay_alu instid0(VALU_DEP_3) | instskip(NEXT) | instid1(VALU_DEP_1)
	v_pk_add_f32 v[44:45], v[44:45], v[48:49]
	v_pk_add_f32 v[44:45], v[44:45], v[50:51]
	s_wait_loadcnt 0x0
	s_delay_alu instid0(VALU_DEP_1)
	v_pk_add_f32 v[44:45], v[60:61], v[44:45] neg_lo:[0,1] neg_hi:[0,1]
	scratch_store_b64 off, v[44:45], off offset:128
	s_wait_xcnt 0x0
	v_cmpx_lt_u32_e32 15, v0
	s_cbranch_execz .LBB84_109
; %bb.108:
	scratch_load_b64 v[44:45], off, off offset:120
	v_mov_b64_e32 v[46:47], 0
	scratch_store_b64 off, v[46:47], off offset:120
	s_wait_loadcnt 0x0
	ds_store_b64 v1, v[44:45]
.LBB84_109:
	s_wait_xcnt 0x0
	s_or_b32 exec_lo, exec_lo, s0
	s_wait_storecnt_dscnt 0x0
	s_barrier_signal -1
	s_barrier_wait -1
	s_clause 0x3
	scratch_load_b128 v[44:47], off, off offset:128
	scratch_load_b128 v[48:51], off, off offset:144
	scratch_load_b64 v[60:61], off, off offset:160
	scratch_load_b64 v[62:63], off, off offset:120
	v_mov_b32_e32 v7, 0
	ds_load_b128 v[52:55], v7 offset:304
	ds_load_b128 v[56:59], v7 offset:320
	s_mov_b32 s0, exec_lo
	s_wait_dscnt 0x1
	v_dual_mov_b32 v64, v55 :: v_dual_mov_b32 v65, v54
	ds_load_b64 v[70:71], v7 offset:336
	s_wait_dscnt 0x1
	v_dual_mov_b32 v72, v59 :: v_dual_mov_b32 v73, v58
	s_wait_loadcnt 0x3
	v_pk_mul_f32 v[66:67], v[52:53], v[44:45] op_sel:[1,1] op_sel_hi:[0,1]
	v_mov_b32_e32 v68, v47
	s_delay_alu instid0(VALU_DEP_2) | instskip(NEXT) | instid1(VALU_DEP_2)
	v_pk_fma_f32 v[74:75], v[52:53], v[44:45], v[66:67] op_sel_hi:[1,0,1]
	v_pk_mul_f32 v[64:65], v[64:65], v[68:69] op_sel_hi:[1,0]
	v_pk_fma_f32 v[44:45], v[52:53], v[44:45], v[66:67] neg_lo:[0,0,1] neg_hi:[0,0,1]
	s_wait_loadcnt 0x2
	v_pk_mul_f32 v[68:69], v[56:57], v[48:49] op_sel:[1,1] op_sel_hi:[0,1]
	v_dual_mov_b32 v74, v51 :: v_dual_mov_b32 v45, v75
	v_pk_fma_f32 v[52:53], v[54:55], v[46:47], v[64:65] op_sel_hi:[1,0,1]
	v_pk_fma_f32 v[46:47], v[54:55], v[46:47], v[64:65] neg_lo:[0,0,1] neg_hi:[0,0,1]
	s_delay_alu instid0(VALU_DEP_4) | instskip(NEXT) | instid1(VALU_DEP_4)
	v_pk_fma_f32 v[66:67], v[56:57], v[48:49], v[68:69] op_sel_hi:[1,0,1]
	v_pk_mul_f32 v[72:73], v[72:73], v[74:75] op_sel_hi:[1,0]
	v_pk_add_f32 v[44:45], v[44:45], 0 op_sel_hi:[1,0]
	v_mov_b32_e32 v47, v53
	v_pk_fma_f32 v[48:49], v[56:57], v[48:49], v[68:69] neg_lo:[0,0,1] neg_hi:[0,0,1]
	v_mov_b32_e32 v49, v67
	v_pk_fma_f32 v[52:53], v[58:59], v[50:51], v[72:73] op_sel_hi:[1,0,1]
	v_pk_fma_f32 v[50:51], v[58:59], v[50:51], v[72:73] neg_lo:[0,0,1] neg_hi:[0,0,1]
	v_pk_add_f32 v[44:45], v[44:45], v[46:47]
	s_wait_loadcnt_dscnt 0x100
	v_pk_mul_f32 v[46:47], v[70:71], v[60:61] op_sel:[1,1] op_sel_hi:[0,1]
	s_delay_alu instid0(VALU_DEP_2) | instskip(NEXT) | instid1(VALU_DEP_2)
	v_pk_add_f32 v[44:45], v[44:45], v[48:49]
	v_pk_fma_f32 v[48:49], v[70:71], v[60:61], v[46:47] op_sel_hi:[1,0,1]
	v_mov_b32_e32 v51, v53
	v_pk_fma_f32 v[46:47], v[70:71], v[60:61], v[46:47] neg_lo:[0,0,1] neg_hi:[0,0,1]
	s_delay_alu instid0(VALU_DEP_3) | instskip(NEXT) | instid1(VALU_DEP_3)
	v_mov_b32_e32 v47, v49
	v_pk_add_f32 v[44:45], v[44:45], v[50:51]
	s_delay_alu instid0(VALU_DEP_1) | instskip(SKIP_1) | instid1(VALU_DEP_1)
	v_pk_add_f32 v[44:45], v[44:45], v[46:47]
	s_wait_loadcnt 0x0
	v_pk_add_f32 v[44:45], v[62:63], v[44:45] neg_lo:[0,1] neg_hi:[0,1]
	scratch_store_b64 off, v[44:45], off offset:120
	s_wait_xcnt 0x0
	v_cmpx_lt_u32_e32 14, v0
	s_cbranch_execz .LBB84_111
; %bb.110:
	scratch_load_b64 v[44:45], off, off offset:112
	v_mov_b64_e32 v[46:47], 0
	scratch_store_b64 off, v[46:47], off offset:112
	s_wait_loadcnt 0x0
	ds_store_b64 v1, v[44:45]
.LBB84_111:
	s_wait_xcnt 0x0
	s_or_b32 exec_lo, exec_lo, s0
	s_wait_storecnt_dscnt 0x0
	s_barrier_signal -1
	s_barrier_wait -1
	s_clause 0x3
	scratch_load_b128 v[44:47], off, off offset:120
	scratch_load_b128 v[48:51], off, off offset:136
	;; [unrolled: 1-line block ×3, first 2 shown]
	scratch_load_b64 v[68:69], off, off offset:112
	ds_load_2addr_b64 v[56:59], v7 offset0:37 offset1:38
	ds_load_2addr_b64 v[60:63], v7 offset0:39 offset1:40
	;; [unrolled: 1-line block ×3, first 2 shown]
	s_mov_b32 s0, exec_lo
	s_wait_dscnt 0x2
	v_dual_mov_b32 v70, v59 :: v_dual_mov_b32 v71, v58
	s_wait_dscnt 0x1
	v_dual_mov_b32 v72, v63 :: v_dual_mov_b32 v73, v62
	;; [unrolled: 2-line block ×3, first 2 shown]
	s_wait_loadcnt 0x3
	v_pk_mul_f32 v[74:75], v[56:57], v[44:45] op_sel:[1,1] op_sel_hi:[0,1]
	v_mov_b32_e32 v76, v47
	s_delay_alu instid0(VALU_DEP_2) | instskip(NEXT) | instid1(VALU_DEP_2)
	v_pk_fma_f32 v[80:81], v[56:57], v[44:45], v[74:75] op_sel_hi:[1,0,1]
	v_pk_mul_f32 v[70:71], v[70:71], v[76:77] op_sel_hi:[1,0]
	v_pk_fma_f32 v[44:45], v[56:57], v[44:45], v[74:75] neg_lo:[0,0,1] neg_hi:[0,0,1]
	s_wait_loadcnt 0x2
	v_pk_mul_f32 v[76:77], v[60:61], v[48:49] op_sel:[1,1] op_sel_hi:[0,1]
	v_mov_b32_e32 v80, v51
	v_pk_fma_f32 v[56:57], v[58:59], v[46:47], v[70:71] op_sel_hi:[1,0,1]
	v_mov_b32_e32 v45, v81
	v_pk_fma_f32 v[46:47], v[58:59], v[46:47], v[70:71] neg_lo:[0,0,1] neg_hi:[0,0,1]
	v_pk_fma_f32 v[74:75], v[60:61], v[48:49], v[76:77] op_sel_hi:[1,0,1]
	v_pk_mul_f32 v[72:73], v[72:73], v[80:81] op_sel_hi:[1,0]
	v_mov_b32_e32 v47, v57
	v_pk_add_f32 v[44:45], v[44:45], 0 op_sel_hi:[1,0]
	v_pk_fma_f32 v[48:49], v[60:61], v[48:49], v[76:77] neg_lo:[0,0,1] neg_hi:[0,0,1]
	s_wait_loadcnt 0x1
	v_pk_mul_f32 v[56:57], v[64:65], v[52:53] op_sel:[1,1] op_sel_hi:[0,1]
	v_mov_b32_e32 v49, v75
	v_pk_fma_f32 v[58:59], v[62:63], v[50:51], v[72:73] op_sel_hi:[1,0,1]
	v_pk_add_f32 v[44:45], v[44:45], v[46:47]
	v_mov_b32_e32 v46, v55
	v_pk_fma_f32 v[50:51], v[62:63], v[50:51], v[72:73] neg_lo:[0,0,1] neg_hi:[0,0,1]
	v_pk_fma_f32 v[60:61], v[64:65], v[52:53], v[56:57] op_sel_hi:[1,0,1]
	v_mov_b32_e32 v51, v59
	v_pk_add_f32 v[44:45], v[44:45], v[48:49]
	v_pk_mul_f32 v[46:47], v[78:79], v[46:47] op_sel_hi:[1,0]
	v_pk_fma_f32 v[48:49], v[64:65], v[52:53], v[56:57] neg_lo:[0,0,1] neg_hi:[0,0,1]
	v_mov_b32_e32 v49, v61
	s_delay_alu instid0(VALU_DEP_4) | instskip(NEXT) | instid1(VALU_DEP_4)
	v_pk_add_f32 v[44:45], v[44:45], v[50:51]
	v_pk_fma_f32 v[50:51], v[66:67], v[54:55], v[46:47] op_sel_hi:[1,0,1]
	v_pk_fma_f32 v[46:47], v[66:67], v[54:55], v[46:47] neg_lo:[0,0,1] neg_hi:[0,0,1]
	s_delay_alu instid0(VALU_DEP_3) | instskip(NEXT) | instid1(VALU_DEP_3)
	v_pk_add_f32 v[44:45], v[44:45], v[48:49]
	v_mov_b32_e32 v47, v51
	s_delay_alu instid0(VALU_DEP_1) | instskip(SKIP_1) | instid1(VALU_DEP_1)
	v_pk_add_f32 v[44:45], v[44:45], v[46:47]
	s_wait_loadcnt 0x0
	v_pk_add_f32 v[44:45], v[68:69], v[44:45] neg_lo:[0,1] neg_hi:[0,1]
	scratch_store_b64 off, v[44:45], off offset:112
	s_wait_xcnt 0x0
	v_cmpx_lt_u32_e32 13, v0
	s_cbranch_execz .LBB84_113
; %bb.112:
	scratch_load_b64 v[44:45], off, off offset:104
	v_mov_b64_e32 v[46:47], 0
	scratch_store_b64 off, v[46:47], off offset:104
	s_wait_loadcnt 0x0
	ds_store_b64 v1, v[44:45]
.LBB84_113:
	s_wait_xcnt 0x0
	s_or_b32 exec_lo, exec_lo, s0
	s_wait_storecnt_dscnt 0x0
	s_barrier_signal -1
	s_barrier_wait -1
	s_clause 0x4
	scratch_load_b128 v[44:47], off, off offset:112
	scratch_load_b128 v[48:51], off, off offset:128
	;; [unrolled: 1-line block ×3, first 2 shown]
	scratch_load_b64 v[68:69], off, off offset:160
	scratch_load_b64 v[70:71], off, off offset:104
	v_mov_b32_e32 v7, 0
	ds_load_b128 v[56:59], v7 offset:288
	ds_load_b128 v[60:63], v7 offset:304
	;; [unrolled: 1-line block ×3, first 2 shown]
	ds_load_b64 v[72:73], v7 offset:336
	s_mov_b32 s0, exec_lo
	s_wait_dscnt 0x3
	v_dual_mov_b32 v74, v59 :: v_dual_mov_b32 v75, v58
	s_wait_dscnt 0x2
	v_dual_mov_b32 v76, v63 :: v_dual_mov_b32 v77, v62
	;; [unrolled: 2-line block ×3, first 2 shown]
	s_wait_loadcnt 0x4
	v_pk_mul_f32 v[78:79], v[56:57], v[44:45] op_sel:[1,1] op_sel_hi:[0,1]
	v_mov_b32_e32 v80, v47
	s_wait_loadcnt 0x3
	v_pk_mul_f32 v[84:85], v[60:61], v[48:49] op_sel:[1,1] op_sel_hi:[0,1]
	s_wait_loadcnt 0x2
	v_pk_mul_f32 v[88:89], v[64:65], v[52:53] op_sel:[1,1] op_sel_hi:[0,1]
	v_pk_fma_f32 v[86:87], v[56:57], v[44:45], v[78:79] op_sel_hi:[1,0,1]
	v_pk_mul_f32 v[74:75], v[74:75], v[80:81] op_sel_hi:[1,0]
	v_pk_fma_f32 v[44:45], v[56:57], v[44:45], v[78:79] neg_lo:[0,0,1] neg_hi:[0,0,1]
	v_mov_b32_e32 v80, v51
	v_pk_fma_f32 v[78:79], v[60:61], v[48:49], v[84:85] op_sel_hi:[1,0,1]
	v_mov_b32_e32 v45, v87
	v_pk_fma_f32 v[56:57], v[58:59], v[46:47], v[74:75] op_sel_hi:[1,0,1]
	v_pk_fma_f32 v[46:47], v[58:59], v[46:47], v[74:75] neg_lo:[0,0,1] neg_hi:[0,0,1]
	v_pk_mul_f32 v[76:77], v[76:77], v[80:81] op_sel_hi:[1,0]
	v_pk_fma_f32 v[48:49], v[60:61], v[48:49], v[84:85] neg_lo:[0,0,1] neg_hi:[0,0,1]
	v_pk_add_f32 v[44:45], v[44:45], 0 op_sel_hi:[1,0]
	v_dual_mov_b32 v47, v57 :: v_dual_mov_b32 v56, v55
	s_delay_alu instid0(VALU_DEP_4) | instskip(SKIP_2) | instid1(VALU_DEP_4)
	v_pk_fma_f32 v[58:59], v[62:63], v[50:51], v[76:77] op_sel_hi:[1,0,1]
	v_mov_b32_e32 v49, v79
	v_pk_fma_f32 v[50:51], v[62:63], v[50:51], v[76:77] neg_lo:[0,0,1] neg_hi:[0,0,1]
	v_pk_add_f32 v[44:45], v[44:45], v[46:47]
	v_pk_fma_f32 v[46:47], v[64:65], v[52:53], v[88:89] op_sel_hi:[1,0,1]
	v_pk_mul_f32 v[56:57], v[82:83], v[56:57] op_sel_hi:[1,0]
	v_mov_b32_e32 v51, v59
	s_delay_alu instid0(VALU_DEP_4)
	v_pk_add_f32 v[44:45], v[44:45], v[48:49]
	v_pk_fma_f32 v[48:49], v[64:65], v[52:53], v[88:89] neg_lo:[0,0,1] neg_hi:[0,0,1]
	v_mov_b32_e32 v49, v47
	v_pk_fma_f32 v[46:47], v[66:67], v[54:55], v[56:57] op_sel_hi:[1,0,1]
	v_pk_fma_f32 v[52:53], v[66:67], v[54:55], v[56:57] neg_lo:[0,0,1] neg_hi:[0,0,1]
	v_pk_add_f32 v[44:45], v[44:45], v[50:51]
	s_wait_loadcnt_dscnt 0x100
	v_pk_mul_f32 v[50:51], v[72:73], v[68:69] op_sel:[1,1] op_sel_hi:[0,1]
	v_mov_b32_e32 v53, v47
	s_delay_alu instid0(VALU_DEP_3) | instskip(NEXT) | instid1(VALU_DEP_3)
	v_pk_add_f32 v[44:45], v[44:45], v[48:49]
	v_pk_fma_f32 v[46:47], v[72:73], v[68:69], v[50:51] op_sel_hi:[1,0,1]
	v_pk_fma_f32 v[48:49], v[72:73], v[68:69], v[50:51] neg_lo:[0,0,1] neg_hi:[0,0,1]
	s_delay_alu instid0(VALU_DEP_3) | instskip(NEXT) | instid1(VALU_DEP_3)
	v_pk_add_f32 v[44:45], v[44:45], v[52:53]
	v_mov_b32_e32 v49, v47
	s_delay_alu instid0(VALU_DEP_1) | instskip(SKIP_1) | instid1(VALU_DEP_1)
	v_pk_add_f32 v[44:45], v[44:45], v[48:49]
	s_wait_loadcnt 0x0
	v_pk_add_f32 v[44:45], v[70:71], v[44:45] neg_lo:[0,1] neg_hi:[0,1]
	scratch_store_b64 off, v[44:45], off offset:104
	s_wait_xcnt 0x0
	v_cmpx_lt_u32_e32 12, v0
	s_cbranch_execz .LBB84_115
; %bb.114:
	scratch_load_b64 v[44:45], off, off offset:96
	v_mov_b64_e32 v[46:47], 0
	scratch_store_b64 off, v[46:47], off offset:96
	s_wait_loadcnt 0x0
	ds_store_b64 v1, v[44:45]
.LBB84_115:
	s_wait_xcnt 0x0
	s_or_b32 exec_lo, exec_lo, s0
	s_wait_storecnt_dscnt 0x0
	s_barrier_signal -1
	s_barrier_wait -1
	s_clause 0x4
	scratch_load_b128 v[44:47], off, off offset:104
	scratch_load_b128 v[48:51], off, off offset:120
	scratch_load_b128 v[52:55], off, off offset:136
	scratch_load_b128 v[56:59], off, off offset:152
	scratch_load_b64 v[76:77], off, off offset:96
	ds_load_2addr_b64 v[60:63], v7 offset0:35 offset1:36
	ds_load_2addr_b64 v[64:67], v7 offset0:37 offset1:38
	;; [unrolled: 1-line block ×4, first 2 shown]
	s_mov_b32 s0, exec_lo
	s_wait_dscnt 0x3
	v_dual_mov_b32 v78, v63 :: v_dual_mov_b32 v79, v62
	s_wait_dscnt 0x2
	v_dual_mov_b32 v80, v67 :: v_dual_mov_b32 v81, v66
	;; [unrolled: 2-line block ×3, first 2 shown]
	v_dual_mov_b32 v83, v70 :: v_dual_mov_b32 v88, v75
	s_wait_loadcnt 0x4
	v_mov_b32_e32 v86, v47
	v_pk_mul_f32 v[84:85], v[60:61], v[44:45] op_sel:[1,1] op_sel_hi:[0,1]
	s_wait_loadcnt 0x3
	v_pk_mul_f32 v[90:91], v[64:65], v[48:49] op_sel:[1,1] op_sel_hi:[0,1]
	s_wait_loadcnt 0x2
	v_pk_mul_f32 v[94:95], v[68:69], v[52:53] op_sel:[1,1] op_sel_hi:[0,1]
	v_pk_mul_f32 v[78:79], v[78:79], v[86:87] op_sel_hi:[1,0]
	v_pk_fma_f32 v[92:93], v[60:61], v[44:45], v[84:85] op_sel_hi:[1,0,1]
	v_pk_fma_f32 v[44:45], v[60:61], v[44:45], v[84:85] neg_lo:[0,0,1] neg_hi:[0,0,1]
	v_mov_b32_e32 v86, v51
	v_pk_fma_f32 v[84:85], v[64:65], v[48:49], v[90:91] op_sel_hi:[1,0,1]
	v_pk_fma_f32 v[60:61], v[62:63], v[46:47], v[78:79] op_sel_hi:[1,0,1]
	v_mov_b32_e32 v45, v93
	v_pk_fma_f32 v[46:47], v[62:63], v[46:47], v[78:79] neg_lo:[0,0,1] neg_hi:[0,0,1]
	v_pk_mul_f32 v[80:81], v[80:81], v[86:87] op_sel_hi:[1,0]
	s_delay_alu instid0(VALU_DEP_4) | instskip(NEXT) | instid1(VALU_DEP_4)
	v_dual_mov_b32 v60, v55 :: v_dual_mov_b32 v47, v61
	v_pk_add_f32 v[44:45], v[44:45], 0 op_sel_hi:[1,0]
	v_pk_fma_f32 v[48:49], v[64:65], v[48:49], v[90:91] neg_lo:[0,0,1] neg_hi:[0,0,1]
	v_mov_b32_e32 v49, v85
	v_pk_fma_f32 v[62:63], v[66:67], v[50:51], v[80:81] op_sel_hi:[1,0,1]
	v_pk_mul_f32 v[60:61], v[82:83], v[60:61] op_sel_hi:[1,0]
	v_pk_add_f32 v[44:45], v[44:45], v[46:47]
	v_pk_fma_f32 v[46:47], v[68:69], v[52:53], v[94:95] op_sel_hi:[1,0,1]
	v_pk_fma_f32 v[50:51], v[66:67], v[50:51], v[80:81] neg_lo:[0,0,1] neg_hi:[0,0,1]
	v_mov_b32_e32 v51, v63
	v_pk_fma_f32 v[52:53], v[68:69], v[52:53], v[94:95] neg_lo:[0,0,1] neg_hi:[0,0,1]
	v_pk_add_f32 v[44:45], v[44:45], v[48:49]
	v_mov_b32_e32 v53, v47
	v_pk_fma_f32 v[46:47], v[70:71], v[54:55], v[60:61] op_sel_hi:[1,0,1]
	s_wait_loadcnt 0x1
	v_pk_mul_f32 v[48:49], v[72:73], v[56:57] op_sel:[1,1] op_sel_hi:[0,1]
	v_mov_b32_e32 v46, v59
	v_pk_add_f32 v[44:45], v[44:45], v[50:51]
	v_pk_fma_f32 v[54:55], v[70:71], v[54:55], v[60:61] neg_lo:[0,0,1] neg_hi:[0,0,1]
	v_mov_b32_e32 v55, v47
	v_pk_fma_f32 v[50:51], v[72:73], v[56:57], v[48:49] op_sel_hi:[1,0,1]
	v_pk_mul_f32 v[46:47], v[88:89], v[46:47] op_sel_hi:[1,0]
	v_pk_add_f32 v[44:45], v[44:45], v[52:53]
	v_pk_fma_f32 v[48:49], v[72:73], v[56:57], v[48:49] neg_lo:[0,0,1] neg_hi:[0,0,1]
	s_delay_alu instid0(VALU_DEP_4) | instskip(NEXT) | instid1(VALU_DEP_4)
	v_mov_b32_e32 v49, v51
	v_pk_fma_f32 v[50:51], v[74:75], v[58:59], v[46:47] op_sel_hi:[1,0,1]
	s_delay_alu instid0(VALU_DEP_4) | instskip(SKIP_1) | instid1(VALU_DEP_3)
	v_pk_add_f32 v[44:45], v[44:45], v[54:55]
	v_pk_fma_f32 v[46:47], v[74:75], v[58:59], v[46:47] neg_lo:[0,0,1] neg_hi:[0,0,1]
	v_mov_b32_e32 v47, v51
	s_delay_alu instid0(VALU_DEP_3) | instskip(NEXT) | instid1(VALU_DEP_1)
	v_pk_add_f32 v[44:45], v[44:45], v[48:49]
	v_pk_add_f32 v[44:45], v[44:45], v[46:47]
	s_wait_loadcnt 0x0
	s_delay_alu instid0(VALU_DEP_1)
	v_pk_add_f32 v[44:45], v[76:77], v[44:45] neg_lo:[0,1] neg_hi:[0,1]
	scratch_store_b64 off, v[44:45], off offset:96
	s_wait_xcnt 0x0
	v_cmpx_lt_u32_e32 11, v0
	s_cbranch_execz .LBB84_117
; %bb.116:
	scratch_load_b64 v[44:45], off, off offset:88
	v_mov_b64_e32 v[46:47], 0
	scratch_store_b64 off, v[46:47], off offset:88
	s_wait_loadcnt 0x0
	ds_store_b64 v1, v[44:45]
.LBB84_117:
	s_wait_xcnt 0x0
	s_or_b32 exec_lo, exec_lo, s0
	s_wait_storecnt_dscnt 0x0
	s_barrier_signal -1
	s_barrier_wait -1
	s_clause 0x5
	scratch_load_b128 v[44:47], off, off offset:96
	scratch_load_b128 v[48:51], off, off offset:112
	;; [unrolled: 1-line block ×4, first 2 shown]
	scratch_load_b64 v[76:77], off, off offset:160
	scratch_load_b64 v[78:79], off, off offset:88
	v_mov_b32_e32 v7, 0
	ds_load_b128 v[60:63], v7 offset:272
	ds_load_b128 v[64:67], v7 offset:288
	;; [unrolled: 1-line block ×4, first 2 shown]
	ds_load_b64 v[80:81], v7 offset:336
	s_mov_b32 s0, exec_lo
	s_wait_dscnt 0x4
	v_dual_mov_b32 v82, v63 :: v_dual_mov_b32 v83, v62
	s_wait_dscnt 0x1
	v_dual_mov_b32 v84, v67 :: v_dual_mov_b32 v89, v74
	v_dual_mov_b32 v85, v66 :: v_dual_mov_b32 v86, v71
	;; [unrolled: 1-line block ×3, first 2 shown]
	s_wait_loadcnt 0x5
	v_dual_mov_b32 v90, v47 :: v_dual_mul_f32 v91, v60, v45
	v_mul_f32_e32 v9, v61, v45
	s_wait_loadcnt 0x4
	v_pk_mul_f32 v[92:93], v[64:65], v[48:49] op_sel:[1,1] op_sel_hi:[0,1]
	v_mov_b32_e32 v94, v51
	s_wait_loadcnt 0x3
	v_pk_mul_f32 v[96:97], v[68:69], v[52:53] op_sel:[1,1] op_sel_hi:[0,1]
	v_pk_mul_f32 v[82:83], v[82:83], v[90:91] op_sel_hi:[1,0]
	v_dual_fmac_f32 v91, v61, v44 :: v_dual_fma_f32 v90, v60, v44, -v9
	v_mov_b32_e32 v44, v55
	v_pk_fma_f32 v[98:99], v[64:65], v[48:49], v[92:93] op_sel_hi:[1,0,1]
	s_delay_alu instid0(VALU_DEP_4)
	v_pk_fma_f32 v[60:61], v[62:63], v[46:47], v[82:83] op_sel_hi:[1,0,1]
	v_pk_fma_f32 v[46:47], v[62:63], v[46:47], v[82:83] neg_lo:[0,0,1] neg_hi:[0,0,1]
	v_pk_mul_f32 v[84:85], v[84:85], v[94:95] op_sel_hi:[1,0]
	v_pk_add_f32 v[90:91], v[90:91], 0 op_sel_hi:[1,0]
	v_pk_fma_f32 v[48:49], v[64:65], v[48:49], v[92:93] neg_lo:[0,0,1] neg_hi:[0,0,1]
	v_dual_mov_b32 v47, v61 :: v_dual_mov_b32 v49, v99
	s_delay_alu instid0(VALU_DEP_4) | instskip(SKIP_2) | instid1(VALU_DEP_4)
	v_pk_fma_f32 v[62:63], v[66:67], v[50:51], v[84:85] op_sel_hi:[1,0,1]
	v_pk_fma_f32 v[50:51], v[66:67], v[50:51], v[84:85] neg_lo:[0,0,1] neg_hi:[0,0,1]
	v_pk_fma_f32 v[64:65], v[68:69], v[52:53], v[96:97] op_sel_hi:[1,0,1]
	v_pk_add_f32 v[46:47], v[90:91], v[46:47]
	v_pk_mul_f32 v[44:45], v[86:87], v[44:45] op_sel_hi:[1,0]
	v_mov_b32_e32 v51, v63
	v_pk_fma_f32 v[52:53], v[68:69], v[52:53], v[96:97] neg_lo:[0,0,1] neg_hi:[0,0,1]
	s_wait_loadcnt 0x2
	v_pk_mul_f32 v[60:61], v[72:73], v[56:57] op_sel:[1,1] op_sel_hi:[0,1]
	v_pk_add_f32 v[46:47], v[46:47], v[48:49]
	v_mov_b32_e32 v48, v59
	v_pk_fma_f32 v[62:63], v[70:71], v[54:55], v[44:45] op_sel_hi:[1,0,1]
	v_mov_b32_e32 v53, v65
	v_pk_fma_f32 v[44:45], v[70:71], v[54:55], v[44:45] neg_lo:[0,0,1] neg_hi:[0,0,1]
	v_pk_add_f32 v[46:47], v[46:47], v[50:51]
	v_pk_fma_f32 v[50:51], v[72:73], v[56:57], v[60:61] op_sel_hi:[1,0,1]
	v_pk_mul_f32 v[48:49], v[88:89], v[48:49] op_sel_hi:[1,0]
	v_mov_b32_e32 v45, v63
	s_delay_alu instid0(VALU_DEP_4)
	v_pk_add_f32 v[46:47], v[46:47], v[52:53]
	v_pk_fma_f32 v[52:53], v[72:73], v[56:57], v[60:61] neg_lo:[0,0,1] neg_hi:[0,0,1]
	v_mov_b32_e32 v53, v51
	v_pk_fma_f32 v[50:51], v[74:75], v[58:59], v[48:49] op_sel_hi:[1,0,1]
	v_pk_fma_f32 v[48:49], v[74:75], v[58:59], v[48:49] neg_lo:[0,0,1] neg_hi:[0,0,1]
	v_pk_add_f32 v[44:45], v[46:47], v[44:45]
	s_wait_loadcnt_dscnt 0x100
	v_pk_mul_f32 v[46:47], v[80:81], v[76:77] op_sel:[1,1] op_sel_hi:[0,1]
	v_mov_b32_e32 v49, v51
	s_delay_alu instid0(VALU_DEP_3) | instskip(NEXT) | instid1(VALU_DEP_3)
	v_pk_add_f32 v[44:45], v[44:45], v[52:53]
	v_pk_fma_f32 v[50:51], v[80:81], v[76:77], v[46:47] op_sel_hi:[1,0,1]
	v_pk_fma_f32 v[46:47], v[80:81], v[76:77], v[46:47] neg_lo:[0,0,1] neg_hi:[0,0,1]
	s_delay_alu instid0(VALU_DEP_3) | instskip(NEXT) | instid1(VALU_DEP_3)
	v_pk_add_f32 v[44:45], v[44:45], v[48:49]
	v_mov_b32_e32 v47, v51
	s_delay_alu instid0(VALU_DEP_1) | instskip(SKIP_1) | instid1(VALU_DEP_1)
	v_pk_add_f32 v[44:45], v[44:45], v[46:47]
	s_wait_loadcnt 0x0
	v_pk_add_f32 v[44:45], v[78:79], v[44:45] neg_lo:[0,1] neg_hi:[0,1]
	scratch_store_b64 off, v[44:45], off offset:88
	s_wait_xcnt 0x0
	v_cmpx_lt_u32_e32 10, v0
	s_cbranch_execz .LBB84_119
; %bb.118:
	scratch_load_b64 v[44:45], off, off offset:80
	v_mov_b64_e32 v[46:47], 0
	scratch_store_b64 off, v[46:47], off offset:80
	s_wait_loadcnt 0x0
	ds_store_b64 v1, v[44:45]
.LBB84_119:
	s_wait_xcnt 0x0
	s_or_b32 exec_lo, exec_lo, s0
	s_wait_storecnt_dscnt 0x0
	s_barrier_signal -1
	s_barrier_wait -1
	s_clause 0x5
	scratch_load_b128 v[44:47], off, off offset:88
	scratch_load_b128 v[48:51], off, off offset:104
	;; [unrolled: 1-line block ×5, first 2 shown]
	scratch_load_b64 v[84:85], off, off offset:80
	ds_load_2addr_b64 v[64:67], v7 offset0:35 offset1:36
	ds_load_2addr_b64 v[68:71], v7 offset0:37 offset1:38
	;; [unrolled: 1-line block ×5, first 2 shown]
	s_mov_b32 s0, exec_lo
	s_wait_dscnt 0x4
	v_dual_mov_b32 v86, v67 :: v_dual_mov_b32 v87, v66
	s_wait_dscnt 0x3
	v_dual_mov_b32 v88, v71 :: v_dual_mov_b32 v89, v70
	;; [unrolled: 2-line block ×4, first 2 shown]
	s_wait_loadcnt_dscnt 0x500
	v_dual_mul_f32 v95, v80, v45 :: v_dual_mul_f32 v97, v82, v47
	v_dual_mul_f32 v7, v81, v45 :: v_dual_mul_f32 v9, v83, v47
	s_wait_loadcnt 0x4
	v_pk_mul_f32 v[98:99], v[64:65], v[48:49] op_sel:[1,1] op_sel_hi:[0,1]
	s_wait_loadcnt 0x3
	v_dual_mov_b32 v100, v51 :: v_dual_mov_b32 v104, v55
	v_dual_fmac_f32 v95, v81, v44 :: v_dual_fmac_f32 v97, v83, v46
	v_dual_fma_f32 v94, v80, v44, -v7 :: v_dual_fma_f32 v96, v82, v46, -v9
	v_pk_fma_f32 v[44:45], v[64:65], v[48:49], v[98:99] op_sel_hi:[1,0,1]
	s_delay_alu instid0(VALU_DEP_4) | instskip(SKIP_1) | instid1(VALU_DEP_4)
	v_pk_mul_f32 v[46:47], v[86:87], v[100:101] op_sel_hi:[1,0]
	v_pk_fma_f32 v[48:49], v[64:65], v[48:49], v[98:99] neg_lo:[0,0,1] neg_hi:[0,0,1]
	v_pk_add_f32 v[80:81], v[94:95], 0 op_sel_hi:[1,0]
	v_pk_mul_f32 v[102:103], v[68:69], v[52:53] op_sel:[1,1] op_sel_hi:[0,1]
	v_mov_b32_e32 v49, v45
	v_pk_fma_f32 v[44:45], v[66:67], v[50:51], v[46:47] op_sel_hi:[1,0,1]
	v_pk_fma_f32 v[46:47], v[66:67], v[50:51], v[46:47] neg_lo:[0,0,1] neg_hi:[0,0,1]
	v_pk_add_f32 v[64:65], v[80:81], v[96:97]
	v_pk_fma_f32 v[80:81], v[68:69], v[52:53], v[102:103] op_sel_hi:[1,0,1]
	v_pk_mul_f32 v[86:87], v[88:89], v[104:105] op_sel_hi:[1,0]
	v_mov_b32_e32 v47, v45
	s_wait_loadcnt 0x2
	v_pk_mul_f32 v[82:83], v[72:73], v[56:57] op_sel:[1,1] op_sel_hi:[0,1]
	v_pk_add_f32 v[44:45], v[64:65], v[48:49]
	v_mov_b32_e32 v48, v59
	v_pk_fma_f32 v[50:51], v[68:69], v[52:53], v[102:103] neg_lo:[0,0,1] neg_hi:[0,0,1]
	v_mov_b32_e32 v51, v81
	v_pk_fma_f32 v[52:53], v[70:71], v[54:55], v[86:87] op_sel_hi:[1,0,1]
	v_pk_add_f32 v[44:45], v[44:45], v[46:47]
	v_pk_fma_f32 v[46:47], v[72:73], v[56:57], v[82:83] op_sel_hi:[1,0,1]
	v_pk_mul_f32 v[48:49], v[90:91], v[48:49] op_sel_hi:[1,0]
	v_pk_fma_f32 v[54:55], v[70:71], v[54:55], v[86:87] neg_lo:[0,0,1] neg_hi:[0,0,1]
	v_mov_b32_e32 v55, v53
	v_pk_add_f32 v[44:45], v[44:45], v[50:51]
	v_pk_fma_f32 v[52:53], v[72:73], v[56:57], v[82:83] neg_lo:[0,0,1] neg_hi:[0,0,1]
	v_mov_b32_e32 v53, v47
	v_pk_fma_f32 v[46:47], v[74:75], v[58:59], v[48:49] op_sel_hi:[1,0,1]
	s_wait_loadcnt 0x1
	v_pk_mul_f32 v[50:51], v[76:77], v[60:61] op_sel:[1,1] op_sel_hi:[0,1]
	v_pk_add_f32 v[44:45], v[44:45], v[54:55]
	v_mov_b32_e32 v46, v63
	v_pk_fma_f32 v[48:49], v[74:75], v[58:59], v[48:49] neg_lo:[0,0,1] neg_hi:[0,0,1]
	v_mov_b32_e32 v49, v47
	v_pk_fma_f32 v[54:55], v[76:77], v[60:61], v[50:51] op_sel_hi:[1,0,1]
	v_pk_add_f32 v[44:45], v[44:45], v[52:53]
	v_pk_mul_f32 v[46:47], v[92:93], v[46:47] op_sel_hi:[1,0]
	v_pk_fma_f32 v[50:51], v[76:77], v[60:61], v[50:51] neg_lo:[0,0,1] neg_hi:[0,0,1]
	s_delay_alu instid0(VALU_DEP_3) | instskip(NEXT) | instid1(VALU_DEP_3)
	v_pk_add_f32 v[44:45], v[44:45], v[48:49]
	v_pk_fma_f32 v[48:49], v[78:79], v[62:63], v[46:47] op_sel_hi:[1,0,1]
	v_mov_b32_e32 v51, v55
	v_pk_fma_f32 v[46:47], v[78:79], v[62:63], v[46:47] neg_lo:[0,0,1] neg_hi:[0,0,1]
	s_delay_alu instid0(VALU_DEP_3) | instskip(NEXT) | instid1(VALU_DEP_3)
	v_mov_b32_e32 v47, v49
	v_pk_add_f32 v[44:45], v[44:45], v[50:51]
	s_delay_alu instid0(VALU_DEP_1) | instskip(SKIP_1) | instid1(VALU_DEP_1)
	v_pk_add_f32 v[44:45], v[44:45], v[46:47]
	s_wait_loadcnt 0x0
	v_pk_add_f32 v[44:45], v[84:85], v[44:45] neg_lo:[0,1] neg_hi:[0,1]
	scratch_store_b64 off, v[44:45], off offset:80
	s_wait_xcnt 0x0
	v_cmpx_lt_u32_e32 9, v0
	s_cbranch_execz .LBB84_121
; %bb.120:
	scratch_load_b64 v[44:45], off, off offset:72
	v_mov_b64_e32 v[46:47], 0
	scratch_store_b64 off, v[46:47], off offset:72
	s_wait_loadcnt 0x0
	ds_store_b64 v1, v[44:45]
.LBB84_121:
	s_wait_xcnt 0x0
	s_or_b32 exec_lo, exec_lo, s0
	s_wait_storecnt_dscnt 0x0
	s_barrier_signal -1
	s_barrier_wait -1
	s_clause 0x6
	scratch_load_b128 v[44:47], off, off offset:80
	scratch_load_b128 v[48:51], off, off offset:96
	;; [unrolled: 1-line block ×5, first 2 shown]
	scratch_load_b64 v[84:85], off, off offset:160
	scratch_load_b64 v[86:87], off, off offset:72
	v_mov_b32_e32 v7, 0
	ds_load_b128 v[64:67], v7 offset:272
	ds_load_b128 v[68:71], v7 offset:288
	;; [unrolled: 1-line block ×5, first 2 shown]
	ds_load_b64 v[88:89], v7 offset:336
	s_mov_b32 s0, exec_lo
	s_wait_dscnt 0x5
	v_dual_mov_b32 v90, v67 :: v_dual_mov_b32 v91, v66
	s_wait_dscnt 0x2
	v_dual_mov_b32 v92, v71 :: v_dual_mov_b32 v97, v78
	v_dual_mov_b32 v93, v70 :: v_dual_mov_b32 v94, v75
	;; [unrolled: 1-line block ×3, first 2 shown]
	s_wait_loadcnt_dscnt 0x601
	v_dual_mul_f32 v9, v80, v45 :: v_dual_mul_f32 v11, v81, v45
	v_dual_mul_f32 v13, v83, v47 :: v_dual_mul_f32 v99, v82, v47
	s_wait_loadcnt 0x5
	v_dual_mul_f32 v101, v64, v49 :: v_dual_mul_f32 v15, v65, v49
	s_wait_loadcnt 0x4
	v_dual_mov_b32 v100, v51 :: v_dual_mov_b32 v104, v55
	v_dual_fmac_f32 v9, v81, v44 :: v_dual_fma_f32 v11, v80, v44, -v11
	v_dual_fma_f32 v98, v82, v46, -v13 :: v_dual_fmac_f32 v99, v83, v46
	s_delay_alu instid0(VALU_DEP_3) | instskip(NEXT) | instid1(VALU_DEP_3)
	v_pk_mul_f32 v[44:45], v[90:91], v[100:101] op_sel_hi:[1,0]
	v_dual_add_f32 v47, 0, v9 :: v_dual_add_f32 v46, 0, v11
	s_wait_loadcnt 0x3
	v_mov_b32_e32 v80, v59
	v_pk_mul_f32 v[102:103], v[68:69], v[52:53] op_sel:[1,1] op_sel_hi:[0,1]
	v_dual_fmac_f32 v101, v65, v48 :: v_dual_fma_f32 v100, v64, v48, -v15
	v_pk_fma_f32 v[48:49], v[66:67], v[50:51], v[44:45] op_sel_hi:[1,0,1]
	v_pk_add_f32 v[46:47], v[46:47], v[98:99]
	v_pk_fma_f32 v[44:45], v[66:67], v[50:51], v[44:45] neg_lo:[0,0,1] neg_hi:[0,0,1]
	v_pk_fma_f32 v[64:65], v[68:69], v[52:53], v[102:103] op_sel_hi:[1,0,1]
	v_pk_mul_f32 v[82:83], v[92:93], v[104:105] op_sel_hi:[1,0]
	v_mov_b32_e32 v45, v49
	v_pk_add_f32 v[46:47], v[46:47], v[100:101]
	v_pk_fma_f32 v[50:51], v[68:69], v[52:53], v[102:103] neg_lo:[0,0,1] neg_hi:[0,0,1]
	v_pk_mul_f32 v[106:107], v[72:73], v[56:57] op_sel:[1,1] op_sel_hi:[0,1]
	v_mov_b32_e32 v51, v65
	v_pk_fma_f32 v[52:53], v[70:71], v[54:55], v[82:83] op_sel_hi:[1,0,1]
	v_pk_add_f32 v[44:45], v[46:47], v[44:45]
	v_pk_fma_f32 v[54:55], v[70:71], v[54:55], v[82:83] neg_lo:[0,0,1] neg_hi:[0,0,1]
	v_pk_fma_f32 v[46:47], v[72:73], v[56:57], v[106:107] op_sel_hi:[1,0,1]
	v_pk_mul_f32 v[64:65], v[94:95], v[80:81] op_sel_hi:[1,0]
	s_wait_loadcnt 0x2
	v_dual_mov_b32 v55, v53 :: v_dual_mov_b32 v46, v63
	v_pk_add_f32 v[44:45], v[44:45], v[50:51]
	v_pk_fma_f32 v[50:51], v[72:73], v[56:57], v[106:107] neg_lo:[0,0,1] neg_hi:[0,0,1]
	v_pk_mul_f32 v[48:49], v[76:77], v[60:61] op_sel:[1,1] op_sel_hi:[0,1]
	v_pk_fma_f32 v[52:53], v[74:75], v[58:59], v[64:65] op_sel_hi:[1,0,1]
	v_mov_b32_e32 v51, v47
	v_pk_add_f32 v[44:45], v[44:45], v[54:55]
	v_pk_fma_f32 v[56:57], v[74:75], v[58:59], v[64:65] neg_lo:[0,0,1] neg_hi:[0,0,1]
	v_pk_fma_f32 v[54:55], v[76:77], v[60:61], v[48:49] op_sel_hi:[1,0,1]
	v_pk_mul_f32 v[46:47], v[96:97], v[46:47] op_sel_hi:[1,0]
	v_mov_b32_e32 v57, v53
	v_pk_add_f32 v[44:45], v[44:45], v[50:51]
	v_pk_fma_f32 v[48:49], v[76:77], v[60:61], v[48:49] neg_lo:[0,0,1] neg_hi:[0,0,1]
	s_wait_loadcnt_dscnt 0x100
	v_pk_mul_f32 v[52:53], v[88:89], v[84:85] op_sel:[1,1] op_sel_hi:[0,1]
	v_pk_fma_f32 v[50:51], v[78:79], v[62:63], v[46:47] op_sel_hi:[1,0,1]
	v_mov_b32_e32 v49, v55
	v_pk_add_f32 v[44:45], v[44:45], v[56:57]
	v_pk_fma_f32 v[46:47], v[78:79], v[62:63], v[46:47] neg_lo:[0,0,1] neg_hi:[0,0,1]
	s_delay_alu instid0(VALU_DEP_4) | instskip(SKIP_1) | instid1(VALU_DEP_4)
	v_mov_b32_e32 v47, v51
	v_pk_fma_f32 v[50:51], v[88:89], v[84:85], v[52:53] neg_lo:[0,0,1] neg_hi:[0,0,1]
	v_pk_add_f32 v[44:45], v[44:45], v[48:49]
	v_pk_fma_f32 v[48:49], v[88:89], v[84:85], v[52:53] op_sel_hi:[1,0,1]
	s_delay_alu instid0(VALU_DEP_2) | instskip(NEXT) | instid1(VALU_DEP_2)
	v_pk_add_f32 v[44:45], v[44:45], v[46:47]
	v_mov_b32_e32 v51, v49
	s_delay_alu instid0(VALU_DEP_1) | instskip(SKIP_1) | instid1(VALU_DEP_1)
	v_pk_add_f32 v[44:45], v[44:45], v[50:51]
	s_wait_loadcnt 0x0
	v_pk_add_f32 v[44:45], v[86:87], v[44:45] neg_lo:[0,1] neg_hi:[0,1]
	scratch_store_b64 off, v[44:45], off offset:72
	s_wait_xcnt 0x0
	v_cmpx_lt_u32_e32 8, v0
	s_cbranch_execz .LBB84_123
; %bb.122:
	scratch_load_b64 v[44:45], off, off offset:64
	v_mov_b64_e32 v[46:47], 0
	scratch_store_b64 off, v[46:47], off offset:64
	s_wait_loadcnt 0x0
	ds_store_b64 v1, v[44:45]
.LBB84_123:
	s_wait_xcnt 0x0
	s_or_b32 exec_lo, exec_lo, s0
	s_wait_storecnt_dscnt 0x0
	s_barrier_signal -1
	s_barrier_wait -1
	s_clause 0x6
	scratch_load_b128 v[44:47], off, off offset:72
	scratch_load_b128 v[48:51], off, off offset:88
	;; [unrolled: 1-line block ×6, first 2 shown]
	scratch_load_b64 v[92:93], off, off offset:64
	ds_load_2addr_b64 v[68:71], v7 offset0:35 offset1:36
	ds_load_2addr_b64 v[72:75], v7 offset0:37 offset1:38
	;; [unrolled: 1-line block ×6, first 2 shown]
	s_mov_b32 s0, exec_lo
	s_wait_dscnt 0x5
	v_dual_mov_b32 v94, v71 :: v_dual_mov_b32 v95, v70
	s_wait_dscnt 0x4
	v_dual_mov_b32 v96, v75 :: v_dual_mov_b32 v97, v74
	;; [unrolled: 2-line block ×4, first 2 shown]
	s_wait_loadcnt_dscnt 0x601
	v_dual_mul_f32 v7, v84, v45 :: v_dual_mul_f32 v9, v86, v47
	v_dual_mul_f32 v11, v85, v45 :: v_dual_mul_f32 v13, v87, v47
	s_wait_loadcnt 0x4
	s_delay_alu instid0(VALU_DEP_2)
	v_dual_mov_b32 v108, v55 :: v_dual_fmac_f32 v7, v85, v44
	s_wait_dscnt 0x0
	v_dual_mul_f32 v103, v88, v49 :: v_dual_mul_f32 v105, v90, v51
	v_dual_fma_f32 v11, v84, v44, -v11 :: v_dual_fmac_f32 v9, v87, v46
	v_dual_mul_f32 v15, v89, v49 :: v_dual_mul_f32 v17, v91, v51
	v_dual_fma_f32 v13, v86, v46, -v13 :: v_dual_add_f32 v7, 0, v7
	s_wait_loadcnt 0x3
	s_delay_alu instid0(VALU_DEP_3) | instskip(SKIP_3) | instid1(VALU_DEP_4)
	v_dual_add_f32 v11, 0, v11 :: v_dual_mov_b32 v46, v59
	v_pk_mul_f32 v[106:107], v[68:69], v[52:53] op_sel:[1,1] op_sel_hi:[0,1]
	v_pk_mul_f32 v[44:45], v[72:73], v[56:57] op_sel:[1,1] op_sel_hi:[0,1]
	v_dual_fmac_f32 v103, v89, v48 :: v_dual_add_f32 v49, v7, v9
	v_dual_fma_f32 v102, v88, v48, -v15 :: v_dual_add_f32 v48, v11, v13
	v_fmac_f32_e32 v105, v91, v50
	v_fma_f32 v104, v90, v50, -v17
	v_pk_fma_f32 v[50:51], v[68:69], v[52:53], v[106:107] op_sel_hi:[1,0,1]
	v_pk_mul_f32 v[84:85], v[94:95], v[108:109] op_sel_hi:[1,0]
	v_pk_add_f32 v[48:49], v[48:49], v[102:103]
	v_pk_fma_f32 v[52:53], v[68:69], v[52:53], v[106:107] neg_lo:[0,0,1] neg_hi:[0,0,1]
	v_pk_fma_f32 v[68:69], v[72:73], v[56:57], v[44:45] op_sel_hi:[1,0,1]
	v_pk_fma_f32 v[44:45], v[72:73], v[56:57], v[44:45] neg_lo:[0,0,1] neg_hi:[0,0,1]
	v_mov_b32_e32 v53, v51
	v_pk_fma_f32 v[50:51], v[70:71], v[54:55], v[84:85] op_sel_hi:[1,0,1]
	v_pk_fma_f32 v[54:55], v[70:71], v[54:55], v[84:85] neg_lo:[0,0,1] neg_hi:[0,0,1]
	v_mov_b32_e32 v45, v69
	v_pk_add_f32 v[48:49], v[48:49], v[104:105]
	v_pk_mul_f32 v[46:47], v[96:97], v[46:47] op_sel_hi:[1,0]
	s_wait_loadcnt 0x2
	v_dual_mov_b32 v55, v51 :: v_dual_mov_b32 v50, v63
	v_pk_mul_f32 v[86:87], v[76:77], v[60:61] op_sel:[1,1] op_sel_hi:[0,1]
	v_pk_add_f32 v[48:49], v[48:49], v[52:53]
	v_pk_fma_f32 v[52:53], v[74:75], v[58:59], v[46:47] op_sel_hi:[1,0,1]
	v_pk_fma_f32 v[46:47], v[74:75], v[58:59], v[46:47] neg_lo:[0,0,1] neg_hi:[0,0,1]
	v_pk_mul_f32 v[50:51], v[98:99], v[50:51] op_sel_hi:[1,0]
	s_delay_alu instid0(VALU_DEP_4) | instskip(SKIP_3) | instid1(VALU_DEP_4)
	v_pk_add_f32 v[48:49], v[48:49], v[54:55]
	v_pk_fma_f32 v[54:55], v[76:77], v[60:61], v[86:87] op_sel_hi:[1,0,1]
	v_mov_b32_e32 v47, v53
	v_pk_fma_f32 v[52:53], v[76:77], v[60:61], v[86:87] neg_lo:[0,0,1] neg_hi:[0,0,1]
	v_pk_add_f32 v[44:45], v[48:49], v[44:45]
	s_wait_loadcnt 0x1
	v_pk_mul_f32 v[48:49], v[80:81], v[64:65] op_sel:[1,1] op_sel_hi:[0,1]
	v_mov_b32_e32 v53, v55
	v_pk_fma_f32 v[54:55], v[78:79], v[62:63], v[50:51] op_sel_hi:[1,0,1]
	v_pk_fma_f32 v[50:51], v[78:79], v[62:63], v[50:51] neg_lo:[0,0,1] neg_hi:[0,0,1]
	v_pk_add_f32 v[44:45], v[44:45], v[46:47]
	v_mov_b32_e32 v46, v67
	v_pk_fma_f32 v[56:57], v[80:81], v[64:65], v[48:49] op_sel_hi:[1,0,1]
	v_mov_b32_e32 v51, v55
	v_pk_fma_f32 v[48:49], v[80:81], v[64:65], v[48:49] neg_lo:[0,0,1] neg_hi:[0,0,1]
	v_pk_add_f32 v[44:45], v[44:45], v[52:53]
	v_pk_mul_f32 v[46:47], v[100:101], v[46:47] op_sel_hi:[1,0]
	s_delay_alu instid0(VALU_DEP_2) | instskip(NEXT) | instid1(VALU_DEP_2)
	v_pk_add_f32 v[44:45], v[44:45], v[50:51]
	v_pk_fma_f32 v[50:51], v[82:83], v[66:67], v[46:47] op_sel_hi:[1,0,1]
	v_mov_b32_e32 v49, v57
	v_pk_fma_f32 v[46:47], v[82:83], v[66:67], v[46:47] neg_lo:[0,0,1] neg_hi:[0,0,1]
	s_delay_alu instid0(VALU_DEP_3) | instskip(NEXT) | instid1(VALU_DEP_3)
	v_mov_b32_e32 v47, v51
	v_pk_add_f32 v[44:45], v[44:45], v[48:49]
	s_delay_alu instid0(VALU_DEP_1) | instskip(SKIP_1) | instid1(VALU_DEP_1)
	v_pk_add_f32 v[44:45], v[44:45], v[46:47]
	s_wait_loadcnt 0x0
	v_pk_add_f32 v[44:45], v[92:93], v[44:45] neg_lo:[0,1] neg_hi:[0,1]
	scratch_store_b64 off, v[44:45], off offset:64
	s_wait_xcnt 0x0
	v_cmpx_lt_u32_e32 7, v0
	s_cbranch_execz .LBB84_125
; %bb.124:
	scratch_load_b64 v[44:45], off, off offset:56
	v_mov_b64_e32 v[46:47], 0
	scratch_store_b64 off, v[46:47], off offset:56
	s_wait_loadcnt 0x0
	ds_store_b64 v1, v[44:45]
.LBB84_125:
	s_wait_xcnt 0x0
	s_or_b32 exec_lo, exec_lo, s0
	s_wait_storecnt_dscnt 0x0
	s_barrier_signal -1
	s_barrier_wait -1
	s_clause 0x7
	scratch_load_b128 v[44:47], off, off offset:64
	scratch_load_b128 v[48:51], off, off offset:80
	;; [unrolled: 1-line block ×6, first 2 shown]
	scratch_load_b64 v[92:93], off, off offset:160
	scratch_load_b64 v[94:95], off, off offset:56
	v_mov_b32_e32 v7, 0
	ds_load_b128 v[68:71], v7 offset:272
	ds_load_b128 v[72:75], v7 offset:288
	ds_load_b128 v[76:79], v7 offset:304
	ds_load_b128 v[80:83], v7 offset:320
	ds_load_b128 v[84:87], v7 offset:240
	ds_load_b128 v[88:91], v7 offset:256
	ds_load_b64 v[96:97], v7 offset:336
	s_mov_b32 s0, exec_lo
	s_wait_dscnt 0x6
	v_dual_mov_b32 v98, v71 :: v_dual_mov_b32 v99, v70
	s_wait_dscnt 0x3
	v_dual_mov_b32 v100, v75 :: v_dual_mov_b32 v105, v82
	v_dual_mov_b32 v101, v74 :: v_dual_mov_b32 v102, v79
	;; [unrolled: 1-line block ×3, first 2 shown]
	s_wait_loadcnt_dscnt 0x702
	v_dual_mul_f32 v9, v84, v45 :: v_dual_mul_f32 v15, v85, v45
	v_dual_mul_f32 v17, v87, v47 :: v_dual_mul_f32 v11, v86, v47
	s_wait_loadcnt_dscnt 0x601
	s_delay_alu instid0(VALU_DEP_2) | instskip(NEXT) | instid1(VALU_DEP_3)
	v_dual_mul_f32 v13, v88, v49 :: v_dual_fmac_f32 v9, v85, v44
	v_dual_fma_f32 v15, v84, v44, -v15 :: v_dual_mul_f32 v19, v89, v49
	v_mul_f32_e32 v21, v91, v51
	s_wait_loadcnt 0x4
	v_dual_mov_b32 v44, v59 :: v_dual_fma_f32 v17, v86, v46, -v17
	v_dual_fmac_f32 v11, v87, v46 :: v_dual_add_f32 v9, 0, v9
	v_dual_add_f32 v15, 0, v15 :: v_dual_fmac_f32 v13, v89, v48
	v_dual_mul_f32 v107, v90, v51 :: v_dual_mul_f32 v109, v68, v53
	v_dual_mul_f32 v23, v69, v53 :: v_dual_mov_b32 v108, v55
	s_delay_alu instid0(VALU_DEP_4) | instskip(NEXT) | instid1(VALU_DEP_4)
	v_dual_fma_f32 v19, v88, v48, -v19 :: v_dual_add_f32 v9, v9, v11
	v_dual_add_f32 v11, v15, v17 :: v_dual_fma_f32 v106, v90, v50, -v21
	s_delay_alu instid0(VALU_DEP_4) | instskip(NEXT) | instid1(VALU_DEP_4)
	v_fmac_f32_e32 v107, v91, v50
	v_pk_mul_f32 v[48:49], v[98:99], v[108:109] op_sel_hi:[1,0]
	s_delay_alu instid0(VALU_DEP_3)
	v_dual_add_f32 v51, v9, v13 :: v_dual_add_f32 v50, v11, v19
	v_fmac_f32_e32 v109, v69, v52
	v_pk_mul_f32 v[110:111], v[72:73], v[56:57] op_sel:[1,1] op_sel_hi:[0,1]
	s_wait_loadcnt 0x3
	v_dual_mov_b32 v84, v63 :: v_dual_fma_f32 v108, v68, v52, -v23
	v_pk_fma_f32 v[52:53], v[70:71], v[54:55], v[48:49] op_sel_hi:[1,0,1]
	v_pk_add_f32 v[50:51], v[50:51], v[106:107]
	v_pk_fma_f32 v[48:49], v[70:71], v[54:55], v[48:49] neg_lo:[0,0,1] neg_hi:[0,0,1]
	v_pk_fma_f32 v[68:69], v[72:73], v[56:57], v[110:111] op_sel_hi:[1,0,1]
	v_pk_mul_f32 v[44:45], v[100:101], v[44:45] op_sel_hi:[1,0]
	v_mov_b32_e32 v49, v53
	v_pk_add_f32 v[50:51], v[50:51], v[108:109]
	v_pk_fma_f32 v[54:55], v[72:73], v[56:57], v[110:111] neg_lo:[0,0,1] neg_hi:[0,0,1]
	v_pk_mul_f32 v[46:47], v[76:77], v[60:61] op_sel:[1,1] op_sel_hi:[0,1]
	v_mov_b32_e32 v55, v69
	v_pk_fma_f32 v[56:57], v[74:75], v[58:59], v[44:45] op_sel_hi:[1,0,1]
	v_pk_add_f32 v[48:49], v[50:51], v[48:49]
	v_pk_fma_f32 v[44:45], v[74:75], v[58:59], v[44:45] neg_lo:[0,0,1] neg_hi:[0,0,1]
	v_pk_fma_f32 v[50:51], v[76:77], v[60:61], v[46:47] op_sel_hi:[1,0,1]
	v_pk_mul_f32 v[68:69], v[102:103], v[84:85] op_sel_hi:[1,0]
	s_wait_loadcnt 0x2
	v_dual_mov_b32 v45, v57 :: v_dual_mov_b32 v50, v67
	v_pk_add_f32 v[48:49], v[48:49], v[54:55]
	v_pk_fma_f32 v[46:47], v[76:77], v[60:61], v[46:47] neg_lo:[0,0,1] neg_hi:[0,0,1]
	v_pk_mul_f32 v[52:53], v[80:81], v[64:65] op_sel:[1,1] op_sel_hi:[0,1]
	v_pk_fma_f32 v[54:55], v[78:79], v[62:63], v[68:69] op_sel_hi:[1,0,1]
	v_mov_b32_e32 v47, v51
	v_pk_add_f32 v[44:45], v[48:49], v[44:45]
	v_pk_fma_f32 v[56:57], v[78:79], v[62:63], v[68:69] neg_lo:[0,0,1] neg_hi:[0,0,1]
	v_pk_fma_f32 v[48:49], v[80:81], v[64:65], v[52:53] op_sel_hi:[1,0,1]
	v_pk_mul_f32 v[50:51], v[104:105], v[50:51] op_sel_hi:[1,0]
	v_mov_b32_e32 v57, v55
	v_pk_add_f32 v[44:45], v[44:45], v[46:47]
	v_pk_fma_f32 v[46:47], v[80:81], v[64:65], v[52:53] neg_lo:[0,0,1] neg_hi:[0,0,1]
	v_mov_b32_e32 v47, v49
	v_pk_fma_f32 v[48:49], v[82:83], v[66:67], v[50:51] op_sel_hi:[1,0,1]
	s_wait_loadcnt_dscnt 0x100
	v_pk_mul_f32 v[52:53], v[96:97], v[92:93] op_sel:[1,1] op_sel_hi:[0,1]
	v_pk_add_f32 v[44:45], v[44:45], v[56:57]
	v_pk_fma_f32 v[50:51], v[82:83], v[66:67], v[50:51] neg_lo:[0,0,1] neg_hi:[0,0,1]
	v_mov_b32_e32 v51, v49
	s_delay_alu instid0(VALU_DEP_4) | instskip(NEXT) | instid1(VALU_DEP_4)
	v_pk_fma_f32 v[48:49], v[96:97], v[92:93], v[52:53] neg_lo:[0,0,1] neg_hi:[0,0,1]
	v_pk_add_f32 v[44:45], v[44:45], v[46:47]
	v_pk_fma_f32 v[46:47], v[96:97], v[92:93], v[52:53] op_sel_hi:[1,0,1]
	s_delay_alu instid0(VALU_DEP_2) | instskip(NEXT) | instid1(VALU_DEP_2)
	v_pk_add_f32 v[44:45], v[44:45], v[50:51]
	v_mov_b32_e32 v49, v47
	s_delay_alu instid0(VALU_DEP_1) | instskip(SKIP_1) | instid1(VALU_DEP_1)
	v_pk_add_f32 v[44:45], v[44:45], v[48:49]
	s_wait_loadcnt 0x0
	v_pk_add_f32 v[44:45], v[94:95], v[44:45] neg_lo:[0,1] neg_hi:[0,1]
	scratch_store_b64 off, v[44:45], off offset:56
	s_wait_xcnt 0x0
	v_cmpx_lt_u32_e32 6, v0
	s_cbranch_execz .LBB84_127
; %bb.126:
	scratch_load_b64 v[44:45], off, off offset:48
	v_mov_b64_e32 v[46:47], 0
	scratch_store_b64 off, v[46:47], off offset:48
	s_wait_loadcnt 0x0
	ds_store_b64 v1, v[44:45]
.LBB84_127:
	s_wait_xcnt 0x0
	s_or_b32 exec_lo, exec_lo, s0
	s_wait_storecnt_dscnt 0x0
	s_barrier_signal -1
	s_barrier_wait -1
	s_clause 0x7
	scratch_load_b128 v[44:47], off, off offset:56
	scratch_load_b128 v[48:51], off, off offset:72
	;; [unrolled: 1-line block ×7, first 2 shown]
	scratch_load_b64 v[100:101], off, off offset:48
	ds_load_2addr_b64 v[72:75], v7 offset0:35 offset1:36
	ds_load_2addr_b64 v[76:79], v7 offset0:37 offset1:38
	;; [unrolled: 1-line block ×7, first 2 shown]
	s_mov_b32 s0, exec_lo
	s_wait_dscnt 0x6
	v_dual_mov_b32 v102, v75 :: v_dual_mov_b32 v103, v74
	s_wait_dscnt 0x5
	v_dual_mov_b32 v104, v79 :: v_dual_mov_b32 v105, v78
	;; [unrolled: 2-line block ×4, first 2 shown]
	s_wait_loadcnt_dscnt 0x702
	v_dual_mul_f32 v7, v88, v45 :: v_dual_mul_f32 v9, v90, v47
	v_dual_mul_f32 v15, v89, v45 :: v_dual_mul_f32 v17, v91, v47
	s_wait_loadcnt_dscnt 0x601
	v_dual_mul_f32 v11, v92, v49 :: v_dual_mul_f32 v13, v94, v51
	s_delay_alu instid0(VALU_DEP_3) | instskip(NEXT) | instid1(VALU_DEP_3)
	v_dual_fmac_f32 v7, v89, v44 :: v_dual_fmac_f32 v9, v91, v46
	v_dual_fma_f32 v15, v88, v44, -v15 :: v_dual_fma_f32 v17, v90, v46, -v17
	v_dual_mul_f32 v19, v93, v49 :: v_dual_mul_f32 v21, v95, v51
	s_wait_loadcnt 0x4
	s_delay_alu instid0(VALU_DEP_3) | instskip(NEXT) | instid1(VALU_DEP_3)
	v_dual_add_f32 v7, 0, v7 :: v_dual_mov_b32 v46, v59
	v_dual_add_f32 v15, 0, v15 :: v_dual_fmac_f32 v11, v93, v48
	s_delay_alu instid0(VALU_DEP_2) | instskip(SKIP_2) | instid1(VALU_DEP_3)
	v_dual_fma_f32 v19, v92, v48, -v19 :: v_dual_add_f32 v7, v7, v9
	s_wait_dscnt 0x0
	v_dual_mul_f32 v111, v96, v53 :: v_dual_mul_f32 v113, v98, v55
	v_dual_add_f32 v9, v15, v17 :: v_dual_fma_f32 v15, v94, v50, -v21
	v_dual_mul_f32 v23, v97, v53 :: v_dual_mul_f32 v25, v99, v55
	s_delay_alu instid0(VALU_DEP_2) | instskip(NEXT) | instid1(VALU_DEP_4)
	v_dual_fmac_f32 v13, v95, v50 :: v_dual_add_f32 v9, v9, v19
	v_dual_add_f32 v7, v7, v11 :: v_dual_fmac_f32 v111, v97, v52
	v_pk_mul_f32 v[44:45], v[72:73], v[56:57] op_sel:[1,1] op_sel_hi:[0,1]
	s_wait_loadcnt 0x3
	v_pk_mul_f32 v[48:49], v[76:77], v[60:61] op_sel:[1,1] op_sel_hi:[0,1]
	v_dual_mov_b32 v50, v63 :: v_dual_fma_f32 v110, v96, v52, -v23
	v_dual_add_f32 v53, v7, v13 :: v_dual_add_f32 v52, v9, v15
	v_fmac_f32_e32 v113, v99, v54
	v_fma_f32 v112, v98, v54, -v25
	v_pk_fma_f32 v[54:55], v[72:73], v[56:57], v[44:45] op_sel_hi:[1,0,1]
	v_pk_mul_f32 v[46:47], v[102:103], v[46:47] op_sel_hi:[1,0]
	v_pk_add_f32 v[52:53], v[52:53], v[110:111]
	v_pk_fma_f32 v[44:45], v[72:73], v[56:57], v[44:45] neg_lo:[0,0,1] neg_hi:[0,0,1]
	v_pk_fma_f32 v[56:57], v[76:77], v[60:61], v[48:49] op_sel_hi:[1,0,1]
	v_pk_fma_f32 v[48:49], v[76:77], v[60:61], v[48:49] neg_lo:[0,0,1] neg_hi:[0,0,1]
	v_mov_b32_e32 v45, v55
	v_pk_fma_f32 v[54:55], v[74:75], v[58:59], v[46:47] op_sel_hi:[1,0,1]
	v_pk_fma_f32 v[46:47], v[74:75], v[58:59], v[46:47] neg_lo:[0,0,1] neg_hi:[0,0,1]
	v_mov_b32_e32 v49, v57
	v_pk_add_f32 v[52:53], v[52:53], v[112:113]
	v_pk_mul_f32 v[50:51], v[104:105], v[50:51] op_sel_hi:[1,0]
	v_mov_b32_e32 v47, v55
	s_wait_loadcnt 0x2
	v_pk_mul_f32 v[88:89], v[80:81], v[64:65] op_sel:[1,1] op_sel_hi:[0,1]
	v_pk_add_f32 v[44:45], v[52:53], v[44:45]
	v_mov_b32_e32 v52, v67
	v_pk_fma_f32 v[54:55], v[78:79], v[62:63], v[50:51] op_sel_hi:[1,0,1]
	v_pk_fma_f32 v[50:51], v[78:79], v[62:63], v[50:51] neg_lo:[0,0,1] neg_hi:[0,0,1]
	s_delay_alu instid0(VALU_DEP_4)
	v_pk_add_f32 v[44:45], v[44:45], v[46:47]
	v_pk_fma_f32 v[46:47], v[80:81], v[64:65], v[88:89] op_sel_hi:[1,0,1]
	v_pk_mul_f32 v[52:53], v[106:107], v[52:53] op_sel_hi:[1,0]
	v_mov_b32_e32 v51, v55
	v_pk_fma_f32 v[54:55], v[80:81], v[64:65], v[88:89] neg_lo:[0,0,1] neg_hi:[0,0,1]
	v_pk_add_f32 v[44:45], v[44:45], v[48:49]
	v_mov_b32_e32 v55, v47
	v_pk_fma_f32 v[46:47], v[82:83], v[66:67], v[52:53] op_sel_hi:[1,0,1]
	s_wait_loadcnt 0x1
	v_pk_mul_f32 v[48:49], v[84:85], v[68:69] op_sel:[1,1] op_sel_hi:[0,1]
	v_mov_b32_e32 v46, v71
	v_pk_add_f32 v[44:45], v[44:45], v[50:51]
	v_pk_fma_f32 v[52:53], v[82:83], v[66:67], v[52:53] neg_lo:[0,0,1] neg_hi:[0,0,1]
	v_mov_b32_e32 v53, v47
	v_pk_fma_f32 v[50:51], v[84:85], v[68:69], v[48:49] op_sel_hi:[1,0,1]
	v_pk_mul_f32 v[46:47], v[108:109], v[46:47] op_sel_hi:[1,0]
	v_pk_add_f32 v[44:45], v[44:45], v[54:55]
	v_pk_fma_f32 v[48:49], v[84:85], v[68:69], v[48:49] neg_lo:[0,0,1] neg_hi:[0,0,1]
	s_delay_alu instid0(VALU_DEP_4) | instskip(NEXT) | instid1(VALU_DEP_4)
	v_mov_b32_e32 v49, v51
	v_pk_fma_f32 v[50:51], v[86:87], v[70:71], v[46:47] op_sel_hi:[1,0,1]
	s_delay_alu instid0(VALU_DEP_4) | instskip(SKIP_1) | instid1(VALU_DEP_3)
	v_pk_add_f32 v[44:45], v[44:45], v[52:53]
	v_pk_fma_f32 v[46:47], v[86:87], v[70:71], v[46:47] neg_lo:[0,0,1] neg_hi:[0,0,1]
	v_mov_b32_e32 v47, v51
	s_delay_alu instid0(VALU_DEP_3) | instskip(NEXT) | instid1(VALU_DEP_1)
	v_pk_add_f32 v[44:45], v[44:45], v[48:49]
	v_pk_add_f32 v[44:45], v[44:45], v[46:47]
	s_wait_loadcnt 0x0
	s_delay_alu instid0(VALU_DEP_1)
	v_pk_add_f32 v[44:45], v[100:101], v[44:45] neg_lo:[0,1] neg_hi:[0,1]
	scratch_store_b64 off, v[44:45], off offset:48
	s_wait_xcnt 0x0
	v_cmpx_lt_u32_e32 5, v0
	s_cbranch_execz .LBB84_129
; %bb.128:
	scratch_load_b64 v[44:45], off, off offset:40
	v_mov_b64_e32 v[46:47], 0
	scratch_store_b64 off, v[46:47], off offset:40
	s_wait_loadcnt 0x0
	ds_store_b64 v1, v[44:45]
.LBB84_129:
	s_wait_xcnt 0x0
	s_or_b32 exec_lo, exec_lo, s0
	s_wait_storecnt_dscnt 0x0
	s_barrier_signal -1
	s_barrier_wait -1
	s_clause 0x8
	scratch_load_b128 v[44:47], off, off offset:48
	scratch_load_b128 v[48:51], off, off offset:64
	;; [unrolled: 1-line block ×7, first 2 shown]
	scratch_load_b64 v[100:101], off, off offset:160
	scratch_load_b64 v[102:103], off, off offset:40
	v_mov_b32_e32 v7, 0
	ds_load_b128 v[72:75], v7 offset:272
	ds_load_b128 v[76:79], v7 offset:288
	;; [unrolled: 1-line block ×7, first 2 shown]
	ds_load_b64 v[104:105], v7 offset:336
	s_mov_b32 s0, exec_lo
	s_wait_dscnt 0x7
	v_dual_mov_b32 v106, v75 :: v_dual_mov_b32 v107, v74
	s_wait_dscnt 0x4
	v_dual_mov_b32 v108, v79 :: v_dual_mov_b32 v113, v86
	v_dual_mov_b32 v109, v78 :: v_dual_mov_b32 v110, v83
	;; [unrolled: 1-line block ×3, first 2 shown]
	s_wait_loadcnt_dscnt 0x803
	v_dual_mul_f32 v9, v88, v45 :: v_dual_mul_f32 v19, v89, v45
	v_dual_mul_f32 v21, v91, v47 :: v_dual_mul_f32 v11, v90, v47
	s_wait_loadcnt_dscnt 0x702
	v_mul_f32_e32 v13, v92, v49
	s_wait_loadcnt 0x5
	v_dual_mul_f32 v31, v73, v57 :: v_dual_fma_f32 v19, v88, v44, -v19
	v_dual_fmac_f32 v9, v89, v44 :: v_dual_mov_b32 v44, v59
	v_dual_mul_f32 v23, v93, v49 :: v_dual_mul_f32 v25, v95, v51
	v_dual_fmac_f32 v11, v91, v46 :: v_dual_fma_f32 v21, v90, v46, -v21
	s_delay_alu instid0(VALU_DEP_3) | instskip(SKIP_3) | instid1(VALU_DEP_3)
	v_dual_add_f32 v9, 0, v9 :: v_dual_add_f32 v19, 0, v19
	s_wait_dscnt 0x1
	v_dual_mul_f32 v15, v94, v51 :: v_dual_mul_f32 v17, v96, v53
	v_dual_fmac_f32 v13, v93, v48 :: v_dual_fma_f32 v23, v92, v48, -v23
	v_dual_add_f32 v9, v9, v11 :: v_dual_add_f32 v11, v19, v21
	v_dual_mul_f32 v27, v97, v53 :: v_dual_mul_f32 v29, v99, v55
	s_wait_loadcnt 0x4
	v_dual_mov_b32 v48, v63 :: v_dual_fma_f32 v19, v94, v50, -v25
	s_delay_alu instid0(VALU_DEP_3) | instskip(SKIP_2) | instid1(VALU_DEP_3)
	v_dual_fmac_f32 v15, v95, v50 :: v_dual_add_f32 v9, v9, v13
	v_dual_add_f32 v11, v11, v23 :: v_dual_fmac_f32 v17, v97, v52
	v_dual_mul_f32 v115, v98, v55 :: v_dual_mul_f32 v117, v72, v57
	v_dual_fma_f32 v13, v96, v52, -v27 :: v_dual_add_f32 v9, v9, v15
	s_delay_alu instid0(VALU_DEP_3) | instskip(NEXT) | instid1(VALU_DEP_3)
	v_dual_add_f32 v11, v11, v19 :: v_dual_fma_f32 v114, v98, v54, -v29
	v_fmac_f32_e32 v115, v99, v54
	v_pk_mul_f32 v[44:45], v[106:107], v[44:45] op_sel_hi:[1,0]
	s_delay_alu instid0(VALU_DEP_4) | instskip(NEXT) | instid1(VALU_DEP_4)
	v_add_f32_e32 v53, v9, v17
	v_dual_add_f32 v52, v11, v13 :: v_dual_fmac_f32 v117, v73, v56
	v_pk_mul_f32 v[46:47], v[76:77], v[60:61] op_sel:[1,1] op_sel_hi:[0,1]
	s_wait_loadcnt 0x3
	v_dual_mov_b32 v54, v67 :: v_dual_fma_f32 v116, v72, v56, -v31
	v_pk_fma_f32 v[56:57], v[74:75], v[58:59], v[44:45] op_sel_hi:[1,0,1]
	v_pk_add_f32 v[52:53], v[52:53], v[114:115]
	v_pk_fma_f32 v[44:45], v[74:75], v[58:59], v[44:45] neg_lo:[0,0,1] neg_hi:[0,0,1]
	v_pk_fma_f32 v[72:73], v[76:77], v[60:61], v[46:47] op_sel_hi:[1,0,1]
	v_pk_mul_f32 v[48:49], v[108:109], v[48:49] op_sel_hi:[1,0]
	v_mov_b32_e32 v45, v57
	v_pk_add_f32 v[52:53], v[52:53], v[116:117]
	v_pk_fma_f32 v[46:47], v[76:77], v[60:61], v[46:47] neg_lo:[0,0,1] neg_hi:[0,0,1]
	v_pk_mul_f32 v[50:51], v[80:81], v[64:65] op_sel:[1,1] op_sel_hi:[0,1]
	v_mov_b32_e32 v47, v73
	v_pk_fma_f32 v[58:59], v[78:79], v[62:63], v[48:49] op_sel_hi:[1,0,1]
	v_pk_add_f32 v[44:45], v[52:53], v[44:45]
	v_pk_fma_f32 v[48:49], v[78:79], v[62:63], v[48:49] neg_lo:[0,0,1] neg_hi:[0,0,1]
	v_pk_fma_f32 v[52:53], v[80:81], v[64:65], v[50:51] op_sel_hi:[1,0,1]
	v_pk_mul_f32 v[54:55], v[110:111], v[54:55] op_sel_hi:[1,0]
	v_mov_b32_e32 v49, v59
	v_pk_add_f32 v[44:45], v[44:45], v[46:47]
	v_pk_fma_f32 v[50:51], v[80:81], v[64:65], v[50:51] neg_lo:[0,0,1] neg_hi:[0,0,1]
	s_wait_loadcnt 0x2
	v_pk_mul_f32 v[56:57], v[84:85], v[68:69] op_sel:[1,1] op_sel_hi:[0,1]
	v_dual_mov_b32 v46, v71 :: v_dual_mov_b32 v51, v53
	v_pk_fma_f32 v[52:53], v[82:83], v[66:67], v[54:55] op_sel_hi:[1,0,1]
	v_pk_add_f32 v[44:45], v[44:45], v[48:49]
	v_pk_fma_f32 v[54:55], v[82:83], v[66:67], v[54:55] neg_lo:[0,0,1] neg_hi:[0,0,1]
	v_pk_fma_f32 v[48:49], v[84:85], v[68:69], v[56:57] op_sel_hi:[1,0,1]
	v_pk_mul_f32 v[46:47], v[112:113], v[46:47] op_sel_hi:[1,0]
	v_mov_b32_e32 v55, v53
	v_pk_add_f32 v[44:45], v[44:45], v[50:51]
	v_pk_fma_f32 v[50:51], v[84:85], v[68:69], v[56:57] neg_lo:[0,0,1] neg_hi:[0,0,1]
	v_mov_b32_e32 v51, v49
	v_pk_fma_f32 v[48:49], v[86:87], v[70:71], v[46:47] op_sel_hi:[1,0,1]
	s_wait_loadcnt_dscnt 0x100
	v_pk_mul_f32 v[52:53], v[104:105], v[100:101] op_sel:[1,1] op_sel_hi:[0,1]
	v_pk_add_f32 v[44:45], v[44:45], v[54:55]
	v_pk_fma_f32 v[46:47], v[86:87], v[70:71], v[46:47] neg_lo:[0,0,1] neg_hi:[0,0,1]
	v_mov_b32_e32 v47, v49
	s_delay_alu instid0(VALU_DEP_4) | instskip(NEXT) | instid1(VALU_DEP_4)
	v_pk_fma_f32 v[48:49], v[104:105], v[100:101], v[52:53] op_sel_hi:[1,0,1]
	v_pk_add_f32 v[44:45], v[44:45], v[50:51]
	v_pk_fma_f32 v[50:51], v[104:105], v[100:101], v[52:53] neg_lo:[0,0,1] neg_hi:[0,0,1]
	s_delay_alu instid0(VALU_DEP_3) | instskip(NEXT) | instid1(VALU_DEP_3)
	v_mov_b32_e32 v51, v49
	v_pk_add_f32 v[44:45], v[44:45], v[46:47]
	s_delay_alu instid0(VALU_DEP_1) | instskip(SKIP_1) | instid1(VALU_DEP_1)
	v_pk_add_f32 v[44:45], v[44:45], v[50:51]
	s_wait_loadcnt 0x0
	v_pk_add_f32 v[44:45], v[102:103], v[44:45] neg_lo:[0,1] neg_hi:[0,1]
	scratch_store_b64 off, v[44:45], off offset:40
	s_wait_xcnt 0x0
	v_cmpx_lt_u32_e32 4, v0
	s_cbranch_execz .LBB84_131
; %bb.130:
	scratch_load_b64 v[44:45], off, off offset:32
	v_mov_b64_e32 v[46:47], 0
	scratch_store_b64 off, v[46:47], off offset:32
	s_wait_loadcnt 0x0
	ds_store_b64 v1, v[44:45]
.LBB84_131:
	s_wait_xcnt 0x0
	s_or_b32 exec_lo, exec_lo, s0
	s_wait_storecnt_dscnt 0x0
	s_barrier_signal -1
	s_barrier_wait -1
	s_clause 0x8
	scratch_load_b128 v[44:47], off, off offset:40
	scratch_load_b128 v[48:51], off, off offset:56
	;; [unrolled: 1-line block ×8, first 2 shown]
	scratch_load_b64 v[108:109], off, off offset:32
	ds_load_2addr_b64 v[76:79], v7 offset0:35 offset1:36
	ds_load_2addr_b64 v[80:83], v7 offset0:37 offset1:38
	;; [unrolled: 1-line block ×8, first 2 shown]
	s_mov_b32 s0, exec_lo
	s_wait_dscnt 0x7
	v_dual_mov_b32 v110, v79 :: v_dual_mov_b32 v111, v78
	s_wait_dscnt 0x6
	v_dual_mov_b32 v112, v83 :: v_dual_mov_b32 v113, v82
	;; [unrolled: 2-line block ×4, first 2 shown]
	s_wait_loadcnt_dscnt 0x803
	v_dual_mul_f32 v7, v92, v45 :: v_dual_mul_f32 v9, v94, v47
	v_dual_mul_f32 v19, v93, v45 :: v_dual_mul_f32 v21, v95, v47
	s_wait_loadcnt_dscnt 0x702
	v_dual_mul_f32 v11, v96, v49 :: v_dual_mul_f32 v13, v98, v51
	s_delay_alu instid0(VALU_DEP_3) | instskip(SKIP_3) | instid1(VALU_DEP_3)
	v_dual_fmac_f32 v7, v93, v44 :: v_dual_fmac_f32 v9, v95, v46
	s_wait_loadcnt_dscnt 0x500
	v_dual_fma_f32 v19, v92, v44, -v19 :: v_dual_mul_f32 v31, v105, v57
	v_dual_mul_f32 v23, v97, v49 :: v_dual_mul_f32 v25, v99, v51
	v_dual_fma_f32 v21, v94, v46, -v21 :: v_dual_add_f32 v7, 0, v7
	s_delay_alu instid0(VALU_DEP_3) | instskip(SKIP_1) | instid1(VALU_DEP_4)
	v_dual_add_f32 v19, 0, v19 :: v_dual_fmac_f32 v11, v97, v48
	v_dual_mul_f32 v15, v100, v53 :: v_dual_mul_f32 v17, v102, v55
	v_dual_mul_f32 v33, v107, v59 :: v_dual_fma_f32 v23, v96, v48, -v23
	s_delay_alu instid0(VALU_DEP_4) | instskip(NEXT) | instid1(VALU_DEP_3)
	v_add_f32_e32 v7, v7, v9
	v_dual_add_f32 v9, v19, v21 :: v_dual_fmac_f32 v15, v101, v52
	v_dual_mul_f32 v27, v101, v53 :: v_dual_mul_f32 v29, v103, v55
	s_delay_alu instid0(VALU_DEP_2) | instskip(NEXT) | instid1(VALU_DEP_4)
	v_dual_fmac_f32 v13, v99, v50 :: v_dual_add_f32 v9, v9, v23
	v_dual_fma_f32 v19, v98, v50, -v25 :: v_dual_add_f32 v7, v7, v11
	s_wait_loadcnt 0x4
	s_delay_alu instid0(VALU_DEP_3) | instskip(SKIP_1) | instid1(VALU_DEP_3)
	v_dual_fma_f32 v11, v100, v52, -v27 :: v_dual_mov_b32 v46, v63
	v_dual_mul_f32 v119, v104, v57 :: v_dual_mul_f32 v121, v106, v59
	v_dual_add_f32 v7, v7, v13 :: v_dual_fma_f32 v13, v102, v54, -v29
	v_dual_add_f32 v9, v9, v19 :: v_dual_fmac_f32 v17, v103, v54
	v_pk_mul_f32 v[44:45], v[76:77], v[60:61] op_sel:[1,1] op_sel_hi:[0,1]
	s_delay_alu instid0(VALU_DEP_3) | instskip(SKIP_1) | instid1(VALU_DEP_3)
	v_dual_add_f32 v7, v7, v15 :: v_dual_fmac_f32 v119, v105, v56
	s_wait_loadcnt 0x3
	v_dual_add_f32 v9, v9, v11 :: v_dual_mov_b32 v50, v67
	s_delay_alu instid0(VALU_DEP_2) | instskip(NEXT) | instid1(VALU_DEP_2)
	v_dual_fma_f32 v118, v104, v56, -v31 :: v_dual_add_f32 v53, v7, v17
	v_dual_fma_f32 v120, v106, v58, -v33 :: v_dual_add_f32 v52, v9, v13
	v_fmac_f32_e32 v121, v107, v58
	v_pk_fma_f32 v[54:55], v[76:77], v[60:61], v[44:45] op_sel_hi:[1,0,1]
	v_pk_mul_f32 v[46:47], v[110:111], v[46:47] op_sel_hi:[1,0]
	v_pk_fma_f32 v[44:45], v[76:77], v[60:61], v[44:45] neg_lo:[0,0,1] neg_hi:[0,0,1]
	v_pk_add_f32 v[52:53], v[52:53], v[118:119]
	v_pk_mul_f32 v[48:49], v[80:81], v[64:65] op_sel:[1,1] op_sel_hi:[0,1]
	v_mov_b32_e32 v45, v55
	v_pk_fma_f32 v[54:55], v[78:79], v[62:63], v[46:47] op_sel_hi:[1,0,1]
	v_pk_fma_f32 v[46:47], v[78:79], v[62:63], v[46:47] neg_lo:[0,0,1] neg_hi:[0,0,1]
	v_pk_add_f32 v[52:53], v[52:53], v[120:121]
	v_pk_fma_f32 v[58:59], v[80:81], v[64:65], v[48:49] op_sel_hi:[1,0,1]
	v_pk_mul_f32 v[50:51], v[112:113], v[50:51] op_sel_hi:[1,0]
	v_mov_b32_e32 v47, v55
	s_wait_loadcnt 0x2
	v_pk_mul_f32 v[56:57], v[84:85], v[68:69] op_sel:[1,1] op_sel_hi:[0,1]
	v_pk_add_f32 v[44:45], v[52:53], v[44:45]
	v_mov_b32_e32 v52, v71
	v_pk_fma_f32 v[48:49], v[80:81], v[64:65], v[48:49] neg_lo:[0,0,1] neg_hi:[0,0,1]
	v_mov_b32_e32 v49, v59
	v_pk_fma_f32 v[54:55], v[82:83], v[66:67], v[50:51] op_sel_hi:[1,0,1]
	v_pk_add_f32 v[44:45], v[44:45], v[46:47]
	v_pk_fma_f32 v[46:47], v[84:85], v[68:69], v[56:57] op_sel_hi:[1,0,1]
	v_pk_mul_f32 v[52:53], v[114:115], v[52:53] op_sel_hi:[1,0]
	v_pk_fma_f32 v[50:51], v[82:83], v[66:67], v[50:51] neg_lo:[0,0,1] neg_hi:[0,0,1]
	v_mov_b32_e32 v51, v55
	v_pk_add_f32 v[44:45], v[44:45], v[48:49]
	v_pk_fma_f32 v[54:55], v[84:85], v[68:69], v[56:57] neg_lo:[0,0,1] neg_hi:[0,0,1]
	v_mov_b32_e32 v55, v47
	v_pk_fma_f32 v[46:47], v[86:87], v[70:71], v[52:53] op_sel_hi:[1,0,1]
	s_wait_loadcnt 0x1
	v_pk_mul_f32 v[48:49], v[88:89], v[72:73] op_sel:[1,1] op_sel_hi:[0,1]
	v_pk_add_f32 v[44:45], v[44:45], v[50:51]
	v_mov_b32_e32 v46, v75
	v_pk_fma_f32 v[52:53], v[86:87], v[70:71], v[52:53] neg_lo:[0,0,1] neg_hi:[0,0,1]
	v_mov_b32_e32 v53, v47
	v_pk_fma_f32 v[50:51], v[88:89], v[72:73], v[48:49] op_sel_hi:[1,0,1]
	v_pk_add_f32 v[44:45], v[44:45], v[54:55]
	v_pk_mul_f32 v[46:47], v[116:117], v[46:47] op_sel_hi:[1,0]
	v_pk_fma_f32 v[48:49], v[88:89], v[72:73], v[48:49] neg_lo:[0,0,1] neg_hi:[0,0,1]
	s_delay_alu instid0(VALU_DEP_4) | instskip(NEXT) | instid1(VALU_DEP_4)
	v_mov_b32_e32 v49, v51
	v_pk_add_f32 v[44:45], v[44:45], v[52:53]
	s_delay_alu instid0(VALU_DEP_4) | instskip(SKIP_1) | instid1(VALU_DEP_2)
	v_pk_fma_f32 v[50:51], v[90:91], v[74:75], v[46:47] op_sel_hi:[1,0,1]
	v_pk_fma_f32 v[46:47], v[90:91], v[74:75], v[46:47] neg_lo:[0,0,1] neg_hi:[0,0,1]
	v_mov_b32_e32 v47, v51
	s_delay_alu instid0(VALU_DEP_4) | instskip(NEXT) | instid1(VALU_DEP_1)
	v_pk_add_f32 v[44:45], v[44:45], v[48:49]
	v_pk_add_f32 v[44:45], v[44:45], v[46:47]
	s_wait_loadcnt 0x0
	s_delay_alu instid0(VALU_DEP_1)
	v_pk_add_f32 v[44:45], v[108:109], v[44:45] neg_lo:[0,1] neg_hi:[0,1]
	scratch_store_b64 off, v[44:45], off offset:32
	s_wait_xcnt 0x0
	v_cmpx_lt_u32_e32 3, v0
	s_cbranch_execz .LBB84_133
; %bb.132:
	scratch_load_b64 v[44:45], off, off offset:24
	v_mov_b64_e32 v[46:47], 0
	scratch_store_b64 off, v[46:47], off offset:24
	s_wait_loadcnt 0x0
	ds_store_b64 v1, v[44:45]
.LBB84_133:
	s_wait_xcnt 0x0
	s_or_b32 exec_lo, exec_lo, s0
	s_wait_storecnt_dscnt 0x0
	s_barrier_signal -1
	s_barrier_wait -1
	s_clause 0x9
	scratch_load_b128 v[44:47], off, off offset:32
	scratch_load_b128 v[48:51], off, off offset:48
	;; [unrolled: 1-line block ×8, first 2 shown]
	scratch_load_b64 v[108:109], off, off offset:160
	scratch_load_b64 v[110:111], off, off offset:24
	v_mov_b32_e32 v7, 0
	ds_load_b128 v[76:79], v7 offset:272
	ds_load_b128 v[80:83], v7 offset:288
	;; [unrolled: 1-line block ×8, first 2 shown]
	ds_load_b64 v[112:113], v7 offset:336
	s_mov_b32 s0, exec_lo
	s_wait_dscnt 0x8
	v_dual_mov_b32 v114, v79 :: v_dual_mov_b32 v115, v78
	s_wait_dscnt 0x5
	v_dual_mov_b32 v116, v83 :: v_dual_mov_b32 v121, v90
	v_dual_mov_b32 v117, v82 :: v_dual_mov_b32 v118, v87
	;; [unrolled: 1-line block ×3, first 2 shown]
	s_wait_loadcnt_dscnt 0x904
	v_dual_mul_f32 v9, v92, v45 :: v_dual_mul_f32 v23, v93, v45
	v_dual_mul_f32 v25, v95, v47 :: v_dual_mul_f32 v11, v94, v47
	s_wait_loadcnt_dscnt 0x803
	v_mul_f32_e32 v13, v96, v49
	s_wait_loadcnt_dscnt 0x601
	v_dual_mul_f32 v35, v105, v57 :: v_dual_fma_f32 v23, v92, v44, -v23
	v_dual_fmac_f32 v9, v93, v44 :: v_dual_mul_f32 v37, v107, v59
	v_dual_mul_f32 v27, v97, v49 :: v_dual_mul_f32 v29, v99, v51
	v_dual_fmac_f32 v11, v95, v46 :: v_dual_fma_f32 v25, v94, v46, -v25
	s_delay_alu instid0(VALU_DEP_3)
	v_dual_add_f32 v9, 0, v9 :: v_dual_add_f32 v23, 0, v23
	v_dual_mul_f32 v15, v98, v51 :: v_dual_mul_f32 v17, v100, v53
	s_wait_loadcnt 0x5
	v_dual_mul_f32 v39, v77, v61 :: v_dual_fma_f32 v27, v96, v48, -v27
	v_fmac_f32_e32 v13, v97, v48
	v_dual_add_f32 v9, v9, v11 :: v_dual_mov_b32 v44, v63
	v_add_f32_e32 v11, v23, v25
	v_dual_mul_f32 v31, v101, v53 :: v_dual_mul_f32 v33, v103, v55
	v_dual_fmac_f32 v15, v99, v50 :: v_dual_fma_f32 v23, v98, v50, -v29
	s_delay_alu instid0(VALU_DEP_3) | instskip(SKIP_1) | instid1(VALU_DEP_4)
	v_dual_add_f32 v9, v9, v13 :: v_dual_add_f32 v11, v11, v27
	v_dual_mul_f32 v19, v102, v55 :: v_dual_mul_f32 v21, v104, v57
	v_dual_fmac_f32 v17, v101, v52 :: v_dual_fma_f32 v13, v100, v52, -v31
	s_wait_loadcnt 0x4
	s_delay_alu instid0(VALU_DEP_3) | instskip(SKIP_1) | instid1(VALU_DEP_2)
	v_dual_add_f32 v9, v9, v15 :: v_dual_mov_b32 v48, v67
	v_dual_add_f32 v11, v11, v23 :: v_dual_fma_f32 v15, v102, v54, -v33
	v_dual_fmac_f32 v19, v103, v54 :: v_dual_add_f32 v9, v9, v17
	v_dual_mul_f32 v123, v106, v59 :: v_dual_mul_f32 v125, v76, v61
	s_delay_alu instid0(VALU_DEP_3) | instskip(NEXT) | instid1(VALU_DEP_3)
	v_dual_add_f32 v11, v11, v13 :: v_dual_fmac_f32 v21, v105, v56
	v_dual_fma_f32 v13, v104, v56, -v35 :: v_dual_add_f32 v9, v9, v19
	s_delay_alu instid0(VALU_DEP_3) | instskip(NEXT) | instid1(VALU_DEP_3)
	v_fmac_f32_e32 v123, v107, v58
	v_dual_add_f32 v11, v11, v15 :: v_dual_fma_f32 v122, v106, v58, -v37
	v_pk_mul_f32 v[44:45], v[114:115], v[44:45] op_sel_hi:[1,0]
	s_delay_alu instid0(VALU_DEP_4) | instskip(SKIP_1) | instid1(VALU_DEP_4)
	v_add_f32_e32 v53, v9, v21
	v_pk_mul_f32 v[46:47], v[80:81], v[64:65] op_sel:[1,1] op_sel_hi:[0,1]
	v_dual_add_f32 v52, v11, v13 :: v_dual_fmac_f32 v125, v77, v60
	s_wait_loadcnt 0x3
	v_dual_mov_b32 v54, v71 :: v_dual_fma_f32 v124, v76, v60, -v39
	v_pk_fma_f32 v[56:57], v[78:79], v[62:63], v[44:45] op_sel_hi:[1,0,1]
	s_delay_alu instid0(VALU_DEP_3)
	v_pk_add_f32 v[52:53], v[52:53], v[122:123]
	v_pk_fma_f32 v[44:45], v[78:79], v[62:63], v[44:45] neg_lo:[0,0,1] neg_hi:[0,0,1]
	v_pk_fma_f32 v[58:59], v[80:81], v[64:65], v[46:47] op_sel_hi:[1,0,1]
	v_pk_mul_f32 v[48:49], v[116:117], v[48:49] op_sel_hi:[1,0]
	v_mov_b32_e32 v45, v57
	v_pk_add_f32 v[52:53], v[52:53], v[124:125]
	v_pk_fma_f32 v[46:47], v[80:81], v[64:65], v[46:47] neg_lo:[0,0,1] neg_hi:[0,0,1]
	v_pk_mul_f32 v[50:51], v[84:85], v[68:69] op_sel:[1,1] op_sel_hi:[0,1]
	v_mov_b32_e32 v47, v59
	v_pk_fma_f32 v[58:59], v[82:83], v[66:67], v[48:49] op_sel_hi:[1,0,1]
	v_pk_add_f32 v[44:45], v[52:53], v[44:45]
	v_pk_fma_f32 v[48:49], v[82:83], v[66:67], v[48:49] neg_lo:[0,0,1] neg_hi:[0,0,1]
	v_pk_fma_f32 v[52:53], v[84:85], v[68:69], v[50:51] op_sel_hi:[1,0,1]
	v_pk_mul_f32 v[54:55], v[118:119], v[54:55] op_sel_hi:[1,0]
	v_mov_b32_e32 v49, v59
	v_pk_add_f32 v[44:45], v[44:45], v[46:47]
	v_pk_fma_f32 v[50:51], v[84:85], v[68:69], v[50:51] neg_lo:[0,0,1] neg_hi:[0,0,1]
	s_wait_loadcnt 0x2
	v_pk_mul_f32 v[56:57], v[88:89], v[72:73] op_sel:[1,1] op_sel_hi:[0,1]
	v_dual_mov_b32 v46, v75 :: v_dual_mov_b32 v51, v53
	v_pk_fma_f32 v[52:53], v[86:87], v[70:71], v[54:55] op_sel_hi:[1,0,1]
	v_pk_add_f32 v[44:45], v[44:45], v[48:49]
	v_pk_fma_f32 v[54:55], v[86:87], v[70:71], v[54:55] neg_lo:[0,0,1] neg_hi:[0,0,1]
	v_pk_fma_f32 v[48:49], v[88:89], v[72:73], v[56:57] op_sel_hi:[1,0,1]
	v_pk_mul_f32 v[46:47], v[120:121], v[46:47] op_sel_hi:[1,0]
	v_mov_b32_e32 v55, v53
	v_pk_add_f32 v[44:45], v[44:45], v[50:51]
	v_pk_fma_f32 v[50:51], v[88:89], v[72:73], v[56:57] neg_lo:[0,0,1] neg_hi:[0,0,1]
	v_mov_b32_e32 v51, v49
	v_pk_fma_f32 v[48:49], v[90:91], v[74:75], v[46:47] op_sel_hi:[1,0,1]
	s_wait_loadcnt_dscnt 0x100
	v_pk_mul_f32 v[52:53], v[112:113], v[108:109] op_sel:[1,1] op_sel_hi:[0,1]
	v_pk_add_f32 v[44:45], v[44:45], v[54:55]
	v_pk_fma_f32 v[46:47], v[90:91], v[74:75], v[46:47] neg_lo:[0,0,1] neg_hi:[0,0,1]
	v_mov_b32_e32 v47, v49
	s_delay_alu instid0(VALU_DEP_4) | instskip(NEXT) | instid1(VALU_DEP_4)
	v_pk_fma_f32 v[48:49], v[112:113], v[108:109], v[52:53] op_sel_hi:[1,0,1]
	v_pk_add_f32 v[44:45], v[44:45], v[50:51]
	v_pk_fma_f32 v[50:51], v[112:113], v[108:109], v[52:53] neg_lo:[0,0,1] neg_hi:[0,0,1]
	s_delay_alu instid0(VALU_DEP_3) | instskip(NEXT) | instid1(VALU_DEP_3)
	v_mov_b32_e32 v51, v49
	v_pk_add_f32 v[44:45], v[44:45], v[46:47]
	s_delay_alu instid0(VALU_DEP_1) | instskip(SKIP_1) | instid1(VALU_DEP_1)
	v_pk_add_f32 v[44:45], v[44:45], v[50:51]
	s_wait_loadcnt 0x0
	v_pk_add_f32 v[44:45], v[110:111], v[44:45] neg_lo:[0,1] neg_hi:[0,1]
	scratch_store_b64 off, v[44:45], off offset:24
	s_wait_xcnt 0x0
	v_cmpx_lt_u32_e32 2, v0
	s_cbranch_execz .LBB84_135
; %bb.134:
	scratch_load_b64 v[44:45], off, off offset:16
	v_mov_b64_e32 v[46:47], 0
	scratch_store_b64 off, v[46:47], off offset:16
	s_wait_loadcnt 0x0
	ds_store_b64 v1, v[44:45]
.LBB84_135:
	s_wait_xcnt 0x0
	s_or_b32 exec_lo, exec_lo, s0
	s_wait_storecnt_dscnt 0x0
	s_barrier_signal -1
	s_barrier_wait -1
	s_clause 0x9
	scratch_load_b128 v[44:47], off, off offset:24
	scratch_load_b128 v[48:51], off, off offset:40
	;; [unrolled: 1-line block ×9, first 2 shown]
	scratch_load_b64 v[116:117], off, off offset:16
	ds_load_2addr_b64 v[80:83], v7 offset0:35 offset1:36
	ds_load_2addr_b64 v[84:87], v7 offset0:37 offset1:38
	;; [unrolled: 1-line block ×9, first 2 shown]
	s_mov_b32 s0, exec_lo
	s_wait_dscnt 0x8
	v_dual_mov_b32 v118, v83 :: v_dual_mov_b32 v119, v82
	s_wait_dscnt 0x7
	v_dual_mov_b32 v120, v87 :: v_dual_mov_b32 v121, v86
	;; [unrolled: 2-line block ×4, first 2 shown]
	s_wait_loadcnt_dscnt 0x904
	v_dual_mul_f32 v7, v96, v45 :: v_dual_mul_f32 v9, v98, v47
	v_dual_mul_f32 v23, v97, v45 :: v_dual_mul_f32 v25, v99, v47
	s_wait_loadcnt_dscnt 0x803
	v_dual_mul_f32 v11, v100, v49 :: v_dual_mul_f32 v13, v102, v51
	s_delay_alu instid0(VALU_DEP_3) | instskip(SKIP_3) | instid1(VALU_DEP_3)
	v_dual_fmac_f32 v7, v97, v44 :: v_dual_fmac_f32 v9, v99, v46
	s_wait_loadcnt_dscnt 0x601
	v_dual_fma_f32 v23, v96, v44, -v23 :: v_dual_mul_f32 v35, v109, v57
	v_dual_mul_f32 v27, v101, v49 :: v_dual_mul_f32 v29, v103, v51
	v_dual_fma_f32 v25, v98, v46, -v25 :: v_dual_add_f32 v7, 0, v7
	s_delay_alu instid0(VALU_DEP_3) | instskip(SKIP_1) | instid1(VALU_DEP_4)
	v_dual_add_f32 v23, 0, v23 :: v_dual_fmac_f32 v11, v101, v48
	v_dual_mul_f32 v15, v104, v53 :: v_dual_mul_f32 v17, v106, v55
	v_dual_mul_f32 v37, v111, v59 :: v_dual_fma_f32 v27, v100, v48, -v27
	s_delay_alu instid0(VALU_DEP_4) | instskip(NEXT) | instid1(VALU_DEP_3)
	v_add_f32_e32 v7, v7, v9
	v_dual_add_f32 v9, v23, v25 :: v_dual_fmac_f32 v15, v105, v52
	v_dual_mul_f32 v31, v105, v53 :: v_dual_mul_f32 v33, v107, v55
	s_wait_loadcnt_dscnt 0x500
	v_dual_mul_f32 v23, v113, v61 :: v_dual_fmac_f32 v13, v103, v50
	v_dual_fma_f32 v25, v102, v50, -v29 :: v_dual_add_f32 v7, v7, v11
	s_delay_alu instid0(VALU_DEP_3) | instskip(SKIP_1) | instid1(VALU_DEP_3)
	v_dual_add_f32 v9, v9, v27 :: v_dual_fma_f32 v27, v104, v52, -v31
	v_dual_mul_f32 v19, v108, v57 :: v_dual_mul_f32 v21, v110, v59
	v_add_f32_e32 v7, v7, v13
	s_delay_alu instid0(VALU_DEP_3) | instskip(SKIP_1) | instid1(VALU_DEP_3)
	v_dual_mul_f32 v11, v115, v63 :: v_dual_add_f32 v9, v9, v25
	v_fmac_f32_e32 v17, v107, v54
	v_dual_fma_f32 v13, v106, v54, -v33 :: v_dual_add_f32 v7, v7, v15
	s_wait_loadcnt 0x4
	v_dual_mov_b32 v46, v67 :: v_dual_fmac_f32 v19, v109, v56
	v_dual_add_f32 v9, v9, v27 :: v_dual_fma_f32 v15, v108, v56, -v35
	s_delay_alu instid0(VALU_DEP_3) | instskip(SKIP_1) | instid1(VALU_DEP_3)
	v_add_f32_e32 v7, v7, v17
	v_dual_mul_f32 v127, v112, v61 :: v_dual_mul_f32 v129, v114, v63
	v_dual_add_f32 v9, v9, v13 :: v_dual_fmac_f32 v21, v111, v58
	s_delay_alu instid0(VALU_DEP_3) | instskip(SKIP_2) | instid1(VALU_DEP_3)
	v_dual_fma_f32 v13, v110, v58, -v37 :: v_dual_add_f32 v7, v7, v19
	v_pk_mul_f32 v[44:45], v[80:81], v[64:65] op_sel:[1,1] op_sel_hi:[0,1]
	s_wait_loadcnt 0x3
	v_dual_add_f32 v9, v9, v15 :: v_dual_mov_b32 v50, v71
	s_delay_alu instid0(VALU_DEP_3) | instskip(NEXT) | instid1(VALU_DEP_2)
	v_dual_fmac_f32 v127, v113, v60 :: v_dual_add_f32 v53, v7, v21
	v_dual_fma_f32 v126, v112, v60, -v23 :: v_dual_add_f32 v52, v9, v13
	v_dual_fmac_f32 v129, v115, v62 :: v_dual_fma_f32 v128, v114, v62, -v11
	v_pk_fma_f32 v[54:55], v[80:81], v[64:65], v[44:45] op_sel_hi:[1,0,1]
	v_pk_mul_f32 v[46:47], v[118:119], v[46:47] op_sel_hi:[1,0]
	s_delay_alu instid0(VALU_DEP_4)
	v_pk_add_f32 v[52:53], v[52:53], v[126:127]
	v_pk_fma_f32 v[44:45], v[80:81], v[64:65], v[44:45] neg_lo:[0,0,1] neg_hi:[0,0,1]
	v_pk_mul_f32 v[48:49], v[84:85], v[68:69] op_sel:[1,1] op_sel_hi:[0,1]
	v_mov_b32_e32 v45, v55
	v_pk_fma_f32 v[54:55], v[82:83], v[66:67], v[46:47] op_sel_hi:[1,0,1]
	v_pk_add_f32 v[52:53], v[52:53], v[128:129]
	v_pk_fma_f32 v[46:47], v[82:83], v[66:67], v[46:47] neg_lo:[0,0,1] neg_hi:[0,0,1]
	v_pk_fma_f32 v[58:59], v[84:85], v[68:69], v[48:49] op_sel_hi:[1,0,1]
	v_pk_mul_f32 v[50:51], v[120:121], v[50:51] op_sel_hi:[1,0]
	v_mov_b32_e32 v47, v55
	v_pk_add_f32 v[44:45], v[52:53], v[44:45]
	s_wait_loadcnt 0x2
	v_pk_mul_f32 v[56:57], v[88:89], v[72:73] op_sel:[1,1] op_sel_hi:[0,1]
	v_mov_b32_e32 v52, v75
	v_pk_fma_f32 v[48:49], v[84:85], v[68:69], v[48:49] neg_lo:[0,0,1] neg_hi:[0,0,1]
	v_mov_b32_e32 v49, v59
	v_pk_fma_f32 v[54:55], v[86:87], v[70:71], v[50:51] op_sel_hi:[1,0,1]
	v_pk_add_f32 v[44:45], v[44:45], v[46:47]
	v_pk_fma_f32 v[46:47], v[88:89], v[72:73], v[56:57] op_sel_hi:[1,0,1]
	v_pk_mul_f32 v[52:53], v[122:123], v[52:53] op_sel_hi:[1,0]
	v_pk_fma_f32 v[50:51], v[86:87], v[70:71], v[50:51] neg_lo:[0,0,1] neg_hi:[0,0,1]
	v_mov_b32_e32 v51, v55
	v_pk_add_f32 v[44:45], v[44:45], v[48:49]
	v_pk_fma_f32 v[54:55], v[88:89], v[72:73], v[56:57] neg_lo:[0,0,1] neg_hi:[0,0,1]
	v_mov_b32_e32 v55, v47
	v_pk_fma_f32 v[46:47], v[90:91], v[74:75], v[52:53] op_sel_hi:[1,0,1]
	s_wait_loadcnt 0x1
	v_pk_mul_f32 v[48:49], v[92:93], v[76:77] op_sel:[1,1] op_sel_hi:[0,1]
	v_pk_add_f32 v[44:45], v[44:45], v[50:51]
	v_mov_b32_e32 v46, v79
	v_pk_fma_f32 v[52:53], v[90:91], v[74:75], v[52:53] neg_lo:[0,0,1] neg_hi:[0,0,1]
	v_mov_b32_e32 v53, v47
	v_pk_fma_f32 v[50:51], v[92:93], v[76:77], v[48:49] op_sel_hi:[1,0,1]
	v_pk_add_f32 v[44:45], v[44:45], v[54:55]
	v_pk_mul_f32 v[46:47], v[124:125], v[46:47] op_sel_hi:[1,0]
	v_pk_fma_f32 v[48:49], v[92:93], v[76:77], v[48:49] neg_lo:[0,0,1] neg_hi:[0,0,1]
	s_delay_alu instid0(VALU_DEP_4) | instskip(NEXT) | instid1(VALU_DEP_4)
	v_mov_b32_e32 v49, v51
	v_pk_add_f32 v[44:45], v[44:45], v[52:53]
	s_delay_alu instid0(VALU_DEP_4) | instskip(SKIP_1) | instid1(VALU_DEP_2)
	v_pk_fma_f32 v[50:51], v[94:95], v[78:79], v[46:47] op_sel_hi:[1,0,1]
	v_pk_fma_f32 v[46:47], v[94:95], v[78:79], v[46:47] neg_lo:[0,0,1] neg_hi:[0,0,1]
	v_mov_b32_e32 v47, v51
	s_delay_alu instid0(VALU_DEP_4) | instskip(NEXT) | instid1(VALU_DEP_1)
	v_pk_add_f32 v[44:45], v[44:45], v[48:49]
	v_pk_add_f32 v[44:45], v[44:45], v[46:47]
	s_wait_loadcnt 0x0
	s_delay_alu instid0(VALU_DEP_1)
	v_pk_add_f32 v[44:45], v[116:117], v[44:45] neg_lo:[0,1] neg_hi:[0,1]
	scratch_store_b64 off, v[44:45], off offset:16
	s_wait_xcnt 0x0
	v_cmpx_lt_u32_e32 1, v0
	s_cbranch_execz .LBB84_137
; %bb.136:
	scratch_load_b64 v[44:45], off, off offset:8
	v_mov_b64_e32 v[46:47], 0
	scratch_store_b64 off, v[46:47], off offset:8
	s_wait_loadcnt 0x0
	ds_store_b64 v1, v[44:45]
.LBB84_137:
	s_wait_xcnt 0x0
	s_or_b32 exec_lo, exec_lo, s0
	s_wait_storecnt_dscnt 0x0
	s_barrier_signal -1
	s_barrier_wait -1
	s_clause 0xa
	scratch_load_b128 v[46:49], off, off offset:16
	scratch_load_b128 v[50:53], off, off offset:32
	;; [unrolled: 1-line block ×9, first 2 shown]
	scratch_load_b64 v[118:119], off, off offset:160
	scratch_load_b64 v[120:121], off, off offset:8
	v_dual_mov_b32 v44, 0 :: v_dual_ashrrev_i32 v7, 31, v6
	ds_load_b128 v[82:85], v44 offset:272
	ds_load_b128 v[86:89], v44 offset:288
	;; [unrolled: 1-line block ×9, first 2 shown]
	ds_load_b64 v[122:123], v44 offset:336
	v_dual_ashrrev_i32 v9, 31, v8 :: v_dual_ashrrev_i32 v11, 31, v10
	v_dual_ashrrev_i32 v13, 31, v12 :: v_dual_ashrrev_i32 v15, 31, v14
	v_dual_ashrrev_i32 v17, 31, v16 :: v_dual_ashrrev_i32 v19, 31, v18
	s_mov_b32 s0, exec_lo
	s_wait_dscnt 0x9
	v_dual_mov_b32 v124, v85 :: v_dual_mov_b32 v125, v84
	s_wait_dscnt 0x8
	v_dual_mov_b32 v126, v89 :: v_dual_mov_b32 v127, v88
	;; [unrolled: 2-line block ×4, first 2 shown]
	s_wait_loadcnt_dscnt 0xa05
	v_dual_mul_f32 v21, v98, v47 :: v_dual_mul_f32 v23, v100, v49
	v_dual_mul_f32 v25, v99, v47 :: v_dual_mul_f32 v27, v101, v49
	s_wait_loadcnt_dscnt 0x904
	v_dual_mul_f32 v29, v102, v51 :: v_dual_mul_f32 v31, v104, v53
	v_dual_mul_f32 v33, v103, v51 :: v_dual_mul_f32 v35, v105, v53
	s_wait_loadcnt_dscnt 0x803
	v_dual_mul_f32 v37, v106, v55 :: v_dual_mul_f32 v39, v108, v57
	s_wait_loadcnt_dscnt 0x602
	v_dual_mul_f32 v51, v107, v55 :: v_dual_mul_f32 v47, v112, v65
	s_wait_loadcnt 0x5
	v_dual_mul_f32 v49, v82, v67 :: v_dual_fmac_f32 v21, v99, v46
	s_wait_dscnt 0x1
	v_dual_mul_f32 v55, v115, v59 :: v_dual_fma_f32 v25, v98, v46, -v25
	v_dual_mul_f32 v46, v117, v61 :: v_dual_fma_f32 v27, v100, v48, -v27
	s_delay_alu instid0(VALU_DEP_3) | instskip(NEXT) | instid1(VALU_DEP_3)
	v_dual_fmac_f32 v23, v101, v48 :: v_dual_add_f32 v21, 0, v21
	v_dual_add_f32 v25, 0, v25 :: v_dual_mul_f32 v45, v110, v63
	v_dual_mul_f32 v53, v109, v57 :: v_dual_mul_f32 v57, v111, v63
	s_delay_alu instid0(VALU_DEP_3) | instskip(NEXT) | instid1(VALU_DEP_3)
	v_dual_fmac_f32 v29, v103, v50 :: v_dual_add_f32 v21, v21, v23
	v_dual_fma_f32 v33, v102, v50, -v33 :: v_dual_add_f32 v23, v25, v27
	v_dual_mul_f32 v25, v113, v65 :: v_dual_fma_f32 v27, v104, v52, -v35
	v_fmac_f32_e32 v31, v105, v52
	s_delay_alu instid0(VALU_DEP_4) | instskip(NEXT) | instid1(VALU_DEP_4)
	v_dual_add_f32 v21, v21, v29 :: v_dual_mul_f32 v29, v83, v67
	v_add_f32_e32 v23, v23, v33
	v_dual_fmac_f32 v37, v107, v54 :: v_dual_fma_f32 v33, v106, v54, -v51
	s_delay_alu instid0(VALU_DEP_3) | instskip(SKIP_1) | instid1(VALU_DEP_4)
	v_add_f32_e32 v21, v21, v31
	v_dual_mul_f32 v41, v114, v59 :: v_dual_mul_f32 v43, v116, v61
	v_dual_add_f32 v23, v23, v27 :: v_dual_mov_b32 v48, v69
	v_dual_fmac_f32 v39, v109, v56 :: v_dual_fma_f32 v27, v108, v56, -v53
	s_delay_alu instid0(VALU_DEP_3) | instskip(NEXT) | instid1(VALU_DEP_3)
	v_dual_add_f32 v21, v21, v37 :: v_dual_fmac_f32 v41, v115, v58
	v_dual_add_f32 v23, v23, v33 :: v_dual_fma_f32 v31, v114, v58, -v55
	s_wait_loadcnt 0x4
	v_mov_b32_e32 v52, v73
	s_delay_alu instid0(VALU_DEP_3) | instskip(NEXT) | instid1(VALU_DEP_3)
	v_add_f32_e32 v21, v21, v39
	v_dual_fmac_f32 v43, v117, v60 :: v_dual_add_f32 v23, v23, v27
	v_fma_f32 v27, v116, v60, -v46
	v_dual_fmac_f32 v47, v113, v64 :: v_dual_fma_f32 v46, v112, v64, -v25
	s_delay_alu instid0(VALU_DEP_3) | instskip(SKIP_3) | instid1(VALU_DEP_4)
	v_dual_add_f32 v21, v21, v41 :: v_dual_add_f32 v23, v23, v31
	v_fmac_f32_e32 v45, v111, v62
	v_fma_f32 v31, v110, v62, -v57
	v_pk_mul_f32 v[56:57], v[124:125], v[48:49] op_sel_hi:[1,0]
	v_add_f32_e32 v21, v21, v43
	v_add_f32_e32 v23, v23, v27
	v_pk_mul_f32 v[50:51], v[86:87], v[70:71] op_sel:[1,1] op_sel_hi:[0,1]
	s_wait_loadcnt 0x3
	v_dual_mov_b32 v60, v77 :: v_dual_fmac_f32 v49, v83, v66
	s_delay_alu instid0(VALU_DEP_3)
	v_dual_add_f32 v59, v21, v45 :: v_dual_add_f32 v58, v23, v31
	v_pk_fma_f32 v[62:63], v[84:85], v[68:69], v[56:57] op_sel_hi:[1,0,1]
	v_fma_f32 v48, v82, v66, -v29
	v_pk_fma_f32 v[56:57], v[84:85], v[68:69], v[56:57] neg_lo:[0,0,1] neg_hi:[0,0,1]
	v_pk_mul_f32 v[52:53], v[126:127], v[52:53] op_sel_hi:[1,0]
	v_pk_add_f32 v[46:47], v[58:59], v[46:47]
	v_pk_fma_f32 v[58:59], v[86:87], v[70:71], v[50:51] op_sel_hi:[1,0,1]
	v_mov_b32_e32 v57, v63
	v_pk_fma_f32 v[50:51], v[86:87], v[70:71], v[50:51] neg_lo:[0,0,1] neg_hi:[0,0,1]
	v_pk_mul_f32 v[54:55], v[90:91], v[74:75] op_sel:[1,1] op_sel_hi:[0,1]
	v_pk_add_f32 v[46:47], v[46:47], v[48:49]
	v_mov_b32_e32 v51, v59
	v_pk_fma_f32 v[58:59], v[88:89], v[72:73], v[52:53] op_sel_hi:[1,0,1]
	v_pk_fma_f32 v[52:53], v[88:89], v[72:73], v[52:53] neg_lo:[0,0,1] neg_hi:[0,0,1]
	v_pk_mul_f32 v[60:61], v[128:129], v[60:61] op_sel_hi:[1,0]
	v_pk_add_f32 v[46:47], v[46:47], v[56:57]
	v_pk_fma_f32 v[56:57], v[90:91], v[74:75], v[54:55] op_sel_hi:[1,0,1]
	v_mov_b32_e32 v53, v59
	v_pk_fma_f32 v[54:55], v[90:91], v[74:75], v[54:55] neg_lo:[0,0,1] neg_hi:[0,0,1]
	s_wait_loadcnt 0x2
	v_pk_mul_f32 v[48:49], v[94:95], v[78:79] op_sel:[1,1] op_sel_hi:[0,1]
	v_pk_add_f32 v[46:47], v[46:47], v[50:51]
	v_dual_mov_b32 v50, v81 :: v_dual_mov_b32 v55, v57
	v_pk_fma_f32 v[56:57], v[92:93], v[76:77], v[60:61] op_sel_hi:[1,0,1]
	v_pk_fma_f32 v[58:59], v[92:93], v[76:77], v[60:61] neg_lo:[0,0,1] neg_hi:[0,0,1]
	s_delay_alu instid0(VALU_DEP_4) | instskip(SKIP_3) | instid1(VALU_DEP_4)
	v_pk_add_f32 v[46:47], v[46:47], v[52:53]
	v_pk_fma_f32 v[52:53], v[94:95], v[78:79], v[48:49] op_sel_hi:[1,0,1]
	v_pk_mul_f32 v[50:51], v[130:131], v[50:51] op_sel_hi:[1,0]
	v_dual_mov_b32 v59, v57 :: v_dual_ashrrev_i32 v21, 31, v20
	v_pk_add_f32 v[46:47], v[46:47], v[54:55]
	v_pk_fma_f32 v[48:49], v[94:95], v[78:79], v[48:49] neg_lo:[0,0,1] neg_hi:[0,0,1]
	v_dual_mov_b32 v49, v53 :: v_dual_ashrrev_i32 v23, 31, v22
	v_pk_fma_f32 v[52:53], v[96:97], v[80:81], v[50:51] op_sel_hi:[1,0,1]
	s_delay_alu instid0(VALU_DEP_4)
	v_pk_add_f32 v[46:47], v[46:47], v[58:59]
	s_wait_loadcnt_dscnt 0x100
	v_pk_mul_f32 v[54:55], v[122:123], v[118:119] op_sel:[1,1] op_sel_hi:[0,1]
	v_pk_fma_f32 v[50:51], v[96:97], v[80:81], v[50:51] neg_lo:[0,0,1] neg_hi:[0,0,1]
	v_dual_ashrrev_i32 v25, 31, v24 :: v_dual_mov_b32 v51, v53
	v_pk_add_f32 v[46:47], v[46:47], v[48:49]
	s_delay_alu instid0(VALU_DEP_4)
	v_pk_fma_f32 v[48:49], v[122:123], v[118:119], v[54:55] op_sel_hi:[1,0,1]
	v_pk_fma_f32 v[52:53], v[122:123], v[118:119], v[54:55] neg_lo:[0,0,1] neg_hi:[0,0,1]
	v_dual_ashrrev_i32 v27, 31, v26 :: v_dual_ashrrev_i32 v29, 31, v28
	v_ashrrev_i32_e32 v31, 31, v30
	v_pk_add_f32 v[46:47], v[46:47], v[50:51]
	v_dual_mov_b32 v53, v49 :: v_dual_ashrrev_i32 v33, 31, v32
	v_dual_ashrrev_i32 v35, 31, v34 :: v_dual_ashrrev_i32 v37, 31, v36
	v_ashrrev_i32_e32 v39, 31, v38
	s_delay_alu instid0(VALU_DEP_3) | instskip(SKIP_2) | instid1(VALU_DEP_2)
	v_pk_add_f32 v[46:47], v[46:47], v[52:53]
	v_dual_ashrrev_i32 v41, 31, v40 :: v_dual_ashrrev_i32 v43, 31, v42
	s_wait_loadcnt 0x0
	v_pk_add_f32 v[46:47], v[120:121], v[46:47] neg_lo:[0,1] neg_hi:[0,1]
	scratch_store_b64 off, v[46:47], off offset:8
	s_wait_xcnt 0x0
	v_cmpx_ne_u32_e32 0, v0
	s_cbranch_execz .LBB84_139
; %bb.138:
	scratch_load_b64 v[46:47], off, off
	v_mov_b64_e32 v[48:49], 0
	scratch_store_b64 off, v[48:49], off
	s_wait_loadcnt 0x0
	ds_store_b64 v1, v[46:47]
.LBB84_139:
	s_wait_xcnt 0x0
	s_or_b32 exec_lo, exec_lo, s0
	s_wait_storecnt_dscnt 0x0
	s_barrier_signal -1
	s_barrier_wait -1
	s_clause 0xa
	scratch_load_b128 v[46:49], off, off offset:8
	scratch_load_b128 v[50:53], off, off offset:24
	;; [unrolled: 1-line block ×10, first 2 shown]
	scratch_load_b64 v[0:1], off, off
	ds_load_2addr_b64 v[86:89], v44 offset0:35 offset1:36
	ds_load_2addr_b64 v[90:93], v44 offset0:37 offset1:38
	;; [unrolled: 1-line block ×10, first 2 shown]
	s_and_b32 vcc_lo, exec_lo, s12
	s_wait_dscnt 0x9
	v_dual_mov_b32 v44, v89 :: v_dual_mov_b32 v45, v88
	s_wait_dscnt 0x8
	v_dual_mov_b32 v126, v93 :: v_dual_mov_b32 v127, v92
	;; [unrolled: 2-line block ×4, first 2 shown]
	s_wait_loadcnt_dscnt 0xa05
	v_dual_mul_f32 v132, v102, v47 :: v_dual_mul_f32 v134, v104, v49
	v_dual_mul_f32 v47, v103, v47 :: v_dual_mul_f32 v49, v105, v49
	s_wait_loadcnt_dscnt 0x702
	v_dual_mul_f32 v140, v114, v59 :: v_dual_mul_f32 v141, v116, v61
	v_mul_f32_e32 v59, v115, v59
	v_dual_fmac_f32 v132, v103, v46 :: v_dual_mul_f32 v61, v117, v61
	v_fma_f32 v46, v102, v46, -v47
	v_dual_mul_f32 v136, v106, v51 :: v_dual_mul_f32 v137, v108, v53
	v_dual_mul_f32 v51, v107, v51 :: v_dual_mul_f32 v53, v109, v53
	v_dual_fmac_f32 v134, v105, v48 :: v_dual_fma_f32 v47, v104, v48, -v49
	s_delay_alu instid0(VALU_DEP_4) | instskip(SKIP_3) | instid1(VALU_DEP_3)
	v_dual_add_f32 v48, 0, v132 :: v_dual_add_f32 v46, 0, v46
	s_wait_loadcnt_dscnt 0x601
	v_mul_f32_e32 v49, v119, v63
	v_dual_fmac_f32 v136, v107, v50 :: v_dual_fma_f32 v50, v106, v50, -v51
	v_dual_add_f32 v48, v48, v134 :: v_dual_add_f32 v46, v46, v47
	v_dual_mul_f32 v138, v110, v55 :: v_dual_mul_f32 v139, v112, v57
	v_dual_mul_f32 v142, v118, v63 :: v_dual_mul_f32 v143, v120, v65
	;; [unrolled: 1-line block ×3, first 2 shown]
	v_mul_f32_e32 v63, v121, v65
	v_dual_fmac_f32 v137, v109, v52 :: v_dual_add_f32 v46, v46, v50
	s_wait_loadcnt_dscnt 0x500
	v_dual_fma_f32 v47, v108, v52, -v53 :: v_dual_mul_f32 v53, v123, v67
	v_dual_add_f32 v48, v48, v136 :: v_dual_fmac_f32 v138, v111, v54
	v_fma_f32 v50, v110, v54, -v55
	s_delay_alu instid0(VALU_DEP_3) | instskip(NEXT) | instid1(VALU_DEP_3)
	v_dual_add_f32 v46, v46, v47 :: v_dual_mul_f32 v65, v125, v69
	v_dual_add_f32 v48, v48, v137 :: v_dual_fmac_f32 v139, v113, v56
	s_delay_alu instid0(VALU_DEP_2) | instskip(SKIP_1) | instid1(VALU_DEP_3)
	v_dual_fma_f32 v51, v112, v56, -v57 :: v_dual_add_f32 v50, v46, v50
	v_dual_fmac_f32 v140, v115, v58 :: v_dual_fma_f32 v52, v114, v58, -v59
	v_dual_add_f32 v48, v48, v138 :: v_dual_fmac_f32 v141, v117, v60
	s_delay_alu instid0(VALU_DEP_3) | instskip(SKIP_2) | instid1(VALU_DEP_3)
	v_dual_fmac_f32 v142, v119, v62 :: v_dual_add_f32 v50, v50, v51
	v_fma_f32 v55, v116, v60, -v61
	s_wait_loadcnt 0x4
	v_dual_add_f32 v54, v48, v139 :: v_dual_mov_b32 v48, v73
	v_fma_f32 v49, v118, v62, -v49
	v_add_f32_e32 v52, v50, v52
	v_dual_mul_f32 v133, v122, v67 :: v_dual_mul_f32 v135, v124, v69
	s_delay_alu instid0(VALU_DEP_4) | instskip(NEXT) | instid1(VALU_DEP_3)
	v_add_f32_e32 v54, v54, v140
	v_dual_fmac_f32 v143, v121, v64 :: v_dual_add_f32 v55, v52, v55
	s_wait_loadcnt 0x3
	v_mov_b32_e32 v52, v77
	v_pk_mul_f32 v[46:47], v[86:87], v[70:71] op_sel:[1,1] op_sel_hi:[0,1]
	v_dual_add_f32 v54, v54, v141 :: v_dual_fma_f32 v56, v120, v64, -v63
	v_dual_add_f32 v49, v55, v49 :: v_dual_fmac_f32 v135, v125, v68
	s_delay_alu instid0(VALU_DEP_2) | instskip(SKIP_1) | instid1(VALU_DEP_3)
	v_dual_fma_f32 v134, v124, v68, -v65 :: v_dual_add_f32 v57, v54, v142
	v_fmac_f32_e32 v133, v123, v66
	v_dual_fma_f32 v132, v122, v66, -v53 :: v_dual_add_f32 v56, v49, v56
	v_pk_fma_f32 v[58:59], v[86:87], v[70:71], v[46:47] op_sel_hi:[1,0,1]
	s_delay_alu instid0(VALU_DEP_4)
	v_add_f32_e32 v57, v57, v143
	v_pk_mul_f32 v[44:45], v[44:45], v[48:49] op_sel_hi:[1,0]
	v_pk_fma_f32 v[46:47], v[86:87], v[70:71], v[46:47] neg_lo:[0,0,1] neg_hi:[0,0,1]
	v_pk_mul_f32 v[50:51], v[90:91], v[74:75] op_sel:[1,1] op_sel_hi:[0,1]
	v_mov_b32_e32 v47, v59
	v_pk_add_f32 v[48:49], v[56:57], v[132:133]
	s_wait_loadcnt 0x2
	v_mov_b32_e32 v56, v81
	v_pk_fma_f32 v[58:59], v[88:89], v[72:73], v[44:45] op_sel_hi:[1,0,1]
	v_pk_fma_f32 v[44:45], v[88:89], v[72:73], v[44:45] neg_lo:[0,0,1] neg_hi:[0,0,1]
	v_pk_fma_f32 v[60:61], v[90:91], v[74:75], v[50:51] op_sel_hi:[1,0,1]
	v_pk_add_f32 v[48:49], v[48:49], v[134:135]
	v_pk_mul_f32 v[52:53], v[126:127], v[52:53] op_sel_hi:[1,0]
	v_mov_b32_e32 v45, v59
	v_pk_fma_f32 v[50:51], v[90:91], v[74:75], v[50:51] neg_lo:[0,0,1] neg_hi:[0,0,1]
	v_pk_mul_f32 v[54:55], v[94:95], v[78:79] op_sel:[1,1] op_sel_hi:[0,1]
	v_pk_add_f32 v[46:47], v[48:49], v[46:47]
	v_mov_b32_e32 v51, v61
	v_pk_fma_f32 v[58:59], v[92:93], v[76:77], v[52:53] op_sel_hi:[1,0,1]
	v_pk_fma_f32 v[52:53], v[92:93], v[76:77], v[52:53] neg_lo:[0,0,1] neg_hi:[0,0,1]
	v_pk_mul_f32 v[56:57], v[128:129], v[56:57] op_sel_hi:[1,0]
	v_pk_add_f32 v[44:45], v[46:47], v[44:45]
	v_pk_fma_f32 v[46:47], v[94:95], v[78:79], v[54:55] op_sel_hi:[1,0,1]
	s_wait_loadcnt 0x1
	v_dual_mov_b32 v53, v59 :: v_dual_mov_b32 v46, v85
	v_pk_mul_f32 v[48:49], v[98:99], v[82:83] op_sel:[1,1] op_sel_hi:[0,1]
	v_pk_add_f32 v[44:45], v[44:45], v[50:51]
	v_pk_fma_f32 v[50:51], v[94:95], v[78:79], v[54:55] neg_lo:[0,0,1] neg_hi:[0,0,1]
	v_pk_fma_f32 v[54:55], v[96:97], v[80:81], v[56:57] op_sel_hi:[1,0,1]
	v_mov_b32_e32 v51, v47
	v_pk_fma_f32 v[56:57], v[96:97], v[80:81], v[56:57] neg_lo:[0,0,1] neg_hi:[0,0,1]
	v_pk_add_f32 v[44:45], v[44:45], v[52:53]
	v_pk_fma_f32 v[52:53], v[98:99], v[82:83], v[48:49] op_sel_hi:[1,0,1]
	v_pk_mul_f32 v[46:47], v[130:131], v[46:47] op_sel_hi:[1,0]
	v_mov_b32_e32 v57, v55
	v_pk_fma_f32 v[48:49], v[98:99], v[82:83], v[48:49] neg_lo:[0,0,1] neg_hi:[0,0,1]
	v_pk_add_f32 v[44:45], v[44:45], v[50:51]
	s_delay_alu instid0(VALU_DEP_4) | instskip(SKIP_2) | instid1(VALU_DEP_4)
	v_pk_fma_f32 v[50:51], v[100:101], v[84:85], v[46:47] op_sel_hi:[1,0,1]
	v_mov_b32_e32 v49, v53
	v_pk_fma_f32 v[46:47], v[100:101], v[84:85], v[46:47] neg_lo:[0,0,1] neg_hi:[0,0,1]
	v_pk_add_f32 v[44:45], v[44:45], v[56:57]
	s_delay_alu instid0(VALU_DEP_4) | instskip(NEXT) | instid1(VALU_DEP_2)
	v_mov_b32_e32 v47, v51
	v_pk_add_f32 v[44:45], v[44:45], v[48:49]
	s_delay_alu instid0(VALU_DEP_1) | instskip(SKIP_1) | instid1(VALU_DEP_1)
	v_pk_add_f32 v[44:45], v[44:45], v[46:47]
	s_wait_loadcnt 0x0
	v_pk_add_f32 v[0:1], v[0:1], v[44:45] neg_lo:[0,1] neg_hi:[0,1]
	scratch_store_b64 off, v[0:1], off
	s_cbranch_vccz .LBB84_180
; %bb.140:
	s_wait_xcnt 0x0
	v_mov_b32_e32 v0, 0
	global_load_b32 v1, v0, s[8:9] offset:76
	s_wait_loadcnt 0x0
	v_cmp_ne_u32_e32 vcc_lo, 20, v1
	s_cbranch_vccz .LBB84_142
; %bb.141:
	v_lshlrev_b32_e32 v1, 3, v1
	scratch_load_b64 v[44:45], v1, off offset:-8
	scratch_load_b64 v[46:47], off, off offset:152
	s_wait_loadcnt 0x1
	scratch_store_b64 off, v[44:45], off offset:152
	s_wait_loadcnt 0x0
	scratch_store_b64 v1, v[46:47], off offset:-8
.LBB84_142:
	global_load_b32 v0, v0, s[8:9] offset:72
	s_wait_loadcnt 0x0
	v_cmp_eq_u32_e32 vcc_lo, 19, v0
	s_cbranch_vccnz .LBB84_144
; %bb.143:
	s_wait_xcnt 0x0
	v_lshlrev_b32_e32 v0, 3, v0
	s_delay_alu instid0(VALU_DEP_1)
	v_mov_b32_e32 v46, v0
	scratch_load_b64 v[0:1], v46, off offset:-8
	scratch_load_b64 v[44:45], off, off offset:144
	s_wait_loadcnt 0x1
	scratch_store_b64 off, v[0:1], off offset:144
	s_wait_loadcnt 0x0
	scratch_store_b64 v46, v[44:45], off offset:-8
.LBB84_144:
	s_wait_xcnt 0x0
	v_mov_b32_e32 v0, 0
	global_load_b32 v1, v0, s[8:9] offset:68
	s_wait_loadcnt 0x0
	v_cmp_eq_u32_e32 vcc_lo, 18, v1
	s_cbranch_vccnz .LBB84_146
; %bb.145:
	v_lshlrev_b32_e32 v1, 3, v1
	scratch_load_b64 v[44:45], v1, off offset:-8
	scratch_load_b64 v[46:47], off, off offset:136
	s_wait_loadcnt 0x1
	scratch_store_b64 off, v[44:45], off offset:136
	s_wait_loadcnt 0x0
	scratch_store_b64 v1, v[46:47], off offset:-8
.LBB84_146:
	global_load_b32 v0, v0, s[8:9] offset:64
	s_wait_loadcnt 0x0
	v_cmp_eq_u32_e32 vcc_lo, 17, v0
	s_cbranch_vccnz .LBB84_148
; %bb.147:
	s_wait_xcnt 0x0
	v_lshlrev_b32_e32 v0, 3, v0
	s_delay_alu instid0(VALU_DEP_1)
	v_mov_b32_e32 v46, v0
	scratch_load_b64 v[0:1], v46, off offset:-8
	scratch_load_b64 v[44:45], off, off offset:128
	s_wait_loadcnt 0x1
	scratch_store_b64 off, v[0:1], off offset:128
	s_wait_loadcnt 0x0
	scratch_store_b64 v46, v[44:45], off offset:-8
.LBB84_148:
	s_wait_xcnt 0x0
	v_mov_b32_e32 v0, 0
	global_load_b32 v1, v0, s[8:9] offset:60
	s_wait_loadcnt 0x0
	v_cmp_eq_u32_e32 vcc_lo, 16, v1
	s_cbranch_vccnz .LBB84_150
; %bb.149:
	v_lshlrev_b32_e32 v1, 3, v1
	scratch_load_b64 v[44:45], v1, off offset:-8
	scratch_load_b64 v[46:47], off, off offset:120
	s_wait_loadcnt 0x1
	scratch_store_b64 off, v[44:45], off offset:120
	s_wait_loadcnt 0x0
	scratch_store_b64 v1, v[46:47], off offset:-8
.LBB84_150:
	;; [unrolled: 31-line block ×9, first 2 shown]
	global_load_b32 v44, v0, s[8:9]
	scratch_load_b64 v[0:1], off, off
	s_wait_loadcnt 0x1
	v_cmp_eq_u32_e32 vcc_lo, 1, v44
	s_cbranch_vccnz .LBB84_180
; %bb.179:
	v_lshlrev_b32_e32 v44, 3, v44
	s_delay_alu instid0(VALU_DEP_1)
	v_mov_b32_e32 v46, v44
	scratch_load_b64 v[44:45], v46, off offset:-8
	s_wait_loadcnt 0x0
	scratch_store_b64 off, v[44:45], off
	scratch_store_b64 v46, v[0:1], off offset:-8
	scratch_load_b64 v[0:1], off, off
.LBB84_180:
	s_wait_loadcnt 0x0
	flat_store_b64 v[2:3], v[0:1]
	scratch_load_b64 v[0:1], off, off offset:8
	v_lshl_add_u64 v[60:61], v[6:7], 3, s[2:3]
	v_lshl_add_u64 v[58:59], v[8:9], 3, s[2:3]
	;; [unrolled: 1-line block ×19, first 2 shown]
	s_wait_loadcnt 0x0
	flat_store_b64 v[4:5], v[0:1]
	scratch_load_b64 v[0:1], off, off offset:16
	s_wait_loadcnt 0x0
	flat_store_b64 v[60:61], v[0:1]
	scratch_load_b64 v[0:1], off, off offset:24
	;; [unrolled: 3-line block ×19, first 2 shown]
	s_wait_loadcnt 0x0
	flat_store_b64 v[6:7], v[0:1]
	s_sendmsg sendmsg(MSG_DEALLOC_VGPRS)
	s_endpgm
	.section	.rodata,"a",@progbits
	.p2align	6, 0x0
	.amdhsa_kernel _ZN9rocsolver6v33100L18getri_kernel_smallILi21E19rocblas_complex_numIfEPKPS3_EEvT1_iilPiilS8_bb
		.amdhsa_group_segment_fixed_size 344
		.amdhsa_private_segment_fixed_size 176
		.amdhsa_kernarg_size 60
		.amdhsa_user_sgpr_count 2
		.amdhsa_user_sgpr_dispatch_ptr 0
		.amdhsa_user_sgpr_queue_ptr 0
		.amdhsa_user_sgpr_kernarg_segment_ptr 1
		.amdhsa_user_sgpr_dispatch_id 0
		.amdhsa_user_sgpr_kernarg_preload_length 0
		.amdhsa_user_sgpr_kernarg_preload_offset 0
		.amdhsa_user_sgpr_private_segment_size 0
		.amdhsa_wavefront_size32 1
		.amdhsa_uses_dynamic_stack 0
		.amdhsa_enable_private_segment 1
		.amdhsa_system_sgpr_workgroup_id_x 1
		.amdhsa_system_sgpr_workgroup_id_y 0
		.amdhsa_system_sgpr_workgroup_id_z 0
		.amdhsa_system_sgpr_workgroup_info 0
		.amdhsa_system_vgpr_workitem_id 0
		.amdhsa_next_free_vgpr 144
		.amdhsa_next_free_sgpr 19
		.amdhsa_named_barrier_count 0
		.amdhsa_reserve_vcc 1
		.amdhsa_float_round_mode_32 0
		.amdhsa_float_round_mode_16_64 0
		.amdhsa_float_denorm_mode_32 3
		.amdhsa_float_denorm_mode_16_64 3
		.amdhsa_fp16_overflow 0
		.amdhsa_memory_ordered 1
		.amdhsa_forward_progress 1
		.amdhsa_inst_pref_size 187
		.amdhsa_round_robin_scheduling 0
		.amdhsa_exception_fp_ieee_invalid_op 0
		.amdhsa_exception_fp_denorm_src 0
		.amdhsa_exception_fp_ieee_div_zero 0
		.amdhsa_exception_fp_ieee_overflow 0
		.amdhsa_exception_fp_ieee_underflow 0
		.amdhsa_exception_fp_ieee_inexact 0
		.amdhsa_exception_int_div_zero 0
	.end_amdhsa_kernel
	.section	.text._ZN9rocsolver6v33100L18getri_kernel_smallILi21E19rocblas_complex_numIfEPKPS3_EEvT1_iilPiilS8_bb,"axG",@progbits,_ZN9rocsolver6v33100L18getri_kernel_smallILi21E19rocblas_complex_numIfEPKPS3_EEvT1_iilPiilS8_bb,comdat
.Lfunc_end84:
	.size	_ZN9rocsolver6v33100L18getri_kernel_smallILi21E19rocblas_complex_numIfEPKPS3_EEvT1_iilPiilS8_bb, .Lfunc_end84-_ZN9rocsolver6v33100L18getri_kernel_smallILi21E19rocblas_complex_numIfEPKPS3_EEvT1_iilPiilS8_bb
                                        ; -- End function
	.set _ZN9rocsolver6v33100L18getri_kernel_smallILi21E19rocblas_complex_numIfEPKPS3_EEvT1_iilPiilS8_bb.num_vgpr, 144
	.set _ZN9rocsolver6v33100L18getri_kernel_smallILi21E19rocblas_complex_numIfEPKPS3_EEvT1_iilPiilS8_bb.num_agpr, 0
	.set _ZN9rocsolver6v33100L18getri_kernel_smallILi21E19rocblas_complex_numIfEPKPS3_EEvT1_iilPiilS8_bb.numbered_sgpr, 19
	.set _ZN9rocsolver6v33100L18getri_kernel_smallILi21E19rocblas_complex_numIfEPKPS3_EEvT1_iilPiilS8_bb.num_named_barrier, 0
	.set _ZN9rocsolver6v33100L18getri_kernel_smallILi21E19rocblas_complex_numIfEPKPS3_EEvT1_iilPiilS8_bb.private_seg_size, 176
	.set _ZN9rocsolver6v33100L18getri_kernel_smallILi21E19rocblas_complex_numIfEPKPS3_EEvT1_iilPiilS8_bb.uses_vcc, 1
	.set _ZN9rocsolver6v33100L18getri_kernel_smallILi21E19rocblas_complex_numIfEPKPS3_EEvT1_iilPiilS8_bb.uses_flat_scratch, 1
	.set _ZN9rocsolver6v33100L18getri_kernel_smallILi21E19rocblas_complex_numIfEPKPS3_EEvT1_iilPiilS8_bb.has_dyn_sized_stack, 0
	.set _ZN9rocsolver6v33100L18getri_kernel_smallILi21E19rocblas_complex_numIfEPKPS3_EEvT1_iilPiilS8_bb.has_recursion, 0
	.set _ZN9rocsolver6v33100L18getri_kernel_smallILi21E19rocblas_complex_numIfEPKPS3_EEvT1_iilPiilS8_bb.has_indirect_call, 0
	.section	.AMDGPU.csdata,"",@progbits
; Kernel info:
; codeLenInByte = 23852
; TotalNumSgprs: 21
; NumVgprs: 144
; ScratchSize: 176
; MemoryBound: 0
; FloatMode: 240
; IeeeMode: 1
; LDSByteSize: 344 bytes/workgroup (compile time only)
; SGPRBlocks: 0
; VGPRBlocks: 8
; NumSGPRsForWavesPerEU: 21
; NumVGPRsForWavesPerEU: 144
; NamedBarCnt: 0
; Occupancy: 7
; WaveLimiterHint : 1
; COMPUTE_PGM_RSRC2:SCRATCH_EN: 1
; COMPUTE_PGM_RSRC2:USER_SGPR: 2
; COMPUTE_PGM_RSRC2:TRAP_HANDLER: 0
; COMPUTE_PGM_RSRC2:TGID_X_EN: 1
; COMPUTE_PGM_RSRC2:TGID_Y_EN: 0
; COMPUTE_PGM_RSRC2:TGID_Z_EN: 0
; COMPUTE_PGM_RSRC2:TIDIG_COMP_CNT: 0
	.section	.text._ZN9rocsolver6v33100L18getri_kernel_smallILi22E19rocblas_complex_numIfEPKPS3_EEvT1_iilPiilS8_bb,"axG",@progbits,_ZN9rocsolver6v33100L18getri_kernel_smallILi22E19rocblas_complex_numIfEPKPS3_EEvT1_iilPiilS8_bb,comdat
	.globl	_ZN9rocsolver6v33100L18getri_kernel_smallILi22E19rocblas_complex_numIfEPKPS3_EEvT1_iilPiilS8_bb ; -- Begin function _ZN9rocsolver6v33100L18getri_kernel_smallILi22E19rocblas_complex_numIfEPKPS3_EEvT1_iilPiilS8_bb
	.p2align	8
	.type	_ZN9rocsolver6v33100L18getri_kernel_smallILi22E19rocblas_complex_numIfEPKPS3_EEvT1_iilPiilS8_bb,@function
_ZN9rocsolver6v33100L18getri_kernel_smallILi22E19rocblas_complex_numIfEPKPS3_EEvT1_iilPiilS8_bb: ; @_ZN9rocsolver6v33100L18getri_kernel_smallILi22E19rocblas_complex_numIfEPKPS3_EEvT1_iilPiilS8_bb
; %bb.0:
	s_mov_b32 s2, exec_lo
	v_cmpx_gt_u32_e32 22, v0
	s_cbranch_execz .LBB85_102
; %bb.1:
	s_clause 0x1
	s_load_b32 s13, s[0:1], 0x38
	s_load_b64 s[2:3], s[0:1], 0x0
	s_getreg_b32 s6, hwreg(HW_REG_IB_STS2, 6, 4)
	s_wait_kmcnt 0x0
	s_bitcmp1_b32 s13, 8
	s_cselect_b32 s12, -1, 0
	s_bfe_u32 s4, ttmp6, 0x4000c
	s_and_b32 s5, ttmp6, 15
	s_add_co_i32 s4, s4, 1
	s_delay_alu instid0(SALU_CYCLE_1) | instskip(NEXT) | instid1(SALU_CYCLE_1)
	s_mul_i32 s4, ttmp9, s4
	s_add_co_i32 s5, s5, s4
	s_cmp_eq_u32 s6, 0
	s_cselect_b32 s10, ttmp9, s5
	s_load_b128 s[4:7], s[0:1], 0x28
	s_ashr_i32 s11, s10, 31
	s_delay_alu instid0(SALU_CYCLE_1) | instskip(NEXT) | instid1(SALU_CYCLE_1)
	s_lshl_b64 s[8:9], s[10:11], 3
	s_add_nc_u64 s[2:3], s[2:3], s[8:9]
	s_bfe_u32 s8, s13, 0x10008
	s_load_b64 s[2:3], s[2:3], 0x0
	s_cmp_eq_u32 s8, 0
                                        ; implicit-def: $sgpr8_sgpr9
	s_cbranch_scc1 .LBB85_3
; %bb.2:
	s_load_b96 s[16:18], s[0:1], 0x18
	s_wait_kmcnt 0x0
	s_mul_u64 s[4:5], s[4:5], s[10:11]
	s_delay_alu instid0(SALU_CYCLE_1) | instskip(SKIP_4) | instid1(SALU_CYCLE_1)
	s_lshl_b64 s[4:5], s[4:5], 2
	s_ashr_i32 s9, s18, 31
	s_mov_b32 s8, s18
	s_add_nc_u64 s[4:5], s[16:17], s[4:5]
	s_lshl_b64 s[8:9], s[8:9], 2
	s_add_nc_u64 s[8:9], s[4:5], s[8:9]
.LBB85_3:
	s_wait_kmcnt 0x0
	s_clause 0x1
	s_load_b64 s[4:5], s[0:1], 0x8
	s_load_b32 s13, s[0:1], 0x38
	v_dual_mov_b32 v47, 0 :: v_dual_lshlrev_b32 v46, 3, v0
	s_wait_kmcnt 0x0
	s_ashr_i32 s1, s4, 31
	s_mov_b32 s0, s4
	s_delay_alu instid0(SALU_CYCLE_1) | instskip(NEXT) | instid1(SALU_CYCLE_1)
	s_lshl_b64 s[0:1], s[0:1], 3
	s_add_nc_u64 s[2:3], s[2:3], s[0:1]
	s_ashr_i32 s1, s5, 31
	flat_load_b64 v[6:7], v0, s[2:3] scale_offset
	v_add_nc_u64_e32 v[2:3], s[2:3], v[46:47]
	s_mov_b32 s0, s5
	s_bitcmp0_b32 s13, 0
	s_delay_alu instid0(VALU_DEP_1)
	v_lshl_add_u64 v[4:5], s[0:1], 3, v[2:3]
	s_mov_b32 s1, -1
	s_wait_loadcnt_dscnt 0x0
	scratch_store_b64 off, v[6:7], off
	flat_load_b64 v[8:9], v[4:5]
	s_wait_xcnt 0x1
	v_add3_u32 v6, s5, s5, v0
	s_wait_loadcnt_dscnt 0x0
	scratch_store_b64 off, v[8:9], off offset:8
	flat_load_b64 v[10:11], v6, s[2:3] scale_offset
	s_wait_xcnt 0x1
	v_add_nc_u32_e32 v8, s5, v6
	s_wait_loadcnt_dscnt 0x0
	scratch_store_b64 off, v[10:11], off offset:16
	flat_load_b64 v[12:13], v8, s[2:3] scale_offset
	s_wait_xcnt 0x1
	v_add_nc_u32_e32 v10, s5, v8
	;; [unrolled: 5-line block ×19, first 2 shown]
	s_wait_loadcnt_dscnt 0x0
	scratch_store_b64 off, v[48:49], off offset:160
	flat_load_b64 v[48:49], v44, s[2:3] scale_offset
	s_wait_loadcnt_dscnt 0x0
	scratch_store_b64 off, v[48:49], off offset:168
	s_cbranch_scc1 .LBB85_100
; %bb.4:
	v_cmp_eq_u32_e64 s0, 0, v0
	s_wait_xcnt 0x0
	s_and_saveexec_b32 s1, s0
; %bb.5:
	v_mov_b32_e32 v1, 0
	ds_store_b32 v1, v1 offset:352
; %bb.6:
	s_or_b32 exec_lo, exec_lo, s1
	s_wait_storecnt_dscnt 0x0
	s_barrier_signal -1
	s_barrier_wait -1
	scratch_load_b64 v[48:49], v0, off scale_offset
	s_wait_loadcnt 0x0
	v_cmp_eq_f32_e32 vcc_lo, 0, v48
	v_cmp_eq_f32_e64 s1, 0, v49
	s_and_b32 s1, vcc_lo, s1
	s_delay_alu instid0(SALU_CYCLE_1)
	s_and_saveexec_b32 s4, s1
	s_cbranch_execz .LBB85_10
; %bb.7:
	v_mov_b32_e32 v1, 0
	s_mov_b32 s5, 0
	ds_load_b32 v7, v1 offset:352
	s_wait_dscnt 0x0
	v_readfirstlane_b32 s1, v7
	v_add_nc_u32_e32 v7, 1, v0
	s_cmp_eq_u32 s1, 0
	s_delay_alu instid0(VALU_DEP_1) | instskip(SKIP_1) | instid1(SALU_CYCLE_1)
	v_cmp_gt_i32_e32 vcc_lo, s1, v7
	s_cselect_b32 s13, -1, 0
	s_or_b32 s13, s13, vcc_lo
	s_delay_alu instid0(SALU_CYCLE_1)
	s_and_b32 exec_lo, exec_lo, s13
	s_cbranch_execz .LBB85_10
; %bb.8:
	v_mov_b32_e32 v9, s1
.LBB85_9:                               ; =>This Inner Loop Header: Depth=1
	ds_cmpstore_rtn_b32 v9, v1, v7, v9 offset:352
	s_wait_dscnt 0x0
	v_cmp_ne_u32_e32 vcc_lo, 0, v9
	v_cmp_le_i32_e64 s1, v9, v7
	s_and_b32 s1, vcc_lo, s1
	s_delay_alu instid0(SALU_CYCLE_1) | instskip(NEXT) | instid1(SALU_CYCLE_1)
	s_and_b32 s1, exec_lo, s1
	s_or_b32 s5, s1, s5
	s_delay_alu instid0(SALU_CYCLE_1)
	s_and_not1_b32 exec_lo, exec_lo, s5
	s_cbranch_execnz .LBB85_9
.LBB85_10:
	s_or_b32 exec_lo, exec_lo, s4
	v_mov_b32_e32 v1, 0
	s_barrier_signal -1
	s_barrier_wait -1
	ds_load_b32 v7, v1 offset:352
	s_and_saveexec_b32 s1, s0
	s_cbranch_execz .LBB85_12
; %bb.11:
	s_lshl_b64 s[4:5], s[10:11], 2
	s_delay_alu instid0(SALU_CYCLE_1)
	s_add_nc_u64 s[4:5], s[6:7], s[4:5]
	s_wait_dscnt 0x0
	global_store_b32 v1, v7, s[4:5]
.LBB85_12:
	s_wait_xcnt 0x0
	s_or_b32 exec_lo, exec_lo, s1
	s_wait_dscnt 0x0
	v_cmp_ne_u32_e32 vcc_lo, 0, v7
	s_mov_b32 s1, 0
	s_cbranch_vccnz .LBB85_100
; %bb.13:
	v_lshl_add_u32 v7, v0, 3, 0
                                        ; implicit-def: $vgpr51
                                        ; implicit-def: $vgpr52
	scratch_load_b64 v[48:49], v7, off
	s_wait_loadcnt 0x0
	v_cmp_ngt_f32_e64 s1, |v48|, |v49|
	s_wait_xcnt 0x0
	s_and_saveexec_b32 s4, s1
	s_delay_alu instid0(SALU_CYCLE_1)
	s_xor_b32 s1, exec_lo, s4
	s_cbranch_execz .LBB85_15
; %bb.14:
	v_div_scale_f32 v1, null, v49, v49, v48
	v_div_scale_f32 v13, vcc_lo, v48, v49, v48
	s_delay_alu instid0(VALU_DEP_2) | instskip(SKIP_1) | instid1(TRANS32_DEP_1)
	v_rcp_f32_e32 v9, v1
	v_nop
	v_fma_f32 v11, -v1, v9, 1.0
	s_delay_alu instid0(VALU_DEP_1) | instskip(NEXT) | instid1(VALU_DEP_1)
	v_fmac_f32_e32 v9, v11, v9
	v_mul_f32_e32 v11, v13, v9
	s_delay_alu instid0(VALU_DEP_1) | instskip(NEXT) | instid1(VALU_DEP_1)
	v_fma_f32 v15, -v1, v11, v13
	v_fmac_f32_e32 v11, v15, v9
	s_delay_alu instid0(VALU_DEP_1) | instskip(NEXT) | instid1(VALU_DEP_1)
	v_fma_f32 v1, -v1, v11, v13
	v_div_fmas_f32 v1, v1, v9, v11
	s_delay_alu instid0(VALU_DEP_1) | instskip(NEXT) | instid1(VALU_DEP_1)
	v_div_fixup_f32 v1, v1, v49, v48
	v_fmac_f32_e32 v49, v48, v1
	s_delay_alu instid0(VALU_DEP_1) | instskip(NEXT) | instid1(VALU_DEP_1)
	v_div_scale_f32 v9, null, v49, v49, -1.0
	v_rcp_f32_e32 v11, v9
	v_nop
	s_delay_alu instid0(TRANS32_DEP_1) | instskip(NEXT) | instid1(VALU_DEP_1)
	v_fma_f32 v13, -v9, v11, 1.0
	v_fmac_f32_e32 v11, v13, v11
	v_div_scale_f32 v13, vcc_lo, -1.0, v49, -1.0
	s_delay_alu instid0(VALU_DEP_1) | instskip(NEXT) | instid1(VALU_DEP_1)
	v_mul_f32_e32 v15, v13, v11
	v_fma_f32 v17, -v9, v15, v13
	s_delay_alu instid0(VALU_DEP_1) | instskip(NEXT) | instid1(VALU_DEP_1)
	v_fmac_f32_e32 v15, v17, v11
	v_fma_f32 v9, -v9, v15, v13
	s_delay_alu instid0(VALU_DEP_1) | instskip(NEXT) | instid1(VALU_DEP_1)
	v_div_fmas_f32 v9, v9, v11, v15
	v_div_fixup_f32 v51, v9, v49, -1.0
                                        ; implicit-def: $vgpr48_vgpr49
	s_delay_alu instid0(VALU_DEP_1) | instskip(NEXT) | instid1(VALU_DEP_1)
	v_mul_f32_e32 v52, v1, v51
	v_xor_b32_e32 v50, 0x80000000, v52
.LBB85_15:
	s_and_not1_saveexec_b32 s1, s1
	s_cbranch_execz .LBB85_17
; %bb.16:
	v_div_scale_f32 v1, null, v48, v48, v49
	v_div_scale_f32 v13, vcc_lo, v49, v48, v49
	s_delay_alu instid0(VALU_DEP_2) | instskip(SKIP_1) | instid1(TRANS32_DEP_1)
	v_rcp_f32_e32 v9, v1
	v_nop
	v_fma_f32 v11, -v1, v9, 1.0
	s_delay_alu instid0(VALU_DEP_1) | instskip(NEXT) | instid1(VALU_DEP_1)
	v_fmac_f32_e32 v9, v11, v9
	v_mul_f32_e32 v11, v13, v9
	s_delay_alu instid0(VALU_DEP_1) | instskip(NEXT) | instid1(VALU_DEP_1)
	v_fma_f32 v15, -v1, v11, v13
	v_fmac_f32_e32 v11, v15, v9
	s_delay_alu instid0(VALU_DEP_1) | instskip(NEXT) | instid1(VALU_DEP_1)
	v_fma_f32 v1, -v1, v11, v13
	v_div_fmas_f32 v1, v1, v9, v11
	s_delay_alu instid0(VALU_DEP_1) | instskip(NEXT) | instid1(VALU_DEP_1)
	v_div_fixup_f32 v1, v1, v48, v49
	v_fmac_f32_e32 v48, v49, v1
	s_delay_alu instid0(VALU_DEP_1) | instskip(SKIP_1) | instid1(VALU_DEP_2)
	v_div_scale_f32 v9, null, v48, v48, 1.0
	v_div_scale_f32 v15, vcc_lo, 1.0, v48, 1.0
	v_rcp_f32_e32 v11, v9
	v_nop
	s_delay_alu instid0(TRANS32_DEP_1) | instskip(NEXT) | instid1(VALU_DEP_1)
	v_fma_f32 v13, -v9, v11, 1.0
	v_fmac_f32_e32 v11, v13, v11
	s_delay_alu instid0(VALU_DEP_1) | instskip(NEXT) | instid1(VALU_DEP_1)
	v_mul_f32_e32 v13, v15, v11
	v_fma_f32 v17, -v9, v13, v15
	s_delay_alu instid0(VALU_DEP_1) | instskip(NEXT) | instid1(VALU_DEP_1)
	v_fmac_f32_e32 v13, v17, v11
	v_fma_f32 v9, -v9, v13, v15
	s_delay_alu instid0(VALU_DEP_1) | instskip(NEXT) | instid1(VALU_DEP_1)
	v_div_fmas_f32 v9, v9, v11, v13
	v_div_fixup_f32 v50, v9, v48, 1.0
	s_delay_alu instid0(VALU_DEP_1)
	v_xor_b32_e32 v52, 0x80000000, v50
	v_mul_f32_e64 v51, v1, -v50
.LBB85_17:
	s_or_b32 exec_lo, exec_lo, s1
	scratch_store_b64 v7, v[50:51], off
	scratch_load_b64 v[48:49], off, off offset:8
	v_xor_b32_e32 v53, 0x80000000, v51
	v_add_nc_u32_e32 v1, 0xb0, v46
	s_wait_loadcnt 0x0
	ds_store_2addr_b64 v46, v[52:53], v[48:49] offset1:22
	s_wait_storecnt_dscnt 0x0
	s_barrier_signal -1
	s_barrier_wait -1
	s_wait_xcnt 0x0
	s_and_saveexec_b32 s1, s0
	s_cbranch_execz .LBB85_19
; %bb.18:
	scratch_load_b64 v[48:49], v7, off
	ds_load_b64 v[50:51], v1
	s_wait_loadcnt_dscnt 0x0
	v_pk_mul_f32 v[54:55], v[50:51], v[48:49] op_sel:[1,1] op_sel_hi:[0,1]
	s_delay_alu instid0(VALU_DEP_1) | instskip(SKIP_2) | instid1(VALU_DEP_3)
	v_pk_fma_f32 v[56:57], v[50:51], v[48:49], v[54:55] op_sel_hi:[1,0,1]
	v_mov_b32_e32 v9, 0
	v_pk_fma_f32 v[48:49], v[50:51], v[48:49], v[54:55] neg_lo:[0,0,1] neg_hi:[0,0,1]
	v_mov_b32_e32 v49, v57
	ds_load_b64 v[52:53], v9 offset:8
	v_pk_add_f32 v[48:49], v[48:49], 0 op_sel_hi:[1,0]
	s_wait_dscnt 0x0
	s_delay_alu instid0(VALU_DEP_1) | instskip(NEXT) | instid1(VALU_DEP_1)
	v_pk_mul_f32 v[50:51], v[48:49], v[52:53] op_sel:[1,1] op_sel_hi:[0,1]
	v_pk_fma_f32 v[54:55], v[48:49], v[52:53], v[50:51] op_sel_hi:[1,0,1]
	v_pk_fma_f32 v[48:49], v[48:49], v[52:53], v[50:51] neg_lo:[0,0,1] neg_hi:[0,0,1]
	s_delay_alu instid0(VALU_DEP_2)
	v_mov_b32_e32 v49, v55
	scratch_store_b64 off, v[48:49], off offset:8
.LBB85_19:
	s_wait_xcnt 0x0
	s_or_b32 exec_lo, exec_lo, s1
	s_wait_storecnt 0x0
	s_barrier_signal -1
	s_barrier_wait -1
	scratch_load_b64 v[48:49], off, off offset:16
	s_mov_b32 s1, exec_lo
	s_wait_loadcnt 0x0
	ds_store_b64 v1, v[48:49]
	s_wait_dscnt 0x0
	s_barrier_signal -1
	s_barrier_wait -1
	v_cmpx_gt_u32_e32 2, v0
	s_cbranch_execz .LBB85_23
; %bb.20:
	scratch_load_b64 v[48:49], v7, off
	ds_load_b64 v[50:51], v1
	s_wait_loadcnt_dscnt 0x0
	v_pk_mul_f32 v[52:53], v[50:51], v[48:49] op_sel:[1,1] op_sel_hi:[0,1]
	s_delay_alu instid0(VALU_DEP_1) | instskip(SKIP_1) | instid1(VALU_DEP_2)
	v_pk_fma_f32 v[54:55], v[50:51], v[48:49], v[52:53] op_sel_hi:[1,0,1]
	v_pk_fma_f32 v[48:49], v[50:51], v[48:49], v[52:53] neg_lo:[0,0,1] neg_hi:[0,0,1]
	v_mov_b32_e32 v49, v55
	s_delay_alu instid0(VALU_DEP_1)
	v_pk_add_f32 v[48:49], v[48:49], 0 op_sel_hi:[1,0]
	s_and_saveexec_b32 s4, s0
	s_cbranch_execz .LBB85_22
; %bb.21:
	scratch_load_b64 v[50:51], off, off offset:8
	v_mov_b32_e32 v7, 0
	ds_load_b64 v[52:53], v7 offset:184
	s_wait_loadcnt_dscnt 0x0
	v_pk_mul_f32 v[54:55], v[52:53], v[50:51] op_sel:[1,1] op_sel_hi:[0,1]
	s_delay_alu instid0(VALU_DEP_1) | instskip(SKIP_1) | instid1(VALU_DEP_2)
	v_pk_fma_f32 v[56:57], v[52:53], v[50:51], v[54:55] op_sel_hi:[1,0,1]
	v_pk_fma_f32 v[50:51], v[52:53], v[50:51], v[54:55] neg_lo:[0,0,1] neg_hi:[0,0,1]
	v_mov_b32_e32 v51, v57
	s_delay_alu instid0(VALU_DEP_1)
	v_pk_add_f32 v[48:49], v[48:49], v[50:51]
.LBB85_22:
	s_or_b32 exec_lo, exec_lo, s4
	v_mov_b32_e32 v7, 0
	ds_load_b64 v[50:51], v7 offset:16
	s_wait_dscnt 0x0
	v_pk_mul_f32 v[52:53], v[48:49], v[50:51] op_sel:[1,1] op_sel_hi:[0,1]
	s_delay_alu instid0(VALU_DEP_1) | instskip(SKIP_1) | instid1(VALU_DEP_2)
	v_pk_fma_f32 v[54:55], v[48:49], v[50:51], v[52:53] op_sel_hi:[1,0,1]
	v_pk_fma_f32 v[48:49], v[48:49], v[50:51], v[52:53] neg_lo:[0,0,1] neg_hi:[0,0,1]
	v_mov_b32_e32 v49, v55
	scratch_store_b64 off, v[48:49], off offset:16
.LBB85_23:
	s_wait_xcnt 0x0
	s_or_b32 exec_lo, exec_lo, s1
	s_wait_storecnt 0x0
	s_barrier_signal -1
	s_barrier_wait -1
	scratch_load_b64 v[48:49], off, off offset:24
	v_add_nc_u32_e32 v7, -1, v0
	s_mov_b32 s0, exec_lo
	s_wait_loadcnt 0x0
	ds_store_b64 v1, v[48:49]
	s_wait_dscnt 0x0
	s_barrier_signal -1
	s_barrier_wait -1
	v_cmpx_gt_u32_e32 3, v0
	s_cbranch_execz .LBB85_27
; %bb.24:
	v_dual_mov_b32 v48, 0 :: v_dual_add_nc_u32 v9, -1, v0
	v_add_nc_u32_e32 v11, 0xb0, v46
	v_mov_b32_e32 v13, v46
	s_mov_b32 s1, 0
	s_delay_alu instid0(VALU_DEP_3)
	v_mov_b32_e32 v49, v48
.LBB85_25:                              ; =>This Inner Loop Header: Depth=1
	scratch_load_b64 v[50:51], v13, off
	ds_load_b64 v[52:53], v11
	s_wait_xcnt 0x0
	v_dual_add_nc_u32 v11, 8, v11 :: v_dual_add_nc_u32 v13, 8, v13
	s_wait_loadcnt_dscnt 0x0
	v_pk_mul_f32 v[54:55], v[52:53], v[50:51] op_sel:[1,1] op_sel_hi:[0,1]
	s_delay_alu instid0(VALU_DEP_1) | instskip(SKIP_2) | instid1(VALU_DEP_3)
	v_pk_fma_f32 v[56:57], v[52:53], v[50:51], v[54:55] op_sel_hi:[1,0,1]
	v_add_nc_u32_e32 v9, 1, v9
	v_pk_fma_f32 v[50:51], v[52:53], v[50:51], v[54:55] neg_lo:[0,0,1] neg_hi:[0,0,1]
	v_mov_b32_e32 v51, v57
	s_delay_alu instid0(VALU_DEP_3) | instskip(NEXT) | instid1(VALU_DEP_2)
	v_cmp_lt_u32_e32 vcc_lo, 1, v9
	v_pk_add_f32 v[48:49], v[48:49], v[50:51]
	s_or_b32 s1, vcc_lo, s1
	s_delay_alu instid0(SALU_CYCLE_1)
	s_and_not1_b32 exec_lo, exec_lo, s1
	s_cbranch_execnz .LBB85_25
; %bb.26:
	s_or_b32 exec_lo, exec_lo, s1
	v_mov_b32_e32 v9, 0
	ds_load_b64 v[50:51], v9 offset:24
	s_wait_dscnt 0x0
	v_pk_mul_f32 v[52:53], v[48:49], v[50:51] op_sel:[1,1] op_sel_hi:[0,1]
	s_delay_alu instid0(VALU_DEP_1) | instskip(SKIP_1) | instid1(VALU_DEP_2)
	v_pk_fma_f32 v[54:55], v[48:49], v[50:51], v[52:53] op_sel_hi:[1,0,1]
	v_pk_fma_f32 v[48:49], v[48:49], v[50:51], v[52:53] neg_lo:[0,0,1] neg_hi:[0,0,1]
	v_mov_b32_e32 v49, v55
	scratch_store_b64 off, v[48:49], off offset:24
.LBB85_27:
	s_wait_xcnt 0x0
	s_or_b32 exec_lo, exec_lo, s0
	s_wait_storecnt 0x0
	s_barrier_signal -1
	s_barrier_wait -1
	scratch_load_b64 v[48:49], off, off offset:32
	s_mov_b32 s0, exec_lo
	s_wait_loadcnt 0x0
	ds_store_b64 v1, v[48:49]
	s_wait_dscnt 0x0
	s_barrier_signal -1
	s_barrier_wait -1
	v_cmpx_gt_u32_e32 4, v0
	s_cbranch_execz .LBB85_31
; %bb.28:
	v_dual_mov_b32 v48, 0 :: v_dual_add_nc_u32 v9, -1, v0
	v_add_nc_u32_e32 v11, 0xb0, v46
	v_mov_b32_e32 v13, v46
	s_mov_b32 s1, 0
	s_delay_alu instid0(VALU_DEP_3)
	v_mov_b32_e32 v49, v48
.LBB85_29:                              ; =>This Inner Loop Header: Depth=1
	scratch_load_b64 v[50:51], v13, off
	ds_load_b64 v[52:53], v11
	s_wait_xcnt 0x0
	v_dual_add_nc_u32 v11, 8, v11 :: v_dual_add_nc_u32 v13, 8, v13
	s_wait_loadcnt_dscnt 0x0
	v_pk_mul_f32 v[54:55], v[52:53], v[50:51] op_sel:[1,1] op_sel_hi:[0,1]
	s_delay_alu instid0(VALU_DEP_1) | instskip(SKIP_2) | instid1(VALU_DEP_3)
	v_pk_fma_f32 v[56:57], v[52:53], v[50:51], v[54:55] op_sel_hi:[1,0,1]
	v_add_nc_u32_e32 v9, 1, v9
	v_pk_fma_f32 v[50:51], v[52:53], v[50:51], v[54:55] neg_lo:[0,0,1] neg_hi:[0,0,1]
	v_mov_b32_e32 v51, v57
	s_delay_alu instid0(VALU_DEP_3) | instskip(NEXT) | instid1(VALU_DEP_2)
	v_cmp_lt_u32_e32 vcc_lo, 2, v9
	v_pk_add_f32 v[48:49], v[48:49], v[50:51]
	s_or_b32 s1, vcc_lo, s1
	s_delay_alu instid0(SALU_CYCLE_1)
	s_and_not1_b32 exec_lo, exec_lo, s1
	s_cbranch_execnz .LBB85_29
; %bb.30:
	s_or_b32 exec_lo, exec_lo, s1
	v_mov_b32_e32 v9, 0
	ds_load_b64 v[50:51], v9 offset:32
	s_wait_dscnt 0x0
	v_pk_mul_f32 v[52:53], v[48:49], v[50:51] op_sel:[1,1] op_sel_hi:[0,1]
	s_delay_alu instid0(VALU_DEP_1) | instskip(SKIP_1) | instid1(VALU_DEP_2)
	v_pk_fma_f32 v[54:55], v[48:49], v[50:51], v[52:53] op_sel_hi:[1,0,1]
	v_pk_fma_f32 v[48:49], v[48:49], v[50:51], v[52:53] neg_lo:[0,0,1] neg_hi:[0,0,1]
	v_mov_b32_e32 v49, v55
	scratch_store_b64 off, v[48:49], off offset:32
.LBB85_31:
	s_wait_xcnt 0x0
	s_or_b32 exec_lo, exec_lo, s0
	s_wait_storecnt 0x0
	s_barrier_signal -1
	s_barrier_wait -1
	scratch_load_b64 v[48:49], off, off offset:40
	;; [unrolled: 52-line block ×18, first 2 shown]
	s_mov_b32 s0, exec_lo
	s_wait_loadcnt 0x0
	ds_store_b64 v1, v[48:49]
	s_wait_dscnt 0x0
	s_barrier_signal -1
	s_barrier_wait -1
	v_cmpx_ne_u32_e32 21, v0
	s_cbranch_execz .LBB85_99
; %bb.96:
	v_dual_mov_b32 v48, 0 :: v_dual_mov_b32 v9, v46
	s_mov_b32 s1, 0
	s_delay_alu instid0(VALU_DEP_1)
	v_mov_b32_e32 v49, v48
.LBB85_97:                              ; =>This Inner Loop Header: Depth=1
	scratch_load_b64 v[46:47], v9, off
	ds_load_b64 v[50:51], v1
	v_add_nc_u32_e32 v1, 8, v1
	s_wait_xcnt 0x0
	v_add_nc_u32_e32 v9, 8, v9
	s_wait_loadcnt_dscnt 0x0
	v_pk_mul_f32 v[52:53], v[50:51], v[46:47] op_sel:[1,1] op_sel_hi:[0,1]
	s_delay_alu instid0(VALU_DEP_1) | instskip(SKIP_2) | instid1(VALU_DEP_3)
	v_pk_fma_f32 v[54:55], v[50:51], v[46:47], v[52:53] op_sel_hi:[1,0,1]
	v_add_nc_u32_e32 v7, 1, v7
	v_pk_fma_f32 v[46:47], v[50:51], v[46:47], v[52:53] neg_lo:[0,0,1] neg_hi:[0,0,1]
	v_mov_b32_e32 v47, v55
	s_delay_alu instid0(VALU_DEP_3) | instskip(NEXT) | instid1(VALU_DEP_2)
	v_cmp_lt_u32_e32 vcc_lo, 19, v7
	v_pk_add_f32 v[48:49], v[48:49], v[46:47]
	s_or_b32 s1, vcc_lo, s1
	s_delay_alu instid0(SALU_CYCLE_1)
	s_and_not1_b32 exec_lo, exec_lo, s1
	s_cbranch_execnz .LBB85_97
; %bb.98:
	s_or_b32 exec_lo, exec_lo, s1
	v_mov_b32_e32 v1, 0
	ds_load_b64 v[46:47], v1 offset:168
	s_wait_dscnt 0x0
	v_pk_mul_f32 v[50:51], v[48:49], v[46:47] op_sel:[1,1] op_sel_hi:[0,1]
	s_delay_alu instid0(VALU_DEP_1) | instskip(SKIP_1) | instid1(VALU_DEP_2)
	v_pk_fma_f32 v[52:53], v[48:49], v[46:47], v[50:51] op_sel_hi:[1,0,1]
	v_pk_fma_f32 v[46:47], v[48:49], v[46:47], v[50:51] neg_lo:[0,0,1] neg_hi:[0,0,1]
	v_mov_b32_e32 v47, v53
	scratch_store_b64 off, v[46:47], off offset:168
.LBB85_99:
	s_wait_xcnt 0x0
	s_or_b32 exec_lo, exec_lo, s0
	s_mov_b32 s1, -1
	s_wait_storecnt 0x0
	s_barrier_signal -1
	s_barrier_wait -1
.LBB85_100:
	s_and_b32 vcc_lo, exec_lo, s1
	s_cbranch_vccz .LBB85_102
; %bb.101:
	v_mov_b32_e32 v1, 0
	s_lshl_b64 s[0:1], s[10:11], 2
	s_delay_alu instid0(SALU_CYCLE_1)
	s_add_nc_u64 s[0:1], s[6:7], s[0:1]
	global_load_b32 v1, v1, s[0:1]
	s_wait_loadcnt 0x0
	v_cmp_ne_u32_e32 vcc_lo, 0, v1
	s_cbranch_vccz .LBB85_103
.LBB85_102:
	s_sendmsg sendmsg(MSG_DEALLOC_VGPRS)
	s_endpgm
.LBB85_103:
	s_wait_xcnt 0x0
	v_lshl_add_u32 v1, v0, 3, 0xb0
	s_mov_b32 s0, exec_lo
	v_cmpx_eq_u32_e32 21, v0
	s_cbranch_execz .LBB85_105
; %bb.104:
	scratch_load_b64 v[46:47], off, off offset:160
	v_mov_b64_e32 v[48:49], 0
	scratch_store_b64 off, v[48:49], off offset:160
	s_wait_loadcnt 0x0
	ds_store_b64 v1, v[46:47]
.LBB85_105:
	s_wait_xcnt 0x0
	s_or_b32 exec_lo, exec_lo, s0
	s_wait_storecnt_dscnt 0x0
	s_barrier_signal -1
	s_barrier_wait -1
	s_clause 0x1
	scratch_load_b64 v[46:47], off, off offset:168
	scratch_load_b64 v[48:49], off, off offset:160
	v_mov_b32_e32 v7, 0
	s_mov_b32 s0, exec_lo
	ds_load_b64 v[50:51], v7 offset:344
	s_wait_loadcnt_dscnt 0x100
	v_pk_mul_f32 v[52:53], v[50:51], v[46:47] op_sel:[1,1] op_sel_hi:[0,1]
	s_delay_alu instid0(VALU_DEP_1) | instskip(SKIP_1) | instid1(VALU_DEP_2)
	v_pk_fma_f32 v[54:55], v[50:51], v[46:47], v[52:53] op_sel_hi:[1,0,1]
	v_pk_fma_f32 v[46:47], v[50:51], v[46:47], v[52:53] neg_lo:[0,0,1] neg_hi:[0,0,1]
	v_mov_b32_e32 v47, v55
	s_delay_alu instid0(VALU_DEP_1) | instskip(SKIP_1) | instid1(VALU_DEP_1)
	v_pk_add_f32 v[46:47], v[46:47], 0 op_sel_hi:[1,0]
	s_wait_loadcnt 0x0
	v_pk_add_f32 v[46:47], v[48:49], v[46:47] neg_lo:[0,1] neg_hi:[0,1]
	scratch_store_b64 off, v[46:47], off offset:160
	s_wait_xcnt 0x0
	v_cmpx_lt_u32_e32 19, v0
	s_cbranch_execz .LBB85_107
; %bb.106:
	scratch_load_b64 v[46:47], off, off offset:152
	v_mov_b64_e32 v[48:49], 0
	scratch_store_b64 off, v[48:49], off offset:152
	s_wait_loadcnt 0x0
	ds_store_b64 v1, v[46:47]
.LBB85_107:
	s_wait_xcnt 0x0
	s_or_b32 exec_lo, exec_lo, s0
	s_wait_storecnt_dscnt 0x0
	s_barrier_signal -1
	s_barrier_wait -1
	s_clause 0x1
	scratch_load_b128 v[46:49], off, off offset:160
	scratch_load_b64 v[54:55], off, off offset:152
	ds_load_b128 v[50:53], v7 offset:336
	s_mov_b32 s0, exec_lo
	s_wait_dscnt 0x0
	v_dual_mov_b32 v56, v53 :: v_dual_mov_b32 v57, v52
	s_wait_loadcnt 0x1
	v_pk_mul_f32 v[58:59], v[50:51], v[46:47] op_sel:[1,1] op_sel_hi:[0,1]
	s_delay_alu instid0(VALU_DEP_1) | instskip(SKIP_2) | instid1(VALU_DEP_3)
	v_pk_fma_f32 v[62:63], v[50:51], v[46:47], v[58:59] op_sel_hi:[1,0,1]
	v_mov_b32_e32 v60, v49
	v_pk_fma_f32 v[46:47], v[50:51], v[46:47], v[58:59] neg_lo:[0,0,1] neg_hi:[0,0,1]
	v_mov_b32_e32 v47, v63
	s_delay_alu instid0(VALU_DEP_3) | instskip(NEXT) | instid1(VALU_DEP_2)
	v_pk_mul_f32 v[56:57], v[56:57], v[60:61] op_sel_hi:[1,0]
	v_pk_add_f32 v[46:47], v[46:47], 0 op_sel_hi:[1,0]
	s_delay_alu instid0(VALU_DEP_2) | instskip(SKIP_1) | instid1(VALU_DEP_2)
	v_pk_fma_f32 v[50:51], v[52:53], v[48:49], v[56:57] op_sel_hi:[1,0,1]
	v_pk_fma_f32 v[48:49], v[52:53], v[48:49], v[56:57] neg_lo:[0,0,1] neg_hi:[0,0,1]
	v_mov_b32_e32 v49, v51
	s_delay_alu instid0(VALU_DEP_1) | instskip(SKIP_1) | instid1(VALU_DEP_1)
	v_pk_add_f32 v[46:47], v[46:47], v[48:49]
	s_wait_loadcnt 0x0
	v_pk_add_f32 v[46:47], v[54:55], v[46:47] neg_lo:[0,1] neg_hi:[0,1]
	scratch_store_b64 off, v[46:47], off offset:152
	s_wait_xcnt 0x0
	v_cmpx_lt_u32_e32 18, v0
	s_cbranch_execz .LBB85_109
; %bb.108:
	scratch_load_b64 v[46:47], off, off offset:144
	v_mov_b64_e32 v[48:49], 0
	scratch_store_b64 off, v[48:49], off offset:144
	s_wait_loadcnt 0x0
	ds_store_b64 v1, v[46:47]
.LBB85_109:
	s_wait_xcnt 0x0
	s_or_b32 exec_lo, exec_lo, s0
	s_wait_storecnt_dscnt 0x0
	s_barrier_signal -1
	s_barrier_wait -1
	s_clause 0x2
	scratch_load_b128 v[46:49], off, off offset:152
	scratch_load_b64 v[54:55], off, off offset:168
	scratch_load_b64 v[56:57], off, off offset:144
	v_mov_b32_e32 v7, 0
	ds_load_2addr_b64 v[50:53], v7 offset0:41 offset1:42
	ds_load_b64 v[58:59], v7 offset:344
	s_mov_b32 s0, exec_lo
	s_wait_dscnt 0x1
	v_dual_mov_b32 v60, v53 :: v_dual_mov_b32 v61, v52
	s_wait_loadcnt 0x2
	v_mov_b32_e32 v64, v49
	v_pk_mul_f32 v[62:63], v[50:51], v[46:47] op_sel:[1,1] op_sel_hi:[0,1]
	s_delay_alu instid0(VALU_DEP_2) | instskip(NEXT) | instid1(VALU_DEP_2)
	v_pk_mul_f32 v[60:61], v[60:61], v[64:65] op_sel_hi:[1,0]
	v_pk_fma_f32 v[66:67], v[50:51], v[46:47], v[62:63] op_sel_hi:[1,0,1]
	v_pk_fma_f32 v[46:47], v[50:51], v[46:47], v[62:63] neg_lo:[0,0,1] neg_hi:[0,0,1]
	s_wait_loadcnt_dscnt 0x100
	v_pk_mul_f32 v[62:63], v[58:59], v[54:55] op_sel:[1,1] op_sel_hi:[0,1]
	v_pk_fma_f32 v[50:51], v[52:53], v[48:49], v[60:61] op_sel_hi:[1,0,1]
	v_mov_b32_e32 v47, v67
	v_pk_fma_f32 v[48:49], v[52:53], v[48:49], v[60:61] neg_lo:[0,0,1] neg_hi:[0,0,1]
	s_delay_alu instid0(VALU_DEP_4) | instskip(NEXT) | instid1(VALU_DEP_4)
	v_pk_fma_f32 v[52:53], v[58:59], v[54:55], v[62:63] neg_lo:[0,0,1] neg_hi:[0,0,1]
	v_mov_b32_e32 v49, v51
	s_delay_alu instid0(VALU_DEP_4) | instskip(SKIP_1) | instid1(VALU_DEP_2)
	v_pk_add_f32 v[46:47], v[46:47], 0 op_sel_hi:[1,0]
	v_pk_fma_f32 v[50:51], v[58:59], v[54:55], v[62:63] op_sel_hi:[1,0,1]
	v_pk_add_f32 v[46:47], v[46:47], v[48:49]
	s_delay_alu instid0(VALU_DEP_2) | instskip(NEXT) | instid1(VALU_DEP_1)
	v_mov_b32_e32 v53, v51
	v_pk_add_f32 v[46:47], v[46:47], v[52:53]
	s_wait_loadcnt 0x0
	s_delay_alu instid0(VALU_DEP_1)
	v_pk_add_f32 v[46:47], v[56:57], v[46:47] neg_lo:[0,1] neg_hi:[0,1]
	scratch_store_b64 off, v[46:47], off offset:144
	s_wait_xcnt 0x0
	v_cmpx_lt_u32_e32 17, v0
	s_cbranch_execz .LBB85_111
; %bb.110:
	scratch_load_b64 v[46:47], off, off offset:136
	v_mov_b64_e32 v[48:49], 0
	scratch_store_b64 off, v[48:49], off offset:136
	s_wait_loadcnt 0x0
	ds_store_b64 v1, v[46:47]
.LBB85_111:
	s_wait_xcnt 0x0
	s_or_b32 exec_lo, exec_lo, s0
	s_wait_storecnt_dscnt 0x0
	s_barrier_signal -1
	s_barrier_wait -1
	s_clause 0x2
	scratch_load_b128 v[46:49], off, off offset:144
	scratch_load_b128 v[50:53], off, off offset:160
	scratch_load_b64 v[62:63], off, off offset:136
	ds_load_b128 v[54:57], v7 offset:320
	ds_load_b128 v[58:61], v7 offset:336
	s_mov_b32 s0, exec_lo
	s_wait_dscnt 0x1
	v_dual_mov_b32 v64, v57 :: v_dual_mov_b32 v65, v56
	s_wait_loadcnt_dscnt 0x200
	v_dual_mov_b32 v70, v61 :: v_dual_mov_b32 v68, v49
	v_pk_mul_f32 v[66:67], v[54:55], v[46:47] op_sel:[1,1] op_sel_hi:[0,1]
	s_delay_alu instid0(VALU_DEP_2) | instskip(NEXT) | instid1(VALU_DEP_2)
	v_pk_mul_f32 v[64:65], v[64:65], v[68:69] op_sel_hi:[1,0]
	v_pk_fma_f32 v[72:73], v[54:55], v[46:47], v[66:67] op_sel_hi:[1,0,1]
	v_pk_fma_f32 v[46:47], v[54:55], v[46:47], v[66:67] neg_lo:[0,0,1] neg_hi:[0,0,1]
	v_mov_b32_e32 v71, v60
	s_wait_loadcnt 0x1
	v_pk_mul_f32 v[68:69], v[58:59], v[50:51] op_sel:[1,1] op_sel_hi:[0,1]
	v_pk_fma_f32 v[54:55], v[56:57], v[48:49], v[64:65] op_sel_hi:[1,0,1]
	v_dual_mov_b32 v47, v73 :: v_dual_mov_b32 v54, v53
	v_pk_fma_f32 v[48:49], v[56:57], v[48:49], v[64:65] neg_lo:[0,0,1] neg_hi:[0,0,1]
	s_delay_alu instid0(VALU_DEP_4) | instskip(NEXT) | instid1(VALU_DEP_4)
	v_pk_fma_f32 v[66:67], v[58:59], v[50:51], v[68:69] op_sel_hi:[1,0,1]
	v_mov_b32_e32 v49, v55
	s_delay_alu instid0(VALU_DEP_4) | instskip(SKIP_2) | instid1(VALU_DEP_3)
	v_pk_add_f32 v[46:47], v[46:47], 0 op_sel_hi:[1,0]
	v_pk_mul_f32 v[54:55], v[70:71], v[54:55] op_sel_hi:[1,0]
	v_pk_fma_f32 v[50:51], v[58:59], v[50:51], v[68:69] neg_lo:[0,0,1] neg_hi:[0,0,1]
	v_pk_add_f32 v[46:47], v[46:47], v[48:49]
	s_delay_alu instid0(VALU_DEP_3) | instskip(SKIP_2) | instid1(VALU_DEP_3)
	v_pk_fma_f32 v[48:49], v[60:61], v[52:53], v[54:55] op_sel_hi:[1,0,1]
	v_mov_b32_e32 v51, v67
	v_pk_fma_f32 v[52:53], v[60:61], v[52:53], v[54:55] neg_lo:[0,0,1] neg_hi:[0,0,1]
	v_mov_b32_e32 v53, v49
	s_delay_alu instid0(VALU_DEP_3) | instskip(NEXT) | instid1(VALU_DEP_1)
	v_pk_add_f32 v[46:47], v[46:47], v[50:51]
	v_pk_add_f32 v[46:47], v[46:47], v[52:53]
	s_wait_loadcnt 0x0
	s_delay_alu instid0(VALU_DEP_1)
	v_pk_add_f32 v[46:47], v[62:63], v[46:47] neg_lo:[0,1] neg_hi:[0,1]
	scratch_store_b64 off, v[46:47], off offset:136
	s_wait_xcnt 0x0
	v_cmpx_lt_u32_e32 16, v0
	s_cbranch_execz .LBB85_113
; %bb.112:
	scratch_load_b64 v[46:47], off, off offset:128
	v_mov_b64_e32 v[48:49], 0
	scratch_store_b64 off, v[48:49], off offset:128
	s_wait_loadcnt 0x0
	ds_store_b64 v1, v[46:47]
.LBB85_113:
	s_wait_xcnt 0x0
	s_or_b32 exec_lo, exec_lo, s0
	s_wait_storecnt_dscnt 0x0
	s_barrier_signal -1
	s_barrier_wait -1
	s_clause 0x3
	scratch_load_b128 v[46:49], off, off offset:136
	scratch_load_b128 v[50:53], off, off offset:152
	scratch_load_b64 v[62:63], off, off offset:168
	scratch_load_b64 v[64:65], off, off offset:128
	v_mov_b32_e32 v7, 0
	ds_load_2addr_b64 v[54:57], v7 offset0:39 offset1:40
	ds_load_2addr_b64 v[58:61], v7 offset0:41 offset1:42
	s_mov_b32 s0, exec_lo
	s_wait_dscnt 0x1
	v_dual_mov_b32 v66, v57 :: v_dual_mov_b32 v67, v56
	ds_load_b64 v[72:73], v7 offset:344
	s_wait_dscnt 0x1
	v_dual_mov_b32 v74, v61 :: v_dual_mov_b32 v75, v60
	s_wait_loadcnt 0x3
	v_pk_mul_f32 v[68:69], v[54:55], v[46:47] op_sel:[1,1] op_sel_hi:[0,1]
	v_mov_b32_e32 v70, v49
	s_delay_alu instid0(VALU_DEP_2) | instskip(NEXT) | instid1(VALU_DEP_2)
	v_pk_fma_f32 v[76:77], v[54:55], v[46:47], v[68:69] op_sel_hi:[1,0,1]
	v_pk_mul_f32 v[66:67], v[66:67], v[70:71] op_sel_hi:[1,0]
	v_pk_fma_f32 v[46:47], v[54:55], v[46:47], v[68:69] neg_lo:[0,0,1] neg_hi:[0,0,1]
	s_wait_loadcnt 0x2
	v_pk_mul_f32 v[70:71], v[58:59], v[50:51] op_sel:[1,1] op_sel_hi:[0,1]
	v_dual_mov_b32 v76, v53 :: v_dual_mov_b32 v47, v77
	v_pk_fma_f32 v[54:55], v[56:57], v[48:49], v[66:67] op_sel_hi:[1,0,1]
	v_pk_fma_f32 v[48:49], v[56:57], v[48:49], v[66:67] neg_lo:[0,0,1] neg_hi:[0,0,1]
	s_delay_alu instid0(VALU_DEP_4) | instskip(NEXT) | instid1(VALU_DEP_4)
	v_pk_fma_f32 v[68:69], v[58:59], v[50:51], v[70:71] op_sel_hi:[1,0,1]
	v_pk_mul_f32 v[74:75], v[74:75], v[76:77] op_sel_hi:[1,0]
	v_pk_add_f32 v[46:47], v[46:47], 0 op_sel_hi:[1,0]
	v_mov_b32_e32 v49, v55
	v_pk_fma_f32 v[50:51], v[58:59], v[50:51], v[70:71] neg_lo:[0,0,1] neg_hi:[0,0,1]
	v_mov_b32_e32 v51, v69
	v_pk_fma_f32 v[54:55], v[60:61], v[52:53], v[74:75] op_sel_hi:[1,0,1]
	v_pk_fma_f32 v[52:53], v[60:61], v[52:53], v[74:75] neg_lo:[0,0,1] neg_hi:[0,0,1]
	v_pk_add_f32 v[46:47], v[46:47], v[48:49]
	s_wait_loadcnt_dscnt 0x100
	v_pk_mul_f32 v[48:49], v[72:73], v[62:63] op_sel:[1,1] op_sel_hi:[0,1]
	s_delay_alu instid0(VALU_DEP_2) | instskip(NEXT) | instid1(VALU_DEP_2)
	v_pk_add_f32 v[46:47], v[46:47], v[50:51]
	v_pk_fma_f32 v[50:51], v[72:73], v[62:63], v[48:49] op_sel_hi:[1,0,1]
	v_mov_b32_e32 v53, v55
	v_pk_fma_f32 v[48:49], v[72:73], v[62:63], v[48:49] neg_lo:[0,0,1] neg_hi:[0,0,1]
	s_delay_alu instid0(VALU_DEP_3) | instskip(NEXT) | instid1(VALU_DEP_3)
	v_mov_b32_e32 v49, v51
	v_pk_add_f32 v[46:47], v[46:47], v[52:53]
	s_delay_alu instid0(VALU_DEP_1) | instskip(SKIP_1) | instid1(VALU_DEP_1)
	v_pk_add_f32 v[46:47], v[46:47], v[48:49]
	s_wait_loadcnt 0x0
	v_pk_add_f32 v[46:47], v[64:65], v[46:47] neg_lo:[0,1] neg_hi:[0,1]
	scratch_store_b64 off, v[46:47], off offset:128
	s_wait_xcnt 0x0
	v_cmpx_lt_u32_e32 15, v0
	s_cbranch_execz .LBB85_115
; %bb.114:
	scratch_load_b64 v[46:47], off, off offset:120
	v_mov_b64_e32 v[48:49], 0
	scratch_store_b64 off, v[48:49], off offset:120
	s_wait_loadcnt 0x0
	ds_store_b64 v1, v[46:47]
.LBB85_115:
	s_wait_xcnt 0x0
	s_or_b32 exec_lo, exec_lo, s0
	s_wait_storecnt_dscnt 0x0
	s_barrier_signal -1
	s_barrier_wait -1
	s_clause 0x3
	scratch_load_b128 v[46:49], off, off offset:128
	scratch_load_b128 v[50:53], off, off offset:144
	;; [unrolled: 1-line block ×3, first 2 shown]
	scratch_load_b64 v[70:71], off, off offset:120
	ds_load_b128 v[58:61], v7 offset:304
	ds_load_b128 v[62:65], v7 offset:320
	ds_load_b128 v[66:69], v7 offset:336
	s_mov_b32 s0, exec_lo
	s_wait_dscnt 0x2
	v_dual_mov_b32 v72, v61 :: v_dual_mov_b32 v73, v60
	s_wait_dscnt 0x1
	v_dual_mov_b32 v74, v65 :: v_dual_mov_b32 v75, v64
	;; [unrolled: 2-line block ×3, first 2 shown]
	s_wait_loadcnt 0x3
	v_pk_mul_f32 v[76:77], v[58:59], v[46:47] op_sel:[1,1] op_sel_hi:[0,1]
	v_mov_b32_e32 v78, v49
	s_delay_alu instid0(VALU_DEP_2) | instskip(NEXT) | instid1(VALU_DEP_2)
	v_pk_fma_f32 v[82:83], v[58:59], v[46:47], v[76:77] op_sel_hi:[1,0,1]
	v_pk_mul_f32 v[72:73], v[72:73], v[78:79] op_sel_hi:[1,0]
	v_pk_fma_f32 v[46:47], v[58:59], v[46:47], v[76:77] neg_lo:[0,0,1] neg_hi:[0,0,1]
	s_wait_loadcnt 0x2
	v_pk_mul_f32 v[78:79], v[62:63], v[50:51] op_sel:[1,1] op_sel_hi:[0,1]
	v_mov_b32_e32 v82, v53
	v_pk_fma_f32 v[58:59], v[60:61], v[48:49], v[72:73] op_sel_hi:[1,0,1]
	v_mov_b32_e32 v47, v83
	v_pk_fma_f32 v[48:49], v[60:61], v[48:49], v[72:73] neg_lo:[0,0,1] neg_hi:[0,0,1]
	v_pk_fma_f32 v[76:77], v[62:63], v[50:51], v[78:79] op_sel_hi:[1,0,1]
	v_pk_mul_f32 v[74:75], v[74:75], v[82:83] op_sel_hi:[1,0]
	v_mov_b32_e32 v49, v59
	v_pk_add_f32 v[46:47], v[46:47], 0 op_sel_hi:[1,0]
	v_pk_fma_f32 v[50:51], v[62:63], v[50:51], v[78:79] neg_lo:[0,0,1] neg_hi:[0,0,1]
	s_wait_loadcnt 0x1
	v_pk_mul_f32 v[58:59], v[66:67], v[54:55] op_sel:[1,1] op_sel_hi:[0,1]
	v_mov_b32_e32 v51, v77
	v_pk_fma_f32 v[60:61], v[64:65], v[52:53], v[74:75] op_sel_hi:[1,0,1]
	v_pk_add_f32 v[46:47], v[46:47], v[48:49]
	v_mov_b32_e32 v48, v57
	v_pk_fma_f32 v[52:53], v[64:65], v[52:53], v[74:75] neg_lo:[0,0,1] neg_hi:[0,0,1]
	v_pk_fma_f32 v[62:63], v[66:67], v[54:55], v[58:59] op_sel_hi:[1,0,1]
	v_mov_b32_e32 v53, v61
	v_pk_add_f32 v[46:47], v[46:47], v[50:51]
	v_pk_mul_f32 v[48:49], v[80:81], v[48:49] op_sel_hi:[1,0]
	v_pk_fma_f32 v[50:51], v[66:67], v[54:55], v[58:59] neg_lo:[0,0,1] neg_hi:[0,0,1]
	v_mov_b32_e32 v51, v63
	s_delay_alu instid0(VALU_DEP_4) | instskip(NEXT) | instid1(VALU_DEP_4)
	v_pk_add_f32 v[46:47], v[46:47], v[52:53]
	v_pk_fma_f32 v[52:53], v[68:69], v[56:57], v[48:49] op_sel_hi:[1,0,1]
	v_pk_fma_f32 v[48:49], v[68:69], v[56:57], v[48:49] neg_lo:[0,0,1] neg_hi:[0,0,1]
	s_delay_alu instid0(VALU_DEP_3) | instskip(NEXT) | instid1(VALU_DEP_3)
	v_pk_add_f32 v[46:47], v[46:47], v[50:51]
	v_mov_b32_e32 v49, v53
	s_delay_alu instid0(VALU_DEP_1) | instskip(SKIP_1) | instid1(VALU_DEP_1)
	v_pk_add_f32 v[46:47], v[46:47], v[48:49]
	s_wait_loadcnt 0x0
	v_pk_add_f32 v[46:47], v[70:71], v[46:47] neg_lo:[0,1] neg_hi:[0,1]
	scratch_store_b64 off, v[46:47], off offset:120
	s_wait_xcnt 0x0
	v_cmpx_lt_u32_e32 14, v0
	s_cbranch_execz .LBB85_117
; %bb.116:
	scratch_load_b64 v[46:47], off, off offset:112
	v_mov_b64_e32 v[48:49], 0
	scratch_store_b64 off, v[48:49], off offset:112
	s_wait_loadcnt 0x0
	ds_store_b64 v1, v[46:47]
.LBB85_117:
	s_wait_xcnt 0x0
	s_or_b32 exec_lo, exec_lo, s0
	s_wait_storecnt_dscnt 0x0
	s_barrier_signal -1
	s_barrier_wait -1
	s_clause 0x4
	scratch_load_b128 v[46:49], off, off offset:120
	scratch_load_b128 v[50:53], off, off offset:136
	;; [unrolled: 1-line block ×3, first 2 shown]
	scratch_load_b64 v[70:71], off, off offset:168
	scratch_load_b64 v[72:73], off, off offset:112
	v_mov_b32_e32 v7, 0
	ds_load_2addr_b64 v[58:61], v7 offset0:37 offset1:38
	ds_load_2addr_b64 v[62:65], v7 offset0:39 offset1:40
	;; [unrolled: 1-line block ×3, first 2 shown]
	ds_load_b64 v[74:75], v7 offset:344
	s_mov_b32 s0, exec_lo
	s_wait_dscnt 0x3
	v_dual_mov_b32 v76, v61 :: v_dual_mov_b32 v77, v60
	s_wait_dscnt 0x2
	v_dual_mov_b32 v78, v65 :: v_dual_mov_b32 v79, v64
	s_wait_dscnt 0x1
	v_dual_mov_b32 v84, v69 :: v_dual_mov_b32 v85, v68
	s_wait_loadcnt 0x4
	v_pk_mul_f32 v[80:81], v[58:59], v[46:47] op_sel:[1,1] op_sel_hi:[0,1]
	v_mov_b32_e32 v82, v49
	s_wait_loadcnt 0x3
	v_pk_mul_f32 v[86:87], v[62:63], v[50:51] op_sel:[1,1] op_sel_hi:[0,1]
	s_wait_loadcnt 0x2
	v_pk_mul_f32 v[90:91], v[66:67], v[54:55] op_sel:[1,1] op_sel_hi:[0,1]
	v_pk_fma_f32 v[88:89], v[58:59], v[46:47], v[80:81] op_sel_hi:[1,0,1]
	v_pk_mul_f32 v[76:77], v[76:77], v[82:83] op_sel_hi:[1,0]
	v_pk_fma_f32 v[46:47], v[58:59], v[46:47], v[80:81] neg_lo:[0,0,1] neg_hi:[0,0,1]
	v_mov_b32_e32 v82, v53
	v_pk_fma_f32 v[80:81], v[62:63], v[50:51], v[86:87] op_sel_hi:[1,0,1]
	v_mov_b32_e32 v47, v89
	v_pk_fma_f32 v[58:59], v[60:61], v[48:49], v[76:77] op_sel_hi:[1,0,1]
	v_pk_fma_f32 v[48:49], v[60:61], v[48:49], v[76:77] neg_lo:[0,0,1] neg_hi:[0,0,1]
	v_pk_mul_f32 v[78:79], v[78:79], v[82:83] op_sel_hi:[1,0]
	v_pk_fma_f32 v[50:51], v[62:63], v[50:51], v[86:87] neg_lo:[0,0,1] neg_hi:[0,0,1]
	v_pk_add_f32 v[46:47], v[46:47], 0 op_sel_hi:[1,0]
	v_dual_mov_b32 v49, v59 :: v_dual_mov_b32 v58, v57
	s_delay_alu instid0(VALU_DEP_4) | instskip(SKIP_2) | instid1(VALU_DEP_4)
	v_pk_fma_f32 v[60:61], v[64:65], v[52:53], v[78:79] op_sel_hi:[1,0,1]
	v_mov_b32_e32 v51, v81
	v_pk_fma_f32 v[52:53], v[64:65], v[52:53], v[78:79] neg_lo:[0,0,1] neg_hi:[0,0,1]
	v_pk_add_f32 v[46:47], v[46:47], v[48:49]
	v_pk_fma_f32 v[48:49], v[66:67], v[54:55], v[90:91] op_sel_hi:[1,0,1]
	v_pk_mul_f32 v[58:59], v[84:85], v[58:59] op_sel_hi:[1,0]
	v_mov_b32_e32 v53, v61
	s_delay_alu instid0(VALU_DEP_4)
	v_pk_add_f32 v[46:47], v[46:47], v[50:51]
	v_pk_fma_f32 v[50:51], v[66:67], v[54:55], v[90:91] neg_lo:[0,0,1] neg_hi:[0,0,1]
	v_mov_b32_e32 v51, v49
	v_pk_fma_f32 v[48:49], v[68:69], v[56:57], v[58:59] op_sel_hi:[1,0,1]
	v_pk_fma_f32 v[54:55], v[68:69], v[56:57], v[58:59] neg_lo:[0,0,1] neg_hi:[0,0,1]
	v_pk_add_f32 v[46:47], v[46:47], v[52:53]
	s_wait_loadcnt_dscnt 0x100
	v_pk_mul_f32 v[52:53], v[74:75], v[70:71] op_sel:[1,1] op_sel_hi:[0,1]
	v_mov_b32_e32 v55, v49
	s_delay_alu instid0(VALU_DEP_3) | instskip(NEXT) | instid1(VALU_DEP_3)
	v_pk_add_f32 v[46:47], v[46:47], v[50:51]
	v_pk_fma_f32 v[48:49], v[74:75], v[70:71], v[52:53] op_sel_hi:[1,0,1]
	v_pk_fma_f32 v[50:51], v[74:75], v[70:71], v[52:53] neg_lo:[0,0,1] neg_hi:[0,0,1]
	s_delay_alu instid0(VALU_DEP_3) | instskip(NEXT) | instid1(VALU_DEP_3)
	v_pk_add_f32 v[46:47], v[46:47], v[54:55]
	v_mov_b32_e32 v51, v49
	s_delay_alu instid0(VALU_DEP_1) | instskip(SKIP_1) | instid1(VALU_DEP_1)
	v_pk_add_f32 v[46:47], v[46:47], v[50:51]
	s_wait_loadcnt 0x0
	v_pk_add_f32 v[46:47], v[72:73], v[46:47] neg_lo:[0,1] neg_hi:[0,1]
	scratch_store_b64 off, v[46:47], off offset:112
	s_wait_xcnt 0x0
	v_cmpx_lt_u32_e32 13, v0
	s_cbranch_execz .LBB85_119
; %bb.118:
	scratch_load_b64 v[46:47], off, off offset:104
	v_mov_b64_e32 v[48:49], 0
	scratch_store_b64 off, v[48:49], off offset:104
	s_wait_loadcnt 0x0
	ds_store_b64 v1, v[46:47]
.LBB85_119:
	s_wait_xcnt 0x0
	s_or_b32 exec_lo, exec_lo, s0
	s_wait_storecnt_dscnt 0x0
	s_barrier_signal -1
	s_barrier_wait -1
	s_clause 0x4
	scratch_load_b128 v[46:49], off, off offset:112
	scratch_load_b128 v[50:53], off, off offset:128
	;; [unrolled: 1-line block ×4, first 2 shown]
	scratch_load_b64 v[78:79], off, off offset:104
	ds_load_b128 v[62:65], v7 offset:288
	ds_load_b128 v[66:69], v7 offset:304
	;; [unrolled: 1-line block ×4, first 2 shown]
	s_mov_b32 s0, exec_lo
	s_wait_dscnt 0x3
	v_dual_mov_b32 v80, v65 :: v_dual_mov_b32 v81, v64
	s_wait_dscnt 0x2
	v_dual_mov_b32 v82, v69 :: v_dual_mov_b32 v83, v68
	;; [unrolled: 2-line block ×3, first 2 shown]
	v_dual_mov_b32 v85, v72 :: v_dual_mov_b32 v90, v77
	s_wait_loadcnt 0x4
	v_mov_b32_e32 v88, v49
	v_pk_mul_f32 v[86:87], v[62:63], v[46:47] op_sel:[1,1] op_sel_hi:[0,1]
	s_wait_loadcnt 0x3
	v_pk_mul_f32 v[92:93], v[66:67], v[50:51] op_sel:[1,1] op_sel_hi:[0,1]
	s_wait_loadcnt 0x2
	v_pk_mul_f32 v[96:97], v[70:71], v[54:55] op_sel:[1,1] op_sel_hi:[0,1]
	v_pk_mul_f32 v[80:81], v[80:81], v[88:89] op_sel_hi:[1,0]
	v_pk_fma_f32 v[94:95], v[62:63], v[46:47], v[86:87] op_sel_hi:[1,0,1]
	v_pk_fma_f32 v[46:47], v[62:63], v[46:47], v[86:87] neg_lo:[0,0,1] neg_hi:[0,0,1]
	v_mov_b32_e32 v88, v53
	v_pk_fma_f32 v[86:87], v[66:67], v[50:51], v[92:93] op_sel_hi:[1,0,1]
	v_pk_fma_f32 v[62:63], v[64:65], v[48:49], v[80:81] op_sel_hi:[1,0,1]
	v_mov_b32_e32 v47, v95
	v_pk_fma_f32 v[48:49], v[64:65], v[48:49], v[80:81] neg_lo:[0,0,1] neg_hi:[0,0,1]
	v_pk_mul_f32 v[82:83], v[82:83], v[88:89] op_sel_hi:[1,0]
	s_delay_alu instid0(VALU_DEP_4) | instskip(NEXT) | instid1(VALU_DEP_4)
	v_dual_mov_b32 v62, v57 :: v_dual_mov_b32 v49, v63
	v_pk_add_f32 v[46:47], v[46:47], 0 op_sel_hi:[1,0]
	v_pk_fma_f32 v[50:51], v[66:67], v[50:51], v[92:93] neg_lo:[0,0,1] neg_hi:[0,0,1]
	v_mov_b32_e32 v51, v87
	v_pk_fma_f32 v[64:65], v[68:69], v[52:53], v[82:83] op_sel_hi:[1,0,1]
	v_pk_mul_f32 v[62:63], v[84:85], v[62:63] op_sel_hi:[1,0]
	v_pk_add_f32 v[46:47], v[46:47], v[48:49]
	v_pk_fma_f32 v[48:49], v[70:71], v[54:55], v[96:97] op_sel_hi:[1,0,1]
	v_pk_fma_f32 v[52:53], v[68:69], v[52:53], v[82:83] neg_lo:[0,0,1] neg_hi:[0,0,1]
	v_mov_b32_e32 v53, v65
	v_pk_fma_f32 v[54:55], v[70:71], v[54:55], v[96:97] neg_lo:[0,0,1] neg_hi:[0,0,1]
	v_pk_add_f32 v[46:47], v[46:47], v[50:51]
	v_mov_b32_e32 v55, v49
	v_pk_fma_f32 v[48:49], v[72:73], v[56:57], v[62:63] op_sel_hi:[1,0,1]
	s_wait_loadcnt 0x1
	v_pk_mul_f32 v[50:51], v[74:75], v[58:59] op_sel:[1,1] op_sel_hi:[0,1]
	v_mov_b32_e32 v48, v61
	v_pk_add_f32 v[46:47], v[46:47], v[52:53]
	v_pk_fma_f32 v[56:57], v[72:73], v[56:57], v[62:63] neg_lo:[0,0,1] neg_hi:[0,0,1]
	v_mov_b32_e32 v57, v49
	v_pk_fma_f32 v[52:53], v[74:75], v[58:59], v[50:51] op_sel_hi:[1,0,1]
	v_pk_mul_f32 v[48:49], v[90:91], v[48:49] op_sel_hi:[1,0]
	v_pk_add_f32 v[46:47], v[46:47], v[54:55]
	v_pk_fma_f32 v[50:51], v[74:75], v[58:59], v[50:51] neg_lo:[0,0,1] neg_hi:[0,0,1]
	s_delay_alu instid0(VALU_DEP_4) | instskip(NEXT) | instid1(VALU_DEP_4)
	v_mov_b32_e32 v51, v53
	v_pk_fma_f32 v[52:53], v[76:77], v[60:61], v[48:49] op_sel_hi:[1,0,1]
	s_delay_alu instid0(VALU_DEP_4) | instskip(SKIP_1) | instid1(VALU_DEP_3)
	v_pk_add_f32 v[46:47], v[46:47], v[56:57]
	v_pk_fma_f32 v[48:49], v[76:77], v[60:61], v[48:49] neg_lo:[0,0,1] neg_hi:[0,0,1]
	v_mov_b32_e32 v49, v53
	s_delay_alu instid0(VALU_DEP_3) | instskip(NEXT) | instid1(VALU_DEP_1)
	v_pk_add_f32 v[46:47], v[46:47], v[50:51]
	v_pk_add_f32 v[46:47], v[46:47], v[48:49]
	s_wait_loadcnt 0x0
	s_delay_alu instid0(VALU_DEP_1)
	v_pk_add_f32 v[46:47], v[78:79], v[46:47] neg_lo:[0,1] neg_hi:[0,1]
	scratch_store_b64 off, v[46:47], off offset:104
	s_wait_xcnt 0x0
	v_cmpx_lt_u32_e32 12, v0
	s_cbranch_execz .LBB85_121
; %bb.120:
	scratch_load_b64 v[46:47], off, off offset:96
	v_mov_b64_e32 v[48:49], 0
	scratch_store_b64 off, v[48:49], off offset:96
	s_wait_loadcnt 0x0
	ds_store_b64 v1, v[46:47]
.LBB85_121:
	s_wait_xcnt 0x0
	s_or_b32 exec_lo, exec_lo, s0
	s_wait_storecnt_dscnt 0x0
	s_barrier_signal -1
	s_barrier_wait -1
	s_clause 0x5
	scratch_load_b128 v[46:49], off, off offset:104
	scratch_load_b128 v[50:53], off, off offset:120
	;; [unrolled: 1-line block ×4, first 2 shown]
	scratch_load_b64 v[78:79], off, off offset:168
	scratch_load_b64 v[80:81], off, off offset:96
	v_mov_b32_e32 v7, 0
	ds_load_2addr_b64 v[62:65], v7 offset0:35 offset1:36
	ds_load_2addr_b64 v[66:69], v7 offset0:37 offset1:38
	;; [unrolled: 1-line block ×4, first 2 shown]
	ds_load_b64 v[82:83], v7 offset:344
	s_mov_b32 s0, exec_lo
	s_wait_dscnt 0x4
	v_dual_mov_b32 v84, v65 :: v_dual_mov_b32 v85, v64
	s_wait_dscnt 0x1
	v_dual_mov_b32 v86, v69 :: v_dual_mov_b32 v91, v76
	v_dual_mov_b32 v87, v68 :: v_dual_mov_b32 v88, v73
	;; [unrolled: 1-line block ×3, first 2 shown]
	s_wait_loadcnt 0x5
	v_dual_mov_b32 v92, v49 :: v_dual_mul_f32 v93, v62, v47
	v_mul_f32_e32 v9, v63, v47
	s_wait_loadcnt 0x4
	v_pk_mul_f32 v[94:95], v[66:67], v[50:51] op_sel:[1,1] op_sel_hi:[0,1]
	v_mov_b32_e32 v96, v53
	s_wait_loadcnt 0x3
	v_pk_mul_f32 v[98:99], v[70:71], v[54:55] op_sel:[1,1] op_sel_hi:[0,1]
	v_pk_mul_f32 v[84:85], v[84:85], v[92:93] op_sel_hi:[1,0]
	v_fmac_f32_e32 v93, v63, v46
	v_dual_fma_f32 v92, v62, v46, -v9 :: v_dual_mov_b32 v46, v57
	v_pk_fma_f32 v[100:101], v[66:67], v[50:51], v[94:95] op_sel_hi:[1,0,1]
	s_delay_alu instid0(VALU_DEP_4)
	v_pk_fma_f32 v[62:63], v[64:65], v[48:49], v[84:85] op_sel_hi:[1,0,1]
	v_pk_fma_f32 v[48:49], v[64:65], v[48:49], v[84:85] neg_lo:[0,0,1] neg_hi:[0,0,1]
	v_pk_mul_f32 v[86:87], v[86:87], v[96:97] op_sel_hi:[1,0]
	v_pk_add_f32 v[92:93], v[92:93], 0 op_sel_hi:[1,0]
	v_pk_fma_f32 v[50:51], v[66:67], v[50:51], v[94:95] neg_lo:[0,0,1] neg_hi:[0,0,1]
	v_dual_mov_b32 v49, v63 :: v_dual_mov_b32 v51, v101
	s_delay_alu instid0(VALU_DEP_4) | instskip(SKIP_2) | instid1(VALU_DEP_4)
	v_pk_fma_f32 v[64:65], v[68:69], v[52:53], v[86:87] op_sel_hi:[1,0,1]
	v_pk_fma_f32 v[52:53], v[68:69], v[52:53], v[86:87] neg_lo:[0,0,1] neg_hi:[0,0,1]
	v_pk_fma_f32 v[66:67], v[70:71], v[54:55], v[98:99] op_sel_hi:[1,0,1]
	v_pk_add_f32 v[48:49], v[92:93], v[48:49]
	v_pk_mul_f32 v[46:47], v[88:89], v[46:47] op_sel_hi:[1,0]
	v_mov_b32_e32 v53, v65
	v_pk_fma_f32 v[54:55], v[70:71], v[54:55], v[98:99] neg_lo:[0,0,1] neg_hi:[0,0,1]
	s_wait_loadcnt 0x2
	v_pk_mul_f32 v[62:63], v[74:75], v[58:59] op_sel:[1,1] op_sel_hi:[0,1]
	v_pk_add_f32 v[48:49], v[48:49], v[50:51]
	v_mov_b32_e32 v50, v61
	v_pk_fma_f32 v[64:65], v[72:73], v[56:57], v[46:47] op_sel_hi:[1,0,1]
	v_mov_b32_e32 v55, v67
	v_pk_fma_f32 v[46:47], v[72:73], v[56:57], v[46:47] neg_lo:[0,0,1] neg_hi:[0,0,1]
	v_pk_add_f32 v[48:49], v[48:49], v[52:53]
	v_pk_fma_f32 v[52:53], v[74:75], v[58:59], v[62:63] op_sel_hi:[1,0,1]
	v_pk_mul_f32 v[50:51], v[90:91], v[50:51] op_sel_hi:[1,0]
	v_mov_b32_e32 v47, v65
	s_delay_alu instid0(VALU_DEP_4)
	v_pk_add_f32 v[48:49], v[48:49], v[54:55]
	v_pk_fma_f32 v[54:55], v[74:75], v[58:59], v[62:63] neg_lo:[0,0,1] neg_hi:[0,0,1]
	v_mov_b32_e32 v55, v53
	v_pk_fma_f32 v[52:53], v[76:77], v[60:61], v[50:51] op_sel_hi:[1,0,1]
	v_pk_fma_f32 v[50:51], v[76:77], v[60:61], v[50:51] neg_lo:[0,0,1] neg_hi:[0,0,1]
	v_pk_add_f32 v[46:47], v[48:49], v[46:47]
	s_wait_loadcnt_dscnt 0x100
	v_pk_mul_f32 v[48:49], v[82:83], v[78:79] op_sel:[1,1] op_sel_hi:[0,1]
	v_mov_b32_e32 v51, v53
	s_delay_alu instid0(VALU_DEP_3) | instskip(NEXT) | instid1(VALU_DEP_3)
	v_pk_add_f32 v[46:47], v[46:47], v[54:55]
	v_pk_fma_f32 v[52:53], v[82:83], v[78:79], v[48:49] op_sel_hi:[1,0,1]
	v_pk_fma_f32 v[48:49], v[82:83], v[78:79], v[48:49] neg_lo:[0,0,1] neg_hi:[0,0,1]
	s_delay_alu instid0(VALU_DEP_3) | instskip(NEXT) | instid1(VALU_DEP_3)
	v_pk_add_f32 v[46:47], v[46:47], v[50:51]
	v_mov_b32_e32 v49, v53
	s_delay_alu instid0(VALU_DEP_1) | instskip(SKIP_1) | instid1(VALU_DEP_1)
	v_pk_add_f32 v[46:47], v[46:47], v[48:49]
	s_wait_loadcnt 0x0
	v_pk_add_f32 v[46:47], v[80:81], v[46:47] neg_lo:[0,1] neg_hi:[0,1]
	scratch_store_b64 off, v[46:47], off offset:96
	s_wait_xcnt 0x0
	v_cmpx_lt_u32_e32 11, v0
	s_cbranch_execz .LBB85_123
; %bb.122:
	scratch_load_b64 v[46:47], off, off offset:88
	v_mov_b64_e32 v[48:49], 0
	scratch_store_b64 off, v[48:49], off offset:88
	s_wait_loadcnt 0x0
	ds_store_b64 v1, v[46:47]
.LBB85_123:
	s_wait_xcnt 0x0
	s_or_b32 exec_lo, exec_lo, s0
	s_wait_storecnt_dscnt 0x0
	s_barrier_signal -1
	s_barrier_wait -1
	s_clause 0x5
	scratch_load_b128 v[46:49], off, off offset:96
	scratch_load_b128 v[50:53], off, off offset:112
	;; [unrolled: 1-line block ×5, first 2 shown]
	scratch_load_b64 v[86:87], off, off offset:88
	ds_load_b128 v[66:69], v7 offset:288
	ds_load_b128 v[70:73], v7 offset:304
	;; [unrolled: 1-line block ×5, first 2 shown]
	s_mov_b32 s0, exec_lo
	s_wait_dscnt 0x4
	v_dual_mov_b32 v88, v69 :: v_dual_mov_b32 v89, v68
	s_wait_dscnt 0x3
	v_dual_mov_b32 v90, v73 :: v_dual_mov_b32 v91, v72
	;; [unrolled: 2-line block ×4, first 2 shown]
	s_wait_loadcnt_dscnt 0x500
	v_dual_mul_f32 v97, v82, v47 :: v_dual_mul_f32 v99, v84, v49
	v_dual_mul_f32 v7, v83, v47 :: v_dual_mul_f32 v9, v85, v49
	s_wait_loadcnt 0x4
	v_pk_mul_f32 v[100:101], v[66:67], v[50:51] op_sel:[1,1] op_sel_hi:[0,1]
	s_wait_loadcnt 0x3
	v_dual_mov_b32 v102, v53 :: v_dual_mov_b32 v106, v57
	v_dual_fmac_f32 v97, v83, v46 :: v_dual_fma_f32 v96, v82, v46, -v7
	v_dual_fmac_f32 v99, v85, v48 :: v_dual_fma_f32 v98, v84, v48, -v9
	v_pk_fma_f32 v[46:47], v[66:67], v[50:51], v[100:101] op_sel_hi:[1,0,1]
	s_delay_alu instid0(VALU_DEP_4) | instskip(NEXT) | instid1(VALU_DEP_4)
	v_pk_mul_f32 v[48:49], v[88:89], v[102:103] op_sel_hi:[1,0]
	v_pk_add_f32 v[82:83], v[96:97], 0 op_sel_hi:[1,0]
	v_pk_fma_f32 v[50:51], v[66:67], v[50:51], v[100:101] neg_lo:[0,0,1] neg_hi:[0,0,1]
	v_pk_mul_f32 v[104:105], v[70:71], v[54:55] op_sel:[1,1] op_sel_hi:[0,1]
	v_mov_b32_e32 v51, v47
	v_pk_fma_f32 v[46:47], v[68:69], v[52:53], v[48:49] op_sel_hi:[1,0,1]
	v_pk_add_f32 v[66:67], v[82:83], v[98:99]
	v_pk_fma_f32 v[48:49], v[68:69], v[52:53], v[48:49] neg_lo:[0,0,1] neg_hi:[0,0,1]
	v_pk_fma_f32 v[82:83], v[70:71], v[54:55], v[104:105] op_sel_hi:[1,0,1]
	v_pk_mul_f32 v[88:89], v[90:91], v[106:107] op_sel_hi:[1,0]
	v_mov_b32_e32 v49, v47
	v_pk_add_f32 v[46:47], v[66:67], v[50:51]
	s_wait_loadcnt 0x2
	v_pk_mul_f32 v[84:85], v[74:75], v[58:59] op_sel:[1,1] op_sel_hi:[0,1]
	v_mov_b32_e32 v50, v61
	v_pk_fma_f32 v[52:53], v[70:71], v[54:55], v[104:105] neg_lo:[0,0,1] neg_hi:[0,0,1]
	v_mov_b32_e32 v53, v83
	v_pk_fma_f32 v[54:55], v[72:73], v[56:57], v[88:89] op_sel_hi:[1,0,1]
	v_pk_add_f32 v[46:47], v[46:47], v[48:49]
	v_pk_fma_f32 v[48:49], v[74:75], v[58:59], v[84:85] op_sel_hi:[1,0,1]
	v_pk_mul_f32 v[50:51], v[92:93], v[50:51] op_sel_hi:[1,0]
	v_pk_fma_f32 v[56:57], v[72:73], v[56:57], v[88:89] neg_lo:[0,0,1] neg_hi:[0,0,1]
	v_mov_b32_e32 v57, v55
	v_pk_add_f32 v[46:47], v[46:47], v[52:53]
	v_pk_fma_f32 v[54:55], v[74:75], v[58:59], v[84:85] neg_lo:[0,0,1] neg_hi:[0,0,1]
	v_mov_b32_e32 v55, v49
	v_pk_fma_f32 v[48:49], v[76:77], v[60:61], v[50:51] op_sel_hi:[1,0,1]
	s_wait_loadcnt 0x1
	v_pk_mul_f32 v[52:53], v[78:79], v[62:63] op_sel:[1,1] op_sel_hi:[0,1]
	v_pk_add_f32 v[46:47], v[46:47], v[56:57]
	v_mov_b32_e32 v48, v65
	v_pk_fma_f32 v[50:51], v[76:77], v[60:61], v[50:51] neg_lo:[0,0,1] neg_hi:[0,0,1]
	v_mov_b32_e32 v51, v49
	v_pk_fma_f32 v[56:57], v[78:79], v[62:63], v[52:53] op_sel_hi:[1,0,1]
	v_pk_add_f32 v[46:47], v[46:47], v[54:55]
	v_pk_mul_f32 v[48:49], v[94:95], v[48:49] op_sel_hi:[1,0]
	v_pk_fma_f32 v[52:53], v[78:79], v[62:63], v[52:53] neg_lo:[0,0,1] neg_hi:[0,0,1]
	s_delay_alu instid0(VALU_DEP_3) | instskip(NEXT) | instid1(VALU_DEP_3)
	v_pk_add_f32 v[46:47], v[46:47], v[50:51]
	v_pk_fma_f32 v[50:51], v[80:81], v[64:65], v[48:49] op_sel_hi:[1,0,1]
	v_mov_b32_e32 v53, v57
	v_pk_fma_f32 v[48:49], v[80:81], v[64:65], v[48:49] neg_lo:[0,0,1] neg_hi:[0,0,1]
	s_delay_alu instid0(VALU_DEP_3) | instskip(NEXT) | instid1(VALU_DEP_3)
	v_mov_b32_e32 v49, v51
	v_pk_add_f32 v[46:47], v[46:47], v[52:53]
	s_delay_alu instid0(VALU_DEP_1) | instskip(SKIP_1) | instid1(VALU_DEP_1)
	v_pk_add_f32 v[46:47], v[46:47], v[48:49]
	s_wait_loadcnt 0x0
	v_pk_add_f32 v[46:47], v[86:87], v[46:47] neg_lo:[0,1] neg_hi:[0,1]
	scratch_store_b64 off, v[46:47], off offset:88
	s_wait_xcnt 0x0
	v_cmpx_lt_u32_e32 10, v0
	s_cbranch_execz .LBB85_125
; %bb.124:
	scratch_load_b64 v[46:47], off, off offset:80
	v_mov_b64_e32 v[48:49], 0
	scratch_store_b64 off, v[48:49], off offset:80
	s_wait_loadcnt 0x0
	ds_store_b64 v1, v[46:47]
.LBB85_125:
	s_wait_xcnt 0x0
	s_or_b32 exec_lo, exec_lo, s0
	s_wait_storecnt_dscnt 0x0
	s_barrier_signal -1
	s_barrier_wait -1
	s_clause 0x6
	scratch_load_b128 v[46:49], off, off offset:88
	scratch_load_b128 v[50:53], off, off offset:104
	;; [unrolled: 1-line block ×5, first 2 shown]
	scratch_load_b64 v[86:87], off, off offset:168
	scratch_load_b64 v[88:89], off, off offset:80
	v_mov_b32_e32 v7, 0
	ds_load_2addr_b64 v[66:69], v7 offset0:35 offset1:36
	ds_load_2addr_b64 v[70:73], v7 offset0:37 offset1:38
	;; [unrolled: 1-line block ×5, first 2 shown]
	ds_load_b64 v[90:91], v7 offset:344
	s_mov_b32 s0, exec_lo
	s_wait_dscnt 0x5
	v_dual_mov_b32 v92, v69 :: v_dual_mov_b32 v93, v68
	s_wait_dscnt 0x2
	v_dual_mov_b32 v94, v73 :: v_dual_mov_b32 v99, v80
	v_dual_mov_b32 v95, v72 :: v_dual_mov_b32 v96, v77
	;; [unrolled: 1-line block ×3, first 2 shown]
	s_wait_loadcnt_dscnt 0x601
	v_dual_mul_f32 v9, v82, v47 :: v_dual_mul_f32 v11, v83, v47
	v_dual_mul_f32 v13, v85, v49 :: v_dual_mul_f32 v101, v84, v49
	s_wait_loadcnt 0x5
	v_dual_mul_f32 v103, v66, v51 :: v_dual_mul_f32 v15, v67, v51
	s_wait_loadcnt 0x4
	v_dual_mov_b32 v102, v53 :: v_dual_mov_b32 v106, v57
	v_dual_fmac_f32 v9, v83, v46 :: v_dual_fma_f32 v11, v82, v46, -v11
	v_fmac_f32_e32 v101, v85, v48
	v_pk_mul_f32 v[104:105], v[70:71], v[54:55] op_sel:[1,1] op_sel_hi:[0,1]
	s_delay_alu instid0(VALU_DEP_3)
	v_dual_fma_f32 v100, v84, v48, -v13 :: v_dual_add_f32 v49, 0, v9
	v_pk_mul_f32 v[46:47], v[92:93], v[102:103] op_sel_hi:[1,0]
	s_wait_loadcnt 0x3
	v_dual_add_f32 v48, 0, v11 :: v_dual_mov_b32 v82, v61
	v_fmac_f32_e32 v103, v67, v50
	v_fma_f32 v102, v66, v50, -v15
	v_pk_fma_f32 v[50:51], v[68:69], v[52:53], v[46:47] op_sel_hi:[1,0,1]
	s_delay_alu instid0(VALU_DEP_4) | instskip(SKIP_4) | instid1(VALU_DEP_4)
	v_pk_add_f32 v[48:49], v[48:49], v[100:101]
	v_pk_fma_f32 v[66:67], v[70:71], v[54:55], v[104:105] op_sel_hi:[1,0,1]
	v_pk_fma_f32 v[46:47], v[68:69], v[52:53], v[46:47] neg_lo:[0,0,1] neg_hi:[0,0,1]
	v_pk_fma_f32 v[52:53], v[70:71], v[54:55], v[104:105] neg_lo:[0,0,1] neg_hi:[0,0,1]
	v_pk_mul_f32 v[84:85], v[94:95], v[106:107] op_sel_hi:[1,0]
	v_dual_mov_b32 v47, v51 :: v_dual_mov_b32 v53, v67
	v_pk_add_f32 v[48:49], v[48:49], v[102:103]
	v_pk_mul_f32 v[108:109], v[74:75], v[58:59] op_sel:[1,1] op_sel_hi:[0,1]
	s_delay_alu instid0(VALU_DEP_4)
	v_pk_fma_f32 v[54:55], v[72:73], v[56:57], v[84:85] op_sel_hi:[1,0,1]
	v_pk_fma_f32 v[56:57], v[72:73], v[56:57], v[84:85] neg_lo:[0,0,1] neg_hi:[0,0,1]
	v_pk_mul_f32 v[66:67], v[96:97], v[82:83] op_sel_hi:[1,0]
	v_pk_add_f32 v[46:47], v[48:49], v[46:47]
	v_pk_fma_f32 v[48:49], v[74:75], v[58:59], v[108:109] op_sel_hi:[1,0,1]
	s_wait_loadcnt 0x2
	v_dual_mov_b32 v57, v55 :: v_dual_mov_b32 v48, v65
	v_pk_mul_f32 v[50:51], v[78:79], v[62:63] op_sel:[1,1] op_sel_hi:[0,1]
	v_pk_add_f32 v[46:47], v[46:47], v[52:53]
	v_pk_fma_f32 v[52:53], v[74:75], v[58:59], v[108:109] neg_lo:[0,0,1] neg_hi:[0,0,1]
	v_pk_fma_f32 v[54:55], v[76:77], v[60:61], v[66:67] op_sel_hi:[1,0,1]
	v_mov_b32_e32 v53, v49
	v_pk_fma_f32 v[58:59], v[76:77], v[60:61], v[66:67] neg_lo:[0,0,1] neg_hi:[0,0,1]
	v_pk_add_f32 v[46:47], v[46:47], v[56:57]
	v_pk_fma_f32 v[56:57], v[78:79], v[62:63], v[50:51] op_sel_hi:[1,0,1]
	v_pk_mul_f32 v[48:49], v[98:99], v[48:49] op_sel_hi:[1,0]
	v_mov_b32_e32 v59, v55
	v_pk_fma_f32 v[50:51], v[78:79], v[62:63], v[50:51] neg_lo:[0,0,1] neg_hi:[0,0,1]
	v_pk_add_f32 v[46:47], v[46:47], v[52:53]
	s_wait_loadcnt_dscnt 0x100
	v_pk_mul_f32 v[54:55], v[90:91], v[86:87] op_sel:[1,1] op_sel_hi:[0,1]
	v_pk_fma_f32 v[52:53], v[80:81], v[64:65], v[48:49] op_sel_hi:[1,0,1]
	v_mov_b32_e32 v51, v57
	v_pk_fma_f32 v[48:49], v[80:81], v[64:65], v[48:49] neg_lo:[0,0,1] neg_hi:[0,0,1]
	v_pk_add_f32 v[46:47], v[46:47], v[58:59]
	s_delay_alu instid0(VALU_DEP_4) | instskip(SKIP_1) | instid1(VALU_DEP_3)
	v_mov_b32_e32 v49, v53
	v_pk_fma_f32 v[52:53], v[90:91], v[86:87], v[54:55] neg_lo:[0,0,1] neg_hi:[0,0,1]
	v_pk_add_f32 v[46:47], v[46:47], v[50:51]
	v_pk_fma_f32 v[50:51], v[90:91], v[86:87], v[54:55] op_sel_hi:[1,0,1]
	s_delay_alu instid0(VALU_DEP_2) | instskip(NEXT) | instid1(VALU_DEP_2)
	v_pk_add_f32 v[46:47], v[46:47], v[48:49]
	v_mov_b32_e32 v53, v51
	s_delay_alu instid0(VALU_DEP_1) | instskip(SKIP_1) | instid1(VALU_DEP_1)
	v_pk_add_f32 v[46:47], v[46:47], v[52:53]
	s_wait_loadcnt 0x0
	v_pk_add_f32 v[46:47], v[88:89], v[46:47] neg_lo:[0,1] neg_hi:[0,1]
	scratch_store_b64 off, v[46:47], off offset:80
	s_wait_xcnt 0x0
	v_cmpx_lt_u32_e32 9, v0
	s_cbranch_execz .LBB85_127
; %bb.126:
	scratch_load_b64 v[46:47], off, off offset:72
	v_mov_b64_e32 v[48:49], 0
	scratch_store_b64 off, v[48:49], off offset:72
	s_wait_loadcnt 0x0
	ds_store_b64 v1, v[46:47]
.LBB85_127:
	s_wait_xcnt 0x0
	s_or_b32 exec_lo, exec_lo, s0
	s_wait_storecnt_dscnt 0x0
	s_barrier_signal -1
	s_barrier_wait -1
	s_clause 0x6
	scratch_load_b128 v[46:49], off, off offset:80
	scratch_load_b128 v[50:53], off, off offset:96
	;; [unrolled: 1-line block ×6, first 2 shown]
	scratch_load_b64 v[94:95], off, off offset:72
	ds_load_b128 v[70:73], v7 offset:288
	ds_load_b128 v[74:77], v7 offset:304
	;; [unrolled: 1-line block ×6, first 2 shown]
	s_mov_b32 s0, exec_lo
	s_wait_dscnt 0x5
	v_dual_mov_b32 v96, v73 :: v_dual_mov_b32 v97, v72
	s_wait_dscnt 0x4
	v_dual_mov_b32 v98, v77 :: v_dual_mov_b32 v99, v76
	;; [unrolled: 2-line block ×4, first 2 shown]
	s_wait_loadcnt_dscnt 0x601
	v_dual_mul_f32 v7, v86, v47 :: v_dual_mul_f32 v9, v88, v49
	v_dual_mul_f32 v11, v87, v47 :: v_dual_mul_f32 v13, v89, v49
	s_wait_loadcnt 0x4
	s_delay_alu instid0(VALU_DEP_2)
	v_dual_mov_b32 v110, v57 :: v_dual_fmac_f32 v7, v87, v46
	s_wait_dscnt 0x0
	v_dual_mul_f32 v105, v90, v51 :: v_dual_mul_f32 v107, v92, v53
	v_dual_fma_f32 v11, v86, v46, -v11 :: v_dual_fmac_f32 v9, v89, v48
	v_dual_mul_f32 v15, v91, v51 :: v_dual_mul_f32 v17, v93, v53
	v_dual_fma_f32 v13, v88, v48, -v13 :: v_dual_add_f32 v7, 0, v7
	s_wait_loadcnt 0x3
	s_delay_alu instid0(VALU_DEP_3) | instskip(SKIP_3) | instid1(VALU_DEP_4)
	v_dual_add_f32 v11, 0, v11 :: v_dual_mov_b32 v48, v61
	v_pk_mul_f32 v[108:109], v[70:71], v[54:55] op_sel:[1,1] op_sel_hi:[0,1]
	v_dual_fmac_f32 v105, v91, v50 :: v_dual_fma_f32 v104, v90, v50, -v15
	v_dual_add_f32 v51, v7, v9 :: v_dual_fmac_f32 v107, v93, v52
	v_dual_add_f32 v50, v11, v13 :: v_dual_fma_f32 v106, v92, v52, -v17
	s_delay_alu instid0(VALU_DEP_4) | instskip(SKIP_2) | instid1(VALU_DEP_4)
	v_pk_fma_f32 v[52:53], v[70:71], v[54:55], v[108:109] op_sel_hi:[1,0,1]
	v_pk_mul_f32 v[86:87], v[96:97], v[110:111] op_sel_hi:[1,0]
	v_pk_fma_f32 v[54:55], v[70:71], v[54:55], v[108:109] neg_lo:[0,0,1] neg_hi:[0,0,1]
	v_pk_add_f32 v[50:51], v[50:51], v[104:105]
	v_pk_mul_f32 v[46:47], v[74:75], v[58:59] op_sel:[1,1] op_sel_hi:[0,1]
	v_mov_b32_e32 v55, v53
	v_pk_fma_f32 v[52:53], v[72:73], v[56:57], v[86:87] op_sel_hi:[1,0,1]
	v_pk_fma_f32 v[56:57], v[72:73], v[56:57], v[86:87] neg_lo:[0,0,1] neg_hi:[0,0,1]
	v_pk_add_f32 v[50:51], v[50:51], v[106:107]
	v_pk_fma_f32 v[70:71], v[74:75], v[58:59], v[46:47] op_sel_hi:[1,0,1]
	v_pk_mul_f32 v[48:49], v[98:99], v[48:49] op_sel_hi:[1,0]
	v_mov_b32_e32 v57, v53
	v_pk_fma_f32 v[46:47], v[74:75], v[58:59], v[46:47] neg_lo:[0,0,1] neg_hi:[0,0,1]
	v_pk_add_f32 v[50:51], v[50:51], v[54:55]
	s_wait_loadcnt 0x2
	v_pk_mul_f32 v[88:89], v[78:79], v[62:63] op_sel:[1,1] op_sel_hi:[0,1]
	v_dual_mov_b32 v52, v65 :: v_dual_mov_b32 v47, v71
	v_pk_fma_f32 v[54:55], v[76:77], v[60:61], v[48:49] op_sel_hi:[1,0,1]
	v_pk_add_f32 v[50:51], v[50:51], v[56:57]
	v_pk_fma_f32 v[48:49], v[76:77], v[60:61], v[48:49] neg_lo:[0,0,1] neg_hi:[0,0,1]
	v_pk_fma_f32 v[56:57], v[78:79], v[62:63], v[88:89] op_sel_hi:[1,0,1]
	v_pk_mul_f32 v[52:53], v[100:101], v[52:53] op_sel_hi:[1,0]
	v_mov_b32_e32 v49, v55
	v_pk_add_f32 v[46:47], v[50:51], v[46:47]
	v_pk_fma_f32 v[54:55], v[78:79], v[62:63], v[88:89] neg_lo:[0,0,1] neg_hi:[0,0,1]
	s_wait_loadcnt 0x1
	v_pk_mul_f32 v[50:51], v[82:83], v[66:67] op_sel:[1,1] op_sel_hi:[0,1]
	v_mov_b32_e32 v55, v57
	v_pk_fma_f32 v[56:57], v[80:81], v[64:65], v[52:53] op_sel_hi:[1,0,1]
	v_pk_add_f32 v[46:47], v[46:47], v[48:49]
	v_mov_b32_e32 v48, v69
	v_pk_fma_f32 v[52:53], v[80:81], v[64:65], v[52:53] neg_lo:[0,0,1] neg_hi:[0,0,1]
	v_pk_fma_f32 v[58:59], v[82:83], v[66:67], v[50:51] op_sel_hi:[1,0,1]
	v_mov_b32_e32 v53, v57
	v_pk_add_f32 v[46:47], v[46:47], v[54:55]
	v_pk_mul_f32 v[48:49], v[102:103], v[48:49] op_sel_hi:[1,0]
	v_pk_fma_f32 v[50:51], v[82:83], v[66:67], v[50:51] neg_lo:[0,0,1] neg_hi:[0,0,1]
	s_delay_alu instid0(VALU_DEP_3) | instskip(NEXT) | instid1(VALU_DEP_3)
	v_pk_add_f32 v[46:47], v[46:47], v[52:53]
	v_pk_fma_f32 v[52:53], v[84:85], v[68:69], v[48:49] op_sel_hi:[1,0,1]
	v_mov_b32_e32 v51, v59
	v_pk_fma_f32 v[48:49], v[84:85], v[68:69], v[48:49] neg_lo:[0,0,1] neg_hi:[0,0,1]
	s_delay_alu instid0(VALU_DEP_3) | instskip(NEXT) | instid1(VALU_DEP_3)
	v_mov_b32_e32 v49, v53
	v_pk_add_f32 v[46:47], v[46:47], v[50:51]
	s_delay_alu instid0(VALU_DEP_1) | instskip(SKIP_1) | instid1(VALU_DEP_1)
	v_pk_add_f32 v[46:47], v[46:47], v[48:49]
	s_wait_loadcnt 0x0
	v_pk_add_f32 v[46:47], v[94:95], v[46:47] neg_lo:[0,1] neg_hi:[0,1]
	scratch_store_b64 off, v[46:47], off offset:72
	s_wait_xcnt 0x0
	v_cmpx_lt_u32_e32 8, v0
	s_cbranch_execz .LBB85_129
; %bb.128:
	scratch_load_b64 v[46:47], off, off offset:64
	v_mov_b64_e32 v[48:49], 0
	scratch_store_b64 off, v[48:49], off offset:64
	s_wait_loadcnt 0x0
	ds_store_b64 v1, v[46:47]
.LBB85_129:
	s_wait_xcnt 0x0
	s_or_b32 exec_lo, exec_lo, s0
	s_wait_storecnt_dscnt 0x0
	s_barrier_signal -1
	s_barrier_wait -1
	s_clause 0x7
	scratch_load_b128 v[46:49], off, off offset:72
	scratch_load_b128 v[50:53], off, off offset:88
	;; [unrolled: 1-line block ×6, first 2 shown]
	scratch_load_b64 v[94:95], off, off offset:168
	scratch_load_b64 v[96:97], off, off offset:64
	v_mov_b32_e32 v7, 0
	ds_load_2addr_b64 v[70:73], v7 offset0:35 offset1:36
	ds_load_2addr_b64 v[74:77], v7 offset0:37 offset1:38
	;; [unrolled: 1-line block ×6, first 2 shown]
	ds_load_b64 v[98:99], v7 offset:344
	s_mov_b32 s0, exec_lo
	s_wait_dscnt 0x6
	v_dual_mov_b32 v100, v73 :: v_dual_mov_b32 v101, v72
	s_wait_dscnt 0x3
	v_dual_mov_b32 v102, v77 :: v_dual_mov_b32 v107, v84
	v_dual_mov_b32 v103, v76 :: v_dual_mov_b32 v104, v81
	v_dual_mov_b32 v105, v80 :: v_dual_mov_b32 v106, v85
	s_wait_loadcnt_dscnt 0x702
	v_dual_mul_f32 v9, v86, v47 :: v_dual_mul_f32 v15, v87, v47
	v_dual_mul_f32 v17, v89, v49 :: v_dual_mul_f32 v11, v88, v49
	s_wait_loadcnt_dscnt 0x601
	s_delay_alu instid0(VALU_DEP_2) | instskip(NEXT) | instid1(VALU_DEP_3)
	v_dual_mul_f32 v13, v90, v51 :: v_dual_fmac_f32 v9, v87, v46
	v_dual_fma_f32 v15, v86, v46, -v15 :: v_dual_mul_f32 v19, v91, v51
	v_mul_f32_e32 v21, v93, v53
	s_wait_loadcnt 0x4
	v_dual_mov_b32 v46, v61 :: v_dual_fma_f32 v17, v88, v48, -v17
	v_dual_fmac_f32 v11, v89, v48 :: v_dual_add_f32 v9, 0, v9
	v_dual_add_f32 v15, 0, v15 :: v_dual_fmac_f32 v13, v91, v50
	v_dual_mul_f32 v109, v92, v53 :: v_dual_mul_f32 v111, v70, v55
	v_dual_mul_f32 v23, v71, v55 :: v_dual_mov_b32 v110, v57
	s_delay_alu instid0(VALU_DEP_4) | instskip(NEXT) | instid1(VALU_DEP_3)
	v_dual_fma_f32 v19, v90, v50, -v19 :: v_dual_add_f32 v9, v9, v11
	v_dual_add_f32 v11, v15, v17 :: v_dual_fmac_f32 v109, v93, v52
	v_pk_mul_f32 v[112:113], v[74:75], v[58:59] op_sel:[1,1] op_sel_hi:[0,1]
	s_delay_alu instid0(VALU_DEP_3)
	v_dual_fma_f32 v108, v92, v52, -v21 :: v_dual_add_f32 v53, v9, v13
	v_pk_mul_f32 v[50:51], v[100:101], v[110:111] op_sel_hi:[1,0]
	s_wait_loadcnt 0x3
	v_dual_add_f32 v52, v11, v19 :: v_dual_mov_b32 v86, v65
	v_fmac_f32_e32 v111, v71, v54
	v_fma_f32 v110, v70, v54, -v23
	v_pk_fma_f32 v[54:55], v[72:73], v[56:57], v[50:51] op_sel_hi:[1,0,1]
	s_delay_alu instid0(VALU_DEP_4) | instskip(SKIP_4) | instid1(VALU_DEP_4)
	v_pk_add_f32 v[52:53], v[52:53], v[108:109]
	v_pk_fma_f32 v[70:71], v[74:75], v[58:59], v[112:113] op_sel_hi:[1,0,1]
	v_pk_fma_f32 v[50:51], v[72:73], v[56:57], v[50:51] neg_lo:[0,0,1] neg_hi:[0,0,1]
	v_pk_fma_f32 v[56:57], v[74:75], v[58:59], v[112:113] neg_lo:[0,0,1] neg_hi:[0,0,1]
	v_pk_mul_f32 v[46:47], v[102:103], v[46:47] op_sel_hi:[1,0]
	v_dual_mov_b32 v51, v55 :: v_dual_mov_b32 v57, v71
	v_pk_add_f32 v[52:53], v[52:53], v[110:111]
	v_pk_mul_f32 v[48:49], v[78:79], v[62:63] op_sel:[1,1] op_sel_hi:[0,1]
	s_delay_alu instid0(VALU_DEP_4)
	v_pk_fma_f32 v[58:59], v[76:77], v[60:61], v[46:47] op_sel_hi:[1,0,1]
	v_pk_fma_f32 v[46:47], v[76:77], v[60:61], v[46:47] neg_lo:[0,0,1] neg_hi:[0,0,1]
	v_pk_mul_f32 v[70:71], v[104:105], v[86:87] op_sel_hi:[1,0]
	v_pk_add_f32 v[50:51], v[52:53], v[50:51]
	v_pk_fma_f32 v[52:53], v[78:79], v[62:63], v[48:49] op_sel_hi:[1,0,1]
	s_wait_loadcnt 0x2
	v_dual_mov_b32 v47, v59 :: v_dual_mov_b32 v52, v69
	v_pk_fma_f32 v[48:49], v[78:79], v[62:63], v[48:49] neg_lo:[0,0,1] neg_hi:[0,0,1]
	v_pk_add_f32 v[50:51], v[50:51], v[56:57]
	v_pk_mul_f32 v[54:55], v[82:83], v[66:67] op_sel:[1,1] op_sel_hi:[0,1]
	v_pk_fma_f32 v[56:57], v[80:81], v[64:65], v[70:71] op_sel_hi:[1,0,1]
	v_mov_b32_e32 v49, v53
	v_pk_fma_f32 v[58:59], v[80:81], v[64:65], v[70:71] neg_lo:[0,0,1] neg_hi:[0,0,1]
	v_pk_add_f32 v[46:47], v[50:51], v[46:47]
	v_pk_fma_f32 v[50:51], v[82:83], v[66:67], v[54:55] op_sel_hi:[1,0,1]
	v_pk_mul_f32 v[52:53], v[106:107], v[52:53] op_sel_hi:[1,0]
	v_mov_b32_e32 v59, v57
	s_delay_alu instid0(VALU_DEP_4)
	v_pk_add_f32 v[46:47], v[46:47], v[48:49]
	v_pk_fma_f32 v[48:49], v[82:83], v[66:67], v[54:55] neg_lo:[0,0,1] neg_hi:[0,0,1]
	v_mov_b32_e32 v49, v51
	v_pk_fma_f32 v[50:51], v[84:85], v[68:69], v[52:53] op_sel_hi:[1,0,1]
	s_wait_loadcnt_dscnt 0x100
	v_pk_mul_f32 v[54:55], v[98:99], v[94:95] op_sel:[1,1] op_sel_hi:[0,1]
	v_pk_add_f32 v[46:47], v[46:47], v[58:59]
	v_pk_fma_f32 v[52:53], v[84:85], v[68:69], v[52:53] neg_lo:[0,0,1] neg_hi:[0,0,1]
	v_mov_b32_e32 v53, v51
	s_delay_alu instid0(VALU_DEP_4) | instskip(NEXT) | instid1(VALU_DEP_4)
	v_pk_fma_f32 v[50:51], v[98:99], v[94:95], v[54:55] neg_lo:[0,0,1] neg_hi:[0,0,1]
	v_pk_add_f32 v[46:47], v[46:47], v[48:49]
	v_pk_fma_f32 v[48:49], v[98:99], v[94:95], v[54:55] op_sel_hi:[1,0,1]
	s_delay_alu instid0(VALU_DEP_2) | instskip(NEXT) | instid1(VALU_DEP_2)
	v_pk_add_f32 v[46:47], v[46:47], v[52:53]
	v_mov_b32_e32 v51, v49
	s_delay_alu instid0(VALU_DEP_1) | instskip(SKIP_1) | instid1(VALU_DEP_1)
	v_pk_add_f32 v[46:47], v[46:47], v[50:51]
	s_wait_loadcnt 0x0
	v_pk_add_f32 v[46:47], v[96:97], v[46:47] neg_lo:[0,1] neg_hi:[0,1]
	scratch_store_b64 off, v[46:47], off offset:64
	s_wait_xcnt 0x0
	v_cmpx_lt_u32_e32 7, v0
	s_cbranch_execz .LBB85_131
; %bb.130:
	scratch_load_b64 v[46:47], off, off offset:56
	v_mov_b64_e32 v[48:49], 0
	scratch_store_b64 off, v[48:49], off offset:56
	s_wait_loadcnt 0x0
	ds_store_b64 v1, v[46:47]
.LBB85_131:
	s_wait_xcnt 0x0
	s_or_b32 exec_lo, exec_lo, s0
	s_wait_storecnt_dscnt 0x0
	s_barrier_signal -1
	s_barrier_wait -1
	s_clause 0x7
	scratch_load_b128 v[46:49], off, off offset:64
	scratch_load_b128 v[50:53], off, off offset:80
	;; [unrolled: 1-line block ×7, first 2 shown]
	scratch_load_b64 v[102:103], off, off offset:56
	ds_load_b128 v[74:77], v7 offset:288
	ds_load_b128 v[78:81], v7 offset:304
	;; [unrolled: 1-line block ×7, first 2 shown]
	s_mov_b32 s0, exec_lo
	s_wait_dscnt 0x6
	v_dual_mov_b32 v104, v77 :: v_dual_mov_b32 v105, v76
	s_wait_dscnt 0x5
	v_dual_mov_b32 v106, v81 :: v_dual_mov_b32 v107, v80
	;; [unrolled: 2-line block ×4, first 2 shown]
	s_wait_loadcnt_dscnt 0x702
	v_dual_mul_f32 v7, v90, v47 :: v_dual_mul_f32 v9, v92, v49
	v_dual_mul_f32 v15, v91, v47 :: v_dual_mul_f32 v17, v93, v49
	s_wait_loadcnt_dscnt 0x601
	v_dual_mul_f32 v11, v94, v51 :: v_dual_mul_f32 v13, v96, v53
	s_delay_alu instid0(VALU_DEP_3) | instskip(NEXT) | instid1(VALU_DEP_3)
	v_dual_fmac_f32 v7, v91, v46 :: v_dual_fmac_f32 v9, v93, v48
	v_dual_fma_f32 v15, v90, v46, -v15 :: v_dual_fma_f32 v17, v92, v48, -v17
	v_dual_mul_f32 v19, v95, v51 :: v_dual_mul_f32 v21, v97, v53
	s_wait_loadcnt 0x4
	s_delay_alu instid0(VALU_DEP_3) | instskip(NEXT) | instid1(VALU_DEP_3)
	v_dual_add_f32 v7, 0, v7 :: v_dual_mov_b32 v48, v61
	v_dual_add_f32 v15, 0, v15 :: v_dual_fmac_f32 v11, v95, v50
	s_delay_alu instid0(VALU_DEP_2) | instskip(SKIP_2) | instid1(VALU_DEP_3)
	v_dual_fma_f32 v19, v94, v50, -v19 :: v_dual_add_f32 v7, v7, v9
	s_wait_dscnt 0x0
	v_dual_mul_f32 v113, v98, v55 :: v_dual_mul_f32 v115, v100, v57
	v_dual_add_f32 v9, v15, v17 :: v_dual_fmac_f32 v13, v97, v52
	v_dual_mul_f32 v23, v99, v55 :: v_dual_mul_f32 v25, v101, v57
	v_dual_fma_f32 v15, v96, v52, -v21 :: v_dual_add_f32 v7, v7, v11
	s_delay_alu instid0(VALU_DEP_3) | instskip(SKIP_3) | instid1(VALU_DEP_3)
	v_dual_add_f32 v9, v9, v19 :: v_dual_fmac_f32 v113, v99, v54
	v_pk_mul_f32 v[46:47], v[74:75], v[58:59] op_sel:[1,1] op_sel_hi:[0,1]
	s_wait_loadcnt 0x3
	v_dual_mov_b32 v52, v65 :: v_dual_fma_f32 v112, v98, v54, -v23
	v_dual_add_f32 v55, v7, v13 :: v_dual_add_f32 v54, v9, v15
	v_dual_fmac_f32 v115, v101, v56 :: v_dual_fma_f32 v114, v100, v56, -v25
	v_pk_fma_f32 v[56:57], v[74:75], v[58:59], v[46:47] op_sel_hi:[1,0,1]
	v_pk_mul_f32 v[48:49], v[104:105], v[48:49] op_sel_hi:[1,0]
	s_delay_alu instid0(VALU_DEP_4)
	v_pk_add_f32 v[54:55], v[54:55], v[112:113]
	v_pk_fma_f32 v[46:47], v[74:75], v[58:59], v[46:47] neg_lo:[0,0,1] neg_hi:[0,0,1]
	v_pk_mul_f32 v[50:51], v[78:79], v[62:63] op_sel:[1,1] op_sel_hi:[0,1]
	v_mov_b32_e32 v47, v57
	v_pk_fma_f32 v[56:57], v[76:77], v[60:61], v[48:49] op_sel_hi:[1,0,1]
	v_pk_add_f32 v[54:55], v[54:55], v[114:115]
	v_pk_fma_f32 v[48:49], v[76:77], v[60:61], v[48:49] neg_lo:[0,0,1] neg_hi:[0,0,1]
	v_pk_fma_f32 v[58:59], v[78:79], v[62:63], v[50:51] op_sel_hi:[1,0,1]
	v_pk_mul_f32 v[52:53], v[106:107], v[52:53] op_sel_hi:[1,0]
	v_mov_b32_e32 v49, v57
	v_pk_add_f32 v[46:47], v[54:55], v[46:47]
	s_wait_loadcnt 0x2
	v_pk_mul_f32 v[90:91], v[82:83], v[66:67] op_sel:[1,1] op_sel_hi:[0,1]
	v_mov_b32_e32 v54, v69
	v_pk_fma_f32 v[50:51], v[78:79], v[62:63], v[50:51] neg_lo:[0,0,1] neg_hi:[0,0,1]
	v_mov_b32_e32 v51, v59
	v_pk_fma_f32 v[56:57], v[80:81], v[64:65], v[52:53] op_sel_hi:[1,0,1]
	v_pk_add_f32 v[46:47], v[46:47], v[48:49]
	v_pk_fma_f32 v[48:49], v[82:83], v[66:67], v[90:91] op_sel_hi:[1,0,1]
	v_pk_mul_f32 v[54:55], v[108:109], v[54:55] op_sel_hi:[1,0]
	v_pk_fma_f32 v[52:53], v[80:81], v[64:65], v[52:53] neg_lo:[0,0,1] neg_hi:[0,0,1]
	v_mov_b32_e32 v53, v57
	v_pk_add_f32 v[46:47], v[46:47], v[50:51]
	v_pk_fma_f32 v[56:57], v[82:83], v[66:67], v[90:91] neg_lo:[0,0,1] neg_hi:[0,0,1]
	v_mov_b32_e32 v57, v49
	v_pk_fma_f32 v[48:49], v[84:85], v[68:69], v[54:55] op_sel_hi:[1,0,1]
	s_wait_loadcnt 0x1
	v_pk_mul_f32 v[50:51], v[86:87], v[70:71] op_sel:[1,1] op_sel_hi:[0,1]
	v_pk_add_f32 v[46:47], v[46:47], v[52:53]
	v_mov_b32_e32 v48, v73
	v_pk_fma_f32 v[54:55], v[84:85], v[68:69], v[54:55] neg_lo:[0,0,1] neg_hi:[0,0,1]
	v_mov_b32_e32 v55, v49
	v_pk_fma_f32 v[52:53], v[86:87], v[70:71], v[50:51] op_sel_hi:[1,0,1]
	v_pk_add_f32 v[46:47], v[46:47], v[56:57]
	v_pk_mul_f32 v[48:49], v[110:111], v[48:49] op_sel_hi:[1,0]
	v_pk_fma_f32 v[50:51], v[86:87], v[70:71], v[50:51] neg_lo:[0,0,1] neg_hi:[0,0,1]
	s_delay_alu instid0(VALU_DEP_4) | instskip(NEXT) | instid1(VALU_DEP_4)
	v_mov_b32_e32 v51, v53
	v_pk_add_f32 v[46:47], v[46:47], v[54:55]
	s_delay_alu instid0(VALU_DEP_4) | instskip(SKIP_1) | instid1(VALU_DEP_2)
	v_pk_fma_f32 v[52:53], v[88:89], v[72:73], v[48:49] op_sel_hi:[1,0,1]
	v_pk_fma_f32 v[48:49], v[88:89], v[72:73], v[48:49] neg_lo:[0,0,1] neg_hi:[0,0,1]
	v_mov_b32_e32 v49, v53
	s_delay_alu instid0(VALU_DEP_4) | instskip(NEXT) | instid1(VALU_DEP_1)
	v_pk_add_f32 v[46:47], v[46:47], v[50:51]
	v_pk_add_f32 v[46:47], v[46:47], v[48:49]
	s_wait_loadcnt 0x0
	s_delay_alu instid0(VALU_DEP_1)
	v_pk_add_f32 v[46:47], v[102:103], v[46:47] neg_lo:[0,1] neg_hi:[0,1]
	scratch_store_b64 off, v[46:47], off offset:56
	s_wait_xcnt 0x0
	v_cmpx_lt_u32_e32 6, v0
	s_cbranch_execz .LBB85_133
; %bb.132:
	scratch_load_b64 v[46:47], off, off offset:48
	v_mov_b64_e32 v[48:49], 0
	scratch_store_b64 off, v[48:49], off offset:48
	s_wait_loadcnt 0x0
	ds_store_b64 v1, v[46:47]
.LBB85_133:
	s_wait_xcnt 0x0
	s_or_b32 exec_lo, exec_lo, s0
	s_wait_storecnt_dscnt 0x0
	s_barrier_signal -1
	s_barrier_wait -1
	s_clause 0x8
	scratch_load_b128 v[46:49], off, off offset:56
	scratch_load_b128 v[50:53], off, off offset:72
	;; [unrolled: 1-line block ×7, first 2 shown]
	scratch_load_b64 v[102:103], off, off offset:168
	scratch_load_b64 v[104:105], off, off offset:48
	v_mov_b32_e32 v7, 0
	ds_load_2addr_b64 v[74:77], v7 offset0:35 offset1:36
	ds_load_2addr_b64 v[78:81], v7 offset0:37 offset1:38
	;; [unrolled: 1-line block ×7, first 2 shown]
	ds_load_b64 v[106:107], v7 offset:344
	s_mov_b32 s0, exec_lo
	s_wait_dscnt 0x7
	v_dual_mov_b32 v108, v77 :: v_dual_mov_b32 v109, v76
	s_wait_dscnt 0x4
	v_dual_mov_b32 v110, v81 :: v_dual_mov_b32 v115, v88
	v_dual_mov_b32 v111, v80 :: v_dual_mov_b32 v112, v85
	;; [unrolled: 1-line block ×3, first 2 shown]
	s_wait_loadcnt_dscnt 0x803
	v_dual_mul_f32 v9, v90, v47 :: v_dual_mul_f32 v19, v91, v47
	v_dual_mul_f32 v21, v93, v49 :: v_dual_mul_f32 v11, v92, v49
	s_wait_loadcnt_dscnt 0x702
	v_mul_f32_e32 v13, v94, v51
	s_wait_loadcnt 0x5
	v_dual_mul_f32 v31, v75, v59 :: v_dual_fma_f32 v19, v90, v46, -v19
	v_dual_fmac_f32 v9, v91, v46 :: v_dual_mov_b32 v46, v61
	v_dual_mul_f32 v23, v95, v51 :: v_dual_mul_f32 v25, v97, v53
	v_dual_fmac_f32 v11, v93, v48 :: v_dual_fma_f32 v21, v92, v48, -v21
	s_delay_alu instid0(VALU_DEP_3) | instskip(SKIP_3) | instid1(VALU_DEP_3)
	v_dual_add_f32 v9, 0, v9 :: v_dual_add_f32 v19, 0, v19
	s_wait_dscnt 0x1
	v_dual_mul_f32 v15, v96, v53 :: v_dual_mul_f32 v17, v98, v55
	v_dual_fmac_f32 v13, v95, v50 :: v_dual_fma_f32 v23, v94, v50, -v23
	v_dual_add_f32 v9, v9, v11 :: v_dual_add_f32 v11, v19, v21
	v_dual_mul_f32 v27, v99, v55 :: v_dual_mul_f32 v29, v101, v57
	s_wait_loadcnt 0x4
	v_dual_mov_b32 v50, v65 :: v_dual_fma_f32 v19, v96, v52, -v25
	s_delay_alu instid0(VALU_DEP_3) | instskip(SKIP_2) | instid1(VALU_DEP_2)
	v_dual_fmac_f32 v15, v97, v52 :: v_dual_add_f32 v11, v11, v23
	v_dual_add_f32 v9, v9, v13 :: v_dual_fmac_f32 v17, v99, v54
	v_dual_mul_f32 v117, v100, v57 :: v_dual_mul_f32 v119, v74, v59
	v_dual_fma_f32 v13, v98, v54, -v27 :: v_dual_add_f32 v9, v9, v15
	s_delay_alu instid0(VALU_DEP_2) | instskip(SKIP_1) | instid1(VALU_DEP_3)
	v_dual_add_f32 v11, v11, v19 :: v_dual_fmac_f32 v117, v101, v56
	v_pk_mul_f32 v[48:49], v[78:79], v[62:63] op_sel:[1,1] op_sel_hi:[0,1]
	v_dual_fma_f32 v116, v100, v56, -v29 :: v_dual_add_f32 v55, v9, v17
	v_pk_mul_f32 v[46:47], v[108:109], v[46:47] op_sel_hi:[1,0]
	s_wait_loadcnt 0x3
	v_dual_add_f32 v54, v11, v13 :: v_dual_mov_b32 v56, v69
	v_fmac_f32_e32 v119, v75, v58
	v_fma_f32 v118, v74, v58, -v31
	v_pk_fma_f32 v[58:59], v[76:77], v[60:61], v[46:47] op_sel_hi:[1,0,1]
	s_delay_alu instid0(VALU_DEP_4) | instskip(SKIP_4) | instid1(VALU_DEP_4)
	v_pk_add_f32 v[54:55], v[54:55], v[116:117]
	v_pk_fma_f32 v[74:75], v[78:79], v[62:63], v[48:49] op_sel_hi:[1,0,1]
	v_pk_fma_f32 v[46:47], v[76:77], v[60:61], v[46:47] neg_lo:[0,0,1] neg_hi:[0,0,1]
	v_pk_fma_f32 v[48:49], v[78:79], v[62:63], v[48:49] neg_lo:[0,0,1] neg_hi:[0,0,1]
	v_pk_mul_f32 v[50:51], v[110:111], v[50:51] op_sel_hi:[1,0]
	v_dual_mov_b32 v47, v59 :: v_dual_mov_b32 v49, v75
	v_pk_add_f32 v[54:55], v[54:55], v[118:119]
	v_pk_mul_f32 v[52:53], v[82:83], v[66:67] op_sel:[1,1] op_sel_hi:[0,1]
	s_delay_alu instid0(VALU_DEP_4)
	v_pk_fma_f32 v[60:61], v[80:81], v[64:65], v[50:51] op_sel_hi:[1,0,1]
	v_pk_fma_f32 v[50:51], v[80:81], v[64:65], v[50:51] neg_lo:[0,0,1] neg_hi:[0,0,1]
	v_pk_mul_f32 v[56:57], v[112:113], v[56:57] op_sel_hi:[1,0]
	v_pk_add_f32 v[46:47], v[54:55], v[46:47]
	v_pk_fma_f32 v[54:55], v[82:83], v[66:67], v[52:53] op_sel_hi:[1,0,1]
	v_mov_b32_e32 v51, v61
	v_pk_fma_f32 v[52:53], v[82:83], v[66:67], v[52:53] neg_lo:[0,0,1] neg_hi:[0,0,1]
	s_wait_loadcnt 0x2
	v_pk_mul_f32 v[58:59], v[86:87], v[70:71] op_sel:[1,1] op_sel_hi:[0,1]
	v_pk_add_f32 v[46:47], v[46:47], v[48:49]
	v_dual_mov_b32 v48, v73 :: v_dual_mov_b32 v53, v55
	v_pk_fma_f32 v[54:55], v[84:85], v[68:69], v[56:57] op_sel_hi:[1,0,1]
	v_pk_fma_f32 v[56:57], v[84:85], v[68:69], v[56:57] neg_lo:[0,0,1] neg_hi:[0,0,1]
	s_delay_alu instid0(VALU_DEP_4)
	v_pk_add_f32 v[46:47], v[46:47], v[50:51]
	v_pk_fma_f32 v[50:51], v[86:87], v[70:71], v[58:59] op_sel_hi:[1,0,1]
	v_pk_mul_f32 v[48:49], v[114:115], v[48:49] op_sel_hi:[1,0]
	v_mov_b32_e32 v57, v55
	s_wait_loadcnt_dscnt 0x100
	v_pk_mul_f32 v[54:55], v[106:107], v[102:103] op_sel:[1,1] op_sel_hi:[0,1]
	v_pk_add_f32 v[46:47], v[46:47], v[52:53]
	v_pk_fma_f32 v[52:53], v[86:87], v[70:71], v[58:59] neg_lo:[0,0,1] neg_hi:[0,0,1]
	v_mov_b32_e32 v53, v51
	v_pk_fma_f32 v[50:51], v[88:89], v[72:73], v[48:49] op_sel_hi:[1,0,1]
	v_pk_fma_f32 v[48:49], v[88:89], v[72:73], v[48:49] neg_lo:[0,0,1] neg_hi:[0,0,1]
	v_pk_add_f32 v[46:47], v[46:47], v[56:57]
	s_delay_alu instid0(VALU_DEP_3) | instskip(SKIP_1) | instid1(VALU_DEP_3)
	v_mov_b32_e32 v49, v51
	v_pk_fma_f32 v[50:51], v[106:107], v[102:103], v[54:55] op_sel_hi:[1,0,1]
	v_pk_add_f32 v[46:47], v[46:47], v[52:53]
	v_pk_fma_f32 v[52:53], v[106:107], v[102:103], v[54:55] neg_lo:[0,0,1] neg_hi:[0,0,1]
	s_delay_alu instid0(VALU_DEP_3) | instskip(NEXT) | instid1(VALU_DEP_3)
	v_mov_b32_e32 v53, v51
	v_pk_add_f32 v[46:47], v[46:47], v[48:49]
	s_delay_alu instid0(VALU_DEP_1) | instskip(SKIP_1) | instid1(VALU_DEP_1)
	v_pk_add_f32 v[46:47], v[46:47], v[52:53]
	s_wait_loadcnt 0x0
	v_pk_add_f32 v[46:47], v[104:105], v[46:47] neg_lo:[0,1] neg_hi:[0,1]
	scratch_store_b64 off, v[46:47], off offset:48
	s_wait_xcnt 0x0
	v_cmpx_lt_u32_e32 5, v0
	s_cbranch_execz .LBB85_135
; %bb.134:
	scratch_load_b64 v[46:47], off, off offset:40
	v_mov_b64_e32 v[48:49], 0
	scratch_store_b64 off, v[48:49], off offset:40
	s_wait_loadcnt 0x0
	ds_store_b64 v1, v[46:47]
.LBB85_135:
	s_wait_xcnt 0x0
	s_or_b32 exec_lo, exec_lo, s0
	s_wait_storecnt_dscnt 0x0
	s_barrier_signal -1
	s_barrier_wait -1
	s_clause 0x8
	scratch_load_b128 v[46:49], off, off offset:48
	scratch_load_b128 v[50:53], off, off offset:64
	;; [unrolled: 1-line block ×8, first 2 shown]
	scratch_load_b64 v[110:111], off, off offset:40
	ds_load_b128 v[78:81], v7 offset:288
	ds_load_b128 v[82:85], v7 offset:304
	;; [unrolled: 1-line block ×8, first 2 shown]
	s_mov_b32 s0, exec_lo
	s_wait_dscnt 0x7
	v_dual_mov_b32 v112, v81 :: v_dual_mov_b32 v113, v80
	s_wait_dscnt 0x6
	v_dual_mov_b32 v114, v85 :: v_dual_mov_b32 v115, v84
	;; [unrolled: 2-line block ×4, first 2 shown]
	s_wait_loadcnt_dscnt 0x803
	v_dual_mul_f32 v7, v94, v47 :: v_dual_mul_f32 v9, v96, v49
	v_dual_mul_f32 v19, v95, v47 :: v_dual_mul_f32 v21, v97, v49
	s_wait_loadcnt_dscnt 0x702
	v_dual_mul_f32 v11, v98, v51 :: v_dual_mul_f32 v13, v100, v53
	s_delay_alu instid0(VALU_DEP_3) | instskip(SKIP_3) | instid1(VALU_DEP_3)
	v_dual_fmac_f32 v7, v95, v46 :: v_dual_fmac_f32 v9, v97, v48
	s_wait_loadcnt_dscnt 0x500
	v_dual_fma_f32 v19, v94, v46, -v19 :: v_dual_mul_f32 v31, v107, v59
	v_dual_mul_f32 v23, v99, v51 :: v_dual_mul_f32 v25, v101, v53
	v_dual_fma_f32 v21, v96, v48, -v21 :: v_dual_add_f32 v7, 0, v7
	s_delay_alu instid0(VALU_DEP_3) | instskip(SKIP_1) | instid1(VALU_DEP_3)
	v_dual_add_f32 v19, 0, v19 :: v_dual_mul_f32 v33, v109, v61
	v_dual_fmac_f32 v11, v99, v50 :: v_dual_fmac_f32 v13, v101, v52
	v_dual_fma_f32 v23, v98, v50, -v23 :: v_dual_add_f32 v7, v7, v9
	s_delay_alu instid0(VALU_DEP_3) | instskip(SKIP_4) | instid1(VALU_DEP_3)
	v_dual_add_f32 v9, v19, v21 :: v_dual_fma_f32 v19, v100, v52, -v25
	v_dual_mul_f32 v15, v102, v55 :: v_dual_mul_f32 v17, v104, v57
	v_dual_mul_f32 v27, v103, v55 :: v_dual_mul_f32 v29, v105, v57
	s_wait_loadcnt 0x4
	v_dual_add_f32 v7, v7, v11 :: v_dual_mov_b32 v48, v65
	v_dual_add_f32 v9, v9, v23 :: v_dual_fmac_f32 v15, v103, v54
	s_delay_alu instid0(VALU_DEP_2) | instskip(SKIP_1) | instid1(VALU_DEP_3)
	v_dual_fma_f32 v11, v102, v54, -v27 :: v_dual_add_f32 v7, v7, v13
	v_dual_mul_f32 v121, v106, v59 :: v_dual_mul_f32 v123, v108, v61
	v_dual_add_f32 v9, v9, v19 :: v_dual_fma_f32 v13, v104, v56, -v29
	s_delay_alu instid0(VALU_DEP_3) | instskip(SKIP_1) | instid1(VALU_DEP_3)
	v_dual_fmac_f32 v17, v105, v56 :: v_dual_add_f32 v7, v7, v15
	v_pk_mul_f32 v[46:47], v[78:79], v[62:63] op_sel:[1,1] op_sel_hi:[0,1]
	v_dual_add_f32 v9, v9, v11 :: v_dual_fmac_f32 v121, v107, v58
	s_wait_loadcnt 0x3
	v_dual_mov_b32 v52, v69 :: v_dual_fma_f32 v120, v106, v58, -v31
	v_dual_add_f32 v55, v7, v17 :: v_dual_fmac_f32 v123, v109, v60
	s_delay_alu instid0(VALU_DEP_3) | instskip(SKIP_3) | instid1(VALU_DEP_4)
	v_dual_add_f32 v54, v9, v13 :: v_dual_fma_f32 v122, v108, v60, -v33
	v_pk_fma_f32 v[56:57], v[78:79], v[62:63], v[46:47] op_sel_hi:[1,0,1]
	v_pk_mul_f32 v[48:49], v[112:113], v[48:49] op_sel_hi:[1,0]
	v_pk_fma_f32 v[46:47], v[78:79], v[62:63], v[46:47] neg_lo:[0,0,1] neg_hi:[0,0,1]
	v_pk_add_f32 v[54:55], v[54:55], v[120:121]
	v_pk_mul_f32 v[50:51], v[82:83], v[66:67] op_sel:[1,1] op_sel_hi:[0,1]
	v_mov_b32_e32 v47, v57
	v_pk_fma_f32 v[56:57], v[80:81], v[64:65], v[48:49] op_sel_hi:[1,0,1]
	v_pk_fma_f32 v[48:49], v[80:81], v[64:65], v[48:49] neg_lo:[0,0,1] neg_hi:[0,0,1]
	v_pk_add_f32 v[54:55], v[54:55], v[122:123]
	v_pk_fma_f32 v[60:61], v[82:83], v[66:67], v[50:51] op_sel_hi:[1,0,1]
	v_pk_mul_f32 v[52:53], v[114:115], v[52:53] op_sel_hi:[1,0]
	v_mov_b32_e32 v49, v57
	s_wait_loadcnt 0x2
	v_pk_mul_f32 v[58:59], v[86:87], v[70:71] op_sel:[1,1] op_sel_hi:[0,1]
	v_pk_add_f32 v[46:47], v[54:55], v[46:47]
	v_mov_b32_e32 v54, v73
	v_pk_fma_f32 v[50:51], v[82:83], v[66:67], v[50:51] neg_lo:[0,0,1] neg_hi:[0,0,1]
	v_mov_b32_e32 v51, v61
	v_pk_fma_f32 v[56:57], v[84:85], v[68:69], v[52:53] op_sel_hi:[1,0,1]
	v_pk_add_f32 v[46:47], v[46:47], v[48:49]
	v_pk_fma_f32 v[48:49], v[86:87], v[70:71], v[58:59] op_sel_hi:[1,0,1]
	v_pk_mul_f32 v[54:55], v[116:117], v[54:55] op_sel_hi:[1,0]
	v_pk_fma_f32 v[52:53], v[84:85], v[68:69], v[52:53] neg_lo:[0,0,1] neg_hi:[0,0,1]
	v_mov_b32_e32 v53, v57
	v_pk_add_f32 v[46:47], v[46:47], v[50:51]
	v_pk_fma_f32 v[56:57], v[86:87], v[70:71], v[58:59] neg_lo:[0,0,1] neg_hi:[0,0,1]
	v_mov_b32_e32 v57, v49
	v_pk_fma_f32 v[48:49], v[88:89], v[72:73], v[54:55] op_sel_hi:[1,0,1]
	s_wait_loadcnt 0x1
	v_pk_mul_f32 v[50:51], v[90:91], v[74:75] op_sel:[1,1] op_sel_hi:[0,1]
	v_pk_add_f32 v[46:47], v[46:47], v[52:53]
	v_mov_b32_e32 v48, v77
	v_pk_fma_f32 v[54:55], v[88:89], v[72:73], v[54:55] neg_lo:[0,0,1] neg_hi:[0,0,1]
	v_mov_b32_e32 v55, v49
	v_pk_fma_f32 v[52:53], v[90:91], v[74:75], v[50:51] op_sel_hi:[1,0,1]
	v_pk_add_f32 v[46:47], v[46:47], v[56:57]
	v_pk_mul_f32 v[48:49], v[118:119], v[48:49] op_sel_hi:[1,0]
	v_pk_fma_f32 v[50:51], v[90:91], v[74:75], v[50:51] neg_lo:[0,0,1] neg_hi:[0,0,1]
	s_delay_alu instid0(VALU_DEP_4) | instskip(NEXT) | instid1(VALU_DEP_4)
	v_mov_b32_e32 v51, v53
	v_pk_add_f32 v[46:47], v[46:47], v[54:55]
	s_delay_alu instid0(VALU_DEP_4) | instskip(SKIP_1) | instid1(VALU_DEP_2)
	v_pk_fma_f32 v[52:53], v[92:93], v[76:77], v[48:49] op_sel_hi:[1,0,1]
	v_pk_fma_f32 v[48:49], v[92:93], v[76:77], v[48:49] neg_lo:[0,0,1] neg_hi:[0,0,1]
	v_mov_b32_e32 v49, v53
	s_delay_alu instid0(VALU_DEP_4) | instskip(NEXT) | instid1(VALU_DEP_1)
	v_pk_add_f32 v[46:47], v[46:47], v[50:51]
	v_pk_add_f32 v[46:47], v[46:47], v[48:49]
	s_wait_loadcnt 0x0
	s_delay_alu instid0(VALU_DEP_1)
	v_pk_add_f32 v[46:47], v[110:111], v[46:47] neg_lo:[0,1] neg_hi:[0,1]
	scratch_store_b64 off, v[46:47], off offset:40
	s_wait_xcnt 0x0
	v_cmpx_lt_u32_e32 4, v0
	s_cbranch_execz .LBB85_137
; %bb.136:
	scratch_load_b64 v[46:47], off, off offset:32
	v_mov_b64_e32 v[48:49], 0
	scratch_store_b64 off, v[48:49], off offset:32
	s_wait_loadcnt 0x0
	ds_store_b64 v1, v[46:47]
.LBB85_137:
	s_wait_xcnt 0x0
	s_or_b32 exec_lo, exec_lo, s0
	s_wait_storecnt_dscnt 0x0
	s_barrier_signal -1
	s_barrier_wait -1
	s_clause 0x9
	scratch_load_b128 v[46:49], off, off offset:40
	scratch_load_b128 v[50:53], off, off offset:56
	;; [unrolled: 1-line block ×8, first 2 shown]
	scratch_load_b64 v[110:111], off, off offset:168
	scratch_load_b64 v[112:113], off, off offset:32
	v_mov_b32_e32 v7, 0
	ds_load_2addr_b64 v[78:81], v7 offset0:35 offset1:36
	ds_load_2addr_b64 v[82:85], v7 offset0:37 offset1:38
	;; [unrolled: 1-line block ×8, first 2 shown]
	ds_load_b64 v[114:115], v7 offset:344
	s_mov_b32 s0, exec_lo
	s_wait_dscnt 0x8
	v_dual_mov_b32 v116, v81 :: v_dual_mov_b32 v117, v80
	s_wait_dscnt 0x5
	v_dual_mov_b32 v118, v85 :: v_dual_mov_b32 v123, v92
	v_dual_mov_b32 v119, v84 :: v_dual_mov_b32 v120, v89
	;; [unrolled: 1-line block ×3, first 2 shown]
	s_wait_loadcnt_dscnt 0x904
	v_dual_mul_f32 v9, v94, v47 :: v_dual_mul_f32 v23, v95, v47
	v_dual_mul_f32 v25, v97, v49 :: v_dual_mul_f32 v11, v96, v49
	s_wait_loadcnt_dscnt 0x803
	v_mul_f32_e32 v13, v98, v51
	s_wait_loadcnt_dscnt 0x601
	v_dual_mul_f32 v35, v107, v59 :: v_dual_fma_f32 v23, v94, v46, -v23
	v_dual_fmac_f32 v9, v95, v46 :: v_dual_mul_f32 v37, v109, v61
	v_dual_mul_f32 v27, v99, v51 :: v_dual_mul_f32 v29, v101, v53
	v_dual_fmac_f32 v11, v97, v48 :: v_dual_fma_f32 v25, v96, v48, -v25
	s_delay_alu instid0(VALU_DEP_3) | instskip(SKIP_3) | instid1(VALU_DEP_3)
	v_dual_add_f32 v9, 0, v9 :: v_dual_add_f32 v23, 0, v23
	v_dual_mul_f32 v15, v100, v53 :: v_dual_mul_f32 v17, v102, v55
	s_wait_loadcnt 0x5
	v_dual_mul_f32 v39, v79, v63 :: v_dual_fma_f32 v27, v98, v50, -v27
	v_dual_fmac_f32 v13, v99, v50 :: v_dual_add_f32 v9, v9, v11
	v_dual_add_f32 v11, v23, v25 :: v_dual_mov_b32 v46, v65
	v_dual_mul_f32 v31, v103, v55 :: v_dual_mul_f32 v33, v105, v57
	v_dual_fmac_f32 v15, v101, v52 :: v_dual_fma_f32 v23, v100, v52, -v29
	s_delay_alu instid0(VALU_DEP_3) | instskip(SKIP_1) | instid1(VALU_DEP_4)
	v_dual_add_f32 v9, v9, v13 :: v_dual_add_f32 v11, v11, v27
	v_dual_mul_f32 v19, v104, v57 :: v_dual_mul_f32 v21, v106, v59
	v_dual_fmac_f32 v17, v103, v54 :: v_dual_fma_f32 v13, v102, v54, -v31
	s_delay_alu instid0(VALU_DEP_3) | instskip(SKIP_3) | instid1(VALU_DEP_3)
	v_dual_add_f32 v9, v9, v15 :: v_dual_fma_f32 v15, v104, v56, -v33
	s_wait_loadcnt 0x4
	v_dual_add_f32 v11, v11, v23 :: v_dual_mov_b32 v50, v69
	v_fmac_f32_e32 v19, v105, v56
	v_dual_add_f32 v9, v9, v17 :: v_dual_fmac_f32 v21, v107, v58
	s_delay_alu instid0(VALU_DEP_3) | instskip(SKIP_1) | instid1(VALU_DEP_3)
	v_add_f32_e32 v11, v11, v13
	v_dual_mul_f32 v125, v108, v61 :: v_dual_mul_f32 v127, v78, v63
	v_dual_fma_f32 v13, v106, v58, -v35 :: v_dual_add_f32 v9, v9, v19
	s_delay_alu instid0(VALU_DEP_2) | instskip(SKIP_1) | instid1(VALU_DEP_3)
	v_dual_add_f32 v11, v11, v15 :: v_dual_fmac_f32 v125, v109, v60
	v_pk_mul_f32 v[48:49], v[82:83], v[66:67] op_sel:[1,1] op_sel_hi:[0,1]
	v_dual_fma_f32 v124, v108, v60, -v37 :: v_dual_add_f32 v55, v9, v21
	v_pk_mul_f32 v[46:47], v[116:117], v[46:47] op_sel_hi:[1,0]
	s_wait_loadcnt 0x3
	v_dual_add_f32 v54, v11, v13 :: v_dual_mov_b32 v56, v73
	v_pk_fma_f32 v[60:61], v[82:83], v[66:67], v[48:49] op_sel_hi:[1,0,1]
	v_fmac_f32_e32 v127, v79, v62
	v_pk_fma_f32 v[58:59], v[80:81], v[64:65], v[46:47] op_sel_hi:[1,0,1]
	v_fma_f32 v126, v78, v62, -v39
	v_pk_add_f32 v[54:55], v[54:55], v[124:125]
	v_pk_fma_f32 v[46:47], v[80:81], v[64:65], v[46:47] neg_lo:[0,0,1] neg_hi:[0,0,1]
	v_pk_fma_f32 v[48:49], v[82:83], v[66:67], v[48:49] neg_lo:[0,0,1] neg_hi:[0,0,1]
	v_pk_mul_f32 v[50:51], v[118:119], v[50:51] op_sel_hi:[1,0]
	v_dual_mov_b32 v47, v59 :: v_dual_mov_b32 v49, v61
	v_pk_add_f32 v[54:55], v[54:55], v[126:127]
	v_pk_mul_f32 v[52:53], v[86:87], v[70:71] op_sel:[1,1] op_sel_hi:[0,1]
	s_delay_alu instid0(VALU_DEP_4)
	v_pk_fma_f32 v[60:61], v[84:85], v[68:69], v[50:51] op_sel_hi:[1,0,1]
	v_pk_fma_f32 v[50:51], v[84:85], v[68:69], v[50:51] neg_lo:[0,0,1] neg_hi:[0,0,1]
	v_pk_mul_f32 v[56:57], v[120:121], v[56:57] op_sel_hi:[1,0]
	v_pk_add_f32 v[46:47], v[54:55], v[46:47]
	v_pk_fma_f32 v[54:55], v[86:87], v[70:71], v[52:53] op_sel_hi:[1,0,1]
	v_mov_b32_e32 v51, v61
	v_pk_fma_f32 v[52:53], v[86:87], v[70:71], v[52:53] neg_lo:[0,0,1] neg_hi:[0,0,1]
	s_wait_loadcnt 0x2
	v_pk_mul_f32 v[58:59], v[90:91], v[74:75] op_sel:[1,1] op_sel_hi:[0,1]
	v_pk_add_f32 v[46:47], v[46:47], v[48:49]
	v_dual_mov_b32 v48, v77 :: v_dual_mov_b32 v53, v55
	v_pk_fma_f32 v[54:55], v[88:89], v[72:73], v[56:57] op_sel_hi:[1,0,1]
	v_pk_fma_f32 v[56:57], v[88:89], v[72:73], v[56:57] neg_lo:[0,0,1] neg_hi:[0,0,1]
	s_delay_alu instid0(VALU_DEP_4)
	v_pk_add_f32 v[46:47], v[46:47], v[50:51]
	v_pk_fma_f32 v[50:51], v[90:91], v[74:75], v[58:59] op_sel_hi:[1,0,1]
	v_pk_mul_f32 v[48:49], v[122:123], v[48:49] op_sel_hi:[1,0]
	v_mov_b32_e32 v57, v55
	s_wait_loadcnt_dscnt 0x100
	v_pk_mul_f32 v[54:55], v[114:115], v[110:111] op_sel:[1,1] op_sel_hi:[0,1]
	v_pk_add_f32 v[46:47], v[46:47], v[52:53]
	v_pk_fma_f32 v[52:53], v[90:91], v[74:75], v[58:59] neg_lo:[0,0,1] neg_hi:[0,0,1]
	v_mov_b32_e32 v53, v51
	v_pk_fma_f32 v[50:51], v[92:93], v[76:77], v[48:49] op_sel_hi:[1,0,1]
	v_pk_fma_f32 v[48:49], v[92:93], v[76:77], v[48:49] neg_lo:[0,0,1] neg_hi:[0,0,1]
	v_pk_add_f32 v[46:47], v[46:47], v[56:57]
	s_delay_alu instid0(VALU_DEP_3) | instskip(SKIP_1) | instid1(VALU_DEP_3)
	v_mov_b32_e32 v49, v51
	v_pk_fma_f32 v[50:51], v[114:115], v[110:111], v[54:55] op_sel_hi:[1,0,1]
	v_pk_add_f32 v[46:47], v[46:47], v[52:53]
	v_pk_fma_f32 v[52:53], v[114:115], v[110:111], v[54:55] neg_lo:[0,0,1] neg_hi:[0,0,1]
	s_delay_alu instid0(VALU_DEP_3) | instskip(NEXT) | instid1(VALU_DEP_3)
	v_mov_b32_e32 v53, v51
	v_pk_add_f32 v[46:47], v[46:47], v[48:49]
	s_delay_alu instid0(VALU_DEP_1) | instskip(SKIP_1) | instid1(VALU_DEP_1)
	v_pk_add_f32 v[46:47], v[46:47], v[52:53]
	s_wait_loadcnt 0x0
	v_pk_add_f32 v[46:47], v[112:113], v[46:47] neg_lo:[0,1] neg_hi:[0,1]
	scratch_store_b64 off, v[46:47], off offset:32
	s_wait_xcnt 0x0
	v_cmpx_lt_u32_e32 3, v0
	s_cbranch_execz .LBB85_139
; %bb.138:
	scratch_load_b64 v[46:47], off, off offset:24
	v_mov_b64_e32 v[48:49], 0
	scratch_store_b64 off, v[48:49], off offset:24
	s_wait_loadcnt 0x0
	ds_store_b64 v1, v[46:47]
.LBB85_139:
	s_wait_xcnt 0x0
	s_or_b32 exec_lo, exec_lo, s0
	s_wait_storecnt_dscnt 0x0
	s_barrier_signal -1
	s_barrier_wait -1
	s_clause 0x9
	scratch_load_b128 v[46:49], off, off offset:32
	scratch_load_b128 v[50:53], off, off offset:48
	;; [unrolled: 1-line block ×9, first 2 shown]
	scratch_load_b64 v[118:119], off, off offset:24
	ds_load_b128 v[82:85], v7 offset:288
	ds_load_b128 v[86:89], v7 offset:304
	;; [unrolled: 1-line block ×9, first 2 shown]
	s_mov_b32 s0, exec_lo
	s_wait_dscnt 0x8
	v_dual_mov_b32 v120, v85 :: v_dual_mov_b32 v121, v84
	s_wait_dscnt 0x7
	v_dual_mov_b32 v122, v89 :: v_dual_mov_b32 v123, v88
	;; [unrolled: 2-line block ×4, first 2 shown]
	s_wait_loadcnt_dscnt 0x904
	v_dual_mul_f32 v7, v98, v47 :: v_dual_mul_f32 v9, v100, v49
	v_dual_mul_f32 v23, v99, v47 :: v_dual_mul_f32 v25, v101, v49
	s_wait_loadcnt_dscnt 0x803
	v_dual_mul_f32 v11, v102, v51 :: v_dual_mul_f32 v13, v104, v53
	s_delay_alu instid0(VALU_DEP_3) | instskip(SKIP_3) | instid1(VALU_DEP_3)
	v_dual_fmac_f32 v7, v99, v46 :: v_dual_fmac_f32 v9, v101, v48
	s_wait_loadcnt_dscnt 0x601
	v_dual_fma_f32 v23, v98, v46, -v23 :: v_dual_mul_f32 v35, v111, v59
	v_dual_mul_f32 v27, v103, v51 :: v_dual_mul_f32 v29, v105, v53
	v_dual_fma_f32 v25, v100, v48, -v25 :: v_dual_add_f32 v7, 0, v7
	s_delay_alu instid0(VALU_DEP_3) | instskip(SKIP_1) | instid1(VALU_DEP_3)
	v_dual_add_f32 v23, 0, v23 :: v_dual_mul_f32 v37, v113, v61
	v_dual_fmac_f32 v11, v103, v50 :: v_dual_fmac_f32 v13, v105, v52
	v_dual_fma_f32 v27, v102, v50, -v27 :: v_dual_add_f32 v7, v7, v9
	s_delay_alu instid0(VALU_DEP_3) | instskip(SKIP_2) | instid1(VALU_DEP_4)
	v_dual_add_f32 v9, v23, v25 :: v_dual_fma_f32 v25, v104, v52, -v29
	v_dual_mul_f32 v15, v106, v55 :: v_dual_mul_f32 v17, v108, v57
	v_dual_mul_f32 v31, v107, v55 :: v_dual_mul_f32 v33, v109, v57
	v_add_f32_e32 v7, v7, v11
	s_delay_alu instid0(VALU_DEP_3) | instskip(NEXT) | instid1(VALU_DEP_3)
	v_dual_add_f32 v9, v9, v27 :: v_dual_fmac_f32 v15, v107, v54
	v_fma_f32 v27, v106, v54, -v31
	v_dual_mul_f32 v19, v110, v59 :: v_dual_mul_f32 v21, v112, v61
	s_delay_alu instid0(VALU_DEP_4) | instskip(NEXT) | instid1(VALU_DEP_4)
	v_dual_add_f32 v7, v7, v13 :: v_dual_fmac_f32 v17, v109, v56
	v_dual_add_f32 v9, v9, v25 :: v_dual_fma_f32 v13, v108, v56, -v33
	s_wait_loadcnt 0x4
	s_delay_alu instid0(VALU_DEP_2) | instskip(NEXT) | instid1(VALU_DEP_2)
	v_dual_mov_b32 v48, v69 :: v_dual_add_f32 v7, v7, v15
	v_dual_fmac_f32 v19, v111, v58 :: v_dual_add_f32 v9, v9, v27
	v_fma_f32 v15, v110, v58, -v35
	s_wait_dscnt 0x0
	v_dual_mul_f32 v129, v114, v63 :: v_dual_mul_f32 v131, v116, v65
	v_add_f32_e32 v7, v7, v17
	v_dual_add_f32 v9, v9, v13 :: v_dual_fma_f32 v13, v112, v60, -v37
	v_dual_mul_f32 v23, v115, v63 :: v_dual_mul_f32 v11, v117, v65
	s_delay_alu instid0(VALU_DEP_3) | instskip(NEXT) | instid1(VALU_DEP_3)
	v_dual_fmac_f32 v21, v113, v60 :: v_dual_add_f32 v7, v7, v19
	v_dual_add_f32 v9, v9, v15 :: v_dual_fmac_f32 v129, v115, v62
	v_pk_mul_f32 v[46:47], v[82:83], v[66:67] op_sel:[1,1] op_sel_hi:[0,1]
	s_wait_loadcnt 0x3
	v_dual_mov_b32 v52, v73 :: v_dual_fma_f32 v128, v114, v62, -v23
	v_dual_add_f32 v55, v7, v21 :: v_dual_fmac_f32 v131, v117, v64
	v_dual_add_f32 v54, v9, v13 :: v_dual_fma_f32 v130, v116, v64, -v11
	v_pk_fma_f32 v[56:57], v[82:83], v[66:67], v[46:47] op_sel_hi:[1,0,1]
	v_pk_mul_f32 v[48:49], v[120:121], v[48:49] op_sel_hi:[1,0]
	v_pk_fma_f32 v[46:47], v[82:83], v[66:67], v[46:47] neg_lo:[0,0,1] neg_hi:[0,0,1]
	s_delay_alu instid0(VALU_DEP_4)
	v_pk_add_f32 v[54:55], v[54:55], v[128:129]
	v_pk_mul_f32 v[50:51], v[86:87], v[70:71] op_sel:[1,1] op_sel_hi:[0,1]
	v_mov_b32_e32 v47, v57
	v_pk_fma_f32 v[56:57], v[84:85], v[68:69], v[48:49] op_sel_hi:[1,0,1]
	v_pk_fma_f32 v[48:49], v[84:85], v[68:69], v[48:49] neg_lo:[0,0,1] neg_hi:[0,0,1]
	v_pk_add_f32 v[54:55], v[54:55], v[130:131]
	v_pk_fma_f32 v[60:61], v[86:87], v[70:71], v[50:51] op_sel_hi:[1,0,1]
	v_pk_mul_f32 v[52:53], v[122:123], v[52:53] op_sel_hi:[1,0]
	v_mov_b32_e32 v49, v57
	s_wait_loadcnt 0x2
	v_pk_mul_f32 v[58:59], v[90:91], v[74:75] op_sel:[1,1] op_sel_hi:[0,1]
	v_pk_add_f32 v[46:47], v[54:55], v[46:47]
	v_mov_b32_e32 v54, v77
	v_pk_fma_f32 v[50:51], v[86:87], v[70:71], v[50:51] neg_lo:[0,0,1] neg_hi:[0,0,1]
	v_mov_b32_e32 v51, v61
	v_pk_fma_f32 v[56:57], v[88:89], v[72:73], v[52:53] op_sel_hi:[1,0,1]
	v_pk_add_f32 v[46:47], v[46:47], v[48:49]
	v_pk_fma_f32 v[48:49], v[90:91], v[74:75], v[58:59] op_sel_hi:[1,0,1]
	v_pk_mul_f32 v[54:55], v[124:125], v[54:55] op_sel_hi:[1,0]
	v_pk_fma_f32 v[52:53], v[88:89], v[72:73], v[52:53] neg_lo:[0,0,1] neg_hi:[0,0,1]
	v_mov_b32_e32 v53, v57
	v_pk_add_f32 v[46:47], v[46:47], v[50:51]
	v_pk_fma_f32 v[56:57], v[90:91], v[74:75], v[58:59] neg_lo:[0,0,1] neg_hi:[0,0,1]
	v_mov_b32_e32 v57, v49
	v_pk_fma_f32 v[48:49], v[92:93], v[76:77], v[54:55] op_sel_hi:[1,0,1]
	s_wait_loadcnt 0x1
	v_pk_mul_f32 v[50:51], v[94:95], v[78:79] op_sel:[1,1] op_sel_hi:[0,1]
	v_pk_add_f32 v[46:47], v[46:47], v[52:53]
	v_mov_b32_e32 v48, v81
	v_pk_fma_f32 v[54:55], v[92:93], v[76:77], v[54:55] neg_lo:[0,0,1] neg_hi:[0,0,1]
	v_mov_b32_e32 v55, v49
	v_pk_fma_f32 v[52:53], v[94:95], v[78:79], v[50:51] op_sel_hi:[1,0,1]
	v_pk_add_f32 v[46:47], v[46:47], v[56:57]
	v_pk_mul_f32 v[48:49], v[126:127], v[48:49] op_sel_hi:[1,0]
	v_pk_fma_f32 v[50:51], v[94:95], v[78:79], v[50:51] neg_lo:[0,0,1] neg_hi:[0,0,1]
	s_delay_alu instid0(VALU_DEP_4) | instskip(NEXT) | instid1(VALU_DEP_4)
	v_mov_b32_e32 v51, v53
	v_pk_add_f32 v[46:47], v[46:47], v[54:55]
	s_delay_alu instid0(VALU_DEP_4) | instskip(SKIP_1) | instid1(VALU_DEP_2)
	v_pk_fma_f32 v[52:53], v[96:97], v[80:81], v[48:49] op_sel_hi:[1,0,1]
	v_pk_fma_f32 v[48:49], v[96:97], v[80:81], v[48:49] neg_lo:[0,0,1] neg_hi:[0,0,1]
	v_mov_b32_e32 v49, v53
	s_delay_alu instid0(VALU_DEP_4) | instskip(NEXT) | instid1(VALU_DEP_1)
	v_pk_add_f32 v[46:47], v[46:47], v[50:51]
	v_pk_add_f32 v[46:47], v[46:47], v[48:49]
	s_wait_loadcnt 0x0
	s_delay_alu instid0(VALU_DEP_1)
	v_pk_add_f32 v[46:47], v[118:119], v[46:47] neg_lo:[0,1] neg_hi:[0,1]
	scratch_store_b64 off, v[46:47], off offset:24
	s_wait_xcnt 0x0
	v_cmpx_lt_u32_e32 2, v0
	s_cbranch_execz .LBB85_141
; %bb.140:
	scratch_load_b64 v[46:47], off, off offset:16
	v_mov_b64_e32 v[48:49], 0
	scratch_store_b64 off, v[48:49], off offset:16
	s_wait_loadcnt 0x0
	ds_store_b64 v1, v[46:47]
.LBB85_141:
	s_wait_xcnt 0x0
	s_or_b32 exec_lo, exec_lo, s0
	s_wait_storecnt_dscnt 0x0
	s_barrier_signal -1
	s_barrier_wait -1
	s_clause 0xa
	scratch_load_b128 v[46:49], off, off offset:24
	scratch_load_b128 v[50:53], off, off offset:40
	;; [unrolled: 1-line block ×9, first 2 shown]
	scratch_load_b64 v[118:119], off, off offset:168
	scratch_load_b64 v[120:121], off, off offset:16
	v_mov_b32_e32 v25, 0
	ds_load_2addr_b64 v[82:85], v25 offset0:35 offset1:36
	ds_load_2addr_b64 v[86:89], v25 offset0:37 offset1:38
	;; [unrolled: 1-line block ×9, first 2 shown]
	ds_load_b64 v[122:123], v25 offset:344
	s_mov_b32 s0, exec_lo
	s_wait_dscnt 0x9
	v_dual_mov_b32 v124, v85 :: v_dual_mov_b32 v125, v84
	s_wait_dscnt 0x6
	v_dual_mov_b32 v126, v89 :: v_dual_mov_b32 v131, v96
	v_dual_mov_b32 v127, v88 :: v_dual_mov_b32 v128, v93
	;; [unrolled: 1-line block ×3, first 2 shown]
	s_wait_loadcnt_dscnt 0xa05
	v_dual_mul_f32 v7, v98, v47 :: v_dual_mul_f32 v27, v99, v47
	v_dual_mul_f32 v29, v101, v49 :: v_dual_mul_f32 v9, v100, v49
	s_wait_loadcnt_dscnt 0x904
	v_mul_f32_e32 v11, v102, v51
	s_wait_loadcnt_dscnt 0x702
	v_dual_mul_f32 v39, v111, v59 :: v_dual_fma_f32 v27, v98, v46, -v27
	v_dual_fmac_f32 v7, v99, v46 :: v_dual_mul_f32 v41, v113, v61
	v_dual_mul_f32 v31, v103, v51 :: v_dual_mul_f32 v33, v105, v53
	s_delay_alu instid0(VALU_DEP_2) | instskip(NEXT) | instid1(VALU_DEP_4)
	v_dual_fmac_f32 v9, v101, v48 :: v_dual_add_f32 v7, 0, v7
	v_dual_fma_f32 v29, v100, v48, -v29 :: v_dual_add_f32 v27, 0, v27
	v_dual_mul_f32 v13, v104, v53 :: v_dual_mul_f32 v15, v106, v55
	s_wait_loadcnt_dscnt 0x601
	v_dual_mul_f32 v43, v115, v63 :: v_dual_fma_f32 v31, v102, v50, -v31
	v_fmac_f32_e32 v11, v103, v50
	s_delay_alu instid0(VALU_DEP_3) | instskip(SKIP_2) | instid1(VALU_DEP_3)
	v_dual_add_f32 v7, v7, v9 :: v_dual_fmac_f32 v13, v105, v52
	v_dual_add_f32 v9, v27, v29 :: v_dual_fma_f32 v29, v104, v52, -v33
	v_dual_mul_f32 v35, v107, v55 :: v_dual_mul_f32 v37, v109, v57
	v_dual_mul_f32 v27, v117, v65 :: v_dual_add_f32 v7, v7, v11
	s_delay_alu instid0(VALU_DEP_3) | instskip(SKIP_2) | instid1(VALU_DEP_2)
	v_dual_add_f32 v9, v9, v31 :: v_dual_fmac_f32 v15, v107, v54
	v_dual_mul_f32 v17, v108, v57 :: v_dual_mul_f32 v19, v110, v59
	s_wait_loadcnt 0x5
	v_dual_mul_f32 v11, v83, v67 :: v_dual_add_f32 v9, v9, v29
	v_dual_fma_f32 v31, v106, v54, -v35 :: v_dual_add_f32 v7, v7, v13
	v_mov_b32_e32 v46, v69
	v_fmac_f32_e32 v17, v109, v56
	s_delay_alu instid0(VALU_DEP_3) | instskip(NEXT) | instid1(VALU_DEP_4)
	v_dual_fma_f32 v13, v108, v56, -v37 :: v_dual_add_f32 v9, v9, v31
	v_dual_add_f32 v7, v7, v15 :: v_dual_mul_f32 v21, v112, v61
	v_dual_mul_f32 v23, v114, v63 :: v_dual_fmac_f32 v19, v111, v58
	s_delay_alu instid0(VALU_DEP_3) | instskip(SKIP_1) | instid1(VALU_DEP_3)
	v_dual_add_f32 v9, v9, v13 :: v_dual_fma_f32 v15, v110, v58, -v39
	s_wait_loadcnt 0x4
	v_dual_add_f32 v7, v7, v17 :: v_dual_mov_b32 v50, v73
	v_fma_f32 v13, v112, v60, -v41
	v_fmac_f32_e32 v21, v113, v60
	v_dual_add_f32 v9, v9, v15 :: v_dual_fmac_f32 v23, v115, v62
	s_delay_alu instid0(VALU_DEP_4) | instskip(SKIP_1) | instid1(VALU_DEP_3)
	v_dual_add_f32 v7, v7, v19 :: v_dual_mul_f32 v133, v116, v65
	v_mul_f32_e32 v135, v82, v67
	v_dual_fma_f32 v15, v114, v62, -v43 :: v_dual_add_f32 v9, v9, v13
	s_delay_alu instid0(VALU_DEP_3) | instskip(NEXT) | instid1(VALU_DEP_4)
	v_dual_fma_f32 v132, v116, v64, -v27 :: v_dual_add_f32 v7, v7, v21
	v_fmac_f32_e32 v133, v117, v64
	v_pk_mul_f32 v[46:47], v[124:125], v[46:47] op_sel_hi:[1,0]
	s_delay_alu instid0(VALU_DEP_4) | instskip(NEXT) | instid1(VALU_DEP_4)
	v_dual_add_f32 v54, v9, v15 :: v_dual_fmac_f32 v135, v83, v66
	v_add_f32_e32 v55, v7, v23
	v_pk_mul_f32 v[48:49], v[86:87], v[70:71] op_sel:[1,1] op_sel_hi:[0,1]
	s_wait_loadcnt 0x3
	v_dual_mov_b32 v56, v77 :: v_dual_fma_f32 v134, v82, v66, -v11
	v_pk_fma_f32 v[58:59], v[84:85], v[68:69], v[46:47] op_sel_hi:[1,0,1]
	v_pk_add_f32 v[54:55], v[54:55], v[132:133]
	v_pk_fma_f32 v[46:47], v[84:85], v[68:69], v[46:47] neg_lo:[0,0,1] neg_hi:[0,0,1]
	v_pk_fma_f32 v[60:61], v[86:87], v[70:71], v[48:49] op_sel_hi:[1,0,1]
	v_pk_mul_f32 v[50:51], v[126:127], v[50:51] op_sel_hi:[1,0]
	v_mov_b32_e32 v47, v59
	v_pk_add_f32 v[54:55], v[54:55], v[134:135]
	v_pk_fma_f32 v[48:49], v[86:87], v[70:71], v[48:49] neg_lo:[0,0,1] neg_hi:[0,0,1]
	v_pk_mul_f32 v[52:53], v[90:91], v[74:75] op_sel:[1,1] op_sel_hi:[0,1]
	v_mov_b32_e32 v49, v61
	v_pk_fma_f32 v[60:61], v[88:89], v[72:73], v[50:51] op_sel_hi:[1,0,1]
	v_pk_add_f32 v[46:47], v[54:55], v[46:47]
	v_pk_fma_f32 v[50:51], v[88:89], v[72:73], v[50:51] neg_lo:[0,0,1] neg_hi:[0,0,1]
	v_pk_fma_f32 v[54:55], v[90:91], v[74:75], v[52:53] op_sel_hi:[1,0,1]
	v_pk_mul_f32 v[56:57], v[128:129], v[56:57] op_sel_hi:[1,0]
	v_mov_b32_e32 v51, v61
	v_pk_add_f32 v[46:47], v[46:47], v[48:49]
	v_pk_fma_f32 v[52:53], v[90:91], v[74:75], v[52:53] neg_lo:[0,0,1] neg_hi:[0,0,1]
	s_wait_loadcnt 0x2
	v_pk_mul_f32 v[58:59], v[94:95], v[78:79] op_sel:[1,1] op_sel_hi:[0,1]
	v_dual_mov_b32 v48, v81 :: v_dual_mov_b32 v53, v55
	v_pk_fma_f32 v[54:55], v[92:93], v[76:77], v[56:57] op_sel_hi:[1,0,1]
	v_pk_add_f32 v[46:47], v[46:47], v[50:51]
	v_pk_fma_f32 v[56:57], v[92:93], v[76:77], v[56:57] neg_lo:[0,0,1] neg_hi:[0,0,1]
	v_pk_fma_f32 v[50:51], v[94:95], v[78:79], v[58:59] op_sel_hi:[1,0,1]
	v_pk_mul_f32 v[48:49], v[130:131], v[48:49] op_sel_hi:[1,0]
	v_mov_b32_e32 v57, v55
	v_pk_add_f32 v[46:47], v[46:47], v[52:53]
	v_pk_fma_f32 v[52:53], v[94:95], v[78:79], v[58:59] neg_lo:[0,0,1] neg_hi:[0,0,1]
	v_mov_b32_e32 v53, v51
	v_pk_fma_f32 v[50:51], v[96:97], v[80:81], v[48:49] op_sel_hi:[1,0,1]
	s_wait_loadcnt_dscnt 0x100
	v_pk_mul_f32 v[54:55], v[122:123], v[118:119] op_sel:[1,1] op_sel_hi:[0,1]
	v_pk_add_f32 v[46:47], v[46:47], v[56:57]
	v_pk_fma_f32 v[48:49], v[96:97], v[80:81], v[48:49] neg_lo:[0,0,1] neg_hi:[0,0,1]
	v_mov_b32_e32 v49, v51
	s_delay_alu instid0(VALU_DEP_4) | instskip(NEXT) | instid1(VALU_DEP_4)
	v_pk_fma_f32 v[50:51], v[122:123], v[118:119], v[54:55] op_sel_hi:[1,0,1]
	v_pk_add_f32 v[46:47], v[46:47], v[52:53]
	v_pk_fma_f32 v[52:53], v[122:123], v[118:119], v[54:55] neg_lo:[0,0,1] neg_hi:[0,0,1]
	s_delay_alu instid0(VALU_DEP_3) | instskip(NEXT) | instid1(VALU_DEP_3)
	v_mov_b32_e32 v53, v51
	v_pk_add_f32 v[46:47], v[46:47], v[48:49]
	s_delay_alu instid0(VALU_DEP_1) | instskip(SKIP_1) | instid1(VALU_DEP_1)
	v_pk_add_f32 v[46:47], v[46:47], v[52:53]
	s_wait_loadcnt 0x0
	v_pk_add_f32 v[46:47], v[120:121], v[46:47] neg_lo:[0,1] neg_hi:[0,1]
	scratch_store_b64 off, v[46:47], off offset:16
	s_wait_xcnt 0x0
	v_cmpx_lt_u32_e32 1, v0
	s_cbranch_execz .LBB85_143
; %bb.142:
	scratch_load_b64 v[46:47], off, off offset:8
	v_mov_b64_e32 v[48:49], 0
	scratch_store_b64 off, v[48:49], off offset:8
	s_wait_loadcnt 0x0
	ds_store_b64 v1, v[46:47]
.LBB85_143:
	s_wait_xcnt 0x0
	s_or_b32 exec_lo, exec_lo, s0
	s_wait_storecnt_dscnt 0x0
	s_barrier_signal -1
	s_barrier_wait -1
	s_clause 0xa
	scratch_load_b128 v[46:49], off, off offset:16
	scratch_load_b128 v[50:53], off, off offset:32
	;; [unrolled: 1-line block ×10, first 2 shown]
	scratch_load_b64 v[126:127], off, off offset:8
	ds_load_b128 v[86:89], v25 offset:288
	ds_load_b128 v[90:93], v25 offset:304
	;; [unrolled: 1-line block ×10, first 2 shown]
	v_ashrrev_i32_e32 v23, 31, v22
	v_dual_ashrrev_i32 v7, 31, v6 :: v_dual_ashrrev_i32 v9, 31, v8
	v_dual_ashrrev_i32 v11, 31, v10 :: v_dual_ashrrev_i32 v13, 31, v12
	;; [unrolled: 1-line block ×4, first 2 shown]
	s_mov_b32 s0, exec_lo
	s_wait_dscnt 0x9
	v_dual_mov_b32 v128, v89 :: v_dual_mov_b32 v129, v88
	s_wait_dscnt 0x8
	v_dual_mov_b32 v130, v93 :: v_dual_mov_b32 v131, v92
	;; [unrolled: 2-line block ×3, first 2 shown]
	v_dual_mov_b32 v133, v100 :: v_dual_mov_b32 v134, v105
	s_wait_loadcnt 0xa
	v_dual_mul_f32 v25, v94, v47 :: v_dual_mul_f32 v27, v96, v49
	v_dual_mul_f32 v29, v95, v47 :: v_dual_mul_f32 v31, v97, v49
	s_wait_loadcnt_dscnt 0x500
	v_dual_mul_f32 v33, v106, v51 :: v_dual_mul_f32 v49, v124, v69
	s_delay_alu instid0(VALU_DEP_3) | instskip(NEXT) | instid1(VALU_DEP_3)
	v_fmac_f32_e32 v25, v95, v46
	v_dual_fma_f32 v29, v94, v46, -v29 :: v_dual_mul_f32 v46, v115, v59
	v_dual_mul_f32 v35, v108, v53 :: v_dual_mul_f32 v37, v107, v51
	s_delay_alu instid0(VALU_DEP_3) | instskip(NEXT) | instid1(VALU_DEP_3)
	v_dual_fmac_f32 v27, v97, v48 :: v_dual_add_f32 v25, 0, v25
	v_dual_fma_f32 v31, v96, v48, -v31 :: v_dual_add_f32 v29, 0, v29
	v_dual_mul_f32 v39, v109, v53 :: v_dual_mul_f32 v41, v110, v55
	v_dual_mul_f32 v48, v117, v61 :: v_dual_fmac_f32 v33, v107, v50
	s_delay_alu instid0(VALU_DEP_4) | instskip(NEXT) | instid1(VALU_DEP_3)
	v_dual_fma_f32 v37, v106, v50, -v37 :: v_dual_add_f32 v25, v25, v27
	v_dual_add_f32 v27, v29, v31 :: v_dual_fma_f32 v31, v108, v52, -v39
	v_dual_mul_f32 v43, v112, v57 :: v_dual_mul_f32 v45, v111, v55
	v_dual_mul_f32 v29, v119, v63 :: v_dual_fmac_f32 v35, v109, v52
	s_delay_alu instid0(VALU_DEP_4) | instskip(NEXT) | instid1(VALU_DEP_3)
	v_dual_add_f32 v25, v25, v33 :: v_dual_fmac_f32 v41, v111, v54
	v_dual_add_f32 v27, v27, v37 :: v_dual_fma_f32 v37, v110, v54, -v45
	v_dual_mul_f32 v51, v113, v57 :: v_dual_mul_f32 v53, v114, v59
	s_delay_alu instid0(VALU_DEP_2) | instskip(NEXT) | instid1(VALU_DEP_2)
	v_dual_mul_f32 v33, v121, v65 :: v_dual_add_f32 v27, v27, v31
	v_dual_add_f32 v25, v25, v35 :: v_dual_fma_f32 v35, v112, v56, -v51
	v_dual_mul_f32 v31, v123, v67 :: v_dual_fmac_f32 v43, v113, v56
	s_delay_alu instid0(VALU_DEP_3) | instskip(NEXT) | instid1(VALU_DEP_3)
	v_dual_add_f32 v27, v27, v37 :: v_dual_fma_f32 v39, v114, v58, -v46
	v_dual_add_f32 v25, v25, v41 :: v_dual_fmac_f32 v53, v115, v58
	v_dual_mul_f32 v55, v116, v61 :: v_dual_mul_f32 v57, v118, v63
	s_delay_alu instid0(VALU_DEP_3) | instskip(NEXT) | instid1(VALU_DEP_3)
	v_dual_mul_f32 v37, v125, v69 :: v_dual_add_f32 v27, v27, v35
	v_dual_add_f32 v25, v25, v43 :: v_dual_fma_f32 v35, v116, v60, -v48
	s_delay_alu instid0(VALU_DEP_3) | instskip(NEXT) | instid1(VALU_DEP_2)
	v_dual_fmac_f32 v55, v117, v60 :: v_dual_mul_f32 v136, v120, v65
	v_dual_mul_f32 v47, v122, v67 :: v_dual_add_f32 v25, v25, v53
	v_fmac_f32_e32 v57, v119, v62
	s_wait_loadcnt 0x4
	v_dual_add_f32 v27, v27, v39 :: v_dual_mov_b32 v52, v73
	s_delay_alu instid0(VALU_DEP_3) | instskip(NEXT) | instid1(VALU_DEP_2)
	v_dual_fma_f32 v29, v118, v62, -v29 :: v_dual_add_f32 v25, v25, v55
	v_dual_fma_f32 v33, v120, v64, -v33 :: v_dual_add_f32 v27, v27, v35
	v_fmac_f32_e32 v136, v121, v64
	v_pk_mul_f32 v[50:51], v[86:87], v[70:71] op_sel:[1,1] op_sel_hi:[0,1]
	s_delay_alu instid0(VALU_DEP_4) | instskip(SKIP_2) | instid1(VALU_DEP_2)
	v_dual_add_f32 v25, v25, v57 :: v_dual_fmac_f32 v47, v123, v66
	s_wait_loadcnt 0x3
	v_dual_add_f32 v27, v27, v29 :: v_dual_mov_b32 v56, v77
	v_dual_fma_f32 v46, v122, v66, -v31 :: v_dual_add_f32 v59, v25, v136
	s_delay_alu instid0(VALU_DEP_2)
	v_dual_fmac_f32 v49, v125, v68 :: v_dual_add_f32 v58, v27, v33
	v_pk_fma_f32 v[60:61], v[86:87], v[70:71], v[50:51] op_sel_hi:[1,0,1]
	v_fma_f32 v48, v124, v68, -v37
	v_pk_mul_f32 v[52:53], v[128:129], v[52:53] op_sel_hi:[1,0]
	v_pk_fma_f32 v[50:51], v[86:87], v[70:71], v[50:51] neg_lo:[0,0,1] neg_hi:[0,0,1]
	v_pk_add_f32 v[46:47], v[58:59], v[46:47]
	v_pk_mul_f32 v[54:55], v[90:91], v[74:75] op_sel:[1,1] op_sel_hi:[0,1]
	v_mov_b32_e32 v51, v61
	v_pk_fma_f32 v[60:61], v[88:89], v[72:73], v[52:53] op_sel_hi:[1,0,1]
	v_pk_fma_f32 v[52:53], v[88:89], v[72:73], v[52:53] neg_lo:[0,0,1] neg_hi:[0,0,1]
	v_pk_add_f32 v[46:47], v[46:47], v[48:49]
	v_pk_fma_f32 v[48:49], v[90:91], v[74:75], v[54:55] op_sel_hi:[1,0,1]
	v_pk_mul_f32 v[56:57], v[130:131], v[56:57] op_sel_hi:[1,0]
	s_wait_loadcnt 0x2
	v_dual_mov_b32 v53, v61 :: v_dual_mov_b32 v48, v81
	v_pk_add_f32 v[46:47], v[46:47], v[50:51]
	v_pk_mul_f32 v[58:59], v[98:99], v[78:79] op_sel:[1,1] op_sel_hi:[0,1]
	v_pk_fma_f32 v[50:51], v[90:91], v[74:75], v[54:55] neg_lo:[0,0,1] neg_hi:[0,0,1]
	v_pk_fma_f32 v[54:55], v[92:93], v[76:77], v[56:57] op_sel_hi:[1,0,1]
	v_mov_b32_e32 v51, v49
	v_pk_add_f32 v[46:47], v[46:47], v[52:53]
	v_pk_fma_f32 v[52:53], v[98:99], v[78:79], v[58:59] op_sel_hi:[1,0,1]
	v_pk_mul_f32 v[48:49], v[132:133], v[48:49] op_sel_hi:[1,0]
	v_pk_fma_f32 v[56:57], v[92:93], v[76:77], v[56:57] neg_lo:[0,0,1] neg_hi:[0,0,1]
	v_mov_b32_e32 v57, v55
	v_pk_add_f32 v[46:47], v[46:47], v[50:51]
	v_pk_fma_f32 v[54:55], v[98:99], v[78:79], v[58:59] neg_lo:[0,0,1] neg_hi:[0,0,1]
	v_mov_b32_e32 v55, v53
	v_pk_fma_f32 v[52:53], v[100:101], v[80:81], v[48:49] op_sel_hi:[1,0,1]
	s_wait_loadcnt 0x1
	v_pk_mul_f32 v[50:51], v[102:103], v[82:83] op_sel:[1,1] op_sel_hi:[0,1]
	v_pk_add_f32 v[46:47], v[46:47], v[56:57]
	v_mov_b32_e32 v52, v85
	v_pk_fma_f32 v[48:49], v[100:101], v[80:81], v[48:49] neg_lo:[0,0,1] neg_hi:[0,0,1]
	v_dual_mov_b32 v49, v53 :: v_dual_ashrrev_i32 v25, 31, v24
	v_pk_fma_f32 v[56:57], v[102:103], v[82:83], v[50:51] op_sel_hi:[1,0,1]
	v_pk_add_f32 v[46:47], v[46:47], v[54:55]
	v_pk_mul_f32 v[52:53], v[134:135], v[52:53] op_sel_hi:[1,0]
	v_pk_fma_f32 v[50:51], v[102:103], v[82:83], v[50:51] neg_lo:[0,0,1] neg_hi:[0,0,1]
	s_delay_alu instid0(VALU_DEP_4) | instskip(NEXT) | instid1(VALU_DEP_4)
	v_dual_ashrrev_i32 v27, 31, v26 :: v_dual_mov_b32 v51, v57
	v_pk_add_f32 v[46:47], v[46:47], v[48:49]
	s_delay_alu instid0(VALU_DEP_4)
	v_pk_fma_f32 v[48:49], v[104:105], v[84:85], v[52:53] op_sel_hi:[1,0,1]
	v_pk_fma_f32 v[52:53], v[104:105], v[84:85], v[52:53] neg_lo:[0,0,1] neg_hi:[0,0,1]
	v_dual_ashrrev_i32 v29, 31, v28 :: v_dual_ashrrev_i32 v31, 31, v30
	v_ashrrev_i32_e32 v33, 31, v32
	v_pk_add_f32 v[46:47], v[46:47], v[50:51]
	v_dual_mov_b32 v53, v49 :: v_dual_ashrrev_i32 v35, 31, v34
	v_dual_ashrrev_i32 v37, 31, v36 :: v_dual_ashrrev_i32 v39, 31, v38
	v_ashrrev_i32_e32 v41, 31, v40
	s_delay_alu instid0(VALU_DEP_3) | instskip(SKIP_2) | instid1(VALU_DEP_2)
	v_pk_add_f32 v[46:47], v[46:47], v[52:53]
	v_dual_ashrrev_i32 v43, 31, v42 :: v_dual_ashrrev_i32 v45, 31, v44
	s_wait_loadcnt 0x0
	v_pk_add_f32 v[46:47], v[126:127], v[46:47] neg_lo:[0,1] neg_hi:[0,1]
	scratch_store_b64 off, v[46:47], off offset:8
	s_wait_xcnt 0x0
	v_cmpx_ne_u32_e32 0, v0
	s_cbranch_execz .LBB85_145
; %bb.144:
	scratch_load_b64 v[46:47], off, off
	v_mov_b64_e32 v[48:49], 0
	scratch_store_b64 off, v[48:49], off
	s_wait_loadcnt 0x0
	ds_store_b64 v1, v[46:47]
.LBB85_145:
	s_wait_xcnt 0x0
	s_or_b32 exec_lo, exec_lo, s0
	s_wait_storecnt_dscnt 0x0
	s_barrier_signal -1
	s_barrier_wait -1
	s_clause 0xb
	scratch_load_b128 v[48:51], off, off offset:8
	scratch_load_b128 v[52:55], off, off offset:24
	;; [unrolled: 1-line block ×10, first 2 shown]
	scratch_load_b64 v[0:1], off, off offset:168
	scratch_load_b64 v[128:129], off, off
	v_mov_b32_e32 v46, 0
	ds_load_2addr_b64 v[88:91], v46 offset0:35 offset1:36
	ds_load_2addr_b64 v[92:95], v46 offset0:37 offset1:38
	;; [unrolled: 1-line block ×10, first 2 shown]
	ds_load_b64 v[130:131], v46 offset:344
	s_and_b32 vcc_lo, exec_lo, s12
	s_wait_dscnt 0xa
	v_dual_mov_b32 v132, v91 :: v_dual_mov_b32 v133, v90
	s_wait_dscnt 0x7
	v_dual_mov_b32 v134, v95 :: v_dual_mov_b32 v139, v102
	v_dual_mov_b32 v135, v94 :: v_dual_mov_b32 v136, v99
	;; [unrolled: 1-line block ×3, first 2 shown]
	s_wait_loadcnt_dscnt 0xb06
	v_dual_mul_f32 v47, v104, v49 :: v_dual_mul_f32 v49, v105, v49
	s_wait_loadcnt_dscnt 0xa05
	v_dual_mul_f32 v140, v106, v51 :: v_dual_mul_f32 v142, v108, v53
	;; [unrolled: 2-line block ×3, first 2 shown]
	v_dual_mul_f32 v51, v107, v51 :: v_dual_mul_f32 v61, v117, v61
	v_dual_fmac_f32 v47, v105, v48 :: v_dual_fma_f32 v48, v104, v48, -v49
	v_dual_mul_f32 v53, v109, v53 :: v_dual_mul_f32 v49, v119, v63
	s_delay_alu instid0(VALU_DEP_3) | instskip(NEXT) | instid1(VALU_DEP_3)
	v_dual_fmac_f32 v140, v107, v50 :: v_dual_fma_f32 v50, v106, v50, -v51
	v_dual_add_f32 v47, 0, v47 :: v_dual_add_f32 v48, 0, v48
	v_dual_mul_f32 v144, v110, v55 :: v_dual_mul_f32 v145, v112, v57
	s_wait_loadcnt_dscnt 0x702
	v_dual_mul_f32 v148, v118, v63 :: v_dual_mul_f32 v149, v120, v65
	v_dual_mul_f32 v55, v111, v55 :: v_dual_mul_f32 v63, v121, v65
	v_dual_fma_f32 v51, v108, v52, -v53 :: v_dual_fmac_f32 v142, v109, v52
	v_dual_add_f32 v48, v48, v50 :: v_dual_add_f32 v47, v47, v140
	s_delay_alu instid0(VALU_DEP_3) | instskip(SKIP_1) | instid1(VALU_DEP_3)
	v_dual_fma_f32 v50, v110, v54, -v55 :: v_dual_mul_f32 v57, v113, v57
	v_mul_f32_e32 v59, v115, v59
	v_dual_fmac_f32 v144, v111, v54 :: v_dual_add_f32 v48, v48, v51
	s_delay_alu instid0(VALU_DEP_4) | instskip(SKIP_2) | instid1(VALU_DEP_2)
	v_dual_add_f32 v47, v47, v142 :: v_dual_fmac_f32 v145, v113, v56
	s_wait_loadcnt_dscnt 0x601
	v_dual_fma_f32 v51, v112, v56, -v57 :: v_dual_mul_f32 v56, v127, v71
	v_dual_add_f32 v48, v48, v50 :: v_dual_add_f32 v47, v47, v144
	v_dual_fmac_f32 v146, v115, v58 :: v_dual_fma_f32 v50, v114, v58, -v59
	s_wait_loadcnt 0x5
	s_delay_alu instid0(VALU_DEP_2) | instskip(NEXT) | instid1(VALU_DEP_3)
	v_dual_mul_f32 v59, v89, v73 :: v_dual_add_f32 v48, v48, v51
	v_dual_add_f32 v47, v47, v145 :: v_dual_fmac_f32 v147, v117, v60
	v_dual_fma_f32 v51, v116, v60, -v61 :: v_dual_fmac_f32 v148, v119, v62
	v_fma_f32 v49, v118, v62, -v49
	s_delay_alu instid0(VALU_DEP_3) | instskip(SKIP_2) | instid1(VALU_DEP_3)
	v_add_f32_e32 v47, v47, v146
	v_dual_add_f32 v50, v48, v50 :: v_dual_mov_b32 v48, v75
	v_dual_mul_f32 v150, v122, v67 :: v_dual_mul_f32 v151, v124, v69
	v_dual_add_f32 v47, v47, v147 :: v_dual_fmac_f32 v149, v121, v64
	s_delay_alu instid0(VALU_DEP_3) | instskip(SKIP_1) | instid1(VALU_DEP_2)
	v_dual_add_f32 v52, v50, v51 :: v_dual_fma_f32 v54, v120, v64, -v63
	v_dual_mul_f32 v53, v123, v67 :: v_dual_mul_f32 v65, v125, v69
	v_dual_add_f32 v47, v47, v148 :: v_dual_add_f32 v49, v52, v49
	s_wait_loadcnt 0x4
	s_delay_alu instid0(VALU_DEP_2) | instskip(SKIP_1) | instid1(VALU_DEP_3)
	v_dual_mov_b32 v52, v79 :: v_dual_fma_f32 v53, v122, v66, -v53
	v_dual_fmac_f32 v150, v123, v66 :: v_dual_fmac_f32 v151, v125, v68
	v_dual_add_f32 v47, v47, v149 :: v_dual_add_f32 v49, v49, v54
	v_dual_mul_f32 v141, v126, v71 :: v_dual_mul_f32 v143, v88, v73
	s_delay_alu instid0(VALU_DEP_2) | instskip(NEXT) | instid1(VALU_DEP_2)
	v_dual_fma_f32 v58, v124, v68, -v65 :: v_dual_add_f32 v47, v47, v150
	v_dual_add_f32 v53, v49, v53 :: v_dual_fmac_f32 v141, v127, v70
	v_pk_mul_f32 v[50:51], v[92:93], v[76:77] op_sel:[1,1] op_sel_hi:[0,1]
	s_delay_alu instid0(VALU_DEP_3)
	v_dual_fma_f32 v140, v126, v70, -v56 :: v_dual_add_f32 v57, v47, v151
	v_pk_mul_f32 v[48:49], v[132:133], v[48:49] op_sel_hi:[1,0]
	s_wait_loadcnt 0x3
	v_dual_add_f32 v56, v53, v58 :: v_dual_mov_b32 v58, v83
	v_pk_fma_f32 v[62:63], v[92:93], v[76:77], v[50:51] op_sel_hi:[1,0,1]
	v_fmac_f32_e32 v143, v89, v72
	v_pk_fma_f32 v[60:61], v[90:91], v[74:75], v[48:49] op_sel_hi:[1,0,1]
	v_fma_f32 v142, v88, v72, -v59
	v_pk_add_f32 v[56:57], v[56:57], v[140:141]
	v_pk_fma_f32 v[48:49], v[90:91], v[74:75], v[48:49] neg_lo:[0,0,1] neg_hi:[0,0,1]
	v_pk_fma_f32 v[50:51], v[92:93], v[76:77], v[50:51] neg_lo:[0,0,1] neg_hi:[0,0,1]
	v_pk_mul_f32 v[52:53], v[134:135], v[52:53] op_sel_hi:[1,0]
	v_dual_mov_b32 v49, v61 :: v_dual_mov_b32 v51, v63
	v_pk_add_f32 v[56:57], v[56:57], v[142:143]
	v_pk_mul_f32 v[54:55], v[96:97], v[80:81] op_sel:[1,1] op_sel_hi:[0,1]
	s_delay_alu instid0(VALU_DEP_4)
	v_pk_fma_f32 v[62:63], v[94:95], v[78:79], v[52:53] op_sel_hi:[1,0,1]
	v_pk_fma_f32 v[52:53], v[94:95], v[78:79], v[52:53] neg_lo:[0,0,1] neg_hi:[0,0,1]
	v_pk_mul_f32 v[58:59], v[136:137], v[58:59] op_sel_hi:[1,0]
	v_pk_add_f32 v[48:49], v[56:57], v[48:49]
	v_pk_fma_f32 v[56:57], v[96:97], v[80:81], v[54:55] op_sel_hi:[1,0,1]
	v_mov_b32_e32 v53, v63
	v_pk_fma_f32 v[54:55], v[96:97], v[80:81], v[54:55] neg_lo:[0,0,1] neg_hi:[0,0,1]
	s_wait_loadcnt 0x2
	v_pk_mul_f32 v[60:61], v[100:101], v[84:85] op_sel:[1,1] op_sel_hi:[0,1]
	v_pk_add_f32 v[48:49], v[48:49], v[50:51]
	v_dual_mov_b32 v50, v87 :: v_dual_mov_b32 v55, v57
	v_pk_fma_f32 v[56:57], v[98:99], v[82:83], v[58:59] op_sel_hi:[1,0,1]
	v_pk_fma_f32 v[58:59], v[98:99], v[82:83], v[58:59] neg_lo:[0,0,1] neg_hi:[0,0,1]
	s_delay_alu instid0(VALU_DEP_4)
	v_pk_add_f32 v[48:49], v[48:49], v[52:53]
	v_pk_fma_f32 v[52:53], v[100:101], v[84:85], v[60:61] op_sel_hi:[1,0,1]
	v_pk_mul_f32 v[50:51], v[138:139], v[50:51] op_sel_hi:[1,0]
	v_mov_b32_e32 v59, v57
	v_pk_fma_f32 v[56:57], v[100:101], v[84:85], v[60:61] neg_lo:[0,0,1] neg_hi:[0,0,1]
	v_pk_add_f32 v[48:49], v[48:49], v[54:55]
	s_wait_loadcnt_dscnt 0x100
	v_pk_mul_f32 v[54:55], v[130:131], v[0:1] op_sel:[1,1] op_sel_hi:[0,1]
	v_mov_b32_e32 v57, v53
	v_pk_fma_f32 v[52:53], v[102:103], v[86:87], v[50:51] op_sel_hi:[1,0,1]
	v_pk_fma_f32 v[50:51], v[102:103], v[86:87], v[50:51] neg_lo:[0,0,1] neg_hi:[0,0,1]
	v_pk_add_f32 v[48:49], v[48:49], v[58:59]
	v_pk_fma_f32 v[58:59], v[130:131], v[0:1], v[54:55] op_sel_hi:[1,0,1]
	v_pk_fma_f32 v[0:1], v[130:131], v[0:1], v[54:55] neg_lo:[0,0,1] neg_hi:[0,0,1]
	v_mov_b32_e32 v51, v53
	s_delay_alu instid0(VALU_DEP_4) | instskip(NEXT) | instid1(VALU_DEP_4)
	v_pk_add_f32 v[48:49], v[48:49], v[56:57]
	v_mov_b32_e32 v1, v59
	s_delay_alu instid0(VALU_DEP_2) | instskip(NEXT) | instid1(VALU_DEP_1)
	v_pk_add_f32 v[48:49], v[48:49], v[50:51]
	v_pk_add_f32 v[0:1], v[48:49], v[0:1]
	s_wait_loadcnt 0x0
	s_delay_alu instid0(VALU_DEP_1)
	v_pk_add_f32 v[0:1], v[128:129], v[0:1] neg_lo:[0,1] neg_hi:[0,1]
	scratch_store_b64 off, v[0:1], off
	s_cbranch_vccz .LBB85_188
; %bb.146:
	global_load_b32 v0, v46, s[8:9] offset:80
	s_wait_loadcnt 0x0
	v_cmp_ne_u32_e32 vcc_lo, 21, v0
	s_cbranch_vccz .LBB85_148
; %bb.147:
	v_lshlrev_b32_e32 v0, 3, v0
	s_delay_alu instid0(VALU_DEP_1)
	v_mov_b32_e32 v48, v0
	scratch_load_b64 v[0:1], v48, off offset:-8
	scratch_load_b64 v[46:47], off, off offset:160
	s_wait_loadcnt 0x1
	scratch_store_b64 off, v[0:1], off offset:160
	s_wait_loadcnt 0x0
	scratch_store_b64 v48, v[46:47], off offset:-8
.LBB85_148:
	s_wait_xcnt 0x1
	v_mov_b32_e32 v0, 0
	global_load_b32 v1, v0, s[8:9] offset:76
	s_wait_loadcnt 0x0
	v_cmp_eq_u32_e32 vcc_lo, 20, v1
	s_cbranch_vccnz .LBB85_150
; %bb.149:
	v_lshlrev_b32_e32 v1, 3, v1
	scratch_load_b64 v[46:47], v1, off offset:-8
	scratch_load_b64 v[48:49], off, off offset:152
	s_wait_loadcnt 0x1
	scratch_store_b64 off, v[46:47], off offset:152
	s_wait_loadcnt 0x0
	scratch_store_b64 v1, v[48:49], off offset:-8
.LBB85_150:
	global_load_b32 v0, v0, s[8:9] offset:72
	s_wait_loadcnt 0x0
	v_cmp_eq_u32_e32 vcc_lo, 19, v0
	s_cbranch_vccnz .LBB85_152
; %bb.151:
	s_wait_xcnt 0x0
	v_lshlrev_b32_e32 v0, 3, v0
	s_delay_alu instid0(VALU_DEP_1)
	v_mov_b32_e32 v48, v0
	scratch_load_b64 v[0:1], v48, off offset:-8
	scratch_load_b64 v[46:47], off, off offset:144
	s_wait_loadcnt 0x1
	scratch_store_b64 off, v[0:1], off offset:144
	s_wait_loadcnt 0x0
	scratch_store_b64 v48, v[46:47], off offset:-8
.LBB85_152:
	s_wait_xcnt 0x0
	v_mov_b32_e32 v0, 0
	global_load_b32 v1, v0, s[8:9] offset:68
	s_wait_loadcnt 0x0
	v_cmp_eq_u32_e32 vcc_lo, 18, v1
	s_cbranch_vccnz .LBB85_154
; %bb.153:
	v_lshlrev_b32_e32 v1, 3, v1
	scratch_load_b64 v[46:47], v1, off offset:-8
	scratch_load_b64 v[48:49], off, off offset:136
	s_wait_loadcnt 0x1
	scratch_store_b64 off, v[46:47], off offset:136
	s_wait_loadcnt 0x0
	scratch_store_b64 v1, v[48:49], off offset:-8
.LBB85_154:
	global_load_b32 v0, v0, s[8:9] offset:64
	s_wait_loadcnt 0x0
	v_cmp_eq_u32_e32 vcc_lo, 17, v0
	s_cbranch_vccnz .LBB85_156
; %bb.155:
	s_wait_xcnt 0x0
	v_lshlrev_b32_e32 v0, 3, v0
	s_delay_alu instid0(VALU_DEP_1)
	v_mov_b32_e32 v48, v0
	scratch_load_b64 v[0:1], v48, off offset:-8
	scratch_load_b64 v[46:47], off, off offset:128
	s_wait_loadcnt 0x1
	scratch_store_b64 off, v[0:1], off offset:128
	s_wait_loadcnt 0x0
	scratch_store_b64 v48, v[46:47], off offset:-8
.LBB85_156:
	;; [unrolled: 31-line block ×9, first 2 shown]
	s_wait_xcnt 0x0
	v_mov_b32_e32 v0, 0
	global_load_b32 v1, v0, s[8:9] offset:4
	s_wait_loadcnt 0x0
	v_cmp_eq_u32_e32 vcc_lo, 2, v1
	s_cbranch_vccnz .LBB85_186
; %bb.185:
	v_lshlrev_b32_e32 v1, 3, v1
	scratch_load_b64 v[46:47], v1, off offset:-8
	scratch_load_b64 v[48:49], off, off offset:8
	s_wait_loadcnt 0x1
	scratch_store_b64 off, v[46:47], off offset:8
	s_wait_loadcnt 0x0
	scratch_store_b64 v1, v[48:49], off offset:-8
.LBB85_186:
	global_load_b32 v46, v0, s[8:9]
	scratch_load_b64 v[0:1], off, off
	s_wait_loadcnt 0x1
	v_cmp_eq_u32_e32 vcc_lo, 1, v46
	s_cbranch_vccnz .LBB85_188
; %bb.187:
	v_lshlrev_b32_e32 v46, 3, v46
	s_delay_alu instid0(VALU_DEP_1)
	v_mov_b32_e32 v48, v46
	scratch_load_b64 v[46:47], v48, off offset:-8
	s_wait_loadcnt 0x0
	scratch_store_b64 off, v[46:47], off
	scratch_store_b64 v48, v[0:1], off offset:-8
	scratch_load_b64 v[0:1], off, off
.LBB85_188:
	s_wait_loadcnt 0x0
	flat_store_b64 v[2:3], v[0:1]
	scratch_load_b64 v[0:1], off, off offset:8
	v_lshl_add_u64 v[64:65], v[6:7], 3, s[2:3]
	v_lshl_add_u64 v[62:63], v[8:9], 3, s[2:3]
	;; [unrolled: 1-line block ×20, first 2 shown]
	s_wait_loadcnt 0x0
	flat_store_b64 v[4:5], v[0:1]
	scratch_load_b64 v[0:1], off, off offset:16
	s_wait_loadcnt 0x0
	flat_store_b64 v[64:65], v[0:1]
	scratch_load_b64 v[0:1], off, off offset:24
	;; [unrolled: 3-line block ×20, first 2 shown]
	s_wait_loadcnt 0x0
	flat_store_b64 v[6:7], v[0:1]
	s_sendmsg sendmsg(MSG_DEALLOC_VGPRS)
	s_endpgm
	.section	.rodata,"a",@progbits
	.p2align	6, 0x0
	.amdhsa_kernel _ZN9rocsolver6v33100L18getri_kernel_smallILi22E19rocblas_complex_numIfEPKPS3_EEvT1_iilPiilS8_bb
		.amdhsa_group_segment_fixed_size 356
		.amdhsa_private_segment_fixed_size 192
		.amdhsa_kernarg_size 60
		.amdhsa_user_sgpr_count 2
		.amdhsa_user_sgpr_dispatch_ptr 0
		.amdhsa_user_sgpr_queue_ptr 0
		.amdhsa_user_sgpr_kernarg_segment_ptr 1
		.amdhsa_user_sgpr_dispatch_id 0
		.amdhsa_user_sgpr_kernarg_preload_length 0
		.amdhsa_user_sgpr_kernarg_preload_offset 0
		.amdhsa_user_sgpr_private_segment_size 0
		.amdhsa_wavefront_size32 1
		.amdhsa_uses_dynamic_stack 0
		.amdhsa_enable_private_segment 1
		.amdhsa_system_sgpr_workgroup_id_x 1
		.amdhsa_system_sgpr_workgroup_id_y 0
		.amdhsa_system_sgpr_workgroup_id_z 0
		.amdhsa_system_sgpr_workgroup_info 0
		.amdhsa_system_vgpr_workitem_id 0
		.amdhsa_next_free_vgpr 152
		.amdhsa_next_free_sgpr 19
		.amdhsa_named_barrier_count 0
		.amdhsa_reserve_vcc 1
		.amdhsa_float_round_mode_32 0
		.amdhsa_float_round_mode_16_64 0
		.amdhsa_float_denorm_mode_32 3
		.amdhsa_float_denorm_mode_16_64 3
		.amdhsa_fp16_overflow 0
		.amdhsa_memory_ordered 1
		.amdhsa_forward_progress 1
		.amdhsa_inst_pref_size 200
		.amdhsa_round_robin_scheduling 0
		.amdhsa_exception_fp_ieee_invalid_op 0
		.amdhsa_exception_fp_denorm_src 0
		.amdhsa_exception_fp_ieee_div_zero 0
		.amdhsa_exception_fp_ieee_overflow 0
		.amdhsa_exception_fp_ieee_underflow 0
		.amdhsa_exception_fp_ieee_inexact 0
		.amdhsa_exception_int_div_zero 0
	.end_amdhsa_kernel
	.section	.text._ZN9rocsolver6v33100L18getri_kernel_smallILi22E19rocblas_complex_numIfEPKPS3_EEvT1_iilPiilS8_bb,"axG",@progbits,_ZN9rocsolver6v33100L18getri_kernel_smallILi22E19rocblas_complex_numIfEPKPS3_EEvT1_iilPiilS8_bb,comdat
.Lfunc_end85:
	.size	_ZN9rocsolver6v33100L18getri_kernel_smallILi22E19rocblas_complex_numIfEPKPS3_EEvT1_iilPiilS8_bb, .Lfunc_end85-_ZN9rocsolver6v33100L18getri_kernel_smallILi22E19rocblas_complex_numIfEPKPS3_EEvT1_iilPiilS8_bb
                                        ; -- End function
	.set _ZN9rocsolver6v33100L18getri_kernel_smallILi22E19rocblas_complex_numIfEPKPS3_EEvT1_iilPiilS8_bb.num_vgpr, 152
	.set _ZN9rocsolver6v33100L18getri_kernel_smallILi22E19rocblas_complex_numIfEPKPS3_EEvT1_iilPiilS8_bb.num_agpr, 0
	.set _ZN9rocsolver6v33100L18getri_kernel_smallILi22E19rocblas_complex_numIfEPKPS3_EEvT1_iilPiilS8_bb.numbered_sgpr, 19
	.set _ZN9rocsolver6v33100L18getri_kernel_smallILi22E19rocblas_complex_numIfEPKPS3_EEvT1_iilPiilS8_bb.num_named_barrier, 0
	.set _ZN9rocsolver6v33100L18getri_kernel_smallILi22E19rocblas_complex_numIfEPKPS3_EEvT1_iilPiilS8_bb.private_seg_size, 192
	.set _ZN9rocsolver6v33100L18getri_kernel_smallILi22E19rocblas_complex_numIfEPKPS3_EEvT1_iilPiilS8_bb.uses_vcc, 1
	.set _ZN9rocsolver6v33100L18getri_kernel_smallILi22E19rocblas_complex_numIfEPKPS3_EEvT1_iilPiilS8_bb.uses_flat_scratch, 1
	.set _ZN9rocsolver6v33100L18getri_kernel_smallILi22E19rocblas_complex_numIfEPKPS3_EEvT1_iilPiilS8_bb.has_dyn_sized_stack, 0
	.set _ZN9rocsolver6v33100L18getri_kernel_smallILi22E19rocblas_complex_numIfEPKPS3_EEvT1_iilPiilS8_bb.has_recursion, 0
	.set _ZN9rocsolver6v33100L18getri_kernel_smallILi22E19rocblas_complex_numIfEPKPS3_EEvT1_iilPiilS8_bb.has_indirect_call, 0
	.section	.AMDGPU.csdata,"",@progbits
; Kernel info:
; codeLenInByte = 25588
; TotalNumSgprs: 21
; NumVgprs: 152
; ScratchSize: 192
; MemoryBound: 0
; FloatMode: 240
; IeeeMode: 1
; LDSByteSize: 356 bytes/workgroup (compile time only)
; SGPRBlocks: 0
; VGPRBlocks: 9
; NumSGPRsForWavesPerEU: 21
; NumVGPRsForWavesPerEU: 152
; NamedBarCnt: 0
; Occupancy: 6
; WaveLimiterHint : 1
; COMPUTE_PGM_RSRC2:SCRATCH_EN: 1
; COMPUTE_PGM_RSRC2:USER_SGPR: 2
; COMPUTE_PGM_RSRC2:TRAP_HANDLER: 0
; COMPUTE_PGM_RSRC2:TGID_X_EN: 1
; COMPUTE_PGM_RSRC2:TGID_Y_EN: 0
; COMPUTE_PGM_RSRC2:TGID_Z_EN: 0
; COMPUTE_PGM_RSRC2:TIDIG_COMP_CNT: 0
	.section	.text._ZN9rocsolver6v33100L18getri_kernel_smallILi23E19rocblas_complex_numIfEPKPS3_EEvT1_iilPiilS8_bb,"axG",@progbits,_ZN9rocsolver6v33100L18getri_kernel_smallILi23E19rocblas_complex_numIfEPKPS3_EEvT1_iilPiilS8_bb,comdat
	.globl	_ZN9rocsolver6v33100L18getri_kernel_smallILi23E19rocblas_complex_numIfEPKPS3_EEvT1_iilPiilS8_bb ; -- Begin function _ZN9rocsolver6v33100L18getri_kernel_smallILi23E19rocblas_complex_numIfEPKPS3_EEvT1_iilPiilS8_bb
	.p2align	8
	.type	_ZN9rocsolver6v33100L18getri_kernel_smallILi23E19rocblas_complex_numIfEPKPS3_EEvT1_iilPiilS8_bb,@function
_ZN9rocsolver6v33100L18getri_kernel_smallILi23E19rocblas_complex_numIfEPKPS3_EEvT1_iilPiilS8_bb: ; @_ZN9rocsolver6v33100L18getri_kernel_smallILi23E19rocblas_complex_numIfEPKPS3_EEvT1_iilPiilS8_bb
; %bb.0:
	s_mov_b32 s2, exec_lo
	v_cmpx_gt_u32_e32 23, v0
	s_cbranch_execz .LBB86_106
; %bb.1:
	s_clause 0x1
	s_load_b32 s13, s[0:1], 0x38
	s_load_b64 s[2:3], s[0:1], 0x0
	s_getreg_b32 s6, hwreg(HW_REG_IB_STS2, 6, 4)
	s_wait_kmcnt 0x0
	s_bitcmp1_b32 s13, 8
	s_cselect_b32 s12, -1, 0
	s_bfe_u32 s4, ttmp6, 0x4000c
	s_and_b32 s5, ttmp6, 15
	s_add_co_i32 s4, s4, 1
	s_delay_alu instid0(SALU_CYCLE_1) | instskip(NEXT) | instid1(SALU_CYCLE_1)
	s_mul_i32 s4, ttmp9, s4
	s_add_co_i32 s5, s5, s4
	s_cmp_eq_u32 s6, 0
	s_cselect_b32 s10, ttmp9, s5
	s_load_b128 s[4:7], s[0:1], 0x28
	s_ashr_i32 s11, s10, 31
	s_delay_alu instid0(SALU_CYCLE_1) | instskip(NEXT) | instid1(SALU_CYCLE_1)
	s_lshl_b64 s[8:9], s[10:11], 3
	s_add_nc_u64 s[2:3], s[2:3], s[8:9]
	s_bfe_u32 s8, s13, 0x10008
	s_load_b64 s[2:3], s[2:3], 0x0
	s_cmp_eq_u32 s8, 0
                                        ; implicit-def: $sgpr8_sgpr9
	s_cbranch_scc1 .LBB86_3
; %bb.2:
	s_load_b96 s[16:18], s[0:1], 0x18
	s_wait_kmcnt 0x0
	s_mul_u64 s[4:5], s[4:5], s[10:11]
	s_delay_alu instid0(SALU_CYCLE_1) | instskip(SKIP_4) | instid1(SALU_CYCLE_1)
	s_lshl_b64 s[4:5], s[4:5], 2
	s_ashr_i32 s9, s18, 31
	s_mov_b32 s8, s18
	s_add_nc_u64 s[4:5], s[16:17], s[4:5]
	s_lshl_b64 s[8:9], s[8:9], 2
	s_add_nc_u64 s[8:9], s[4:5], s[8:9]
.LBB86_3:
	s_wait_kmcnt 0x0
	s_clause 0x1
	s_load_b64 s[4:5], s[0:1], 0x8
	s_load_b32 s13, s[0:1], 0x38
	v_dual_mov_b32 v49, 0 :: v_dual_lshlrev_b32 v48, 3, v0
	s_wait_kmcnt 0x0
	s_ashr_i32 s1, s4, 31
	s_mov_b32 s0, s4
	s_delay_alu instid0(SALU_CYCLE_1) | instskip(NEXT) | instid1(SALU_CYCLE_1)
	s_lshl_b64 s[0:1], s[0:1], 3
	s_add_nc_u64 s[2:3], s[2:3], s[0:1]
	s_ashr_i32 s1, s5, 31
	flat_load_b64 v[6:7], v0, s[2:3] scale_offset
	v_add_nc_u64_e32 v[2:3], s[2:3], v[48:49]
	s_mov_b32 s0, s5
	s_bitcmp0_b32 s13, 0
	s_delay_alu instid0(VALU_DEP_1)
	v_lshl_add_u64 v[4:5], s[0:1], 3, v[2:3]
	s_mov_b32 s1, -1
	s_wait_loadcnt_dscnt 0x0
	scratch_store_b64 off, v[6:7], off
	flat_load_b64 v[8:9], v[4:5]
	s_wait_xcnt 0x1
	v_add3_u32 v6, s5, s5, v0
	s_wait_loadcnt_dscnt 0x0
	scratch_store_b64 off, v[8:9], off offset:8
	flat_load_b64 v[10:11], v6, s[2:3] scale_offset
	s_wait_xcnt 0x1
	v_add_nc_u32_e32 v8, s5, v6
	s_wait_loadcnt_dscnt 0x0
	scratch_store_b64 off, v[10:11], off offset:16
	flat_load_b64 v[12:13], v8, s[2:3] scale_offset
	s_wait_xcnt 0x1
	v_add_nc_u32_e32 v10, s5, v8
	s_wait_loadcnt_dscnt 0x0
	scratch_store_b64 off, v[12:13], off offset:24
	flat_load_b64 v[14:15], v10, s[2:3] scale_offset
	s_wait_xcnt 0x1
	v_add_nc_u32_e32 v12, s5, v10
	s_wait_loadcnt_dscnt 0x0
	scratch_store_b64 off, v[14:15], off offset:32
	flat_load_b64 v[16:17], v12, s[2:3] scale_offset
	s_wait_xcnt 0x1
	v_add_nc_u32_e32 v14, s5, v12
	s_wait_loadcnt_dscnt 0x0
	scratch_store_b64 off, v[16:17], off offset:40
	flat_load_b64 v[18:19], v14, s[2:3] scale_offset
	s_wait_xcnt 0x1
	v_add_nc_u32_e32 v16, s5, v14
	s_wait_loadcnt_dscnt 0x0
	scratch_store_b64 off, v[18:19], off offset:48
	flat_load_b64 v[20:21], v16, s[2:3] scale_offset
	s_wait_xcnt 0x1
	v_add_nc_u32_e32 v18, s5, v16
	s_wait_loadcnt_dscnt 0x0
	scratch_store_b64 off, v[20:21], off offset:56
	flat_load_b64 v[22:23], v18, s[2:3] scale_offset
	s_wait_xcnt 0x1
	v_add_nc_u32_e32 v20, s5, v18
	s_wait_loadcnt_dscnt 0x0
	scratch_store_b64 off, v[22:23], off offset:64
	flat_load_b64 v[24:25], v20, s[2:3] scale_offset
	s_wait_xcnt 0x1
	v_add_nc_u32_e32 v22, s5, v20
	s_wait_loadcnt_dscnt 0x0
	scratch_store_b64 off, v[24:25], off offset:72
	flat_load_b64 v[26:27], v22, s[2:3] scale_offset
	s_wait_xcnt 0x1
	v_add_nc_u32_e32 v24, s5, v22
	s_wait_loadcnt_dscnt 0x0
	scratch_store_b64 off, v[26:27], off offset:80
	flat_load_b64 v[28:29], v24, s[2:3] scale_offset
	s_wait_xcnt 0x1
	v_add_nc_u32_e32 v26, s5, v24
	s_wait_loadcnt_dscnt 0x0
	scratch_store_b64 off, v[28:29], off offset:88
	flat_load_b64 v[30:31], v26, s[2:3] scale_offset
	s_wait_xcnt 0x1
	v_add_nc_u32_e32 v28, s5, v26
	s_wait_loadcnt_dscnt 0x0
	scratch_store_b64 off, v[30:31], off offset:96
	flat_load_b64 v[32:33], v28, s[2:3] scale_offset
	s_wait_xcnt 0x1
	v_add_nc_u32_e32 v30, s5, v28
	s_wait_loadcnt_dscnt 0x0
	scratch_store_b64 off, v[32:33], off offset:104
	flat_load_b64 v[34:35], v30, s[2:3] scale_offset
	s_wait_xcnt 0x1
	v_add_nc_u32_e32 v32, s5, v30
	s_wait_loadcnt_dscnt 0x0
	scratch_store_b64 off, v[34:35], off offset:112
	flat_load_b64 v[36:37], v32, s[2:3] scale_offset
	s_wait_xcnt 0x1
	v_add_nc_u32_e32 v34, s5, v32
	s_wait_loadcnt_dscnt 0x0
	scratch_store_b64 off, v[36:37], off offset:120
	flat_load_b64 v[38:39], v34, s[2:3] scale_offset
	s_wait_xcnt 0x1
	v_add_nc_u32_e32 v36, s5, v34
	s_wait_loadcnt_dscnt 0x0
	scratch_store_b64 off, v[38:39], off offset:128
	flat_load_b64 v[40:41], v36, s[2:3] scale_offset
	s_wait_xcnt 0x1
	v_add_nc_u32_e32 v38, s5, v36
	s_wait_loadcnt_dscnt 0x0
	scratch_store_b64 off, v[40:41], off offset:136
	flat_load_b64 v[42:43], v38, s[2:3] scale_offset
	s_wait_xcnt 0x1
	v_add_nc_u32_e32 v40, s5, v38
	s_wait_loadcnt_dscnt 0x0
	scratch_store_b64 off, v[42:43], off offset:144
	flat_load_b64 v[44:45], v40, s[2:3] scale_offset
	s_wait_xcnt 0x1
	v_add_nc_u32_e32 v42, s5, v40
	s_wait_loadcnt_dscnt 0x0
	scratch_store_b64 off, v[44:45], off offset:152
	flat_load_b64 v[46:47], v42, s[2:3] scale_offset
	s_wait_xcnt 0x1
	v_add_nc_u32_e32 v44, s5, v42
	s_wait_loadcnt_dscnt 0x0
	scratch_store_b64 off, v[46:47], off offset:160
	flat_load_b64 v[50:51], v44, s[2:3] scale_offset
	s_wait_xcnt 0x1
	v_add_nc_u32_e32 v46, s5, v44
	s_wait_loadcnt_dscnt 0x0
	scratch_store_b64 off, v[50:51], off offset:168
	flat_load_b64 v[50:51], v46, s[2:3] scale_offset
	s_wait_loadcnt_dscnt 0x0
	scratch_store_b64 off, v[50:51], off offset:176
	s_cbranch_scc1 .LBB86_104
; %bb.4:
	v_cmp_eq_u32_e64 s0, 0, v0
	s_wait_xcnt 0x0
	s_and_saveexec_b32 s1, s0
; %bb.5:
	v_mov_b32_e32 v1, 0
	ds_store_b32 v1, v1 offset:184
; %bb.6:
	s_or_b32 exec_lo, exec_lo, s1
	s_wait_storecnt_dscnt 0x0
	s_barrier_signal -1
	s_barrier_wait -1
	scratch_load_b64 v[50:51], v0, off scale_offset
	s_wait_loadcnt 0x0
	v_cmp_eq_f32_e32 vcc_lo, 0, v50
	v_cmp_eq_f32_e64 s1, 0, v51
	s_and_b32 s1, vcc_lo, s1
	s_delay_alu instid0(SALU_CYCLE_1)
	s_and_saveexec_b32 s4, s1
	s_cbranch_execz .LBB86_10
; %bb.7:
	v_mov_b32_e32 v1, 0
	s_mov_b32 s5, 0
	ds_load_b32 v7, v1 offset:184
	s_wait_dscnt 0x0
	v_readfirstlane_b32 s1, v7
	v_add_nc_u32_e32 v7, 1, v0
	s_cmp_eq_u32 s1, 0
	s_delay_alu instid0(VALU_DEP_1) | instskip(SKIP_1) | instid1(SALU_CYCLE_1)
	v_cmp_gt_i32_e32 vcc_lo, s1, v7
	s_cselect_b32 s13, -1, 0
	s_or_b32 s13, s13, vcc_lo
	s_delay_alu instid0(SALU_CYCLE_1)
	s_and_b32 exec_lo, exec_lo, s13
	s_cbranch_execz .LBB86_10
; %bb.8:
	v_mov_b32_e32 v9, s1
.LBB86_9:                               ; =>This Inner Loop Header: Depth=1
	ds_cmpstore_rtn_b32 v9, v1, v7, v9 offset:184
	s_wait_dscnt 0x0
	v_cmp_ne_u32_e32 vcc_lo, 0, v9
	v_cmp_le_i32_e64 s1, v9, v7
	s_and_b32 s1, vcc_lo, s1
	s_delay_alu instid0(SALU_CYCLE_1) | instskip(NEXT) | instid1(SALU_CYCLE_1)
	s_and_b32 s1, exec_lo, s1
	s_or_b32 s5, s1, s5
	s_delay_alu instid0(SALU_CYCLE_1)
	s_and_not1_b32 exec_lo, exec_lo, s5
	s_cbranch_execnz .LBB86_9
.LBB86_10:
	s_or_b32 exec_lo, exec_lo, s4
	v_mov_b32_e32 v1, 0
	s_barrier_signal -1
	s_barrier_wait -1
	ds_load_b32 v7, v1 offset:184
	s_and_saveexec_b32 s1, s0
	s_cbranch_execz .LBB86_12
; %bb.11:
	s_lshl_b64 s[4:5], s[10:11], 2
	s_delay_alu instid0(SALU_CYCLE_1)
	s_add_nc_u64 s[4:5], s[6:7], s[4:5]
	s_wait_dscnt 0x0
	global_store_b32 v1, v7, s[4:5]
.LBB86_12:
	s_wait_xcnt 0x0
	s_or_b32 exec_lo, exec_lo, s1
	s_wait_dscnt 0x0
	v_cmp_ne_u32_e32 vcc_lo, 0, v7
	s_mov_b32 s1, 0
	s_cbranch_vccnz .LBB86_104
; %bb.13:
	v_lshl_add_u32 v7, v0, 3, 0
                                        ; implicit-def: $vgpr53
                                        ; implicit-def: $vgpr54
	scratch_load_b64 v[50:51], v7, off
	s_wait_loadcnt 0x0
	v_cmp_ngt_f32_e64 s1, |v50|, |v51|
	s_wait_xcnt 0x0
	s_and_saveexec_b32 s4, s1
	s_delay_alu instid0(SALU_CYCLE_1)
	s_xor_b32 s1, exec_lo, s4
	s_cbranch_execz .LBB86_15
; %bb.14:
	v_div_scale_f32 v1, null, v51, v51, v50
	v_div_scale_f32 v13, vcc_lo, v50, v51, v50
	s_delay_alu instid0(VALU_DEP_2) | instskip(SKIP_1) | instid1(TRANS32_DEP_1)
	v_rcp_f32_e32 v9, v1
	v_nop
	v_fma_f32 v11, -v1, v9, 1.0
	s_delay_alu instid0(VALU_DEP_1) | instskip(NEXT) | instid1(VALU_DEP_1)
	v_fmac_f32_e32 v9, v11, v9
	v_mul_f32_e32 v11, v13, v9
	s_delay_alu instid0(VALU_DEP_1) | instskip(NEXT) | instid1(VALU_DEP_1)
	v_fma_f32 v15, -v1, v11, v13
	v_fmac_f32_e32 v11, v15, v9
	s_delay_alu instid0(VALU_DEP_1) | instskip(NEXT) | instid1(VALU_DEP_1)
	v_fma_f32 v1, -v1, v11, v13
	v_div_fmas_f32 v1, v1, v9, v11
	s_delay_alu instid0(VALU_DEP_1) | instskip(NEXT) | instid1(VALU_DEP_1)
	v_div_fixup_f32 v1, v1, v51, v50
	v_fmac_f32_e32 v51, v50, v1
	s_delay_alu instid0(VALU_DEP_1) | instskip(NEXT) | instid1(VALU_DEP_1)
	v_div_scale_f32 v9, null, v51, v51, -1.0
	v_rcp_f32_e32 v11, v9
	v_nop
	s_delay_alu instid0(TRANS32_DEP_1) | instskip(NEXT) | instid1(VALU_DEP_1)
	v_fma_f32 v13, -v9, v11, 1.0
	v_fmac_f32_e32 v11, v13, v11
	v_div_scale_f32 v13, vcc_lo, -1.0, v51, -1.0
	s_delay_alu instid0(VALU_DEP_1) | instskip(NEXT) | instid1(VALU_DEP_1)
	v_mul_f32_e32 v15, v13, v11
	v_fma_f32 v17, -v9, v15, v13
	s_delay_alu instid0(VALU_DEP_1) | instskip(NEXT) | instid1(VALU_DEP_1)
	v_fmac_f32_e32 v15, v17, v11
	v_fma_f32 v9, -v9, v15, v13
	s_delay_alu instid0(VALU_DEP_1) | instskip(NEXT) | instid1(VALU_DEP_1)
	v_div_fmas_f32 v9, v9, v11, v15
	v_div_fixup_f32 v53, v9, v51, -1.0
                                        ; implicit-def: $vgpr50_vgpr51
	s_delay_alu instid0(VALU_DEP_1) | instskip(NEXT) | instid1(VALU_DEP_1)
	v_mul_f32_e32 v54, v1, v53
	v_xor_b32_e32 v52, 0x80000000, v54
.LBB86_15:
	s_and_not1_saveexec_b32 s1, s1
	s_cbranch_execz .LBB86_17
; %bb.16:
	v_div_scale_f32 v1, null, v50, v50, v51
	v_div_scale_f32 v13, vcc_lo, v51, v50, v51
	s_delay_alu instid0(VALU_DEP_2) | instskip(SKIP_1) | instid1(TRANS32_DEP_1)
	v_rcp_f32_e32 v9, v1
	v_nop
	v_fma_f32 v11, -v1, v9, 1.0
	s_delay_alu instid0(VALU_DEP_1) | instskip(NEXT) | instid1(VALU_DEP_1)
	v_fmac_f32_e32 v9, v11, v9
	v_mul_f32_e32 v11, v13, v9
	s_delay_alu instid0(VALU_DEP_1) | instskip(NEXT) | instid1(VALU_DEP_1)
	v_fma_f32 v15, -v1, v11, v13
	v_fmac_f32_e32 v11, v15, v9
	s_delay_alu instid0(VALU_DEP_1) | instskip(NEXT) | instid1(VALU_DEP_1)
	v_fma_f32 v1, -v1, v11, v13
	v_div_fmas_f32 v1, v1, v9, v11
	s_delay_alu instid0(VALU_DEP_1) | instskip(NEXT) | instid1(VALU_DEP_1)
	v_div_fixup_f32 v1, v1, v50, v51
	v_fmac_f32_e32 v50, v51, v1
	s_delay_alu instid0(VALU_DEP_1) | instskip(SKIP_1) | instid1(VALU_DEP_2)
	v_div_scale_f32 v9, null, v50, v50, 1.0
	v_div_scale_f32 v15, vcc_lo, 1.0, v50, 1.0
	v_rcp_f32_e32 v11, v9
	v_nop
	s_delay_alu instid0(TRANS32_DEP_1) | instskip(NEXT) | instid1(VALU_DEP_1)
	v_fma_f32 v13, -v9, v11, 1.0
	v_fmac_f32_e32 v11, v13, v11
	s_delay_alu instid0(VALU_DEP_1) | instskip(NEXT) | instid1(VALU_DEP_1)
	v_mul_f32_e32 v13, v15, v11
	v_fma_f32 v17, -v9, v13, v15
	s_delay_alu instid0(VALU_DEP_1) | instskip(NEXT) | instid1(VALU_DEP_1)
	v_fmac_f32_e32 v13, v17, v11
	v_fma_f32 v9, -v9, v13, v15
	s_delay_alu instid0(VALU_DEP_1) | instskip(NEXT) | instid1(VALU_DEP_1)
	v_div_fmas_f32 v9, v9, v11, v13
	v_div_fixup_f32 v52, v9, v50, 1.0
	s_delay_alu instid0(VALU_DEP_1)
	v_xor_b32_e32 v54, 0x80000000, v52
	v_mul_f32_e64 v53, v1, -v52
.LBB86_17:
	s_or_b32 exec_lo, exec_lo, s1
	scratch_store_b64 v7, v[52:53], off
	scratch_load_b64 v[50:51], off, off offset:8
	v_xor_b32_e32 v55, 0x80000000, v53
	v_add_nc_u32_e32 v1, 0xc0, v48
	s_wait_loadcnt 0x0
	ds_store_2addr_b64 v48, v[54:55], v[50:51] offset1:24
	s_wait_storecnt_dscnt 0x0
	s_barrier_signal -1
	s_barrier_wait -1
	s_wait_xcnt 0x0
	s_and_saveexec_b32 s1, s0
	s_cbranch_execz .LBB86_19
; %bb.18:
	scratch_load_b64 v[50:51], v7, off
	ds_load_b64 v[52:53], v1
	s_wait_loadcnt_dscnt 0x0
	v_pk_mul_f32 v[56:57], v[52:53], v[50:51] op_sel:[1,1] op_sel_hi:[0,1]
	s_delay_alu instid0(VALU_DEP_1) | instskip(SKIP_2) | instid1(VALU_DEP_3)
	v_pk_fma_f32 v[58:59], v[52:53], v[50:51], v[56:57] op_sel_hi:[1,0,1]
	v_mov_b32_e32 v9, 0
	v_pk_fma_f32 v[50:51], v[52:53], v[50:51], v[56:57] neg_lo:[0,0,1] neg_hi:[0,0,1]
	v_mov_b32_e32 v51, v59
	ds_load_b64 v[54:55], v9 offset:8
	v_pk_add_f32 v[50:51], v[50:51], 0 op_sel_hi:[1,0]
	s_wait_dscnt 0x0
	s_delay_alu instid0(VALU_DEP_1) | instskip(NEXT) | instid1(VALU_DEP_1)
	v_pk_mul_f32 v[52:53], v[50:51], v[54:55] op_sel:[1,1] op_sel_hi:[0,1]
	v_pk_fma_f32 v[56:57], v[50:51], v[54:55], v[52:53] op_sel_hi:[1,0,1]
	v_pk_fma_f32 v[50:51], v[50:51], v[54:55], v[52:53] neg_lo:[0,0,1] neg_hi:[0,0,1]
	s_delay_alu instid0(VALU_DEP_2)
	v_mov_b32_e32 v51, v57
	scratch_store_b64 off, v[50:51], off offset:8
.LBB86_19:
	s_wait_xcnt 0x0
	s_or_b32 exec_lo, exec_lo, s1
	s_wait_storecnt 0x0
	s_barrier_signal -1
	s_barrier_wait -1
	scratch_load_b64 v[50:51], off, off offset:16
	s_mov_b32 s1, exec_lo
	s_wait_loadcnt 0x0
	ds_store_b64 v1, v[50:51]
	s_wait_dscnt 0x0
	s_barrier_signal -1
	s_barrier_wait -1
	v_cmpx_gt_u32_e32 2, v0
	s_cbranch_execz .LBB86_23
; %bb.20:
	scratch_load_b64 v[50:51], v7, off
	ds_load_b64 v[52:53], v1
	s_wait_loadcnt_dscnt 0x0
	v_pk_mul_f32 v[54:55], v[52:53], v[50:51] op_sel:[1,1] op_sel_hi:[0,1]
	s_delay_alu instid0(VALU_DEP_1) | instskip(SKIP_1) | instid1(VALU_DEP_2)
	v_pk_fma_f32 v[56:57], v[52:53], v[50:51], v[54:55] op_sel_hi:[1,0,1]
	v_pk_fma_f32 v[50:51], v[52:53], v[50:51], v[54:55] neg_lo:[0,0,1] neg_hi:[0,0,1]
	v_mov_b32_e32 v51, v57
	s_delay_alu instid0(VALU_DEP_1)
	v_pk_add_f32 v[50:51], v[50:51], 0 op_sel_hi:[1,0]
	s_and_saveexec_b32 s4, s0
	s_cbranch_execz .LBB86_22
; %bb.21:
	scratch_load_b64 v[52:53], off, off offset:8
	v_mov_b32_e32 v7, 0
	ds_load_b64 v[54:55], v7 offset:200
	s_wait_loadcnt_dscnt 0x0
	v_pk_mul_f32 v[56:57], v[54:55], v[52:53] op_sel:[1,1] op_sel_hi:[0,1]
	s_delay_alu instid0(VALU_DEP_1) | instskip(SKIP_1) | instid1(VALU_DEP_2)
	v_pk_fma_f32 v[58:59], v[54:55], v[52:53], v[56:57] op_sel_hi:[1,0,1]
	v_pk_fma_f32 v[52:53], v[54:55], v[52:53], v[56:57] neg_lo:[0,0,1] neg_hi:[0,0,1]
	v_mov_b32_e32 v53, v59
	s_delay_alu instid0(VALU_DEP_1)
	v_pk_add_f32 v[50:51], v[50:51], v[52:53]
.LBB86_22:
	s_or_b32 exec_lo, exec_lo, s4
	v_mov_b32_e32 v7, 0
	ds_load_b64 v[52:53], v7 offset:16
	s_wait_dscnt 0x0
	v_pk_mul_f32 v[54:55], v[50:51], v[52:53] op_sel:[1,1] op_sel_hi:[0,1]
	s_delay_alu instid0(VALU_DEP_1) | instskip(SKIP_1) | instid1(VALU_DEP_2)
	v_pk_fma_f32 v[56:57], v[50:51], v[52:53], v[54:55] op_sel_hi:[1,0,1]
	v_pk_fma_f32 v[50:51], v[50:51], v[52:53], v[54:55] neg_lo:[0,0,1] neg_hi:[0,0,1]
	v_mov_b32_e32 v51, v57
	scratch_store_b64 off, v[50:51], off offset:16
.LBB86_23:
	s_wait_xcnt 0x0
	s_or_b32 exec_lo, exec_lo, s1
	s_wait_storecnt 0x0
	s_barrier_signal -1
	s_barrier_wait -1
	scratch_load_b64 v[50:51], off, off offset:24
	v_add_nc_u32_e32 v7, -1, v0
	s_mov_b32 s0, exec_lo
	s_wait_loadcnt 0x0
	ds_store_b64 v1, v[50:51]
	s_wait_dscnt 0x0
	s_barrier_signal -1
	s_barrier_wait -1
	v_cmpx_gt_u32_e32 3, v0
	s_cbranch_execz .LBB86_27
; %bb.24:
	v_dual_mov_b32 v50, 0 :: v_dual_add_nc_u32 v9, -1, v0
	v_add_nc_u32_e32 v11, 0xc0, v48
	v_mov_b32_e32 v13, v48
	s_mov_b32 s1, 0
	s_delay_alu instid0(VALU_DEP_3)
	v_mov_b32_e32 v51, v50
.LBB86_25:                              ; =>This Inner Loop Header: Depth=1
	scratch_load_b64 v[52:53], v13, off
	ds_load_b64 v[54:55], v11
	s_wait_xcnt 0x0
	v_dual_add_nc_u32 v11, 8, v11 :: v_dual_add_nc_u32 v13, 8, v13
	s_wait_loadcnt_dscnt 0x0
	v_pk_mul_f32 v[56:57], v[54:55], v[52:53] op_sel:[1,1] op_sel_hi:[0,1]
	s_delay_alu instid0(VALU_DEP_1) | instskip(SKIP_2) | instid1(VALU_DEP_3)
	v_pk_fma_f32 v[58:59], v[54:55], v[52:53], v[56:57] op_sel_hi:[1,0,1]
	v_add_nc_u32_e32 v9, 1, v9
	v_pk_fma_f32 v[52:53], v[54:55], v[52:53], v[56:57] neg_lo:[0,0,1] neg_hi:[0,0,1]
	v_mov_b32_e32 v53, v59
	s_delay_alu instid0(VALU_DEP_3) | instskip(NEXT) | instid1(VALU_DEP_2)
	v_cmp_lt_u32_e32 vcc_lo, 1, v9
	v_pk_add_f32 v[50:51], v[50:51], v[52:53]
	s_or_b32 s1, vcc_lo, s1
	s_delay_alu instid0(SALU_CYCLE_1)
	s_and_not1_b32 exec_lo, exec_lo, s1
	s_cbranch_execnz .LBB86_25
; %bb.26:
	s_or_b32 exec_lo, exec_lo, s1
	v_mov_b32_e32 v9, 0
	ds_load_b64 v[52:53], v9 offset:24
	s_wait_dscnt 0x0
	v_pk_mul_f32 v[54:55], v[50:51], v[52:53] op_sel:[1,1] op_sel_hi:[0,1]
	s_delay_alu instid0(VALU_DEP_1) | instskip(SKIP_1) | instid1(VALU_DEP_2)
	v_pk_fma_f32 v[56:57], v[50:51], v[52:53], v[54:55] op_sel_hi:[1,0,1]
	v_pk_fma_f32 v[50:51], v[50:51], v[52:53], v[54:55] neg_lo:[0,0,1] neg_hi:[0,0,1]
	v_mov_b32_e32 v51, v57
	scratch_store_b64 off, v[50:51], off offset:24
.LBB86_27:
	s_wait_xcnt 0x0
	s_or_b32 exec_lo, exec_lo, s0
	s_wait_storecnt 0x0
	s_barrier_signal -1
	s_barrier_wait -1
	scratch_load_b64 v[50:51], off, off offset:32
	s_mov_b32 s0, exec_lo
	s_wait_loadcnt 0x0
	ds_store_b64 v1, v[50:51]
	s_wait_dscnt 0x0
	s_barrier_signal -1
	s_barrier_wait -1
	v_cmpx_gt_u32_e32 4, v0
	s_cbranch_execz .LBB86_31
; %bb.28:
	v_dual_mov_b32 v50, 0 :: v_dual_add_nc_u32 v9, -1, v0
	v_add_nc_u32_e32 v11, 0xc0, v48
	v_mov_b32_e32 v13, v48
	s_mov_b32 s1, 0
	s_delay_alu instid0(VALU_DEP_3)
	v_mov_b32_e32 v51, v50
.LBB86_29:                              ; =>This Inner Loop Header: Depth=1
	scratch_load_b64 v[52:53], v13, off
	ds_load_b64 v[54:55], v11
	s_wait_xcnt 0x0
	v_dual_add_nc_u32 v11, 8, v11 :: v_dual_add_nc_u32 v13, 8, v13
	s_wait_loadcnt_dscnt 0x0
	v_pk_mul_f32 v[56:57], v[54:55], v[52:53] op_sel:[1,1] op_sel_hi:[0,1]
	s_delay_alu instid0(VALU_DEP_1) | instskip(SKIP_2) | instid1(VALU_DEP_3)
	v_pk_fma_f32 v[58:59], v[54:55], v[52:53], v[56:57] op_sel_hi:[1,0,1]
	v_add_nc_u32_e32 v9, 1, v9
	v_pk_fma_f32 v[52:53], v[54:55], v[52:53], v[56:57] neg_lo:[0,0,1] neg_hi:[0,0,1]
	v_mov_b32_e32 v53, v59
	s_delay_alu instid0(VALU_DEP_3) | instskip(NEXT) | instid1(VALU_DEP_2)
	v_cmp_lt_u32_e32 vcc_lo, 2, v9
	v_pk_add_f32 v[50:51], v[50:51], v[52:53]
	s_or_b32 s1, vcc_lo, s1
	s_delay_alu instid0(SALU_CYCLE_1)
	s_and_not1_b32 exec_lo, exec_lo, s1
	s_cbranch_execnz .LBB86_29
; %bb.30:
	s_or_b32 exec_lo, exec_lo, s1
	v_mov_b32_e32 v9, 0
	ds_load_b64 v[52:53], v9 offset:32
	s_wait_dscnt 0x0
	v_pk_mul_f32 v[54:55], v[50:51], v[52:53] op_sel:[1,1] op_sel_hi:[0,1]
	s_delay_alu instid0(VALU_DEP_1) | instskip(SKIP_1) | instid1(VALU_DEP_2)
	v_pk_fma_f32 v[56:57], v[50:51], v[52:53], v[54:55] op_sel_hi:[1,0,1]
	v_pk_fma_f32 v[50:51], v[50:51], v[52:53], v[54:55] neg_lo:[0,0,1] neg_hi:[0,0,1]
	v_mov_b32_e32 v51, v57
	scratch_store_b64 off, v[50:51], off offset:32
.LBB86_31:
	s_wait_xcnt 0x0
	s_or_b32 exec_lo, exec_lo, s0
	s_wait_storecnt 0x0
	s_barrier_signal -1
	s_barrier_wait -1
	scratch_load_b64 v[50:51], off, off offset:40
	;; [unrolled: 52-line block ×19, first 2 shown]
	s_mov_b32 s0, exec_lo
	s_wait_loadcnt 0x0
	ds_store_b64 v1, v[50:51]
	s_wait_dscnt 0x0
	s_barrier_signal -1
	s_barrier_wait -1
	v_cmpx_ne_u32_e32 22, v0
	s_cbranch_execz .LBB86_103
; %bb.100:
	v_dual_mov_b32 v50, 0 :: v_dual_mov_b32 v9, v48
	s_mov_b32 s1, 0
	s_delay_alu instid0(VALU_DEP_1)
	v_mov_b32_e32 v51, v50
.LBB86_101:                             ; =>This Inner Loop Header: Depth=1
	scratch_load_b64 v[48:49], v9, off
	ds_load_b64 v[52:53], v1
	v_add_nc_u32_e32 v1, 8, v1
	s_wait_xcnt 0x0
	v_add_nc_u32_e32 v9, 8, v9
	s_wait_loadcnt_dscnt 0x0
	v_pk_mul_f32 v[54:55], v[52:53], v[48:49] op_sel:[1,1] op_sel_hi:[0,1]
	s_delay_alu instid0(VALU_DEP_1) | instskip(SKIP_2) | instid1(VALU_DEP_3)
	v_pk_fma_f32 v[56:57], v[52:53], v[48:49], v[54:55] op_sel_hi:[1,0,1]
	v_add_nc_u32_e32 v7, 1, v7
	v_pk_fma_f32 v[48:49], v[52:53], v[48:49], v[54:55] neg_lo:[0,0,1] neg_hi:[0,0,1]
	v_mov_b32_e32 v49, v57
	s_delay_alu instid0(VALU_DEP_3) | instskip(NEXT) | instid1(VALU_DEP_2)
	v_cmp_lt_u32_e32 vcc_lo, 20, v7
	v_pk_add_f32 v[50:51], v[50:51], v[48:49]
	s_or_b32 s1, vcc_lo, s1
	s_delay_alu instid0(SALU_CYCLE_1)
	s_and_not1_b32 exec_lo, exec_lo, s1
	s_cbranch_execnz .LBB86_101
; %bb.102:
	s_or_b32 exec_lo, exec_lo, s1
	v_mov_b32_e32 v1, 0
	ds_load_b64 v[48:49], v1 offset:176
	s_wait_dscnt 0x0
	v_pk_mul_f32 v[52:53], v[50:51], v[48:49] op_sel:[1,1] op_sel_hi:[0,1]
	s_delay_alu instid0(VALU_DEP_1) | instskip(SKIP_1) | instid1(VALU_DEP_2)
	v_pk_fma_f32 v[54:55], v[50:51], v[48:49], v[52:53] op_sel_hi:[1,0,1]
	v_pk_fma_f32 v[48:49], v[50:51], v[48:49], v[52:53] neg_lo:[0,0,1] neg_hi:[0,0,1]
	v_mov_b32_e32 v49, v55
	scratch_store_b64 off, v[48:49], off offset:176
.LBB86_103:
	s_wait_xcnt 0x0
	s_or_b32 exec_lo, exec_lo, s0
	s_mov_b32 s1, -1
	s_wait_storecnt 0x0
	s_barrier_signal -1
	s_barrier_wait -1
.LBB86_104:
	s_and_b32 vcc_lo, exec_lo, s1
	s_cbranch_vccz .LBB86_106
; %bb.105:
	v_mov_b32_e32 v1, 0
	s_lshl_b64 s[0:1], s[10:11], 2
	s_delay_alu instid0(SALU_CYCLE_1)
	s_add_nc_u64 s[0:1], s[6:7], s[0:1]
	global_load_b32 v1, v1, s[0:1]
	s_wait_loadcnt 0x0
	v_cmp_ne_u32_e32 vcc_lo, 0, v1
	s_cbranch_vccz .LBB86_107
.LBB86_106:
	s_sendmsg sendmsg(MSG_DEALLOC_VGPRS)
	s_endpgm
.LBB86_107:
	s_wait_xcnt 0x0
	v_lshl_add_u32 v1, v0, 3, 0xc0
	s_mov_b32 s0, exec_lo
	v_cmpx_eq_u32_e32 22, v0
	s_cbranch_execz .LBB86_109
; %bb.108:
	scratch_load_b64 v[48:49], off, off offset:168
	v_mov_b64_e32 v[50:51], 0
	scratch_store_b64 off, v[50:51], off offset:168
	s_wait_loadcnt 0x0
	ds_store_b64 v1, v[48:49]
.LBB86_109:
	s_wait_xcnt 0x0
	s_or_b32 exec_lo, exec_lo, s0
	s_wait_storecnt_dscnt 0x0
	s_barrier_signal -1
	s_barrier_wait -1
	s_clause 0x1
	scratch_load_b64 v[48:49], off, off offset:176
	scratch_load_b64 v[50:51], off, off offset:168
	v_mov_b32_e32 v7, 0
	s_mov_b32 s0, exec_lo
	ds_load_b64 v[52:53], v7 offset:368
	s_wait_loadcnt_dscnt 0x100
	v_pk_mul_f32 v[54:55], v[52:53], v[48:49] op_sel:[1,1] op_sel_hi:[0,1]
	s_delay_alu instid0(VALU_DEP_1) | instskip(SKIP_1) | instid1(VALU_DEP_2)
	v_pk_fma_f32 v[56:57], v[52:53], v[48:49], v[54:55] op_sel_hi:[1,0,1]
	v_pk_fma_f32 v[48:49], v[52:53], v[48:49], v[54:55] neg_lo:[0,0,1] neg_hi:[0,0,1]
	v_mov_b32_e32 v49, v57
	s_delay_alu instid0(VALU_DEP_1) | instskip(SKIP_1) | instid1(VALU_DEP_1)
	v_pk_add_f32 v[48:49], v[48:49], 0 op_sel_hi:[1,0]
	s_wait_loadcnt 0x0
	v_pk_add_f32 v[48:49], v[50:51], v[48:49] neg_lo:[0,1] neg_hi:[0,1]
	scratch_store_b64 off, v[48:49], off offset:168
	s_wait_xcnt 0x0
	v_cmpx_lt_u32_e32 20, v0
	s_cbranch_execz .LBB86_111
; %bb.110:
	scratch_load_b64 v[48:49], off, off offset:160
	v_mov_b64_e32 v[50:51], 0
	scratch_store_b64 off, v[50:51], off offset:160
	s_wait_loadcnt 0x0
	ds_store_b64 v1, v[48:49]
.LBB86_111:
	s_wait_xcnt 0x0
	s_or_b32 exec_lo, exec_lo, s0
	s_wait_storecnt_dscnt 0x0
	s_barrier_signal -1
	s_barrier_wait -1
	s_clause 0x1
	scratch_load_b128 v[48:51], off, off offset:168
	scratch_load_b64 v[56:57], off, off offset:160
	ds_load_2addr_b64 v[52:55], v7 offset0:45 offset1:46
	s_mov_b32 s0, exec_lo
	s_wait_dscnt 0x0
	v_dual_mov_b32 v58, v55 :: v_dual_mov_b32 v59, v54
	s_wait_loadcnt 0x1
	v_pk_mul_f32 v[60:61], v[52:53], v[48:49] op_sel:[1,1] op_sel_hi:[0,1]
	s_delay_alu instid0(VALU_DEP_1) | instskip(SKIP_2) | instid1(VALU_DEP_3)
	v_pk_fma_f32 v[64:65], v[52:53], v[48:49], v[60:61] op_sel_hi:[1,0,1]
	v_mov_b32_e32 v62, v51
	v_pk_fma_f32 v[48:49], v[52:53], v[48:49], v[60:61] neg_lo:[0,0,1] neg_hi:[0,0,1]
	v_mov_b32_e32 v49, v65
	s_delay_alu instid0(VALU_DEP_3) | instskip(NEXT) | instid1(VALU_DEP_2)
	v_pk_mul_f32 v[58:59], v[58:59], v[62:63] op_sel_hi:[1,0]
	v_pk_add_f32 v[48:49], v[48:49], 0 op_sel_hi:[1,0]
	s_delay_alu instid0(VALU_DEP_2) | instskip(SKIP_1) | instid1(VALU_DEP_2)
	v_pk_fma_f32 v[52:53], v[54:55], v[50:51], v[58:59] op_sel_hi:[1,0,1]
	v_pk_fma_f32 v[50:51], v[54:55], v[50:51], v[58:59] neg_lo:[0,0,1] neg_hi:[0,0,1]
	v_mov_b32_e32 v51, v53
	s_delay_alu instid0(VALU_DEP_1) | instskip(SKIP_1) | instid1(VALU_DEP_1)
	v_pk_add_f32 v[48:49], v[48:49], v[50:51]
	s_wait_loadcnt 0x0
	v_pk_add_f32 v[48:49], v[56:57], v[48:49] neg_lo:[0,1] neg_hi:[0,1]
	scratch_store_b64 off, v[48:49], off offset:160
	s_wait_xcnt 0x0
	v_cmpx_lt_u32_e32 19, v0
	s_cbranch_execz .LBB86_113
; %bb.112:
	scratch_load_b64 v[48:49], off, off offset:152
	v_mov_b64_e32 v[50:51], 0
	scratch_store_b64 off, v[50:51], off offset:152
	s_wait_loadcnt 0x0
	ds_store_b64 v1, v[48:49]
.LBB86_113:
	s_wait_xcnt 0x0
	s_or_b32 exec_lo, exec_lo, s0
	s_wait_storecnt_dscnt 0x0
	s_barrier_signal -1
	s_barrier_wait -1
	s_clause 0x2
	scratch_load_b128 v[48:51], off, off offset:160
	scratch_load_b64 v[56:57], off, off offset:176
	scratch_load_b64 v[58:59], off, off offset:152
	v_mov_b32_e32 v7, 0
	ds_load_b128 v[52:55], v7 offset:352
	ds_load_b64 v[60:61], v7 offset:368
	s_mov_b32 s0, exec_lo
	s_wait_dscnt 0x1
	v_dual_mov_b32 v62, v55 :: v_dual_mov_b32 v63, v54
	s_wait_loadcnt 0x2
	v_mov_b32_e32 v66, v51
	v_pk_mul_f32 v[64:65], v[52:53], v[48:49] op_sel:[1,1] op_sel_hi:[0,1]
	s_delay_alu instid0(VALU_DEP_2) | instskip(NEXT) | instid1(VALU_DEP_2)
	v_pk_mul_f32 v[62:63], v[62:63], v[66:67] op_sel_hi:[1,0]
	v_pk_fma_f32 v[68:69], v[52:53], v[48:49], v[64:65] op_sel_hi:[1,0,1]
	v_pk_fma_f32 v[48:49], v[52:53], v[48:49], v[64:65] neg_lo:[0,0,1] neg_hi:[0,0,1]
	s_wait_loadcnt_dscnt 0x100
	v_pk_mul_f32 v[64:65], v[60:61], v[56:57] op_sel:[1,1] op_sel_hi:[0,1]
	v_pk_fma_f32 v[52:53], v[54:55], v[50:51], v[62:63] op_sel_hi:[1,0,1]
	v_mov_b32_e32 v49, v69
	v_pk_fma_f32 v[50:51], v[54:55], v[50:51], v[62:63] neg_lo:[0,0,1] neg_hi:[0,0,1]
	s_delay_alu instid0(VALU_DEP_4) | instskip(NEXT) | instid1(VALU_DEP_4)
	v_pk_fma_f32 v[54:55], v[60:61], v[56:57], v[64:65] neg_lo:[0,0,1] neg_hi:[0,0,1]
	v_mov_b32_e32 v51, v53
	s_delay_alu instid0(VALU_DEP_4) | instskip(SKIP_1) | instid1(VALU_DEP_2)
	v_pk_add_f32 v[48:49], v[48:49], 0 op_sel_hi:[1,0]
	v_pk_fma_f32 v[52:53], v[60:61], v[56:57], v[64:65] op_sel_hi:[1,0,1]
	v_pk_add_f32 v[48:49], v[48:49], v[50:51]
	s_delay_alu instid0(VALU_DEP_2) | instskip(NEXT) | instid1(VALU_DEP_1)
	v_mov_b32_e32 v55, v53
	v_pk_add_f32 v[48:49], v[48:49], v[54:55]
	s_wait_loadcnt 0x0
	s_delay_alu instid0(VALU_DEP_1)
	v_pk_add_f32 v[48:49], v[58:59], v[48:49] neg_lo:[0,1] neg_hi:[0,1]
	scratch_store_b64 off, v[48:49], off offset:152
	s_wait_xcnt 0x0
	v_cmpx_lt_u32_e32 18, v0
	s_cbranch_execz .LBB86_115
; %bb.114:
	scratch_load_b64 v[48:49], off, off offset:144
	v_mov_b64_e32 v[50:51], 0
	scratch_store_b64 off, v[50:51], off offset:144
	s_wait_loadcnt 0x0
	ds_store_b64 v1, v[48:49]
.LBB86_115:
	s_wait_xcnt 0x0
	s_or_b32 exec_lo, exec_lo, s0
	s_wait_storecnt_dscnt 0x0
	s_barrier_signal -1
	s_barrier_wait -1
	s_clause 0x2
	scratch_load_b128 v[48:51], off, off offset:152
	scratch_load_b128 v[52:55], off, off offset:168
	scratch_load_b64 v[64:65], off, off offset:144
	ds_load_2addr_b64 v[56:59], v7 offset0:43 offset1:44
	ds_load_2addr_b64 v[60:63], v7 offset0:45 offset1:46
	s_mov_b32 s0, exec_lo
	s_wait_dscnt 0x1
	v_dual_mov_b32 v66, v59 :: v_dual_mov_b32 v67, v58
	s_wait_loadcnt_dscnt 0x200
	v_dual_mov_b32 v72, v63 :: v_dual_mov_b32 v70, v51
	v_pk_mul_f32 v[68:69], v[56:57], v[48:49] op_sel:[1,1] op_sel_hi:[0,1]
	s_delay_alu instid0(VALU_DEP_2) | instskip(NEXT) | instid1(VALU_DEP_2)
	v_pk_mul_f32 v[66:67], v[66:67], v[70:71] op_sel_hi:[1,0]
	v_pk_fma_f32 v[74:75], v[56:57], v[48:49], v[68:69] op_sel_hi:[1,0,1]
	v_pk_fma_f32 v[48:49], v[56:57], v[48:49], v[68:69] neg_lo:[0,0,1] neg_hi:[0,0,1]
	v_mov_b32_e32 v73, v62
	s_wait_loadcnt 0x1
	v_pk_mul_f32 v[70:71], v[60:61], v[52:53] op_sel:[1,1] op_sel_hi:[0,1]
	v_pk_fma_f32 v[56:57], v[58:59], v[50:51], v[66:67] op_sel_hi:[1,0,1]
	v_dual_mov_b32 v49, v75 :: v_dual_mov_b32 v56, v55
	v_pk_fma_f32 v[50:51], v[58:59], v[50:51], v[66:67] neg_lo:[0,0,1] neg_hi:[0,0,1]
	s_delay_alu instid0(VALU_DEP_4) | instskip(NEXT) | instid1(VALU_DEP_4)
	v_pk_fma_f32 v[68:69], v[60:61], v[52:53], v[70:71] op_sel_hi:[1,0,1]
	v_mov_b32_e32 v51, v57
	s_delay_alu instid0(VALU_DEP_4) | instskip(SKIP_2) | instid1(VALU_DEP_3)
	v_pk_add_f32 v[48:49], v[48:49], 0 op_sel_hi:[1,0]
	v_pk_mul_f32 v[56:57], v[72:73], v[56:57] op_sel_hi:[1,0]
	v_pk_fma_f32 v[52:53], v[60:61], v[52:53], v[70:71] neg_lo:[0,0,1] neg_hi:[0,0,1]
	v_pk_add_f32 v[48:49], v[48:49], v[50:51]
	s_delay_alu instid0(VALU_DEP_3) | instskip(SKIP_2) | instid1(VALU_DEP_3)
	v_pk_fma_f32 v[50:51], v[62:63], v[54:55], v[56:57] op_sel_hi:[1,0,1]
	v_mov_b32_e32 v53, v69
	v_pk_fma_f32 v[54:55], v[62:63], v[54:55], v[56:57] neg_lo:[0,0,1] neg_hi:[0,0,1]
	v_mov_b32_e32 v55, v51
	s_delay_alu instid0(VALU_DEP_3) | instskip(NEXT) | instid1(VALU_DEP_1)
	v_pk_add_f32 v[48:49], v[48:49], v[52:53]
	v_pk_add_f32 v[48:49], v[48:49], v[54:55]
	s_wait_loadcnt 0x0
	s_delay_alu instid0(VALU_DEP_1)
	v_pk_add_f32 v[48:49], v[64:65], v[48:49] neg_lo:[0,1] neg_hi:[0,1]
	scratch_store_b64 off, v[48:49], off offset:144
	s_wait_xcnt 0x0
	v_cmpx_lt_u32_e32 17, v0
	s_cbranch_execz .LBB86_117
; %bb.116:
	scratch_load_b64 v[48:49], off, off offset:136
	v_mov_b64_e32 v[50:51], 0
	scratch_store_b64 off, v[50:51], off offset:136
	s_wait_loadcnt 0x0
	ds_store_b64 v1, v[48:49]
.LBB86_117:
	s_wait_xcnt 0x0
	s_or_b32 exec_lo, exec_lo, s0
	s_wait_storecnt_dscnt 0x0
	s_barrier_signal -1
	s_barrier_wait -1
	s_clause 0x3
	scratch_load_b128 v[48:51], off, off offset:144
	scratch_load_b128 v[52:55], off, off offset:160
	scratch_load_b64 v[64:65], off, off offset:176
	scratch_load_b64 v[66:67], off, off offset:136
	v_mov_b32_e32 v7, 0
	ds_load_b128 v[56:59], v7 offset:336
	ds_load_b128 v[60:63], v7 offset:352
	s_mov_b32 s0, exec_lo
	s_wait_dscnt 0x1
	v_dual_mov_b32 v68, v59 :: v_dual_mov_b32 v69, v58
	ds_load_b64 v[74:75], v7 offset:368
	s_wait_dscnt 0x1
	v_dual_mov_b32 v76, v63 :: v_dual_mov_b32 v77, v62
	s_wait_loadcnt 0x3
	v_pk_mul_f32 v[70:71], v[56:57], v[48:49] op_sel:[1,1] op_sel_hi:[0,1]
	v_mov_b32_e32 v72, v51
	s_delay_alu instid0(VALU_DEP_2) | instskip(NEXT) | instid1(VALU_DEP_2)
	v_pk_fma_f32 v[78:79], v[56:57], v[48:49], v[70:71] op_sel_hi:[1,0,1]
	v_pk_mul_f32 v[68:69], v[68:69], v[72:73] op_sel_hi:[1,0]
	v_pk_fma_f32 v[48:49], v[56:57], v[48:49], v[70:71] neg_lo:[0,0,1] neg_hi:[0,0,1]
	s_wait_loadcnt 0x2
	v_pk_mul_f32 v[72:73], v[60:61], v[52:53] op_sel:[1,1] op_sel_hi:[0,1]
	v_dual_mov_b32 v78, v55 :: v_dual_mov_b32 v49, v79
	v_pk_fma_f32 v[56:57], v[58:59], v[50:51], v[68:69] op_sel_hi:[1,0,1]
	v_pk_fma_f32 v[50:51], v[58:59], v[50:51], v[68:69] neg_lo:[0,0,1] neg_hi:[0,0,1]
	s_delay_alu instid0(VALU_DEP_4) | instskip(NEXT) | instid1(VALU_DEP_4)
	v_pk_fma_f32 v[70:71], v[60:61], v[52:53], v[72:73] op_sel_hi:[1,0,1]
	v_pk_mul_f32 v[76:77], v[76:77], v[78:79] op_sel_hi:[1,0]
	v_pk_add_f32 v[48:49], v[48:49], 0 op_sel_hi:[1,0]
	v_mov_b32_e32 v51, v57
	v_pk_fma_f32 v[52:53], v[60:61], v[52:53], v[72:73] neg_lo:[0,0,1] neg_hi:[0,0,1]
	v_mov_b32_e32 v53, v71
	v_pk_fma_f32 v[56:57], v[62:63], v[54:55], v[76:77] op_sel_hi:[1,0,1]
	v_pk_fma_f32 v[54:55], v[62:63], v[54:55], v[76:77] neg_lo:[0,0,1] neg_hi:[0,0,1]
	v_pk_add_f32 v[48:49], v[48:49], v[50:51]
	s_wait_loadcnt_dscnt 0x100
	v_pk_mul_f32 v[50:51], v[74:75], v[64:65] op_sel:[1,1] op_sel_hi:[0,1]
	s_delay_alu instid0(VALU_DEP_2) | instskip(NEXT) | instid1(VALU_DEP_2)
	v_pk_add_f32 v[48:49], v[48:49], v[52:53]
	v_pk_fma_f32 v[52:53], v[74:75], v[64:65], v[50:51] op_sel_hi:[1,0,1]
	v_mov_b32_e32 v55, v57
	v_pk_fma_f32 v[50:51], v[74:75], v[64:65], v[50:51] neg_lo:[0,0,1] neg_hi:[0,0,1]
	s_delay_alu instid0(VALU_DEP_3) | instskip(NEXT) | instid1(VALU_DEP_3)
	v_mov_b32_e32 v51, v53
	v_pk_add_f32 v[48:49], v[48:49], v[54:55]
	s_delay_alu instid0(VALU_DEP_1) | instskip(SKIP_1) | instid1(VALU_DEP_1)
	v_pk_add_f32 v[48:49], v[48:49], v[50:51]
	s_wait_loadcnt 0x0
	v_pk_add_f32 v[48:49], v[66:67], v[48:49] neg_lo:[0,1] neg_hi:[0,1]
	scratch_store_b64 off, v[48:49], off offset:136
	s_wait_xcnt 0x0
	v_cmpx_lt_u32_e32 16, v0
	s_cbranch_execz .LBB86_119
; %bb.118:
	scratch_load_b64 v[48:49], off, off offset:128
	v_mov_b64_e32 v[50:51], 0
	scratch_store_b64 off, v[50:51], off offset:128
	s_wait_loadcnt 0x0
	ds_store_b64 v1, v[48:49]
.LBB86_119:
	s_wait_xcnt 0x0
	s_or_b32 exec_lo, exec_lo, s0
	s_wait_storecnt_dscnt 0x0
	s_barrier_signal -1
	s_barrier_wait -1
	s_clause 0x3
	scratch_load_b128 v[48:51], off, off offset:136
	scratch_load_b128 v[52:55], off, off offset:152
	;; [unrolled: 1-line block ×3, first 2 shown]
	scratch_load_b64 v[72:73], off, off offset:128
	ds_load_2addr_b64 v[60:63], v7 offset0:41 offset1:42
	ds_load_2addr_b64 v[64:67], v7 offset0:43 offset1:44
	;; [unrolled: 1-line block ×3, first 2 shown]
	s_mov_b32 s0, exec_lo
	s_wait_dscnt 0x2
	v_dual_mov_b32 v74, v63 :: v_dual_mov_b32 v75, v62
	s_wait_dscnt 0x1
	v_dual_mov_b32 v76, v67 :: v_dual_mov_b32 v77, v66
	;; [unrolled: 2-line block ×3, first 2 shown]
	s_wait_loadcnt 0x3
	v_pk_mul_f32 v[78:79], v[60:61], v[48:49] op_sel:[1,1] op_sel_hi:[0,1]
	v_mov_b32_e32 v80, v51
	s_delay_alu instid0(VALU_DEP_2) | instskip(NEXT) | instid1(VALU_DEP_2)
	v_pk_fma_f32 v[84:85], v[60:61], v[48:49], v[78:79] op_sel_hi:[1,0,1]
	v_pk_mul_f32 v[74:75], v[74:75], v[80:81] op_sel_hi:[1,0]
	v_pk_fma_f32 v[48:49], v[60:61], v[48:49], v[78:79] neg_lo:[0,0,1] neg_hi:[0,0,1]
	s_wait_loadcnt 0x2
	v_pk_mul_f32 v[80:81], v[64:65], v[52:53] op_sel:[1,1] op_sel_hi:[0,1]
	v_mov_b32_e32 v84, v55
	v_pk_fma_f32 v[60:61], v[62:63], v[50:51], v[74:75] op_sel_hi:[1,0,1]
	v_mov_b32_e32 v49, v85
	v_pk_fma_f32 v[50:51], v[62:63], v[50:51], v[74:75] neg_lo:[0,0,1] neg_hi:[0,0,1]
	v_pk_fma_f32 v[78:79], v[64:65], v[52:53], v[80:81] op_sel_hi:[1,0,1]
	v_pk_mul_f32 v[76:77], v[76:77], v[84:85] op_sel_hi:[1,0]
	v_mov_b32_e32 v51, v61
	v_pk_add_f32 v[48:49], v[48:49], 0 op_sel_hi:[1,0]
	v_pk_fma_f32 v[52:53], v[64:65], v[52:53], v[80:81] neg_lo:[0,0,1] neg_hi:[0,0,1]
	s_wait_loadcnt 0x1
	v_pk_mul_f32 v[60:61], v[68:69], v[56:57] op_sel:[1,1] op_sel_hi:[0,1]
	v_mov_b32_e32 v53, v79
	v_pk_fma_f32 v[62:63], v[66:67], v[54:55], v[76:77] op_sel_hi:[1,0,1]
	v_pk_add_f32 v[48:49], v[48:49], v[50:51]
	v_mov_b32_e32 v50, v59
	v_pk_fma_f32 v[54:55], v[66:67], v[54:55], v[76:77] neg_lo:[0,0,1] neg_hi:[0,0,1]
	v_pk_fma_f32 v[64:65], v[68:69], v[56:57], v[60:61] op_sel_hi:[1,0,1]
	v_mov_b32_e32 v55, v63
	v_pk_add_f32 v[48:49], v[48:49], v[52:53]
	v_pk_mul_f32 v[50:51], v[82:83], v[50:51] op_sel_hi:[1,0]
	v_pk_fma_f32 v[52:53], v[68:69], v[56:57], v[60:61] neg_lo:[0,0,1] neg_hi:[0,0,1]
	v_mov_b32_e32 v53, v65
	s_delay_alu instid0(VALU_DEP_4) | instskip(NEXT) | instid1(VALU_DEP_4)
	v_pk_add_f32 v[48:49], v[48:49], v[54:55]
	v_pk_fma_f32 v[54:55], v[70:71], v[58:59], v[50:51] op_sel_hi:[1,0,1]
	v_pk_fma_f32 v[50:51], v[70:71], v[58:59], v[50:51] neg_lo:[0,0,1] neg_hi:[0,0,1]
	s_delay_alu instid0(VALU_DEP_3) | instskip(NEXT) | instid1(VALU_DEP_3)
	v_pk_add_f32 v[48:49], v[48:49], v[52:53]
	v_mov_b32_e32 v51, v55
	s_delay_alu instid0(VALU_DEP_1) | instskip(SKIP_1) | instid1(VALU_DEP_1)
	v_pk_add_f32 v[48:49], v[48:49], v[50:51]
	s_wait_loadcnt 0x0
	v_pk_add_f32 v[48:49], v[72:73], v[48:49] neg_lo:[0,1] neg_hi:[0,1]
	scratch_store_b64 off, v[48:49], off offset:128
	s_wait_xcnt 0x0
	v_cmpx_lt_u32_e32 15, v0
	s_cbranch_execz .LBB86_121
; %bb.120:
	scratch_load_b64 v[48:49], off, off offset:120
	v_mov_b64_e32 v[50:51], 0
	scratch_store_b64 off, v[50:51], off offset:120
	s_wait_loadcnt 0x0
	ds_store_b64 v1, v[48:49]
.LBB86_121:
	s_wait_xcnt 0x0
	s_or_b32 exec_lo, exec_lo, s0
	s_wait_storecnt_dscnt 0x0
	s_barrier_signal -1
	s_barrier_wait -1
	s_clause 0x4
	scratch_load_b128 v[48:51], off, off offset:128
	scratch_load_b128 v[52:55], off, off offset:144
	;; [unrolled: 1-line block ×3, first 2 shown]
	scratch_load_b64 v[72:73], off, off offset:176
	scratch_load_b64 v[74:75], off, off offset:120
	v_mov_b32_e32 v7, 0
	ds_load_b128 v[60:63], v7 offset:320
	ds_load_b128 v[64:67], v7 offset:336
	;; [unrolled: 1-line block ×3, first 2 shown]
	ds_load_b64 v[76:77], v7 offset:368
	s_mov_b32 s0, exec_lo
	s_wait_dscnt 0x3
	v_dual_mov_b32 v78, v63 :: v_dual_mov_b32 v79, v62
	s_wait_dscnt 0x2
	v_dual_mov_b32 v80, v67 :: v_dual_mov_b32 v81, v66
	;; [unrolled: 2-line block ×3, first 2 shown]
	s_wait_loadcnt 0x4
	v_pk_mul_f32 v[82:83], v[60:61], v[48:49] op_sel:[1,1] op_sel_hi:[0,1]
	v_mov_b32_e32 v84, v51
	s_wait_loadcnt 0x3
	v_pk_mul_f32 v[88:89], v[64:65], v[52:53] op_sel:[1,1] op_sel_hi:[0,1]
	s_wait_loadcnt 0x2
	v_pk_mul_f32 v[92:93], v[68:69], v[56:57] op_sel:[1,1] op_sel_hi:[0,1]
	v_pk_fma_f32 v[90:91], v[60:61], v[48:49], v[82:83] op_sel_hi:[1,0,1]
	v_pk_mul_f32 v[78:79], v[78:79], v[84:85] op_sel_hi:[1,0]
	v_pk_fma_f32 v[48:49], v[60:61], v[48:49], v[82:83] neg_lo:[0,0,1] neg_hi:[0,0,1]
	v_mov_b32_e32 v84, v55
	v_pk_fma_f32 v[82:83], v[64:65], v[52:53], v[88:89] op_sel_hi:[1,0,1]
	v_mov_b32_e32 v49, v91
	v_pk_fma_f32 v[60:61], v[62:63], v[50:51], v[78:79] op_sel_hi:[1,0,1]
	v_pk_fma_f32 v[50:51], v[62:63], v[50:51], v[78:79] neg_lo:[0,0,1] neg_hi:[0,0,1]
	v_pk_mul_f32 v[80:81], v[80:81], v[84:85] op_sel_hi:[1,0]
	v_pk_fma_f32 v[52:53], v[64:65], v[52:53], v[88:89] neg_lo:[0,0,1] neg_hi:[0,0,1]
	v_pk_add_f32 v[48:49], v[48:49], 0 op_sel_hi:[1,0]
	v_dual_mov_b32 v51, v61 :: v_dual_mov_b32 v60, v59
	s_delay_alu instid0(VALU_DEP_4) | instskip(SKIP_2) | instid1(VALU_DEP_4)
	v_pk_fma_f32 v[62:63], v[66:67], v[54:55], v[80:81] op_sel_hi:[1,0,1]
	v_mov_b32_e32 v53, v83
	v_pk_fma_f32 v[54:55], v[66:67], v[54:55], v[80:81] neg_lo:[0,0,1] neg_hi:[0,0,1]
	v_pk_add_f32 v[48:49], v[48:49], v[50:51]
	v_pk_fma_f32 v[50:51], v[68:69], v[56:57], v[92:93] op_sel_hi:[1,0,1]
	v_pk_mul_f32 v[60:61], v[86:87], v[60:61] op_sel_hi:[1,0]
	v_mov_b32_e32 v55, v63
	s_delay_alu instid0(VALU_DEP_4)
	v_pk_add_f32 v[48:49], v[48:49], v[52:53]
	v_pk_fma_f32 v[52:53], v[68:69], v[56:57], v[92:93] neg_lo:[0,0,1] neg_hi:[0,0,1]
	v_mov_b32_e32 v53, v51
	v_pk_fma_f32 v[50:51], v[70:71], v[58:59], v[60:61] op_sel_hi:[1,0,1]
	v_pk_fma_f32 v[56:57], v[70:71], v[58:59], v[60:61] neg_lo:[0,0,1] neg_hi:[0,0,1]
	v_pk_add_f32 v[48:49], v[48:49], v[54:55]
	s_wait_loadcnt_dscnt 0x100
	v_pk_mul_f32 v[54:55], v[76:77], v[72:73] op_sel:[1,1] op_sel_hi:[0,1]
	v_mov_b32_e32 v57, v51
	s_delay_alu instid0(VALU_DEP_3) | instskip(NEXT) | instid1(VALU_DEP_3)
	v_pk_add_f32 v[48:49], v[48:49], v[52:53]
	v_pk_fma_f32 v[50:51], v[76:77], v[72:73], v[54:55] op_sel_hi:[1,0,1]
	v_pk_fma_f32 v[52:53], v[76:77], v[72:73], v[54:55] neg_lo:[0,0,1] neg_hi:[0,0,1]
	s_delay_alu instid0(VALU_DEP_3) | instskip(NEXT) | instid1(VALU_DEP_3)
	v_pk_add_f32 v[48:49], v[48:49], v[56:57]
	v_mov_b32_e32 v53, v51
	s_delay_alu instid0(VALU_DEP_1) | instskip(SKIP_1) | instid1(VALU_DEP_1)
	v_pk_add_f32 v[48:49], v[48:49], v[52:53]
	s_wait_loadcnt 0x0
	v_pk_add_f32 v[48:49], v[74:75], v[48:49] neg_lo:[0,1] neg_hi:[0,1]
	scratch_store_b64 off, v[48:49], off offset:120
	s_wait_xcnt 0x0
	v_cmpx_lt_u32_e32 14, v0
	s_cbranch_execz .LBB86_123
; %bb.122:
	scratch_load_b64 v[48:49], off, off offset:112
	v_mov_b64_e32 v[50:51], 0
	scratch_store_b64 off, v[50:51], off offset:112
	s_wait_loadcnt 0x0
	ds_store_b64 v1, v[48:49]
.LBB86_123:
	s_wait_xcnt 0x0
	s_or_b32 exec_lo, exec_lo, s0
	s_wait_storecnt_dscnt 0x0
	s_barrier_signal -1
	s_barrier_wait -1
	s_clause 0x4
	scratch_load_b128 v[48:51], off, off offset:120
	scratch_load_b128 v[52:55], off, off offset:136
	;; [unrolled: 1-line block ×4, first 2 shown]
	scratch_load_b64 v[80:81], off, off offset:112
	ds_load_2addr_b64 v[64:67], v7 offset0:39 offset1:40
	ds_load_2addr_b64 v[68:71], v7 offset0:41 offset1:42
	;; [unrolled: 1-line block ×4, first 2 shown]
	s_mov_b32 s0, exec_lo
	s_wait_dscnt 0x3
	v_dual_mov_b32 v82, v67 :: v_dual_mov_b32 v83, v66
	s_wait_dscnt 0x2
	v_dual_mov_b32 v84, v71 :: v_dual_mov_b32 v85, v70
	;; [unrolled: 2-line block ×3, first 2 shown]
	v_dual_mov_b32 v87, v74 :: v_dual_mov_b32 v92, v79
	s_wait_loadcnt 0x4
	v_mov_b32_e32 v90, v51
	v_pk_mul_f32 v[88:89], v[64:65], v[48:49] op_sel:[1,1] op_sel_hi:[0,1]
	s_wait_loadcnt 0x3
	v_pk_mul_f32 v[94:95], v[68:69], v[52:53] op_sel:[1,1] op_sel_hi:[0,1]
	s_wait_loadcnt 0x2
	v_pk_mul_f32 v[98:99], v[72:73], v[56:57] op_sel:[1,1] op_sel_hi:[0,1]
	v_pk_mul_f32 v[82:83], v[82:83], v[90:91] op_sel_hi:[1,0]
	v_pk_fma_f32 v[96:97], v[64:65], v[48:49], v[88:89] op_sel_hi:[1,0,1]
	v_pk_fma_f32 v[48:49], v[64:65], v[48:49], v[88:89] neg_lo:[0,0,1] neg_hi:[0,0,1]
	v_mov_b32_e32 v90, v55
	v_pk_fma_f32 v[88:89], v[68:69], v[52:53], v[94:95] op_sel_hi:[1,0,1]
	v_pk_fma_f32 v[64:65], v[66:67], v[50:51], v[82:83] op_sel_hi:[1,0,1]
	v_mov_b32_e32 v49, v97
	v_pk_fma_f32 v[50:51], v[66:67], v[50:51], v[82:83] neg_lo:[0,0,1] neg_hi:[0,0,1]
	v_pk_mul_f32 v[84:85], v[84:85], v[90:91] op_sel_hi:[1,0]
	s_delay_alu instid0(VALU_DEP_4) | instskip(NEXT) | instid1(VALU_DEP_4)
	v_dual_mov_b32 v64, v59 :: v_dual_mov_b32 v51, v65
	v_pk_add_f32 v[48:49], v[48:49], 0 op_sel_hi:[1,0]
	v_pk_fma_f32 v[52:53], v[68:69], v[52:53], v[94:95] neg_lo:[0,0,1] neg_hi:[0,0,1]
	v_mov_b32_e32 v53, v89
	v_pk_fma_f32 v[66:67], v[70:71], v[54:55], v[84:85] op_sel_hi:[1,0,1]
	v_pk_mul_f32 v[64:65], v[86:87], v[64:65] op_sel_hi:[1,0]
	v_pk_add_f32 v[48:49], v[48:49], v[50:51]
	v_pk_fma_f32 v[50:51], v[72:73], v[56:57], v[98:99] op_sel_hi:[1,0,1]
	v_pk_fma_f32 v[54:55], v[70:71], v[54:55], v[84:85] neg_lo:[0,0,1] neg_hi:[0,0,1]
	v_mov_b32_e32 v55, v67
	v_pk_fma_f32 v[56:57], v[72:73], v[56:57], v[98:99] neg_lo:[0,0,1] neg_hi:[0,0,1]
	v_pk_add_f32 v[48:49], v[48:49], v[52:53]
	v_mov_b32_e32 v57, v51
	v_pk_fma_f32 v[50:51], v[74:75], v[58:59], v[64:65] op_sel_hi:[1,0,1]
	s_wait_loadcnt 0x1
	v_pk_mul_f32 v[52:53], v[76:77], v[60:61] op_sel:[1,1] op_sel_hi:[0,1]
	v_mov_b32_e32 v50, v63
	v_pk_add_f32 v[48:49], v[48:49], v[54:55]
	v_pk_fma_f32 v[58:59], v[74:75], v[58:59], v[64:65] neg_lo:[0,0,1] neg_hi:[0,0,1]
	v_mov_b32_e32 v59, v51
	v_pk_fma_f32 v[54:55], v[76:77], v[60:61], v[52:53] op_sel_hi:[1,0,1]
	v_pk_mul_f32 v[50:51], v[92:93], v[50:51] op_sel_hi:[1,0]
	v_pk_add_f32 v[48:49], v[48:49], v[56:57]
	v_pk_fma_f32 v[52:53], v[76:77], v[60:61], v[52:53] neg_lo:[0,0,1] neg_hi:[0,0,1]
	s_delay_alu instid0(VALU_DEP_4) | instskip(NEXT) | instid1(VALU_DEP_4)
	v_mov_b32_e32 v53, v55
	v_pk_fma_f32 v[54:55], v[78:79], v[62:63], v[50:51] op_sel_hi:[1,0,1]
	s_delay_alu instid0(VALU_DEP_4) | instskip(SKIP_1) | instid1(VALU_DEP_3)
	v_pk_add_f32 v[48:49], v[48:49], v[58:59]
	v_pk_fma_f32 v[50:51], v[78:79], v[62:63], v[50:51] neg_lo:[0,0,1] neg_hi:[0,0,1]
	v_mov_b32_e32 v51, v55
	s_delay_alu instid0(VALU_DEP_3) | instskip(NEXT) | instid1(VALU_DEP_1)
	v_pk_add_f32 v[48:49], v[48:49], v[52:53]
	v_pk_add_f32 v[48:49], v[48:49], v[50:51]
	s_wait_loadcnt 0x0
	s_delay_alu instid0(VALU_DEP_1)
	v_pk_add_f32 v[48:49], v[80:81], v[48:49] neg_lo:[0,1] neg_hi:[0,1]
	scratch_store_b64 off, v[48:49], off offset:112
	s_wait_xcnt 0x0
	v_cmpx_lt_u32_e32 13, v0
	s_cbranch_execz .LBB86_125
; %bb.124:
	scratch_load_b64 v[48:49], off, off offset:104
	v_mov_b64_e32 v[50:51], 0
	scratch_store_b64 off, v[50:51], off offset:104
	s_wait_loadcnt 0x0
	ds_store_b64 v1, v[48:49]
.LBB86_125:
	s_wait_xcnt 0x0
	s_or_b32 exec_lo, exec_lo, s0
	s_wait_storecnt_dscnt 0x0
	s_barrier_signal -1
	s_barrier_wait -1
	s_clause 0x5
	scratch_load_b128 v[48:51], off, off offset:112
	scratch_load_b128 v[52:55], off, off offset:128
	scratch_load_b128 v[56:59], off, off offset:144
	scratch_load_b128 v[60:63], off, off offset:160
	scratch_load_b64 v[80:81], off, off offset:176
	scratch_load_b64 v[82:83], off, off offset:104
	v_mov_b32_e32 v7, 0
	ds_load_b128 v[64:67], v7 offset:304
	ds_load_b128 v[68:71], v7 offset:320
	;; [unrolled: 1-line block ×4, first 2 shown]
	ds_load_b64 v[84:85], v7 offset:368
	s_mov_b32 s0, exec_lo
	s_wait_dscnt 0x4
	v_dual_mov_b32 v86, v67 :: v_dual_mov_b32 v87, v66
	s_wait_dscnt 0x1
	v_dual_mov_b32 v88, v71 :: v_dual_mov_b32 v93, v78
	v_dual_mov_b32 v89, v70 :: v_dual_mov_b32 v90, v75
	;; [unrolled: 1-line block ×3, first 2 shown]
	s_wait_loadcnt 0x5
	v_dual_mov_b32 v94, v51 :: v_dual_mul_f32 v95, v64, v49
	v_mul_f32_e32 v9, v65, v49
	s_wait_loadcnt 0x4
	v_pk_mul_f32 v[96:97], v[68:69], v[52:53] op_sel:[1,1] op_sel_hi:[0,1]
	v_mov_b32_e32 v98, v55
	s_wait_loadcnt 0x3
	v_pk_mul_f32 v[100:101], v[72:73], v[56:57] op_sel:[1,1] op_sel_hi:[0,1]
	v_pk_mul_f32 v[86:87], v[86:87], v[94:95] op_sel_hi:[1,0]
	v_dual_fmac_f32 v95, v65, v48 :: v_dual_fma_f32 v94, v64, v48, -v9
	v_mov_b32_e32 v48, v59
	v_pk_fma_f32 v[102:103], v[68:69], v[52:53], v[96:97] op_sel_hi:[1,0,1]
	s_delay_alu instid0(VALU_DEP_4)
	v_pk_fma_f32 v[64:65], v[66:67], v[50:51], v[86:87] op_sel_hi:[1,0,1]
	v_pk_fma_f32 v[50:51], v[66:67], v[50:51], v[86:87] neg_lo:[0,0,1] neg_hi:[0,0,1]
	v_pk_mul_f32 v[88:89], v[88:89], v[98:99] op_sel_hi:[1,0]
	v_pk_add_f32 v[94:95], v[94:95], 0 op_sel_hi:[1,0]
	v_pk_fma_f32 v[52:53], v[68:69], v[52:53], v[96:97] neg_lo:[0,0,1] neg_hi:[0,0,1]
	v_dual_mov_b32 v51, v65 :: v_dual_mov_b32 v53, v103
	s_delay_alu instid0(VALU_DEP_4) | instskip(SKIP_2) | instid1(VALU_DEP_4)
	v_pk_fma_f32 v[66:67], v[70:71], v[54:55], v[88:89] op_sel_hi:[1,0,1]
	v_pk_fma_f32 v[54:55], v[70:71], v[54:55], v[88:89] neg_lo:[0,0,1] neg_hi:[0,0,1]
	v_pk_fma_f32 v[68:69], v[72:73], v[56:57], v[100:101] op_sel_hi:[1,0,1]
	v_pk_add_f32 v[50:51], v[94:95], v[50:51]
	v_pk_mul_f32 v[48:49], v[90:91], v[48:49] op_sel_hi:[1,0]
	v_mov_b32_e32 v55, v67
	v_pk_fma_f32 v[56:57], v[72:73], v[56:57], v[100:101] neg_lo:[0,0,1] neg_hi:[0,0,1]
	s_wait_loadcnt 0x2
	v_pk_mul_f32 v[64:65], v[76:77], v[60:61] op_sel:[1,1] op_sel_hi:[0,1]
	v_pk_add_f32 v[50:51], v[50:51], v[52:53]
	v_mov_b32_e32 v52, v63
	v_pk_fma_f32 v[66:67], v[74:75], v[58:59], v[48:49] op_sel_hi:[1,0,1]
	v_mov_b32_e32 v57, v69
	v_pk_fma_f32 v[48:49], v[74:75], v[58:59], v[48:49] neg_lo:[0,0,1] neg_hi:[0,0,1]
	v_pk_add_f32 v[50:51], v[50:51], v[54:55]
	v_pk_fma_f32 v[54:55], v[76:77], v[60:61], v[64:65] op_sel_hi:[1,0,1]
	v_pk_mul_f32 v[52:53], v[92:93], v[52:53] op_sel_hi:[1,0]
	v_mov_b32_e32 v49, v67
	s_delay_alu instid0(VALU_DEP_4)
	v_pk_add_f32 v[50:51], v[50:51], v[56:57]
	v_pk_fma_f32 v[56:57], v[76:77], v[60:61], v[64:65] neg_lo:[0,0,1] neg_hi:[0,0,1]
	v_mov_b32_e32 v57, v55
	v_pk_fma_f32 v[54:55], v[78:79], v[62:63], v[52:53] op_sel_hi:[1,0,1]
	v_pk_fma_f32 v[52:53], v[78:79], v[62:63], v[52:53] neg_lo:[0,0,1] neg_hi:[0,0,1]
	v_pk_add_f32 v[48:49], v[50:51], v[48:49]
	s_wait_loadcnt_dscnt 0x100
	v_pk_mul_f32 v[50:51], v[84:85], v[80:81] op_sel:[1,1] op_sel_hi:[0,1]
	v_mov_b32_e32 v53, v55
	s_delay_alu instid0(VALU_DEP_3) | instskip(NEXT) | instid1(VALU_DEP_3)
	v_pk_add_f32 v[48:49], v[48:49], v[56:57]
	v_pk_fma_f32 v[54:55], v[84:85], v[80:81], v[50:51] op_sel_hi:[1,0,1]
	v_pk_fma_f32 v[50:51], v[84:85], v[80:81], v[50:51] neg_lo:[0,0,1] neg_hi:[0,0,1]
	s_delay_alu instid0(VALU_DEP_3) | instskip(NEXT) | instid1(VALU_DEP_3)
	v_pk_add_f32 v[48:49], v[48:49], v[52:53]
	v_mov_b32_e32 v51, v55
	s_delay_alu instid0(VALU_DEP_1) | instskip(SKIP_1) | instid1(VALU_DEP_1)
	v_pk_add_f32 v[48:49], v[48:49], v[50:51]
	s_wait_loadcnt 0x0
	v_pk_add_f32 v[48:49], v[82:83], v[48:49] neg_lo:[0,1] neg_hi:[0,1]
	scratch_store_b64 off, v[48:49], off offset:104
	s_wait_xcnt 0x0
	v_cmpx_lt_u32_e32 12, v0
	s_cbranch_execz .LBB86_127
; %bb.126:
	scratch_load_b64 v[48:49], off, off offset:96
	v_mov_b64_e32 v[50:51], 0
	scratch_store_b64 off, v[50:51], off offset:96
	s_wait_loadcnt 0x0
	ds_store_b64 v1, v[48:49]
.LBB86_127:
	s_wait_xcnt 0x0
	s_or_b32 exec_lo, exec_lo, s0
	s_wait_storecnt_dscnt 0x0
	s_barrier_signal -1
	s_barrier_wait -1
	s_clause 0x5
	scratch_load_b128 v[48:51], off, off offset:104
	scratch_load_b128 v[52:55], off, off offset:120
	scratch_load_b128 v[56:59], off, off offset:136
	scratch_load_b128 v[60:63], off, off offset:152
	scratch_load_b128 v[64:67], off, off offset:168
	scratch_load_b64 v[88:89], off, off offset:96
	ds_load_2addr_b64 v[68:71], v7 offset0:39 offset1:40
	ds_load_2addr_b64 v[72:75], v7 offset0:41 offset1:42
	;; [unrolled: 1-line block ×5, first 2 shown]
	s_mov_b32 s0, exec_lo
	s_wait_dscnt 0x4
	v_dual_mov_b32 v90, v71 :: v_dual_mov_b32 v91, v70
	s_wait_dscnt 0x3
	v_dual_mov_b32 v92, v75 :: v_dual_mov_b32 v93, v74
	;; [unrolled: 2-line block ×4, first 2 shown]
	s_wait_loadcnt_dscnt 0x500
	v_dual_mul_f32 v99, v84, v49 :: v_dual_mul_f32 v101, v86, v51
	v_dual_mul_f32 v7, v85, v49 :: v_dual_mul_f32 v9, v87, v51
	s_wait_loadcnt 0x4
	v_pk_mul_f32 v[102:103], v[68:69], v[52:53] op_sel:[1,1] op_sel_hi:[0,1]
	s_wait_loadcnt 0x3
	v_dual_mov_b32 v104, v55 :: v_dual_mov_b32 v108, v59
	v_dual_fmac_f32 v99, v85, v48 :: v_dual_fmac_f32 v101, v87, v50
	v_dual_fma_f32 v98, v84, v48, -v7 :: v_dual_fma_f32 v100, v86, v50, -v9
	v_pk_fma_f32 v[48:49], v[68:69], v[52:53], v[102:103] op_sel_hi:[1,0,1]
	s_delay_alu instid0(VALU_DEP_4) | instskip(SKIP_1) | instid1(VALU_DEP_4)
	v_pk_mul_f32 v[50:51], v[90:91], v[104:105] op_sel_hi:[1,0]
	v_pk_fma_f32 v[52:53], v[68:69], v[52:53], v[102:103] neg_lo:[0,0,1] neg_hi:[0,0,1]
	v_pk_add_f32 v[84:85], v[98:99], 0 op_sel_hi:[1,0]
	v_pk_mul_f32 v[106:107], v[72:73], v[56:57] op_sel:[1,1] op_sel_hi:[0,1]
	v_mov_b32_e32 v53, v49
	v_pk_fma_f32 v[48:49], v[70:71], v[54:55], v[50:51] op_sel_hi:[1,0,1]
	v_pk_fma_f32 v[50:51], v[70:71], v[54:55], v[50:51] neg_lo:[0,0,1] neg_hi:[0,0,1]
	v_pk_add_f32 v[68:69], v[84:85], v[100:101]
	v_pk_fma_f32 v[84:85], v[72:73], v[56:57], v[106:107] op_sel_hi:[1,0,1]
	v_pk_mul_f32 v[90:91], v[92:93], v[108:109] op_sel_hi:[1,0]
	v_mov_b32_e32 v51, v49
	s_wait_loadcnt 0x2
	v_pk_mul_f32 v[86:87], v[76:77], v[60:61] op_sel:[1,1] op_sel_hi:[0,1]
	v_pk_add_f32 v[48:49], v[68:69], v[52:53]
	v_mov_b32_e32 v52, v63
	v_pk_fma_f32 v[54:55], v[72:73], v[56:57], v[106:107] neg_lo:[0,0,1] neg_hi:[0,0,1]
	v_mov_b32_e32 v55, v85
	v_pk_fma_f32 v[56:57], v[74:75], v[58:59], v[90:91] op_sel_hi:[1,0,1]
	v_pk_add_f32 v[48:49], v[48:49], v[50:51]
	v_pk_fma_f32 v[50:51], v[76:77], v[60:61], v[86:87] op_sel_hi:[1,0,1]
	v_pk_mul_f32 v[52:53], v[94:95], v[52:53] op_sel_hi:[1,0]
	v_pk_fma_f32 v[58:59], v[74:75], v[58:59], v[90:91] neg_lo:[0,0,1] neg_hi:[0,0,1]
	v_mov_b32_e32 v59, v57
	v_pk_add_f32 v[48:49], v[48:49], v[54:55]
	v_pk_fma_f32 v[56:57], v[76:77], v[60:61], v[86:87] neg_lo:[0,0,1] neg_hi:[0,0,1]
	v_mov_b32_e32 v57, v51
	v_pk_fma_f32 v[50:51], v[78:79], v[62:63], v[52:53] op_sel_hi:[1,0,1]
	s_wait_loadcnt 0x1
	v_pk_mul_f32 v[54:55], v[80:81], v[64:65] op_sel:[1,1] op_sel_hi:[0,1]
	v_pk_add_f32 v[48:49], v[48:49], v[58:59]
	v_mov_b32_e32 v50, v67
	v_pk_fma_f32 v[52:53], v[78:79], v[62:63], v[52:53] neg_lo:[0,0,1] neg_hi:[0,0,1]
	v_mov_b32_e32 v53, v51
	v_pk_fma_f32 v[58:59], v[80:81], v[64:65], v[54:55] op_sel_hi:[1,0,1]
	v_pk_add_f32 v[48:49], v[48:49], v[56:57]
	v_pk_mul_f32 v[50:51], v[96:97], v[50:51] op_sel_hi:[1,0]
	v_pk_fma_f32 v[54:55], v[80:81], v[64:65], v[54:55] neg_lo:[0,0,1] neg_hi:[0,0,1]
	s_delay_alu instid0(VALU_DEP_3) | instskip(NEXT) | instid1(VALU_DEP_3)
	v_pk_add_f32 v[48:49], v[48:49], v[52:53]
	v_pk_fma_f32 v[52:53], v[82:83], v[66:67], v[50:51] op_sel_hi:[1,0,1]
	v_mov_b32_e32 v55, v59
	v_pk_fma_f32 v[50:51], v[82:83], v[66:67], v[50:51] neg_lo:[0,0,1] neg_hi:[0,0,1]
	s_delay_alu instid0(VALU_DEP_3) | instskip(NEXT) | instid1(VALU_DEP_3)
	v_mov_b32_e32 v51, v53
	v_pk_add_f32 v[48:49], v[48:49], v[54:55]
	s_delay_alu instid0(VALU_DEP_1) | instskip(SKIP_1) | instid1(VALU_DEP_1)
	v_pk_add_f32 v[48:49], v[48:49], v[50:51]
	s_wait_loadcnt 0x0
	v_pk_add_f32 v[48:49], v[88:89], v[48:49] neg_lo:[0,1] neg_hi:[0,1]
	scratch_store_b64 off, v[48:49], off offset:96
	s_wait_xcnt 0x0
	v_cmpx_lt_u32_e32 11, v0
	s_cbranch_execz .LBB86_129
; %bb.128:
	scratch_load_b64 v[48:49], off, off offset:88
	v_mov_b64_e32 v[50:51], 0
	scratch_store_b64 off, v[50:51], off offset:88
	s_wait_loadcnt 0x0
	ds_store_b64 v1, v[48:49]
.LBB86_129:
	s_wait_xcnt 0x0
	s_or_b32 exec_lo, exec_lo, s0
	s_wait_storecnt_dscnt 0x0
	s_barrier_signal -1
	s_barrier_wait -1
	s_clause 0x6
	scratch_load_b128 v[48:51], off, off offset:96
	scratch_load_b128 v[52:55], off, off offset:112
	;; [unrolled: 1-line block ×5, first 2 shown]
	scratch_load_b64 v[88:89], off, off offset:176
	scratch_load_b64 v[90:91], off, off offset:88
	v_mov_b32_e32 v7, 0
	ds_load_b128 v[68:71], v7 offset:304
	ds_load_b128 v[72:75], v7 offset:320
	ds_load_b128 v[76:79], v7 offset:336
	ds_load_b128 v[80:83], v7 offset:352
	ds_load_b128 v[84:87], v7 offset:288
	ds_load_b64 v[92:93], v7 offset:368
	s_mov_b32 s0, exec_lo
	s_wait_dscnt 0x5
	v_dual_mov_b32 v94, v71 :: v_dual_mov_b32 v95, v70
	s_wait_dscnt 0x2
	v_dual_mov_b32 v96, v75 :: v_dual_mov_b32 v101, v82
	v_dual_mov_b32 v97, v74 :: v_dual_mov_b32 v98, v79
	;; [unrolled: 1-line block ×3, first 2 shown]
	s_wait_loadcnt_dscnt 0x601
	v_dual_mul_f32 v9, v84, v49 :: v_dual_mul_f32 v11, v85, v49
	v_dual_mul_f32 v13, v87, v51 :: v_dual_mul_f32 v103, v86, v51
	s_wait_loadcnt 0x5
	v_dual_mul_f32 v105, v68, v53 :: v_dual_mul_f32 v15, v69, v53
	s_wait_loadcnt 0x4
	v_dual_mov_b32 v104, v55 :: v_dual_mov_b32 v108, v59
	v_dual_fmac_f32 v9, v85, v48 :: v_dual_fma_f32 v11, v84, v48, -v11
	v_dual_fma_f32 v102, v86, v50, -v13 :: v_dual_fmac_f32 v103, v87, v50
	s_delay_alu instid0(VALU_DEP_3) | instskip(NEXT) | instid1(VALU_DEP_3)
	v_pk_mul_f32 v[48:49], v[94:95], v[104:105] op_sel_hi:[1,0]
	v_dual_add_f32 v51, 0, v9 :: v_dual_add_f32 v50, 0, v11
	s_wait_loadcnt 0x3
	v_mov_b32_e32 v84, v63
	v_pk_mul_f32 v[106:107], v[72:73], v[56:57] op_sel:[1,1] op_sel_hi:[0,1]
	v_dual_fmac_f32 v105, v69, v52 :: v_dual_fma_f32 v104, v68, v52, -v15
	v_pk_fma_f32 v[52:53], v[70:71], v[54:55], v[48:49] op_sel_hi:[1,0,1]
	v_pk_add_f32 v[50:51], v[50:51], v[102:103]
	v_pk_fma_f32 v[48:49], v[70:71], v[54:55], v[48:49] neg_lo:[0,0,1] neg_hi:[0,0,1]
	v_pk_fma_f32 v[68:69], v[72:73], v[56:57], v[106:107] op_sel_hi:[1,0,1]
	v_pk_mul_f32 v[86:87], v[96:97], v[108:109] op_sel_hi:[1,0]
	v_mov_b32_e32 v49, v53
	v_pk_add_f32 v[50:51], v[50:51], v[104:105]
	v_pk_fma_f32 v[54:55], v[72:73], v[56:57], v[106:107] neg_lo:[0,0,1] neg_hi:[0,0,1]
	v_pk_mul_f32 v[110:111], v[76:77], v[60:61] op_sel:[1,1] op_sel_hi:[0,1]
	v_mov_b32_e32 v55, v69
	v_pk_fma_f32 v[56:57], v[74:75], v[58:59], v[86:87] op_sel_hi:[1,0,1]
	v_pk_add_f32 v[48:49], v[50:51], v[48:49]
	v_pk_fma_f32 v[58:59], v[74:75], v[58:59], v[86:87] neg_lo:[0,0,1] neg_hi:[0,0,1]
	v_pk_fma_f32 v[50:51], v[76:77], v[60:61], v[110:111] op_sel_hi:[1,0,1]
	v_pk_mul_f32 v[68:69], v[98:99], v[84:85] op_sel_hi:[1,0]
	s_wait_loadcnt 0x2
	v_dual_mov_b32 v59, v57 :: v_dual_mov_b32 v50, v67
	v_pk_add_f32 v[48:49], v[48:49], v[54:55]
	v_pk_fma_f32 v[54:55], v[76:77], v[60:61], v[110:111] neg_lo:[0,0,1] neg_hi:[0,0,1]
	v_pk_mul_f32 v[52:53], v[80:81], v[64:65] op_sel:[1,1] op_sel_hi:[0,1]
	v_pk_fma_f32 v[56:57], v[78:79], v[62:63], v[68:69] op_sel_hi:[1,0,1]
	v_mov_b32_e32 v55, v51
	v_pk_add_f32 v[48:49], v[48:49], v[58:59]
	v_pk_fma_f32 v[60:61], v[78:79], v[62:63], v[68:69] neg_lo:[0,0,1] neg_hi:[0,0,1]
	v_pk_fma_f32 v[58:59], v[80:81], v[64:65], v[52:53] op_sel_hi:[1,0,1]
	v_pk_mul_f32 v[50:51], v[100:101], v[50:51] op_sel_hi:[1,0]
	v_mov_b32_e32 v61, v57
	v_pk_add_f32 v[48:49], v[48:49], v[54:55]
	v_pk_fma_f32 v[52:53], v[80:81], v[64:65], v[52:53] neg_lo:[0,0,1] neg_hi:[0,0,1]
	s_wait_loadcnt_dscnt 0x100
	v_pk_mul_f32 v[56:57], v[92:93], v[88:89] op_sel:[1,1] op_sel_hi:[0,1]
	v_pk_fma_f32 v[54:55], v[82:83], v[66:67], v[50:51] op_sel_hi:[1,0,1]
	v_mov_b32_e32 v53, v59
	v_pk_add_f32 v[48:49], v[48:49], v[60:61]
	v_pk_fma_f32 v[50:51], v[82:83], v[66:67], v[50:51] neg_lo:[0,0,1] neg_hi:[0,0,1]
	s_delay_alu instid0(VALU_DEP_4) | instskip(SKIP_1) | instid1(VALU_DEP_4)
	v_mov_b32_e32 v51, v55
	v_pk_fma_f32 v[54:55], v[92:93], v[88:89], v[56:57] neg_lo:[0,0,1] neg_hi:[0,0,1]
	v_pk_add_f32 v[48:49], v[48:49], v[52:53]
	v_pk_fma_f32 v[52:53], v[92:93], v[88:89], v[56:57] op_sel_hi:[1,0,1]
	s_delay_alu instid0(VALU_DEP_2) | instskip(NEXT) | instid1(VALU_DEP_2)
	v_pk_add_f32 v[48:49], v[48:49], v[50:51]
	v_mov_b32_e32 v55, v53
	s_delay_alu instid0(VALU_DEP_1) | instskip(SKIP_1) | instid1(VALU_DEP_1)
	v_pk_add_f32 v[48:49], v[48:49], v[54:55]
	s_wait_loadcnt 0x0
	v_pk_add_f32 v[48:49], v[90:91], v[48:49] neg_lo:[0,1] neg_hi:[0,1]
	scratch_store_b64 off, v[48:49], off offset:88
	s_wait_xcnt 0x0
	v_cmpx_lt_u32_e32 10, v0
	s_cbranch_execz .LBB86_131
; %bb.130:
	scratch_load_b64 v[48:49], off, off offset:80
	v_mov_b64_e32 v[50:51], 0
	scratch_store_b64 off, v[50:51], off offset:80
	s_wait_loadcnt 0x0
	ds_store_b64 v1, v[48:49]
.LBB86_131:
	s_wait_xcnt 0x0
	s_or_b32 exec_lo, exec_lo, s0
	s_wait_storecnt_dscnt 0x0
	s_barrier_signal -1
	s_barrier_wait -1
	s_clause 0x6
	scratch_load_b128 v[48:51], off, off offset:88
	scratch_load_b128 v[52:55], off, off offset:104
	scratch_load_b128 v[56:59], off, off offset:120
	scratch_load_b128 v[60:63], off, off offset:136
	scratch_load_b128 v[64:67], off, off offset:152
	scratch_load_b128 v[68:71], off, off offset:168
	scratch_load_b64 v[96:97], off, off offset:80
	ds_load_2addr_b64 v[72:75], v7 offset0:39 offset1:40
	ds_load_2addr_b64 v[76:79], v7 offset0:41 offset1:42
	ds_load_2addr_b64 v[80:83], v7 offset0:43 offset1:44
	ds_load_2addr_b64 v[84:87], v7 offset0:45 offset1:46
	ds_load_2addr_b64 v[88:91], v7 offset0:35 offset1:36
	ds_load_2addr_b64 v[92:95], v7 offset0:37 offset1:38
	s_mov_b32 s0, exec_lo
	s_wait_dscnt 0x5
	v_dual_mov_b32 v98, v75 :: v_dual_mov_b32 v99, v74
	s_wait_dscnt 0x4
	v_dual_mov_b32 v100, v79 :: v_dual_mov_b32 v101, v78
	;; [unrolled: 2-line block ×4, first 2 shown]
	s_wait_loadcnt_dscnt 0x601
	v_dual_mul_f32 v7, v88, v49 :: v_dual_mul_f32 v9, v90, v51
	v_dual_mul_f32 v11, v89, v49 :: v_dual_mul_f32 v13, v91, v51
	s_wait_loadcnt 0x4
	s_delay_alu instid0(VALU_DEP_2)
	v_dual_mov_b32 v112, v59 :: v_dual_fmac_f32 v7, v89, v48
	s_wait_dscnt 0x0
	v_dual_mul_f32 v107, v92, v53 :: v_dual_mul_f32 v109, v94, v55
	v_dual_fma_f32 v11, v88, v48, -v11 :: v_dual_fmac_f32 v9, v91, v50
	v_dual_mul_f32 v15, v93, v53 :: v_dual_mul_f32 v17, v95, v55
	v_dual_fma_f32 v13, v90, v50, -v13 :: v_dual_add_f32 v7, 0, v7
	s_wait_loadcnt 0x3
	s_delay_alu instid0(VALU_DEP_3) | instskip(SKIP_3) | instid1(VALU_DEP_4)
	v_dual_add_f32 v11, 0, v11 :: v_dual_mov_b32 v50, v63
	v_pk_mul_f32 v[110:111], v[72:73], v[56:57] op_sel:[1,1] op_sel_hi:[0,1]
	v_pk_mul_f32 v[48:49], v[76:77], v[60:61] op_sel:[1,1] op_sel_hi:[0,1]
	v_dual_fmac_f32 v107, v93, v52 :: v_dual_add_f32 v53, v7, v9
	v_dual_fma_f32 v106, v92, v52, -v15 :: v_dual_add_f32 v52, v11, v13
	v_fmac_f32_e32 v109, v95, v54
	v_fma_f32 v108, v94, v54, -v17
	v_pk_fma_f32 v[54:55], v[72:73], v[56:57], v[110:111] op_sel_hi:[1,0,1]
	v_pk_mul_f32 v[88:89], v[98:99], v[112:113] op_sel_hi:[1,0]
	v_pk_add_f32 v[52:53], v[52:53], v[106:107]
	v_pk_fma_f32 v[56:57], v[72:73], v[56:57], v[110:111] neg_lo:[0,0,1] neg_hi:[0,0,1]
	v_pk_fma_f32 v[72:73], v[76:77], v[60:61], v[48:49] op_sel_hi:[1,0,1]
	v_pk_fma_f32 v[48:49], v[76:77], v[60:61], v[48:49] neg_lo:[0,0,1] neg_hi:[0,0,1]
	v_mov_b32_e32 v57, v55
	v_pk_fma_f32 v[54:55], v[74:75], v[58:59], v[88:89] op_sel_hi:[1,0,1]
	v_pk_fma_f32 v[58:59], v[74:75], v[58:59], v[88:89] neg_lo:[0,0,1] neg_hi:[0,0,1]
	v_mov_b32_e32 v49, v73
	v_pk_add_f32 v[52:53], v[52:53], v[108:109]
	v_pk_mul_f32 v[50:51], v[100:101], v[50:51] op_sel_hi:[1,0]
	s_wait_loadcnt 0x2
	v_dual_mov_b32 v59, v55 :: v_dual_mov_b32 v54, v67
	v_pk_mul_f32 v[90:91], v[80:81], v[64:65] op_sel:[1,1] op_sel_hi:[0,1]
	v_pk_add_f32 v[52:53], v[52:53], v[56:57]
	v_pk_fma_f32 v[56:57], v[78:79], v[62:63], v[50:51] op_sel_hi:[1,0,1]
	v_pk_fma_f32 v[50:51], v[78:79], v[62:63], v[50:51] neg_lo:[0,0,1] neg_hi:[0,0,1]
	v_pk_mul_f32 v[54:55], v[102:103], v[54:55] op_sel_hi:[1,0]
	s_delay_alu instid0(VALU_DEP_4) | instskip(SKIP_3) | instid1(VALU_DEP_4)
	v_pk_add_f32 v[52:53], v[52:53], v[58:59]
	v_pk_fma_f32 v[58:59], v[80:81], v[64:65], v[90:91] op_sel_hi:[1,0,1]
	v_mov_b32_e32 v51, v57
	v_pk_fma_f32 v[56:57], v[80:81], v[64:65], v[90:91] neg_lo:[0,0,1] neg_hi:[0,0,1]
	v_pk_add_f32 v[48:49], v[52:53], v[48:49]
	s_wait_loadcnt 0x1
	v_pk_mul_f32 v[52:53], v[84:85], v[68:69] op_sel:[1,1] op_sel_hi:[0,1]
	v_mov_b32_e32 v57, v59
	v_pk_fma_f32 v[58:59], v[82:83], v[66:67], v[54:55] op_sel_hi:[1,0,1]
	v_pk_fma_f32 v[54:55], v[82:83], v[66:67], v[54:55] neg_lo:[0,0,1] neg_hi:[0,0,1]
	v_pk_add_f32 v[48:49], v[48:49], v[50:51]
	v_mov_b32_e32 v50, v71
	v_pk_fma_f32 v[60:61], v[84:85], v[68:69], v[52:53] op_sel_hi:[1,0,1]
	v_mov_b32_e32 v55, v59
	v_pk_fma_f32 v[52:53], v[84:85], v[68:69], v[52:53] neg_lo:[0,0,1] neg_hi:[0,0,1]
	v_pk_add_f32 v[48:49], v[48:49], v[56:57]
	v_pk_mul_f32 v[50:51], v[104:105], v[50:51] op_sel_hi:[1,0]
	s_delay_alu instid0(VALU_DEP_2) | instskip(NEXT) | instid1(VALU_DEP_2)
	v_pk_add_f32 v[48:49], v[48:49], v[54:55]
	v_pk_fma_f32 v[54:55], v[86:87], v[70:71], v[50:51] op_sel_hi:[1,0,1]
	v_mov_b32_e32 v53, v61
	v_pk_fma_f32 v[50:51], v[86:87], v[70:71], v[50:51] neg_lo:[0,0,1] neg_hi:[0,0,1]
	s_delay_alu instid0(VALU_DEP_3) | instskip(NEXT) | instid1(VALU_DEP_3)
	v_mov_b32_e32 v51, v55
	v_pk_add_f32 v[48:49], v[48:49], v[52:53]
	s_delay_alu instid0(VALU_DEP_1) | instskip(SKIP_1) | instid1(VALU_DEP_1)
	v_pk_add_f32 v[48:49], v[48:49], v[50:51]
	s_wait_loadcnt 0x0
	v_pk_add_f32 v[48:49], v[96:97], v[48:49] neg_lo:[0,1] neg_hi:[0,1]
	scratch_store_b64 off, v[48:49], off offset:80
	s_wait_xcnt 0x0
	v_cmpx_lt_u32_e32 9, v0
	s_cbranch_execz .LBB86_133
; %bb.132:
	scratch_load_b64 v[48:49], off, off offset:72
	v_mov_b64_e32 v[50:51], 0
	scratch_store_b64 off, v[50:51], off offset:72
	s_wait_loadcnt 0x0
	ds_store_b64 v1, v[48:49]
.LBB86_133:
	s_wait_xcnt 0x0
	s_or_b32 exec_lo, exec_lo, s0
	s_wait_storecnt_dscnt 0x0
	s_barrier_signal -1
	s_barrier_wait -1
	s_clause 0x7
	scratch_load_b128 v[48:51], off, off offset:80
	scratch_load_b128 v[52:55], off, off offset:96
	;; [unrolled: 1-line block ×6, first 2 shown]
	scratch_load_b64 v[96:97], off, off offset:176
	scratch_load_b64 v[98:99], off, off offset:72
	v_mov_b32_e32 v7, 0
	ds_load_b128 v[72:75], v7 offset:304
	ds_load_b128 v[76:79], v7 offset:320
	;; [unrolled: 1-line block ×6, first 2 shown]
	ds_load_b64 v[100:101], v7 offset:368
	s_mov_b32 s0, exec_lo
	s_wait_dscnt 0x6
	v_dual_mov_b32 v102, v75 :: v_dual_mov_b32 v103, v74
	s_wait_dscnt 0x3
	v_dual_mov_b32 v104, v79 :: v_dual_mov_b32 v109, v86
	v_dual_mov_b32 v105, v78 :: v_dual_mov_b32 v106, v83
	;; [unrolled: 1-line block ×3, first 2 shown]
	s_wait_loadcnt_dscnt 0x702
	v_dual_mul_f32 v9, v88, v49 :: v_dual_mul_f32 v15, v89, v49
	v_dual_mul_f32 v17, v91, v51 :: v_dual_mul_f32 v11, v90, v51
	s_wait_loadcnt_dscnt 0x601
	s_delay_alu instid0(VALU_DEP_2) | instskip(NEXT) | instid1(VALU_DEP_3)
	v_dual_mul_f32 v13, v92, v53 :: v_dual_fmac_f32 v9, v89, v48
	v_dual_fma_f32 v15, v88, v48, -v15 :: v_dual_mul_f32 v19, v93, v53
	v_mul_f32_e32 v21, v95, v55
	s_wait_loadcnt 0x4
	v_dual_mov_b32 v48, v63 :: v_dual_fma_f32 v17, v90, v50, -v17
	v_dual_fmac_f32 v11, v91, v50 :: v_dual_add_f32 v9, 0, v9
	v_dual_add_f32 v15, 0, v15 :: v_dual_fmac_f32 v13, v93, v52
	v_dual_mul_f32 v111, v94, v55 :: v_dual_mul_f32 v113, v72, v57
	v_dual_mul_f32 v23, v73, v57 :: v_dual_mov_b32 v112, v59
	s_delay_alu instid0(VALU_DEP_4) | instskip(NEXT) | instid1(VALU_DEP_4)
	v_dual_fma_f32 v19, v92, v52, -v19 :: v_dual_add_f32 v9, v9, v11
	v_dual_add_f32 v11, v15, v17 :: v_dual_fma_f32 v110, v94, v54, -v21
	s_delay_alu instid0(VALU_DEP_4) | instskip(NEXT) | instid1(VALU_DEP_4)
	v_fmac_f32_e32 v111, v95, v54
	v_pk_mul_f32 v[52:53], v[102:103], v[112:113] op_sel_hi:[1,0]
	s_delay_alu instid0(VALU_DEP_3)
	v_dual_add_f32 v55, v9, v13 :: v_dual_add_f32 v54, v11, v19
	v_fmac_f32_e32 v113, v73, v56
	v_pk_mul_f32 v[114:115], v[76:77], v[60:61] op_sel:[1,1] op_sel_hi:[0,1]
	s_wait_loadcnt 0x3
	v_dual_mov_b32 v88, v67 :: v_dual_fma_f32 v112, v72, v56, -v23
	v_pk_fma_f32 v[56:57], v[74:75], v[58:59], v[52:53] op_sel_hi:[1,0,1]
	v_pk_add_f32 v[54:55], v[54:55], v[110:111]
	v_pk_fma_f32 v[52:53], v[74:75], v[58:59], v[52:53] neg_lo:[0,0,1] neg_hi:[0,0,1]
	v_pk_fma_f32 v[72:73], v[76:77], v[60:61], v[114:115] op_sel_hi:[1,0,1]
	v_pk_mul_f32 v[48:49], v[104:105], v[48:49] op_sel_hi:[1,0]
	v_mov_b32_e32 v53, v57
	v_pk_add_f32 v[54:55], v[54:55], v[112:113]
	v_pk_fma_f32 v[58:59], v[76:77], v[60:61], v[114:115] neg_lo:[0,0,1] neg_hi:[0,0,1]
	v_pk_mul_f32 v[50:51], v[80:81], v[64:65] op_sel:[1,1] op_sel_hi:[0,1]
	v_mov_b32_e32 v59, v73
	v_pk_fma_f32 v[60:61], v[78:79], v[62:63], v[48:49] op_sel_hi:[1,0,1]
	v_pk_add_f32 v[52:53], v[54:55], v[52:53]
	v_pk_fma_f32 v[48:49], v[78:79], v[62:63], v[48:49] neg_lo:[0,0,1] neg_hi:[0,0,1]
	v_pk_fma_f32 v[54:55], v[80:81], v[64:65], v[50:51] op_sel_hi:[1,0,1]
	v_pk_mul_f32 v[72:73], v[106:107], v[88:89] op_sel_hi:[1,0]
	s_wait_loadcnt 0x2
	v_dual_mov_b32 v49, v61 :: v_dual_mov_b32 v54, v71
	v_pk_add_f32 v[52:53], v[52:53], v[58:59]
	v_pk_fma_f32 v[50:51], v[80:81], v[64:65], v[50:51] neg_lo:[0,0,1] neg_hi:[0,0,1]
	v_pk_mul_f32 v[56:57], v[84:85], v[68:69] op_sel:[1,1] op_sel_hi:[0,1]
	v_pk_fma_f32 v[58:59], v[82:83], v[66:67], v[72:73] op_sel_hi:[1,0,1]
	v_mov_b32_e32 v51, v55
	v_pk_add_f32 v[48:49], v[52:53], v[48:49]
	v_pk_fma_f32 v[60:61], v[82:83], v[66:67], v[72:73] neg_lo:[0,0,1] neg_hi:[0,0,1]
	v_pk_fma_f32 v[52:53], v[84:85], v[68:69], v[56:57] op_sel_hi:[1,0,1]
	v_pk_mul_f32 v[54:55], v[108:109], v[54:55] op_sel_hi:[1,0]
	v_mov_b32_e32 v61, v59
	v_pk_add_f32 v[48:49], v[48:49], v[50:51]
	v_pk_fma_f32 v[50:51], v[84:85], v[68:69], v[56:57] neg_lo:[0,0,1] neg_hi:[0,0,1]
	v_mov_b32_e32 v51, v53
	v_pk_fma_f32 v[52:53], v[86:87], v[70:71], v[54:55] op_sel_hi:[1,0,1]
	s_wait_loadcnt_dscnt 0x100
	v_pk_mul_f32 v[56:57], v[100:101], v[96:97] op_sel:[1,1] op_sel_hi:[0,1]
	v_pk_add_f32 v[48:49], v[48:49], v[60:61]
	v_pk_fma_f32 v[54:55], v[86:87], v[70:71], v[54:55] neg_lo:[0,0,1] neg_hi:[0,0,1]
	v_mov_b32_e32 v55, v53
	s_delay_alu instid0(VALU_DEP_4) | instskip(NEXT) | instid1(VALU_DEP_4)
	v_pk_fma_f32 v[52:53], v[100:101], v[96:97], v[56:57] neg_lo:[0,0,1] neg_hi:[0,0,1]
	v_pk_add_f32 v[48:49], v[48:49], v[50:51]
	v_pk_fma_f32 v[50:51], v[100:101], v[96:97], v[56:57] op_sel_hi:[1,0,1]
	s_delay_alu instid0(VALU_DEP_2) | instskip(NEXT) | instid1(VALU_DEP_2)
	v_pk_add_f32 v[48:49], v[48:49], v[54:55]
	v_mov_b32_e32 v53, v51
	s_delay_alu instid0(VALU_DEP_1) | instskip(SKIP_1) | instid1(VALU_DEP_1)
	v_pk_add_f32 v[48:49], v[48:49], v[52:53]
	s_wait_loadcnt 0x0
	v_pk_add_f32 v[48:49], v[98:99], v[48:49] neg_lo:[0,1] neg_hi:[0,1]
	scratch_store_b64 off, v[48:49], off offset:72
	s_wait_xcnt 0x0
	v_cmpx_lt_u32_e32 8, v0
	s_cbranch_execz .LBB86_135
; %bb.134:
	scratch_load_b64 v[48:49], off, off offset:64
	v_mov_b64_e32 v[50:51], 0
	scratch_store_b64 off, v[50:51], off offset:64
	s_wait_loadcnt 0x0
	ds_store_b64 v1, v[48:49]
.LBB86_135:
	s_wait_xcnt 0x0
	s_or_b32 exec_lo, exec_lo, s0
	s_wait_storecnt_dscnt 0x0
	s_barrier_signal -1
	s_barrier_wait -1
	s_clause 0x7
	scratch_load_b128 v[48:51], off, off offset:72
	scratch_load_b128 v[52:55], off, off offset:88
	;; [unrolled: 1-line block ×7, first 2 shown]
	scratch_load_b64 v[104:105], off, off offset:64
	ds_load_2addr_b64 v[76:79], v7 offset0:39 offset1:40
	ds_load_2addr_b64 v[80:83], v7 offset0:41 offset1:42
	;; [unrolled: 1-line block ×7, first 2 shown]
	s_mov_b32 s0, exec_lo
	s_wait_dscnt 0x6
	v_dual_mov_b32 v106, v79 :: v_dual_mov_b32 v107, v78
	s_wait_dscnt 0x5
	v_dual_mov_b32 v108, v83 :: v_dual_mov_b32 v109, v82
	;; [unrolled: 2-line block ×4, first 2 shown]
	s_wait_loadcnt_dscnt 0x702
	v_dual_mul_f32 v7, v92, v49 :: v_dual_mul_f32 v9, v94, v51
	v_dual_mul_f32 v15, v93, v49 :: v_dual_mul_f32 v17, v95, v51
	s_wait_loadcnt_dscnt 0x601
	v_dual_mul_f32 v11, v96, v53 :: v_dual_mul_f32 v13, v98, v55
	s_delay_alu instid0(VALU_DEP_3) | instskip(NEXT) | instid1(VALU_DEP_3)
	v_dual_fmac_f32 v7, v93, v48 :: v_dual_fmac_f32 v9, v95, v50
	v_dual_fma_f32 v15, v92, v48, -v15 :: v_dual_fma_f32 v17, v94, v50, -v17
	v_dual_mul_f32 v19, v97, v53 :: v_dual_mul_f32 v21, v99, v55
	s_wait_loadcnt 0x4
	s_delay_alu instid0(VALU_DEP_3) | instskip(NEXT) | instid1(VALU_DEP_3)
	v_dual_add_f32 v7, 0, v7 :: v_dual_mov_b32 v50, v63
	v_dual_add_f32 v15, 0, v15 :: v_dual_fmac_f32 v11, v97, v52
	s_delay_alu instid0(VALU_DEP_2) | instskip(SKIP_2) | instid1(VALU_DEP_3)
	v_dual_fma_f32 v19, v96, v52, -v19 :: v_dual_add_f32 v7, v7, v9
	s_wait_dscnt 0x0
	v_dual_mul_f32 v115, v100, v57 :: v_dual_mul_f32 v117, v102, v59
	v_dual_add_f32 v9, v15, v17 :: v_dual_fma_f32 v15, v98, v54, -v21
	v_dual_mul_f32 v23, v101, v57 :: v_dual_mul_f32 v25, v103, v59
	s_delay_alu instid0(VALU_DEP_2) | instskip(NEXT) | instid1(VALU_DEP_4)
	v_dual_fmac_f32 v13, v99, v54 :: v_dual_add_f32 v9, v9, v19
	v_dual_add_f32 v7, v7, v11 :: v_dual_fmac_f32 v115, v101, v56
	v_pk_mul_f32 v[48:49], v[76:77], v[60:61] op_sel:[1,1] op_sel_hi:[0,1]
	s_wait_loadcnt 0x3
	v_pk_mul_f32 v[52:53], v[80:81], v[64:65] op_sel:[1,1] op_sel_hi:[0,1]
	v_dual_mov_b32 v54, v67 :: v_dual_fma_f32 v114, v100, v56, -v23
	v_dual_add_f32 v57, v7, v13 :: v_dual_add_f32 v56, v9, v15
	v_fmac_f32_e32 v117, v103, v58
	v_fma_f32 v116, v102, v58, -v25
	v_pk_fma_f32 v[58:59], v[76:77], v[60:61], v[48:49] op_sel_hi:[1,0,1]
	v_pk_mul_f32 v[50:51], v[106:107], v[50:51] op_sel_hi:[1,0]
	v_pk_add_f32 v[56:57], v[56:57], v[114:115]
	v_pk_fma_f32 v[48:49], v[76:77], v[60:61], v[48:49] neg_lo:[0,0,1] neg_hi:[0,0,1]
	v_pk_fma_f32 v[60:61], v[80:81], v[64:65], v[52:53] op_sel_hi:[1,0,1]
	v_pk_fma_f32 v[52:53], v[80:81], v[64:65], v[52:53] neg_lo:[0,0,1] neg_hi:[0,0,1]
	v_mov_b32_e32 v49, v59
	v_pk_fma_f32 v[58:59], v[78:79], v[62:63], v[50:51] op_sel_hi:[1,0,1]
	v_pk_fma_f32 v[50:51], v[78:79], v[62:63], v[50:51] neg_lo:[0,0,1] neg_hi:[0,0,1]
	v_mov_b32_e32 v53, v61
	v_pk_add_f32 v[56:57], v[56:57], v[116:117]
	v_pk_mul_f32 v[54:55], v[108:109], v[54:55] op_sel_hi:[1,0]
	v_mov_b32_e32 v51, v59
	s_wait_loadcnt 0x2
	v_pk_mul_f32 v[92:93], v[84:85], v[68:69] op_sel:[1,1] op_sel_hi:[0,1]
	v_pk_add_f32 v[48:49], v[56:57], v[48:49]
	v_mov_b32_e32 v56, v71
	v_pk_fma_f32 v[58:59], v[82:83], v[66:67], v[54:55] op_sel_hi:[1,0,1]
	v_pk_fma_f32 v[54:55], v[82:83], v[66:67], v[54:55] neg_lo:[0,0,1] neg_hi:[0,0,1]
	s_delay_alu instid0(VALU_DEP_4)
	v_pk_add_f32 v[48:49], v[48:49], v[50:51]
	v_pk_fma_f32 v[50:51], v[84:85], v[68:69], v[92:93] op_sel_hi:[1,0,1]
	v_pk_mul_f32 v[56:57], v[110:111], v[56:57] op_sel_hi:[1,0]
	v_mov_b32_e32 v55, v59
	v_pk_fma_f32 v[58:59], v[84:85], v[68:69], v[92:93] neg_lo:[0,0,1] neg_hi:[0,0,1]
	v_pk_add_f32 v[48:49], v[48:49], v[52:53]
	v_mov_b32_e32 v59, v51
	v_pk_fma_f32 v[50:51], v[86:87], v[70:71], v[56:57] op_sel_hi:[1,0,1]
	s_wait_loadcnt 0x1
	v_pk_mul_f32 v[52:53], v[88:89], v[72:73] op_sel:[1,1] op_sel_hi:[0,1]
	v_mov_b32_e32 v50, v75
	v_pk_add_f32 v[48:49], v[48:49], v[54:55]
	v_pk_fma_f32 v[56:57], v[86:87], v[70:71], v[56:57] neg_lo:[0,0,1] neg_hi:[0,0,1]
	v_mov_b32_e32 v57, v51
	v_pk_fma_f32 v[54:55], v[88:89], v[72:73], v[52:53] op_sel_hi:[1,0,1]
	v_pk_mul_f32 v[50:51], v[112:113], v[50:51] op_sel_hi:[1,0]
	v_pk_add_f32 v[48:49], v[48:49], v[58:59]
	v_pk_fma_f32 v[52:53], v[88:89], v[72:73], v[52:53] neg_lo:[0,0,1] neg_hi:[0,0,1]
	s_delay_alu instid0(VALU_DEP_4) | instskip(NEXT) | instid1(VALU_DEP_4)
	v_mov_b32_e32 v53, v55
	v_pk_fma_f32 v[54:55], v[90:91], v[74:75], v[50:51] op_sel_hi:[1,0,1]
	s_delay_alu instid0(VALU_DEP_4) | instskip(SKIP_1) | instid1(VALU_DEP_3)
	v_pk_add_f32 v[48:49], v[48:49], v[56:57]
	v_pk_fma_f32 v[50:51], v[90:91], v[74:75], v[50:51] neg_lo:[0,0,1] neg_hi:[0,0,1]
	v_mov_b32_e32 v51, v55
	s_delay_alu instid0(VALU_DEP_3) | instskip(NEXT) | instid1(VALU_DEP_1)
	v_pk_add_f32 v[48:49], v[48:49], v[52:53]
	v_pk_add_f32 v[48:49], v[48:49], v[50:51]
	s_wait_loadcnt 0x0
	s_delay_alu instid0(VALU_DEP_1)
	v_pk_add_f32 v[48:49], v[104:105], v[48:49] neg_lo:[0,1] neg_hi:[0,1]
	scratch_store_b64 off, v[48:49], off offset:64
	s_wait_xcnt 0x0
	v_cmpx_lt_u32_e32 7, v0
	s_cbranch_execz .LBB86_137
; %bb.136:
	scratch_load_b64 v[48:49], off, off offset:56
	v_mov_b64_e32 v[50:51], 0
	scratch_store_b64 off, v[50:51], off offset:56
	s_wait_loadcnt 0x0
	ds_store_b64 v1, v[48:49]
.LBB86_137:
	s_wait_xcnt 0x0
	s_or_b32 exec_lo, exec_lo, s0
	s_wait_storecnt_dscnt 0x0
	s_barrier_signal -1
	s_barrier_wait -1
	s_clause 0x8
	scratch_load_b128 v[48:51], off, off offset:64
	scratch_load_b128 v[52:55], off, off offset:80
	;; [unrolled: 1-line block ×7, first 2 shown]
	scratch_load_b64 v[104:105], off, off offset:176
	scratch_load_b64 v[106:107], off, off offset:56
	v_mov_b32_e32 v7, 0
	ds_load_b128 v[76:79], v7 offset:304
	ds_load_b128 v[80:83], v7 offset:320
	;; [unrolled: 1-line block ×7, first 2 shown]
	ds_load_b64 v[108:109], v7 offset:368
	s_mov_b32 s0, exec_lo
	s_wait_dscnt 0x7
	v_dual_mov_b32 v110, v79 :: v_dual_mov_b32 v111, v78
	s_wait_dscnt 0x4
	v_dual_mov_b32 v112, v83 :: v_dual_mov_b32 v117, v90
	v_dual_mov_b32 v113, v82 :: v_dual_mov_b32 v114, v87
	;; [unrolled: 1-line block ×3, first 2 shown]
	s_wait_loadcnt_dscnt 0x803
	v_dual_mul_f32 v9, v92, v49 :: v_dual_mul_f32 v19, v93, v49
	v_dual_mul_f32 v21, v95, v51 :: v_dual_mul_f32 v11, v94, v51
	s_wait_loadcnt_dscnt 0x702
	v_mul_f32_e32 v13, v96, v53
	s_wait_loadcnt 0x5
	v_dual_mul_f32 v31, v77, v61 :: v_dual_fma_f32 v19, v92, v48, -v19
	v_dual_fmac_f32 v9, v93, v48 :: v_dual_mov_b32 v48, v63
	v_dual_mul_f32 v23, v97, v53 :: v_dual_mul_f32 v25, v99, v55
	v_dual_fmac_f32 v11, v95, v50 :: v_dual_fma_f32 v21, v94, v50, -v21
	s_delay_alu instid0(VALU_DEP_3) | instskip(SKIP_3) | instid1(VALU_DEP_3)
	v_dual_add_f32 v9, 0, v9 :: v_dual_add_f32 v19, 0, v19
	s_wait_dscnt 0x1
	v_dual_mul_f32 v15, v98, v55 :: v_dual_mul_f32 v17, v100, v57
	v_dual_fmac_f32 v13, v97, v52 :: v_dual_fma_f32 v23, v96, v52, -v23
	v_dual_add_f32 v9, v9, v11 :: v_dual_add_f32 v11, v19, v21
	v_dual_mul_f32 v27, v101, v57 :: v_dual_mul_f32 v29, v103, v59
	s_wait_loadcnt 0x4
	v_dual_mov_b32 v52, v67 :: v_dual_fma_f32 v19, v98, v54, -v25
	s_delay_alu instid0(VALU_DEP_3) | instskip(SKIP_2) | instid1(VALU_DEP_3)
	v_dual_fmac_f32 v15, v99, v54 :: v_dual_add_f32 v9, v9, v13
	v_dual_add_f32 v11, v11, v23 :: v_dual_fmac_f32 v17, v101, v56
	v_dual_mul_f32 v119, v102, v59 :: v_dual_mul_f32 v121, v76, v61
	v_dual_fma_f32 v13, v100, v56, -v27 :: v_dual_add_f32 v9, v9, v15
	s_delay_alu instid0(VALU_DEP_3) | instskip(NEXT) | instid1(VALU_DEP_3)
	v_dual_add_f32 v11, v11, v19 :: v_dual_fma_f32 v118, v102, v58, -v29
	v_fmac_f32_e32 v119, v103, v58
	v_pk_mul_f32 v[48:49], v[110:111], v[48:49] op_sel_hi:[1,0]
	s_delay_alu instid0(VALU_DEP_4) | instskip(NEXT) | instid1(VALU_DEP_4)
	v_add_f32_e32 v57, v9, v17
	v_dual_add_f32 v56, v11, v13 :: v_dual_fmac_f32 v121, v77, v60
	v_pk_mul_f32 v[50:51], v[80:81], v[64:65] op_sel:[1,1] op_sel_hi:[0,1]
	s_wait_loadcnt 0x3
	v_dual_mov_b32 v58, v71 :: v_dual_fma_f32 v120, v76, v60, -v31
	v_pk_fma_f32 v[60:61], v[78:79], v[62:63], v[48:49] op_sel_hi:[1,0,1]
	v_pk_add_f32 v[56:57], v[56:57], v[118:119]
	v_pk_fma_f32 v[48:49], v[78:79], v[62:63], v[48:49] neg_lo:[0,0,1] neg_hi:[0,0,1]
	v_pk_fma_f32 v[76:77], v[80:81], v[64:65], v[50:51] op_sel_hi:[1,0,1]
	v_pk_mul_f32 v[52:53], v[112:113], v[52:53] op_sel_hi:[1,0]
	v_mov_b32_e32 v49, v61
	v_pk_add_f32 v[56:57], v[56:57], v[120:121]
	v_pk_fma_f32 v[50:51], v[80:81], v[64:65], v[50:51] neg_lo:[0,0,1] neg_hi:[0,0,1]
	v_pk_mul_f32 v[54:55], v[84:85], v[68:69] op_sel:[1,1] op_sel_hi:[0,1]
	v_mov_b32_e32 v51, v77
	v_pk_fma_f32 v[62:63], v[82:83], v[66:67], v[52:53] op_sel_hi:[1,0,1]
	v_pk_add_f32 v[48:49], v[56:57], v[48:49]
	v_pk_fma_f32 v[52:53], v[82:83], v[66:67], v[52:53] neg_lo:[0,0,1] neg_hi:[0,0,1]
	v_pk_fma_f32 v[56:57], v[84:85], v[68:69], v[54:55] op_sel_hi:[1,0,1]
	v_pk_mul_f32 v[58:59], v[114:115], v[58:59] op_sel_hi:[1,0]
	v_mov_b32_e32 v53, v63
	v_pk_add_f32 v[48:49], v[48:49], v[50:51]
	v_pk_fma_f32 v[54:55], v[84:85], v[68:69], v[54:55] neg_lo:[0,0,1] neg_hi:[0,0,1]
	s_wait_loadcnt 0x2
	v_pk_mul_f32 v[60:61], v[88:89], v[72:73] op_sel:[1,1] op_sel_hi:[0,1]
	v_dual_mov_b32 v50, v75 :: v_dual_mov_b32 v55, v57
	v_pk_fma_f32 v[56:57], v[86:87], v[70:71], v[58:59] op_sel_hi:[1,0,1]
	v_pk_add_f32 v[48:49], v[48:49], v[52:53]
	v_pk_fma_f32 v[58:59], v[86:87], v[70:71], v[58:59] neg_lo:[0,0,1] neg_hi:[0,0,1]
	v_pk_fma_f32 v[52:53], v[88:89], v[72:73], v[60:61] op_sel_hi:[1,0,1]
	v_pk_mul_f32 v[50:51], v[116:117], v[50:51] op_sel_hi:[1,0]
	v_mov_b32_e32 v59, v57
	v_pk_add_f32 v[48:49], v[48:49], v[54:55]
	v_pk_fma_f32 v[54:55], v[88:89], v[72:73], v[60:61] neg_lo:[0,0,1] neg_hi:[0,0,1]
	v_mov_b32_e32 v55, v53
	v_pk_fma_f32 v[52:53], v[90:91], v[74:75], v[50:51] op_sel_hi:[1,0,1]
	s_wait_loadcnt_dscnt 0x100
	v_pk_mul_f32 v[56:57], v[108:109], v[104:105] op_sel:[1,1] op_sel_hi:[0,1]
	v_pk_add_f32 v[48:49], v[48:49], v[58:59]
	v_pk_fma_f32 v[50:51], v[90:91], v[74:75], v[50:51] neg_lo:[0,0,1] neg_hi:[0,0,1]
	v_mov_b32_e32 v51, v53
	s_delay_alu instid0(VALU_DEP_4) | instskip(NEXT) | instid1(VALU_DEP_4)
	v_pk_fma_f32 v[52:53], v[108:109], v[104:105], v[56:57] op_sel_hi:[1,0,1]
	v_pk_add_f32 v[48:49], v[48:49], v[54:55]
	v_pk_fma_f32 v[54:55], v[108:109], v[104:105], v[56:57] neg_lo:[0,0,1] neg_hi:[0,0,1]
	s_delay_alu instid0(VALU_DEP_3) | instskip(NEXT) | instid1(VALU_DEP_3)
	v_mov_b32_e32 v55, v53
	v_pk_add_f32 v[48:49], v[48:49], v[50:51]
	s_delay_alu instid0(VALU_DEP_1) | instskip(SKIP_1) | instid1(VALU_DEP_1)
	v_pk_add_f32 v[48:49], v[48:49], v[54:55]
	s_wait_loadcnt 0x0
	v_pk_add_f32 v[48:49], v[106:107], v[48:49] neg_lo:[0,1] neg_hi:[0,1]
	scratch_store_b64 off, v[48:49], off offset:56
	s_wait_xcnt 0x0
	v_cmpx_lt_u32_e32 6, v0
	s_cbranch_execz .LBB86_139
; %bb.138:
	scratch_load_b64 v[48:49], off, off offset:48
	v_mov_b64_e32 v[50:51], 0
	scratch_store_b64 off, v[50:51], off offset:48
	s_wait_loadcnt 0x0
	ds_store_b64 v1, v[48:49]
.LBB86_139:
	s_wait_xcnt 0x0
	s_or_b32 exec_lo, exec_lo, s0
	s_wait_storecnt_dscnt 0x0
	s_barrier_signal -1
	s_barrier_wait -1
	s_clause 0x8
	scratch_load_b128 v[48:51], off, off offset:56
	scratch_load_b128 v[52:55], off, off offset:72
	;; [unrolled: 1-line block ×8, first 2 shown]
	scratch_load_b64 v[112:113], off, off offset:48
	ds_load_2addr_b64 v[80:83], v7 offset0:39 offset1:40
	ds_load_2addr_b64 v[84:87], v7 offset0:41 offset1:42
	;; [unrolled: 1-line block ×8, first 2 shown]
	s_mov_b32 s0, exec_lo
	s_wait_dscnt 0x7
	v_dual_mov_b32 v114, v83 :: v_dual_mov_b32 v115, v82
	s_wait_dscnt 0x6
	v_dual_mov_b32 v116, v87 :: v_dual_mov_b32 v117, v86
	;; [unrolled: 2-line block ×4, first 2 shown]
	s_wait_loadcnt_dscnt 0x803
	v_dual_mul_f32 v7, v96, v49 :: v_dual_mul_f32 v9, v98, v51
	v_dual_mul_f32 v19, v97, v49 :: v_dual_mul_f32 v21, v99, v51
	s_wait_loadcnt_dscnt 0x702
	v_dual_mul_f32 v11, v100, v53 :: v_dual_mul_f32 v13, v102, v55
	s_delay_alu instid0(VALU_DEP_3) | instskip(SKIP_3) | instid1(VALU_DEP_3)
	v_dual_fmac_f32 v7, v97, v48 :: v_dual_fmac_f32 v9, v99, v50
	s_wait_loadcnt_dscnt 0x500
	v_dual_fma_f32 v19, v96, v48, -v19 :: v_dual_mul_f32 v31, v109, v61
	v_dual_mul_f32 v23, v101, v53 :: v_dual_mul_f32 v25, v103, v55
	v_dual_fma_f32 v21, v98, v50, -v21 :: v_dual_add_f32 v7, 0, v7
	s_delay_alu instid0(VALU_DEP_3) | instskip(SKIP_1) | instid1(VALU_DEP_4)
	v_dual_add_f32 v19, 0, v19 :: v_dual_fmac_f32 v11, v101, v52
	v_dual_mul_f32 v15, v104, v57 :: v_dual_mul_f32 v17, v106, v59
	v_dual_mul_f32 v33, v111, v63 :: v_dual_fma_f32 v23, v100, v52, -v23
	s_delay_alu instid0(VALU_DEP_4) | instskip(NEXT) | instid1(VALU_DEP_3)
	v_add_f32_e32 v7, v7, v9
	v_dual_add_f32 v9, v19, v21 :: v_dual_fmac_f32 v15, v105, v56
	v_dual_mul_f32 v27, v105, v57 :: v_dual_mul_f32 v29, v107, v59
	s_delay_alu instid0(VALU_DEP_2) | instskip(NEXT) | instid1(VALU_DEP_4)
	v_dual_fmac_f32 v13, v103, v54 :: v_dual_add_f32 v9, v9, v23
	v_dual_fma_f32 v19, v102, v54, -v25 :: v_dual_add_f32 v7, v7, v11
	s_wait_loadcnt 0x4
	s_delay_alu instid0(VALU_DEP_3) | instskip(SKIP_1) | instid1(VALU_DEP_3)
	v_dual_fma_f32 v11, v104, v56, -v27 :: v_dual_mov_b32 v50, v67
	v_dual_mul_f32 v123, v108, v61 :: v_dual_mul_f32 v125, v110, v63
	v_dual_add_f32 v7, v7, v13 :: v_dual_fma_f32 v13, v106, v58, -v29
	v_dual_add_f32 v9, v9, v19 :: v_dual_fmac_f32 v17, v107, v58
	v_pk_mul_f32 v[48:49], v[80:81], v[64:65] op_sel:[1,1] op_sel_hi:[0,1]
	s_delay_alu instid0(VALU_DEP_3) | instskip(SKIP_1) | instid1(VALU_DEP_3)
	v_dual_add_f32 v7, v7, v15 :: v_dual_fmac_f32 v123, v109, v60
	s_wait_loadcnt 0x3
	v_dual_add_f32 v9, v9, v11 :: v_dual_mov_b32 v54, v71
	s_delay_alu instid0(VALU_DEP_2) | instskip(NEXT) | instid1(VALU_DEP_2)
	v_dual_fma_f32 v122, v108, v60, -v31 :: v_dual_add_f32 v57, v7, v17
	v_dual_fma_f32 v124, v110, v62, -v33 :: v_dual_add_f32 v56, v9, v13
	v_fmac_f32_e32 v125, v111, v62
	v_pk_fma_f32 v[58:59], v[80:81], v[64:65], v[48:49] op_sel_hi:[1,0,1]
	v_pk_mul_f32 v[50:51], v[114:115], v[50:51] op_sel_hi:[1,0]
	v_pk_fma_f32 v[48:49], v[80:81], v[64:65], v[48:49] neg_lo:[0,0,1] neg_hi:[0,0,1]
	v_pk_add_f32 v[56:57], v[56:57], v[122:123]
	v_pk_mul_f32 v[52:53], v[84:85], v[68:69] op_sel:[1,1] op_sel_hi:[0,1]
	v_mov_b32_e32 v49, v59
	v_pk_fma_f32 v[58:59], v[82:83], v[66:67], v[50:51] op_sel_hi:[1,0,1]
	v_pk_fma_f32 v[50:51], v[82:83], v[66:67], v[50:51] neg_lo:[0,0,1] neg_hi:[0,0,1]
	v_pk_add_f32 v[56:57], v[56:57], v[124:125]
	v_pk_fma_f32 v[62:63], v[84:85], v[68:69], v[52:53] op_sel_hi:[1,0,1]
	v_pk_mul_f32 v[54:55], v[116:117], v[54:55] op_sel_hi:[1,0]
	v_mov_b32_e32 v51, v59
	s_wait_loadcnt 0x2
	v_pk_mul_f32 v[60:61], v[88:89], v[72:73] op_sel:[1,1] op_sel_hi:[0,1]
	v_pk_add_f32 v[48:49], v[56:57], v[48:49]
	v_mov_b32_e32 v56, v75
	v_pk_fma_f32 v[52:53], v[84:85], v[68:69], v[52:53] neg_lo:[0,0,1] neg_hi:[0,0,1]
	v_mov_b32_e32 v53, v63
	v_pk_fma_f32 v[58:59], v[86:87], v[70:71], v[54:55] op_sel_hi:[1,0,1]
	v_pk_add_f32 v[48:49], v[48:49], v[50:51]
	v_pk_fma_f32 v[50:51], v[88:89], v[72:73], v[60:61] op_sel_hi:[1,0,1]
	v_pk_mul_f32 v[56:57], v[118:119], v[56:57] op_sel_hi:[1,0]
	v_pk_fma_f32 v[54:55], v[86:87], v[70:71], v[54:55] neg_lo:[0,0,1] neg_hi:[0,0,1]
	v_mov_b32_e32 v55, v59
	v_pk_add_f32 v[48:49], v[48:49], v[52:53]
	v_pk_fma_f32 v[58:59], v[88:89], v[72:73], v[60:61] neg_lo:[0,0,1] neg_hi:[0,0,1]
	v_mov_b32_e32 v59, v51
	v_pk_fma_f32 v[50:51], v[90:91], v[74:75], v[56:57] op_sel_hi:[1,0,1]
	s_wait_loadcnt 0x1
	v_pk_mul_f32 v[52:53], v[92:93], v[76:77] op_sel:[1,1] op_sel_hi:[0,1]
	v_pk_add_f32 v[48:49], v[48:49], v[54:55]
	v_mov_b32_e32 v50, v79
	v_pk_fma_f32 v[56:57], v[90:91], v[74:75], v[56:57] neg_lo:[0,0,1] neg_hi:[0,0,1]
	v_mov_b32_e32 v57, v51
	v_pk_fma_f32 v[54:55], v[92:93], v[76:77], v[52:53] op_sel_hi:[1,0,1]
	v_pk_add_f32 v[48:49], v[48:49], v[58:59]
	v_pk_mul_f32 v[50:51], v[120:121], v[50:51] op_sel_hi:[1,0]
	v_pk_fma_f32 v[52:53], v[92:93], v[76:77], v[52:53] neg_lo:[0,0,1] neg_hi:[0,0,1]
	s_delay_alu instid0(VALU_DEP_4) | instskip(NEXT) | instid1(VALU_DEP_4)
	v_mov_b32_e32 v53, v55
	v_pk_add_f32 v[48:49], v[48:49], v[56:57]
	s_delay_alu instid0(VALU_DEP_4) | instskip(SKIP_1) | instid1(VALU_DEP_2)
	v_pk_fma_f32 v[54:55], v[94:95], v[78:79], v[50:51] op_sel_hi:[1,0,1]
	v_pk_fma_f32 v[50:51], v[94:95], v[78:79], v[50:51] neg_lo:[0,0,1] neg_hi:[0,0,1]
	v_mov_b32_e32 v51, v55
	s_delay_alu instid0(VALU_DEP_4) | instskip(NEXT) | instid1(VALU_DEP_1)
	v_pk_add_f32 v[48:49], v[48:49], v[52:53]
	v_pk_add_f32 v[48:49], v[48:49], v[50:51]
	s_wait_loadcnt 0x0
	s_delay_alu instid0(VALU_DEP_1)
	v_pk_add_f32 v[48:49], v[112:113], v[48:49] neg_lo:[0,1] neg_hi:[0,1]
	scratch_store_b64 off, v[48:49], off offset:48
	s_wait_xcnt 0x0
	v_cmpx_lt_u32_e32 5, v0
	s_cbranch_execz .LBB86_141
; %bb.140:
	scratch_load_b64 v[48:49], off, off offset:40
	v_mov_b64_e32 v[50:51], 0
	scratch_store_b64 off, v[50:51], off offset:40
	s_wait_loadcnt 0x0
	ds_store_b64 v1, v[48:49]
.LBB86_141:
	s_wait_xcnt 0x0
	s_or_b32 exec_lo, exec_lo, s0
	s_wait_storecnt_dscnt 0x0
	s_barrier_signal -1
	s_barrier_wait -1
	s_clause 0x9
	scratch_load_b128 v[48:51], off, off offset:48
	scratch_load_b128 v[52:55], off, off offset:64
	;; [unrolled: 1-line block ×8, first 2 shown]
	scratch_load_b64 v[112:113], off, off offset:176
	scratch_load_b64 v[114:115], off, off offset:40
	v_mov_b32_e32 v7, 0
	ds_load_b128 v[80:83], v7 offset:304
	ds_load_b128 v[84:87], v7 offset:320
	;; [unrolled: 1-line block ×8, first 2 shown]
	ds_load_b64 v[116:117], v7 offset:368
	s_mov_b32 s0, exec_lo
	s_wait_dscnt 0x8
	v_dual_mov_b32 v118, v83 :: v_dual_mov_b32 v119, v82
	s_wait_dscnt 0x5
	v_dual_mov_b32 v120, v87 :: v_dual_mov_b32 v125, v94
	v_dual_mov_b32 v121, v86 :: v_dual_mov_b32 v122, v91
	;; [unrolled: 1-line block ×3, first 2 shown]
	s_wait_loadcnt_dscnt 0x904
	v_dual_mul_f32 v9, v96, v49 :: v_dual_mul_f32 v23, v97, v49
	v_dual_mul_f32 v25, v99, v51 :: v_dual_mul_f32 v11, v98, v51
	s_wait_loadcnt_dscnt 0x803
	v_mul_f32_e32 v13, v100, v53
	s_wait_loadcnt_dscnt 0x601
	v_dual_mul_f32 v35, v109, v61 :: v_dual_fma_f32 v23, v96, v48, -v23
	v_dual_fmac_f32 v9, v97, v48 :: v_dual_mul_f32 v37, v111, v63
	v_dual_mul_f32 v27, v101, v53 :: v_dual_mul_f32 v29, v103, v55
	v_dual_fmac_f32 v11, v99, v50 :: v_dual_fma_f32 v25, v98, v50, -v25
	s_delay_alu instid0(VALU_DEP_3)
	v_dual_add_f32 v9, 0, v9 :: v_dual_add_f32 v23, 0, v23
	v_dual_mul_f32 v15, v102, v55 :: v_dual_mul_f32 v17, v104, v57
	s_wait_loadcnt 0x5
	v_dual_mul_f32 v39, v81, v65 :: v_dual_fma_f32 v27, v100, v52, -v27
	v_fmac_f32_e32 v13, v101, v52
	v_dual_add_f32 v9, v9, v11 :: v_dual_mov_b32 v48, v67
	v_add_f32_e32 v11, v23, v25
	v_dual_mul_f32 v31, v105, v57 :: v_dual_mul_f32 v33, v107, v59
	v_dual_fmac_f32 v15, v103, v54 :: v_dual_fma_f32 v23, v102, v54, -v29
	s_delay_alu instid0(VALU_DEP_3) | instskip(SKIP_1) | instid1(VALU_DEP_4)
	v_dual_add_f32 v9, v9, v13 :: v_dual_add_f32 v11, v11, v27
	v_dual_mul_f32 v19, v106, v59 :: v_dual_mul_f32 v21, v108, v61
	v_dual_fmac_f32 v17, v105, v56 :: v_dual_fma_f32 v13, v104, v56, -v31
	s_wait_loadcnt 0x4
	s_delay_alu instid0(VALU_DEP_3) | instskip(SKIP_1) | instid1(VALU_DEP_2)
	v_dual_add_f32 v9, v9, v15 :: v_dual_mov_b32 v52, v71
	v_dual_add_f32 v11, v11, v23 :: v_dual_fma_f32 v15, v106, v58, -v33
	v_dual_fmac_f32 v19, v107, v58 :: v_dual_add_f32 v9, v9, v17
	v_dual_mul_f32 v127, v110, v63 :: v_dual_mul_f32 v129, v80, v65
	s_delay_alu instid0(VALU_DEP_3) | instskip(NEXT) | instid1(VALU_DEP_3)
	v_dual_add_f32 v11, v11, v13 :: v_dual_fmac_f32 v21, v109, v60
	v_dual_fma_f32 v13, v108, v60, -v35 :: v_dual_add_f32 v9, v9, v19
	s_delay_alu instid0(VALU_DEP_3) | instskip(NEXT) | instid1(VALU_DEP_3)
	v_fmac_f32_e32 v127, v111, v62
	v_dual_add_f32 v11, v11, v15 :: v_dual_fma_f32 v126, v110, v62, -v37
	v_pk_mul_f32 v[48:49], v[118:119], v[48:49] op_sel_hi:[1,0]
	s_delay_alu instid0(VALU_DEP_4) | instskip(SKIP_1) | instid1(VALU_DEP_4)
	v_add_f32_e32 v57, v9, v21
	v_pk_mul_f32 v[50:51], v[84:85], v[68:69] op_sel:[1,1] op_sel_hi:[0,1]
	v_dual_add_f32 v56, v11, v13 :: v_dual_fmac_f32 v129, v81, v64
	s_wait_loadcnt 0x3
	v_dual_mov_b32 v58, v75 :: v_dual_fma_f32 v128, v80, v64, -v39
	v_pk_fma_f32 v[60:61], v[82:83], v[66:67], v[48:49] op_sel_hi:[1,0,1]
	s_delay_alu instid0(VALU_DEP_3)
	v_pk_add_f32 v[56:57], v[56:57], v[126:127]
	v_pk_fma_f32 v[48:49], v[82:83], v[66:67], v[48:49] neg_lo:[0,0,1] neg_hi:[0,0,1]
	v_pk_fma_f32 v[62:63], v[84:85], v[68:69], v[50:51] op_sel_hi:[1,0,1]
	v_pk_mul_f32 v[52:53], v[120:121], v[52:53] op_sel_hi:[1,0]
	v_mov_b32_e32 v49, v61
	v_pk_add_f32 v[56:57], v[56:57], v[128:129]
	v_pk_fma_f32 v[50:51], v[84:85], v[68:69], v[50:51] neg_lo:[0,0,1] neg_hi:[0,0,1]
	v_pk_mul_f32 v[54:55], v[88:89], v[72:73] op_sel:[1,1] op_sel_hi:[0,1]
	v_mov_b32_e32 v51, v63
	v_pk_fma_f32 v[62:63], v[86:87], v[70:71], v[52:53] op_sel_hi:[1,0,1]
	v_pk_add_f32 v[48:49], v[56:57], v[48:49]
	v_pk_fma_f32 v[52:53], v[86:87], v[70:71], v[52:53] neg_lo:[0,0,1] neg_hi:[0,0,1]
	v_pk_fma_f32 v[56:57], v[88:89], v[72:73], v[54:55] op_sel_hi:[1,0,1]
	v_pk_mul_f32 v[58:59], v[122:123], v[58:59] op_sel_hi:[1,0]
	v_mov_b32_e32 v53, v63
	v_pk_add_f32 v[48:49], v[48:49], v[50:51]
	v_pk_fma_f32 v[54:55], v[88:89], v[72:73], v[54:55] neg_lo:[0,0,1] neg_hi:[0,0,1]
	s_wait_loadcnt 0x2
	v_pk_mul_f32 v[60:61], v[92:93], v[76:77] op_sel:[1,1] op_sel_hi:[0,1]
	v_dual_mov_b32 v50, v79 :: v_dual_mov_b32 v55, v57
	v_pk_fma_f32 v[56:57], v[90:91], v[74:75], v[58:59] op_sel_hi:[1,0,1]
	v_pk_add_f32 v[48:49], v[48:49], v[52:53]
	v_pk_fma_f32 v[58:59], v[90:91], v[74:75], v[58:59] neg_lo:[0,0,1] neg_hi:[0,0,1]
	v_pk_fma_f32 v[52:53], v[92:93], v[76:77], v[60:61] op_sel_hi:[1,0,1]
	v_pk_mul_f32 v[50:51], v[124:125], v[50:51] op_sel_hi:[1,0]
	v_mov_b32_e32 v59, v57
	v_pk_add_f32 v[48:49], v[48:49], v[54:55]
	v_pk_fma_f32 v[54:55], v[92:93], v[76:77], v[60:61] neg_lo:[0,0,1] neg_hi:[0,0,1]
	v_mov_b32_e32 v55, v53
	v_pk_fma_f32 v[52:53], v[94:95], v[78:79], v[50:51] op_sel_hi:[1,0,1]
	s_wait_loadcnt_dscnt 0x100
	v_pk_mul_f32 v[56:57], v[116:117], v[112:113] op_sel:[1,1] op_sel_hi:[0,1]
	v_pk_add_f32 v[48:49], v[48:49], v[58:59]
	v_pk_fma_f32 v[50:51], v[94:95], v[78:79], v[50:51] neg_lo:[0,0,1] neg_hi:[0,0,1]
	v_mov_b32_e32 v51, v53
	s_delay_alu instid0(VALU_DEP_4) | instskip(NEXT) | instid1(VALU_DEP_4)
	v_pk_fma_f32 v[52:53], v[116:117], v[112:113], v[56:57] op_sel_hi:[1,0,1]
	v_pk_add_f32 v[48:49], v[48:49], v[54:55]
	v_pk_fma_f32 v[54:55], v[116:117], v[112:113], v[56:57] neg_lo:[0,0,1] neg_hi:[0,0,1]
	s_delay_alu instid0(VALU_DEP_3) | instskip(NEXT) | instid1(VALU_DEP_3)
	v_mov_b32_e32 v55, v53
	v_pk_add_f32 v[48:49], v[48:49], v[50:51]
	s_delay_alu instid0(VALU_DEP_1) | instskip(SKIP_1) | instid1(VALU_DEP_1)
	v_pk_add_f32 v[48:49], v[48:49], v[54:55]
	s_wait_loadcnt 0x0
	v_pk_add_f32 v[48:49], v[114:115], v[48:49] neg_lo:[0,1] neg_hi:[0,1]
	scratch_store_b64 off, v[48:49], off offset:40
	s_wait_xcnt 0x0
	v_cmpx_lt_u32_e32 4, v0
	s_cbranch_execz .LBB86_143
; %bb.142:
	scratch_load_b64 v[48:49], off, off offset:32
	v_mov_b64_e32 v[50:51], 0
	scratch_store_b64 off, v[50:51], off offset:32
	s_wait_loadcnt 0x0
	ds_store_b64 v1, v[48:49]
.LBB86_143:
	s_wait_xcnt 0x0
	s_or_b32 exec_lo, exec_lo, s0
	s_wait_storecnt_dscnt 0x0
	s_barrier_signal -1
	s_barrier_wait -1
	s_clause 0x9
	scratch_load_b128 v[48:51], off, off offset:40
	scratch_load_b128 v[52:55], off, off offset:56
	;; [unrolled: 1-line block ×9, first 2 shown]
	scratch_load_b64 v[120:121], off, off offset:32
	ds_load_2addr_b64 v[84:87], v7 offset0:39 offset1:40
	ds_load_2addr_b64 v[88:91], v7 offset0:41 offset1:42
	;; [unrolled: 1-line block ×9, first 2 shown]
	s_mov_b32 s0, exec_lo
	s_wait_dscnt 0x8
	v_dual_mov_b32 v122, v87 :: v_dual_mov_b32 v123, v86
	s_wait_dscnt 0x7
	v_dual_mov_b32 v124, v91 :: v_dual_mov_b32 v125, v90
	;; [unrolled: 2-line block ×4, first 2 shown]
	s_wait_loadcnt_dscnt 0x904
	v_dual_mul_f32 v7, v100, v49 :: v_dual_mul_f32 v9, v102, v51
	v_dual_mul_f32 v23, v101, v49 :: v_dual_mul_f32 v25, v103, v51
	s_wait_loadcnt_dscnt 0x803
	v_dual_mul_f32 v11, v104, v53 :: v_dual_mul_f32 v13, v106, v55
	s_delay_alu instid0(VALU_DEP_3) | instskip(SKIP_3) | instid1(VALU_DEP_3)
	v_dual_fmac_f32 v7, v101, v48 :: v_dual_fmac_f32 v9, v103, v50
	s_wait_loadcnt_dscnt 0x601
	v_dual_fma_f32 v23, v100, v48, -v23 :: v_dual_mul_f32 v35, v113, v61
	v_dual_mul_f32 v27, v105, v53 :: v_dual_mul_f32 v29, v107, v55
	v_dual_fma_f32 v25, v102, v50, -v25 :: v_dual_add_f32 v7, 0, v7
	s_delay_alu instid0(VALU_DEP_3) | instskip(SKIP_1) | instid1(VALU_DEP_4)
	v_dual_add_f32 v23, 0, v23 :: v_dual_fmac_f32 v11, v105, v52
	v_dual_mul_f32 v15, v108, v57 :: v_dual_mul_f32 v17, v110, v59
	v_dual_mul_f32 v37, v115, v63 :: v_dual_fma_f32 v27, v104, v52, -v27
	s_delay_alu instid0(VALU_DEP_4) | instskip(NEXT) | instid1(VALU_DEP_3)
	v_add_f32_e32 v7, v7, v9
	v_dual_add_f32 v9, v23, v25 :: v_dual_fmac_f32 v15, v109, v56
	v_dual_mul_f32 v31, v109, v57 :: v_dual_mul_f32 v33, v111, v59
	s_wait_loadcnt_dscnt 0x500
	v_dual_mul_f32 v23, v117, v65 :: v_dual_fmac_f32 v13, v107, v54
	v_dual_fma_f32 v25, v106, v54, -v29 :: v_dual_add_f32 v7, v7, v11
	s_delay_alu instid0(VALU_DEP_3) | instskip(SKIP_1) | instid1(VALU_DEP_3)
	v_dual_add_f32 v9, v9, v27 :: v_dual_fma_f32 v27, v108, v56, -v31
	v_dual_mul_f32 v19, v112, v61 :: v_dual_mul_f32 v21, v114, v63
	v_add_f32_e32 v7, v7, v13
	s_delay_alu instid0(VALU_DEP_3) | instskip(SKIP_1) | instid1(VALU_DEP_3)
	v_dual_mul_f32 v11, v119, v67 :: v_dual_add_f32 v9, v9, v25
	v_fmac_f32_e32 v17, v111, v58
	v_dual_fma_f32 v13, v110, v58, -v33 :: v_dual_add_f32 v7, v7, v15
	s_wait_loadcnt 0x4
	v_dual_mov_b32 v50, v71 :: v_dual_fmac_f32 v19, v113, v60
	v_dual_add_f32 v9, v9, v27 :: v_dual_fma_f32 v15, v112, v60, -v35
	s_delay_alu instid0(VALU_DEP_3) | instskip(SKIP_1) | instid1(VALU_DEP_3)
	v_add_f32_e32 v7, v7, v17
	v_dual_mul_f32 v131, v116, v65 :: v_dual_mul_f32 v133, v118, v67
	v_dual_add_f32 v9, v9, v13 :: v_dual_fmac_f32 v21, v115, v62
	s_delay_alu instid0(VALU_DEP_3) | instskip(SKIP_2) | instid1(VALU_DEP_3)
	v_dual_fma_f32 v13, v114, v62, -v37 :: v_dual_add_f32 v7, v7, v19
	v_pk_mul_f32 v[48:49], v[84:85], v[68:69] op_sel:[1,1] op_sel_hi:[0,1]
	s_wait_loadcnt 0x3
	v_dual_add_f32 v9, v9, v15 :: v_dual_mov_b32 v54, v75
	s_delay_alu instid0(VALU_DEP_3) | instskip(NEXT) | instid1(VALU_DEP_2)
	v_dual_fmac_f32 v131, v117, v64 :: v_dual_add_f32 v57, v7, v21
	v_dual_fma_f32 v130, v116, v64, -v23 :: v_dual_add_f32 v56, v9, v13
	v_dual_fmac_f32 v133, v119, v66 :: v_dual_fma_f32 v132, v118, v66, -v11
	v_pk_fma_f32 v[58:59], v[84:85], v[68:69], v[48:49] op_sel_hi:[1,0,1]
	v_pk_mul_f32 v[50:51], v[122:123], v[50:51] op_sel_hi:[1,0]
	s_delay_alu instid0(VALU_DEP_4)
	v_pk_add_f32 v[56:57], v[56:57], v[130:131]
	v_pk_fma_f32 v[48:49], v[84:85], v[68:69], v[48:49] neg_lo:[0,0,1] neg_hi:[0,0,1]
	v_pk_mul_f32 v[52:53], v[88:89], v[72:73] op_sel:[1,1] op_sel_hi:[0,1]
	v_mov_b32_e32 v49, v59
	v_pk_fma_f32 v[58:59], v[86:87], v[70:71], v[50:51] op_sel_hi:[1,0,1]
	v_pk_add_f32 v[56:57], v[56:57], v[132:133]
	v_pk_fma_f32 v[50:51], v[86:87], v[70:71], v[50:51] neg_lo:[0,0,1] neg_hi:[0,0,1]
	v_pk_fma_f32 v[62:63], v[88:89], v[72:73], v[52:53] op_sel_hi:[1,0,1]
	v_pk_mul_f32 v[54:55], v[124:125], v[54:55] op_sel_hi:[1,0]
	v_mov_b32_e32 v51, v59
	v_pk_add_f32 v[48:49], v[56:57], v[48:49]
	s_wait_loadcnt 0x2
	v_pk_mul_f32 v[60:61], v[92:93], v[76:77] op_sel:[1,1] op_sel_hi:[0,1]
	v_mov_b32_e32 v56, v79
	v_pk_fma_f32 v[52:53], v[88:89], v[72:73], v[52:53] neg_lo:[0,0,1] neg_hi:[0,0,1]
	v_mov_b32_e32 v53, v63
	v_pk_fma_f32 v[58:59], v[90:91], v[74:75], v[54:55] op_sel_hi:[1,0,1]
	v_pk_add_f32 v[48:49], v[48:49], v[50:51]
	v_pk_fma_f32 v[50:51], v[92:93], v[76:77], v[60:61] op_sel_hi:[1,0,1]
	v_pk_mul_f32 v[56:57], v[126:127], v[56:57] op_sel_hi:[1,0]
	v_pk_fma_f32 v[54:55], v[90:91], v[74:75], v[54:55] neg_lo:[0,0,1] neg_hi:[0,0,1]
	v_mov_b32_e32 v55, v59
	v_pk_add_f32 v[48:49], v[48:49], v[52:53]
	v_pk_fma_f32 v[58:59], v[92:93], v[76:77], v[60:61] neg_lo:[0,0,1] neg_hi:[0,0,1]
	v_mov_b32_e32 v59, v51
	v_pk_fma_f32 v[50:51], v[94:95], v[78:79], v[56:57] op_sel_hi:[1,0,1]
	s_wait_loadcnt 0x1
	v_pk_mul_f32 v[52:53], v[96:97], v[80:81] op_sel:[1,1] op_sel_hi:[0,1]
	v_pk_add_f32 v[48:49], v[48:49], v[54:55]
	v_mov_b32_e32 v50, v83
	v_pk_fma_f32 v[56:57], v[94:95], v[78:79], v[56:57] neg_lo:[0,0,1] neg_hi:[0,0,1]
	v_mov_b32_e32 v57, v51
	v_pk_fma_f32 v[54:55], v[96:97], v[80:81], v[52:53] op_sel_hi:[1,0,1]
	v_pk_add_f32 v[48:49], v[48:49], v[58:59]
	v_pk_mul_f32 v[50:51], v[128:129], v[50:51] op_sel_hi:[1,0]
	v_pk_fma_f32 v[52:53], v[96:97], v[80:81], v[52:53] neg_lo:[0,0,1] neg_hi:[0,0,1]
	s_delay_alu instid0(VALU_DEP_4) | instskip(NEXT) | instid1(VALU_DEP_4)
	v_mov_b32_e32 v53, v55
	v_pk_add_f32 v[48:49], v[48:49], v[56:57]
	s_delay_alu instid0(VALU_DEP_4) | instskip(SKIP_1) | instid1(VALU_DEP_2)
	v_pk_fma_f32 v[54:55], v[98:99], v[82:83], v[50:51] op_sel_hi:[1,0,1]
	v_pk_fma_f32 v[50:51], v[98:99], v[82:83], v[50:51] neg_lo:[0,0,1] neg_hi:[0,0,1]
	v_mov_b32_e32 v51, v55
	s_delay_alu instid0(VALU_DEP_4) | instskip(NEXT) | instid1(VALU_DEP_1)
	v_pk_add_f32 v[48:49], v[48:49], v[52:53]
	v_pk_add_f32 v[48:49], v[48:49], v[50:51]
	s_wait_loadcnt 0x0
	s_delay_alu instid0(VALU_DEP_1)
	v_pk_add_f32 v[48:49], v[120:121], v[48:49] neg_lo:[0,1] neg_hi:[0,1]
	scratch_store_b64 off, v[48:49], off offset:32
	s_wait_xcnt 0x0
	v_cmpx_lt_u32_e32 3, v0
	s_cbranch_execz .LBB86_145
; %bb.144:
	scratch_load_b64 v[48:49], off, off offset:24
	v_mov_b64_e32 v[50:51], 0
	scratch_store_b64 off, v[50:51], off offset:24
	s_wait_loadcnt 0x0
	ds_store_b64 v1, v[48:49]
.LBB86_145:
	s_wait_xcnt 0x0
	s_or_b32 exec_lo, exec_lo, s0
	s_wait_storecnt_dscnt 0x0
	s_barrier_signal -1
	s_barrier_wait -1
	s_clause 0xa
	scratch_load_b128 v[48:51], off, off offset:32
	scratch_load_b128 v[52:55], off, off offset:48
	;; [unrolled: 1-line block ×9, first 2 shown]
	scratch_load_b64 v[120:121], off, off offset:176
	scratch_load_b64 v[122:123], off, off offset:24
	v_mov_b32_e32 v7, 0
	ds_load_b128 v[84:87], v7 offset:304
	ds_load_b128 v[88:91], v7 offset:320
	;; [unrolled: 1-line block ×9, first 2 shown]
	ds_load_b64 v[124:125], v7 offset:368
	s_mov_b32 s0, exec_lo
	s_wait_dscnt 0x9
	v_dual_mov_b32 v126, v87 :: v_dual_mov_b32 v127, v86
	s_wait_dscnt 0x6
	v_dual_mov_b32 v128, v91 :: v_dual_mov_b32 v133, v98
	v_dual_mov_b32 v129, v90 :: v_dual_mov_b32 v130, v95
	;; [unrolled: 1-line block ×3, first 2 shown]
	s_wait_loadcnt_dscnt 0xa05
	v_dual_mul_f32 v9, v100, v49 :: v_dual_mul_f32 v27, v101, v49
	v_dual_mul_f32 v29, v103, v51 :: v_dual_mul_f32 v11, v102, v51
	s_wait_loadcnt_dscnt 0x904
	v_mul_f32_e32 v13, v104, v53
	s_wait_loadcnt_dscnt 0x702
	v_dual_mul_f32 v39, v113, v61 :: v_dual_fma_f32 v27, v100, v48, -v27
	v_dual_fmac_f32 v9, v101, v48 :: v_dual_mul_f32 v41, v115, v63
	v_dual_mul_f32 v31, v105, v53 :: v_dual_mul_f32 v33, v107, v55
	v_dual_fmac_f32 v11, v103, v50 :: v_dual_fma_f32 v29, v102, v50, -v29
	s_delay_alu instid0(VALU_DEP_3) | instskip(SKIP_4) | instid1(VALU_DEP_3)
	v_dual_add_f32 v9, 0, v9 :: v_dual_add_f32 v27, 0, v27
	v_dual_mul_f32 v15, v106, v55 :: v_dual_mul_f32 v17, v108, v57
	s_wait_loadcnt_dscnt 0x601
	v_dual_mul_f32 v43, v117, v65 :: v_dual_fma_f32 v31, v104, v52, -v31
	v_fmac_f32_e32 v13, v105, v52
	v_dual_add_f32 v9, v9, v11 :: v_dual_fmac_f32 v15, v107, v54
	v_add_f32_e32 v11, v27, v29
	v_dual_mul_f32 v35, v109, v57 :: v_dual_mul_f32 v37, v111, v59
	v_dual_mul_f32 v27, v119, v67 :: v_dual_fma_f32 v29, v106, v54, -v33
	s_delay_alu instid0(VALU_DEP_3) | instskip(SKIP_3) | instid1(VALU_DEP_3)
	v_dual_add_f32 v9, v9, v13 :: v_dual_add_f32 v11, v11, v31
	v_dual_mul_f32 v19, v110, v59 :: v_dual_mul_f32 v21, v112, v61
	s_wait_loadcnt 0x5
	v_dual_mul_f32 v13, v85, v69 :: v_dual_fma_f32 v31, v108, v56, -v35
	v_dual_fmac_f32 v17, v109, v56 :: v_dual_add_f32 v11, v11, v29
	v_dual_add_f32 v9, v9, v15 :: v_dual_mov_b32 v48, v71
	v_dual_fmac_f32 v19, v111, v58 :: v_dual_fma_f32 v15, v110, v58, -v37
	s_delay_alu instid0(VALU_DEP_2) | instskip(SKIP_3) | instid1(VALU_DEP_3)
	v_dual_add_f32 v11, v11, v31 :: v_dual_add_f32 v9, v9, v17
	v_dual_mul_f32 v23, v114, v63 :: v_dual_mul_f32 v25, v116, v65
	v_dual_fmac_f32 v21, v113, v60 :: v_dual_fma_f32 v17, v112, v60, -v39
	s_wait_loadcnt 0x4
	v_dual_add_f32 v9, v9, v19 :: v_dual_mov_b32 v52, v75
	v_dual_add_f32 v11, v11, v15 :: v_dual_fma_f32 v15, v114, v62, -v41
	s_delay_alu instid0(VALU_DEP_2) | instskip(SKIP_1) | instid1(VALU_DEP_3)
	v_dual_fmac_f32 v23, v115, v62 :: v_dual_add_f32 v9, v9, v21
	v_dual_mul_f32 v135, v118, v67 :: v_dual_mul_f32 v137, v84, v69
	v_dual_add_f32 v11, v11, v17 :: v_dual_fmac_f32 v25, v117, v64
	s_delay_alu instid0(VALU_DEP_3) | instskip(NEXT) | instid1(VALU_DEP_3)
	v_dual_fma_f32 v17, v116, v64, -v43 :: v_dual_add_f32 v9, v9, v23
	v_fmac_f32_e32 v135, v119, v66
	s_delay_alu instid0(VALU_DEP_3) | instskip(SKIP_1) | instid1(VALU_DEP_4)
	v_dual_add_f32 v11, v11, v15 :: v_dual_fma_f32 v134, v118, v66, -v27
	v_pk_mul_f32 v[48:49], v[126:127], v[48:49] op_sel_hi:[1,0]
	v_add_f32_e32 v57, v9, v25
	v_pk_mul_f32 v[50:51], v[88:89], v[72:73] op_sel:[1,1] op_sel_hi:[0,1]
	s_delay_alu instid0(VALU_DEP_4) | instskip(SKIP_3) | instid1(VALU_DEP_3)
	v_dual_add_f32 v56, v11, v17 :: v_dual_fmac_f32 v137, v85, v68
	s_wait_loadcnt 0x3
	v_dual_mov_b32 v58, v79 :: v_dual_fma_f32 v136, v84, v68, -v13
	v_pk_fma_f32 v[60:61], v[86:87], v[70:71], v[48:49] op_sel_hi:[1,0,1]
	v_pk_add_f32 v[56:57], v[56:57], v[134:135]
	v_pk_fma_f32 v[48:49], v[86:87], v[70:71], v[48:49] neg_lo:[0,0,1] neg_hi:[0,0,1]
	v_pk_fma_f32 v[62:63], v[88:89], v[72:73], v[50:51] op_sel_hi:[1,0,1]
	v_pk_mul_f32 v[52:53], v[128:129], v[52:53] op_sel_hi:[1,0]
	v_mov_b32_e32 v49, v61
	v_pk_add_f32 v[56:57], v[56:57], v[136:137]
	v_pk_fma_f32 v[50:51], v[88:89], v[72:73], v[50:51] neg_lo:[0,0,1] neg_hi:[0,0,1]
	v_pk_mul_f32 v[54:55], v[92:93], v[76:77] op_sel:[1,1] op_sel_hi:[0,1]
	v_mov_b32_e32 v51, v63
	v_pk_fma_f32 v[62:63], v[90:91], v[74:75], v[52:53] op_sel_hi:[1,0,1]
	v_pk_add_f32 v[48:49], v[56:57], v[48:49]
	v_pk_fma_f32 v[52:53], v[90:91], v[74:75], v[52:53] neg_lo:[0,0,1] neg_hi:[0,0,1]
	v_pk_fma_f32 v[56:57], v[92:93], v[76:77], v[54:55] op_sel_hi:[1,0,1]
	v_pk_mul_f32 v[58:59], v[130:131], v[58:59] op_sel_hi:[1,0]
	v_mov_b32_e32 v53, v63
	v_pk_add_f32 v[48:49], v[48:49], v[50:51]
	v_pk_fma_f32 v[54:55], v[92:93], v[76:77], v[54:55] neg_lo:[0,0,1] neg_hi:[0,0,1]
	s_wait_loadcnt 0x2
	v_pk_mul_f32 v[60:61], v[96:97], v[80:81] op_sel:[1,1] op_sel_hi:[0,1]
	v_dual_mov_b32 v50, v83 :: v_dual_mov_b32 v55, v57
	v_pk_fma_f32 v[56:57], v[94:95], v[78:79], v[58:59] op_sel_hi:[1,0,1]
	v_pk_add_f32 v[48:49], v[48:49], v[52:53]
	v_pk_fma_f32 v[58:59], v[94:95], v[78:79], v[58:59] neg_lo:[0,0,1] neg_hi:[0,0,1]
	v_pk_fma_f32 v[52:53], v[96:97], v[80:81], v[60:61] op_sel_hi:[1,0,1]
	v_pk_mul_f32 v[50:51], v[132:133], v[50:51] op_sel_hi:[1,0]
	v_mov_b32_e32 v59, v57
	v_pk_add_f32 v[48:49], v[48:49], v[54:55]
	v_pk_fma_f32 v[54:55], v[96:97], v[80:81], v[60:61] neg_lo:[0,0,1] neg_hi:[0,0,1]
	v_mov_b32_e32 v55, v53
	v_pk_fma_f32 v[52:53], v[98:99], v[82:83], v[50:51] op_sel_hi:[1,0,1]
	s_wait_loadcnt_dscnt 0x100
	v_pk_mul_f32 v[56:57], v[124:125], v[120:121] op_sel:[1,1] op_sel_hi:[0,1]
	v_pk_add_f32 v[48:49], v[48:49], v[58:59]
	v_pk_fma_f32 v[50:51], v[98:99], v[82:83], v[50:51] neg_lo:[0,0,1] neg_hi:[0,0,1]
	v_mov_b32_e32 v51, v53
	s_delay_alu instid0(VALU_DEP_4) | instskip(NEXT) | instid1(VALU_DEP_4)
	v_pk_fma_f32 v[52:53], v[124:125], v[120:121], v[56:57] op_sel_hi:[1,0,1]
	v_pk_add_f32 v[48:49], v[48:49], v[54:55]
	v_pk_fma_f32 v[54:55], v[124:125], v[120:121], v[56:57] neg_lo:[0,0,1] neg_hi:[0,0,1]
	s_delay_alu instid0(VALU_DEP_3) | instskip(NEXT) | instid1(VALU_DEP_3)
	v_mov_b32_e32 v55, v53
	v_pk_add_f32 v[48:49], v[48:49], v[50:51]
	s_delay_alu instid0(VALU_DEP_1) | instskip(SKIP_1) | instid1(VALU_DEP_1)
	v_pk_add_f32 v[48:49], v[48:49], v[54:55]
	s_wait_loadcnt 0x0
	v_pk_add_f32 v[48:49], v[122:123], v[48:49] neg_lo:[0,1] neg_hi:[0,1]
	scratch_store_b64 off, v[48:49], off offset:24
	s_wait_xcnt 0x0
	v_cmpx_lt_u32_e32 2, v0
	s_cbranch_execz .LBB86_147
; %bb.146:
	scratch_load_b64 v[48:49], off, off offset:16
	v_mov_b64_e32 v[50:51], 0
	scratch_store_b64 off, v[50:51], off offset:16
	s_wait_loadcnt 0x0
	ds_store_b64 v1, v[48:49]
.LBB86_147:
	s_wait_xcnt 0x0
	s_or_b32 exec_lo, exec_lo, s0
	s_wait_storecnt_dscnt 0x0
	s_barrier_signal -1
	s_barrier_wait -1
	s_clause 0xa
	scratch_load_b128 v[48:51], off, off offset:24
	scratch_load_b128 v[52:55], off, off offset:40
	;; [unrolled: 1-line block ×10, first 2 shown]
	scratch_load_b64 v[128:129], off, off offset:16
	ds_load_2addr_b64 v[88:91], v7 offset0:39 offset1:40
	ds_load_2addr_b64 v[92:95], v7 offset0:41 offset1:42
	;; [unrolled: 1-line block ×10, first 2 shown]
	s_mov_b32 s0, exec_lo
	s_wait_dscnt 0x9
	v_dual_mov_b32 v130, v91 :: v_dual_mov_b32 v131, v90
	s_wait_dscnt 0x8
	v_dual_mov_b32 v132, v95 :: v_dual_mov_b32 v133, v94
	;; [unrolled: 2-line block ×4, first 2 shown]
	s_wait_loadcnt_dscnt 0xa05
	v_dual_mul_f32 v7, v104, v49 :: v_dual_mul_f32 v9, v106, v51
	v_dual_mul_f32 v27, v105, v49 :: v_dual_mul_f32 v29, v107, v51
	s_wait_loadcnt_dscnt 0x904
	v_dual_mul_f32 v11, v108, v53 :: v_dual_mul_f32 v13, v110, v55
	s_delay_alu instid0(VALU_DEP_3) | instskip(SKIP_3) | instid1(VALU_DEP_3)
	v_dual_fmac_f32 v7, v105, v48 :: v_dual_fmac_f32 v9, v107, v50
	s_wait_loadcnt_dscnt 0x702
	v_dual_fma_f32 v27, v104, v48, -v27 :: v_dual_mul_f32 v39, v117, v61
	v_dual_mul_f32 v31, v109, v53 :: v_dual_mul_f32 v33, v111, v55
	v_dual_fma_f32 v29, v106, v50, -v29 :: v_dual_add_f32 v7, 0, v7
	s_delay_alu instid0(VALU_DEP_3) | instskip(SKIP_1) | instid1(VALU_DEP_4)
	v_dual_add_f32 v27, 0, v27 :: v_dual_fmac_f32 v11, v109, v52
	v_dual_mul_f32 v15, v112, v57 :: v_dual_mul_f32 v17, v114, v59
	v_dual_mul_f32 v41, v119, v63 :: v_dual_fma_f32 v31, v108, v52, -v31
	s_delay_alu instid0(VALU_DEP_4) | instskip(NEXT) | instid1(VALU_DEP_3)
	v_add_f32_e32 v7, v7, v9
	v_dual_add_f32 v9, v27, v29 :: v_dual_fmac_f32 v15, v113, v56
	v_dual_mul_f32 v35, v113, v57 :: v_dual_mul_f32 v37, v115, v59
	s_wait_loadcnt_dscnt 0x601
	v_dual_mul_f32 v27, v121, v65 :: v_dual_fmac_f32 v13, v111, v54
	v_dual_fma_f32 v29, v110, v54, -v33 :: v_dual_add_f32 v7, v7, v11
	s_delay_alu instid0(VALU_DEP_3) | instskip(SKIP_1) | instid1(VALU_DEP_3)
	v_dual_add_f32 v9, v9, v31 :: v_dual_fma_f32 v31, v112, v56, -v35
	v_dual_mul_f32 v19, v116, v61 :: v_dual_mul_f32 v21, v118, v63
	v_add_f32_e32 v7, v7, v13
	s_delay_alu instid0(VALU_DEP_3) | instskip(SKIP_2) | instid1(VALU_DEP_3)
	v_dual_mul_f32 v11, v123, v67 :: v_dual_add_f32 v9, v9, v29
	s_wait_loadcnt_dscnt 0x500
	v_dual_mul_f32 v13, v125, v69 :: v_dual_fmac_f32 v17, v115, v58
	v_dual_fma_f32 v29, v114, v58, -v37 :: v_dual_add_f32 v7, v7, v15
	s_delay_alu instid0(VALU_DEP_3) | instskip(SKIP_1) | instid1(VALU_DEP_3)
	v_dual_add_f32 v9, v9, v31 :: v_dual_fma_f32 v31, v116, v60, -v39
	v_dual_mul_f32 v15, v127, v71 :: v_dual_fmac_f32 v19, v117, v60
	v_dual_add_f32 v7, v7, v17 :: v_dual_fma_f32 v17, v118, v62, -v41
	s_delay_alu instid0(VALU_DEP_3) | instskip(SKIP_1) | instid1(VALU_DEP_3)
	v_dual_add_f32 v9, v9, v29 :: v_dual_fmac_f32 v21, v119, v62
	v_dual_mul_f32 v23, v120, v65 :: v_dual_mul_f32 v25, v122, v67
	v_add_f32_e32 v7, v7, v19
	s_wait_loadcnt 0x4
	s_delay_alu instid0(VALU_DEP_3) | instskip(NEXT) | instid1(VALU_DEP_3)
	v_dual_add_f32 v9, v9, v31 :: v_dual_mov_b32 v50, v75
	v_fmac_f32_e32 v23, v121, v64
	s_delay_alu instid0(VALU_DEP_3) | instskip(NEXT) | instid1(VALU_DEP_3)
	v_dual_fma_f32 v19, v120, v64, -v27 :: v_dual_add_f32 v7, v7, v21
	v_dual_add_f32 v9, v9, v17 :: v_dual_fmac_f32 v25, v123, v66
	v_dual_mul_f32 v139, v124, v69 :: v_dual_mul_f32 v141, v126, v71
	s_delay_alu instid0(VALU_DEP_3) | instskip(SKIP_1) | instid1(VALU_DEP_3)
	v_dual_fma_f32 v11, v122, v66, -v11 :: v_dual_add_f32 v7, v7, v23
	s_wait_loadcnt 0x3
	v_dual_add_f32 v9, v9, v19 :: v_dual_mov_b32 v54, v79
	v_pk_mul_f32 v[48:49], v[88:89], v[72:73] op_sel:[1,1] op_sel_hi:[0,1]
	v_dual_fmac_f32 v139, v125, v68 :: v_dual_fma_f32 v138, v124, v68, -v13
	s_delay_alu instid0(VALU_DEP_3) | instskip(SKIP_1) | instid1(VALU_DEP_4)
	v_dual_add_f32 v57, v7, v25 :: v_dual_add_f32 v56, v9, v11
	v_dual_fmac_f32 v141, v127, v70 :: v_dual_fma_f32 v140, v126, v70, -v15
	v_pk_fma_f32 v[58:59], v[88:89], v[72:73], v[48:49] op_sel_hi:[1,0,1]
	v_pk_mul_f32 v[50:51], v[130:131], v[50:51] op_sel_hi:[1,0]
	s_delay_alu instid0(VALU_DEP_4)
	v_pk_add_f32 v[56:57], v[56:57], v[138:139]
	v_pk_fma_f32 v[48:49], v[88:89], v[72:73], v[48:49] neg_lo:[0,0,1] neg_hi:[0,0,1]
	v_pk_mul_f32 v[52:53], v[92:93], v[76:77] op_sel:[1,1] op_sel_hi:[0,1]
	v_mov_b32_e32 v49, v59
	v_pk_fma_f32 v[58:59], v[90:91], v[74:75], v[50:51] op_sel_hi:[1,0,1]
	v_pk_add_f32 v[56:57], v[56:57], v[140:141]
	v_pk_fma_f32 v[50:51], v[90:91], v[74:75], v[50:51] neg_lo:[0,0,1] neg_hi:[0,0,1]
	v_pk_fma_f32 v[62:63], v[92:93], v[76:77], v[52:53] op_sel_hi:[1,0,1]
	v_pk_mul_f32 v[54:55], v[132:133], v[54:55] op_sel_hi:[1,0]
	v_mov_b32_e32 v51, v59
	v_pk_add_f32 v[48:49], v[56:57], v[48:49]
	s_wait_loadcnt 0x2
	v_pk_mul_f32 v[60:61], v[96:97], v[80:81] op_sel:[1,1] op_sel_hi:[0,1]
	v_mov_b32_e32 v56, v83
	v_pk_fma_f32 v[52:53], v[92:93], v[76:77], v[52:53] neg_lo:[0,0,1] neg_hi:[0,0,1]
	v_mov_b32_e32 v53, v63
	v_pk_fma_f32 v[58:59], v[94:95], v[78:79], v[54:55] op_sel_hi:[1,0,1]
	v_pk_add_f32 v[48:49], v[48:49], v[50:51]
	v_pk_fma_f32 v[50:51], v[96:97], v[80:81], v[60:61] op_sel_hi:[1,0,1]
	v_pk_mul_f32 v[56:57], v[134:135], v[56:57] op_sel_hi:[1,0]
	v_pk_fma_f32 v[54:55], v[94:95], v[78:79], v[54:55] neg_lo:[0,0,1] neg_hi:[0,0,1]
	v_mov_b32_e32 v55, v59
	v_pk_add_f32 v[48:49], v[48:49], v[52:53]
	v_pk_fma_f32 v[58:59], v[96:97], v[80:81], v[60:61] neg_lo:[0,0,1] neg_hi:[0,0,1]
	v_mov_b32_e32 v59, v51
	v_pk_fma_f32 v[50:51], v[98:99], v[82:83], v[56:57] op_sel_hi:[1,0,1]
	s_wait_loadcnt 0x1
	v_pk_mul_f32 v[52:53], v[100:101], v[84:85] op_sel:[1,1] op_sel_hi:[0,1]
	v_pk_add_f32 v[48:49], v[48:49], v[54:55]
	v_mov_b32_e32 v50, v87
	v_pk_fma_f32 v[56:57], v[98:99], v[82:83], v[56:57] neg_lo:[0,0,1] neg_hi:[0,0,1]
	v_mov_b32_e32 v57, v51
	v_pk_fma_f32 v[54:55], v[100:101], v[84:85], v[52:53] op_sel_hi:[1,0,1]
	v_pk_add_f32 v[48:49], v[48:49], v[58:59]
	v_pk_mul_f32 v[50:51], v[136:137], v[50:51] op_sel_hi:[1,0]
	v_pk_fma_f32 v[52:53], v[100:101], v[84:85], v[52:53] neg_lo:[0,0,1] neg_hi:[0,0,1]
	s_delay_alu instid0(VALU_DEP_4) | instskip(NEXT) | instid1(VALU_DEP_4)
	v_mov_b32_e32 v53, v55
	v_pk_add_f32 v[48:49], v[48:49], v[56:57]
	s_delay_alu instid0(VALU_DEP_4) | instskip(SKIP_1) | instid1(VALU_DEP_2)
	v_pk_fma_f32 v[54:55], v[102:103], v[86:87], v[50:51] op_sel_hi:[1,0,1]
	v_pk_fma_f32 v[50:51], v[102:103], v[86:87], v[50:51] neg_lo:[0,0,1] neg_hi:[0,0,1]
	v_mov_b32_e32 v51, v55
	s_delay_alu instid0(VALU_DEP_4) | instskip(NEXT) | instid1(VALU_DEP_1)
	v_pk_add_f32 v[48:49], v[48:49], v[52:53]
	v_pk_add_f32 v[48:49], v[48:49], v[50:51]
	s_wait_loadcnt 0x0
	s_delay_alu instid0(VALU_DEP_1)
	v_pk_add_f32 v[48:49], v[128:129], v[48:49] neg_lo:[0,1] neg_hi:[0,1]
	scratch_store_b64 off, v[48:49], off offset:16
	s_wait_xcnt 0x0
	v_cmpx_lt_u32_e32 1, v0
	s_cbranch_execz .LBB86_149
; %bb.148:
	scratch_load_b64 v[48:49], off, off offset:8
	v_mov_b64_e32 v[50:51], 0
	scratch_store_b64 off, v[50:51], off offset:8
	s_wait_loadcnt 0x0
	ds_store_b64 v1, v[48:49]
.LBB86_149:
	s_wait_xcnt 0x0
	s_or_b32 exec_lo, exec_lo, s0
	s_wait_storecnt_dscnt 0x0
	s_barrier_signal -1
	s_barrier_wait -1
	s_clause 0xb
	scratch_load_b128 v[50:53], off, off offset:16
	scratch_load_b128 v[54:57], off, off offset:32
	scratch_load_b128 v[58:61], off, off offset:48
	scratch_load_b128 v[62:65], off, off offset:64
	scratch_load_b128 v[66:69], off, off offset:80
	scratch_load_b128 v[70:73], off, off offset:96
	scratch_load_b128 v[74:77], off, off offset:112
	scratch_load_b128 v[78:81], off, off offset:128
	scratch_load_b128 v[82:85], off, off offset:144
	scratch_load_b128 v[86:89], off, off offset:160
	scratch_load_b64 v[130:131], off, off offset:176
	scratch_load_b64 v[132:133], off, off offset:8
	v_dual_mov_b32 v48, 0 :: v_dual_ashrrev_i32 v7, 31, v6
	v_dual_ashrrev_i32 v9, 31, v8 :: v_dual_ashrrev_i32 v11, 31, v10
	v_dual_ashrrev_i32 v13, 31, v12 :: v_dual_ashrrev_i32 v15, 31, v14
	ds_load_b128 v[106:109], v48 offset:208
	ds_load_b128 v[110:113], v48 offset:224
	;; [unrolled: 1-line block ×10, first 2 shown]
	ds_load_b64 v[134:135], v48 offset:368
	v_dual_ashrrev_i32 v17, 31, v16 :: v_dual_ashrrev_i32 v19, 31, v18
	v_dual_ashrrev_i32 v21, 31, v20 :: v_dual_ashrrev_i32 v23, 31, v22
	s_mov_b32 s0, exec_lo
	s_wait_dscnt 0x8
	v_dual_mov_b32 v136, v93 :: v_dual_mov_b32 v137, v92
	s_wait_dscnt 0x6
	v_dual_mov_b32 v138, v97 :: v_dual_mov_b32 v139, v96
	;; [unrolled: 2-line block ×4, first 2 shown]
	s_wait_loadcnt 0xb
	v_dual_mul_f32 v25, v106, v51 :: v_dual_mul_f32 v27, v108, v53
	v_dual_mul_f32 v29, v107, v51 :: v_dual_mul_f32 v31, v109, v53
	s_wait_loadcnt 0xa
	v_dual_mul_f32 v33, v110, v55 :: v_dual_mul_f32 v35, v112, v57
	s_delay_alu instid0(VALU_DEP_3) | instskip(NEXT) | instid1(VALU_DEP_3)
	v_dual_fmac_f32 v25, v107, v50 :: v_dual_fmac_f32 v27, v109, v52
	v_dual_fma_f32 v29, v106, v50, -v29 :: v_dual_fma_f32 v31, v108, v52, -v31
	s_wait_loadcnt 0x9
	v_dual_mul_f32 v39, v111, v55 :: v_dual_mul_f32 v43, v116, v61
	s_wait_loadcnt_dscnt 0x803
	v_dual_mul_f32 v55, v119, v63 :: v_dual_add_f32 v25, 0, v25
	v_dual_add_f32 v29, 0, v29 :: v_dual_mul_f32 v37, v114, v59
	s_wait_loadcnt 0x5
	v_dual_mul_f32 v41, v113, v57 :: v_dual_mul_f32 v53, v90, v75
	s_wait_dscnt 0x2
	v_dual_mul_f32 v52, v117, v61 :: v_dual_mul_f32 v61, v123, v67
	v_dual_fmac_f32 v33, v111, v54 :: v_dual_fma_f32 v39, v110, v54, -v39
	v_add_f32_e32 v25, v25, v27
	v_dual_add_f32 v27, v29, v31 :: v_dual_fmac_f32 v37, v115, v58
	v_dual_mul_f32 v50, v115, v59 :: v_dual_mul_f32 v59, v121, v65
	s_delay_alu instid0(VALU_DEP_2) | instskip(SKIP_1) | instid1(VALU_DEP_3)
	v_dual_mul_f32 v29, v125, v69 :: v_dual_add_f32 v27, v27, v39
	v_dual_fmac_f32 v35, v113, v56 :: v_dual_fma_f32 v31, v112, v56, -v41
	v_dual_add_f32 v25, v25, v33 :: v_dual_fma_f32 v39, v114, v58, -v50
	s_wait_dscnt 0x1
	v_mul_f32_e32 v33, v127, v71
	v_dual_mul_f32 v45, v118, v63 :: v_dual_mul_f32 v47, v120, v65
	s_delay_alu instid0(VALU_DEP_3) | instskip(SKIP_2) | instid1(VALU_DEP_3)
	v_dual_add_f32 v25, v25, v35 :: v_dual_fma_f32 v35, v116, v60, -v52
	v_dual_add_f32 v27, v27, v31 :: v_dual_mul_f32 v31, v129, v73
	v_fmac_f32_e32 v43, v117, v60
	v_dual_add_f32 v25, v25, v37 :: v_dual_mul_f32 v37, v91, v75
	s_delay_alu instid0(VALU_DEP_3) | instskip(SKIP_1) | instid1(VALU_DEP_3)
	v_add_f32_e32 v27, v27, v39
	v_dual_fmac_f32 v45, v119, v62 :: v_dual_fma_f32 v39, v118, v62, -v55
	v_add_f32_e32 v25, v25, v43
	v_dual_mul_f32 v49, v122, v67 :: v_dual_mul_f32 v57, v124, v69
	s_delay_alu instid0(VALU_DEP_4) | instskip(SKIP_1) | instid1(VALU_DEP_4)
	v_dual_add_f32 v27, v27, v35 :: v_dual_mov_b32 v52, v77
	v_fmac_f32_e32 v47, v121, v64
	v_dual_fma_f32 v35, v120, v64, -v59 :: v_dual_add_f32 v25, v25, v45
	s_delay_alu instid0(VALU_DEP_4) | instskip(NEXT) | instid1(VALU_DEP_4)
	v_fmac_f32_e32 v49, v123, v66
	v_dual_add_f32 v27, v27, v39 :: v_dual_fma_f32 v39, v122, v66, -v61
	v_dual_mul_f32 v144, v126, v71 :: v_dual_mul_f32 v51, v128, v73
	s_delay_alu instid0(VALU_DEP_4) | instskip(SKIP_1) | instid1(VALU_DEP_3)
	v_add_f32_e32 v25, v25, v47
	s_wait_loadcnt 0x4
	v_dual_add_f32 v27, v27, v35 :: v_dual_mov_b32 v56, v81
	v_fmac_f32_e32 v57, v125, v68
	s_delay_alu instid0(VALU_DEP_3) | instskip(NEXT) | instid1(VALU_DEP_3)
	v_dual_fma_f32 v29, v124, v68, -v29 :: v_dual_add_f32 v25, v25, v49
	v_add_f32_e32 v27, v27, v39
	v_dual_fmac_f32 v144, v127, v70 :: v_dual_fma_f32 v33, v126, v70, -v33
	v_fmac_f32_e32 v51, v129, v72
	s_delay_alu instid0(VALU_DEP_4) | instskip(NEXT) | instid1(VALU_DEP_4)
	v_dual_add_f32 v25, v25, v57 :: v_dual_fma_f32 v50, v128, v72, -v31
	v_add_f32_e32 v27, v27, v29
	v_pk_mul_f32 v[60:61], v[136:137], v[52:53] op_sel_hi:[1,0]
	v_pk_mul_f32 v[54:55], v[94:95], v[78:79] op_sel:[1,1] op_sel_hi:[0,1]
	s_delay_alu instid0(VALU_DEP_4)
	v_add_f32_e32 v63, v25, v144
	s_wait_loadcnt 0x3
	v_dual_mov_b32 v64, v85 :: v_dual_fmac_f32 v53, v91, v74
	v_add_f32_e32 v62, v27, v33
	v_pk_fma_f32 v[66:67], v[92:93], v[76:77], v[60:61] op_sel_hi:[1,0,1]
	v_fma_f32 v52, v90, v74, -v37
	v_pk_fma_f32 v[60:61], v[92:93], v[76:77], v[60:61] neg_lo:[0,0,1] neg_hi:[0,0,1]
	v_pk_mul_f32 v[56:57], v[138:139], v[56:57] op_sel_hi:[1,0]
	v_pk_add_f32 v[50:51], v[62:63], v[50:51]
	v_pk_fma_f32 v[62:63], v[94:95], v[78:79], v[54:55] op_sel_hi:[1,0,1]
	v_mov_b32_e32 v61, v67
	v_pk_fma_f32 v[54:55], v[94:95], v[78:79], v[54:55] neg_lo:[0,0,1] neg_hi:[0,0,1]
	v_pk_mul_f32 v[58:59], v[98:99], v[82:83] op_sel:[1,1] op_sel_hi:[0,1]
	v_pk_add_f32 v[50:51], v[50:51], v[52:53]
	v_mov_b32_e32 v55, v63
	v_pk_fma_f32 v[62:63], v[96:97], v[80:81], v[56:57] op_sel_hi:[1,0,1]
	v_pk_fma_f32 v[56:57], v[96:97], v[80:81], v[56:57] neg_lo:[0,0,1] neg_hi:[0,0,1]
	v_pk_mul_f32 v[64:65], v[140:141], v[64:65] op_sel_hi:[1,0]
	v_pk_add_f32 v[50:51], v[50:51], v[60:61]
	v_pk_fma_f32 v[60:61], v[98:99], v[82:83], v[58:59] op_sel_hi:[1,0,1]
	v_mov_b32_e32 v57, v63
	v_pk_fma_f32 v[58:59], v[98:99], v[82:83], v[58:59] neg_lo:[0,0,1] neg_hi:[0,0,1]
	s_wait_loadcnt 0x2
	v_pk_mul_f32 v[52:53], v[102:103], v[86:87] op_sel:[1,1] op_sel_hi:[0,1]
	v_pk_add_f32 v[50:51], v[50:51], v[54:55]
	v_dual_mov_b32 v54, v89 :: v_dual_mov_b32 v59, v61
	v_pk_fma_f32 v[60:61], v[100:101], v[84:85], v[64:65] op_sel_hi:[1,0,1]
	v_pk_fma_f32 v[62:63], v[100:101], v[84:85], v[64:65] neg_lo:[0,0,1] neg_hi:[0,0,1]
	s_delay_alu instid0(VALU_DEP_4) | instskip(SKIP_3) | instid1(VALU_DEP_4)
	v_pk_add_f32 v[50:51], v[50:51], v[56:57]
	v_pk_fma_f32 v[56:57], v[102:103], v[86:87], v[52:53] op_sel_hi:[1,0,1]
	v_pk_mul_f32 v[54:55], v[142:143], v[54:55] op_sel_hi:[1,0]
	v_dual_mov_b32 v63, v61 :: v_dual_ashrrev_i32 v25, 31, v24
	v_pk_add_f32 v[50:51], v[50:51], v[58:59]
	v_pk_fma_f32 v[52:53], v[102:103], v[86:87], v[52:53] neg_lo:[0,0,1] neg_hi:[0,0,1]
	v_dual_mov_b32 v53, v57 :: v_dual_ashrrev_i32 v27, 31, v26
	v_pk_fma_f32 v[56:57], v[104:105], v[88:89], v[54:55] op_sel_hi:[1,0,1]
	s_delay_alu instid0(VALU_DEP_4)
	v_pk_add_f32 v[50:51], v[50:51], v[62:63]
	s_wait_loadcnt_dscnt 0x100
	v_pk_mul_f32 v[58:59], v[134:135], v[130:131] op_sel:[1,1] op_sel_hi:[0,1]
	v_pk_fma_f32 v[54:55], v[104:105], v[88:89], v[54:55] neg_lo:[0,0,1] neg_hi:[0,0,1]
	v_dual_ashrrev_i32 v29, 31, v28 :: v_dual_mov_b32 v55, v57
	v_pk_add_f32 v[50:51], v[50:51], v[52:53]
	s_delay_alu instid0(VALU_DEP_4)
	v_pk_fma_f32 v[52:53], v[134:135], v[130:131], v[58:59] op_sel_hi:[1,0,1]
	v_pk_fma_f32 v[56:57], v[134:135], v[130:131], v[58:59] neg_lo:[0,0,1] neg_hi:[0,0,1]
	v_dual_ashrrev_i32 v31, 31, v30 :: v_dual_ashrrev_i32 v33, 31, v32
	v_ashrrev_i32_e32 v35, 31, v34
	v_pk_add_f32 v[50:51], v[50:51], v[54:55]
	v_dual_mov_b32 v57, v53 :: v_dual_ashrrev_i32 v37, 31, v36
	v_dual_ashrrev_i32 v39, 31, v38 :: v_dual_ashrrev_i32 v41, 31, v40
	v_ashrrev_i32_e32 v43, 31, v42
	s_delay_alu instid0(VALU_DEP_3) | instskip(SKIP_2) | instid1(VALU_DEP_2)
	v_pk_add_f32 v[50:51], v[50:51], v[56:57]
	v_dual_ashrrev_i32 v45, 31, v44 :: v_dual_ashrrev_i32 v47, 31, v46
	s_wait_loadcnt 0x0
	v_pk_add_f32 v[50:51], v[132:133], v[50:51] neg_lo:[0,1] neg_hi:[0,1]
	scratch_store_b64 off, v[50:51], off offset:8
	s_wait_xcnt 0x0
	v_cmpx_ne_u32_e32 0, v0
	s_cbranch_execz .LBB86_151
; %bb.150:
	scratch_load_b64 v[50:51], off, off
	v_mov_b64_e32 v[52:53], 0
	scratch_store_b64 off, v[52:53], off
	s_wait_loadcnt 0x0
	ds_store_b64 v1, v[50:51]
.LBB86_151:
	s_wait_xcnt 0x0
	s_or_b32 exec_lo, exec_lo, s0
	s_wait_storecnt_dscnt 0x0
	s_barrier_signal -1
	s_barrier_wait -1
	s_clause 0xb
	scratch_load_b128 v[50:53], off, off offset:8
	scratch_load_b128 v[54:57], off, off offset:24
	;; [unrolled: 1-line block ×11, first 2 shown]
	scratch_load_b64 v[0:1], off, off
	ds_load_2addr_b64 v[94:97], v48 offset0:39 offset1:40
	ds_load_2addr_b64 v[98:101], v48 offset0:41 offset1:42
	;; [unrolled: 1-line block ×11, first 2 shown]
	s_and_b32 vcc_lo, exec_lo, s12
	s_wait_dscnt 0xa
	v_dual_mov_b32 v48, v97 :: v_dual_mov_b32 v49, v96
	s_wait_dscnt 0x9
	v_dual_mov_b32 v138, v101 :: v_dual_mov_b32 v139, v100
	;; [unrolled: 2-line block ×4, first 2 shown]
	s_wait_loadcnt_dscnt 0xb06
	v_dual_mul_f32 v144, v110, v51 :: v_dual_mul_f32 v146, v112, v53
	v_dual_mul_f32 v51, v111, v51 :: v_dual_mul_f32 v53, v113, v53
	s_wait_loadcnt_dscnt 0x803
	v_dual_mul_f32 v152, v122, v63 :: v_dual_mul_f32 v153, v124, v65
	v_mul_f32_e32 v63, v123, v63
	s_delay_alu instid0(VALU_DEP_3)
	v_dual_fmac_f32 v144, v111, v50 :: v_dual_fma_f32 v50, v110, v50, -v51
	v_dual_mul_f32 v148, v114, v55 :: v_dual_mul_f32 v149, v116, v57
	v_dual_mul_f32 v55, v115, v55 :: v_dual_mul_f32 v57, v117, v57
	v_mul_f32_e32 v51, v125, v65
	v_dual_fmac_f32 v146, v113, v52 :: v_dual_fma_f32 v52, v112, v52, -v53
	v_dual_add_f32 v53, 0, v144 :: v_dual_add_f32 v50, 0, v50
	s_wait_loadcnt_dscnt 0x702
	v_mul_f32_e32 v65, v127, v67
	v_dual_fmac_f32 v148, v115, v54 :: v_dual_fma_f32 v54, v114, v54, -v55
	s_delay_alu instid0(VALU_DEP_3) | instskip(SKIP_2) | instid1(VALU_DEP_3)
	v_dual_add_f32 v53, v53, v146 :: v_dual_add_f32 v50, v50, v52
	v_dual_mul_f32 v150, v118, v59 :: v_dual_mul_f32 v151, v120, v61
	v_dual_mul_f32 v59, v119, v59 :: v_dual_mul_f32 v61, v121, v61
	v_dual_mul_f32 v55, v129, v69 :: v_dual_add_f32 v50, v50, v54
	v_fmac_f32_e32 v149, v117, v56
	v_fma_f32 v52, v116, v56, -v57
	v_dual_add_f32 v53, v53, v148 :: v_dual_fmac_f32 v150, v119, v58
	s_wait_loadcnt_dscnt 0x601
	v_dual_mul_f32 v56, v131, v71 :: v_dual_fma_f32 v54, v118, v58, -v59
	s_delay_alu instid0(VALU_DEP_3) | instskip(NEXT) | instid1(VALU_DEP_3)
	v_dual_add_f32 v50, v50, v52 :: v_dual_mul_f32 v57, v133, v73
	v_add_f32_e32 v53, v53, v149
	v_dual_fmac_f32 v151, v121, v60 :: v_dual_fma_f32 v52, v120, v60, -v61
	s_wait_loadcnt_dscnt 0x500
	v_mul_f32_e32 v60, v135, v75
	v_fmac_f32_e32 v152, v123, v62
	v_add_f32_e32 v53, v53, v150
	v_add_f32_e32 v50, v50, v54
	v_fma_f32 v54, v122, v62, -v63
	v_dual_mul_f32 v154, v126, v67 :: v_dual_mul_f32 v155, v128, v69
	s_delay_alu instid0(VALU_DEP_3) | instskip(SKIP_2) | instid1(VALU_DEP_3)
	v_dual_add_f32 v53, v53, v151 :: v_dual_add_f32 v50, v50, v52
	v_mul_f32_e32 v62, v137, v77
	v_dual_fmac_f32 v153, v125, v64 :: v_dual_fma_f32 v52, v124, v64, -v51
	v_dual_add_f32 v53, v53, v152 :: v_dual_add_f32 v54, v50, v54
	v_dual_fmac_f32 v154, v127, v66 :: v_dual_fma_f32 v58, v126, v66, -v65
	v_dual_mul_f32 v156, v130, v71 :: v_dual_mul_f32 v157, v132, v73
	s_delay_alu instid0(VALU_DEP_3)
	v_dual_add_f32 v53, v53, v153 :: v_dual_add_f32 v54, v54, v52
	s_wait_loadcnt 0x4
	v_dual_mov_b32 v52, v81 :: v_dual_fma_f32 v59, v128, v68, -v55
	v_dual_fmac_f32 v155, v129, v68 :: v_dual_fma_f32 v61, v130, v70, -v56
	s_wait_loadcnt 0x3
	v_dual_mov_b32 v56, v85 :: v_dual_add_f32 v58, v54, v58
	v_dual_add_f32 v53, v53, v154 :: v_dual_mul_f32 v145, v134, v75
	v_mul_f32_e32 v147, v136, v77
	v_dual_fma_f32 v57, v132, v72, -v57 :: v_dual_fma_f32 v144, v134, v74, -v60
	s_delay_alu instid0(VALU_DEP_4) | instskip(NEXT) | instid1(VALU_DEP_4)
	v_dual_add_f32 v58, v58, v59 :: v_dual_fmac_f32 v156, v131, v70
	v_add_f32_e32 v53, v53, v155
	v_fmac_f32_e32 v157, v133, v72
	v_pk_mul_f32 v[50:51], v[94:95], v[78:79] op_sel:[1,1] op_sel_hi:[0,1]
	s_delay_alu instid0(VALU_DEP_4) | instskip(NEXT) | instid1(VALU_DEP_4)
	v_dual_add_f32 v63, v58, v61 :: v_dual_fmac_f32 v145, v135, v74
	v_add_f32_e32 v53, v53, v156
	v_dual_fmac_f32 v147, v137, v76 :: v_dual_fma_f32 v146, v136, v76, -v62
	s_delay_alu instid0(VALU_DEP_3) | instskip(SKIP_1) | instid1(VALU_DEP_4)
	v_add_f32_e32 v60, v63, v57
	v_pk_fma_f32 v[62:63], v[94:95], v[78:79], v[50:51] op_sel_hi:[1,0,1]
	v_add_f32_e32 v61, v53, v157
	v_pk_mul_f32 v[48:49], v[48:49], v[52:53] op_sel_hi:[1,0]
	v_pk_fma_f32 v[50:51], v[94:95], v[78:79], v[50:51] neg_lo:[0,0,1] neg_hi:[0,0,1]
	v_pk_mul_f32 v[54:55], v[98:99], v[82:83] op_sel:[1,1] op_sel_hi:[0,1]
	v_mov_b32_e32 v51, v63
	v_pk_add_f32 v[52:53], v[60:61], v[144:145]
	s_wait_loadcnt 0x2
	v_mov_b32_e32 v60, v89
	v_pk_fma_f32 v[62:63], v[96:97], v[80:81], v[48:49] op_sel_hi:[1,0,1]
	v_pk_fma_f32 v[48:49], v[96:97], v[80:81], v[48:49] neg_lo:[0,0,1] neg_hi:[0,0,1]
	v_pk_fma_f32 v[64:65], v[98:99], v[82:83], v[54:55] op_sel_hi:[1,0,1]
	v_pk_add_f32 v[52:53], v[52:53], v[146:147]
	v_pk_mul_f32 v[56:57], v[138:139], v[56:57] op_sel_hi:[1,0]
	v_mov_b32_e32 v49, v63
	v_pk_fma_f32 v[54:55], v[98:99], v[82:83], v[54:55] neg_lo:[0,0,1] neg_hi:[0,0,1]
	v_pk_mul_f32 v[58:59], v[102:103], v[86:87] op_sel:[1,1] op_sel_hi:[0,1]
	v_pk_add_f32 v[50:51], v[52:53], v[50:51]
	v_mov_b32_e32 v55, v65
	v_pk_fma_f32 v[62:63], v[100:101], v[84:85], v[56:57] op_sel_hi:[1,0,1]
	v_pk_fma_f32 v[56:57], v[100:101], v[84:85], v[56:57] neg_lo:[0,0,1] neg_hi:[0,0,1]
	v_pk_mul_f32 v[60:61], v[140:141], v[60:61] op_sel_hi:[1,0]
	v_pk_add_f32 v[48:49], v[50:51], v[48:49]
	v_pk_fma_f32 v[50:51], v[102:103], v[86:87], v[58:59] op_sel_hi:[1,0,1]
	s_wait_loadcnt 0x1
	v_dual_mov_b32 v57, v63 :: v_dual_mov_b32 v50, v93
	v_pk_mul_f32 v[52:53], v[106:107], v[90:91] op_sel:[1,1] op_sel_hi:[0,1]
	v_pk_add_f32 v[48:49], v[48:49], v[54:55]
	v_pk_fma_f32 v[54:55], v[102:103], v[86:87], v[58:59] neg_lo:[0,0,1] neg_hi:[0,0,1]
	v_pk_fma_f32 v[58:59], v[104:105], v[88:89], v[60:61] op_sel_hi:[1,0,1]
	v_mov_b32_e32 v55, v51
	v_pk_fma_f32 v[60:61], v[104:105], v[88:89], v[60:61] neg_lo:[0,0,1] neg_hi:[0,0,1]
	v_pk_add_f32 v[48:49], v[48:49], v[56:57]
	v_pk_fma_f32 v[56:57], v[106:107], v[90:91], v[52:53] op_sel_hi:[1,0,1]
	v_pk_mul_f32 v[50:51], v[142:143], v[50:51] op_sel_hi:[1,0]
	v_mov_b32_e32 v61, v59
	v_pk_fma_f32 v[52:53], v[106:107], v[90:91], v[52:53] neg_lo:[0,0,1] neg_hi:[0,0,1]
	v_pk_add_f32 v[48:49], v[48:49], v[54:55]
	s_delay_alu instid0(VALU_DEP_4) | instskip(SKIP_2) | instid1(VALU_DEP_4)
	v_pk_fma_f32 v[54:55], v[108:109], v[92:93], v[50:51] op_sel_hi:[1,0,1]
	v_mov_b32_e32 v53, v57
	v_pk_fma_f32 v[50:51], v[108:109], v[92:93], v[50:51] neg_lo:[0,0,1] neg_hi:[0,0,1]
	v_pk_add_f32 v[48:49], v[48:49], v[60:61]
	s_delay_alu instid0(VALU_DEP_4) | instskip(NEXT) | instid1(VALU_DEP_2)
	v_mov_b32_e32 v51, v55
	v_pk_add_f32 v[48:49], v[48:49], v[52:53]
	s_delay_alu instid0(VALU_DEP_1) | instskip(SKIP_1) | instid1(VALU_DEP_1)
	v_pk_add_f32 v[48:49], v[48:49], v[50:51]
	s_wait_loadcnt 0x0
	v_pk_add_f32 v[0:1], v[0:1], v[48:49] neg_lo:[0,1] neg_hi:[0,1]
	scratch_store_b64 off, v[0:1], off
	s_cbranch_vccz .LBB86_196
; %bb.152:
	s_wait_xcnt 0x0
	v_mov_b32_e32 v0, 0
	global_load_b32 v1, v0, s[8:9] offset:84
	s_wait_loadcnt 0x0
	v_cmp_ne_u32_e32 vcc_lo, 22, v1
	s_cbranch_vccz .LBB86_154
; %bb.153:
	v_lshlrev_b32_e32 v1, 3, v1
	scratch_load_b64 v[48:49], v1, off offset:-8
	scratch_load_b64 v[50:51], off, off offset:168
	s_wait_loadcnt 0x1
	scratch_store_b64 off, v[48:49], off offset:168
	s_wait_loadcnt 0x0
	scratch_store_b64 v1, v[50:51], off offset:-8
.LBB86_154:
	global_load_b32 v0, v0, s[8:9] offset:80
	s_wait_loadcnt 0x0
	v_cmp_eq_u32_e32 vcc_lo, 21, v0
	s_cbranch_vccnz .LBB86_156
; %bb.155:
	s_wait_xcnt 0x0
	v_lshlrev_b32_e32 v0, 3, v0
	s_delay_alu instid0(VALU_DEP_1)
	v_mov_b32_e32 v50, v0
	scratch_load_b64 v[0:1], v50, off offset:-8
	scratch_load_b64 v[48:49], off, off offset:160
	s_wait_loadcnt 0x1
	scratch_store_b64 off, v[0:1], off offset:160
	s_wait_loadcnt 0x0
	scratch_store_b64 v50, v[48:49], off offset:-8
.LBB86_156:
	s_wait_xcnt 0x0
	v_mov_b32_e32 v0, 0
	global_load_b32 v1, v0, s[8:9] offset:76
	s_wait_loadcnt 0x0
	v_cmp_eq_u32_e32 vcc_lo, 20, v1
	s_cbranch_vccnz .LBB86_158
; %bb.157:
	v_lshlrev_b32_e32 v1, 3, v1
	scratch_load_b64 v[48:49], v1, off offset:-8
	scratch_load_b64 v[50:51], off, off offset:152
	s_wait_loadcnt 0x1
	scratch_store_b64 off, v[48:49], off offset:152
	s_wait_loadcnt 0x0
	scratch_store_b64 v1, v[50:51], off offset:-8
.LBB86_158:
	global_load_b32 v0, v0, s[8:9] offset:72
	s_wait_loadcnt 0x0
	v_cmp_eq_u32_e32 vcc_lo, 19, v0
	s_cbranch_vccnz .LBB86_160
; %bb.159:
	s_wait_xcnt 0x0
	v_lshlrev_b32_e32 v0, 3, v0
	s_delay_alu instid0(VALU_DEP_1)
	v_mov_b32_e32 v50, v0
	scratch_load_b64 v[0:1], v50, off offset:-8
	scratch_load_b64 v[48:49], off, off offset:144
	s_wait_loadcnt 0x1
	scratch_store_b64 off, v[0:1], off offset:144
	s_wait_loadcnt 0x0
	scratch_store_b64 v50, v[48:49], off offset:-8
.LBB86_160:
	s_wait_xcnt 0x0
	v_mov_b32_e32 v0, 0
	global_load_b32 v1, v0, s[8:9] offset:68
	s_wait_loadcnt 0x0
	v_cmp_eq_u32_e32 vcc_lo, 18, v1
	s_cbranch_vccnz .LBB86_162
; %bb.161:
	v_lshlrev_b32_e32 v1, 3, v1
	scratch_load_b64 v[48:49], v1, off offset:-8
	scratch_load_b64 v[50:51], off, off offset:136
	s_wait_loadcnt 0x1
	scratch_store_b64 off, v[48:49], off offset:136
	s_wait_loadcnt 0x0
	scratch_store_b64 v1, v[50:51], off offset:-8
.LBB86_162:
	;; [unrolled: 31-line block ×10, first 2 shown]
	global_load_b32 v48, v0, s[8:9]
	scratch_load_b64 v[0:1], off, off
	s_wait_loadcnt 0x1
	v_cmp_eq_u32_e32 vcc_lo, 1, v48
	s_cbranch_vccnz .LBB86_196
; %bb.195:
	v_lshlrev_b32_e32 v48, 3, v48
	s_delay_alu instid0(VALU_DEP_1)
	v_mov_b32_e32 v50, v48
	scratch_load_b64 v[48:49], v50, off offset:-8
	s_wait_loadcnt 0x0
	scratch_store_b64 off, v[48:49], off
	scratch_store_b64 v50, v[0:1], off offset:-8
	scratch_load_b64 v[0:1], off, off
.LBB86_196:
	s_wait_loadcnt 0x0
	flat_store_b64 v[2:3], v[0:1]
	scratch_load_b64 v[0:1], off, off offset:8
	v_lshl_add_u64 v[66:67], v[6:7], 3, s[2:3]
	v_lshl_add_u64 v[64:65], v[8:9], 3, s[2:3]
	;; [unrolled: 1-line block ×21, first 2 shown]
	s_wait_loadcnt 0x0
	flat_store_b64 v[4:5], v[0:1]
	scratch_load_b64 v[0:1], off, off offset:16
	s_wait_loadcnt 0x0
	flat_store_b64 v[66:67], v[0:1]
	scratch_load_b64 v[0:1], off, off offset:24
	;; [unrolled: 3-line block ×21, first 2 shown]
	s_wait_loadcnt 0x0
	flat_store_b64 v[6:7], v[0:1]
	s_sendmsg sendmsg(MSG_DEALLOC_VGPRS)
	s_endpgm
	.section	.rodata,"a",@progbits
	.p2align	6, 0x0
	.amdhsa_kernel _ZN9rocsolver6v33100L18getri_kernel_smallILi23E19rocblas_complex_numIfEPKPS3_EEvT1_iilPiilS8_bb
		.amdhsa_group_segment_fixed_size 376
		.amdhsa_private_segment_fixed_size 192
		.amdhsa_kernarg_size 60
		.amdhsa_user_sgpr_count 2
		.amdhsa_user_sgpr_dispatch_ptr 0
		.amdhsa_user_sgpr_queue_ptr 0
		.amdhsa_user_sgpr_kernarg_segment_ptr 1
		.amdhsa_user_sgpr_dispatch_id 0
		.amdhsa_user_sgpr_kernarg_preload_length 0
		.amdhsa_user_sgpr_kernarg_preload_offset 0
		.amdhsa_user_sgpr_private_segment_size 0
		.amdhsa_wavefront_size32 1
		.amdhsa_uses_dynamic_stack 0
		.amdhsa_enable_private_segment 1
		.amdhsa_system_sgpr_workgroup_id_x 1
		.amdhsa_system_sgpr_workgroup_id_y 0
		.amdhsa_system_sgpr_workgroup_id_z 0
		.amdhsa_system_sgpr_workgroup_info 0
		.amdhsa_system_vgpr_workitem_id 0
		.amdhsa_next_free_vgpr 158
		.amdhsa_next_free_sgpr 19
		.amdhsa_named_barrier_count 0
		.amdhsa_reserve_vcc 1
		.amdhsa_float_round_mode_32 0
		.amdhsa_float_round_mode_16_64 0
		.amdhsa_float_denorm_mode_32 3
		.amdhsa_float_denorm_mode_16_64 3
		.amdhsa_fp16_overflow 0
		.amdhsa_memory_ordered 1
		.amdhsa_forward_progress 1
		.amdhsa_inst_pref_size 213
		.amdhsa_round_robin_scheduling 0
		.amdhsa_exception_fp_ieee_invalid_op 0
		.amdhsa_exception_fp_denorm_src 0
		.amdhsa_exception_fp_ieee_div_zero 0
		.amdhsa_exception_fp_ieee_overflow 0
		.amdhsa_exception_fp_ieee_underflow 0
		.amdhsa_exception_fp_ieee_inexact 0
		.amdhsa_exception_int_div_zero 0
	.end_amdhsa_kernel
	.section	.text._ZN9rocsolver6v33100L18getri_kernel_smallILi23E19rocblas_complex_numIfEPKPS3_EEvT1_iilPiilS8_bb,"axG",@progbits,_ZN9rocsolver6v33100L18getri_kernel_smallILi23E19rocblas_complex_numIfEPKPS3_EEvT1_iilPiilS8_bb,comdat
.Lfunc_end86:
	.size	_ZN9rocsolver6v33100L18getri_kernel_smallILi23E19rocblas_complex_numIfEPKPS3_EEvT1_iilPiilS8_bb, .Lfunc_end86-_ZN9rocsolver6v33100L18getri_kernel_smallILi23E19rocblas_complex_numIfEPKPS3_EEvT1_iilPiilS8_bb
                                        ; -- End function
	.set _ZN9rocsolver6v33100L18getri_kernel_smallILi23E19rocblas_complex_numIfEPKPS3_EEvT1_iilPiilS8_bb.num_vgpr, 158
	.set _ZN9rocsolver6v33100L18getri_kernel_smallILi23E19rocblas_complex_numIfEPKPS3_EEvT1_iilPiilS8_bb.num_agpr, 0
	.set _ZN9rocsolver6v33100L18getri_kernel_smallILi23E19rocblas_complex_numIfEPKPS3_EEvT1_iilPiilS8_bb.numbered_sgpr, 19
	.set _ZN9rocsolver6v33100L18getri_kernel_smallILi23E19rocblas_complex_numIfEPKPS3_EEvT1_iilPiilS8_bb.num_named_barrier, 0
	.set _ZN9rocsolver6v33100L18getri_kernel_smallILi23E19rocblas_complex_numIfEPKPS3_EEvT1_iilPiilS8_bb.private_seg_size, 192
	.set _ZN9rocsolver6v33100L18getri_kernel_smallILi23E19rocblas_complex_numIfEPKPS3_EEvT1_iilPiilS8_bb.uses_vcc, 1
	.set _ZN9rocsolver6v33100L18getri_kernel_smallILi23E19rocblas_complex_numIfEPKPS3_EEvT1_iilPiilS8_bb.uses_flat_scratch, 1
	.set _ZN9rocsolver6v33100L18getri_kernel_smallILi23E19rocblas_complex_numIfEPKPS3_EEvT1_iilPiilS8_bb.has_dyn_sized_stack, 0
	.set _ZN9rocsolver6v33100L18getri_kernel_smallILi23E19rocblas_complex_numIfEPKPS3_EEvT1_iilPiilS8_bb.has_recursion, 0
	.set _ZN9rocsolver6v33100L18getri_kernel_smallILi23E19rocblas_complex_numIfEPKPS3_EEvT1_iilPiilS8_bb.has_indirect_call, 0
	.section	.AMDGPU.csdata,"",@progbits
; Kernel info:
; codeLenInByte = 27168
; TotalNumSgprs: 21
; NumVgprs: 158
; ScratchSize: 192
; MemoryBound: 0
; FloatMode: 240
; IeeeMode: 1
; LDSByteSize: 376 bytes/workgroup (compile time only)
; SGPRBlocks: 0
; VGPRBlocks: 9
; NumSGPRsForWavesPerEU: 21
; NumVGPRsForWavesPerEU: 158
; NamedBarCnt: 0
; Occupancy: 6
; WaveLimiterHint : 1
; COMPUTE_PGM_RSRC2:SCRATCH_EN: 1
; COMPUTE_PGM_RSRC2:USER_SGPR: 2
; COMPUTE_PGM_RSRC2:TRAP_HANDLER: 0
; COMPUTE_PGM_RSRC2:TGID_X_EN: 1
; COMPUTE_PGM_RSRC2:TGID_Y_EN: 0
; COMPUTE_PGM_RSRC2:TGID_Z_EN: 0
; COMPUTE_PGM_RSRC2:TIDIG_COMP_CNT: 0
	.section	.text._ZN9rocsolver6v33100L18getri_kernel_smallILi24E19rocblas_complex_numIfEPKPS3_EEvT1_iilPiilS8_bb,"axG",@progbits,_ZN9rocsolver6v33100L18getri_kernel_smallILi24E19rocblas_complex_numIfEPKPS3_EEvT1_iilPiilS8_bb,comdat
	.globl	_ZN9rocsolver6v33100L18getri_kernel_smallILi24E19rocblas_complex_numIfEPKPS3_EEvT1_iilPiilS8_bb ; -- Begin function _ZN9rocsolver6v33100L18getri_kernel_smallILi24E19rocblas_complex_numIfEPKPS3_EEvT1_iilPiilS8_bb
	.p2align	8
	.type	_ZN9rocsolver6v33100L18getri_kernel_smallILi24E19rocblas_complex_numIfEPKPS3_EEvT1_iilPiilS8_bb,@function
_ZN9rocsolver6v33100L18getri_kernel_smallILi24E19rocblas_complex_numIfEPKPS3_EEvT1_iilPiilS8_bb: ; @_ZN9rocsolver6v33100L18getri_kernel_smallILi24E19rocblas_complex_numIfEPKPS3_EEvT1_iilPiilS8_bb
; %bb.0:
	s_mov_b32 s2, exec_lo
	v_cmpx_gt_u32_e32 24, v0
	s_cbranch_execz .LBB87_110
; %bb.1:
	s_clause 0x1
	s_load_b32 s13, s[0:1], 0x38
	s_load_b64 s[2:3], s[0:1], 0x0
	s_getreg_b32 s6, hwreg(HW_REG_IB_STS2, 6, 4)
	s_wait_kmcnt 0x0
	s_bitcmp1_b32 s13, 8
	s_cselect_b32 s12, -1, 0
	s_bfe_u32 s4, ttmp6, 0x4000c
	s_and_b32 s5, ttmp6, 15
	s_add_co_i32 s4, s4, 1
	s_delay_alu instid0(SALU_CYCLE_1) | instskip(NEXT) | instid1(SALU_CYCLE_1)
	s_mul_i32 s4, ttmp9, s4
	s_add_co_i32 s5, s5, s4
	s_cmp_eq_u32 s6, 0
	s_cselect_b32 s10, ttmp9, s5
	s_load_b128 s[4:7], s[0:1], 0x28
	s_ashr_i32 s11, s10, 31
	s_delay_alu instid0(SALU_CYCLE_1) | instskip(NEXT) | instid1(SALU_CYCLE_1)
	s_lshl_b64 s[8:9], s[10:11], 3
	s_add_nc_u64 s[2:3], s[2:3], s[8:9]
	s_bfe_u32 s8, s13, 0x10008
	s_load_b64 s[2:3], s[2:3], 0x0
	s_cmp_eq_u32 s8, 0
                                        ; implicit-def: $sgpr8_sgpr9
	s_cbranch_scc1 .LBB87_3
; %bb.2:
	s_load_b96 s[16:18], s[0:1], 0x18
	s_wait_kmcnt 0x0
	s_mul_u64 s[4:5], s[4:5], s[10:11]
	s_delay_alu instid0(SALU_CYCLE_1) | instskip(SKIP_4) | instid1(SALU_CYCLE_1)
	s_lshl_b64 s[4:5], s[4:5], 2
	s_ashr_i32 s9, s18, 31
	s_mov_b32 s8, s18
	s_add_nc_u64 s[4:5], s[16:17], s[4:5]
	s_lshl_b64 s[8:9], s[8:9], 2
	s_add_nc_u64 s[8:9], s[4:5], s[8:9]
.LBB87_3:
	s_wait_kmcnt 0x0
	s_clause 0x1
	s_load_b64 s[4:5], s[0:1], 0x8
	s_load_b32 s13, s[0:1], 0x38
	v_dual_mov_b32 v51, 0 :: v_dual_lshlrev_b32 v50, 3, v0
	s_wait_kmcnt 0x0
	s_ashr_i32 s1, s4, 31
	s_mov_b32 s0, s4
	s_delay_alu instid0(SALU_CYCLE_1) | instskip(NEXT) | instid1(SALU_CYCLE_1)
	s_lshl_b64 s[0:1], s[0:1], 3
	s_add_nc_u64 s[2:3], s[2:3], s[0:1]
	s_ashr_i32 s1, s5, 31
	flat_load_b64 v[6:7], v0, s[2:3] scale_offset
	v_add_nc_u64_e32 v[2:3], s[2:3], v[50:51]
	s_mov_b32 s0, s5
	s_bitcmp0_b32 s13, 0
	s_delay_alu instid0(VALU_DEP_1)
	v_lshl_add_u64 v[4:5], s[0:1], 3, v[2:3]
	s_mov_b32 s1, -1
	s_wait_loadcnt_dscnt 0x0
	scratch_store_b64 off, v[6:7], off
	flat_load_b64 v[8:9], v[4:5]
	s_wait_xcnt 0x1
	v_add3_u32 v6, s5, s5, v0
	s_wait_loadcnt_dscnt 0x0
	scratch_store_b64 off, v[8:9], off offset:8
	flat_load_b64 v[10:11], v6, s[2:3] scale_offset
	s_wait_xcnt 0x1
	v_add_nc_u32_e32 v8, s5, v6
	s_wait_loadcnt_dscnt 0x0
	scratch_store_b64 off, v[10:11], off offset:16
	flat_load_b64 v[12:13], v8, s[2:3] scale_offset
	s_wait_xcnt 0x1
	v_add_nc_u32_e32 v10, s5, v8
	;; [unrolled: 5-line block ×21, first 2 shown]
	s_wait_loadcnt_dscnt 0x0
	scratch_store_b64 off, v[52:53], off offset:176
	flat_load_b64 v[52:53], v48, s[2:3] scale_offset
	s_wait_loadcnt_dscnt 0x0
	scratch_store_b64 off, v[52:53], off offset:184
	s_cbranch_scc1 .LBB87_108
; %bb.4:
	v_cmp_eq_u32_e64 s0, 0, v0
	s_wait_xcnt 0x0
	s_and_saveexec_b32 s1, s0
; %bb.5:
	v_mov_b32_e32 v1, 0
	ds_store_b32 v1, v1 offset:384
; %bb.6:
	s_or_b32 exec_lo, exec_lo, s1
	s_wait_storecnt_dscnt 0x0
	s_barrier_signal -1
	s_barrier_wait -1
	scratch_load_b64 v[52:53], v0, off scale_offset
	s_wait_loadcnt 0x0
	v_cmp_eq_f32_e32 vcc_lo, 0, v52
	v_cmp_eq_f32_e64 s1, 0, v53
	s_and_b32 s1, vcc_lo, s1
	s_delay_alu instid0(SALU_CYCLE_1)
	s_and_saveexec_b32 s4, s1
	s_cbranch_execz .LBB87_10
; %bb.7:
	v_mov_b32_e32 v1, 0
	s_mov_b32 s5, 0
	ds_load_b32 v7, v1 offset:384
	s_wait_dscnt 0x0
	v_readfirstlane_b32 s1, v7
	v_add_nc_u32_e32 v7, 1, v0
	s_cmp_eq_u32 s1, 0
	s_delay_alu instid0(VALU_DEP_1) | instskip(SKIP_1) | instid1(SALU_CYCLE_1)
	v_cmp_gt_i32_e32 vcc_lo, s1, v7
	s_cselect_b32 s13, -1, 0
	s_or_b32 s13, s13, vcc_lo
	s_delay_alu instid0(SALU_CYCLE_1)
	s_and_b32 exec_lo, exec_lo, s13
	s_cbranch_execz .LBB87_10
; %bb.8:
	v_mov_b32_e32 v9, s1
.LBB87_9:                               ; =>This Inner Loop Header: Depth=1
	ds_cmpstore_rtn_b32 v9, v1, v7, v9 offset:384
	s_wait_dscnt 0x0
	v_cmp_ne_u32_e32 vcc_lo, 0, v9
	v_cmp_le_i32_e64 s1, v9, v7
	s_and_b32 s1, vcc_lo, s1
	s_delay_alu instid0(SALU_CYCLE_1) | instskip(NEXT) | instid1(SALU_CYCLE_1)
	s_and_b32 s1, exec_lo, s1
	s_or_b32 s5, s1, s5
	s_delay_alu instid0(SALU_CYCLE_1)
	s_and_not1_b32 exec_lo, exec_lo, s5
	s_cbranch_execnz .LBB87_9
.LBB87_10:
	s_or_b32 exec_lo, exec_lo, s4
	v_mov_b32_e32 v1, 0
	s_barrier_signal -1
	s_barrier_wait -1
	ds_load_b32 v7, v1 offset:384
	s_and_saveexec_b32 s1, s0
	s_cbranch_execz .LBB87_12
; %bb.11:
	s_lshl_b64 s[4:5], s[10:11], 2
	s_delay_alu instid0(SALU_CYCLE_1)
	s_add_nc_u64 s[4:5], s[6:7], s[4:5]
	s_wait_dscnt 0x0
	global_store_b32 v1, v7, s[4:5]
.LBB87_12:
	s_wait_xcnt 0x0
	s_or_b32 exec_lo, exec_lo, s1
	s_wait_dscnt 0x0
	v_cmp_ne_u32_e32 vcc_lo, 0, v7
	s_mov_b32 s1, 0
	s_cbranch_vccnz .LBB87_108
; %bb.13:
	v_lshl_add_u32 v7, v0, 3, 0
                                        ; implicit-def: $vgpr55
                                        ; implicit-def: $vgpr56
	scratch_load_b64 v[52:53], v7, off
	s_wait_loadcnt 0x0
	v_cmp_ngt_f32_e64 s1, |v52|, |v53|
	s_wait_xcnt 0x0
	s_and_saveexec_b32 s4, s1
	s_delay_alu instid0(SALU_CYCLE_1)
	s_xor_b32 s1, exec_lo, s4
	s_cbranch_execz .LBB87_15
; %bb.14:
	v_div_scale_f32 v1, null, v53, v53, v52
	v_div_scale_f32 v13, vcc_lo, v52, v53, v52
	s_delay_alu instid0(VALU_DEP_2) | instskip(SKIP_1) | instid1(TRANS32_DEP_1)
	v_rcp_f32_e32 v9, v1
	v_nop
	v_fma_f32 v11, -v1, v9, 1.0
	s_delay_alu instid0(VALU_DEP_1) | instskip(NEXT) | instid1(VALU_DEP_1)
	v_fmac_f32_e32 v9, v11, v9
	v_mul_f32_e32 v11, v13, v9
	s_delay_alu instid0(VALU_DEP_1) | instskip(NEXT) | instid1(VALU_DEP_1)
	v_fma_f32 v15, -v1, v11, v13
	v_fmac_f32_e32 v11, v15, v9
	s_delay_alu instid0(VALU_DEP_1) | instskip(NEXT) | instid1(VALU_DEP_1)
	v_fma_f32 v1, -v1, v11, v13
	v_div_fmas_f32 v1, v1, v9, v11
	s_delay_alu instid0(VALU_DEP_1) | instskip(NEXT) | instid1(VALU_DEP_1)
	v_div_fixup_f32 v1, v1, v53, v52
	v_fmac_f32_e32 v53, v52, v1
	s_delay_alu instid0(VALU_DEP_1) | instskip(NEXT) | instid1(VALU_DEP_1)
	v_div_scale_f32 v9, null, v53, v53, -1.0
	v_rcp_f32_e32 v11, v9
	v_nop
	s_delay_alu instid0(TRANS32_DEP_1) | instskip(NEXT) | instid1(VALU_DEP_1)
	v_fma_f32 v13, -v9, v11, 1.0
	v_fmac_f32_e32 v11, v13, v11
	v_div_scale_f32 v13, vcc_lo, -1.0, v53, -1.0
	s_delay_alu instid0(VALU_DEP_1) | instskip(NEXT) | instid1(VALU_DEP_1)
	v_mul_f32_e32 v15, v13, v11
	v_fma_f32 v17, -v9, v15, v13
	s_delay_alu instid0(VALU_DEP_1) | instskip(NEXT) | instid1(VALU_DEP_1)
	v_fmac_f32_e32 v15, v17, v11
	v_fma_f32 v9, -v9, v15, v13
	s_delay_alu instid0(VALU_DEP_1) | instskip(NEXT) | instid1(VALU_DEP_1)
	v_div_fmas_f32 v9, v9, v11, v15
	v_div_fixup_f32 v55, v9, v53, -1.0
                                        ; implicit-def: $vgpr52_vgpr53
	s_delay_alu instid0(VALU_DEP_1) | instskip(NEXT) | instid1(VALU_DEP_1)
	v_mul_f32_e32 v56, v1, v55
	v_xor_b32_e32 v54, 0x80000000, v56
.LBB87_15:
	s_and_not1_saveexec_b32 s1, s1
	s_cbranch_execz .LBB87_17
; %bb.16:
	v_div_scale_f32 v1, null, v52, v52, v53
	v_div_scale_f32 v13, vcc_lo, v53, v52, v53
	s_delay_alu instid0(VALU_DEP_2) | instskip(SKIP_1) | instid1(TRANS32_DEP_1)
	v_rcp_f32_e32 v9, v1
	v_nop
	v_fma_f32 v11, -v1, v9, 1.0
	s_delay_alu instid0(VALU_DEP_1) | instskip(NEXT) | instid1(VALU_DEP_1)
	v_fmac_f32_e32 v9, v11, v9
	v_mul_f32_e32 v11, v13, v9
	s_delay_alu instid0(VALU_DEP_1) | instskip(NEXT) | instid1(VALU_DEP_1)
	v_fma_f32 v15, -v1, v11, v13
	v_fmac_f32_e32 v11, v15, v9
	s_delay_alu instid0(VALU_DEP_1) | instskip(NEXT) | instid1(VALU_DEP_1)
	v_fma_f32 v1, -v1, v11, v13
	v_div_fmas_f32 v1, v1, v9, v11
	s_delay_alu instid0(VALU_DEP_1) | instskip(NEXT) | instid1(VALU_DEP_1)
	v_div_fixup_f32 v1, v1, v52, v53
	v_fmac_f32_e32 v52, v53, v1
	s_delay_alu instid0(VALU_DEP_1) | instskip(SKIP_1) | instid1(VALU_DEP_2)
	v_div_scale_f32 v9, null, v52, v52, 1.0
	v_div_scale_f32 v15, vcc_lo, 1.0, v52, 1.0
	v_rcp_f32_e32 v11, v9
	v_nop
	s_delay_alu instid0(TRANS32_DEP_1) | instskip(NEXT) | instid1(VALU_DEP_1)
	v_fma_f32 v13, -v9, v11, 1.0
	v_fmac_f32_e32 v11, v13, v11
	s_delay_alu instid0(VALU_DEP_1) | instskip(NEXT) | instid1(VALU_DEP_1)
	v_mul_f32_e32 v13, v15, v11
	v_fma_f32 v17, -v9, v13, v15
	s_delay_alu instid0(VALU_DEP_1) | instskip(NEXT) | instid1(VALU_DEP_1)
	v_fmac_f32_e32 v13, v17, v11
	v_fma_f32 v9, -v9, v13, v15
	s_delay_alu instid0(VALU_DEP_1) | instskip(NEXT) | instid1(VALU_DEP_1)
	v_div_fmas_f32 v9, v9, v11, v13
	v_div_fixup_f32 v54, v9, v52, 1.0
	s_delay_alu instid0(VALU_DEP_1)
	v_xor_b32_e32 v56, 0x80000000, v54
	v_mul_f32_e64 v55, v1, -v54
.LBB87_17:
	s_or_b32 exec_lo, exec_lo, s1
	scratch_store_b64 v7, v[54:55], off
	scratch_load_b64 v[52:53], off, off offset:8
	v_xor_b32_e32 v57, 0x80000000, v55
	v_add_nc_u32_e32 v1, 0xc0, v50
	s_wait_loadcnt 0x0
	ds_store_2addr_b64 v50, v[56:57], v[52:53] offset1:24
	s_wait_storecnt_dscnt 0x0
	s_barrier_signal -1
	s_barrier_wait -1
	s_wait_xcnt 0x0
	s_and_saveexec_b32 s1, s0
	s_cbranch_execz .LBB87_19
; %bb.18:
	scratch_load_b64 v[52:53], v7, off
	ds_load_b64 v[54:55], v1
	s_wait_loadcnt_dscnt 0x0
	v_pk_mul_f32 v[58:59], v[54:55], v[52:53] op_sel:[1,1] op_sel_hi:[0,1]
	s_delay_alu instid0(VALU_DEP_1) | instskip(SKIP_2) | instid1(VALU_DEP_3)
	v_pk_fma_f32 v[60:61], v[54:55], v[52:53], v[58:59] op_sel_hi:[1,0,1]
	v_mov_b32_e32 v9, 0
	v_pk_fma_f32 v[52:53], v[54:55], v[52:53], v[58:59] neg_lo:[0,0,1] neg_hi:[0,0,1]
	v_mov_b32_e32 v53, v61
	ds_load_b64 v[56:57], v9 offset:8
	v_pk_add_f32 v[52:53], v[52:53], 0 op_sel_hi:[1,0]
	s_wait_dscnt 0x0
	s_delay_alu instid0(VALU_DEP_1) | instskip(NEXT) | instid1(VALU_DEP_1)
	v_pk_mul_f32 v[54:55], v[52:53], v[56:57] op_sel:[1,1] op_sel_hi:[0,1]
	v_pk_fma_f32 v[58:59], v[52:53], v[56:57], v[54:55] op_sel_hi:[1,0,1]
	v_pk_fma_f32 v[52:53], v[52:53], v[56:57], v[54:55] neg_lo:[0,0,1] neg_hi:[0,0,1]
	s_delay_alu instid0(VALU_DEP_2)
	v_mov_b32_e32 v53, v59
	scratch_store_b64 off, v[52:53], off offset:8
.LBB87_19:
	s_wait_xcnt 0x0
	s_or_b32 exec_lo, exec_lo, s1
	s_wait_storecnt 0x0
	s_barrier_signal -1
	s_barrier_wait -1
	scratch_load_b64 v[52:53], off, off offset:16
	s_mov_b32 s1, exec_lo
	s_wait_loadcnt 0x0
	ds_store_b64 v1, v[52:53]
	s_wait_dscnt 0x0
	s_barrier_signal -1
	s_barrier_wait -1
	v_cmpx_gt_u32_e32 2, v0
	s_cbranch_execz .LBB87_23
; %bb.20:
	scratch_load_b64 v[52:53], v7, off
	ds_load_b64 v[54:55], v1
	s_wait_loadcnt_dscnt 0x0
	v_pk_mul_f32 v[56:57], v[54:55], v[52:53] op_sel:[1,1] op_sel_hi:[0,1]
	s_delay_alu instid0(VALU_DEP_1) | instskip(SKIP_1) | instid1(VALU_DEP_2)
	v_pk_fma_f32 v[58:59], v[54:55], v[52:53], v[56:57] op_sel_hi:[1,0,1]
	v_pk_fma_f32 v[52:53], v[54:55], v[52:53], v[56:57] neg_lo:[0,0,1] neg_hi:[0,0,1]
	v_mov_b32_e32 v53, v59
	s_delay_alu instid0(VALU_DEP_1)
	v_pk_add_f32 v[52:53], v[52:53], 0 op_sel_hi:[1,0]
	s_and_saveexec_b32 s4, s0
	s_cbranch_execz .LBB87_22
; %bb.21:
	scratch_load_b64 v[54:55], off, off offset:8
	v_mov_b32_e32 v7, 0
	ds_load_b64 v[56:57], v7 offset:200
	s_wait_loadcnt_dscnt 0x0
	v_pk_mul_f32 v[58:59], v[56:57], v[54:55] op_sel:[1,1] op_sel_hi:[0,1]
	s_delay_alu instid0(VALU_DEP_1) | instskip(SKIP_1) | instid1(VALU_DEP_2)
	v_pk_fma_f32 v[60:61], v[56:57], v[54:55], v[58:59] op_sel_hi:[1,0,1]
	v_pk_fma_f32 v[54:55], v[56:57], v[54:55], v[58:59] neg_lo:[0,0,1] neg_hi:[0,0,1]
	v_mov_b32_e32 v55, v61
	s_delay_alu instid0(VALU_DEP_1)
	v_pk_add_f32 v[52:53], v[52:53], v[54:55]
.LBB87_22:
	s_or_b32 exec_lo, exec_lo, s4
	v_mov_b32_e32 v7, 0
	ds_load_b64 v[54:55], v7 offset:16
	s_wait_dscnt 0x0
	v_pk_mul_f32 v[56:57], v[52:53], v[54:55] op_sel:[1,1] op_sel_hi:[0,1]
	s_delay_alu instid0(VALU_DEP_1) | instskip(SKIP_1) | instid1(VALU_DEP_2)
	v_pk_fma_f32 v[58:59], v[52:53], v[54:55], v[56:57] op_sel_hi:[1,0,1]
	v_pk_fma_f32 v[52:53], v[52:53], v[54:55], v[56:57] neg_lo:[0,0,1] neg_hi:[0,0,1]
	v_mov_b32_e32 v53, v59
	scratch_store_b64 off, v[52:53], off offset:16
.LBB87_23:
	s_wait_xcnt 0x0
	s_or_b32 exec_lo, exec_lo, s1
	s_wait_storecnt 0x0
	s_barrier_signal -1
	s_barrier_wait -1
	scratch_load_b64 v[52:53], off, off offset:24
	v_add_nc_u32_e32 v7, -1, v0
	s_mov_b32 s0, exec_lo
	s_wait_loadcnt 0x0
	ds_store_b64 v1, v[52:53]
	s_wait_dscnt 0x0
	s_barrier_signal -1
	s_barrier_wait -1
	v_cmpx_gt_u32_e32 3, v0
	s_cbranch_execz .LBB87_27
; %bb.24:
	v_dual_mov_b32 v52, 0 :: v_dual_add_nc_u32 v9, -1, v0
	v_add_nc_u32_e32 v11, 0xc0, v50
	v_mov_b32_e32 v13, v50
	s_mov_b32 s1, 0
	s_delay_alu instid0(VALU_DEP_3)
	v_mov_b32_e32 v53, v52
.LBB87_25:                              ; =>This Inner Loop Header: Depth=1
	scratch_load_b64 v[54:55], v13, off
	ds_load_b64 v[56:57], v11
	s_wait_xcnt 0x0
	v_dual_add_nc_u32 v11, 8, v11 :: v_dual_add_nc_u32 v13, 8, v13
	s_wait_loadcnt_dscnt 0x0
	v_pk_mul_f32 v[58:59], v[56:57], v[54:55] op_sel:[1,1] op_sel_hi:[0,1]
	s_delay_alu instid0(VALU_DEP_1) | instskip(SKIP_2) | instid1(VALU_DEP_3)
	v_pk_fma_f32 v[60:61], v[56:57], v[54:55], v[58:59] op_sel_hi:[1,0,1]
	v_add_nc_u32_e32 v9, 1, v9
	v_pk_fma_f32 v[54:55], v[56:57], v[54:55], v[58:59] neg_lo:[0,0,1] neg_hi:[0,0,1]
	v_mov_b32_e32 v55, v61
	s_delay_alu instid0(VALU_DEP_3) | instskip(NEXT) | instid1(VALU_DEP_2)
	v_cmp_lt_u32_e32 vcc_lo, 1, v9
	v_pk_add_f32 v[52:53], v[52:53], v[54:55]
	s_or_b32 s1, vcc_lo, s1
	s_delay_alu instid0(SALU_CYCLE_1)
	s_and_not1_b32 exec_lo, exec_lo, s1
	s_cbranch_execnz .LBB87_25
; %bb.26:
	s_or_b32 exec_lo, exec_lo, s1
	v_mov_b32_e32 v9, 0
	ds_load_b64 v[54:55], v9 offset:24
	s_wait_dscnt 0x0
	v_pk_mul_f32 v[56:57], v[52:53], v[54:55] op_sel:[1,1] op_sel_hi:[0,1]
	s_delay_alu instid0(VALU_DEP_1) | instskip(SKIP_1) | instid1(VALU_DEP_2)
	v_pk_fma_f32 v[58:59], v[52:53], v[54:55], v[56:57] op_sel_hi:[1,0,1]
	v_pk_fma_f32 v[52:53], v[52:53], v[54:55], v[56:57] neg_lo:[0,0,1] neg_hi:[0,0,1]
	v_mov_b32_e32 v53, v59
	scratch_store_b64 off, v[52:53], off offset:24
.LBB87_27:
	s_wait_xcnt 0x0
	s_or_b32 exec_lo, exec_lo, s0
	s_wait_storecnt 0x0
	s_barrier_signal -1
	s_barrier_wait -1
	scratch_load_b64 v[52:53], off, off offset:32
	s_mov_b32 s0, exec_lo
	s_wait_loadcnt 0x0
	ds_store_b64 v1, v[52:53]
	s_wait_dscnt 0x0
	s_barrier_signal -1
	s_barrier_wait -1
	v_cmpx_gt_u32_e32 4, v0
	s_cbranch_execz .LBB87_31
; %bb.28:
	v_dual_mov_b32 v52, 0 :: v_dual_add_nc_u32 v9, -1, v0
	v_add_nc_u32_e32 v11, 0xc0, v50
	v_mov_b32_e32 v13, v50
	s_mov_b32 s1, 0
	s_delay_alu instid0(VALU_DEP_3)
	v_mov_b32_e32 v53, v52
.LBB87_29:                              ; =>This Inner Loop Header: Depth=1
	scratch_load_b64 v[54:55], v13, off
	ds_load_b64 v[56:57], v11
	s_wait_xcnt 0x0
	v_dual_add_nc_u32 v11, 8, v11 :: v_dual_add_nc_u32 v13, 8, v13
	s_wait_loadcnt_dscnt 0x0
	v_pk_mul_f32 v[58:59], v[56:57], v[54:55] op_sel:[1,1] op_sel_hi:[0,1]
	s_delay_alu instid0(VALU_DEP_1) | instskip(SKIP_2) | instid1(VALU_DEP_3)
	v_pk_fma_f32 v[60:61], v[56:57], v[54:55], v[58:59] op_sel_hi:[1,0,1]
	v_add_nc_u32_e32 v9, 1, v9
	v_pk_fma_f32 v[54:55], v[56:57], v[54:55], v[58:59] neg_lo:[0,0,1] neg_hi:[0,0,1]
	v_mov_b32_e32 v55, v61
	s_delay_alu instid0(VALU_DEP_3) | instskip(NEXT) | instid1(VALU_DEP_2)
	v_cmp_lt_u32_e32 vcc_lo, 2, v9
	v_pk_add_f32 v[52:53], v[52:53], v[54:55]
	s_or_b32 s1, vcc_lo, s1
	s_delay_alu instid0(SALU_CYCLE_1)
	s_and_not1_b32 exec_lo, exec_lo, s1
	s_cbranch_execnz .LBB87_29
; %bb.30:
	s_or_b32 exec_lo, exec_lo, s1
	v_mov_b32_e32 v9, 0
	ds_load_b64 v[54:55], v9 offset:32
	s_wait_dscnt 0x0
	v_pk_mul_f32 v[56:57], v[52:53], v[54:55] op_sel:[1,1] op_sel_hi:[0,1]
	s_delay_alu instid0(VALU_DEP_1) | instskip(SKIP_1) | instid1(VALU_DEP_2)
	v_pk_fma_f32 v[58:59], v[52:53], v[54:55], v[56:57] op_sel_hi:[1,0,1]
	v_pk_fma_f32 v[52:53], v[52:53], v[54:55], v[56:57] neg_lo:[0,0,1] neg_hi:[0,0,1]
	v_mov_b32_e32 v53, v59
	scratch_store_b64 off, v[52:53], off offset:32
.LBB87_31:
	s_wait_xcnt 0x0
	s_or_b32 exec_lo, exec_lo, s0
	s_wait_storecnt 0x0
	s_barrier_signal -1
	s_barrier_wait -1
	scratch_load_b64 v[52:53], off, off offset:40
	;; [unrolled: 52-line block ×19, first 2 shown]
	s_mov_b32 s0, exec_lo
	s_wait_loadcnt 0x0
	ds_store_b64 v1, v[52:53]
	s_wait_dscnt 0x0
	s_barrier_signal -1
	s_barrier_wait -1
	v_cmpx_gt_u32_e32 22, v0
	s_cbranch_execz .LBB87_103
; %bb.100:
	v_dual_mov_b32 v52, 0 :: v_dual_add_nc_u32 v9, -1, v0
	v_add_nc_u32_e32 v11, 0xc0, v50
	v_mov_b32_e32 v13, v50
	s_mov_b32 s1, 0
	s_delay_alu instid0(VALU_DEP_3)
	v_mov_b32_e32 v53, v52
.LBB87_101:                             ; =>This Inner Loop Header: Depth=1
	scratch_load_b64 v[54:55], v13, off
	ds_load_b64 v[56:57], v11
	s_wait_xcnt 0x0
	v_dual_add_nc_u32 v11, 8, v11 :: v_dual_add_nc_u32 v13, 8, v13
	s_wait_loadcnt_dscnt 0x0
	v_pk_mul_f32 v[58:59], v[56:57], v[54:55] op_sel:[1,1] op_sel_hi:[0,1]
	s_delay_alu instid0(VALU_DEP_1) | instskip(SKIP_2) | instid1(VALU_DEP_3)
	v_pk_fma_f32 v[60:61], v[56:57], v[54:55], v[58:59] op_sel_hi:[1,0,1]
	v_add_nc_u32_e32 v9, 1, v9
	v_pk_fma_f32 v[54:55], v[56:57], v[54:55], v[58:59] neg_lo:[0,0,1] neg_hi:[0,0,1]
	v_mov_b32_e32 v55, v61
	s_delay_alu instid0(VALU_DEP_3) | instskip(NEXT) | instid1(VALU_DEP_2)
	v_cmp_lt_u32_e32 vcc_lo, 20, v9
	v_pk_add_f32 v[52:53], v[52:53], v[54:55]
	s_or_b32 s1, vcc_lo, s1
	s_delay_alu instid0(SALU_CYCLE_1)
	s_and_not1_b32 exec_lo, exec_lo, s1
	s_cbranch_execnz .LBB87_101
; %bb.102:
	s_or_b32 exec_lo, exec_lo, s1
	v_mov_b32_e32 v9, 0
	ds_load_b64 v[54:55], v9 offset:176
	s_wait_dscnt 0x0
	v_pk_mul_f32 v[56:57], v[52:53], v[54:55] op_sel:[1,1] op_sel_hi:[0,1]
	s_delay_alu instid0(VALU_DEP_1) | instskip(SKIP_1) | instid1(VALU_DEP_2)
	v_pk_fma_f32 v[58:59], v[52:53], v[54:55], v[56:57] op_sel_hi:[1,0,1]
	v_pk_fma_f32 v[52:53], v[52:53], v[54:55], v[56:57] neg_lo:[0,0,1] neg_hi:[0,0,1]
	v_mov_b32_e32 v53, v59
	scratch_store_b64 off, v[52:53], off offset:176
.LBB87_103:
	s_wait_xcnt 0x0
	s_or_b32 exec_lo, exec_lo, s0
	s_wait_storecnt 0x0
	s_barrier_signal -1
	s_barrier_wait -1
	scratch_load_b64 v[52:53], off, off offset:184
	s_mov_b32 s0, exec_lo
	s_wait_loadcnt 0x0
	ds_store_b64 v1, v[52:53]
	s_wait_dscnt 0x0
	s_barrier_signal -1
	s_barrier_wait -1
	v_cmpx_ne_u32_e32 23, v0
	s_cbranch_execz .LBB87_107
; %bb.104:
	v_dual_mov_b32 v52, 0 :: v_dual_mov_b32 v9, v50
	s_mov_b32 s1, 0
	s_delay_alu instid0(VALU_DEP_1)
	v_mov_b32_e32 v53, v52
.LBB87_105:                             ; =>This Inner Loop Header: Depth=1
	scratch_load_b64 v[50:51], v9, off
	ds_load_b64 v[54:55], v1
	v_add_nc_u32_e32 v1, 8, v1
	s_wait_xcnt 0x0
	v_add_nc_u32_e32 v9, 8, v9
	s_wait_loadcnt_dscnt 0x0
	v_pk_mul_f32 v[56:57], v[54:55], v[50:51] op_sel:[1,1] op_sel_hi:[0,1]
	s_delay_alu instid0(VALU_DEP_1) | instskip(SKIP_2) | instid1(VALU_DEP_3)
	v_pk_fma_f32 v[58:59], v[54:55], v[50:51], v[56:57] op_sel_hi:[1,0,1]
	v_add_nc_u32_e32 v7, 1, v7
	v_pk_fma_f32 v[50:51], v[54:55], v[50:51], v[56:57] neg_lo:[0,0,1] neg_hi:[0,0,1]
	v_mov_b32_e32 v51, v59
	s_delay_alu instid0(VALU_DEP_3) | instskip(NEXT) | instid1(VALU_DEP_2)
	v_cmp_lt_u32_e32 vcc_lo, 21, v7
	v_pk_add_f32 v[52:53], v[52:53], v[50:51]
	s_or_b32 s1, vcc_lo, s1
	s_delay_alu instid0(SALU_CYCLE_1)
	s_and_not1_b32 exec_lo, exec_lo, s1
	s_cbranch_execnz .LBB87_105
; %bb.106:
	s_or_b32 exec_lo, exec_lo, s1
	v_mov_b32_e32 v1, 0
	ds_load_b64 v[50:51], v1 offset:184
	s_wait_dscnt 0x0
	v_pk_mul_f32 v[54:55], v[52:53], v[50:51] op_sel:[1,1] op_sel_hi:[0,1]
	s_delay_alu instid0(VALU_DEP_1) | instskip(SKIP_1) | instid1(VALU_DEP_2)
	v_pk_fma_f32 v[56:57], v[52:53], v[50:51], v[54:55] op_sel_hi:[1,0,1]
	v_pk_fma_f32 v[50:51], v[52:53], v[50:51], v[54:55] neg_lo:[0,0,1] neg_hi:[0,0,1]
	v_mov_b32_e32 v51, v57
	scratch_store_b64 off, v[50:51], off offset:184
.LBB87_107:
	s_wait_xcnt 0x0
	s_or_b32 exec_lo, exec_lo, s0
	s_mov_b32 s1, -1
	s_wait_storecnt 0x0
	s_barrier_signal -1
	s_barrier_wait -1
.LBB87_108:
	s_and_b32 vcc_lo, exec_lo, s1
	s_cbranch_vccz .LBB87_110
; %bb.109:
	v_mov_b32_e32 v1, 0
	s_lshl_b64 s[0:1], s[10:11], 2
	s_delay_alu instid0(SALU_CYCLE_1)
	s_add_nc_u64 s[0:1], s[6:7], s[0:1]
	global_load_b32 v1, v1, s[0:1]
	s_wait_loadcnt 0x0
	v_cmp_ne_u32_e32 vcc_lo, 0, v1
	s_cbranch_vccz .LBB87_111
.LBB87_110:
	s_sendmsg sendmsg(MSG_DEALLOC_VGPRS)
	s_endpgm
.LBB87_111:
	s_wait_xcnt 0x0
	v_lshl_add_u32 v1, v0, 3, 0xc0
	s_mov_b32 s0, exec_lo
	v_cmpx_eq_u32_e32 23, v0
	s_cbranch_execz .LBB87_113
; %bb.112:
	scratch_load_b64 v[50:51], off, off offset:176
	v_mov_b64_e32 v[52:53], 0
	scratch_store_b64 off, v[52:53], off offset:176
	s_wait_loadcnt 0x0
	ds_store_b64 v1, v[50:51]
.LBB87_113:
	s_wait_xcnt 0x0
	s_or_b32 exec_lo, exec_lo, s0
	s_wait_storecnt_dscnt 0x0
	s_barrier_signal -1
	s_barrier_wait -1
	s_clause 0x1
	scratch_load_b64 v[50:51], off, off offset:184
	scratch_load_b64 v[52:53], off, off offset:176
	v_mov_b32_e32 v7, 0
	s_mov_b32 s0, exec_lo
	ds_load_b64 v[54:55], v7 offset:376
	s_wait_loadcnt_dscnt 0x100
	v_pk_mul_f32 v[56:57], v[54:55], v[50:51] op_sel:[1,1] op_sel_hi:[0,1]
	s_delay_alu instid0(VALU_DEP_1) | instskip(SKIP_1) | instid1(VALU_DEP_2)
	v_pk_fma_f32 v[58:59], v[54:55], v[50:51], v[56:57] op_sel_hi:[1,0,1]
	v_pk_fma_f32 v[50:51], v[54:55], v[50:51], v[56:57] neg_lo:[0,0,1] neg_hi:[0,0,1]
	v_mov_b32_e32 v51, v59
	s_delay_alu instid0(VALU_DEP_1) | instskip(SKIP_1) | instid1(VALU_DEP_1)
	v_pk_add_f32 v[50:51], v[50:51], 0 op_sel_hi:[1,0]
	s_wait_loadcnt 0x0
	v_pk_add_f32 v[50:51], v[52:53], v[50:51] neg_lo:[0,1] neg_hi:[0,1]
	scratch_store_b64 off, v[50:51], off offset:176
	s_wait_xcnt 0x0
	v_cmpx_lt_u32_e32 21, v0
	s_cbranch_execz .LBB87_115
; %bb.114:
	scratch_load_b64 v[50:51], off, off offset:168
	v_mov_b64_e32 v[52:53], 0
	scratch_store_b64 off, v[52:53], off offset:168
	s_wait_loadcnt 0x0
	ds_store_b64 v1, v[50:51]
.LBB87_115:
	s_wait_xcnt 0x0
	s_or_b32 exec_lo, exec_lo, s0
	s_wait_storecnt_dscnt 0x0
	s_barrier_signal -1
	s_barrier_wait -1
	s_clause 0x1
	scratch_load_b128 v[50:53], off, off offset:176
	scratch_load_b64 v[58:59], off, off offset:168
	ds_load_b128 v[54:57], v7 offset:368
	s_mov_b32 s0, exec_lo
	s_wait_dscnt 0x0
	v_dual_mov_b32 v60, v57 :: v_dual_mov_b32 v61, v56
	s_wait_loadcnt 0x1
	v_pk_mul_f32 v[62:63], v[54:55], v[50:51] op_sel:[1,1] op_sel_hi:[0,1]
	s_delay_alu instid0(VALU_DEP_1) | instskip(SKIP_2) | instid1(VALU_DEP_3)
	v_pk_fma_f32 v[66:67], v[54:55], v[50:51], v[62:63] op_sel_hi:[1,0,1]
	v_mov_b32_e32 v64, v53
	v_pk_fma_f32 v[50:51], v[54:55], v[50:51], v[62:63] neg_lo:[0,0,1] neg_hi:[0,0,1]
	v_mov_b32_e32 v51, v67
	s_delay_alu instid0(VALU_DEP_3) | instskip(NEXT) | instid1(VALU_DEP_2)
	v_pk_mul_f32 v[60:61], v[60:61], v[64:65] op_sel_hi:[1,0]
	v_pk_add_f32 v[50:51], v[50:51], 0 op_sel_hi:[1,0]
	s_delay_alu instid0(VALU_DEP_2) | instskip(SKIP_1) | instid1(VALU_DEP_2)
	v_pk_fma_f32 v[54:55], v[56:57], v[52:53], v[60:61] op_sel_hi:[1,0,1]
	v_pk_fma_f32 v[52:53], v[56:57], v[52:53], v[60:61] neg_lo:[0,0,1] neg_hi:[0,0,1]
	v_mov_b32_e32 v53, v55
	s_delay_alu instid0(VALU_DEP_1) | instskip(SKIP_1) | instid1(VALU_DEP_1)
	v_pk_add_f32 v[50:51], v[50:51], v[52:53]
	s_wait_loadcnt 0x0
	v_pk_add_f32 v[50:51], v[58:59], v[50:51] neg_lo:[0,1] neg_hi:[0,1]
	scratch_store_b64 off, v[50:51], off offset:168
	s_wait_xcnt 0x0
	v_cmpx_lt_u32_e32 20, v0
	s_cbranch_execz .LBB87_117
; %bb.116:
	scratch_load_b64 v[50:51], off, off offset:160
	v_mov_b64_e32 v[52:53], 0
	scratch_store_b64 off, v[52:53], off offset:160
	s_wait_loadcnt 0x0
	ds_store_b64 v1, v[50:51]
.LBB87_117:
	s_wait_xcnt 0x0
	s_or_b32 exec_lo, exec_lo, s0
	s_wait_storecnt_dscnt 0x0
	s_barrier_signal -1
	s_barrier_wait -1
	s_clause 0x2
	scratch_load_b128 v[50:53], off, off offset:168
	scratch_load_b64 v[58:59], off, off offset:184
	scratch_load_b64 v[60:61], off, off offset:160
	v_mov_b32_e32 v7, 0
	ds_load_2addr_b64 v[54:57], v7 offset0:45 offset1:46
	ds_load_b64 v[62:63], v7 offset:376
	s_mov_b32 s0, exec_lo
	s_wait_dscnt 0x1
	v_dual_mov_b32 v64, v57 :: v_dual_mov_b32 v65, v56
	s_wait_loadcnt 0x2
	v_mov_b32_e32 v68, v53
	v_pk_mul_f32 v[66:67], v[54:55], v[50:51] op_sel:[1,1] op_sel_hi:[0,1]
	s_delay_alu instid0(VALU_DEP_2) | instskip(NEXT) | instid1(VALU_DEP_2)
	v_pk_mul_f32 v[64:65], v[64:65], v[68:69] op_sel_hi:[1,0]
	v_pk_fma_f32 v[70:71], v[54:55], v[50:51], v[66:67] op_sel_hi:[1,0,1]
	v_pk_fma_f32 v[50:51], v[54:55], v[50:51], v[66:67] neg_lo:[0,0,1] neg_hi:[0,0,1]
	s_wait_loadcnt_dscnt 0x100
	v_pk_mul_f32 v[66:67], v[62:63], v[58:59] op_sel:[1,1] op_sel_hi:[0,1]
	v_pk_fma_f32 v[54:55], v[56:57], v[52:53], v[64:65] op_sel_hi:[1,0,1]
	v_mov_b32_e32 v51, v71
	v_pk_fma_f32 v[52:53], v[56:57], v[52:53], v[64:65] neg_lo:[0,0,1] neg_hi:[0,0,1]
	s_delay_alu instid0(VALU_DEP_4) | instskip(NEXT) | instid1(VALU_DEP_4)
	v_pk_fma_f32 v[56:57], v[62:63], v[58:59], v[66:67] neg_lo:[0,0,1] neg_hi:[0,0,1]
	v_mov_b32_e32 v53, v55
	s_delay_alu instid0(VALU_DEP_4) | instskip(SKIP_1) | instid1(VALU_DEP_2)
	v_pk_add_f32 v[50:51], v[50:51], 0 op_sel_hi:[1,0]
	v_pk_fma_f32 v[54:55], v[62:63], v[58:59], v[66:67] op_sel_hi:[1,0,1]
	v_pk_add_f32 v[50:51], v[50:51], v[52:53]
	s_delay_alu instid0(VALU_DEP_2) | instskip(NEXT) | instid1(VALU_DEP_1)
	v_mov_b32_e32 v57, v55
	v_pk_add_f32 v[50:51], v[50:51], v[56:57]
	s_wait_loadcnt 0x0
	s_delay_alu instid0(VALU_DEP_1)
	v_pk_add_f32 v[50:51], v[60:61], v[50:51] neg_lo:[0,1] neg_hi:[0,1]
	scratch_store_b64 off, v[50:51], off offset:160
	s_wait_xcnt 0x0
	v_cmpx_lt_u32_e32 19, v0
	s_cbranch_execz .LBB87_119
; %bb.118:
	scratch_load_b64 v[50:51], off, off offset:152
	v_mov_b64_e32 v[52:53], 0
	scratch_store_b64 off, v[52:53], off offset:152
	s_wait_loadcnt 0x0
	ds_store_b64 v1, v[50:51]
.LBB87_119:
	s_wait_xcnt 0x0
	s_or_b32 exec_lo, exec_lo, s0
	s_wait_storecnt_dscnt 0x0
	s_barrier_signal -1
	s_barrier_wait -1
	s_clause 0x2
	scratch_load_b128 v[50:53], off, off offset:160
	scratch_load_b128 v[54:57], off, off offset:176
	scratch_load_b64 v[66:67], off, off offset:152
	ds_load_b128 v[58:61], v7 offset:352
	ds_load_b128 v[62:65], v7 offset:368
	s_mov_b32 s0, exec_lo
	s_wait_dscnt 0x1
	v_dual_mov_b32 v68, v61 :: v_dual_mov_b32 v69, v60
	s_wait_loadcnt_dscnt 0x200
	v_dual_mov_b32 v74, v65 :: v_dual_mov_b32 v72, v53
	v_pk_mul_f32 v[70:71], v[58:59], v[50:51] op_sel:[1,1] op_sel_hi:[0,1]
	s_delay_alu instid0(VALU_DEP_2) | instskip(NEXT) | instid1(VALU_DEP_2)
	v_pk_mul_f32 v[68:69], v[68:69], v[72:73] op_sel_hi:[1,0]
	v_pk_fma_f32 v[76:77], v[58:59], v[50:51], v[70:71] op_sel_hi:[1,0,1]
	v_pk_fma_f32 v[50:51], v[58:59], v[50:51], v[70:71] neg_lo:[0,0,1] neg_hi:[0,0,1]
	v_mov_b32_e32 v75, v64
	s_wait_loadcnt 0x1
	v_pk_mul_f32 v[72:73], v[62:63], v[54:55] op_sel:[1,1] op_sel_hi:[0,1]
	v_pk_fma_f32 v[58:59], v[60:61], v[52:53], v[68:69] op_sel_hi:[1,0,1]
	v_dual_mov_b32 v51, v77 :: v_dual_mov_b32 v58, v57
	v_pk_fma_f32 v[52:53], v[60:61], v[52:53], v[68:69] neg_lo:[0,0,1] neg_hi:[0,0,1]
	s_delay_alu instid0(VALU_DEP_4) | instskip(NEXT) | instid1(VALU_DEP_4)
	v_pk_fma_f32 v[70:71], v[62:63], v[54:55], v[72:73] op_sel_hi:[1,0,1]
	v_mov_b32_e32 v53, v59
	s_delay_alu instid0(VALU_DEP_4) | instskip(SKIP_2) | instid1(VALU_DEP_3)
	v_pk_add_f32 v[50:51], v[50:51], 0 op_sel_hi:[1,0]
	v_pk_mul_f32 v[58:59], v[74:75], v[58:59] op_sel_hi:[1,0]
	v_pk_fma_f32 v[54:55], v[62:63], v[54:55], v[72:73] neg_lo:[0,0,1] neg_hi:[0,0,1]
	v_pk_add_f32 v[50:51], v[50:51], v[52:53]
	s_delay_alu instid0(VALU_DEP_3) | instskip(SKIP_2) | instid1(VALU_DEP_3)
	v_pk_fma_f32 v[52:53], v[64:65], v[56:57], v[58:59] op_sel_hi:[1,0,1]
	v_mov_b32_e32 v55, v71
	v_pk_fma_f32 v[56:57], v[64:65], v[56:57], v[58:59] neg_lo:[0,0,1] neg_hi:[0,0,1]
	v_mov_b32_e32 v57, v53
	s_delay_alu instid0(VALU_DEP_3) | instskip(NEXT) | instid1(VALU_DEP_1)
	v_pk_add_f32 v[50:51], v[50:51], v[54:55]
	v_pk_add_f32 v[50:51], v[50:51], v[56:57]
	s_wait_loadcnt 0x0
	s_delay_alu instid0(VALU_DEP_1)
	v_pk_add_f32 v[50:51], v[66:67], v[50:51] neg_lo:[0,1] neg_hi:[0,1]
	scratch_store_b64 off, v[50:51], off offset:152
	s_wait_xcnt 0x0
	v_cmpx_lt_u32_e32 18, v0
	s_cbranch_execz .LBB87_121
; %bb.120:
	scratch_load_b64 v[50:51], off, off offset:144
	v_mov_b64_e32 v[52:53], 0
	scratch_store_b64 off, v[52:53], off offset:144
	s_wait_loadcnt 0x0
	ds_store_b64 v1, v[50:51]
.LBB87_121:
	s_wait_xcnt 0x0
	s_or_b32 exec_lo, exec_lo, s0
	s_wait_storecnt_dscnt 0x0
	s_barrier_signal -1
	s_barrier_wait -1
	s_clause 0x3
	scratch_load_b128 v[50:53], off, off offset:152
	scratch_load_b128 v[54:57], off, off offset:168
	scratch_load_b64 v[66:67], off, off offset:184
	scratch_load_b64 v[68:69], off, off offset:144
	v_mov_b32_e32 v7, 0
	ds_load_2addr_b64 v[58:61], v7 offset0:43 offset1:44
	ds_load_2addr_b64 v[62:65], v7 offset0:45 offset1:46
	s_mov_b32 s0, exec_lo
	s_wait_dscnt 0x1
	v_dual_mov_b32 v70, v61 :: v_dual_mov_b32 v71, v60
	ds_load_b64 v[76:77], v7 offset:376
	s_wait_dscnt 0x1
	v_dual_mov_b32 v78, v65 :: v_dual_mov_b32 v79, v64
	s_wait_loadcnt 0x3
	v_pk_mul_f32 v[72:73], v[58:59], v[50:51] op_sel:[1,1] op_sel_hi:[0,1]
	v_mov_b32_e32 v74, v53
	s_delay_alu instid0(VALU_DEP_2) | instskip(NEXT) | instid1(VALU_DEP_2)
	v_pk_fma_f32 v[80:81], v[58:59], v[50:51], v[72:73] op_sel_hi:[1,0,1]
	v_pk_mul_f32 v[70:71], v[70:71], v[74:75] op_sel_hi:[1,0]
	v_pk_fma_f32 v[50:51], v[58:59], v[50:51], v[72:73] neg_lo:[0,0,1] neg_hi:[0,0,1]
	s_wait_loadcnt 0x2
	v_pk_mul_f32 v[74:75], v[62:63], v[54:55] op_sel:[1,1] op_sel_hi:[0,1]
	v_dual_mov_b32 v80, v57 :: v_dual_mov_b32 v51, v81
	v_pk_fma_f32 v[58:59], v[60:61], v[52:53], v[70:71] op_sel_hi:[1,0,1]
	v_pk_fma_f32 v[52:53], v[60:61], v[52:53], v[70:71] neg_lo:[0,0,1] neg_hi:[0,0,1]
	s_delay_alu instid0(VALU_DEP_4) | instskip(NEXT) | instid1(VALU_DEP_4)
	v_pk_fma_f32 v[72:73], v[62:63], v[54:55], v[74:75] op_sel_hi:[1,0,1]
	v_pk_mul_f32 v[78:79], v[78:79], v[80:81] op_sel_hi:[1,0]
	v_pk_add_f32 v[50:51], v[50:51], 0 op_sel_hi:[1,0]
	v_mov_b32_e32 v53, v59
	v_pk_fma_f32 v[54:55], v[62:63], v[54:55], v[74:75] neg_lo:[0,0,1] neg_hi:[0,0,1]
	v_mov_b32_e32 v55, v73
	v_pk_fma_f32 v[58:59], v[64:65], v[56:57], v[78:79] op_sel_hi:[1,0,1]
	v_pk_fma_f32 v[56:57], v[64:65], v[56:57], v[78:79] neg_lo:[0,0,1] neg_hi:[0,0,1]
	v_pk_add_f32 v[50:51], v[50:51], v[52:53]
	s_wait_loadcnt_dscnt 0x100
	v_pk_mul_f32 v[52:53], v[76:77], v[66:67] op_sel:[1,1] op_sel_hi:[0,1]
	s_delay_alu instid0(VALU_DEP_2) | instskip(NEXT) | instid1(VALU_DEP_2)
	v_pk_add_f32 v[50:51], v[50:51], v[54:55]
	v_pk_fma_f32 v[54:55], v[76:77], v[66:67], v[52:53] op_sel_hi:[1,0,1]
	v_mov_b32_e32 v57, v59
	v_pk_fma_f32 v[52:53], v[76:77], v[66:67], v[52:53] neg_lo:[0,0,1] neg_hi:[0,0,1]
	s_delay_alu instid0(VALU_DEP_3) | instskip(NEXT) | instid1(VALU_DEP_3)
	v_mov_b32_e32 v53, v55
	v_pk_add_f32 v[50:51], v[50:51], v[56:57]
	s_delay_alu instid0(VALU_DEP_1) | instskip(SKIP_1) | instid1(VALU_DEP_1)
	v_pk_add_f32 v[50:51], v[50:51], v[52:53]
	s_wait_loadcnt 0x0
	v_pk_add_f32 v[50:51], v[68:69], v[50:51] neg_lo:[0,1] neg_hi:[0,1]
	scratch_store_b64 off, v[50:51], off offset:144
	s_wait_xcnt 0x0
	v_cmpx_lt_u32_e32 17, v0
	s_cbranch_execz .LBB87_123
; %bb.122:
	scratch_load_b64 v[50:51], off, off offset:136
	v_mov_b64_e32 v[52:53], 0
	scratch_store_b64 off, v[52:53], off offset:136
	s_wait_loadcnt 0x0
	ds_store_b64 v1, v[50:51]
.LBB87_123:
	s_wait_xcnt 0x0
	s_or_b32 exec_lo, exec_lo, s0
	s_wait_storecnt_dscnt 0x0
	s_barrier_signal -1
	s_barrier_wait -1
	s_clause 0x3
	scratch_load_b128 v[50:53], off, off offset:144
	scratch_load_b128 v[54:57], off, off offset:160
	;; [unrolled: 1-line block ×3, first 2 shown]
	scratch_load_b64 v[74:75], off, off offset:136
	ds_load_b128 v[62:65], v7 offset:336
	ds_load_b128 v[66:69], v7 offset:352
	;; [unrolled: 1-line block ×3, first 2 shown]
	s_mov_b32 s0, exec_lo
	s_wait_dscnt 0x2
	v_dual_mov_b32 v76, v65 :: v_dual_mov_b32 v77, v64
	s_wait_dscnt 0x1
	v_dual_mov_b32 v78, v69 :: v_dual_mov_b32 v79, v68
	;; [unrolled: 2-line block ×3, first 2 shown]
	s_wait_loadcnt 0x3
	v_pk_mul_f32 v[80:81], v[62:63], v[50:51] op_sel:[1,1] op_sel_hi:[0,1]
	v_mov_b32_e32 v82, v53
	s_delay_alu instid0(VALU_DEP_2) | instskip(NEXT) | instid1(VALU_DEP_2)
	v_pk_fma_f32 v[86:87], v[62:63], v[50:51], v[80:81] op_sel_hi:[1,0,1]
	v_pk_mul_f32 v[76:77], v[76:77], v[82:83] op_sel_hi:[1,0]
	v_pk_fma_f32 v[50:51], v[62:63], v[50:51], v[80:81] neg_lo:[0,0,1] neg_hi:[0,0,1]
	s_wait_loadcnt 0x2
	v_pk_mul_f32 v[82:83], v[66:67], v[54:55] op_sel:[1,1] op_sel_hi:[0,1]
	v_mov_b32_e32 v86, v57
	v_pk_fma_f32 v[62:63], v[64:65], v[52:53], v[76:77] op_sel_hi:[1,0,1]
	v_mov_b32_e32 v51, v87
	v_pk_fma_f32 v[52:53], v[64:65], v[52:53], v[76:77] neg_lo:[0,0,1] neg_hi:[0,0,1]
	v_pk_fma_f32 v[80:81], v[66:67], v[54:55], v[82:83] op_sel_hi:[1,0,1]
	v_pk_mul_f32 v[78:79], v[78:79], v[86:87] op_sel_hi:[1,0]
	v_mov_b32_e32 v53, v63
	v_pk_add_f32 v[50:51], v[50:51], 0 op_sel_hi:[1,0]
	v_pk_fma_f32 v[54:55], v[66:67], v[54:55], v[82:83] neg_lo:[0,0,1] neg_hi:[0,0,1]
	s_wait_loadcnt 0x1
	v_pk_mul_f32 v[62:63], v[70:71], v[58:59] op_sel:[1,1] op_sel_hi:[0,1]
	v_mov_b32_e32 v55, v81
	v_pk_fma_f32 v[64:65], v[68:69], v[56:57], v[78:79] op_sel_hi:[1,0,1]
	v_pk_add_f32 v[50:51], v[50:51], v[52:53]
	v_mov_b32_e32 v52, v61
	v_pk_fma_f32 v[56:57], v[68:69], v[56:57], v[78:79] neg_lo:[0,0,1] neg_hi:[0,0,1]
	v_pk_fma_f32 v[66:67], v[70:71], v[58:59], v[62:63] op_sel_hi:[1,0,1]
	v_mov_b32_e32 v57, v65
	v_pk_add_f32 v[50:51], v[50:51], v[54:55]
	v_pk_mul_f32 v[52:53], v[84:85], v[52:53] op_sel_hi:[1,0]
	v_pk_fma_f32 v[54:55], v[70:71], v[58:59], v[62:63] neg_lo:[0,0,1] neg_hi:[0,0,1]
	v_mov_b32_e32 v55, v67
	s_delay_alu instid0(VALU_DEP_4) | instskip(NEXT) | instid1(VALU_DEP_4)
	v_pk_add_f32 v[50:51], v[50:51], v[56:57]
	v_pk_fma_f32 v[56:57], v[72:73], v[60:61], v[52:53] op_sel_hi:[1,0,1]
	v_pk_fma_f32 v[52:53], v[72:73], v[60:61], v[52:53] neg_lo:[0,0,1] neg_hi:[0,0,1]
	s_delay_alu instid0(VALU_DEP_3) | instskip(NEXT) | instid1(VALU_DEP_3)
	v_pk_add_f32 v[50:51], v[50:51], v[54:55]
	v_mov_b32_e32 v53, v57
	s_delay_alu instid0(VALU_DEP_1) | instskip(SKIP_1) | instid1(VALU_DEP_1)
	v_pk_add_f32 v[50:51], v[50:51], v[52:53]
	s_wait_loadcnt 0x0
	v_pk_add_f32 v[50:51], v[74:75], v[50:51] neg_lo:[0,1] neg_hi:[0,1]
	scratch_store_b64 off, v[50:51], off offset:136
	s_wait_xcnt 0x0
	v_cmpx_lt_u32_e32 16, v0
	s_cbranch_execz .LBB87_125
; %bb.124:
	scratch_load_b64 v[50:51], off, off offset:128
	v_mov_b64_e32 v[52:53], 0
	scratch_store_b64 off, v[52:53], off offset:128
	s_wait_loadcnt 0x0
	ds_store_b64 v1, v[50:51]
.LBB87_125:
	s_wait_xcnt 0x0
	s_or_b32 exec_lo, exec_lo, s0
	s_wait_storecnt_dscnt 0x0
	s_barrier_signal -1
	s_barrier_wait -1
	s_clause 0x4
	scratch_load_b128 v[50:53], off, off offset:136
	scratch_load_b128 v[54:57], off, off offset:152
	;; [unrolled: 1-line block ×3, first 2 shown]
	scratch_load_b64 v[74:75], off, off offset:184
	scratch_load_b64 v[76:77], off, off offset:128
	v_mov_b32_e32 v7, 0
	ds_load_2addr_b64 v[62:65], v7 offset0:41 offset1:42
	ds_load_2addr_b64 v[66:69], v7 offset0:43 offset1:44
	ds_load_2addr_b64 v[70:73], v7 offset0:45 offset1:46
	ds_load_b64 v[78:79], v7 offset:376
	s_mov_b32 s0, exec_lo
	s_wait_dscnt 0x3
	v_dual_mov_b32 v80, v65 :: v_dual_mov_b32 v81, v64
	s_wait_dscnt 0x2
	v_dual_mov_b32 v82, v69 :: v_dual_mov_b32 v83, v68
	s_wait_dscnt 0x1
	v_dual_mov_b32 v88, v73 :: v_dual_mov_b32 v89, v72
	s_wait_loadcnt 0x4
	v_pk_mul_f32 v[84:85], v[62:63], v[50:51] op_sel:[1,1] op_sel_hi:[0,1]
	v_mov_b32_e32 v86, v53
	s_wait_loadcnt 0x3
	v_pk_mul_f32 v[90:91], v[66:67], v[54:55] op_sel:[1,1] op_sel_hi:[0,1]
	s_wait_loadcnt 0x2
	v_pk_mul_f32 v[94:95], v[70:71], v[58:59] op_sel:[1,1] op_sel_hi:[0,1]
	v_pk_fma_f32 v[92:93], v[62:63], v[50:51], v[84:85] op_sel_hi:[1,0,1]
	v_pk_mul_f32 v[80:81], v[80:81], v[86:87] op_sel_hi:[1,0]
	v_pk_fma_f32 v[50:51], v[62:63], v[50:51], v[84:85] neg_lo:[0,0,1] neg_hi:[0,0,1]
	v_mov_b32_e32 v86, v57
	v_pk_fma_f32 v[84:85], v[66:67], v[54:55], v[90:91] op_sel_hi:[1,0,1]
	v_mov_b32_e32 v51, v93
	v_pk_fma_f32 v[62:63], v[64:65], v[52:53], v[80:81] op_sel_hi:[1,0,1]
	v_pk_fma_f32 v[52:53], v[64:65], v[52:53], v[80:81] neg_lo:[0,0,1] neg_hi:[0,0,1]
	v_pk_mul_f32 v[82:83], v[82:83], v[86:87] op_sel_hi:[1,0]
	v_pk_fma_f32 v[54:55], v[66:67], v[54:55], v[90:91] neg_lo:[0,0,1] neg_hi:[0,0,1]
	v_pk_add_f32 v[50:51], v[50:51], 0 op_sel_hi:[1,0]
	v_dual_mov_b32 v53, v63 :: v_dual_mov_b32 v62, v61
	s_delay_alu instid0(VALU_DEP_4) | instskip(SKIP_2) | instid1(VALU_DEP_4)
	v_pk_fma_f32 v[64:65], v[68:69], v[56:57], v[82:83] op_sel_hi:[1,0,1]
	v_mov_b32_e32 v55, v85
	v_pk_fma_f32 v[56:57], v[68:69], v[56:57], v[82:83] neg_lo:[0,0,1] neg_hi:[0,0,1]
	v_pk_add_f32 v[50:51], v[50:51], v[52:53]
	v_pk_fma_f32 v[52:53], v[70:71], v[58:59], v[94:95] op_sel_hi:[1,0,1]
	v_pk_mul_f32 v[62:63], v[88:89], v[62:63] op_sel_hi:[1,0]
	v_mov_b32_e32 v57, v65
	s_delay_alu instid0(VALU_DEP_4)
	v_pk_add_f32 v[50:51], v[50:51], v[54:55]
	v_pk_fma_f32 v[54:55], v[70:71], v[58:59], v[94:95] neg_lo:[0,0,1] neg_hi:[0,0,1]
	v_mov_b32_e32 v55, v53
	v_pk_fma_f32 v[52:53], v[72:73], v[60:61], v[62:63] op_sel_hi:[1,0,1]
	v_pk_fma_f32 v[58:59], v[72:73], v[60:61], v[62:63] neg_lo:[0,0,1] neg_hi:[0,0,1]
	v_pk_add_f32 v[50:51], v[50:51], v[56:57]
	s_wait_loadcnt_dscnt 0x100
	v_pk_mul_f32 v[56:57], v[78:79], v[74:75] op_sel:[1,1] op_sel_hi:[0,1]
	v_mov_b32_e32 v59, v53
	s_delay_alu instid0(VALU_DEP_3) | instskip(NEXT) | instid1(VALU_DEP_3)
	v_pk_add_f32 v[50:51], v[50:51], v[54:55]
	v_pk_fma_f32 v[52:53], v[78:79], v[74:75], v[56:57] op_sel_hi:[1,0,1]
	v_pk_fma_f32 v[54:55], v[78:79], v[74:75], v[56:57] neg_lo:[0,0,1] neg_hi:[0,0,1]
	s_delay_alu instid0(VALU_DEP_3) | instskip(NEXT) | instid1(VALU_DEP_3)
	v_pk_add_f32 v[50:51], v[50:51], v[58:59]
	v_mov_b32_e32 v55, v53
	s_delay_alu instid0(VALU_DEP_1) | instskip(SKIP_1) | instid1(VALU_DEP_1)
	v_pk_add_f32 v[50:51], v[50:51], v[54:55]
	s_wait_loadcnt 0x0
	v_pk_add_f32 v[50:51], v[76:77], v[50:51] neg_lo:[0,1] neg_hi:[0,1]
	scratch_store_b64 off, v[50:51], off offset:128
	s_wait_xcnt 0x0
	v_cmpx_lt_u32_e32 15, v0
	s_cbranch_execz .LBB87_127
; %bb.126:
	scratch_load_b64 v[50:51], off, off offset:120
	v_mov_b64_e32 v[52:53], 0
	scratch_store_b64 off, v[52:53], off offset:120
	s_wait_loadcnt 0x0
	ds_store_b64 v1, v[50:51]
.LBB87_127:
	s_wait_xcnt 0x0
	s_or_b32 exec_lo, exec_lo, s0
	s_wait_storecnt_dscnt 0x0
	s_barrier_signal -1
	s_barrier_wait -1
	s_clause 0x4
	scratch_load_b128 v[50:53], off, off offset:128
	scratch_load_b128 v[54:57], off, off offset:144
	;; [unrolled: 1-line block ×4, first 2 shown]
	scratch_load_b64 v[82:83], off, off offset:120
	ds_load_b128 v[66:69], v7 offset:320
	ds_load_b128 v[70:73], v7 offset:336
	;; [unrolled: 1-line block ×4, first 2 shown]
	s_mov_b32 s0, exec_lo
	s_wait_dscnt 0x3
	v_dual_mov_b32 v84, v69 :: v_dual_mov_b32 v85, v68
	s_wait_dscnt 0x2
	v_dual_mov_b32 v86, v73 :: v_dual_mov_b32 v87, v72
	;; [unrolled: 2-line block ×3, first 2 shown]
	v_dual_mov_b32 v89, v76 :: v_dual_mov_b32 v94, v81
	s_wait_loadcnt 0x4
	v_mov_b32_e32 v92, v53
	v_pk_mul_f32 v[90:91], v[66:67], v[50:51] op_sel:[1,1] op_sel_hi:[0,1]
	s_wait_loadcnt 0x3
	v_pk_mul_f32 v[96:97], v[70:71], v[54:55] op_sel:[1,1] op_sel_hi:[0,1]
	s_wait_loadcnt 0x2
	v_pk_mul_f32 v[100:101], v[74:75], v[58:59] op_sel:[1,1] op_sel_hi:[0,1]
	v_pk_mul_f32 v[84:85], v[84:85], v[92:93] op_sel_hi:[1,0]
	v_pk_fma_f32 v[98:99], v[66:67], v[50:51], v[90:91] op_sel_hi:[1,0,1]
	v_pk_fma_f32 v[50:51], v[66:67], v[50:51], v[90:91] neg_lo:[0,0,1] neg_hi:[0,0,1]
	v_mov_b32_e32 v92, v57
	v_pk_fma_f32 v[90:91], v[70:71], v[54:55], v[96:97] op_sel_hi:[1,0,1]
	v_pk_fma_f32 v[66:67], v[68:69], v[52:53], v[84:85] op_sel_hi:[1,0,1]
	v_mov_b32_e32 v51, v99
	v_pk_fma_f32 v[52:53], v[68:69], v[52:53], v[84:85] neg_lo:[0,0,1] neg_hi:[0,0,1]
	v_pk_mul_f32 v[86:87], v[86:87], v[92:93] op_sel_hi:[1,0]
	s_delay_alu instid0(VALU_DEP_4) | instskip(NEXT) | instid1(VALU_DEP_4)
	v_dual_mov_b32 v66, v61 :: v_dual_mov_b32 v53, v67
	v_pk_add_f32 v[50:51], v[50:51], 0 op_sel_hi:[1,0]
	v_pk_fma_f32 v[54:55], v[70:71], v[54:55], v[96:97] neg_lo:[0,0,1] neg_hi:[0,0,1]
	v_mov_b32_e32 v55, v91
	v_pk_fma_f32 v[68:69], v[72:73], v[56:57], v[86:87] op_sel_hi:[1,0,1]
	v_pk_mul_f32 v[66:67], v[88:89], v[66:67] op_sel_hi:[1,0]
	v_pk_add_f32 v[50:51], v[50:51], v[52:53]
	v_pk_fma_f32 v[52:53], v[74:75], v[58:59], v[100:101] op_sel_hi:[1,0,1]
	v_pk_fma_f32 v[56:57], v[72:73], v[56:57], v[86:87] neg_lo:[0,0,1] neg_hi:[0,0,1]
	v_mov_b32_e32 v57, v69
	v_pk_fma_f32 v[58:59], v[74:75], v[58:59], v[100:101] neg_lo:[0,0,1] neg_hi:[0,0,1]
	v_pk_add_f32 v[50:51], v[50:51], v[54:55]
	v_mov_b32_e32 v59, v53
	v_pk_fma_f32 v[52:53], v[76:77], v[60:61], v[66:67] op_sel_hi:[1,0,1]
	s_wait_loadcnt 0x1
	v_pk_mul_f32 v[54:55], v[78:79], v[62:63] op_sel:[1,1] op_sel_hi:[0,1]
	v_mov_b32_e32 v52, v65
	v_pk_add_f32 v[50:51], v[50:51], v[56:57]
	v_pk_fma_f32 v[60:61], v[76:77], v[60:61], v[66:67] neg_lo:[0,0,1] neg_hi:[0,0,1]
	v_mov_b32_e32 v61, v53
	v_pk_fma_f32 v[56:57], v[78:79], v[62:63], v[54:55] op_sel_hi:[1,0,1]
	v_pk_mul_f32 v[52:53], v[94:95], v[52:53] op_sel_hi:[1,0]
	v_pk_add_f32 v[50:51], v[50:51], v[58:59]
	v_pk_fma_f32 v[54:55], v[78:79], v[62:63], v[54:55] neg_lo:[0,0,1] neg_hi:[0,0,1]
	s_delay_alu instid0(VALU_DEP_4) | instskip(NEXT) | instid1(VALU_DEP_4)
	v_mov_b32_e32 v55, v57
	v_pk_fma_f32 v[56:57], v[80:81], v[64:65], v[52:53] op_sel_hi:[1,0,1]
	s_delay_alu instid0(VALU_DEP_4) | instskip(SKIP_1) | instid1(VALU_DEP_3)
	v_pk_add_f32 v[50:51], v[50:51], v[60:61]
	v_pk_fma_f32 v[52:53], v[80:81], v[64:65], v[52:53] neg_lo:[0,0,1] neg_hi:[0,0,1]
	v_mov_b32_e32 v53, v57
	s_delay_alu instid0(VALU_DEP_3) | instskip(NEXT) | instid1(VALU_DEP_1)
	v_pk_add_f32 v[50:51], v[50:51], v[54:55]
	v_pk_add_f32 v[50:51], v[50:51], v[52:53]
	s_wait_loadcnt 0x0
	s_delay_alu instid0(VALU_DEP_1)
	v_pk_add_f32 v[50:51], v[82:83], v[50:51] neg_lo:[0,1] neg_hi:[0,1]
	scratch_store_b64 off, v[50:51], off offset:120
	s_wait_xcnt 0x0
	v_cmpx_lt_u32_e32 14, v0
	s_cbranch_execz .LBB87_129
; %bb.128:
	scratch_load_b64 v[50:51], off, off offset:112
	v_mov_b64_e32 v[52:53], 0
	scratch_store_b64 off, v[52:53], off offset:112
	s_wait_loadcnt 0x0
	ds_store_b64 v1, v[50:51]
.LBB87_129:
	s_wait_xcnt 0x0
	s_or_b32 exec_lo, exec_lo, s0
	s_wait_storecnt_dscnt 0x0
	s_barrier_signal -1
	s_barrier_wait -1
	s_clause 0x5
	scratch_load_b128 v[50:53], off, off offset:120
	scratch_load_b128 v[54:57], off, off offset:136
	;; [unrolled: 1-line block ×4, first 2 shown]
	scratch_load_b64 v[82:83], off, off offset:184
	scratch_load_b64 v[84:85], off, off offset:112
	v_mov_b32_e32 v7, 0
	ds_load_2addr_b64 v[66:69], v7 offset0:39 offset1:40
	ds_load_2addr_b64 v[70:73], v7 offset0:41 offset1:42
	;; [unrolled: 1-line block ×4, first 2 shown]
	ds_load_b64 v[86:87], v7 offset:376
	s_mov_b32 s0, exec_lo
	s_wait_dscnt 0x4
	v_dual_mov_b32 v88, v69 :: v_dual_mov_b32 v89, v68
	s_wait_dscnt 0x1
	v_dual_mov_b32 v90, v73 :: v_dual_mov_b32 v95, v80
	v_dual_mov_b32 v91, v72 :: v_dual_mov_b32 v92, v77
	;; [unrolled: 1-line block ×3, first 2 shown]
	s_wait_loadcnt 0x5
	v_dual_mov_b32 v96, v53 :: v_dual_mul_f32 v97, v66, v51
	v_mul_f32_e32 v9, v67, v51
	s_wait_loadcnt 0x4
	v_pk_mul_f32 v[98:99], v[70:71], v[54:55] op_sel:[1,1] op_sel_hi:[0,1]
	v_mov_b32_e32 v100, v57
	s_wait_loadcnt 0x3
	v_pk_mul_f32 v[102:103], v[74:75], v[58:59] op_sel:[1,1] op_sel_hi:[0,1]
	v_pk_mul_f32 v[88:89], v[88:89], v[96:97] op_sel_hi:[1,0]
	v_fmac_f32_e32 v97, v67, v50
	v_dual_fma_f32 v96, v66, v50, -v9 :: v_dual_mov_b32 v50, v61
	v_pk_fma_f32 v[104:105], v[70:71], v[54:55], v[98:99] op_sel_hi:[1,0,1]
	s_delay_alu instid0(VALU_DEP_4)
	v_pk_fma_f32 v[66:67], v[68:69], v[52:53], v[88:89] op_sel_hi:[1,0,1]
	v_pk_fma_f32 v[52:53], v[68:69], v[52:53], v[88:89] neg_lo:[0,0,1] neg_hi:[0,0,1]
	v_pk_mul_f32 v[90:91], v[90:91], v[100:101] op_sel_hi:[1,0]
	v_pk_add_f32 v[96:97], v[96:97], 0 op_sel_hi:[1,0]
	v_pk_fma_f32 v[54:55], v[70:71], v[54:55], v[98:99] neg_lo:[0,0,1] neg_hi:[0,0,1]
	v_dual_mov_b32 v53, v67 :: v_dual_mov_b32 v55, v105
	s_delay_alu instid0(VALU_DEP_4) | instskip(SKIP_2) | instid1(VALU_DEP_4)
	v_pk_fma_f32 v[68:69], v[72:73], v[56:57], v[90:91] op_sel_hi:[1,0,1]
	v_pk_fma_f32 v[56:57], v[72:73], v[56:57], v[90:91] neg_lo:[0,0,1] neg_hi:[0,0,1]
	v_pk_fma_f32 v[70:71], v[74:75], v[58:59], v[102:103] op_sel_hi:[1,0,1]
	v_pk_add_f32 v[52:53], v[96:97], v[52:53]
	v_pk_mul_f32 v[50:51], v[92:93], v[50:51] op_sel_hi:[1,0]
	v_mov_b32_e32 v57, v69
	v_pk_fma_f32 v[58:59], v[74:75], v[58:59], v[102:103] neg_lo:[0,0,1] neg_hi:[0,0,1]
	s_wait_loadcnt 0x2
	v_pk_mul_f32 v[66:67], v[78:79], v[62:63] op_sel:[1,1] op_sel_hi:[0,1]
	v_pk_add_f32 v[52:53], v[52:53], v[54:55]
	v_mov_b32_e32 v54, v65
	v_pk_fma_f32 v[68:69], v[76:77], v[60:61], v[50:51] op_sel_hi:[1,0,1]
	v_mov_b32_e32 v59, v71
	v_pk_fma_f32 v[50:51], v[76:77], v[60:61], v[50:51] neg_lo:[0,0,1] neg_hi:[0,0,1]
	v_pk_add_f32 v[52:53], v[52:53], v[56:57]
	v_pk_fma_f32 v[56:57], v[78:79], v[62:63], v[66:67] op_sel_hi:[1,0,1]
	v_pk_mul_f32 v[54:55], v[94:95], v[54:55] op_sel_hi:[1,0]
	v_mov_b32_e32 v51, v69
	s_delay_alu instid0(VALU_DEP_4)
	v_pk_add_f32 v[52:53], v[52:53], v[58:59]
	v_pk_fma_f32 v[58:59], v[78:79], v[62:63], v[66:67] neg_lo:[0,0,1] neg_hi:[0,0,1]
	v_mov_b32_e32 v59, v57
	v_pk_fma_f32 v[56:57], v[80:81], v[64:65], v[54:55] op_sel_hi:[1,0,1]
	v_pk_fma_f32 v[54:55], v[80:81], v[64:65], v[54:55] neg_lo:[0,0,1] neg_hi:[0,0,1]
	v_pk_add_f32 v[50:51], v[52:53], v[50:51]
	s_wait_loadcnt_dscnt 0x100
	v_pk_mul_f32 v[52:53], v[86:87], v[82:83] op_sel:[1,1] op_sel_hi:[0,1]
	v_mov_b32_e32 v55, v57
	s_delay_alu instid0(VALU_DEP_3) | instskip(NEXT) | instid1(VALU_DEP_3)
	v_pk_add_f32 v[50:51], v[50:51], v[58:59]
	v_pk_fma_f32 v[56:57], v[86:87], v[82:83], v[52:53] op_sel_hi:[1,0,1]
	v_pk_fma_f32 v[52:53], v[86:87], v[82:83], v[52:53] neg_lo:[0,0,1] neg_hi:[0,0,1]
	s_delay_alu instid0(VALU_DEP_3) | instskip(NEXT) | instid1(VALU_DEP_3)
	v_pk_add_f32 v[50:51], v[50:51], v[54:55]
	v_mov_b32_e32 v53, v57
	s_delay_alu instid0(VALU_DEP_1) | instskip(SKIP_1) | instid1(VALU_DEP_1)
	v_pk_add_f32 v[50:51], v[50:51], v[52:53]
	s_wait_loadcnt 0x0
	v_pk_add_f32 v[50:51], v[84:85], v[50:51] neg_lo:[0,1] neg_hi:[0,1]
	scratch_store_b64 off, v[50:51], off offset:112
	s_wait_xcnt 0x0
	v_cmpx_lt_u32_e32 13, v0
	s_cbranch_execz .LBB87_131
; %bb.130:
	scratch_load_b64 v[50:51], off, off offset:104
	v_mov_b64_e32 v[52:53], 0
	scratch_store_b64 off, v[52:53], off offset:104
	s_wait_loadcnt 0x0
	ds_store_b64 v1, v[50:51]
.LBB87_131:
	s_wait_xcnt 0x0
	s_or_b32 exec_lo, exec_lo, s0
	s_wait_storecnt_dscnt 0x0
	s_barrier_signal -1
	s_barrier_wait -1
	s_clause 0x5
	scratch_load_b128 v[50:53], off, off offset:112
	scratch_load_b128 v[54:57], off, off offset:128
	;; [unrolled: 1-line block ×5, first 2 shown]
	scratch_load_b64 v[90:91], off, off offset:104
	ds_load_b128 v[70:73], v7 offset:320
	ds_load_b128 v[74:77], v7 offset:336
	;; [unrolled: 1-line block ×5, first 2 shown]
	s_mov_b32 s0, exec_lo
	s_wait_dscnt 0x4
	v_dual_mov_b32 v92, v73 :: v_dual_mov_b32 v93, v72
	s_wait_dscnt 0x3
	v_dual_mov_b32 v94, v77 :: v_dual_mov_b32 v95, v76
	;; [unrolled: 2-line block ×4, first 2 shown]
	s_wait_loadcnt_dscnt 0x500
	v_dual_mul_f32 v101, v86, v51 :: v_dual_mul_f32 v103, v88, v53
	v_dual_mul_f32 v7, v87, v51 :: v_dual_mul_f32 v9, v89, v53
	s_wait_loadcnt 0x4
	v_pk_mul_f32 v[104:105], v[70:71], v[54:55] op_sel:[1,1] op_sel_hi:[0,1]
	s_wait_loadcnt 0x3
	v_dual_mov_b32 v106, v57 :: v_dual_mov_b32 v110, v61
	v_dual_fmac_f32 v101, v87, v50 :: v_dual_fma_f32 v100, v86, v50, -v7
	v_dual_fmac_f32 v103, v89, v52 :: v_dual_fma_f32 v102, v88, v52, -v9
	v_pk_fma_f32 v[50:51], v[70:71], v[54:55], v[104:105] op_sel_hi:[1,0,1]
	s_delay_alu instid0(VALU_DEP_4) | instskip(NEXT) | instid1(VALU_DEP_4)
	v_pk_mul_f32 v[52:53], v[92:93], v[106:107] op_sel_hi:[1,0]
	v_pk_add_f32 v[86:87], v[100:101], 0 op_sel_hi:[1,0]
	v_pk_fma_f32 v[54:55], v[70:71], v[54:55], v[104:105] neg_lo:[0,0,1] neg_hi:[0,0,1]
	v_pk_mul_f32 v[108:109], v[74:75], v[58:59] op_sel:[1,1] op_sel_hi:[0,1]
	v_mov_b32_e32 v55, v51
	v_pk_fma_f32 v[50:51], v[72:73], v[56:57], v[52:53] op_sel_hi:[1,0,1]
	v_pk_add_f32 v[70:71], v[86:87], v[102:103]
	v_pk_fma_f32 v[52:53], v[72:73], v[56:57], v[52:53] neg_lo:[0,0,1] neg_hi:[0,0,1]
	v_pk_fma_f32 v[86:87], v[74:75], v[58:59], v[108:109] op_sel_hi:[1,0,1]
	v_pk_mul_f32 v[92:93], v[94:95], v[110:111] op_sel_hi:[1,0]
	v_mov_b32_e32 v53, v51
	v_pk_add_f32 v[50:51], v[70:71], v[54:55]
	s_wait_loadcnt 0x2
	v_pk_mul_f32 v[88:89], v[78:79], v[62:63] op_sel:[1,1] op_sel_hi:[0,1]
	v_mov_b32_e32 v54, v65
	v_pk_fma_f32 v[56:57], v[74:75], v[58:59], v[108:109] neg_lo:[0,0,1] neg_hi:[0,0,1]
	v_mov_b32_e32 v57, v87
	v_pk_fma_f32 v[58:59], v[76:77], v[60:61], v[92:93] op_sel_hi:[1,0,1]
	v_pk_add_f32 v[50:51], v[50:51], v[52:53]
	v_pk_fma_f32 v[52:53], v[78:79], v[62:63], v[88:89] op_sel_hi:[1,0,1]
	v_pk_mul_f32 v[54:55], v[96:97], v[54:55] op_sel_hi:[1,0]
	v_pk_fma_f32 v[60:61], v[76:77], v[60:61], v[92:93] neg_lo:[0,0,1] neg_hi:[0,0,1]
	v_mov_b32_e32 v61, v59
	v_pk_add_f32 v[50:51], v[50:51], v[56:57]
	v_pk_fma_f32 v[58:59], v[78:79], v[62:63], v[88:89] neg_lo:[0,0,1] neg_hi:[0,0,1]
	v_mov_b32_e32 v59, v53
	v_pk_fma_f32 v[52:53], v[80:81], v[64:65], v[54:55] op_sel_hi:[1,0,1]
	s_wait_loadcnt 0x1
	v_pk_mul_f32 v[56:57], v[82:83], v[66:67] op_sel:[1,1] op_sel_hi:[0,1]
	v_pk_add_f32 v[50:51], v[50:51], v[60:61]
	v_mov_b32_e32 v52, v69
	v_pk_fma_f32 v[54:55], v[80:81], v[64:65], v[54:55] neg_lo:[0,0,1] neg_hi:[0,0,1]
	v_mov_b32_e32 v55, v53
	v_pk_fma_f32 v[60:61], v[82:83], v[66:67], v[56:57] op_sel_hi:[1,0,1]
	v_pk_add_f32 v[50:51], v[50:51], v[58:59]
	v_pk_mul_f32 v[52:53], v[98:99], v[52:53] op_sel_hi:[1,0]
	v_pk_fma_f32 v[56:57], v[82:83], v[66:67], v[56:57] neg_lo:[0,0,1] neg_hi:[0,0,1]
	s_delay_alu instid0(VALU_DEP_3) | instskip(NEXT) | instid1(VALU_DEP_3)
	v_pk_add_f32 v[50:51], v[50:51], v[54:55]
	v_pk_fma_f32 v[54:55], v[84:85], v[68:69], v[52:53] op_sel_hi:[1,0,1]
	v_mov_b32_e32 v57, v61
	v_pk_fma_f32 v[52:53], v[84:85], v[68:69], v[52:53] neg_lo:[0,0,1] neg_hi:[0,0,1]
	s_delay_alu instid0(VALU_DEP_3) | instskip(NEXT) | instid1(VALU_DEP_3)
	v_mov_b32_e32 v53, v55
	v_pk_add_f32 v[50:51], v[50:51], v[56:57]
	s_delay_alu instid0(VALU_DEP_1) | instskip(SKIP_1) | instid1(VALU_DEP_1)
	v_pk_add_f32 v[50:51], v[50:51], v[52:53]
	s_wait_loadcnt 0x0
	v_pk_add_f32 v[50:51], v[90:91], v[50:51] neg_lo:[0,1] neg_hi:[0,1]
	scratch_store_b64 off, v[50:51], off offset:104
	s_wait_xcnt 0x0
	v_cmpx_lt_u32_e32 12, v0
	s_cbranch_execz .LBB87_133
; %bb.132:
	scratch_load_b64 v[50:51], off, off offset:96
	v_mov_b64_e32 v[52:53], 0
	scratch_store_b64 off, v[52:53], off offset:96
	s_wait_loadcnt 0x0
	ds_store_b64 v1, v[50:51]
.LBB87_133:
	s_wait_xcnt 0x0
	s_or_b32 exec_lo, exec_lo, s0
	s_wait_storecnt_dscnt 0x0
	s_barrier_signal -1
	s_barrier_wait -1
	s_clause 0x6
	scratch_load_b128 v[50:53], off, off offset:104
	scratch_load_b128 v[54:57], off, off offset:120
	;; [unrolled: 1-line block ×5, first 2 shown]
	scratch_load_b64 v[90:91], off, off offset:184
	scratch_load_b64 v[92:93], off, off offset:96
	v_mov_b32_e32 v7, 0
	ds_load_2addr_b64 v[70:73], v7 offset0:39 offset1:40
	ds_load_2addr_b64 v[74:77], v7 offset0:41 offset1:42
	;; [unrolled: 1-line block ×5, first 2 shown]
	ds_load_b64 v[94:95], v7 offset:376
	s_mov_b32 s0, exec_lo
	s_wait_dscnt 0x5
	v_dual_mov_b32 v96, v73 :: v_dual_mov_b32 v97, v72
	s_wait_dscnt 0x2
	v_dual_mov_b32 v98, v77 :: v_dual_mov_b32 v103, v84
	v_dual_mov_b32 v99, v76 :: v_dual_mov_b32 v100, v81
	;; [unrolled: 1-line block ×3, first 2 shown]
	s_wait_loadcnt_dscnt 0x601
	v_dual_mul_f32 v9, v86, v51 :: v_dual_mul_f32 v11, v87, v51
	v_dual_mul_f32 v13, v89, v53 :: v_dual_mul_f32 v105, v88, v53
	s_wait_loadcnt 0x5
	v_dual_mul_f32 v107, v70, v55 :: v_dual_mul_f32 v15, v71, v55
	s_wait_loadcnt 0x4
	v_dual_mov_b32 v106, v57 :: v_dual_mov_b32 v110, v61
	v_dual_fmac_f32 v9, v87, v50 :: v_dual_fma_f32 v11, v86, v50, -v11
	v_fmac_f32_e32 v105, v89, v52
	v_pk_mul_f32 v[108:109], v[74:75], v[58:59] op_sel:[1,1] op_sel_hi:[0,1]
	s_delay_alu instid0(VALU_DEP_3)
	v_dual_fma_f32 v104, v88, v52, -v13 :: v_dual_add_f32 v53, 0, v9
	v_pk_mul_f32 v[50:51], v[96:97], v[106:107] op_sel_hi:[1,0]
	s_wait_loadcnt 0x3
	v_dual_add_f32 v52, 0, v11 :: v_dual_mov_b32 v86, v65
	v_fmac_f32_e32 v107, v71, v54
	v_fma_f32 v106, v70, v54, -v15
	v_pk_fma_f32 v[54:55], v[72:73], v[56:57], v[50:51] op_sel_hi:[1,0,1]
	s_delay_alu instid0(VALU_DEP_4) | instskip(SKIP_4) | instid1(VALU_DEP_4)
	v_pk_add_f32 v[52:53], v[52:53], v[104:105]
	v_pk_fma_f32 v[70:71], v[74:75], v[58:59], v[108:109] op_sel_hi:[1,0,1]
	v_pk_fma_f32 v[50:51], v[72:73], v[56:57], v[50:51] neg_lo:[0,0,1] neg_hi:[0,0,1]
	v_pk_fma_f32 v[56:57], v[74:75], v[58:59], v[108:109] neg_lo:[0,0,1] neg_hi:[0,0,1]
	v_pk_mul_f32 v[88:89], v[98:99], v[110:111] op_sel_hi:[1,0]
	v_dual_mov_b32 v51, v55 :: v_dual_mov_b32 v57, v71
	v_pk_add_f32 v[52:53], v[52:53], v[106:107]
	v_pk_mul_f32 v[112:113], v[78:79], v[62:63] op_sel:[1,1] op_sel_hi:[0,1]
	s_delay_alu instid0(VALU_DEP_4)
	v_pk_fma_f32 v[58:59], v[76:77], v[60:61], v[88:89] op_sel_hi:[1,0,1]
	v_pk_fma_f32 v[60:61], v[76:77], v[60:61], v[88:89] neg_lo:[0,0,1] neg_hi:[0,0,1]
	v_pk_mul_f32 v[70:71], v[100:101], v[86:87] op_sel_hi:[1,0]
	v_pk_add_f32 v[50:51], v[52:53], v[50:51]
	v_pk_fma_f32 v[52:53], v[78:79], v[62:63], v[112:113] op_sel_hi:[1,0,1]
	s_wait_loadcnt 0x2
	v_dual_mov_b32 v61, v59 :: v_dual_mov_b32 v52, v69
	v_pk_mul_f32 v[54:55], v[82:83], v[66:67] op_sel:[1,1] op_sel_hi:[0,1]
	v_pk_add_f32 v[50:51], v[50:51], v[56:57]
	v_pk_fma_f32 v[56:57], v[78:79], v[62:63], v[112:113] neg_lo:[0,0,1] neg_hi:[0,0,1]
	v_pk_fma_f32 v[58:59], v[80:81], v[64:65], v[70:71] op_sel_hi:[1,0,1]
	v_mov_b32_e32 v57, v53
	v_pk_fma_f32 v[62:63], v[80:81], v[64:65], v[70:71] neg_lo:[0,0,1] neg_hi:[0,0,1]
	v_pk_add_f32 v[50:51], v[50:51], v[60:61]
	v_pk_fma_f32 v[60:61], v[82:83], v[66:67], v[54:55] op_sel_hi:[1,0,1]
	v_pk_mul_f32 v[52:53], v[102:103], v[52:53] op_sel_hi:[1,0]
	v_mov_b32_e32 v63, v59
	v_pk_fma_f32 v[54:55], v[82:83], v[66:67], v[54:55] neg_lo:[0,0,1] neg_hi:[0,0,1]
	v_pk_add_f32 v[50:51], v[50:51], v[56:57]
	s_wait_loadcnt_dscnt 0x100
	v_pk_mul_f32 v[58:59], v[94:95], v[90:91] op_sel:[1,1] op_sel_hi:[0,1]
	v_pk_fma_f32 v[56:57], v[84:85], v[68:69], v[52:53] op_sel_hi:[1,0,1]
	v_mov_b32_e32 v55, v61
	v_pk_fma_f32 v[52:53], v[84:85], v[68:69], v[52:53] neg_lo:[0,0,1] neg_hi:[0,0,1]
	v_pk_add_f32 v[50:51], v[50:51], v[62:63]
	s_delay_alu instid0(VALU_DEP_4) | instskip(SKIP_1) | instid1(VALU_DEP_3)
	v_mov_b32_e32 v53, v57
	v_pk_fma_f32 v[56:57], v[94:95], v[90:91], v[58:59] neg_lo:[0,0,1] neg_hi:[0,0,1]
	v_pk_add_f32 v[50:51], v[50:51], v[54:55]
	v_pk_fma_f32 v[54:55], v[94:95], v[90:91], v[58:59] op_sel_hi:[1,0,1]
	s_delay_alu instid0(VALU_DEP_2) | instskip(NEXT) | instid1(VALU_DEP_2)
	v_pk_add_f32 v[50:51], v[50:51], v[52:53]
	v_mov_b32_e32 v57, v55
	s_delay_alu instid0(VALU_DEP_1) | instskip(SKIP_1) | instid1(VALU_DEP_1)
	v_pk_add_f32 v[50:51], v[50:51], v[56:57]
	s_wait_loadcnt 0x0
	v_pk_add_f32 v[50:51], v[92:93], v[50:51] neg_lo:[0,1] neg_hi:[0,1]
	scratch_store_b64 off, v[50:51], off offset:96
	s_wait_xcnt 0x0
	v_cmpx_lt_u32_e32 11, v0
	s_cbranch_execz .LBB87_135
; %bb.134:
	scratch_load_b64 v[50:51], off, off offset:88
	v_mov_b64_e32 v[52:53], 0
	scratch_store_b64 off, v[52:53], off offset:88
	s_wait_loadcnt 0x0
	ds_store_b64 v1, v[50:51]
.LBB87_135:
	s_wait_xcnt 0x0
	s_or_b32 exec_lo, exec_lo, s0
	s_wait_storecnt_dscnt 0x0
	s_barrier_signal -1
	s_barrier_wait -1
	s_clause 0x6
	scratch_load_b128 v[50:53], off, off offset:96
	scratch_load_b128 v[54:57], off, off offset:112
	;; [unrolled: 1-line block ×6, first 2 shown]
	scratch_load_b64 v[98:99], off, off offset:88
	ds_load_b128 v[74:77], v7 offset:320
	ds_load_b128 v[78:81], v7 offset:336
	;; [unrolled: 1-line block ×6, first 2 shown]
	s_mov_b32 s0, exec_lo
	s_wait_dscnt 0x5
	v_dual_mov_b32 v100, v77 :: v_dual_mov_b32 v101, v76
	s_wait_dscnt 0x4
	v_dual_mov_b32 v102, v81 :: v_dual_mov_b32 v103, v80
	;; [unrolled: 2-line block ×4, first 2 shown]
	s_wait_loadcnt_dscnt 0x601
	v_dual_mul_f32 v7, v90, v51 :: v_dual_mul_f32 v9, v92, v53
	v_dual_mul_f32 v11, v91, v51 :: v_dual_mul_f32 v13, v93, v53
	s_wait_loadcnt 0x4
	s_delay_alu instid0(VALU_DEP_2)
	v_dual_mov_b32 v114, v61 :: v_dual_fmac_f32 v7, v91, v50
	s_wait_dscnt 0x0
	v_dual_mul_f32 v109, v94, v55 :: v_dual_mul_f32 v111, v96, v57
	v_dual_fma_f32 v11, v90, v50, -v11 :: v_dual_fmac_f32 v9, v93, v52
	v_dual_mul_f32 v15, v95, v55 :: v_dual_mul_f32 v17, v97, v57
	v_dual_fma_f32 v13, v92, v52, -v13 :: v_dual_add_f32 v7, 0, v7
	s_wait_loadcnt 0x3
	s_delay_alu instid0(VALU_DEP_3) | instskip(SKIP_3) | instid1(VALU_DEP_4)
	v_dual_add_f32 v11, 0, v11 :: v_dual_mov_b32 v52, v65
	v_pk_mul_f32 v[112:113], v[74:75], v[58:59] op_sel:[1,1] op_sel_hi:[0,1]
	v_dual_fmac_f32 v109, v95, v54 :: v_dual_fma_f32 v108, v94, v54, -v15
	v_dual_add_f32 v55, v7, v9 :: v_dual_fmac_f32 v111, v97, v56
	v_dual_add_f32 v54, v11, v13 :: v_dual_fma_f32 v110, v96, v56, -v17
	s_delay_alu instid0(VALU_DEP_4) | instskip(SKIP_2) | instid1(VALU_DEP_4)
	v_pk_fma_f32 v[56:57], v[74:75], v[58:59], v[112:113] op_sel_hi:[1,0,1]
	v_pk_mul_f32 v[90:91], v[100:101], v[114:115] op_sel_hi:[1,0]
	v_pk_fma_f32 v[58:59], v[74:75], v[58:59], v[112:113] neg_lo:[0,0,1] neg_hi:[0,0,1]
	v_pk_add_f32 v[54:55], v[54:55], v[108:109]
	v_pk_mul_f32 v[50:51], v[78:79], v[62:63] op_sel:[1,1] op_sel_hi:[0,1]
	v_mov_b32_e32 v59, v57
	v_pk_fma_f32 v[56:57], v[76:77], v[60:61], v[90:91] op_sel_hi:[1,0,1]
	v_pk_fma_f32 v[60:61], v[76:77], v[60:61], v[90:91] neg_lo:[0,0,1] neg_hi:[0,0,1]
	v_pk_add_f32 v[54:55], v[54:55], v[110:111]
	v_pk_fma_f32 v[74:75], v[78:79], v[62:63], v[50:51] op_sel_hi:[1,0,1]
	v_pk_mul_f32 v[52:53], v[102:103], v[52:53] op_sel_hi:[1,0]
	v_mov_b32_e32 v61, v57
	v_pk_fma_f32 v[50:51], v[78:79], v[62:63], v[50:51] neg_lo:[0,0,1] neg_hi:[0,0,1]
	v_pk_add_f32 v[54:55], v[54:55], v[58:59]
	s_wait_loadcnt 0x2
	v_pk_mul_f32 v[92:93], v[82:83], v[66:67] op_sel:[1,1] op_sel_hi:[0,1]
	v_dual_mov_b32 v56, v69 :: v_dual_mov_b32 v51, v75
	v_pk_fma_f32 v[58:59], v[80:81], v[64:65], v[52:53] op_sel_hi:[1,0,1]
	v_pk_add_f32 v[54:55], v[54:55], v[60:61]
	v_pk_fma_f32 v[52:53], v[80:81], v[64:65], v[52:53] neg_lo:[0,0,1] neg_hi:[0,0,1]
	v_pk_fma_f32 v[60:61], v[82:83], v[66:67], v[92:93] op_sel_hi:[1,0,1]
	v_pk_mul_f32 v[56:57], v[104:105], v[56:57] op_sel_hi:[1,0]
	v_mov_b32_e32 v53, v59
	v_pk_add_f32 v[50:51], v[54:55], v[50:51]
	v_pk_fma_f32 v[58:59], v[82:83], v[66:67], v[92:93] neg_lo:[0,0,1] neg_hi:[0,0,1]
	s_wait_loadcnt 0x1
	v_pk_mul_f32 v[54:55], v[86:87], v[70:71] op_sel:[1,1] op_sel_hi:[0,1]
	v_mov_b32_e32 v59, v61
	v_pk_fma_f32 v[60:61], v[84:85], v[68:69], v[56:57] op_sel_hi:[1,0,1]
	v_pk_add_f32 v[50:51], v[50:51], v[52:53]
	v_mov_b32_e32 v52, v73
	v_pk_fma_f32 v[56:57], v[84:85], v[68:69], v[56:57] neg_lo:[0,0,1] neg_hi:[0,0,1]
	v_pk_fma_f32 v[62:63], v[86:87], v[70:71], v[54:55] op_sel_hi:[1,0,1]
	v_mov_b32_e32 v57, v61
	v_pk_add_f32 v[50:51], v[50:51], v[58:59]
	v_pk_mul_f32 v[52:53], v[106:107], v[52:53] op_sel_hi:[1,0]
	v_pk_fma_f32 v[54:55], v[86:87], v[70:71], v[54:55] neg_lo:[0,0,1] neg_hi:[0,0,1]
	s_delay_alu instid0(VALU_DEP_3) | instskip(NEXT) | instid1(VALU_DEP_3)
	v_pk_add_f32 v[50:51], v[50:51], v[56:57]
	v_pk_fma_f32 v[56:57], v[88:89], v[72:73], v[52:53] op_sel_hi:[1,0,1]
	v_mov_b32_e32 v55, v63
	v_pk_fma_f32 v[52:53], v[88:89], v[72:73], v[52:53] neg_lo:[0,0,1] neg_hi:[0,0,1]
	s_delay_alu instid0(VALU_DEP_3) | instskip(NEXT) | instid1(VALU_DEP_3)
	v_mov_b32_e32 v53, v57
	v_pk_add_f32 v[50:51], v[50:51], v[54:55]
	s_delay_alu instid0(VALU_DEP_1) | instskip(SKIP_1) | instid1(VALU_DEP_1)
	v_pk_add_f32 v[50:51], v[50:51], v[52:53]
	s_wait_loadcnt 0x0
	v_pk_add_f32 v[50:51], v[98:99], v[50:51] neg_lo:[0,1] neg_hi:[0,1]
	scratch_store_b64 off, v[50:51], off offset:88
	s_wait_xcnt 0x0
	v_cmpx_lt_u32_e32 10, v0
	s_cbranch_execz .LBB87_137
; %bb.136:
	scratch_load_b64 v[50:51], off, off offset:80
	v_mov_b64_e32 v[52:53], 0
	scratch_store_b64 off, v[52:53], off offset:80
	s_wait_loadcnt 0x0
	ds_store_b64 v1, v[50:51]
.LBB87_137:
	s_wait_xcnt 0x0
	s_or_b32 exec_lo, exec_lo, s0
	s_wait_storecnt_dscnt 0x0
	s_barrier_signal -1
	s_barrier_wait -1
	s_clause 0x7
	scratch_load_b128 v[50:53], off, off offset:88
	scratch_load_b128 v[54:57], off, off offset:104
	scratch_load_b128 v[58:61], off, off offset:120
	scratch_load_b128 v[62:65], off, off offset:136
	scratch_load_b128 v[66:69], off, off offset:152
	scratch_load_b128 v[70:73], off, off offset:168
	scratch_load_b64 v[98:99], off, off offset:184
	scratch_load_b64 v[100:101], off, off offset:80
	v_mov_b32_e32 v7, 0
	ds_load_2addr_b64 v[74:77], v7 offset0:39 offset1:40
	ds_load_2addr_b64 v[78:81], v7 offset0:41 offset1:42
	;; [unrolled: 1-line block ×6, first 2 shown]
	ds_load_b64 v[102:103], v7 offset:376
	s_mov_b32 s0, exec_lo
	s_wait_dscnt 0x6
	v_dual_mov_b32 v104, v77 :: v_dual_mov_b32 v105, v76
	s_wait_dscnt 0x3
	v_dual_mov_b32 v106, v81 :: v_dual_mov_b32 v111, v88
	v_dual_mov_b32 v107, v80 :: v_dual_mov_b32 v108, v85
	;; [unrolled: 1-line block ×3, first 2 shown]
	s_wait_loadcnt_dscnt 0x702
	v_dual_mul_f32 v9, v90, v51 :: v_dual_mul_f32 v15, v91, v51
	v_dual_mul_f32 v17, v93, v53 :: v_dual_mul_f32 v11, v92, v53
	s_wait_loadcnt_dscnt 0x601
	s_delay_alu instid0(VALU_DEP_2) | instskip(NEXT) | instid1(VALU_DEP_3)
	v_dual_mul_f32 v13, v94, v55 :: v_dual_fmac_f32 v9, v91, v50
	v_dual_fma_f32 v15, v90, v50, -v15 :: v_dual_mul_f32 v19, v95, v55
	v_mul_f32_e32 v21, v97, v57
	s_wait_loadcnt 0x4
	v_dual_mov_b32 v50, v65 :: v_dual_fma_f32 v17, v92, v52, -v17
	v_dual_fmac_f32 v11, v93, v52 :: v_dual_add_f32 v9, 0, v9
	v_dual_add_f32 v15, 0, v15 :: v_dual_fmac_f32 v13, v95, v54
	v_dual_mul_f32 v113, v96, v57 :: v_dual_mul_f32 v115, v74, v59
	v_dual_mul_f32 v23, v75, v59 :: v_dual_mov_b32 v114, v61
	s_delay_alu instid0(VALU_DEP_4) | instskip(NEXT) | instid1(VALU_DEP_3)
	v_dual_fma_f32 v19, v94, v54, -v19 :: v_dual_add_f32 v9, v9, v11
	v_dual_add_f32 v11, v15, v17 :: v_dual_fmac_f32 v113, v97, v56
	v_pk_mul_f32 v[116:117], v[78:79], v[62:63] op_sel:[1,1] op_sel_hi:[0,1]
	s_delay_alu instid0(VALU_DEP_3)
	v_dual_fma_f32 v112, v96, v56, -v21 :: v_dual_add_f32 v57, v9, v13
	v_pk_mul_f32 v[54:55], v[104:105], v[114:115] op_sel_hi:[1,0]
	s_wait_loadcnt 0x3
	v_dual_add_f32 v56, v11, v19 :: v_dual_mov_b32 v90, v69
	v_fmac_f32_e32 v115, v75, v58
	v_fma_f32 v114, v74, v58, -v23
	v_pk_fma_f32 v[58:59], v[76:77], v[60:61], v[54:55] op_sel_hi:[1,0,1]
	s_delay_alu instid0(VALU_DEP_4) | instskip(SKIP_4) | instid1(VALU_DEP_4)
	v_pk_add_f32 v[56:57], v[56:57], v[112:113]
	v_pk_fma_f32 v[74:75], v[78:79], v[62:63], v[116:117] op_sel_hi:[1,0,1]
	v_pk_fma_f32 v[54:55], v[76:77], v[60:61], v[54:55] neg_lo:[0,0,1] neg_hi:[0,0,1]
	v_pk_fma_f32 v[60:61], v[78:79], v[62:63], v[116:117] neg_lo:[0,0,1] neg_hi:[0,0,1]
	v_pk_mul_f32 v[50:51], v[106:107], v[50:51] op_sel_hi:[1,0]
	v_dual_mov_b32 v55, v59 :: v_dual_mov_b32 v61, v75
	v_pk_add_f32 v[56:57], v[56:57], v[114:115]
	v_pk_mul_f32 v[52:53], v[82:83], v[66:67] op_sel:[1,1] op_sel_hi:[0,1]
	s_delay_alu instid0(VALU_DEP_4)
	v_pk_fma_f32 v[62:63], v[80:81], v[64:65], v[50:51] op_sel_hi:[1,0,1]
	v_pk_fma_f32 v[50:51], v[80:81], v[64:65], v[50:51] neg_lo:[0,0,1] neg_hi:[0,0,1]
	v_pk_mul_f32 v[74:75], v[108:109], v[90:91] op_sel_hi:[1,0]
	v_pk_add_f32 v[54:55], v[56:57], v[54:55]
	v_pk_fma_f32 v[56:57], v[82:83], v[66:67], v[52:53] op_sel_hi:[1,0,1]
	s_wait_loadcnt 0x2
	v_dual_mov_b32 v51, v63 :: v_dual_mov_b32 v56, v73
	v_pk_fma_f32 v[52:53], v[82:83], v[66:67], v[52:53] neg_lo:[0,0,1] neg_hi:[0,0,1]
	v_pk_add_f32 v[54:55], v[54:55], v[60:61]
	v_pk_mul_f32 v[58:59], v[86:87], v[70:71] op_sel:[1,1] op_sel_hi:[0,1]
	v_pk_fma_f32 v[60:61], v[84:85], v[68:69], v[74:75] op_sel_hi:[1,0,1]
	v_mov_b32_e32 v53, v57
	v_pk_fma_f32 v[62:63], v[84:85], v[68:69], v[74:75] neg_lo:[0,0,1] neg_hi:[0,0,1]
	v_pk_add_f32 v[50:51], v[54:55], v[50:51]
	v_pk_fma_f32 v[54:55], v[86:87], v[70:71], v[58:59] op_sel_hi:[1,0,1]
	v_pk_mul_f32 v[56:57], v[110:111], v[56:57] op_sel_hi:[1,0]
	v_mov_b32_e32 v63, v61
	s_delay_alu instid0(VALU_DEP_4)
	v_pk_add_f32 v[50:51], v[50:51], v[52:53]
	v_pk_fma_f32 v[52:53], v[86:87], v[70:71], v[58:59] neg_lo:[0,0,1] neg_hi:[0,0,1]
	v_mov_b32_e32 v53, v55
	v_pk_fma_f32 v[54:55], v[88:89], v[72:73], v[56:57] op_sel_hi:[1,0,1]
	s_wait_loadcnt_dscnt 0x100
	v_pk_mul_f32 v[58:59], v[102:103], v[98:99] op_sel:[1,1] op_sel_hi:[0,1]
	v_pk_add_f32 v[50:51], v[50:51], v[62:63]
	v_pk_fma_f32 v[56:57], v[88:89], v[72:73], v[56:57] neg_lo:[0,0,1] neg_hi:[0,0,1]
	v_mov_b32_e32 v57, v55
	s_delay_alu instid0(VALU_DEP_4) | instskip(NEXT) | instid1(VALU_DEP_4)
	v_pk_fma_f32 v[54:55], v[102:103], v[98:99], v[58:59] neg_lo:[0,0,1] neg_hi:[0,0,1]
	v_pk_add_f32 v[50:51], v[50:51], v[52:53]
	v_pk_fma_f32 v[52:53], v[102:103], v[98:99], v[58:59] op_sel_hi:[1,0,1]
	s_delay_alu instid0(VALU_DEP_2) | instskip(NEXT) | instid1(VALU_DEP_2)
	v_pk_add_f32 v[50:51], v[50:51], v[56:57]
	v_mov_b32_e32 v55, v53
	s_delay_alu instid0(VALU_DEP_1) | instskip(SKIP_1) | instid1(VALU_DEP_1)
	v_pk_add_f32 v[50:51], v[50:51], v[54:55]
	s_wait_loadcnt 0x0
	v_pk_add_f32 v[50:51], v[100:101], v[50:51] neg_lo:[0,1] neg_hi:[0,1]
	scratch_store_b64 off, v[50:51], off offset:80
	s_wait_xcnt 0x0
	v_cmpx_lt_u32_e32 9, v0
	s_cbranch_execz .LBB87_139
; %bb.138:
	scratch_load_b64 v[50:51], off, off offset:72
	v_mov_b64_e32 v[52:53], 0
	scratch_store_b64 off, v[52:53], off offset:72
	s_wait_loadcnt 0x0
	ds_store_b64 v1, v[50:51]
.LBB87_139:
	s_wait_xcnt 0x0
	s_or_b32 exec_lo, exec_lo, s0
	s_wait_storecnt_dscnt 0x0
	s_barrier_signal -1
	s_barrier_wait -1
	s_clause 0x7
	scratch_load_b128 v[50:53], off, off offset:80
	scratch_load_b128 v[54:57], off, off offset:96
	;; [unrolled: 1-line block ×7, first 2 shown]
	scratch_load_b64 v[106:107], off, off offset:72
	ds_load_b128 v[78:81], v7 offset:320
	ds_load_b128 v[82:85], v7 offset:336
	ds_load_b128 v[86:89], v7 offset:352
	ds_load_b128 v[90:93], v7 offset:368
	ds_load_b128 v[94:97], v7 offset:272
	ds_load_b128 v[98:101], v7 offset:288
	ds_load_b128 v[102:105], v7 offset:304
	s_mov_b32 s0, exec_lo
	s_wait_dscnt 0x6
	v_dual_mov_b32 v108, v81 :: v_dual_mov_b32 v109, v80
	s_wait_dscnt 0x5
	v_dual_mov_b32 v110, v85 :: v_dual_mov_b32 v111, v84
	;; [unrolled: 2-line block ×4, first 2 shown]
	s_wait_loadcnt_dscnt 0x702
	v_dual_mul_f32 v7, v94, v51 :: v_dual_mul_f32 v9, v96, v53
	v_dual_mul_f32 v15, v95, v51 :: v_dual_mul_f32 v17, v97, v53
	s_wait_loadcnt_dscnt 0x601
	v_dual_mul_f32 v11, v98, v55 :: v_dual_mul_f32 v13, v100, v57
	s_delay_alu instid0(VALU_DEP_3) | instskip(NEXT) | instid1(VALU_DEP_3)
	v_dual_fmac_f32 v7, v95, v50 :: v_dual_fmac_f32 v9, v97, v52
	v_dual_fma_f32 v15, v94, v50, -v15 :: v_dual_fma_f32 v17, v96, v52, -v17
	v_dual_mul_f32 v19, v99, v55 :: v_dual_mul_f32 v21, v101, v57
	s_wait_loadcnt 0x4
	s_delay_alu instid0(VALU_DEP_3) | instskip(NEXT) | instid1(VALU_DEP_3)
	v_dual_add_f32 v7, 0, v7 :: v_dual_mov_b32 v52, v65
	v_dual_add_f32 v15, 0, v15 :: v_dual_fmac_f32 v11, v99, v54
	s_delay_alu instid0(VALU_DEP_2) | instskip(SKIP_2) | instid1(VALU_DEP_3)
	v_dual_fma_f32 v19, v98, v54, -v19 :: v_dual_add_f32 v7, v7, v9
	s_wait_dscnt 0x0
	v_dual_mul_f32 v117, v102, v59 :: v_dual_mul_f32 v119, v104, v61
	v_dual_add_f32 v9, v15, v17 :: v_dual_fmac_f32 v13, v101, v56
	v_dual_mul_f32 v23, v103, v59 :: v_dual_mul_f32 v25, v105, v61
	v_dual_fma_f32 v15, v100, v56, -v21 :: v_dual_add_f32 v7, v7, v11
	s_delay_alu instid0(VALU_DEP_3) | instskip(SKIP_3) | instid1(VALU_DEP_3)
	v_dual_add_f32 v9, v9, v19 :: v_dual_fmac_f32 v117, v103, v58
	v_pk_mul_f32 v[50:51], v[78:79], v[62:63] op_sel:[1,1] op_sel_hi:[0,1]
	s_wait_loadcnt 0x3
	v_dual_mov_b32 v56, v69 :: v_dual_fma_f32 v116, v102, v58, -v23
	v_dual_add_f32 v59, v7, v13 :: v_dual_add_f32 v58, v9, v15
	v_dual_fmac_f32 v119, v105, v60 :: v_dual_fma_f32 v118, v104, v60, -v25
	v_pk_fma_f32 v[60:61], v[78:79], v[62:63], v[50:51] op_sel_hi:[1,0,1]
	v_pk_mul_f32 v[52:53], v[108:109], v[52:53] op_sel_hi:[1,0]
	s_delay_alu instid0(VALU_DEP_4)
	v_pk_add_f32 v[58:59], v[58:59], v[116:117]
	v_pk_fma_f32 v[50:51], v[78:79], v[62:63], v[50:51] neg_lo:[0,0,1] neg_hi:[0,0,1]
	v_pk_mul_f32 v[54:55], v[82:83], v[66:67] op_sel:[1,1] op_sel_hi:[0,1]
	v_mov_b32_e32 v51, v61
	v_pk_fma_f32 v[60:61], v[80:81], v[64:65], v[52:53] op_sel_hi:[1,0,1]
	v_pk_add_f32 v[58:59], v[58:59], v[118:119]
	v_pk_fma_f32 v[52:53], v[80:81], v[64:65], v[52:53] neg_lo:[0,0,1] neg_hi:[0,0,1]
	v_pk_fma_f32 v[62:63], v[82:83], v[66:67], v[54:55] op_sel_hi:[1,0,1]
	v_pk_mul_f32 v[56:57], v[110:111], v[56:57] op_sel_hi:[1,0]
	v_mov_b32_e32 v53, v61
	v_pk_add_f32 v[50:51], v[58:59], v[50:51]
	s_wait_loadcnt 0x2
	v_pk_mul_f32 v[94:95], v[86:87], v[70:71] op_sel:[1,1] op_sel_hi:[0,1]
	v_mov_b32_e32 v58, v73
	v_pk_fma_f32 v[54:55], v[82:83], v[66:67], v[54:55] neg_lo:[0,0,1] neg_hi:[0,0,1]
	v_mov_b32_e32 v55, v63
	v_pk_fma_f32 v[60:61], v[84:85], v[68:69], v[56:57] op_sel_hi:[1,0,1]
	v_pk_add_f32 v[50:51], v[50:51], v[52:53]
	v_pk_fma_f32 v[52:53], v[86:87], v[70:71], v[94:95] op_sel_hi:[1,0,1]
	v_pk_mul_f32 v[58:59], v[112:113], v[58:59] op_sel_hi:[1,0]
	v_pk_fma_f32 v[56:57], v[84:85], v[68:69], v[56:57] neg_lo:[0,0,1] neg_hi:[0,0,1]
	v_mov_b32_e32 v57, v61
	v_pk_add_f32 v[50:51], v[50:51], v[54:55]
	v_pk_fma_f32 v[60:61], v[86:87], v[70:71], v[94:95] neg_lo:[0,0,1] neg_hi:[0,0,1]
	v_mov_b32_e32 v61, v53
	v_pk_fma_f32 v[52:53], v[88:89], v[72:73], v[58:59] op_sel_hi:[1,0,1]
	s_wait_loadcnt 0x1
	v_pk_mul_f32 v[54:55], v[90:91], v[74:75] op_sel:[1,1] op_sel_hi:[0,1]
	v_pk_add_f32 v[50:51], v[50:51], v[56:57]
	v_mov_b32_e32 v52, v77
	v_pk_fma_f32 v[58:59], v[88:89], v[72:73], v[58:59] neg_lo:[0,0,1] neg_hi:[0,0,1]
	v_mov_b32_e32 v59, v53
	v_pk_fma_f32 v[56:57], v[90:91], v[74:75], v[54:55] op_sel_hi:[1,0,1]
	v_pk_add_f32 v[50:51], v[50:51], v[60:61]
	v_pk_mul_f32 v[52:53], v[114:115], v[52:53] op_sel_hi:[1,0]
	v_pk_fma_f32 v[54:55], v[90:91], v[74:75], v[54:55] neg_lo:[0,0,1] neg_hi:[0,0,1]
	s_delay_alu instid0(VALU_DEP_4) | instskip(NEXT) | instid1(VALU_DEP_4)
	v_mov_b32_e32 v55, v57
	v_pk_add_f32 v[50:51], v[50:51], v[58:59]
	s_delay_alu instid0(VALU_DEP_4) | instskip(SKIP_1) | instid1(VALU_DEP_2)
	v_pk_fma_f32 v[56:57], v[92:93], v[76:77], v[52:53] op_sel_hi:[1,0,1]
	v_pk_fma_f32 v[52:53], v[92:93], v[76:77], v[52:53] neg_lo:[0,0,1] neg_hi:[0,0,1]
	v_mov_b32_e32 v53, v57
	s_delay_alu instid0(VALU_DEP_4) | instskip(NEXT) | instid1(VALU_DEP_1)
	v_pk_add_f32 v[50:51], v[50:51], v[54:55]
	v_pk_add_f32 v[50:51], v[50:51], v[52:53]
	s_wait_loadcnt 0x0
	s_delay_alu instid0(VALU_DEP_1)
	v_pk_add_f32 v[50:51], v[106:107], v[50:51] neg_lo:[0,1] neg_hi:[0,1]
	scratch_store_b64 off, v[50:51], off offset:72
	s_wait_xcnt 0x0
	v_cmpx_lt_u32_e32 8, v0
	s_cbranch_execz .LBB87_141
; %bb.140:
	scratch_load_b64 v[50:51], off, off offset:64
	v_mov_b64_e32 v[52:53], 0
	scratch_store_b64 off, v[52:53], off offset:64
	s_wait_loadcnt 0x0
	ds_store_b64 v1, v[50:51]
.LBB87_141:
	s_wait_xcnt 0x0
	s_or_b32 exec_lo, exec_lo, s0
	s_wait_storecnt_dscnt 0x0
	s_barrier_signal -1
	s_barrier_wait -1
	s_clause 0x8
	scratch_load_b128 v[50:53], off, off offset:72
	scratch_load_b128 v[54:57], off, off offset:88
	;; [unrolled: 1-line block ×7, first 2 shown]
	scratch_load_b64 v[106:107], off, off offset:184
	scratch_load_b64 v[108:109], off, off offset:64
	v_mov_b32_e32 v7, 0
	ds_load_2addr_b64 v[78:81], v7 offset0:39 offset1:40
	ds_load_2addr_b64 v[82:85], v7 offset0:41 offset1:42
	ds_load_2addr_b64 v[86:89], v7 offset0:43 offset1:44
	ds_load_2addr_b64 v[90:93], v7 offset0:45 offset1:46
	ds_load_2addr_b64 v[94:97], v7 offset0:33 offset1:34
	ds_load_2addr_b64 v[98:101], v7 offset0:35 offset1:36
	ds_load_2addr_b64 v[102:105], v7 offset0:37 offset1:38
	ds_load_b64 v[110:111], v7 offset:376
	s_mov_b32 s0, exec_lo
	s_wait_dscnt 0x7
	v_dual_mov_b32 v112, v81 :: v_dual_mov_b32 v113, v80
	s_wait_dscnt 0x4
	v_dual_mov_b32 v114, v85 :: v_dual_mov_b32 v119, v92
	v_dual_mov_b32 v115, v84 :: v_dual_mov_b32 v116, v89
	;; [unrolled: 1-line block ×3, first 2 shown]
	s_wait_loadcnt_dscnt 0x803
	v_dual_mul_f32 v9, v94, v51 :: v_dual_mul_f32 v19, v95, v51
	v_dual_mul_f32 v21, v97, v53 :: v_dual_mul_f32 v11, v96, v53
	s_wait_loadcnt_dscnt 0x702
	v_mul_f32_e32 v13, v98, v55
	s_wait_loadcnt 0x5
	v_dual_mul_f32 v31, v79, v63 :: v_dual_fma_f32 v19, v94, v50, -v19
	v_dual_fmac_f32 v9, v95, v50 :: v_dual_mov_b32 v50, v65
	v_dual_mul_f32 v23, v99, v55 :: v_dual_mul_f32 v25, v101, v57
	v_dual_fmac_f32 v11, v97, v52 :: v_dual_fma_f32 v21, v96, v52, -v21
	s_delay_alu instid0(VALU_DEP_3) | instskip(SKIP_3) | instid1(VALU_DEP_3)
	v_dual_add_f32 v9, 0, v9 :: v_dual_add_f32 v19, 0, v19
	s_wait_dscnt 0x1
	v_dual_mul_f32 v15, v100, v57 :: v_dual_mul_f32 v17, v102, v59
	v_dual_fmac_f32 v13, v99, v54 :: v_dual_fma_f32 v23, v98, v54, -v23
	v_dual_add_f32 v9, v9, v11 :: v_dual_add_f32 v11, v19, v21
	v_dual_mul_f32 v27, v103, v59 :: v_dual_mul_f32 v29, v105, v61
	s_wait_loadcnt 0x4
	v_dual_mov_b32 v54, v69 :: v_dual_fma_f32 v19, v100, v56, -v25
	s_delay_alu instid0(VALU_DEP_3) | instskip(SKIP_2) | instid1(VALU_DEP_2)
	v_dual_fmac_f32 v15, v101, v56 :: v_dual_add_f32 v11, v11, v23
	v_dual_add_f32 v9, v9, v13 :: v_dual_fmac_f32 v17, v103, v58
	v_dual_mul_f32 v121, v104, v61 :: v_dual_mul_f32 v123, v78, v63
	v_dual_fma_f32 v13, v102, v58, -v27 :: v_dual_add_f32 v9, v9, v15
	s_delay_alu instid0(VALU_DEP_2) | instskip(SKIP_1) | instid1(VALU_DEP_3)
	v_dual_add_f32 v11, v11, v19 :: v_dual_fmac_f32 v121, v105, v60
	v_pk_mul_f32 v[52:53], v[82:83], v[66:67] op_sel:[1,1] op_sel_hi:[0,1]
	v_dual_fma_f32 v120, v104, v60, -v29 :: v_dual_add_f32 v59, v9, v17
	v_pk_mul_f32 v[50:51], v[112:113], v[50:51] op_sel_hi:[1,0]
	s_wait_loadcnt 0x3
	v_dual_add_f32 v58, v11, v13 :: v_dual_mov_b32 v60, v73
	v_fmac_f32_e32 v123, v79, v62
	v_fma_f32 v122, v78, v62, -v31
	v_pk_fma_f32 v[62:63], v[80:81], v[64:65], v[50:51] op_sel_hi:[1,0,1]
	s_delay_alu instid0(VALU_DEP_4) | instskip(SKIP_4) | instid1(VALU_DEP_4)
	v_pk_add_f32 v[58:59], v[58:59], v[120:121]
	v_pk_fma_f32 v[78:79], v[82:83], v[66:67], v[52:53] op_sel_hi:[1,0,1]
	v_pk_fma_f32 v[50:51], v[80:81], v[64:65], v[50:51] neg_lo:[0,0,1] neg_hi:[0,0,1]
	v_pk_fma_f32 v[52:53], v[82:83], v[66:67], v[52:53] neg_lo:[0,0,1] neg_hi:[0,0,1]
	v_pk_mul_f32 v[54:55], v[114:115], v[54:55] op_sel_hi:[1,0]
	v_dual_mov_b32 v51, v63 :: v_dual_mov_b32 v53, v79
	v_pk_add_f32 v[58:59], v[58:59], v[122:123]
	v_pk_mul_f32 v[56:57], v[86:87], v[70:71] op_sel:[1,1] op_sel_hi:[0,1]
	s_delay_alu instid0(VALU_DEP_4)
	v_pk_fma_f32 v[64:65], v[84:85], v[68:69], v[54:55] op_sel_hi:[1,0,1]
	v_pk_fma_f32 v[54:55], v[84:85], v[68:69], v[54:55] neg_lo:[0,0,1] neg_hi:[0,0,1]
	v_pk_mul_f32 v[60:61], v[116:117], v[60:61] op_sel_hi:[1,0]
	v_pk_add_f32 v[50:51], v[58:59], v[50:51]
	v_pk_fma_f32 v[58:59], v[86:87], v[70:71], v[56:57] op_sel_hi:[1,0,1]
	v_mov_b32_e32 v55, v65
	v_pk_fma_f32 v[56:57], v[86:87], v[70:71], v[56:57] neg_lo:[0,0,1] neg_hi:[0,0,1]
	s_wait_loadcnt 0x2
	v_pk_mul_f32 v[62:63], v[90:91], v[74:75] op_sel:[1,1] op_sel_hi:[0,1]
	v_pk_add_f32 v[50:51], v[50:51], v[52:53]
	v_dual_mov_b32 v52, v77 :: v_dual_mov_b32 v57, v59
	v_pk_fma_f32 v[58:59], v[88:89], v[72:73], v[60:61] op_sel_hi:[1,0,1]
	v_pk_fma_f32 v[60:61], v[88:89], v[72:73], v[60:61] neg_lo:[0,0,1] neg_hi:[0,0,1]
	s_delay_alu instid0(VALU_DEP_4)
	v_pk_add_f32 v[50:51], v[50:51], v[54:55]
	v_pk_fma_f32 v[54:55], v[90:91], v[74:75], v[62:63] op_sel_hi:[1,0,1]
	v_pk_mul_f32 v[52:53], v[118:119], v[52:53] op_sel_hi:[1,0]
	v_mov_b32_e32 v61, v59
	s_wait_loadcnt_dscnt 0x100
	v_pk_mul_f32 v[58:59], v[110:111], v[106:107] op_sel:[1,1] op_sel_hi:[0,1]
	v_pk_add_f32 v[50:51], v[50:51], v[56:57]
	v_pk_fma_f32 v[56:57], v[90:91], v[74:75], v[62:63] neg_lo:[0,0,1] neg_hi:[0,0,1]
	v_mov_b32_e32 v57, v55
	v_pk_fma_f32 v[54:55], v[92:93], v[76:77], v[52:53] op_sel_hi:[1,0,1]
	v_pk_fma_f32 v[52:53], v[92:93], v[76:77], v[52:53] neg_lo:[0,0,1] neg_hi:[0,0,1]
	v_pk_add_f32 v[50:51], v[50:51], v[60:61]
	s_delay_alu instid0(VALU_DEP_3) | instskip(SKIP_1) | instid1(VALU_DEP_3)
	v_mov_b32_e32 v53, v55
	v_pk_fma_f32 v[54:55], v[110:111], v[106:107], v[58:59] op_sel_hi:[1,0,1]
	v_pk_add_f32 v[50:51], v[50:51], v[56:57]
	v_pk_fma_f32 v[56:57], v[110:111], v[106:107], v[58:59] neg_lo:[0,0,1] neg_hi:[0,0,1]
	s_delay_alu instid0(VALU_DEP_3) | instskip(NEXT) | instid1(VALU_DEP_3)
	v_mov_b32_e32 v57, v55
	v_pk_add_f32 v[50:51], v[50:51], v[52:53]
	s_delay_alu instid0(VALU_DEP_1) | instskip(SKIP_1) | instid1(VALU_DEP_1)
	v_pk_add_f32 v[50:51], v[50:51], v[56:57]
	s_wait_loadcnt 0x0
	v_pk_add_f32 v[50:51], v[108:109], v[50:51] neg_lo:[0,1] neg_hi:[0,1]
	scratch_store_b64 off, v[50:51], off offset:64
	s_wait_xcnt 0x0
	v_cmpx_lt_u32_e32 7, v0
	s_cbranch_execz .LBB87_143
; %bb.142:
	scratch_load_b64 v[50:51], off, off offset:56
	v_mov_b64_e32 v[52:53], 0
	scratch_store_b64 off, v[52:53], off offset:56
	s_wait_loadcnt 0x0
	ds_store_b64 v1, v[50:51]
.LBB87_143:
	s_wait_xcnt 0x0
	s_or_b32 exec_lo, exec_lo, s0
	s_wait_storecnt_dscnt 0x0
	s_barrier_signal -1
	s_barrier_wait -1
	s_clause 0x8
	scratch_load_b128 v[50:53], off, off offset:64
	scratch_load_b128 v[54:57], off, off offset:80
	;; [unrolled: 1-line block ×8, first 2 shown]
	scratch_load_b64 v[114:115], off, off offset:56
	ds_load_b128 v[82:85], v7 offset:320
	ds_load_b128 v[86:89], v7 offset:336
	;; [unrolled: 1-line block ×8, first 2 shown]
	s_mov_b32 s0, exec_lo
	s_wait_dscnt 0x7
	v_dual_mov_b32 v116, v85 :: v_dual_mov_b32 v117, v84
	s_wait_dscnt 0x6
	v_dual_mov_b32 v118, v89 :: v_dual_mov_b32 v119, v88
	;; [unrolled: 2-line block ×4, first 2 shown]
	s_wait_loadcnt_dscnt 0x803
	v_dual_mul_f32 v7, v98, v51 :: v_dual_mul_f32 v9, v100, v53
	v_dual_mul_f32 v19, v99, v51 :: v_dual_mul_f32 v21, v101, v53
	s_wait_loadcnt_dscnt 0x702
	v_dual_mul_f32 v11, v102, v55 :: v_dual_mul_f32 v13, v104, v57
	s_delay_alu instid0(VALU_DEP_3) | instskip(SKIP_3) | instid1(VALU_DEP_3)
	v_dual_fmac_f32 v7, v99, v50 :: v_dual_fmac_f32 v9, v101, v52
	s_wait_loadcnt_dscnt 0x500
	v_dual_fma_f32 v19, v98, v50, -v19 :: v_dual_mul_f32 v31, v111, v63
	v_dual_mul_f32 v23, v103, v55 :: v_dual_mul_f32 v25, v105, v57
	v_dual_fma_f32 v21, v100, v52, -v21 :: v_dual_add_f32 v7, 0, v7
	s_delay_alu instid0(VALU_DEP_3) | instskip(SKIP_1) | instid1(VALU_DEP_3)
	v_dual_add_f32 v19, 0, v19 :: v_dual_mul_f32 v33, v113, v65
	v_dual_fmac_f32 v11, v103, v54 :: v_dual_fmac_f32 v13, v105, v56
	v_dual_fma_f32 v23, v102, v54, -v23 :: v_dual_add_f32 v7, v7, v9
	s_delay_alu instid0(VALU_DEP_3) | instskip(SKIP_4) | instid1(VALU_DEP_3)
	v_dual_add_f32 v9, v19, v21 :: v_dual_fma_f32 v19, v104, v56, -v25
	v_dual_mul_f32 v15, v106, v59 :: v_dual_mul_f32 v17, v108, v61
	v_dual_mul_f32 v27, v107, v59 :: v_dual_mul_f32 v29, v109, v61
	s_wait_loadcnt 0x4
	v_dual_add_f32 v7, v7, v11 :: v_dual_mov_b32 v52, v69
	v_dual_add_f32 v9, v9, v23 :: v_dual_fmac_f32 v15, v107, v58
	s_delay_alu instid0(VALU_DEP_2) | instskip(SKIP_1) | instid1(VALU_DEP_3)
	v_dual_fma_f32 v11, v106, v58, -v27 :: v_dual_add_f32 v7, v7, v13
	v_dual_mul_f32 v125, v110, v63 :: v_dual_mul_f32 v127, v112, v65
	v_dual_add_f32 v9, v9, v19 :: v_dual_fma_f32 v13, v108, v60, -v29
	s_delay_alu instid0(VALU_DEP_3) | instskip(SKIP_1) | instid1(VALU_DEP_3)
	v_dual_fmac_f32 v17, v109, v60 :: v_dual_add_f32 v7, v7, v15
	v_pk_mul_f32 v[50:51], v[82:83], v[66:67] op_sel:[1,1] op_sel_hi:[0,1]
	v_dual_add_f32 v9, v9, v11 :: v_dual_fmac_f32 v125, v111, v62
	s_wait_loadcnt 0x3
	v_dual_mov_b32 v56, v73 :: v_dual_fma_f32 v124, v110, v62, -v31
	v_dual_add_f32 v59, v7, v17 :: v_dual_fmac_f32 v127, v113, v64
	s_delay_alu instid0(VALU_DEP_3) | instskip(SKIP_3) | instid1(VALU_DEP_4)
	v_dual_add_f32 v58, v9, v13 :: v_dual_fma_f32 v126, v112, v64, -v33
	v_pk_fma_f32 v[60:61], v[82:83], v[66:67], v[50:51] op_sel_hi:[1,0,1]
	v_pk_mul_f32 v[52:53], v[116:117], v[52:53] op_sel_hi:[1,0]
	v_pk_fma_f32 v[50:51], v[82:83], v[66:67], v[50:51] neg_lo:[0,0,1] neg_hi:[0,0,1]
	v_pk_add_f32 v[58:59], v[58:59], v[124:125]
	v_pk_mul_f32 v[54:55], v[86:87], v[70:71] op_sel:[1,1] op_sel_hi:[0,1]
	v_mov_b32_e32 v51, v61
	v_pk_fma_f32 v[60:61], v[84:85], v[68:69], v[52:53] op_sel_hi:[1,0,1]
	v_pk_fma_f32 v[52:53], v[84:85], v[68:69], v[52:53] neg_lo:[0,0,1] neg_hi:[0,0,1]
	v_pk_add_f32 v[58:59], v[58:59], v[126:127]
	v_pk_fma_f32 v[64:65], v[86:87], v[70:71], v[54:55] op_sel_hi:[1,0,1]
	v_pk_mul_f32 v[56:57], v[118:119], v[56:57] op_sel_hi:[1,0]
	v_mov_b32_e32 v53, v61
	s_wait_loadcnt 0x2
	v_pk_mul_f32 v[62:63], v[90:91], v[74:75] op_sel:[1,1] op_sel_hi:[0,1]
	v_pk_add_f32 v[50:51], v[58:59], v[50:51]
	v_mov_b32_e32 v58, v77
	v_pk_fma_f32 v[54:55], v[86:87], v[70:71], v[54:55] neg_lo:[0,0,1] neg_hi:[0,0,1]
	v_mov_b32_e32 v55, v65
	v_pk_fma_f32 v[60:61], v[88:89], v[72:73], v[56:57] op_sel_hi:[1,0,1]
	v_pk_add_f32 v[50:51], v[50:51], v[52:53]
	v_pk_fma_f32 v[52:53], v[90:91], v[74:75], v[62:63] op_sel_hi:[1,0,1]
	v_pk_mul_f32 v[58:59], v[120:121], v[58:59] op_sel_hi:[1,0]
	v_pk_fma_f32 v[56:57], v[88:89], v[72:73], v[56:57] neg_lo:[0,0,1] neg_hi:[0,0,1]
	v_mov_b32_e32 v57, v61
	v_pk_add_f32 v[50:51], v[50:51], v[54:55]
	v_pk_fma_f32 v[60:61], v[90:91], v[74:75], v[62:63] neg_lo:[0,0,1] neg_hi:[0,0,1]
	v_mov_b32_e32 v61, v53
	v_pk_fma_f32 v[52:53], v[92:93], v[76:77], v[58:59] op_sel_hi:[1,0,1]
	s_wait_loadcnt 0x1
	v_pk_mul_f32 v[54:55], v[94:95], v[78:79] op_sel:[1,1] op_sel_hi:[0,1]
	v_pk_add_f32 v[50:51], v[50:51], v[56:57]
	v_mov_b32_e32 v52, v81
	v_pk_fma_f32 v[58:59], v[92:93], v[76:77], v[58:59] neg_lo:[0,0,1] neg_hi:[0,0,1]
	v_mov_b32_e32 v59, v53
	v_pk_fma_f32 v[56:57], v[94:95], v[78:79], v[54:55] op_sel_hi:[1,0,1]
	v_pk_add_f32 v[50:51], v[50:51], v[60:61]
	v_pk_mul_f32 v[52:53], v[122:123], v[52:53] op_sel_hi:[1,0]
	v_pk_fma_f32 v[54:55], v[94:95], v[78:79], v[54:55] neg_lo:[0,0,1] neg_hi:[0,0,1]
	s_delay_alu instid0(VALU_DEP_4) | instskip(NEXT) | instid1(VALU_DEP_4)
	v_mov_b32_e32 v55, v57
	v_pk_add_f32 v[50:51], v[50:51], v[58:59]
	s_delay_alu instid0(VALU_DEP_4) | instskip(SKIP_1) | instid1(VALU_DEP_2)
	v_pk_fma_f32 v[56:57], v[96:97], v[80:81], v[52:53] op_sel_hi:[1,0,1]
	v_pk_fma_f32 v[52:53], v[96:97], v[80:81], v[52:53] neg_lo:[0,0,1] neg_hi:[0,0,1]
	v_mov_b32_e32 v53, v57
	s_delay_alu instid0(VALU_DEP_4) | instskip(NEXT) | instid1(VALU_DEP_1)
	v_pk_add_f32 v[50:51], v[50:51], v[54:55]
	v_pk_add_f32 v[50:51], v[50:51], v[52:53]
	s_wait_loadcnt 0x0
	s_delay_alu instid0(VALU_DEP_1)
	v_pk_add_f32 v[50:51], v[114:115], v[50:51] neg_lo:[0,1] neg_hi:[0,1]
	scratch_store_b64 off, v[50:51], off offset:56
	s_wait_xcnt 0x0
	v_cmpx_lt_u32_e32 6, v0
	s_cbranch_execz .LBB87_145
; %bb.144:
	scratch_load_b64 v[50:51], off, off offset:48
	v_mov_b64_e32 v[52:53], 0
	scratch_store_b64 off, v[52:53], off offset:48
	s_wait_loadcnt 0x0
	ds_store_b64 v1, v[50:51]
.LBB87_145:
	s_wait_xcnt 0x0
	s_or_b32 exec_lo, exec_lo, s0
	s_wait_storecnt_dscnt 0x0
	s_barrier_signal -1
	s_barrier_wait -1
	s_clause 0x9
	scratch_load_b128 v[50:53], off, off offset:56
	scratch_load_b128 v[54:57], off, off offset:72
	;; [unrolled: 1-line block ×8, first 2 shown]
	scratch_load_b64 v[114:115], off, off offset:184
	scratch_load_b64 v[116:117], off, off offset:48
	v_mov_b32_e32 v7, 0
	ds_load_2addr_b64 v[82:85], v7 offset0:39 offset1:40
	ds_load_2addr_b64 v[86:89], v7 offset0:41 offset1:42
	ds_load_2addr_b64 v[90:93], v7 offset0:43 offset1:44
	ds_load_2addr_b64 v[94:97], v7 offset0:45 offset1:46
	ds_load_2addr_b64 v[98:101], v7 offset0:31 offset1:32
	ds_load_2addr_b64 v[102:105], v7 offset0:33 offset1:34
	ds_load_2addr_b64 v[106:109], v7 offset0:35 offset1:36
	ds_load_2addr_b64 v[110:113], v7 offset0:37 offset1:38
	ds_load_b64 v[118:119], v7 offset:376
	s_mov_b32 s0, exec_lo
	s_wait_dscnt 0x8
	v_dual_mov_b32 v120, v85 :: v_dual_mov_b32 v121, v84
	s_wait_dscnt 0x5
	v_dual_mov_b32 v122, v89 :: v_dual_mov_b32 v127, v96
	v_dual_mov_b32 v123, v88 :: v_dual_mov_b32 v124, v93
	;; [unrolled: 1-line block ×3, first 2 shown]
	s_wait_loadcnt_dscnt 0x904
	v_dual_mul_f32 v9, v98, v51 :: v_dual_mul_f32 v23, v99, v51
	v_dual_mul_f32 v25, v101, v53 :: v_dual_mul_f32 v11, v100, v53
	s_wait_loadcnt_dscnt 0x803
	v_mul_f32_e32 v13, v102, v55
	s_wait_loadcnt_dscnt 0x601
	v_dual_mul_f32 v35, v111, v63 :: v_dual_fma_f32 v23, v98, v50, -v23
	v_dual_fmac_f32 v9, v99, v50 :: v_dual_mul_f32 v37, v113, v65
	v_dual_mul_f32 v27, v103, v55 :: v_dual_mul_f32 v29, v105, v57
	v_dual_fmac_f32 v11, v101, v52 :: v_dual_fma_f32 v25, v100, v52, -v25
	s_delay_alu instid0(VALU_DEP_3) | instskip(SKIP_3) | instid1(VALU_DEP_3)
	v_dual_add_f32 v9, 0, v9 :: v_dual_add_f32 v23, 0, v23
	v_dual_mul_f32 v15, v104, v57 :: v_dual_mul_f32 v17, v106, v59
	s_wait_loadcnt 0x5
	v_dual_mul_f32 v39, v83, v67 :: v_dual_fma_f32 v27, v102, v54, -v27
	v_dual_fmac_f32 v13, v103, v54 :: v_dual_add_f32 v9, v9, v11
	v_dual_add_f32 v11, v23, v25 :: v_dual_mov_b32 v50, v69
	v_dual_mul_f32 v31, v107, v59 :: v_dual_mul_f32 v33, v109, v61
	v_dual_fmac_f32 v15, v105, v56 :: v_dual_fma_f32 v23, v104, v56, -v29
	s_delay_alu instid0(VALU_DEP_3) | instskip(SKIP_1) | instid1(VALU_DEP_4)
	v_dual_add_f32 v9, v9, v13 :: v_dual_add_f32 v11, v11, v27
	v_dual_mul_f32 v19, v108, v61 :: v_dual_mul_f32 v21, v110, v63
	v_dual_fmac_f32 v17, v107, v58 :: v_dual_fma_f32 v13, v106, v58, -v31
	s_delay_alu instid0(VALU_DEP_3) | instskip(SKIP_3) | instid1(VALU_DEP_3)
	v_dual_add_f32 v9, v9, v15 :: v_dual_fma_f32 v15, v108, v60, -v33
	s_wait_loadcnt 0x4
	v_dual_add_f32 v11, v11, v23 :: v_dual_mov_b32 v54, v73
	v_fmac_f32_e32 v19, v109, v60
	v_dual_add_f32 v9, v9, v17 :: v_dual_fmac_f32 v21, v111, v62
	s_delay_alu instid0(VALU_DEP_3) | instskip(SKIP_1) | instid1(VALU_DEP_3)
	v_add_f32_e32 v11, v11, v13
	v_dual_mul_f32 v129, v112, v65 :: v_dual_mul_f32 v131, v82, v67
	v_dual_fma_f32 v13, v110, v62, -v35 :: v_dual_add_f32 v9, v9, v19
	s_delay_alu instid0(VALU_DEP_2) | instskip(SKIP_1) | instid1(VALU_DEP_3)
	v_dual_add_f32 v11, v11, v15 :: v_dual_fmac_f32 v129, v113, v64
	v_pk_mul_f32 v[52:53], v[86:87], v[70:71] op_sel:[1,1] op_sel_hi:[0,1]
	v_dual_fma_f32 v128, v112, v64, -v37 :: v_dual_add_f32 v59, v9, v21
	v_pk_mul_f32 v[50:51], v[120:121], v[50:51] op_sel_hi:[1,0]
	s_wait_loadcnt 0x3
	v_dual_add_f32 v58, v11, v13 :: v_dual_mov_b32 v60, v77
	v_pk_fma_f32 v[64:65], v[86:87], v[70:71], v[52:53] op_sel_hi:[1,0,1]
	v_fmac_f32_e32 v131, v83, v66
	v_pk_fma_f32 v[62:63], v[84:85], v[68:69], v[50:51] op_sel_hi:[1,0,1]
	v_fma_f32 v130, v82, v66, -v39
	v_pk_add_f32 v[58:59], v[58:59], v[128:129]
	v_pk_fma_f32 v[50:51], v[84:85], v[68:69], v[50:51] neg_lo:[0,0,1] neg_hi:[0,0,1]
	v_pk_fma_f32 v[52:53], v[86:87], v[70:71], v[52:53] neg_lo:[0,0,1] neg_hi:[0,0,1]
	v_pk_mul_f32 v[54:55], v[122:123], v[54:55] op_sel_hi:[1,0]
	v_dual_mov_b32 v51, v63 :: v_dual_mov_b32 v53, v65
	v_pk_add_f32 v[58:59], v[58:59], v[130:131]
	v_pk_mul_f32 v[56:57], v[90:91], v[74:75] op_sel:[1,1] op_sel_hi:[0,1]
	s_delay_alu instid0(VALU_DEP_4)
	v_pk_fma_f32 v[64:65], v[88:89], v[72:73], v[54:55] op_sel_hi:[1,0,1]
	v_pk_fma_f32 v[54:55], v[88:89], v[72:73], v[54:55] neg_lo:[0,0,1] neg_hi:[0,0,1]
	v_pk_mul_f32 v[60:61], v[124:125], v[60:61] op_sel_hi:[1,0]
	v_pk_add_f32 v[50:51], v[58:59], v[50:51]
	v_pk_fma_f32 v[58:59], v[90:91], v[74:75], v[56:57] op_sel_hi:[1,0,1]
	v_mov_b32_e32 v55, v65
	v_pk_fma_f32 v[56:57], v[90:91], v[74:75], v[56:57] neg_lo:[0,0,1] neg_hi:[0,0,1]
	s_wait_loadcnt 0x2
	v_pk_mul_f32 v[62:63], v[94:95], v[78:79] op_sel:[1,1] op_sel_hi:[0,1]
	v_pk_add_f32 v[50:51], v[50:51], v[52:53]
	v_dual_mov_b32 v52, v81 :: v_dual_mov_b32 v57, v59
	v_pk_fma_f32 v[58:59], v[92:93], v[76:77], v[60:61] op_sel_hi:[1,0,1]
	v_pk_fma_f32 v[60:61], v[92:93], v[76:77], v[60:61] neg_lo:[0,0,1] neg_hi:[0,0,1]
	s_delay_alu instid0(VALU_DEP_4)
	v_pk_add_f32 v[50:51], v[50:51], v[54:55]
	v_pk_fma_f32 v[54:55], v[94:95], v[78:79], v[62:63] op_sel_hi:[1,0,1]
	v_pk_mul_f32 v[52:53], v[126:127], v[52:53] op_sel_hi:[1,0]
	v_mov_b32_e32 v61, v59
	s_wait_loadcnt_dscnt 0x100
	v_pk_mul_f32 v[58:59], v[118:119], v[114:115] op_sel:[1,1] op_sel_hi:[0,1]
	v_pk_add_f32 v[50:51], v[50:51], v[56:57]
	v_pk_fma_f32 v[56:57], v[94:95], v[78:79], v[62:63] neg_lo:[0,0,1] neg_hi:[0,0,1]
	v_mov_b32_e32 v57, v55
	v_pk_fma_f32 v[54:55], v[96:97], v[80:81], v[52:53] op_sel_hi:[1,0,1]
	v_pk_fma_f32 v[52:53], v[96:97], v[80:81], v[52:53] neg_lo:[0,0,1] neg_hi:[0,0,1]
	v_pk_add_f32 v[50:51], v[50:51], v[60:61]
	s_delay_alu instid0(VALU_DEP_3) | instskip(SKIP_1) | instid1(VALU_DEP_3)
	v_mov_b32_e32 v53, v55
	v_pk_fma_f32 v[54:55], v[118:119], v[114:115], v[58:59] op_sel_hi:[1,0,1]
	v_pk_add_f32 v[50:51], v[50:51], v[56:57]
	v_pk_fma_f32 v[56:57], v[118:119], v[114:115], v[58:59] neg_lo:[0,0,1] neg_hi:[0,0,1]
	s_delay_alu instid0(VALU_DEP_3) | instskip(NEXT) | instid1(VALU_DEP_3)
	v_mov_b32_e32 v57, v55
	v_pk_add_f32 v[50:51], v[50:51], v[52:53]
	s_delay_alu instid0(VALU_DEP_1) | instskip(SKIP_1) | instid1(VALU_DEP_1)
	v_pk_add_f32 v[50:51], v[50:51], v[56:57]
	s_wait_loadcnt 0x0
	v_pk_add_f32 v[50:51], v[116:117], v[50:51] neg_lo:[0,1] neg_hi:[0,1]
	scratch_store_b64 off, v[50:51], off offset:48
	s_wait_xcnt 0x0
	v_cmpx_lt_u32_e32 5, v0
	s_cbranch_execz .LBB87_147
; %bb.146:
	scratch_load_b64 v[50:51], off, off offset:40
	v_mov_b64_e32 v[52:53], 0
	scratch_store_b64 off, v[52:53], off offset:40
	s_wait_loadcnt 0x0
	ds_store_b64 v1, v[50:51]
.LBB87_147:
	s_wait_xcnt 0x0
	s_or_b32 exec_lo, exec_lo, s0
	s_wait_storecnt_dscnt 0x0
	s_barrier_signal -1
	s_barrier_wait -1
	s_clause 0x9
	scratch_load_b128 v[50:53], off, off offset:48
	scratch_load_b128 v[54:57], off, off offset:64
	;; [unrolled: 1-line block ×9, first 2 shown]
	scratch_load_b64 v[122:123], off, off offset:40
	ds_load_b128 v[86:89], v7 offset:320
	ds_load_b128 v[90:93], v7 offset:336
	;; [unrolled: 1-line block ×9, first 2 shown]
	s_mov_b32 s0, exec_lo
	s_wait_dscnt 0x8
	v_dual_mov_b32 v124, v89 :: v_dual_mov_b32 v125, v88
	s_wait_dscnt 0x7
	v_dual_mov_b32 v126, v93 :: v_dual_mov_b32 v127, v92
	;; [unrolled: 2-line block ×4, first 2 shown]
	s_wait_loadcnt_dscnt 0x904
	v_dual_mul_f32 v7, v102, v51 :: v_dual_mul_f32 v9, v104, v53
	v_dual_mul_f32 v23, v103, v51 :: v_dual_mul_f32 v25, v105, v53
	s_wait_loadcnt_dscnt 0x803
	v_dual_mul_f32 v11, v106, v55 :: v_dual_mul_f32 v13, v108, v57
	s_delay_alu instid0(VALU_DEP_3) | instskip(SKIP_3) | instid1(VALU_DEP_3)
	v_dual_fmac_f32 v7, v103, v50 :: v_dual_fmac_f32 v9, v105, v52
	s_wait_loadcnt_dscnt 0x601
	v_dual_fma_f32 v23, v102, v50, -v23 :: v_dual_mul_f32 v35, v115, v63
	v_dual_mul_f32 v27, v107, v55 :: v_dual_mul_f32 v29, v109, v57
	v_dual_fma_f32 v25, v104, v52, -v25 :: v_dual_add_f32 v7, 0, v7
	s_delay_alu instid0(VALU_DEP_3) | instskip(SKIP_1) | instid1(VALU_DEP_3)
	v_dual_add_f32 v23, 0, v23 :: v_dual_mul_f32 v37, v117, v65
	v_dual_fmac_f32 v11, v107, v54 :: v_dual_fmac_f32 v13, v109, v56
	v_dual_fma_f32 v27, v106, v54, -v27 :: v_dual_add_f32 v7, v7, v9
	s_delay_alu instid0(VALU_DEP_3) | instskip(SKIP_2) | instid1(VALU_DEP_4)
	v_dual_add_f32 v9, v23, v25 :: v_dual_fma_f32 v25, v108, v56, -v29
	v_dual_mul_f32 v15, v110, v59 :: v_dual_mul_f32 v17, v112, v61
	v_dual_mul_f32 v31, v111, v59 :: v_dual_mul_f32 v33, v113, v61
	v_add_f32_e32 v7, v7, v11
	s_delay_alu instid0(VALU_DEP_3) | instskip(NEXT) | instid1(VALU_DEP_3)
	v_dual_add_f32 v9, v9, v27 :: v_dual_fmac_f32 v15, v111, v58
	v_fma_f32 v27, v110, v58, -v31
	v_dual_mul_f32 v19, v114, v63 :: v_dual_mul_f32 v21, v116, v65
	s_delay_alu instid0(VALU_DEP_4) | instskip(NEXT) | instid1(VALU_DEP_4)
	v_dual_add_f32 v7, v7, v13 :: v_dual_fmac_f32 v17, v113, v60
	v_dual_add_f32 v9, v9, v25 :: v_dual_fma_f32 v13, v112, v60, -v33
	s_wait_loadcnt 0x4
	s_delay_alu instid0(VALU_DEP_2) | instskip(NEXT) | instid1(VALU_DEP_2)
	v_dual_mov_b32 v52, v73 :: v_dual_add_f32 v7, v7, v15
	v_dual_fmac_f32 v19, v115, v62 :: v_dual_add_f32 v9, v9, v27
	v_fma_f32 v15, v114, v62, -v35
	s_wait_dscnt 0x0
	v_dual_mul_f32 v133, v118, v67 :: v_dual_mul_f32 v135, v120, v69
	v_add_f32_e32 v7, v7, v17
	v_dual_add_f32 v9, v9, v13 :: v_dual_fma_f32 v13, v116, v64, -v37
	v_dual_mul_f32 v23, v119, v67 :: v_dual_mul_f32 v11, v121, v69
	s_delay_alu instid0(VALU_DEP_3) | instskip(NEXT) | instid1(VALU_DEP_3)
	v_dual_fmac_f32 v21, v117, v64 :: v_dual_add_f32 v7, v7, v19
	v_dual_add_f32 v9, v9, v15 :: v_dual_fmac_f32 v133, v119, v66
	v_pk_mul_f32 v[50:51], v[86:87], v[70:71] op_sel:[1,1] op_sel_hi:[0,1]
	s_wait_loadcnt 0x3
	v_dual_mov_b32 v56, v77 :: v_dual_fma_f32 v132, v118, v66, -v23
	v_dual_add_f32 v59, v7, v21 :: v_dual_fmac_f32 v135, v121, v68
	v_dual_add_f32 v58, v9, v13 :: v_dual_fma_f32 v134, v120, v68, -v11
	v_pk_fma_f32 v[60:61], v[86:87], v[70:71], v[50:51] op_sel_hi:[1,0,1]
	v_pk_mul_f32 v[52:53], v[124:125], v[52:53] op_sel_hi:[1,0]
	v_pk_fma_f32 v[50:51], v[86:87], v[70:71], v[50:51] neg_lo:[0,0,1] neg_hi:[0,0,1]
	s_delay_alu instid0(VALU_DEP_4)
	v_pk_add_f32 v[58:59], v[58:59], v[132:133]
	v_pk_mul_f32 v[54:55], v[90:91], v[74:75] op_sel:[1,1] op_sel_hi:[0,1]
	v_mov_b32_e32 v51, v61
	v_pk_fma_f32 v[60:61], v[88:89], v[72:73], v[52:53] op_sel_hi:[1,0,1]
	v_pk_fma_f32 v[52:53], v[88:89], v[72:73], v[52:53] neg_lo:[0,0,1] neg_hi:[0,0,1]
	v_pk_add_f32 v[58:59], v[58:59], v[134:135]
	v_pk_fma_f32 v[64:65], v[90:91], v[74:75], v[54:55] op_sel_hi:[1,0,1]
	v_pk_mul_f32 v[56:57], v[126:127], v[56:57] op_sel_hi:[1,0]
	v_mov_b32_e32 v53, v61
	s_wait_loadcnt 0x2
	v_pk_mul_f32 v[62:63], v[94:95], v[78:79] op_sel:[1,1] op_sel_hi:[0,1]
	v_pk_add_f32 v[50:51], v[58:59], v[50:51]
	v_mov_b32_e32 v58, v81
	v_pk_fma_f32 v[54:55], v[90:91], v[74:75], v[54:55] neg_lo:[0,0,1] neg_hi:[0,0,1]
	v_mov_b32_e32 v55, v65
	v_pk_fma_f32 v[60:61], v[92:93], v[76:77], v[56:57] op_sel_hi:[1,0,1]
	v_pk_add_f32 v[50:51], v[50:51], v[52:53]
	v_pk_fma_f32 v[52:53], v[94:95], v[78:79], v[62:63] op_sel_hi:[1,0,1]
	v_pk_mul_f32 v[58:59], v[128:129], v[58:59] op_sel_hi:[1,0]
	v_pk_fma_f32 v[56:57], v[92:93], v[76:77], v[56:57] neg_lo:[0,0,1] neg_hi:[0,0,1]
	v_mov_b32_e32 v57, v61
	v_pk_add_f32 v[50:51], v[50:51], v[54:55]
	v_pk_fma_f32 v[60:61], v[94:95], v[78:79], v[62:63] neg_lo:[0,0,1] neg_hi:[0,0,1]
	v_mov_b32_e32 v61, v53
	v_pk_fma_f32 v[52:53], v[96:97], v[80:81], v[58:59] op_sel_hi:[1,0,1]
	s_wait_loadcnt 0x1
	v_pk_mul_f32 v[54:55], v[98:99], v[82:83] op_sel:[1,1] op_sel_hi:[0,1]
	v_pk_add_f32 v[50:51], v[50:51], v[56:57]
	v_mov_b32_e32 v52, v85
	v_pk_fma_f32 v[58:59], v[96:97], v[80:81], v[58:59] neg_lo:[0,0,1] neg_hi:[0,0,1]
	v_mov_b32_e32 v59, v53
	v_pk_fma_f32 v[56:57], v[98:99], v[82:83], v[54:55] op_sel_hi:[1,0,1]
	v_pk_add_f32 v[50:51], v[50:51], v[60:61]
	v_pk_mul_f32 v[52:53], v[130:131], v[52:53] op_sel_hi:[1,0]
	v_pk_fma_f32 v[54:55], v[98:99], v[82:83], v[54:55] neg_lo:[0,0,1] neg_hi:[0,0,1]
	s_delay_alu instid0(VALU_DEP_4) | instskip(NEXT) | instid1(VALU_DEP_4)
	v_mov_b32_e32 v55, v57
	v_pk_add_f32 v[50:51], v[50:51], v[58:59]
	s_delay_alu instid0(VALU_DEP_4) | instskip(SKIP_1) | instid1(VALU_DEP_2)
	v_pk_fma_f32 v[56:57], v[100:101], v[84:85], v[52:53] op_sel_hi:[1,0,1]
	v_pk_fma_f32 v[52:53], v[100:101], v[84:85], v[52:53] neg_lo:[0,0,1] neg_hi:[0,0,1]
	v_mov_b32_e32 v53, v57
	s_delay_alu instid0(VALU_DEP_4) | instskip(NEXT) | instid1(VALU_DEP_1)
	v_pk_add_f32 v[50:51], v[50:51], v[54:55]
	v_pk_add_f32 v[50:51], v[50:51], v[52:53]
	s_wait_loadcnt 0x0
	s_delay_alu instid0(VALU_DEP_1)
	v_pk_add_f32 v[50:51], v[122:123], v[50:51] neg_lo:[0,1] neg_hi:[0,1]
	scratch_store_b64 off, v[50:51], off offset:40
	s_wait_xcnt 0x0
	v_cmpx_lt_u32_e32 4, v0
	s_cbranch_execz .LBB87_149
; %bb.148:
	scratch_load_b64 v[50:51], off, off offset:32
	v_mov_b64_e32 v[52:53], 0
	scratch_store_b64 off, v[52:53], off offset:32
	s_wait_loadcnt 0x0
	ds_store_b64 v1, v[50:51]
.LBB87_149:
	s_wait_xcnt 0x0
	s_or_b32 exec_lo, exec_lo, s0
	s_wait_storecnt_dscnt 0x0
	s_barrier_signal -1
	s_barrier_wait -1
	s_clause 0xa
	scratch_load_b128 v[50:53], off, off offset:40
	scratch_load_b128 v[54:57], off, off offset:56
	;; [unrolled: 1-line block ×9, first 2 shown]
	scratch_load_b64 v[122:123], off, off offset:184
	scratch_load_b64 v[124:125], off, off offset:32
	v_mov_b32_e32 v7, 0
	ds_load_2addr_b64 v[86:89], v7 offset0:39 offset1:40
	ds_load_2addr_b64 v[90:93], v7 offset0:41 offset1:42
	;; [unrolled: 1-line block ×9, first 2 shown]
	ds_load_b64 v[126:127], v7 offset:376
	s_mov_b32 s0, exec_lo
	s_wait_dscnt 0x9
	v_dual_mov_b32 v128, v89 :: v_dual_mov_b32 v129, v88
	s_wait_dscnt 0x6
	v_dual_mov_b32 v130, v93 :: v_dual_mov_b32 v135, v100
	v_dual_mov_b32 v131, v92 :: v_dual_mov_b32 v132, v97
	;; [unrolled: 1-line block ×3, first 2 shown]
	s_wait_loadcnt_dscnt 0xa05
	v_dual_mul_f32 v9, v102, v51 :: v_dual_mul_f32 v27, v103, v51
	v_dual_mul_f32 v29, v105, v53 :: v_dual_mul_f32 v11, v104, v53
	s_wait_loadcnt_dscnt 0x904
	v_mul_f32_e32 v13, v106, v55
	s_wait_loadcnt_dscnt 0x702
	v_dual_mul_f32 v39, v115, v63 :: v_dual_fma_f32 v27, v102, v50, -v27
	v_dual_fmac_f32 v9, v103, v50 :: v_dual_mul_f32 v41, v117, v65
	v_dual_mul_f32 v31, v107, v55 :: v_dual_mul_f32 v33, v109, v57
	v_dual_fmac_f32 v11, v105, v52 :: v_dual_fma_f32 v29, v104, v52, -v29
	s_delay_alu instid0(VALU_DEP_3) | instskip(SKIP_3) | instid1(VALU_DEP_3)
	v_dual_add_f32 v9, 0, v9 :: v_dual_add_f32 v27, 0, v27
	v_dual_mul_f32 v15, v108, v57 :: v_dual_mul_f32 v17, v110, v59
	s_wait_loadcnt_dscnt 0x601
	v_dual_mul_f32 v43, v119, v67 :: v_dual_fma_f32 v31, v106, v54, -v31
	v_dual_fmac_f32 v13, v107, v54 :: v_dual_add_f32 v9, v9, v11
	s_delay_alu instid0(VALU_DEP_3) | instskip(SKIP_2) | instid1(VALU_DEP_3)
	v_dual_add_f32 v11, v27, v29 :: v_dual_fmac_f32 v15, v109, v56
	v_dual_mul_f32 v35, v111, v59 :: v_dual_mul_f32 v37, v113, v61
	v_dual_mul_f32 v27, v121, v69 :: v_dual_fma_f32 v29, v108, v56, -v33
	v_dual_add_f32 v9, v9, v13 :: v_dual_add_f32 v11, v11, v31
	v_dual_mul_f32 v19, v112, v61 :: v_dual_mul_f32 v21, v114, v63
	s_wait_loadcnt 0x5
	v_dual_mul_f32 v13, v87, v71 :: v_dual_fma_f32 v31, v110, v58, -v35
	s_delay_alu instid0(VALU_DEP_3) | instskip(SKIP_2) | instid1(VALU_DEP_2)
	v_dual_fmac_f32 v17, v111, v58 :: v_dual_add_f32 v9, v9, v15
	v_dual_add_f32 v11, v11, v29 :: v_dual_mov_b32 v50, v73
	v_dual_fmac_f32 v19, v113, v60 :: v_dual_fma_f32 v15, v112, v60, -v37
	v_dual_add_f32 v9, v9, v17 :: v_dual_add_f32 v11, v11, v31
	v_dual_mul_f32 v23, v116, v65 :: v_dual_mul_f32 v25, v118, v67
	v_dual_fmac_f32 v21, v115, v62 :: v_dual_fma_f32 v17, v114, v62, -v39
	s_delay_alu instid0(VALU_DEP_3) | instskip(SKIP_3) | instid1(VALU_DEP_3)
	v_add_f32_e32 v9, v9, v19
	s_wait_loadcnt 0x4
	v_dual_add_f32 v11, v11, v15 :: v_dual_mov_b32 v54, v77
	v_dual_fmac_f32 v23, v117, v64 :: v_dual_fma_f32 v15, v116, v64, -v41
	v_dual_add_f32 v9, v9, v21 :: v_dual_fmac_f32 v25, v119, v66
	s_delay_alu instid0(VALU_DEP_3) | instskip(SKIP_1) | instid1(VALU_DEP_3)
	v_add_f32_e32 v11, v11, v17
	v_dual_mul_f32 v137, v120, v69 :: v_dual_mul_f32 v139, v86, v71
	v_dual_fma_f32 v17, v118, v66, -v43 :: v_dual_add_f32 v9, v9, v23
	s_delay_alu instid0(VALU_DEP_2) | instskip(SKIP_2) | instid1(VALU_DEP_4)
	v_dual_add_f32 v11, v11, v15 :: v_dual_fmac_f32 v137, v121, v68
	v_fma_f32 v136, v120, v68, -v27
	v_pk_mul_f32 v[50:51], v[128:129], v[50:51] op_sel_hi:[1,0]
	v_add_f32_e32 v59, v9, v25
	s_wait_loadcnt 0x3
	v_dual_add_f32 v58, v11, v17 :: v_dual_mov_b32 v60, v81
	v_pk_mul_f32 v[52:53], v[90:91], v[74:75] op_sel:[1,1] op_sel_hi:[0,1]
	v_dual_fmac_f32 v139, v87, v70 :: v_dual_fma_f32 v138, v86, v70, -v13
	v_pk_fma_f32 v[62:63], v[88:89], v[72:73], v[50:51] op_sel_hi:[1,0,1]
	s_delay_alu instid0(VALU_DEP_4)
	v_pk_add_f32 v[58:59], v[58:59], v[136:137]
	v_pk_fma_f32 v[50:51], v[88:89], v[72:73], v[50:51] neg_lo:[0,0,1] neg_hi:[0,0,1]
	v_pk_fma_f32 v[64:65], v[90:91], v[74:75], v[52:53] op_sel_hi:[1,0,1]
	v_pk_mul_f32 v[54:55], v[130:131], v[54:55] op_sel_hi:[1,0]
	v_mov_b32_e32 v51, v63
	v_pk_add_f32 v[58:59], v[58:59], v[138:139]
	v_pk_fma_f32 v[52:53], v[90:91], v[74:75], v[52:53] neg_lo:[0,0,1] neg_hi:[0,0,1]
	v_pk_mul_f32 v[56:57], v[94:95], v[78:79] op_sel:[1,1] op_sel_hi:[0,1]
	v_mov_b32_e32 v53, v65
	v_pk_fma_f32 v[64:65], v[92:93], v[76:77], v[54:55] op_sel_hi:[1,0,1]
	v_pk_add_f32 v[50:51], v[58:59], v[50:51]
	v_pk_fma_f32 v[54:55], v[92:93], v[76:77], v[54:55] neg_lo:[0,0,1] neg_hi:[0,0,1]
	v_pk_fma_f32 v[58:59], v[94:95], v[78:79], v[56:57] op_sel_hi:[1,0,1]
	v_pk_mul_f32 v[60:61], v[132:133], v[60:61] op_sel_hi:[1,0]
	v_mov_b32_e32 v55, v65
	v_pk_add_f32 v[50:51], v[50:51], v[52:53]
	v_pk_fma_f32 v[56:57], v[94:95], v[78:79], v[56:57] neg_lo:[0,0,1] neg_hi:[0,0,1]
	s_wait_loadcnt 0x2
	v_pk_mul_f32 v[62:63], v[98:99], v[82:83] op_sel:[1,1] op_sel_hi:[0,1]
	v_dual_mov_b32 v52, v85 :: v_dual_mov_b32 v57, v59
	v_pk_fma_f32 v[58:59], v[96:97], v[80:81], v[60:61] op_sel_hi:[1,0,1]
	v_pk_add_f32 v[50:51], v[50:51], v[54:55]
	v_pk_fma_f32 v[60:61], v[96:97], v[80:81], v[60:61] neg_lo:[0,0,1] neg_hi:[0,0,1]
	v_pk_fma_f32 v[54:55], v[98:99], v[82:83], v[62:63] op_sel_hi:[1,0,1]
	v_pk_mul_f32 v[52:53], v[134:135], v[52:53] op_sel_hi:[1,0]
	v_mov_b32_e32 v61, v59
	v_pk_add_f32 v[50:51], v[50:51], v[56:57]
	v_pk_fma_f32 v[56:57], v[98:99], v[82:83], v[62:63] neg_lo:[0,0,1] neg_hi:[0,0,1]
	v_mov_b32_e32 v57, v55
	v_pk_fma_f32 v[54:55], v[100:101], v[84:85], v[52:53] op_sel_hi:[1,0,1]
	s_wait_loadcnt_dscnt 0x100
	v_pk_mul_f32 v[58:59], v[126:127], v[122:123] op_sel:[1,1] op_sel_hi:[0,1]
	v_pk_add_f32 v[50:51], v[50:51], v[60:61]
	v_pk_fma_f32 v[52:53], v[100:101], v[84:85], v[52:53] neg_lo:[0,0,1] neg_hi:[0,0,1]
	v_mov_b32_e32 v53, v55
	s_delay_alu instid0(VALU_DEP_4) | instskip(NEXT) | instid1(VALU_DEP_4)
	v_pk_fma_f32 v[54:55], v[126:127], v[122:123], v[58:59] op_sel_hi:[1,0,1]
	v_pk_add_f32 v[50:51], v[50:51], v[56:57]
	v_pk_fma_f32 v[56:57], v[126:127], v[122:123], v[58:59] neg_lo:[0,0,1] neg_hi:[0,0,1]
	s_delay_alu instid0(VALU_DEP_3) | instskip(NEXT) | instid1(VALU_DEP_3)
	v_mov_b32_e32 v57, v55
	v_pk_add_f32 v[50:51], v[50:51], v[52:53]
	s_delay_alu instid0(VALU_DEP_1) | instskip(SKIP_1) | instid1(VALU_DEP_1)
	v_pk_add_f32 v[50:51], v[50:51], v[56:57]
	s_wait_loadcnt 0x0
	v_pk_add_f32 v[50:51], v[124:125], v[50:51] neg_lo:[0,1] neg_hi:[0,1]
	scratch_store_b64 off, v[50:51], off offset:32
	s_wait_xcnt 0x0
	v_cmpx_lt_u32_e32 3, v0
	s_cbranch_execz .LBB87_151
; %bb.150:
	scratch_load_b64 v[50:51], off, off offset:24
	v_mov_b64_e32 v[52:53], 0
	scratch_store_b64 off, v[52:53], off offset:24
	s_wait_loadcnt 0x0
	ds_store_b64 v1, v[50:51]
.LBB87_151:
	s_wait_xcnt 0x0
	s_or_b32 exec_lo, exec_lo, s0
	s_wait_storecnt_dscnt 0x0
	s_barrier_signal -1
	s_barrier_wait -1
	s_clause 0xa
	scratch_load_b128 v[50:53], off, off offset:32
	scratch_load_b128 v[54:57], off, off offset:48
	;; [unrolled: 1-line block ×10, first 2 shown]
	scratch_load_b64 v[130:131], off, off offset:24
	ds_load_b128 v[90:93], v7 offset:320
	ds_load_b128 v[94:97], v7 offset:336
	;; [unrolled: 1-line block ×10, first 2 shown]
	s_mov_b32 s0, exec_lo
	s_wait_dscnt 0x9
	v_dual_mov_b32 v132, v93 :: v_dual_mov_b32 v133, v92
	s_wait_dscnt 0x8
	v_dual_mov_b32 v134, v97 :: v_dual_mov_b32 v135, v96
	;; [unrolled: 2-line block ×4, first 2 shown]
	s_wait_loadcnt_dscnt 0xa05
	v_dual_mul_f32 v7, v106, v51 :: v_dual_mul_f32 v9, v108, v53
	v_dual_mul_f32 v27, v107, v51 :: v_dual_mul_f32 v29, v109, v53
	s_wait_loadcnt_dscnt 0x904
	v_dual_mul_f32 v11, v110, v55 :: v_dual_mul_f32 v13, v112, v57
	s_delay_alu instid0(VALU_DEP_3) | instskip(SKIP_3) | instid1(VALU_DEP_3)
	v_dual_fmac_f32 v7, v107, v50 :: v_dual_fmac_f32 v9, v109, v52
	s_wait_loadcnt_dscnt 0x702
	v_dual_fma_f32 v27, v106, v50, -v27 :: v_dual_mul_f32 v39, v119, v63
	v_dual_mul_f32 v31, v111, v55 :: v_dual_mul_f32 v33, v113, v57
	v_dual_fma_f32 v29, v108, v52, -v29 :: v_dual_add_f32 v7, 0, v7
	s_delay_alu instid0(VALU_DEP_3) | instskip(SKIP_1) | instid1(VALU_DEP_3)
	v_dual_add_f32 v27, 0, v27 :: v_dual_mul_f32 v41, v121, v65
	v_dual_fmac_f32 v11, v111, v54 :: v_dual_fmac_f32 v13, v113, v56
	v_dual_fma_f32 v31, v110, v54, -v31 :: v_dual_add_f32 v7, v7, v9
	s_delay_alu instid0(VALU_DEP_3) | instskip(SKIP_2) | instid1(VALU_DEP_4)
	v_dual_add_f32 v9, v27, v29 :: v_dual_fma_f32 v29, v112, v56, -v33
	v_dual_mul_f32 v15, v114, v59 :: v_dual_mul_f32 v17, v116, v61
	v_dual_mul_f32 v35, v115, v59 :: v_dual_mul_f32 v37, v117, v61
	v_add_f32_e32 v7, v7, v11
	s_delay_alu instid0(VALU_DEP_3) | instskip(NEXT) | instid1(VALU_DEP_3)
	v_dual_add_f32 v9, v9, v31 :: v_dual_fmac_f32 v15, v115, v58
	v_fma_f32 v31, v114, v58, -v35
	v_dual_mul_f32 v19, v118, v63 :: v_dual_mul_f32 v21, v120, v65
	s_delay_alu instid0(VALU_DEP_4) | instskip(SKIP_2) | instid1(VALU_DEP_2)
	v_dual_add_f32 v7, v7, v13 :: v_dual_fmac_f32 v17, v117, v60
	s_wait_loadcnt_dscnt 0x500
	v_dual_add_f32 v9, v9, v29 :: v_dual_mul_f32 v13, v127, v71
	v_dual_fma_f32 v29, v116, v60, -v37 :: v_dual_add_f32 v7, v7, v15
	v_mul_f32_e32 v15, v129, v73
	s_delay_alu instid0(VALU_DEP_3) | instskip(NEXT) | instid1(VALU_DEP_3)
	v_dual_add_f32 v9, v9, v31 :: v_dual_fmac_f32 v19, v119, v62
	v_dual_fma_f32 v31, v118, v62, -v39 :: v_dual_add_f32 v7, v7, v17
	v_fmac_f32_e32 v21, v121, v64
	s_delay_alu instid0(VALU_DEP_3) | instskip(SKIP_4) | instid1(VALU_DEP_3)
	v_dual_add_f32 v9, v9, v29 :: v_dual_fma_f32 v17, v120, v64, -v41
	v_dual_mul_f32 v23, v122, v67 :: v_dual_mul_f32 v25, v124, v69
	v_dual_mul_f32 v27, v123, v67 :: v_dual_mul_f32 v11, v125, v69
	s_wait_loadcnt 0x4
	v_dual_add_f32 v7, v7, v19 :: v_dual_mov_b32 v52, v77
	v_dual_add_f32 v9, v9, v31 :: v_dual_fmac_f32 v23, v123, v66
	s_delay_alu instid0(VALU_DEP_2) | instskip(SKIP_1) | instid1(VALU_DEP_3)
	v_dual_fma_f32 v19, v122, v66, -v27 :: v_dual_add_f32 v7, v7, v21
	v_dual_mul_f32 v141, v126, v71 :: v_dual_mul_f32 v143, v128, v73
	v_dual_add_f32 v9, v9, v17 :: v_dual_fma_f32 v11, v124, v68, -v11
	s_delay_alu instid0(VALU_DEP_3) | instskip(SKIP_1) | instid1(VALU_DEP_3)
	v_dual_fmac_f32 v25, v125, v68 :: v_dual_add_f32 v7, v7, v23
	v_pk_mul_f32 v[50:51], v[90:91], v[74:75] op_sel:[1,1] op_sel_hi:[0,1]
	v_dual_add_f32 v9, v9, v19 :: v_dual_fmac_f32 v141, v127, v70
	s_wait_loadcnt 0x3
	v_dual_mov_b32 v56, v81 :: v_dual_fma_f32 v140, v126, v70, -v13
	s_delay_alu instid0(VALU_DEP_2)
	v_dual_add_f32 v59, v7, v25 :: v_dual_add_f32 v58, v9, v11
	v_fmac_f32_e32 v143, v129, v72
	v_pk_fma_f32 v[60:61], v[90:91], v[74:75], v[50:51] op_sel_hi:[1,0,1]
	v_fma_f32 v142, v128, v72, -v15
	v_pk_mul_f32 v[52:53], v[132:133], v[52:53] op_sel_hi:[1,0]
	v_pk_add_f32 v[58:59], v[58:59], v[140:141]
	v_pk_fma_f32 v[50:51], v[90:91], v[74:75], v[50:51] neg_lo:[0,0,1] neg_hi:[0,0,1]
	v_pk_mul_f32 v[54:55], v[94:95], v[78:79] op_sel:[1,1] op_sel_hi:[0,1]
	v_mov_b32_e32 v51, v61
	v_pk_fma_f32 v[60:61], v[92:93], v[76:77], v[52:53] op_sel_hi:[1,0,1]
	v_pk_add_f32 v[58:59], v[58:59], v[142:143]
	v_pk_fma_f32 v[52:53], v[92:93], v[76:77], v[52:53] neg_lo:[0,0,1] neg_hi:[0,0,1]
	v_pk_fma_f32 v[64:65], v[94:95], v[78:79], v[54:55] op_sel_hi:[1,0,1]
	v_pk_mul_f32 v[56:57], v[134:135], v[56:57] op_sel_hi:[1,0]
	v_mov_b32_e32 v53, v61
	v_pk_add_f32 v[50:51], v[58:59], v[50:51]
	s_wait_loadcnt 0x2
	v_pk_mul_f32 v[62:63], v[98:99], v[82:83] op_sel:[1,1] op_sel_hi:[0,1]
	v_mov_b32_e32 v58, v85
	v_pk_fma_f32 v[54:55], v[94:95], v[78:79], v[54:55] neg_lo:[0,0,1] neg_hi:[0,0,1]
	v_pk_fma_f32 v[60:61], v[96:97], v[80:81], v[56:57] op_sel_hi:[1,0,1]
	v_mov_b32_e32 v55, v65
	v_pk_add_f32 v[50:51], v[50:51], v[52:53]
	v_pk_fma_f32 v[52:53], v[98:99], v[82:83], v[62:63] op_sel_hi:[1,0,1]
	v_pk_mul_f32 v[58:59], v[136:137], v[58:59] op_sel_hi:[1,0]
	v_pk_fma_f32 v[56:57], v[96:97], v[80:81], v[56:57] neg_lo:[0,0,1] neg_hi:[0,0,1]
	v_mov_b32_e32 v57, v61
	v_pk_add_f32 v[50:51], v[50:51], v[54:55]
	v_pk_fma_f32 v[60:61], v[98:99], v[82:83], v[62:63] neg_lo:[0,0,1] neg_hi:[0,0,1]
	v_mov_b32_e32 v61, v53
	v_pk_fma_f32 v[52:53], v[100:101], v[84:85], v[58:59] op_sel_hi:[1,0,1]
	s_wait_loadcnt 0x1
	v_pk_mul_f32 v[54:55], v[102:103], v[86:87] op_sel:[1,1] op_sel_hi:[0,1]
	v_pk_add_f32 v[50:51], v[50:51], v[56:57]
	v_mov_b32_e32 v52, v89
	v_pk_fma_f32 v[58:59], v[100:101], v[84:85], v[58:59] neg_lo:[0,0,1] neg_hi:[0,0,1]
	s_delay_alu instid0(VALU_DEP_4)
	v_pk_fma_f32 v[56:57], v[102:103], v[86:87], v[54:55] op_sel_hi:[1,0,1]
	v_mov_b32_e32 v59, v53
	v_pk_add_f32 v[50:51], v[50:51], v[60:61]
	v_pk_mul_f32 v[52:53], v[138:139], v[52:53] op_sel_hi:[1,0]
	v_pk_fma_f32 v[54:55], v[102:103], v[86:87], v[54:55] neg_lo:[0,0,1] neg_hi:[0,0,1]
	v_mov_b32_e32 v55, v57
	s_delay_alu instid0(VALU_DEP_4) | instskip(NEXT) | instid1(VALU_DEP_4)
	v_pk_add_f32 v[50:51], v[50:51], v[58:59]
	v_pk_fma_f32 v[56:57], v[104:105], v[88:89], v[52:53] op_sel_hi:[1,0,1]
	v_pk_fma_f32 v[52:53], v[104:105], v[88:89], v[52:53] neg_lo:[0,0,1] neg_hi:[0,0,1]
	s_delay_alu instid0(VALU_DEP_3) | instskip(NEXT) | instid1(VALU_DEP_3)
	v_pk_add_f32 v[50:51], v[50:51], v[54:55]
	v_mov_b32_e32 v53, v57
	s_delay_alu instid0(VALU_DEP_1) | instskip(SKIP_1) | instid1(VALU_DEP_1)
	v_pk_add_f32 v[50:51], v[50:51], v[52:53]
	s_wait_loadcnt 0x0
	v_pk_add_f32 v[50:51], v[130:131], v[50:51] neg_lo:[0,1] neg_hi:[0,1]
	scratch_store_b64 off, v[50:51], off offset:24
	s_wait_xcnt 0x0
	v_cmpx_lt_u32_e32 2, v0
	s_cbranch_execz .LBB87_153
; %bb.152:
	scratch_load_b64 v[50:51], off, off offset:16
	v_mov_b64_e32 v[52:53], 0
	scratch_store_b64 off, v[52:53], off offset:16
	s_wait_loadcnt 0x0
	ds_store_b64 v1, v[50:51]
.LBB87_153:
	s_wait_xcnt 0x0
	s_or_b32 exec_lo, exec_lo, s0
	s_wait_storecnt_dscnt 0x0
	s_barrier_signal -1
	s_barrier_wait -1
	s_clause 0xb
	scratch_load_b128 v[50:53], off, off offset:24
	scratch_load_b128 v[54:57], off, off offset:40
	;; [unrolled: 1-line block ×10, first 2 shown]
	scratch_load_b64 v[130:131], off, off offset:184
	scratch_load_b64 v[132:133], off, off offset:16
	v_mov_b32_e32 v29, 0
	ds_load_2addr_b64 v[90:93], v29 offset0:39 offset1:40
	ds_load_2addr_b64 v[94:97], v29 offset0:41 offset1:42
	;; [unrolled: 1-line block ×10, first 2 shown]
	ds_load_b64 v[134:135], v29 offset:376
	s_mov_b32 s0, exec_lo
	s_wait_dscnt 0xa
	v_dual_mov_b32 v136, v93 :: v_dual_mov_b32 v137, v92
	s_wait_dscnt 0x7
	v_dual_mov_b32 v138, v97 :: v_dual_mov_b32 v143, v104
	v_dual_mov_b32 v139, v96 :: v_dual_mov_b32 v140, v101
	;; [unrolled: 1-line block ×3, first 2 shown]
	s_wait_loadcnt_dscnt 0xb06
	v_dual_mul_f32 v7, v106, v51 :: v_dual_mul_f32 v31, v107, v51
	v_dual_mul_f32 v33, v109, v53 :: v_dual_mul_f32 v9, v108, v53
	s_wait_loadcnt_dscnt 0xa05
	v_mul_f32_e32 v11, v110, v55
	s_wait_loadcnt_dscnt 0x803
	v_dual_mul_f32 v43, v119, v63 :: v_dual_fma_f32 v31, v106, v50, -v31
	v_dual_fmac_f32 v7, v107, v50 :: v_dual_mul_f32 v45, v121, v65
	v_dual_mul_f32 v35, v111, v55 :: v_dual_mul_f32 v37, v113, v57
	s_delay_alu instid0(VALU_DEP_2) | instskip(NEXT) | instid1(VALU_DEP_4)
	v_dual_fmac_f32 v9, v109, v52 :: v_dual_add_f32 v7, 0, v7
	v_dual_fma_f32 v33, v108, v52, -v33 :: v_dual_add_f32 v31, 0, v31
	v_dual_mul_f32 v13, v112, v57 :: v_dual_mul_f32 v15, v114, v59
	s_wait_loadcnt_dscnt 0x702
	v_dual_mul_f32 v47, v123, v67 :: v_dual_fma_f32 v35, v110, v54, -v35
	v_fmac_f32_e32 v11, v111, v54
	s_delay_alu instid0(VALU_DEP_3) | instskip(SKIP_2) | instid1(VALU_DEP_3)
	v_dual_add_f32 v7, v7, v9 :: v_dual_fmac_f32 v13, v113, v56
	v_dual_add_f32 v9, v31, v33 :: v_dual_fma_f32 v33, v112, v56, -v37
	v_dual_mul_f32 v39, v115, v59 :: v_dual_mul_f32 v41, v117, v61
	v_dual_mul_f32 v31, v125, v69 :: v_dual_add_f32 v7, v7, v11
	s_delay_alu instid0(VALU_DEP_3) | instskip(SKIP_2) | instid1(VALU_DEP_2)
	v_dual_add_f32 v9, v9, v35 :: v_dual_fmac_f32 v15, v115, v58
	v_dual_mul_f32 v17, v116, v61 :: v_dual_mul_f32 v19, v118, v63
	s_wait_loadcnt_dscnt 0x601
	v_dual_mul_f32 v11, v127, v71 :: v_dual_add_f32 v9, v9, v33
	v_dual_fma_f32 v35, v114, v58, -v39 :: v_dual_add_f32 v7, v7, v13
	s_delay_alu instid0(VALU_DEP_3) | instskip(SKIP_1) | instid1(VALU_DEP_3)
	v_fmac_f32_e32 v17, v117, v60
	v_dual_mul_f32 v13, v129, v73 :: v_dual_fma_f32 v33, v116, v60, -v41
	v_dual_add_f32 v9, v9, v35 :: v_dual_fmac_f32 v19, v119, v62
	s_delay_alu instid0(VALU_DEP_4) | instskip(SKIP_2) | instid1(VALU_DEP_3)
	v_dual_add_f32 v7, v7, v15 :: v_dual_fma_f32 v35, v118, v62, -v43
	v_dual_mul_f32 v21, v120, v65 :: v_dual_mul_f32 v23, v122, v67
	s_wait_loadcnt 0x5
	v_dual_mul_f32 v15, v91, v75 :: v_dual_add_f32 v9, v9, v33
	s_delay_alu instid0(VALU_DEP_3) | instskip(NEXT) | instid1(VALU_DEP_3)
	v_dual_add_f32 v7, v7, v17 :: v_dual_mov_b32 v50, v77
	v_fmac_f32_e32 v21, v121, v64
	s_delay_alu instid0(VALU_DEP_3) | instskip(NEXT) | instid1(VALU_DEP_3)
	v_dual_fma_f32 v17, v120, v64, -v45 :: v_dual_add_f32 v9, v9, v35
	v_dual_add_f32 v7, v7, v19 :: v_dual_mul_f32 v25, v124, v69
	v_dual_mul_f32 v27, v126, v71 :: v_dual_fmac_f32 v23, v123, v66
	s_delay_alu instid0(VALU_DEP_3) | instskip(SKIP_1) | instid1(VALU_DEP_3)
	v_dual_add_f32 v9, v9, v17 :: v_dual_fma_f32 v19, v122, v66, -v47
	s_wait_loadcnt 0x4
	v_dual_add_f32 v7, v7, v21 :: v_dual_mov_b32 v54, v81
	v_dual_fma_f32 v17, v124, v68, -v31 :: v_dual_fmac_f32 v25, v125, v68
	s_delay_alu instid0(VALU_DEP_3) | instskip(NEXT) | instid1(VALU_DEP_3)
	v_dual_add_f32 v9, v9, v19 :: v_dual_fmac_f32 v27, v127, v70
	v_dual_add_f32 v7, v7, v23 :: v_dual_mul_f32 v145, v128, v73
	v_mul_f32_e32 v147, v90, v75
	s_delay_alu instid0(VALU_DEP_3) | instskip(NEXT) | instid1(VALU_DEP_3)
	v_dual_fma_f32 v11, v126, v70, -v11 :: v_dual_add_f32 v9, v9, v17
	v_dual_fma_f32 v144, v128, v72, -v13 :: v_dual_add_f32 v7, v7, v25
	s_delay_alu instid0(VALU_DEP_4) | instskip(SKIP_1) | instid1(VALU_DEP_4)
	v_fmac_f32_e32 v145, v129, v72
	v_pk_mul_f32 v[50:51], v[136:137], v[50:51] op_sel_hi:[1,0]
	v_dual_add_f32 v58, v9, v11 :: v_dual_fmac_f32 v147, v91, v74
	s_delay_alu instid0(VALU_DEP_4)
	v_add_f32_e32 v59, v7, v27
	v_pk_mul_f32 v[52:53], v[94:95], v[78:79] op_sel:[1,1] op_sel_hi:[0,1]
	s_wait_loadcnt 0x3
	v_dual_mov_b32 v60, v85 :: v_dual_fma_f32 v146, v90, v74, -v15
	v_pk_fma_f32 v[62:63], v[92:93], v[76:77], v[50:51] op_sel_hi:[1,0,1]
	v_pk_add_f32 v[58:59], v[58:59], v[144:145]
	v_pk_fma_f32 v[50:51], v[92:93], v[76:77], v[50:51] neg_lo:[0,0,1] neg_hi:[0,0,1]
	v_pk_fma_f32 v[64:65], v[94:95], v[78:79], v[52:53] op_sel_hi:[1,0,1]
	v_pk_mul_f32 v[54:55], v[138:139], v[54:55] op_sel_hi:[1,0]
	v_mov_b32_e32 v51, v63
	v_pk_add_f32 v[58:59], v[58:59], v[146:147]
	v_pk_fma_f32 v[52:53], v[94:95], v[78:79], v[52:53] neg_lo:[0,0,1] neg_hi:[0,0,1]
	v_pk_mul_f32 v[56:57], v[98:99], v[82:83] op_sel:[1,1] op_sel_hi:[0,1]
	v_mov_b32_e32 v53, v65
	v_pk_fma_f32 v[64:65], v[96:97], v[80:81], v[54:55] op_sel_hi:[1,0,1]
	v_pk_add_f32 v[50:51], v[58:59], v[50:51]
	v_pk_fma_f32 v[54:55], v[96:97], v[80:81], v[54:55] neg_lo:[0,0,1] neg_hi:[0,0,1]
	v_pk_fma_f32 v[58:59], v[98:99], v[82:83], v[56:57] op_sel_hi:[1,0,1]
	v_pk_mul_f32 v[60:61], v[140:141], v[60:61] op_sel_hi:[1,0]
	v_mov_b32_e32 v55, v65
	v_pk_add_f32 v[50:51], v[50:51], v[52:53]
	v_pk_fma_f32 v[56:57], v[98:99], v[82:83], v[56:57] neg_lo:[0,0,1] neg_hi:[0,0,1]
	s_wait_loadcnt 0x2
	v_pk_mul_f32 v[62:63], v[102:103], v[86:87] op_sel:[1,1] op_sel_hi:[0,1]
	v_dual_mov_b32 v52, v89 :: v_dual_mov_b32 v57, v59
	v_pk_fma_f32 v[58:59], v[100:101], v[84:85], v[60:61] op_sel_hi:[1,0,1]
	v_pk_add_f32 v[50:51], v[50:51], v[54:55]
	v_pk_fma_f32 v[60:61], v[100:101], v[84:85], v[60:61] neg_lo:[0,0,1] neg_hi:[0,0,1]
	v_pk_fma_f32 v[54:55], v[102:103], v[86:87], v[62:63] op_sel_hi:[1,0,1]
	v_pk_mul_f32 v[52:53], v[142:143], v[52:53] op_sel_hi:[1,0]
	v_mov_b32_e32 v61, v59
	v_pk_add_f32 v[50:51], v[50:51], v[56:57]
	v_pk_fma_f32 v[56:57], v[102:103], v[86:87], v[62:63] neg_lo:[0,0,1] neg_hi:[0,0,1]
	v_mov_b32_e32 v57, v55
	v_pk_fma_f32 v[54:55], v[104:105], v[88:89], v[52:53] op_sel_hi:[1,0,1]
	s_wait_loadcnt_dscnt 0x100
	v_pk_mul_f32 v[58:59], v[134:135], v[130:131] op_sel:[1,1] op_sel_hi:[0,1]
	v_pk_add_f32 v[50:51], v[50:51], v[60:61]
	v_pk_fma_f32 v[52:53], v[104:105], v[88:89], v[52:53] neg_lo:[0,0,1] neg_hi:[0,0,1]
	v_mov_b32_e32 v53, v55
	s_delay_alu instid0(VALU_DEP_4) | instskip(NEXT) | instid1(VALU_DEP_4)
	v_pk_fma_f32 v[54:55], v[134:135], v[130:131], v[58:59] op_sel_hi:[1,0,1]
	v_pk_add_f32 v[50:51], v[50:51], v[56:57]
	v_pk_fma_f32 v[56:57], v[134:135], v[130:131], v[58:59] neg_lo:[0,0,1] neg_hi:[0,0,1]
	s_delay_alu instid0(VALU_DEP_3) | instskip(NEXT) | instid1(VALU_DEP_3)
	v_mov_b32_e32 v57, v55
	v_pk_add_f32 v[50:51], v[50:51], v[52:53]
	s_delay_alu instid0(VALU_DEP_1) | instskip(SKIP_1) | instid1(VALU_DEP_1)
	v_pk_add_f32 v[50:51], v[50:51], v[56:57]
	s_wait_loadcnt 0x0
	v_pk_add_f32 v[50:51], v[132:133], v[50:51] neg_lo:[0,1] neg_hi:[0,1]
	scratch_store_b64 off, v[50:51], off offset:16
	s_wait_xcnt 0x0
	v_cmpx_lt_u32_e32 1, v0
	s_cbranch_execz .LBB87_155
; %bb.154:
	scratch_load_b64 v[50:51], off, off offset:8
	v_mov_b64_e32 v[52:53], 0
	scratch_store_b64 off, v[52:53], off offset:8
	s_wait_loadcnt 0x0
	ds_store_b64 v1, v[50:51]
.LBB87_155:
	s_wait_xcnt 0x0
	s_or_b32 exec_lo, exec_lo, s0
	s_wait_storecnt_dscnt 0x0
	s_barrier_signal -1
	s_barrier_wait -1
	s_clause 0xb
	scratch_load_b128 v[50:53], off, off offset:16
	scratch_load_b128 v[54:57], off, off offset:32
	;; [unrolled: 1-line block ×11, first 2 shown]
	scratch_load_b64 v[138:139], off, off offset:8
	ds_load_b128 v[94:97], v29 offset:208
	ds_load_b128 v[98:101], v29 offset:304
	;; [unrolled: 1-line block ×11, first 2 shown]
	v_ashrrev_i32_e32 v27, 31, v26
	v_dual_ashrrev_i32 v7, 31, v6 :: v_dual_ashrrev_i32 v9, 31, v8
	v_dual_ashrrev_i32 v11, 31, v10 :: v_dual_ashrrev_i32 v13, 31, v12
	;; [unrolled: 1-line block ×5, first 2 shown]
	s_mov_b32 s0, exec_lo
	s_wait_dscnt 0x8
	v_dual_mov_b32 v140, v105 :: v_dual_mov_b32 v141, v104
	s_wait_dscnt 0x5
	v_dual_mov_b32 v147, v116 :: v_dual_mov_b32 v142, v109
	v_dual_mov_b32 v143, v108 :: v_dual_mov_b32 v144, v113
	;; [unrolled: 1-line block ×3, first 2 shown]
	s_wait_loadcnt 0xb
	v_dual_mul_f32 v29, v94, v51 :: v_dual_mul_f32 v31, v96, v53
	v_dual_mul_f32 v33, v95, v51 :: v_dual_mul_f32 v35, v97, v53
	s_wait_loadcnt_dscnt 0xa04
	s_delay_alu instid0(VALU_DEP_2) | instskip(SKIP_1) | instid1(VALU_DEP_2)
	v_dual_mul_f32 v37, v118, v55 :: v_dual_fmac_f32 v29, v95, v50
	s_wait_loadcnt 0x5
	v_dual_mul_f32 v53, v100, v77 :: v_dual_fma_f32 v33, v94, v50, -v33
	s_wait_dscnt 0x2
	v_dual_mul_f32 v50, v127, v63 :: v_dual_mul_f32 v39, v120, v57
	v_dual_mul_f32 v41, v119, v55 :: v_dual_fmac_f32 v31, v97, v52
	v_dual_add_f32 v29, 0, v29 :: v_dual_fma_f32 v35, v96, v52, -v35
	v_add_f32_e32 v33, 0, v33
	v_dual_mul_f32 v43, v121, v57 :: v_dual_mul_f32 v45, v122, v59
	v_dual_mul_f32 v52, v129, v65 :: v_dual_fmac_f32 v37, v119, v54
	s_delay_alu instid0(VALU_DEP_4) | instskip(NEXT) | instid1(VALU_DEP_3)
	v_dual_fma_f32 v41, v118, v54, -v41 :: v_dual_add_f32 v29, v29, v31
	v_dual_add_f32 v31, v33, v35 :: v_dual_fma_f32 v35, v120, v56, -v43
	v_dual_mul_f32 v47, v124, v61 :: v_dual_mul_f32 v49, v123, v59
	s_wait_dscnt 0x1
	v_dual_mul_f32 v33, v131, v67 :: v_dual_fmac_f32 v39, v121, v56
	v_dual_add_f32 v29, v29, v37 :: v_dual_fmac_f32 v45, v123, v58
	s_delay_alu instid0(VALU_DEP_3) | instskip(SKIP_1) | instid1(VALU_DEP_2)
	v_dual_add_f32 v31, v31, v41 :: v_dual_fma_f32 v41, v122, v58, -v49
	v_dual_mul_f32 v55, v125, v61 :: v_dual_mul_f32 v57, v126, v63
	v_dual_mul_f32 v37, v133, v69 :: v_dual_add_f32 v31, v31, v35
	s_delay_alu instid0(VALU_DEP_2) | instskip(SKIP_2) | instid1(VALU_DEP_3)
	v_dual_add_f32 v29, v29, v39 :: v_dual_fma_f32 v39, v124, v60, -v55
	s_wait_dscnt 0x0
	v_dual_mul_f32 v35, v135, v71 :: v_dual_fmac_f32 v47, v125, v60
	v_dual_add_f32 v31, v31, v41 :: v_dual_fma_f32 v43, v126, v62, -v50
	s_delay_alu instid0(VALU_DEP_3) | instskip(SKIP_1) | instid1(VALU_DEP_3)
	v_dual_add_f32 v29, v29, v45 :: v_dual_fmac_f32 v57, v127, v62
	v_dual_mul_f32 v59, v128, v65 :: v_dual_mul_f32 v61, v130, v67
	v_dual_mul_f32 v41, v137, v73 :: v_dual_add_f32 v31, v31, v39
	s_delay_alu instid0(VALU_DEP_3) | instskip(NEXT) | instid1(VALU_DEP_3)
	v_dual_add_f32 v29, v29, v47 :: v_dual_fma_f32 v45, v128, v64, -v52
	v_dual_mul_f32 v39, v99, v75 :: v_dual_fmac_f32 v59, v129, v64
	s_delay_alu instid0(VALU_DEP_2) | instskip(SKIP_2) | instid1(VALU_DEP_3)
	v_dual_add_f32 v31, v31, v43 :: v_dual_add_f32 v29, v29, v57
	v_dual_mul_f32 v148, v132, v69 :: v_dual_mul_f32 v149, v134, v71
	v_dual_mul_f32 v43, v101, v77 :: v_dual_fmac_f32 v61, v131, v66
	v_dual_fma_f32 v33, v130, v66, -v33 :: v_dual_add_f32 v29, v29, v59
	s_delay_alu instid0(VALU_DEP_3) | instskip(SKIP_2) | instid1(VALU_DEP_4)
	v_dual_add_f32 v31, v31, v45 :: v_dual_fmac_f32 v148, v133, v68
	v_fma_f32 v37, v132, v68, -v37
	v_dual_mul_f32 v150, v136, v73 :: v_dual_mul_f32 v51, v98, v75
	v_add_f32_e32 v29, v29, v61
	s_wait_loadcnt 0x4
	v_dual_add_f32 v31, v31, v33 :: v_dual_mov_b32 v56, v81
	v_dual_fmac_f32 v149, v135, v70 :: v_dual_fma_f32 v33, v134, v70, -v35
	s_delay_alu instid0(VALU_DEP_2) | instskip(SKIP_2) | instid1(VALU_DEP_3)
	v_dual_add_f32 v29, v29, v148 :: v_dual_add_f32 v31, v31, v37
	v_dual_fmac_f32 v150, v137, v72 :: v_dual_fma_f32 v35, v136, v72, -v41
	v_pk_mul_f32 v[54:55], v[102:103], v[78:79] op_sel:[1,1] op_sel_hi:[0,1]
	v_dual_add_f32 v29, v29, v149 :: v_dual_fmac_f32 v51, v99, v74
	s_wait_loadcnt 0x3
	v_dual_add_f32 v31, v31, v33 :: v_dual_mov_b32 v60, v85
	v_fma_f32 v50, v98, v74, -v39
	s_delay_alu instid0(VALU_DEP_3) | instskip(NEXT) | instid1(VALU_DEP_3)
	v_dual_add_f32 v63, v29, v150 :: v_dual_fma_f32 v52, v100, v76, -v43
	v_dual_add_f32 v62, v31, v35 :: v_dual_fmac_f32 v53, v101, v76
	v_pk_fma_f32 v[64:65], v[102:103], v[78:79], v[54:55] op_sel_hi:[1,0,1]
	v_pk_mul_f32 v[56:57], v[140:141], v[56:57] op_sel_hi:[1,0]
	v_pk_fma_f32 v[54:55], v[102:103], v[78:79], v[54:55] neg_lo:[0,0,1] neg_hi:[0,0,1]
	s_delay_alu instid0(VALU_DEP_4)
	v_pk_add_f32 v[50:51], v[62:63], v[50:51]
	v_pk_mul_f32 v[58:59], v[106:107], v[82:83] op_sel:[1,1] op_sel_hi:[0,1]
	v_mov_b32_e32 v55, v65
	v_pk_fma_f32 v[64:65], v[104:105], v[80:81], v[56:57] op_sel_hi:[1,0,1]
	v_pk_fma_f32 v[56:57], v[104:105], v[80:81], v[56:57] neg_lo:[0,0,1] neg_hi:[0,0,1]
	v_pk_add_f32 v[50:51], v[50:51], v[52:53]
	v_pk_fma_f32 v[52:53], v[106:107], v[82:83], v[58:59] op_sel_hi:[1,0,1]
	v_pk_mul_f32 v[60:61], v[142:143], v[60:61] op_sel_hi:[1,0]
	v_mov_b32_e32 v57, v65
	s_wait_loadcnt 0x2
	v_pk_mul_f32 v[62:63], v[110:111], v[86:87] op_sel:[1,1] op_sel_hi:[0,1]
	v_pk_add_f32 v[50:51], v[50:51], v[54:55]
	v_mov_b32_e32 v52, v89
	v_pk_fma_f32 v[54:55], v[106:107], v[82:83], v[58:59] neg_lo:[0,0,1] neg_hi:[0,0,1]
	v_mov_b32_e32 v55, v53
	v_pk_fma_f32 v[58:59], v[108:109], v[84:85], v[60:61] op_sel_hi:[1,0,1]
	v_pk_add_f32 v[50:51], v[50:51], v[56:57]
	v_pk_fma_f32 v[56:57], v[110:111], v[86:87], v[62:63] op_sel_hi:[1,0,1]
	v_pk_mul_f32 v[52:53], v[144:145], v[52:53] op_sel_hi:[1,0]
	v_pk_fma_f32 v[60:61], v[108:109], v[84:85], v[60:61] neg_lo:[0,0,1] neg_hi:[0,0,1]
	v_mov_b32_e32 v61, v59
	v_pk_add_f32 v[50:51], v[50:51], v[54:55]
	v_pk_fma_f32 v[58:59], v[110:111], v[86:87], v[62:63] neg_lo:[0,0,1] neg_hi:[0,0,1]
	v_mov_b32_e32 v59, v57
	v_pk_fma_f32 v[56:57], v[112:113], v[88:89], v[52:53] op_sel_hi:[1,0,1]
	s_wait_loadcnt 0x1
	v_pk_mul_f32 v[54:55], v[114:115], v[90:91] op_sel:[1,1] op_sel_hi:[0,1]
	v_pk_add_f32 v[50:51], v[50:51], v[60:61]
	v_mov_b32_e32 v56, v93
	v_pk_fma_f32 v[52:53], v[112:113], v[88:89], v[52:53] neg_lo:[0,0,1] neg_hi:[0,0,1]
	v_dual_mov_b32 v53, v57 :: v_dual_ashrrev_i32 v29, 31, v28
	v_pk_fma_f32 v[60:61], v[114:115], v[90:91], v[54:55] op_sel_hi:[1,0,1]
	v_pk_add_f32 v[50:51], v[50:51], v[58:59]
	v_pk_mul_f32 v[56:57], v[146:147], v[56:57] op_sel_hi:[1,0]
	v_pk_fma_f32 v[54:55], v[114:115], v[90:91], v[54:55] neg_lo:[0,0,1] neg_hi:[0,0,1]
	s_delay_alu instid0(VALU_DEP_4) | instskip(NEXT) | instid1(VALU_DEP_4)
	v_dual_ashrrev_i32 v31, 31, v30 :: v_dual_mov_b32 v55, v61
	v_pk_add_f32 v[50:51], v[50:51], v[52:53]
	s_delay_alu instid0(VALU_DEP_4)
	v_pk_fma_f32 v[52:53], v[116:117], v[92:93], v[56:57] op_sel_hi:[1,0,1]
	v_pk_fma_f32 v[56:57], v[116:117], v[92:93], v[56:57] neg_lo:[0,0,1] neg_hi:[0,0,1]
	v_dual_ashrrev_i32 v33, 31, v32 :: v_dual_ashrrev_i32 v35, 31, v34
	v_ashrrev_i32_e32 v37, 31, v36
	v_pk_add_f32 v[50:51], v[50:51], v[54:55]
	v_dual_mov_b32 v57, v53 :: v_dual_ashrrev_i32 v39, 31, v38
	v_dual_ashrrev_i32 v41, 31, v40 :: v_dual_ashrrev_i32 v43, 31, v42
	v_ashrrev_i32_e32 v45, 31, v44
	s_delay_alu instid0(VALU_DEP_3) | instskip(SKIP_2) | instid1(VALU_DEP_2)
	v_pk_add_f32 v[50:51], v[50:51], v[56:57]
	v_dual_ashrrev_i32 v47, 31, v46 :: v_dual_ashrrev_i32 v49, 31, v48
	s_wait_loadcnt 0x0
	v_pk_add_f32 v[50:51], v[138:139], v[50:51] neg_lo:[0,1] neg_hi:[0,1]
	scratch_store_b64 off, v[50:51], off offset:8
	s_wait_xcnt 0x0
	v_cmpx_ne_u32_e32 0, v0
	s_cbranch_execz .LBB87_157
; %bb.156:
	scratch_load_b64 v[50:51], off, off
	v_mov_b64_e32 v[52:53], 0
	scratch_store_b64 off, v[52:53], off
	s_wait_loadcnt 0x0
	ds_store_b64 v1, v[50:51]
.LBB87_157:
	s_wait_xcnt 0x0
	s_or_b32 exec_lo, exec_lo, s0
	s_wait_storecnt_dscnt 0x0
	s_barrier_signal -1
	s_barrier_wait -1
	s_clause 0xc
	scratch_load_b128 v[52:55], off, off offset:8
	scratch_load_b128 v[56:59], off, off offset:24
	;; [unrolled: 1-line block ×11, first 2 shown]
	scratch_load_b64 v[0:1], off, off offset:184
	scratch_load_b64 v[140:141], off, off
	v_mov_b32_e32 v50, 0
	ds_load_2addr_b64 v[96:99], v50 offset0:39 offset1:40
	ds_load_2addr_b64 v[100:103], v50 offset0:41 offset1:42
	;; [unrolled: 1-line block ×11, first 2 shown]
	ds_load_b64 v[142:143], v50 offset:376
	s_and_b32 vcc_lo, exec_lo, s12
	s_wait_dscnt 0xb
	v_dual_mov_b32 v144, v99 :: v_dual_mov_b32 v145, v98
	s_wait_dscnt 0x8
	v_dual_mov_b32 v146, v103 :: v_dual_mov_b32 v151, v110
	v_dual_mov_b32 v147, v102 :: v_dual_mov_b32 v148, v107
	;; [unrolled: 1-line block ×3, first 2 shown]
	s_wait_loadcnt_dscnt 0xc07
	v_dual_mul_f32 v51, v112, v53 :: v_dual_mul_f32 v53, v113, v53
	s_wait_loadcnt_dscnt 0xb06
	v_dual_mul_f32 v152, v114, v55 :: v_dual_mul_f32 v154, v116, v57
	;; [unrolled: 2-line block ×3, first 2 shown]
	v_dual_mul_f32 v55, v115, v55 :: v_dual_mul_f32 v65, v125, v65
	v_dual_fmac_f32 v51, v113, v52 :: v_dual_fma_f32 v52, v112, v52, -v53
	v_dual_mul_f32 v57, v117, v57 :: v_dual_mul_f32 v53, v127, v67
	s_delay_alu instid0(VALU_DEP_3) | instskip(NEXT) | instid1(VALU_DEP_3)
	v_dual_fmac_f32 v152, v115, v54 :: v_dual_fma_f32 v54, v114, v54, -v55
	v_dual_add_f32 v51, 0, v51 :: v_dual_add_f32 v52, 0, v52
	v_dual_mul_f32 v156, v118, v59 :: v_dual_mul_f32 v157, v120, v61
	s_wait_loadcnt_dscnt 0x803
	v_dual_mul_f32 v59, v119, v59 :: v_dual_mul_f32 v55, v129, v69
	s_delay_alu instid0(VALU_DEP_3) | instskip(SKIP_1) | instid1(VALU_DEP_3)
	v_dual_fmac_f32 v154, v117, v56 :: v_dual_add_f32 v52, v52, v54
	v_fma_f32 v56, v116, v56, -v57
	v_dual_add_f32 v51, v51, v152 :: v_dual_fma_f32 v57, v118, v58, -v59
	v_dual_mul_f32 v61, v121, v61 :: v_dual_mul_f32 v63, v123, v63
	s_delay_alu instid0(VALU_DEP_3)
	v_dual_mul_f32 v54, v131, v71 :: v_dual_add_f32 v52, v52, v56
	s_wait_loadcnt_dscnt 0x701
	v_dual_fmac_f32 v156, v119, v58 :: v_dual_mul_f32 v56, v137, v73
	v_dual_add_f32 v51, v51, v154 :: v_dual_fmac_f32 v157, v121, v60
	v_fma_f32 v58, v120, v60, -v61
	v_dual_add_f32 v52, v52, v57 :: v_dual_mul_f32 v57, v139, v75
	s_delay_alu instid0(VALU_DEP_3) | instskip(SKIP_1) | instid1(VALU_DEP_3)
	v_add_f32_e32 v51, v51, v156
	v_dual_fmac_f32 v158, v123, v62 :: v_dual_fma_f32 v59, v122, v62, -v63
	v_dual_add_f32 v52, v52, v58 :: v_dual_mul_f32 v160, v126, v67
	v_mul_f32_e32 v161, v128, v69
	s_delay_alu instid0(VALU_DEP_4)
	v_add_f32_e32 v51, v51, v157
	s_wait_loadcnt 0x6
	v_dual_mul_f32 v60, v133, v77 :: v_dual_fma_f32 v58, v124, v64, -v65
	v_dual_fmac_f32 v159, v125, v64 :: v_dual_add_f32 v52, v52, v59
	v_fmac_f32_e32 v160, v127, v66
	v_add_f32_e32 v51, v51, v158
	v_dual_mul_f32 v61, v135, v79 :: v_dual_fma_f32 v53, v126, v66, -v53
	s_delay_alu instid0(VALU_DEP_4) | instskip(NEXT) | instid1(VALU_DEP_3)
	v_dual_add_f32 v52, v52, v58 :: v_dual_mul_f32 v162, v130, v71
	v_dual_mul_f32 v163, v136, v73 :: v_dual_add_f32 v51, v51, v159
	s_wait_loadcnt 0x5
	v_dual_mul_f32 v63, v97, v81 :: v_dual_fma_f32 v55, v128, v68, -v55
	s_delay_alu instid0(VALU_DEP_3) | instskip(NEXT) | instid1(VALU_DEP_3)
	v_dual_fmac_f32 v161, v129, v68 :: v_dual_add_f32 v53, v52, v53
	v_dual_add_f32 v51, v51, v160 :: v_dual_fma_f32 v58, v130, v70, -v54
	v_mov_b32_e32 v52, v83
	v_dual_fmac_f32 v162, v131, v70 :: v_dual_fmac_f32 v163, v137, v72
	s_delay_alu instid0(VALU_DEP_3) | instskip(SKIP_4) | instid1(VALU_DEP_3)
	v_dual_add_f32 v51, v51, v161 :: v_dual_fma_f32 v59, v136, v72, -v56
	v_add_f32_e32 v53, v53, v55
	v_dual_mul_f32 v164, v138, v75 :: v_dual_mul_f32 v165, v132, v77
	s_wait_loadcnt 0x4
	v_dual_mov_b32 v56, v87 :: v_dual_fma_f32 v57, v138, v74, -v57
	v_add_f32_e32 v53, v53, v58
	v_add_f32_e32 v51, v51, v162
	v_dual_fmac_f32 v164, v139, v74 :: v_dual_mul_f32 v153, v134, v79
	s_delay_alu instid0(VALU_DEP_3) | instskip(NEXT) | instid1(VALU_DEP_3)
	v_dual_mul_f32 v155, v96, v81 :: v_dual_add_f32 v53, v53, v59
	v_dual_add_f32 v51, v51, v163 :: v_dual_fmac_f32 v165, v133, v76
	v_dual_fma_f32 v60, v132, v76, -v60 :: v_dual_fma_f32 v152, v134, v78, -v61
	s_delay_alu instid0(VALU_DEP_2) | instskip(SKIP_3) | instid1(VALU_DEP_4)
	v_dual_add_f32 v57, v53, v57 :: v_dual_add_f32 v51, v51, v164
	v_fmac_f32_e32 v153, v135, v78
	v_pk_mul_f32 v[52:53], v[144:145], v[52:53] op_sel_hi:[1,0]
	v_pk_mul_f32 v[54:55], v[100:101], v[84:85] op_sel:[1,1] op_sel_hi:[0,1]
	v_dual_add_f32 v60, v57, v60 :: v_dual_add_f32 v61, v51, v165
	s_wait_loadcnt 0x3
	v_dual_fmac_f32 v155, v97, v80 :: v_dual_mov_b32 v62, v91
	v_fma_f32 v154, v96, v80, -v63
	v_pk_fma_f32 v[64:65], v[98:99], v[82:83], v[52:53] op_sel_hi:[1,0,1]
	v_pk_add_f32 v[60:61], v[60:61], v[152:153]
	v_pk_fma_f32 v[52:53], v[98:99], v[82:83], v[52:53] neg_lo:[0,0,1] neg_hi:[0,0,1]
	v_pk_fma_f32 v[66:67], v[100:101], v[84:85], v[54:55] op_sel_hi:[1,0,1]
	v_pk_mul_f32 v[56:57], v[146:147], v[56:57] op_sel_hi:[1,0]
	v_mov_b32_e32 v53, v65
	v_pk_add_f32 v[60:61], v[60:61], v[154:155]
	v_pk_fma_f32 v[54:55], v[100:101], v[84:85], v[54:55] neg_lo:[0,0,1] neg_hi:[0,0,1]
	v_pk_mul_f32 v[58:59], v[104:105], v[88:89] op_sel:[1,1] op_sel_hi:[0,1]
	v_mov_b32_e32 v55, v67
	v_pk_fma_f32 v[66:67], v[102:103], v[86:87], v[56:57] op_sel_hi:[1,0,1]
	v_pk_add_f32 v[52:53], v[60:61], v[52:53]
	v_pk_fma_f32 v[56:57], v[102:103], v[86:87], v[56:57] neg_lo:[0,0,1] neg_hi:[0,0,1]
	v_pk_fma_f32 v[60:61], v[104:105], v[88:89], v[58:59] op_sel_hi:[1,0,1]
	v_pk_mul_f32 v[62:63], v[148:149], v[62:63] op_sel_hi:[1,0]
	v_mov_b32_e32 v57, v67
	v_pk_add_f32 v[52:53], v[52:53], v[54:55]
	v_pk_fma_f32 v[58:59], v[104:105], v[88:89], v[58:59] neg_lo:[0,0,1] neg_hi:[0,0,1]
	s_wait_loadcnt 0x2
	v_pk_mul_f32 v[64:65], v[108:109], v[92:93] op_sel:[1,1] op_sel_hi:[0,1]
	v_dual_mov_b32 v54, v95 :: v_dual_mov_b32 v59, v61
	v_pk_fma_f32 v[60:61], v[106:107], v[90:91], v[62:63] op_sel_hi:[1,0,1]
	v_pk_add_f32 v[52:53], v[52:53], v[56:57]
	v_pk_fma_f32 v[62:63], v[106:107], v[90:91], v[62:63] neg_lo:[0,0,1] neg_hi:[0,0,1]
	v_pk_fma_f32 v[56:57], v[108:109], v[92:93], v[64:65] op_sel_hi:[1,0,1]
	v_pk_mul_f32 v[54:55], v[150:151], v[54:55] op_sel_hi:[1,0]
	v_mov_b32_e32 v63, v61
	v_pk_add_f32 v[52:53], v[52:53], v[58:59]
	v_pk_fma_f32 v[60:61], v[108:109], v[92:93], v[64:65] neg_lo:[0,0,1] neg_hi:[0,0,1]
	s_wait_loadcnt_dscnt 0x100
	v_pk_mul_f32 v[58:59], v[142:143], v[0:1] op_sel:[1,1] op_sel_hi:[0,1]
	v_mov_b32_e32 v61, v57
	v_pk_fma_f32 v[56:57], v[110:111], v[94:95], v[54:55] op_sel_hi:[1,0,1]
	v_pk_add_f32 v[52:53], v[52:53], v[62:63]
	v_pk_fma_f32 v[54:55], v[110:111], v[94:95], v[54:55] neg_lo:[0,0,1] neg_hi:[0,0,1]
	v_pk_fma_f32 v[62:63], v[142:143], v[0:1], v[58:59] op_sel_hi:[1,0,1]
	v_pk_fma_f32 v[0:1], v[142:143], v[0:1], v[58:59] neg_lo:[0,0,1] neg_hi:[0,0,1]
	v_mov_b32_e32 v55, v57
	v_pk_add_f32 v[52:53], v[52:53], v[60:61]
	s_delay_alu instid0(VALU_DEP_4) | instskip(NEXT) | instid1(VALU_DEP_2)
	v_mov_b32_e32 v1, v63
	v_pk_add_f32 v[52:53], v[52:53], v[54:55]
	s_delay_alu instid0(VALU_DEP_1) | instskip(SKIP_1) | instid1(VALU_DEP_1)
	v_pk_add_f32 v[0:1], v[52:53], v[0:1]
	s_wait_loadcnt 0x0
	v_pk_add_f32 v[0:1], v[140:141], v[0:1] neg_lo:[0,1] neg_hi:[0,1]
	scratch_store_b64 off, v[0:1], off
	s_cbranch_vccz .LBB87_204
; %bb.158:
	global_load_b32 v0, v50, s[8:9] offset:88
	s_wait_loadcnt 0x0
	v_cmp_ne_u32_e32 vcc_lo, 23, v0
	s_cbranch_vccz .LBB87_160
; %bb.159:
	v_lshlrev_b32_e32 v0, 3, v0
	s_delay_alu instid0(VALU_DEP_1)
	v_mov_b32_e32 v52, v0
	scratch_load_b64 v[0:1], v52, off offset:-8
	scratch_load_b64 v[50:51], off, off offset:176
	s_wait_loadcnt 0x1
	scratch_store_b64 off, v[0:1], off offset:176
	s_wait_loadcnt 0x0
	scratch_store_b64 v52, v[50:51], off offset:-8
.LBB87_160:
	s_wait_xcnt 0x1
	v_mov_b32_e32 v0, 0
	global_load_b32 v1, v0, s[8:9] offset:84
	s_wait_loadcnt 0x0
	v_cmp_eq_u32_e32 vcc_lo, 22, v1
	s_cbranch_vccnz .LBB87_162
; %bb.161:
	v_lshlrev_b32_e32 v1, 3, v1
	scratch_load_b64 v[50:51], v1, off offset:-8
	scratch_load_b64 v[52:53], off, off offset:168
	s_wait_loadcnt 0x1
	scratch_store_b64 off, v[50:51], off offset:168
	s_wait_loadcnt 0x0
	scratch_store_b64 v1, v[52:53], off offset:-8
.LBB87_162:
	global_load_b32 v0, v0, s[8:9] offset:80
	s_wait_loadcnt 0x0
	v_cmp_eq_u32_e32 vcc_lo, 21, v0
	s_cbranch_vccnz .LBB87_164
; %bb.163:
	s_wait_xcnt 0x0
	v_lshlrev_b32_e32 v0, 3, v0
	s_delay_alu instid0(VALU_DEP_1)
	v_mov_b32_e32 v52, v0
	scratch_load_b64 v[0:1], v52, off offset:-8
	scratch_load_b64 v[50:51], off, off offset:160
	s_wait_loadcnt 0x1
	scratch_store_b64 off, v[0:1], off offset:160
	s_wait_loadcnt 0x0
	scratch_store_b64 v52, v[50:51], off offset:-8
.LBB87_164:
	s_wait_xcnt 0x0
	v_mov_b32_e32 v0, 0
	global_load_b32 v1, v0, s[8:9] offset:76
	s_wait_loadcnt 0x0
	v_cmp_eq_u32_e32 vcc_lo, 20, v1
	s_cbranch_vccnz .LBB87_166
; %bb.165:
	v_lshlrev_b32_e32 v1, 3, v1
	scratch_load_b64 v[50:51], v1, off offset:-8
	scratch_load_b64 v[52:53], off, off offset:152
	s_wait_loadcnt 0x1
	scratch_store_b64 off, v[50:51], off offset:152
	s_wait_loadcnt 0x0
	scratch_store_b64 v1, v[52:53], off offset:-8
.LBB87_166:
	global_load_b32 v0, v0, s[8:9] offset:72
	s_wait_loadcnt 0x0
	v_cmp_eq_u32_e32 vcc_lo, 19, v0
	s_cbranch_vccnz .LBB87_168
; %bb.167:
	s_wait_xcnt 0x0
	v_lshlrev_b32_e32 v0, 3, v0
	s_delay_alu instid0(VALU_DEP_1)
	v_mov_b32_e32 v52, v0
	scratch_load_b64 v[0:1], v52, off offset:-8
	scratch_load_b64 v[50:51], off, off offset:144
	s_wait_loadcnt 0x1
	scratch_store_b64 off, v[0:1], off offset:144
	s_wait_loadcnt 0x0
	scratch_store_b64 v52, v[50:51], off offset:-8
.LBB87_168:
	;; [unrolled: 31-line block ×10, first 2 shown]
	s_wait_xcnt 0x0
	v_mov_b32_e32 v0, 0
	global_load_b32 v1, v0, s[8:9] offset:4
	s_wait_loadcnt 0x0
	v_cmp_eq_u32_e32 vcc_lo, 2, v1
	s_cbranch_vccnz .LBB87_202
; %bb.201:
	v_lshlrev_b32_e32 v1, 3, v1
	scratch_load_b64 v[50:51], v1, off offset:-8
	scratch_load_b64 v[52:53], off, off offset:8
	s_wait_loadcnt 0x1
	scratch_store_b64 off, v[50:51], off offset:8
	s_wait_loadcnt 0x0
	scratch_store_b64 v1, v[52:53], off offset:-8
.LBB87_202:
	global_load_b32 v50, v0, s[8:9]
	scratch_load_b64 v[0:1], off, off
	s_wait_loadcnt 0x1
	v_cmp_eq_u32_e32 vcc_lo, 1, v50
	s_cbranch_vccnz .LBB87_204
; %bb.203:
	v_lshlrev_b32_e32 v50, 3, v50
	s_delay_alu instid0(VALU_DEP_1)
	v_mov_b32_e32 v52, v50
	scratch_load_b64 v[50:51], v52, off offset:-8
	s_wait_loadcnt 0x0
	scratch_store_b64 off, v[50:51], off
	scratch_store_b64 v52, v[0:1], off offset:-8
	scratch_load_b64 v[0:1], off, off
.LBB87_204:
	s_wait_loadcnt 0x0
	flat_store_b64 v[2:3], v[0:1]
	scratch_load_b64 v[0:1], off, off offset:8
	v_lshl_add_u64 v[70:71], v[6:7], 3, s[2:3]
	v_lshl_add_u64 v[68:69], v[8:9], 3, s[2:3]
	;; [unrolled: 1-line block ×22, first 2 shown]
	s_wait_loadcnt 0x0
	flat_store_b64 v[4:5], v[0:1]
	scratch_load_b64 v[0:1], off, off offset:16
	s_wait_loadcnt 0x0
	flat_store_b64 v[70:71], v[0:1]
	scratch_load_b64 v[0:1], off, off offset:24
	;; [unrolled: 3-line block ×22, first 2 shown]
	s_wait_loadcnt 0x0
	flat_store_b64 v[6:7], v[0:1]
	s_sendmsg sendmsg(MSG_DEALLOC_VGPRS)
	s_endpgm
	.section	.rodata,"a",@progbits
	.p2align	6, 0x0
	.amdhsa_kernel _ZN9rocsolver6v33100L18getri_kernel_smallILi24E19rocblas_complex_numIfEPKPS3_EEvT1_iilPiilS8_bb
		.amdhsa_group_segment_fixed_size 388
		.amdhsa_private_segment_fixed_size 208
		.amdhsa_kernarg_size 60
		.amdhsa_user_sgpr_count 2
		.amdhsa_user_sgpr_dispatch_ptr 0
		.amdhsa_user_sgpr_queue_ptr 0
		.amdhsa_user_sgpr_kernarg_segment_ptr 1
		.amdhsa_user_sgpr_dispatch_id 0
		.amdhsa_user_sgpr_kernarg_preload_length 0
		.amdhsa_user_sgpr_kernarg_preload_offset 0
		.amdhsa_user_sgpr_private_segment_size 0
		.amdhsa_wavefront_size32 1
		.amdhsa_uses_dynamic_stack 0
		.amdhsa_enable_private_segment 1
		.amdhsa_system_sgpr_workgroup_id_x 1
		.amdhsa_system_sgpr_workgroup_id_y 0
		.amdhsa_system_sgpr_workgroup_id_z 0
		.amdhsa_system_sgpr_workgroup_info 0
		.amdhsa_system_vgpr_workitem_id 0
		.amdhsa_next_free_vgpr 166
		.amdhsa_next_free_sgpr 19
		.amdhsa_named_barrier_count 0
		.amdhsa_reserve_vcc 1
		.amdhsa_float_round_mode_32 0
		.amdhsa_float_round_mode_16_64 0
		.amdhsa_float_denorm_mode_32 3
		.amdhsa_float_denorm_mode_16_64 3
		.amdhsa_fp16_overflow 0
		.amdhsa_memory_ordered 1
		.amdhsa_forward_progress 1
		.amdhsa_inst_pref_size 227
		.amdhsa_round_robin_scheduling 0
		.amdhsa_exception_fp_ieee_invalid_op 0
		.amdhsa_exception_fp_denorm_src 0
		.amdhsa_exception_fp_ieee_div_zero 0
		.amdhsa_exception_fp_ieee_overflow 0
		.amdhsa_exception_fp_ieee_underflow 0
		.amdhsa_exception_fp_ieee_inexact 0
		.amdhsa_exception_int_div_zero 0
	.end_amdhsa_kernel
	.section	.text._ZN9rocsolver6v33100L18getri_kernel_smallILi24E19rocblas_complex_numIfEPKPS3_EEvT1_iilPiilS8_bb,"axG",@progbits,_ZN9rocsolver6v33100L18getri_kernel_smallILi24E19rocblas_complex_numIfEPKPS3_EEvT1_iilPiilS8_bb,comdat
.Lfunc_end87:
	.size	_ZN9rocsolver6v33100L18getri_kernel_smallILi24E19rocblas_complex_numIfEPKPS3_EEvT1_iilPiilS8_bb, .Lfunc_end87-_ZN9rocsolver6v33100L18getri_kernel_smallILi24E19rocblas_complex_numIfEPKPS3_EEvT1_iilPiilS8_bb
                                        ; -- End function
	.set _ZN9rocsolver6v33100L18getri_kernel_smallILi24E19rocblas_complex_numIfEPKPS3_EEvT1_iilPiilS8_bb.num_vgpr, 166
	.set _ZN9rocsolver6v33100L18getri_kernel_smallILi24E19rocblas_complex_numIfEPKPS3_EEvT1_iilPiilS8_bb.num_agpr, 0
	.set _ZN9rocsolver6v33100L18getri_kernel_smallILi24E19rocblas_complex_numIfEPKPS3_EEvT1_iilPiilS8_bb.numbered_sgpr, 19
	.set _ZN9rocsolver6v33100L18getri_kernel_smallILi24E19rocblas_complex_numIfEPKPS3_EEvT1_iilPiilS8_bb.num_named_barrier, 0
	.set _ZN9rocsolver6v33100L18getri_kernel_smallILi24E19rocblas_complex_numIfEPKPS3_EEvT1_iilPiilS8_bb.private_seg_size, 208
	.set _ZN9rocsolver6v33100L18getri_kernel_smallILi24E19rocblas_complex_numIfEPKPS3_EEvT1_iilPiilS8_bb.uses_vcc, 1
	.set _ZN9rocsolver6v33100L18getri_kernel_smallILi24E19rocblas_complex_numIfEPKPS3_EEvT1_iilPiilS8_bb.uses_flat_scratch, 1
	.set _ZN9rocsolver6v33100L18getri_kernel_smallILi24E19rocblas_complex_numIfEPKPS3_EEvT1_iilPiilS8_bb.has_dyn_sized_stack, 0
	.set _ZN9rocsolver6v33100L18getri_kernel_smallILi24E19rocblas_complex_numIfEPKPS3_EEvT1_iilPiilS8_bb.has_recursion, 0
	.set _ZN9rocsolver6v33100L18getri_kernel_smallILi24E19rocblas_complex_numIfEPKPS3_EEvT1_iilPiilS8_bb.has_indirect_call, 0
	.section	.AMDGPU.csdata,"",@progbits
; Kernel info:
; codeLenInByte = 29040
; TotalNumSgprs: 21
; NumVgprs: 166
; ScratchSize: 208
; MemoryBound: 0
; FloatMode: 240
; IeeeMode: 1
; LDSByteSize: 388 bytes/workgroup (compile time only)
; SGPRBlocks: 0
; VGPRBlocks: 10
; NumSGPRsForWavesPerEU: 21
; NumVGPRsForWavesPerEU: 166
; NamedBarCnt: 0
; Occupancy: 5
; WaveLimiterHint : 1
; COMPUTE_PGM_RSRC2:SCRATCH_EN: 1
; COMPUTE_PGM_RSRC2:USER_SGPR: 2
; COMPUTE_PGM_RSRC2:TRAP_HANDLER: 0
; COMPUTE_PGM_RSRC2:TGID_X_EN: 1
; COMPUTE_PGM_RSRC2:TGID_Y_EN: 0
; COMPUTE_PGM_RSRC2:TGID_Z_EN: 0
; COMPUTE_PGM_RSRC2:TIDIG_COMP_CNT: 0
	.section	.text._ZN9rocsolver6v33100L18getri_kernel_smallILi25E19rocblas_complex_numIfEPKPS3_EEvT1_iilPiilS8_bb,"axG",@progbits,_ZN9rocsolver6v33100L18getri_kernel_smallILi25E19rocblas_complex_numIfEPKPS3_EEvT1_iilPiilS8_bb,comdat
	.globl	_ZN9rocsolver6v33100L18getri_kernel_smallILi25E19rocblas_complex_numIfEPKPS3_EEvT1_iilPiilS8_bb ; -- Begin function _ZN9rocsolver6v33100L18getri_kernel_smallILi25E19rocblas_complex_numIfEPKPS3_EEvT1_iilPiilS8_bb
	.p2align	8
	.type	_ZN9rocsolver6v33100L18getri_kernel_smallILi25E19rocblas_complex_numIfEPKPS3_EEvT1_iilPiilS8_bb,@function
_ZN9rocsolver6v33100L18getri_kernel_smallILi25E19rocblas_complex_numIfEPKPS3_EEvT1_iilPiilS8_bb: ; @_ZN9rocsolver6v33100L18getri_kernel_smallILi25E19rocblas_complex_numIfEPKPS3_EEvT1_iilPiilS8_bb
; %bb.0:
	s_mov_b32 s2, exec_lo
	v_cmpx_gt_u32_e32 25, v0
	s_cbranch_execz .LBB88_114
; %bb.1:
	s_clause 0x1
	s_load_b32 s13, s[0:1], 0x38
	s_load_b64 s[2:3], s[0:1], 0x0
	s_getreg_b32 s6, hwreg(HW_REG_IB_STS2, 6, 4)
	s_wait_kmcnt 0x0
	s_bitcmp1_b32 s13, 8
	s_cselect_b32 s12, -1, 0
	s_bfe_u32 s4, ttmp6, 0x4000c
	s_and_b32 s5, ttmp6, 15
	s_add_co_i32 s4, s4, 1
	s_delay_alu instid0(SALU_CYCLE_1) | instskip(NEXT) | instid1(SALU_CYCLE_1)
	s_mul_i32 s4, ttmp9, s4
	s_add_co_i32 s5, s5, s4
	s_cmp_eq_u32 s6, 0
	s_cselect_b32 s10, ttmp9, s5
	s_load_b128 s[4:7], s[0:1], 0x28
	s_ashr_i32 s11, s10, 31
	s_delay_alu instid0(SALU_CYCLE_1) | instskip(NEXT) | instid1(SALU_CYCLE_1)
	s_lshl_b64 s[8:9], s[10:11], 3
	s_add_nc_u64 s[2:3], s[2:3], s[8:9]
	s_bfe_u32 s8, s13, 0x10008
	s_load_b64 s[2:3], s[2:3], 0x0
	s_cmp_eq_u32 s8, 0
                                        ; implicit-def: $sgpr8_sgpr9
	s_cbranch_scc1 .LBB88_3
; %bb.2:
	s_load_b96 s[16:18], s[0:1], 0x18
	s_wait_kmcnt 0x0
	s_mul_u64 s[4:5], s[4:5], s[10:11]
	s_delay_alu instid0(SALU_CYCLE_1) | instskip(SKIP_4) | instid1(SALU_CYCLE_1)
	s_lshl_b64 s[4:5], s[4:5], 2
	s_ashr_i32 s9, s18, 31
	s_mov_b32 s8, s18
	s_add_nc_u64 s[4:5], s[16:17], s[4:5]
	s_lshl_b64 s[8:9], s[8:9], 2
	s_add_nc_u64 s[8:9], s[4:5], s[8:9]
.LBB88_3:
	s_wait_kmcnt 0x0
	s_clause 0x1
	s_load_b64 s[4:5], s[0:1], 0x8
	s_load_b32 s13, s[0:1], 0x38
	v_dual_mov_b32 v53, 0 :: v_dual_lshlrev_b32 v52, 3, v0
	s_wait_kmcnt 0x0
	s_ashr_i32 s1, s4, 31
	s_mov_b32 s0, s4
	s_delay_alu instid0(SALU_CYCLE_1) | instskip(NEXT) | instid1(SALU_CYCLE_1)
	s_lshl_b64 s[0:1], s[0:1], 3
	s_add_nc_u64 s[2:3], s[2:3], s[0:1]
	s_ashr_i32 s1, s5, 31
	flat_load_b64 v[6:7], v0, s[2:3] scale_offset
	v_add_nc_u64_e32 v[2:3], s[2:3], v[52:53]
	s_mov_b32 s0, s5
	s_bitcmp0_b32 s13, 0
	s_delay_alu instid0(VALU_DEP_1)
	v_lshl_add_u64 v[4:5], s[0:1], 3, v[2:3]
	s_mov_b32 s1, -1
	s_wait_loadcnt_dscnt 0x0
	scratch_store_b64 off, v[6:7], off
	flat_load_b64 v[8:9], v[4:5]
	s_wait_xcnt 0x1
	v_add3_u32 v6, s5, s5, v0
	s_wait_loadcnt_dscnt 0x0
	scratch_store_b64 off, v[8:9], off offset:8
	flat_load_b64 v[10:11], v6, s[2:3] scale_offset
	s_wait_xcnt 0x1
	v_add_nc_u32_e32 v8, s5, v6
	s_wait_loadcnt_dscnt 0x0
	scratch_store_b64 off, v[10:11], off offset:16
	flat_load_b64 v[12:13], v8, s[2:3] scale_offset
	s_wait_xcnt 0x1
	v_add_nc_u32_e32 v10, s5, v8
	;; [unrolled: 5-line block ×22, first 2 shown]
	s_wait_loadcnt_dscnt 0x0
	scratch_store_b64 off, v[54:55], off offset:184
	flat_load_b64 v[54:55], v50, s[2:3] scale_offset
	s_wait_loadcnt_dscnt 0x0
	scratch_store_b64 off, v[54:55], off offset:192
	s_cbranch_scc1 .LBB88_112
; %bb.4:
	v_cmp_eq_u32_e64 s0, 0, v0
	s_wait_xcnt 0x0
	s_and_saveexec_b32 s1, s0
; %bb.5:
	v_mov_b32_e32 v1, 0
	ds_store_b32 v1, v1 offset:200
; %bb.6:
	s_or_b32 exec_lo, exec_lo, s1
	s_wait_storecnt_dscnt 0x0
	s_barrier_signal -1
	s_barrier_wait -1
	scratch_load_b64 v[54:55], v0, off scale_offset
	s_wait_loadcnt 0x0
	v_cmp_eq_f32_e32 vcc_lo, 0, v54
	v_cmp_eq_f32_e64 s1, 0, v55
	s_and_b32 s1, vcc_lo, s1
	s_delay_alu instid0(SALU_CYCLE_1)
	s_and_saveexec_b32 s4, s1
	s_cbranch_execz .LBB88_10
; %bb.7:
	v_mov_b32_e32 v1, 0
	s_mov_b32 s5, 0
	ds_load_b32 v7, v1 offset:200
	s_wait_dscnt 0x0
	v_readfirstlane_b32 s1, v7
	v_add_nc_u32_e32 v7, 1, v0
	s_cmp_eq_u32 s1, 0
	s_delay_alu instid0(VALU_DEP_1) | instskip(SKIP_1) | instid1(SALU_CYCLE_1)
	v_cmp_gt_i32_e32 vcc_lo, s1, v7
	s_cselect_b32 s13, -1, 0
	s_or_b32 s13, s13, vcc_lo
	s_delay_alu instid0(SALU_CYCLE_1)
	s_and_b32 exec_lo, exec_lo, s13
	s_cbranch_execz .LBB88_10
; %bb.8:
	v_mov_b32_e32 v9, s1
.LBB88_9:                               ; =>This Inner Loop Header: Depth=1
	ds_cmpstore_rtn_b32 v9, v1, v7, v9 offset:200
	s_wait_dscnt 0x0
	v_cmp_ne_u32_e32 vcc_lo, 0, v9
	v_cmp_le_i32_e64 s1, v9, v7
	s_and_b32 s1, vcc_lo, s1
	s_delay_alu instid0(SALU_CYCLE_1) | instskip(NEXT) | instid1(SALU_CYCLE_1)
	s_and_b32 s1, exec_lo, s1
	s_or_b32 s5, s1, s5
	s_delay_alu instid0(SALU_CYCLE_1)
	s_and_not1_b32 exec_lo, exec_lo, s5
	s_cbranch_execnz .LBB88_9
.LBB88_10:
	s_or_b32 exec_lo, exec_lo, s4
	v_mov_b32_e32 v1, 0
	s_barrier_signal -1
	s_barrier_wait -1
	ds_load_b32 v7, v1 offset:200
	s_and_saveexec_b32 s1, s0
	s_cbranch_execz .LBB88_12
; %bb.11:
	s_lshl_b64 s[4:5], s[10:11], 2
	s_delay_alu instid0(SALU_CYCLE_1)
	s_add_nc_u64 s[4:5], s[6:7], s[4:5]
	s_wait_dscnt 0x0
	global_store_b32 v1, v7, s[4:5]
.LBB88_12:
	s_wait_xcnt 0x0
	s_or_b32 exec_lo, exec_lo, s1
	s_wait_dscnt 0x0
	v_cmp_ne_u32_e32 vcc_lo, 0, v7
	s_mov_b32 s1, 0
	s_cbranch_vccnz .LBB88_112
; %bb.13:
	v_lshl_add_u32 v7, v0, 3, 0
                                        ; implicit-def: $vgpr57
                                        ; implicit-def: $vgpr58
	scratch_load_b64 v[54:55], v7, off
	s_wait_loadcnt 0x0
	v_cmp_ngt_f32_e64 s1, |v54|, |v55|
	s_wait_xcnt 0x0
	s_and_saveexec_b32 s4, s1
	s_delay_alu instid0(SALU_CYCLE_1)
	s_xor_b32 s1, exec_lo, s4
	s_cbranch_execz .LBB88_15
; %bb.14:
	v_div_scale_f32 v1, null, v55, v55, v54
	v_div_scale_f32 v13, vcc_lo, v54, v55, v54
	s_delay_alu instid0(VALU_DEP_2) | instskip(SKIP_1) | instid1(TRANS32_DEP_1)
	v_rcp_f32_e32 v9, v1
	v_nop
	v_fma_f32 v11, -v1, v9, 1.0
	s_delay_alu instid0(VALU_DEP_1) | instskip(NEXT) | instid1(VALU_DEP_1)
	v_fmac_f32_e32 v9, v11, v9
	v_mul_f32_e32 v11, v13, v9
	s_delay_alu instid0(VALU_DEP_1) | instskip(NEXT) | instid1(VALU_DEP_1)
	v_fma_f32 v15, -v1, v11, v13
	v_fmac_f32_e32 v11, v15, v9
	s_delay_alu instid0(VALU_DEP_1) | instskip(NEXT) | instid1(VALU_DEP_1)
	v_fma_f32 v1, -v1, v11, v13
	v_div_fmas_f32 v1, v1, v9, v11
	s_delay_alu instid0(VALU_DEP_1) | instskip(NEXT) | instid1(VALU_DEP_1)
	v_div_fixup_f32 v1, v1, v55, v54
	v_fmac_f32_e32 v55, v54, v1
	s_delay_alu instid0(VALU_DEP_1) | instskip(NEXT) | instid1(VALU_DEP_1)
	v_div_scale_f32 v9, null, v55, v55, -1.0
	v_rcp_f32_e32 v11, v9
	v_nop
	s_delay_alu instid0(TRANS32_DEP_1) | instskip(NEXT) | instid1(VALU_DEP_1)
	v_fma_f32 v13, -v9, v11, 1.0
	v_fmac_f32_e32 v11, v13, v11
	v_div_scale_f32 v13, vcc_lo, -1.0, v55, -1.0
	s_delay_alu instid0(VALU_DEP_1) | instskip(NEXT) | instid1(VALU_DEP_1)
	v_mul_f32_e32 v15, v13, v11
	v_fma_f32 v17, -v9, v15, v13
	s_delay_alu instid0(VALU_DEP_1) | instskip(NEXT) | instid1(VALU_DEP_1)
	v_fmac_f32_e32 v15, v17, v11
	v_fma_f32 v9, -v9, v15, v13
	s_delay_alu instid0(VALU_DEP_1) | instskip(NEXT) | instid1(VALU_DEP_1)
	v_div_fmas_f32 v9, v9, v11, v15
	v_div_fixup_f32 v57, v9, v55, -1.0
                                        ; implicit-def: $vgpr54_vgpr55
	s_delay_alu instid0(VALU_DEP_1) | instskip(NEXT) | instid1(VALU_DEP_1)
	v_mul_f32_e32 v58, v1, v57
	v_xor_b32_e32 v56, 0x80000000, v58
.LBB88_15:
	s_and_not1_saveexec_b32 s1, s1
	s_cbranch_execz .LBB88_17
; %bb.16:
	v_div_scale_f32 v1, null, v54, v54, v55
	v_div_scale_f32 v13, vcc_lo, v55, v54, v55
	s_delay_alu instid0(VALU_DEP_2) | instskip(SKIP_1) | instid1(TRANS32_DEP_1)
	v_rcp_f32_e32 v9, v1
	v_nop
	v_fma_f32 v11, -v1, v9, 1.0
	s_delay_alu instid0(VALU_DEP_1) | instskip(NEXT) | instid1(VALU_DEP_1)
	v_fmac_f32_e32 v9, v11, v9
	v_mul_f32_e32 v11, v13, v9
	s_delay_alu instid0(VALU_DEP_1) | instskip(NEXT) | instid1(VALU_DEP_1)
	v_fma_f32 v15, -v1, v11, v13
	v_fmac_f32_e32 v11, v15, v9
	s_delay_alu instid0(VALU_DEP_1) | instskip(NEXT) | instid1(VALU_DEP_1)
	v_fma_f32 v1, -v1, v11, v13
	v_div_fmas_f32 v1, v1, v9, v11
	s_delay_alu instid0(VALU_DEP_1) | instskip(NEXT) | instid1(VALU_DEP_1)
	v_div_fixup_f32 v1, v1, v54, v55
	v_fmac_f32_e32 v54, v55, v1
	s_delay_alu instid0(VALU_DEP_1) | instskip(SKIP_1) | instid1(VALU_DEP_2)
	v_div_scale_f32 v9, null, v54, v54, 1.0
	v_div_scale_f32 v15, vcc_lo, 1.0, v54, 1.0
	v_rcp_f32_e32 v11, v9
	v_nop
	s_delay_alu instid0(TRANS32_DEP_1) | instskip(NEXT) | instid1(VALU_DEP_1)
	v_fma_f32 v13, -v9, v11, 1.0
	v_fmac_f32_e32 v11, v13, v11
	s_delay_alu instid0(VALU_DEP_1) | instskip(NEXT) | instid1(VALU_DEP_1)
	v_mul_f32_e32 v13, v15, v11
	v_fma_f32 v17, -v9, v13, v15
	s_delay_alu instid0(VALU_DEP_1) | instskip(NEXT) | instid1(VALU_DEP_1)
	v_fmac_f32_e32 v13, v17, v11
	v_fma_f32 v9, -v9, v13, v15
	s_delay_alu instid0(VALU_DEP_1) | instskip(NEXT) | instid1(VALU_DEP_1)
	v_div_fmas_f32 v9, v9, v11, v13
	v_div_fixup_f32 v56, v9, v54, 1.0
	s_delay_alu instid0(VALU_DEP_1)
	v_xor_b32_e32 v58, 0x80000000, v56
	v_mul_f32_e64 v57, v1, -v56
.LBB88_17:
	s_or_b32 exec_lo, exec_lo, s1
	scratch_store_b64 v7, v[56:57], off
	scratch_load_b64 v[54:55], off, off offset:8
	v_xor_b32_e32 v59, 0x80000000, v57
	v_add_nc_u32_e32 v1, 0xd0, v52
	s_wait_loadcnt 0x0
	ds_store_2addr_b64 v52, v[58:59], v[54:55] offset1:26
	s_wait_storecnt_dscnt 0x0
	s_barrier_signal -1
	s_barrier_wait -1
	s_wait_xcnt 0x0
	s_and_saveexec_b32 s1, s0
	s_cbranch_execz .LBB88_19
; %bb.18:
	scratch_load_b64 v[54:55], v7, off
	ds_load_b64 v[56:57], v1
	s_wait_loadcnt_dscnt 0x0
	v_pk_mul_f32 v[60:61], v[56:57], v[54:55] op_sel:[1,1] op_sel_hi:[0,1]
	s_delay_alu instid0(VALU_DEP_1) | instskip(SKIP_2) | instid1(VALU_DEP_3)
	v_pk_fma_f32 v[62:63], v[56:57], v[54:55], v[60:61] op_sel_hi:[1,0,1]
	v_mov_b32_e32 v9, 0
	v_pk_fma_f32 v[54:55], v[56:57], v[54:55], v[60:61] neg_lo:[0,0,1] neg_hi:[0,0,1]
	v_mov_b32_e32 v55, v63
	ds_load_b64 v[58:59], v9 offset:8
	v_pk_add_f32 v[54:55], v[54:55], 0 op_sel_hi:[1,0]
	s_wait_dscnt 0x0
	s_delay_alu instid0(VALU_DEP_1) | instskip(NEXT) | instid1(VALU_DEP_1)
	v_pk_mul_f32 v[56:57], v[54:55], v[58:59] op_sel:[1,1] op_sel_hi:[0,1]
	v_pk_fma_f32 v[60:61], v[54:55], v[58:59], v[56:57] op_sel_hi:[1,0,1]
	v_pk_fma_f32 v[54:55], v[54:55], v[58:59], v[56:57] neg_lo:[0,0,1] neg_hi:[0,0,1]
	s_delay_alu instid0(VALU_DEP_2)
	v_mov_b32_e32 v55, v61
	scratch_store_b64 off, v[54:55], off offset:8
.LBB88_19:
	s_wait_xcnt 0x0
	s_or_b32 exec_lo, exec_lo, s1
	s_wait_storecnt 0x0
	s_barrier_signal -1
	s_barrier_wait -1
	scratch_load_b64 v[54:55], off, off offset:16
	s_mov_b32 s1, exec_lo
	s_wait_loadcnt 0x0
	ds_store_b64 v1, v[54:55]
	s_wait_dscnt 0x0
	s_barrier_signal -1
	s_barrier_wait -1
	v_cmpx_gt_u32_e32 2, v0
	s_cbranch_execz .LBB88_23
; %bb.20:
	scratch_load_b64 v[54:55], v7, off
	ds_load_b64 v[56:57], v1
	s_wait_loadcnt_dscnt 0x0
	v_pk_mul_f32 v[58:59], v[56:57], v[54:55] op_sel:[1,1] op_sel_hi:[0,1]
	s_delay_alu instid0(VALU_DEP_1) | instskip(SKIP_1) | instid1(VALU_DEP_2)
	v_pk_fma_f32 v[60:61], v[56:57], v[54:55], v[58:59] op_sel_hi:[1,0,1]
	v_pk_fma_f32 v[54:55], v[56:57], v[54:55], v[58:59] neg_lo:[0,0,1] neg_hi:[0,0,1]
	v_mov_b32_e32 v55, v61
	s_delay_alu instid0(VALU_DEP_1)
	v_pk_add_f32 v[54:55], v[54:55], 0 op_sel_hi:[1,0]
	s_and_saveexec_b32 s4, s0
	s_cbranch_execz .LBB88_22
; %bb.21:
	scratch_load_b64 v[56:57], off, off offset:8
	v_mov_b32_e32 v7, 0
	ds_load_b64 v[58:59], v7 offset:216
	s_wait_loadcnt_dscnt 0x0
	v_pk_mul_f32 v[60:61], v[58:59], v[56:57] op_sel:[1,1] op_sel_hi:[0,1]
	s_delay_alu instid0(VALU_DEP_1) | instskip(SKIP_1) | instid1(VALU_DEP_2)
	v_pk_fma_f32 v[62:63], v[58:59], v[56:57], v[60:61] op_sel_hi:[1,0,1]
	v_pk_fma_f32 v[56:57], v[58:59], v[56:57], v[60:61] neg_lo:[0,0,1] neg_hi:[0,0,1]
	v_mov_b32_e32 v57, v63
	s_delay_alu instid0(VALU_DEP_1)
	v_pk_add_f32 v[54:55], v[54:55], v[56:57]
.LBB88_22:
	s_or_b32 exec_lo, exec_lo, s4
	v_mov_b32_e32 v7, 0
	ds_load_b64 v[56:57], v7 offset:16
	s_wait_dscnt 0x0
	v_pk_mul_f32 v[58:59], v[54:55], v[56:57] op_sel:[1,1] op_sel_hi:[0,1]
	s_delay_alu instid0(VALU_DEP_1) | instskip(SKIP_1) | instid1(VALU_DEP_2)
	v_pk_fma_f32 v[60:61], v[54:55], v[56:57], v[58:59] op_sel_hi:[1,0,1]
	v_pk_fma_f32 v[54:55], v[54:55], v[56:57], v[58:59] neg_lo:[0,0,1] neg_hi:[0,0,1]
	v_mov_b32_e32 v55, v61
	scratch_store_b64 off, v[54:55], off offset:16
.LBB88_23:
	s_wait_xcnt 0x0
	s_or_b32 exec_lo, exec_lo, s1
	s_wait_storecnt 0x0
	s_barrier_signal -1
	s_barrier_wait -1
	scratch_load_b64 v[54:55], off, off offset:24
	v_add_nc_u32_e32 v7, -1, v0
	s_mov_b32 s0, exec_lo
	s_wait_loadcnt 0x0
	ds_store_b64 v1, v[54:55]
	s_wait_dscnt 0x0
	s_barrier_signal -1
	s_barrier_wait -1
	v_cmpx_gt_u32_e32 3, v0
	s_cbranch_execz .LBB88_27
; %bb.24:
	v_dual_mov_b32 v54, 0 :: v_dual_add_nc_u32 v9, -1, v0
	v_add_nc_u32_e32 v11, 0xd0, v52
	v_mov_b32_e32 v13, v52
	s_mov_b32 s1, 0
	s_delay_alu instid0(VALU_DEP_3)
	v_mov_b32_e32 v55, v54
.LBB88_25:                              ; =>This Inner Loop Header: Depth=1
	scratch_load_b64 v[56:57], v13, off
	ds_load_b64 v[58:59], v11
	s_wait_xcnt 0x0
	v_dual_add_nc_u32 v11, 8, v11 :: v_dual_add_nc_u32 v13, 8, v13
	s_wait_loadcnt_dscnt 0x0
	v_pk_mul_f32 v[60:61], v[58:59], v[56:57] op_sel:[1,1] op_sel_hi:[0,1]
	s_delay_alu instid0(VALU_DEP_1) | instskip(SKIP_2) | instid1(VALU_DEP_3)
	v_pk_fma_f32 v[62:63], v[58:59], v[56:57], v[60:61] op_sel_hi:[1,0,1]
	v_add_nc_u32_e32 v9, 1, v9
	v_pk_fma_f32 v[56:57], v[58:59], v[56:57], v[60:61] neg_lo:[0,0,1] neg_hi:[0,0,1]
	v_mov_b32_e32 v57, v63
	s_delay_alu instid0(VALU_DEP_3) | instskip(NEXT) | instid1(VALU_DEP_2)
	v_cmp_lt_u32_e32 vcc_lo, 1, v9
	v_pk_add_f32 v[54:55], v[54:55], v[56:57]
	s_or_b32 s1, vcc_lo, s1
	s_delay_alu instid0(SALU_CYCLE_1)
	s_and_not1_b32 exec_lo, exec_lo, s1
	s_cbranch_execnz .LBB88_25
; %bb.26:
	s_or_b32 exec_lo, exec_lo, s1
	v_mov_b32_e32 v9, 0
	ds_load_b64 v[56:57], v9 offset:24
	s_wait_dscnt 0x0
	v_pk_mul_f32 v[58:59], v[54:55], v[56:57] op_sel:[1,1] op_sel_hi:[0,1]
	s_delay_alu instid0(VALU_DEP_1) | instskip(SKIP_1) | instid1(VALU_DEP_2)
	v_pk_fma_f32 v[60:61], v[54:55], v[56:57], v[58:59] op_sel_hi:[1,0,1]
	v_pk_fma_f32 v[54:55], v[54:55], v[56:57], v[58:59] neg_lo:[0,0,1] neg_hi:[0,0,1]
	v_mov_b32_e32 v55, v61
	scratch_store_b64 off, v[54:55], off offset:24
.LBB88_27:
	s_wait_xcnt 0x0
	s_or_b32 exec_lo, exec_lo, s0
	s_wait_storecnt 0x0
	s_barrier_signal -1
	s_barrier_wait -1
	scratch_load_b64 v[54:55], off, off offset:32
	s_mov_b32 s0, exec_lo
	s_wait_loadcnt 0x0
	ds_store_b64 v1, v[54:55]
	s_wait_dscnt 0x0
	s_barrier_signal -1
	s_barrier_wait -1
	v_cmpx_gt_u32_e32 4, v0
	s_cbranch_execz .LBB88_31
; %bb.28:
	v_dual_mov_b32 v54, 0 :: v_dual_add_nc_u32 v9, -1, v0
	v_add_nc_u32_e32 v11, 0xd0, v52
	v_mov_b32_e32 v13, v52
	s_mov_b32 s1, 0
	s_delay_alu instid0(VALU_DEP_3)
	v_mov_b32_e32 v55, v54
.LBB88_29:                              ; =>This Inner Loop Header: Depth=1
	scratch_load_b64 v[56:57], v13, off
	ds_load_b64 v[58:59], v11
	s_wait_xcnt 0x0
	v_dual_add_nc_u32 v11, 8, v11 :: v_dual_add_nc_u32 v13, 8, v13
	s_wait_loadcnt_dscnt 0x0
	v_pk_mul_f32 v[60:61], v[58:59], v[56:57] op_sel:[1,1] op_sel_hi:[0,1]
	s_delay_alu instid0(VALU_DEP_1) | instskip(SKIP_2) | instid1(VALU_DEP_3)
	v_pk_fma_f32 v[62:63], v[58:59], v[56:57], v[60:61] op_sel_hi:[1,0,1]
	v_add_nc_u32_e32 v9, 1, v9
	v_pk_fma_f32 v[56:57], v[58:59], v[56:57], v[60:61] neg_lo:[0,0,1] neg_hi:[0,0,1]
	v_mov_b32_e32 v57, v63
	s_delay_alu instid0(VALU_DEP_3) | instskip(NEXT) | instid1(VALU_DEP_2)
	v_cmp_lt_u32_e32 vcc_lo, 2, v9
	v_pk_add_f32 v[54:55], v[54:55], v[56:57]
	s_or_b32 s1, vcc_lo, s1
	s_delay_alu instid0(SALU_CYCLE_1)
	s_and_not1_b32 exec_lo, exec_lo, s1
	s_cbranch_execnz .LBB88_29
; %bb.30:
	s_or_b32 exec_lo, exec_lo, s1
	v_mov_b32_e32 v9, 0
	ds_load_b64 v[56:57], v9 offset:32
	s_wait_dscnt 0x0
	v_pk_mul_f32 v[58:59], v[54:55], v[56:57] op_sel:[1,1] op_sel_hi:[0,1]
	s_delay_alu instid0(VALU_DEP_1) | instskip(SKIP_1) | instid1(VALU_DEP_2)
	v_pk_fma_f32 v[60:61], v[54:55], v[56:57], v[58:59] op_sel_hi:[1,0,1]
	v_pk_fma_f32 v[54:55], v[54:55], v[56:57], v[58:59] neg_lo:[0,0,1] neg_hi:[0,0,1]
	v_mov_b32_e32 v55, v61
	scratch_store_b64 off, v[54:55], off offset:32
.LBB88_31:
	s_wait_xcnt 0x0
	s_or_b32 exec_lo, exec_lo, s0
	s_wait_storecnt 0x0
	s_barrier_signal -1
	s_barrier_wait -1
	scratch_load_b64 v[54:55], off, off offset:40
	;; [unrolled: 52-line block ×19, first 2 shown]
	s_mov_b32 s0, exec_lo
	s_wait_loadcnt 0x0
	ds_store_b64 v1, v[54:55]
	s_wait_dscnt 0x0
	s_barrier_signal -1
	s_barrier_wait -1
	v_cmpx_gt_u32_e32 22, v0
	s_cbranch_execz .LBB88_103
; %bb.100:
	v_dual_mov_b32 v54, 0 :: v_dual_add_nc_u32 v9, -1, v0
	v_add_nc_u32_e32 v11, 0xd0, v52
	v_mov_b32_e32 v13, v52
	s_mov_b32 s1, 0
	s_delay_alu instid0(VALU_DEP_3)
	v_mov_b32_e32 v55, v54
.LBB88_101:                             ; =>This Inner Loop Header: Depth=1
	scratch_load_b64 v[56:57], v13, off
	ds_load_b64 v[58:59], v11
	s_wait_xcnt 0x0
	v_dual_add_nc_u32 v11, 8, v11 :: v_dual_add_nc_u32 v13, 8, v13
	s_wait_loadcnt_dscnt 0x0
	v_pk_mul_f32 v[60:61], v[58:59], v[56:57] op_sel:[1,1] op_sel_hi:[0,1]
	s_delay_alu instid0(VALU_DEP_1) | instskip(SKIP_2) | instid1(VALU_DEP_3)
	v_pk_fma_f32 v[62:63], v[58:59], v[56:57], v[60:61] op_sel_hi:[1,0,1]
	v_add_nc_u32_e32 v9, 1, v9
	v_pk_fma_f32 v[56:57], v[58:59], v[56:57], v[60:61] neg_lo:[0,0,1] neg_hi:[0,0,1]
	v_mov_b32_e32 v57, v63
	s_delay_alu instid0(VALU_DEP_3) | instskip(NEXT) | instid1(VALU_DEP_2)
	v_cmp_lt_u32_e32 vcc_lo, 20, v9
	v_pk_add_f32 v[54:55], v[54:55], v[56:57]
	s_or_b32 s1, vcc_lo, s1
	s_delay_alu instid0(SALU_CYCLE_1)
	s_and_not1_b32 exec_lo, exec_lo, s1
	s_cbranch_execnz .LBB88_101
; %bb.102:
	s_or_b32 exec_lo, exec_lo, s1
	v_mov_b32_e32 v9, 0
	ds_load_b64 v[56:57], v9 offset:176
	s_wait_dscnt 0x0
	v_pk_mul_f32 v[58:59], v[54:55], v[56:57] op_sel:[1,1] op_sel_hi:[0,1]
	s_delay_alu instid0(VALU_DEP_1) | instskip(SKIP_1) | instid1(VALU_DEP_2)
	v_pk_fma_f32 v[60:61], v[54:55], v[56:57], v[58:59] op_sel_hi:[1,0,1]
	v_pk_fma_f32 v[54:55], v[54:55], v[56:57], v[58:59] neg_lo:[0,0,1] neg_hi:[0,0,1]
	v_mov_b32_e32 v55, v61
	scratch_store_b64 off, v[54:55], off offset:176
.LBB88_103:
	s_wait_xcnt 0x0
	s_or_b32 exec_lo, exec_lo, s0
	s_wait_storecnt 0x0
	s_barrier_signal -1
	s_barrier_wait -1
	scratch_load_b64 v[54:55], off, off offset:184
	s_mov_b32 s0, exec_lo
	s_wait_loadcnt 0x0
	ds_store_b64 v1, v[54:55]
	s_wait_dscnt 0x0
	s_barrier_signal -1
	s_barrier_wait -1
	v_cmpx_gt_u32_e32 23, v0
	s_cbranch_execz .LBB88_107
; %bb.104:
	v_dual_mov_b32 v54, 0 :: v_dual_add_nc_u32 v9, -1, v0
	v_add_nc_u32_e32 v11, 0xd0, v52
	v_mov_b32_e32 v13, v52
	s_mov_b32 s1, 0
	s_delay_alu instid0(VALU_DEP_3)
	v_mov_b32_e32 v55, v54
.LBB88_105:                             ; =>This Inner Loop Header: Depth=1
	scratch_load_b64 v[56:57], v13, off
	ds_load_b64 v[58:59], v11
	s_wait_xcnt 0x0
	v_dual_add_nc_u32 v11, 8, v11 :: v_dual_add_nc_u32 v13, 8, v13
	s_wait_loadcnt_dscnt 0x0
	v_pk_mul_f32 v[60:61], v[58:59], v[56:57] op_sel:[1,1] op_sel_hi:[0,1]
	s_delay_alu instid0(VALU_DEP_1) | instskip(SKIP_2) | instid1(VALU_DEP_3)
	v_pk_fma_f32 v[62:63], v[58:59], v[56:57], v[60:61] op_sel_hi:[1,0,1]
	v_add_nc_u32_e32 v9, 1, v9
	v_pk_fma_f32 v[56:57], v[58:59], v[56:57], v[60:61] neg_lo:[0,0,1] neg_hi:[0,0,1]
	v_mov_b32_e32 v57, v63
	s_delay_alu instid0(VALU_DEP_3) | instskip(NEXT) | instid1(VALU_DEP_2)
	v_cmp_lt_u32_e32 vcc_lo, 21, v9
	v_pk_add_f32 v[54:55], v[54:55], v[56:57]
	s_or_b32 s1, vcc_lo, s1
	s_delay_alu instid0(SALU_CYCLE_1)
	s_and_not1_b32 exec_lo, exec_lo, s1
	s_cbranch_execnz .LBB88_105
; %bb.106:
	s_or_b32 exec_lo, exec_lo, s1
	v_mov_b32_e32 v9, 0
	ds_load_b64 v[56:57], v9 offset:184
	s_wait_dscnt 0x0
	v_pk_mul_f32 v[58:59], v[54:55], v[56:57] op_sel:[1,1] op_sel_hi:[0,1]
	s_delay_alu instid0(VALU_DEP_1) | instskip(SKIP_1) | instid1(VALU_DEP_2)
	v_pk_fma_f32 v[60:61], v[54:55], v[56:57], v[58:59] op_sel_hi:[1,0,1]
	v_pk_fma_f32 v[54:55], v[54:55], v[56:57], v[58:59] neg_lo:[0,0,1] neg_hi:[0,0,1]
	v_mov_b32_e32 v55, v61
	scratch_store_b64 off, v[54:55], off offset:184
.LBB88_107:
	s_wait_xcnt 0x0
	s_or_b32 exec_lo, exec_lo, s0
	s_wait_storecnt 0x0
	s_barrier_signal -1
	s_barrier_wait -1
	scratch_load_b64 v[54:55], off, off offset:192
	s_mov_b32 s0, exec_lo
	s_wait_loadcnt 0x0
	ds_store_b64 v1, v[54:55]
	s_wait_dscnt 0x0
	s_barrier_signal -1
	s_barrier_wait -1
	v_cmpx_ne_u32_e32 24, v0
	s_cbranch_execz .LBB88_111
; %bb.108:
	v_dual_mov_b32 v54, 0 :: v_dual_mov_b32 v9, v52
	s_mov_b32 s1, 0
	s_delay_alu instid0(VALU_DEP_1)
	v_mov_b32_e32 v55, v54
.LBB88_109:                             ; =>This Inner Loop Header: Depth=1
	scratch_load_b64 v[52:53], v9, off
	ds_load_b64 v[56:57], v1
	v_add_nc_u32_e32 v1, 8, v1
	s_wait_xcnt 0x0
	v_add_nc_u32_e32 v9, 8, v9
	s_wait_loadcnt_dscnt 0x0
	v_pk_mul_f32 v[58:59], v[56:57], v[52:53] op_sel:[1,1] op_sel_hi:[0,1]
	s_delay_alu instid0(VALU_DEP_1) | instskip(SKIP_2) | instid1(VALU_DEP_3)
	v_pk_fma_f32 v[60:61], v[56:57], v[52:53], v[58:59] op_sel_hi:[1,0,1]
	v_add_nc_u32_e32 v7, 1, v7
	v_pk_fma_f32 v[52:53], v[56:57], v[52:53], v[58:59] neg_lo:[0,0,1] neg_hi:[0,0,1]
	v_mov_b32_e32 v53, v61
	s_delay_alu instid0(VALU_DEP_3) | instskip(NEXT) | instid1(VALU_DEP_2)
	v_cmp_lt_u32_e32 vcc_lo, 22, v7
	v_pk_add_f32 v[54:55], v[54:55], v[52:53]
	s_or_b32 s1, vcc_lo, s1
	s_delay_alu instid0(SALU_CYCLE_1)
	s_and_not1_b32 exec_lo, exec_lo, s1
	s_cbranch_execnz .LBB88_109
; %bb.110:
	s_or_b32 exec_lo, exec_lo, s1
	v_mov_b32_e32 v1, 0
	ds_load_b64 v[52:53], v1 offset:192
	s_wait_dscnt 0x0
	v_pk_mul_f32 v[56:57], v[54:55], v[52:53] op_sel:[1,1] op_sel_hi:[0,1]
	s_delay_alu instid0(VALU_DEP_1) | instskip(SKIP_1) | instid1(VALU_DEP_2)
	v_pk_fma_f32 v[58:59], v[54:55], v[52:53], v[56:57] op_sel_hi:[1,0,1]
	v_pk_fma_f32 v[52:53], v[54:55], v[52:53], v[56:57] neg_lo:[0,0,1] neg_hi:[0,0,1]
	v_mov_b32_e32 v53, v59
	scratch_store_b64 off, v[52:53], off offset:192
.LBB88_111:
	s_wait_xcnt 0x0
	s_or_b32 exec_lo, exec_lo, s0
	s_mov_b32 s1, -1
	s_wait_storecnt 0x0
	s_barrier_signal -1
	s_barrier_wait -1
.LBB88_112:
	s_and_b32 vcc_lo, exec_lo, s1
	s_cbranch_vccz .LBB88_114
; %bb.113:
	v_mov_b32_e32 v1, 0
	s_lshl_b64 s[0:1], s[10:11], 2
	s_delay_alu instid0(SALU_CYCLE_1)
	s_add_nc_u64 s[0:1], s[6:7], s[0:1]
	global_load_b32 v1, v1, s[0:1]
	s_wait_loadcnt 0x0
	v_cmp_ne_u32_e32 vcc_lo, 0, v1
	s_cbranch_vccz .LBB88_115
.LBB88_114:
	s_sendmsg sendmsg(MSG_DEALLOC_VGPRS)
	s_endpgm
.LBB88_115:
	s_wait_xcnt 0x0
	v_lshl_add_u32 v1, v0, 3, 0xd0
	s_mov_b32 s0, exec_lo
	v_cmpx_eq_u32_e32 24, v0
	s_cbranch_execz .LBB88_117
; %bb.116:
	scratch_load_b64 v[52:53], off, off offset:184
	v_mov_b64_e32 v[54:55], 0
	scratch_store_b64 off, v[54:55], off offset:184
	s_wait_loadcnt 0x0
	ds_store_b64 v1, v[52:53]
.LBB88_117:
	s_wait_xcnt 0x0
	s_or_b32 exec_lo, exec_lo, s0
	s_wait_storecnt_dscnt 0x0
	s_barrier_signal -1
	s_barrier_wait -1
	s_clause 0x1
	scratch_load_b64 v[52:53], off, off offset:192
	scratch_load_b64 v[54:55], off, off offset:184
	v_mov_b32_e32 v7, 0
	s_mov_b32 s0, exec_lo
	ds_load_b64 v[56:57], v7 offset:400
	s_wait_loadcnt_dscnt 0x100
	v_pk_mul_f32 v[58:59], v[56:57], v[52:53] op_sel:[1,1] op_sel_hi:[0,1]
	s_delay_alu instid0(VALU_DEP_1) | instskip(SKIP_1) | instid1(VALU_DEP_2)
	v_pk_fma_f32 v[60:61], v[56:57], v[52:53], v[58:59] op_sel_hi:[1,0,1]
	v_pk_fma_f32 v[52:53], v[56:57], v[52:53], v[58:59] neg_lo:[0,0,1] neg_hi:[0,0,1]
	v_mov_b32_e32 v53, v61
	s_delay_alu instid0(VALU_DEP_1) | instskip(SKIP_1) | instid1(VALU_DEP_1)
	v_pk_add_f32 v[52:53], v[52:53], 0 op_sel_hi:[1,0]
	s_wait_loadcnt 0x0
	v_pk_add_f32 v[52:53], v[54:55], v[52:53] neg_lo:[0,1] neg_hi:[0,1]
	scratch_store_b64 off, v[52:53], off offset:184
	s_wait_xcnt 0x0
	v_cmpx_lt_u32_e32 22, v0
	s_cbranch_execz .LBB88_119
; %bb.118:
	scratch_load_b64 v[52:53], off, off offset:176
	v_mov_b64_e32 v[54:55], 0
	scratch_store_b64 off, v[54:55], off offset:176
	s_wait_loadcnt 0x0
	ds_store_b64 v1, v[52:53]
.LBB88_119:
	s_wait_xcnt 0x0
	s_or_b32 exec_lo, exec_lo, s0
	s_wait_storecnt_dscnt 0x0
	s_barrier_signal -1
	s_barrier_wait -1
	s_clause 0x1
	scratch_load_b128 v[52:55], off, off offset:184
	scratch_load_b64 v[60:61], off, off offset:176
	ds_load_2addr_b64 v[56:59], v7 offset0:49 offset1:50
	s_mov_b32 s0, exec_lo
	s_wait_dscnt 0x0
	v_dual_mov_b32 v62, v59 :: v_dual_mov_b32 v63, v58
	s_wait_loadcnt 0x1
	v_pk_mul_f32 v[64:65], v[56:57], v[52:53] op_sel:[1,1] op_sel_hi:[0,1]
	s_delay_alu instid0(VALU_DEP_1) | instskip(SKIP_2) | instid1(VALU_DEP_3)
	v_pk_fma_f32 v[68:69], v[56:57], v[52:53], v[64:65] op_sel_hi:[1,0,1]
	v_mov_b32_e32 v66, v55
	v_pk_fma_f32 v[52:53], v[56:57], v[52:53], v[64:65] neg_lo:[0,0,1] neg_hi:[0,0,1]
	v_mov_b32_e32 v53, v69
	s_delay_alu instid0(VALU_DEP_3) | instskip(NEXT) | instid1(VALU_DEP_2)
	v_pk_mul_f32 v[62:63], v[62:63], v[66:67] op_sel_hi:[1,0]
	v_pk_add_f32 v[52:53], v[52:53], 0 op_sel_hi:[1,0]
	s_delay_alu instid0(VALU_DEP_2) | instskip(SKIP_1) | instid1(VALU_DEP_2)
	v_pk_fma_f32 v[56:57], v[58:59], v[54:55], v[62:63] op_sel_hi:[1,0,1]
	v_pk_fma_f32 v[54:55], v[58:59], v[54:55], v[62:63] neg_lo:[0,0,1] neg_hi:[0,0,1]
	v_mov_b32_e32 v55, v57
	s_delay_alu instid0(VALU_DEP_1) | instskip(SKIP_1) | instid1(VALU_DEP_1)
	v_pk_add_f32 v[52:53], v[52:53], v[54:55]
	s_wait_loadcnt 0x0
	v_pk_add_f32 v[52:53], v[60:61], v[52:53] neg_lo:[0,1] neg_hi:[0,1]
	scratch_store_b64 off, v[52:53], off offset:176
	s_wait_xcnt 0x0
	v_cmpx_lt_u32_e32 21, v0
	s_cbranch_execz .LBB88_121
; %bb.120:
	scratch_load_b64 v[52:53], off, off offset:168
	v_mov_b64_e32 v[54:55], 0
	scratch_store_b64 off, v[54:55], off offset:168
	s_wait_loadcnt 0x0
	ds_store_b64 v1, v[52:53]
.LBB88_121:
	s_wait_xcnt 0x0
	s_or_b32 exec_lo, exec_lo, s0
	s_wait_storecnt_dscnt 0x0
	s_barrier_signal -1
	s_barrier_wait -1
	s_clause 0x2
	scratch_load_b128 v[52:55], off, off offset:176
	scratch_load_b64 v[60:61], off, off offset:192
	scratch_load_b64 v[62:63], off, off offset:168
	v_mov_b32_e32 v7, 0
	ds_load_b128 v[56:59], v7 offset:384
	ds_load_b64 v[64:65], v7 offset:400
	s_mov_b32 s0, exec_lo
	s_wait_dscnt 0x1
	v_dual_mov_b32 v66, v59 :: v_dual_mov_b32 v67, v58
	s_wait_loadcnt 0x2
	v_mov_b32_e32 v70, v55
	v_pk_mul_f32 v[68:69], v[56:57], v[52:53] op_sel:[1,1] op_sel_hi:[0,1]
	s_delay_alu instid0(VALU_DEP_2) | instskip(NEXT) | instid1(VALU_DEP_2)
	v_pk_mul_f32 v[66:67], v[66:67], v[70:71] op_sel_hi:[1,0]
	v_pk_fma_f32 v[72:73], v[56:57], v[52:53], v[68:69] op_sel_hi:[1,0,1]
	v_pk_fma_f32 v[52:53], v[56:57], v[52:53], v[68:69] neg_lo:[0,0,1] neg_hi:[0,0,1]
	s_wait_loadcnt_dscnt 0x100
	v_pk_mul_f32 v[68:69], v[64:65], v[60:61] op_sel:[1,1] op_sel_hi:[0,1]
	v_pk_fma_f32 v[56:57], v[58:59], v[54:55], v[66:67] op_sel_hi:[1,0,1]
	v_mov_b32_e32 v53, v73
	v_pk_fma_f32 v[54:55], v[58:59], v[54:55], v[66:67] neg_lo:[0,0,1] neg_hi:[0,0,1]
	s_delay_alu instid0(VALU_DEP_4) | instskip(NEXT) | instid1(VALU_DEP_4)
	v_pk_fma_f32 v[58:59], v[64:65], v[60:61], v[68:69] neg_lo:[0,0,1] neg_hi:[0,0,1]
	v_mov_b32_e32 v55, v57
	s_delay_alu instid0(VALU_DEP_4) | instskip(SKIP_1) | instid1(VALU_DEP_2)
	v_pk_add_f32 v[52:53], v[52:53], 0 op_sel_hi:[1,0]
	v_pk_fma_f32 v[56:57], v[64:65], v[60:61], v[68:69] op_sel_hi:[1,0,1]
	v_pk_add_f32 v[52:53], v[52:53], v[54:55]
	s_delay_alu instid0(VALU_DEP_2) | instskip(NEXT) | instid1(VALU_DEP_1)
	v_mov_b32_e32 v59, v57
	v_pk_add_f32 v[52:53], v[52:53], v[58:59]
	s_wait_loadcnt 0x0
	s_delay_alu instid0(VALU_DEP_1)
	v_pk_add_f32 v[52:53], v[62:63], v[52:53] neg_lo:[0,1] neg_hi:[0,1]
	scratch_store_b64 off, v[52:53], off offset:168
	s_wait_xcnt 0x0
	v_cmpx_lt_u32_e32 20, v0
	s_cbranch_execz .LBB88_123
; %bb.122:
	scratch_load_b64 v[52:53], off, off offset:160
	v_mov_b64_e32 v[54:55], 0
	scratch_store_b64 off, v[54:55], off offset:160
	s_wait_loadcnt 0x0
	ds_store_b64 v1, v[52:53]
.LBB88_123:
	s_wait_xcnt 0x0
	s_or_b32 exec_lo, exec_lo, s0
	s_wait_storecnt_dscnt 0x0
	s_barrier_signal -1
	s_barrier_wait -1
	s_clause 0x2
	scratch_load_b128 v[52:55], off, off offset:168
	scratch_load_b128 v[56:59], off, off offset:184
	scratch_load_b64 v[68:69], off, off offset:160
	ds_load_2addr_b64 v[60:63], v7 offset0:47 offset1:48
	ds_load_2addr_b64 v[64:67], v7 offset0:49 offset1:50
	s_mov_b32 s0, exec_lo
	s_wait_dscnt 0x1
	v_dual_mov_b32 v70, v63 :: v_dual_mov_b32 v71, v62
	s_wait_loadcnt_dscnt 0x200
	v_dual_mov_b32 v76, v67 :: v_dual_mov_b32 v74, v55
	v_pk_mul_f32 v[72:73], v[60:61], v[52:53] op_sel:[1,1] op_sel_hi:[0,1]
	s_delay_alu instid0(VALU_DEP_2) | instskip(NEXT) | instid1(VALU_DEP_2)
	v_pk_mul_f32 v[70:71], v[70:71], v[74:75] op_sel_hi:[1,0]
	v_pk_fma_f32 v[78:79], v[60:61], v[52:53], v[72:73] op_sel_hi:[1,0,1]
	v_pk_fma_f32 v[52:53], v[60:61], v[52:53], v[72:73] neg_lo:[0,0,1] neg_hi:[0,0,1]
	v_mov_b32_e32 v77, v66
	s_wait_loadcnt 0x1
	v_pk_mul_f32 v[74:75], v[64:65], v[56:57] op_sel:[1,1] op_sel_hi:[0,1]
	v_pk_fma_f32 v[60:61], v[62:63], v[54:55], v[70:71] op_sel_hi:[1,0,1]
	v_dual_mov_b32 v53, v79 :: v_dual_mov_b32 v60, v59
	v_pk_fma_f32 v[54:55], v[62:63], v[54:55], v[70:71] neg_lo:[0,0,1] neg_hi:[0,0,1]
	s_delay_alu instid0(VALU_DEP_4) | instskip(NEXT) | instid1(VALU_DEP_4)
	v_pk_fma_f32 v[72:73], v[64:65], v[56:57], v[74:75] op_sel_hi:[1,0,1]
	v_mov_b32_e32 v55, v61
	s_delay_alu instid0(VALU_DEP_4) | instskip(SKIP_2) | instid1(VALU_DEP_3)
	v_pk_add_f32 v[52:53], v[52:53], 0 op_sel_hi:[1,0]
	v_pk_mul_f32 v[60:61], v[76:77], v[60:61] op_sel_hi:[1,0]
	v_pk_fma_f32 v[56:57], v[64:65], v[56:57], v[74:75] neg_lo:[0,0,1] neg_hi:[0,0,1]
	v_pk_add_f32 v[52:53], v[52:53], v[54:55]
	s_delay_alu instid0(VALU_DEP_3) | instskip(SKIP_2) | instid1(VALU_DEP_3)
	v_pk_fma_f32 v[54:55], v[66:67], v[58:59], v[60:61] op_sel_hi:[1,0,1]
	v_mov_b32_e32 v57, v73
	v_pk_fma_f32 v[58:59], v[66:67], v[58:59], v[60:61] neg_lo:[0,0,1] neg_hi:[0,0,1]
	v_mov_b32_e32 v59, v55
	s_delay_alu instid0(VALU_DEP_3) | instskip(NEXT) | instid1(VALU_DEP_1)
	v_pk_add_f32 v[52:53], v[52:53], v[56:57]
	v_pk_add_f32 v[52:53], v[52:53], v[58:59]
	s_wait_loadcnt 0x0
	s_delay_alu instid0(VALU_DEP_1)
	v_pk_add_f32 v[52:53], v[68:69], v[52:53] neg_lo:[0,1] neg_hi:[0,1]
	scratch_store_b64 off, v[52:53], off offset:160
	s_wait_xcnt 0x0
	v_cmpx_lt_u32_e32 19, v0
	s_cbranch_execz .LBB88_125
; %bb.124:
	scratch_load_b64 v[52:53], off, off offset:152
	v_mov_b64_e32 v[54:55], 0
	scratch_store_b64 off, v[54:55], off offset:152
	s_wait_loadcnt 0x0
	ds_store_b64 v1, v[52:53]
.LBB88_125:
	s_wait_xcnt 0x0
	s_or_b32 exec_lo, exec_lo, s0
	s_wait_storecnt_dscnt 0x0
	s_barrier_signal -1
	s_barrier_wait -1
	s_clause 0x3
	scratch_load_b128 v[52:55], off, off offset:160
	scratch_load_b128 v[56:59], off, off offset:176
	scratch_load_b64 v[68:69], off, off offset:192
	scratch_load_b64 v[70:71], off, off offset:152
	v_mov_b32_e32 v7, 0
	ds_load_b128 v[60:63], v7 offset:368
	ds_load_b128 v[64:67], v7 offset:384
	s_mov_b32 s0, exec_lo
	s_wait_dscnt 0x1
	v_dual_mov_b32 v72, v63 :: v_dual_mov_b32 v73, v62
	ds_load_b64 v[78:79], v7 offset:400
	s_wait_dscnt 0x1
	v_dual_mov_b32 v80, v67 :: v_dual_mov_b32 v81, v66
	s_wait_loadcnt 0x3
	v_pk_mul_f32 v[74:75], v[60:61], v[52:53] op_sel:[1,1] op_sel_hi:[0,1]
	v_mov_b32_e32 v76, v55
	s_delay_alu instid0(VALU_DEP_2) | instskip(NEXT) | instid1(VALU_DEP_2)
	v_pk_fma_f32 v[82:83], v[60:61], v[52:53], v[74:75] op_sel_hi:[1,0,1]
	v_pk_mul_f32 v[72:73], v[72:73], v[76:77] op_sel_hi:[1,0]
	v_pk_fma_f32 v[52:53], v[60:61], v[52:53], v[74:75] neg_lo:[0,0,1] neg_hi:[0,0,1]
	s_wait_loadcnt 0x2
	v_pk_mul_f32 v[76:77], v[64:65], v[56:57] op_sel:[1,1] op_sel_hi:[0,1]
	v_dual_mov_b32 v82, v59 :: v_dual_mov_b32 v53, v83
	v_pk_fma_f32 v[60:61], v[62:63], v[54:55], v[72:73] op_sel_hi:[1,0,1]
	v_pk_fma_f32 v[54:55], v[62:63], v[54:55], v[72:73] neg_lo:[0,0,1] neg_hi:[0,0,1]
	s_delay_alu instid0(VALU_DEP_4) | instskip(NEXT) | instid1(VALU_DEP_4)
	v_pk_fma_f32 v[74:75], v[64:65], v[56:57], v[76:77] op_sel_hi:[1,0,1]
	v_pk_mul_f32 v[80:81], v[80:81], v[82:83] op_sel_hi:[1,0]
	v_pk_add_f32 v[52:53], v[52:53], 0 op_sel_hi:[1,0]
	v_mov_b32_e32 v55, v61
	v_pk_fma_f32 v[56:57], v[64:65], v[56:57], v[76:77] neg_lo:[0,0,1] neg_hi:[0,0,1]
	v_mov_b32_e32 v57, v75
	v_pk_fma_f32 v[60:61], v[66:67], v[58:59], v[80:81] op_sel_hi:[1,0,1]
	v_pk_fma_f32 v[58:59], v[66:67], v[58:59], v[80:81] neg_lo:[0,0,1] neg_hi:[0,0,1]
	v_pk_add_f32 v[52:53], v[52:53], v[54:55]
	s_wait_loadcnt_dscnt 0x100
	v_pk_mul_f32 v[54:55], v[78:79], v[68:69] op_sel:[1,1] op_sel_hi:[0,1]
	s_delay_alu instid0(VALU_DEP_2) | instskip(NEXT) | instid1(VALU_DEP_2)
	v_pk_add_f32 v[52:53], v[52:53], v[56:57]
	v_pk_fma_f32 v[56:57], v[78:79], v[68:69], v[54:55] op_sel_hi:[1,0,1]
	v_mov_b32_e32 v59, v61
	v_pk_fma_f32 v[54:55], v[78:79], v[68:69], v[54:55] neg_lo:[0,0,1] neg_hi:[0,0,1]
	s_delay_alu instid0(VALU_DEP_3) | instskip(NEXT) | instid1(VALU_DEP_3)
	v_mov_b32_e32 v55, v57
	v_pk_add_f32 v[52:53], v[52:53], v[58:59]
	s_delay_alu instid0(VALU_DEP_1) | instskip(SKIP_1) | instid1(VALU_DEP_1)
	v_pk_add_f32 v[52:53], v[52:53], v[54:55]
	s_wait_loadcnt 0x0
	v_pk_add_f32 v[52:53], v[70:71], v[52:53] neg_lo:[0,1] neg_hi:[0,1]
	scratch_store_b64 off, v[52:53], off offset:152
	s_wait_xcnt 0x0
	v_cmpx_lt_u32_e32 18, v0
	s_cbranch_execz .LBB88_127
; %bb.126:
	scratch_load_b64 v[52:53], off, off offset:144
	v_mov_b64_e32 v[54:55], 0
	scratch_store_b64 off, v[54:55], off offset:144
	s_wait_loadcnt 0x0
	ds_store_b64 v1, v[52:53]
.LBB88_127:
	s_wait_xcnt 0x0
	s_or_b32 exec_lo, exec_lo, s0
	s_wait_storecnt_dscnt 0x0
	s_barrier_signal -1
	s_barrier_wait -1
	s_clause 0x3
	scratch_load_b128 v[52:55], off, off offset:152
	scratch_load_b128 v[56:59], off, off offset:168
	;; [unrolled: 1-line block ×3, first 2 shown]
	scratch_load_b64 v[76:77], off, off offset:144
	ds_load_2addr_b64 v[64:67], v7 offset0:45 offset1:46
	ds_load_2addr_b64 v[68:71], v7 offset0:47 offset1:48
	;; [unrolled: 1-line block ×3, first 2 shown]
	s_mov_b32 s0, exec_lo
	s_wait_dscnt 0x2
	v_dual_mov_b32 v78, v67 :: v_dual_mov_b32 v79, v66
	s_wait_dscnt 0x1
	v_dual_mov_b32 v80, v71 :: v_dual_mov_b32 v81, v70
	;; [unrolled: 2-line block ×3, first 2 shown]
	s_wait_loadcnt 0x3
	v_pk_mul_f32 v[82:83], v[64:65], v[52:53] op_sel:[1,1] op_sel_hi:[0,1]
	v_mov_b32_e32 v84, v55
	s_delay_alu instid0(VALU_DEP_2) | instskip(NEXT) | instid1(VALU_DEP_2)
	v_pk_fma_f32 v[88:89], v[64:65], v[52:53], v[82:83] op_sel_hi:[1,0,1]
	v_pk_mul_f32 v[78:79], v[78:79], v[84:85] op_sel_hi:[1,0]
	v_pk_fma_f32 v[52:53], v[64:65], v[52:53], v[82:83] neg_lo:[0,0,1] neg_hi:[0,0,1]
	s_wait_loadcnt 0x2
	v_pk_mul_f32 v[84:85], v[68:69], v[56:57] op_sel:[1,1] op_sel_hi:[0,1]
	v_mov_b32_e32 v88, v59
	v_pk_fma_f32 v[64:65], v[66:67], v[54:55], v[78:79] op_sel_hi:[1,0,1]
	v_mov_b32_e32 v53, v89
	v_pk_fma_f32 v[54:55], v[66:67], v[54:55], v[78:79] neg_lo:[0,0,1] neg_hi:[0,0,1]
	v_pk_fma_f32 v[82:83], v[68:69], v[56:57], v[84:85] op_sel_hi:[1,0,1]
	v_pk_mul_f32 v[80:81], v[80:81], v[88:89] op_sel_hi:[1,0]
	v_mov_b32_e32 v55, v65
	v_pk_add_f32 v[52:53], v[52:53], 0 op_sel_hi:[1,0]
	v_pk_fma_f32 v[56:57], v[68:69], v[56:57], v[84:85] neg_lo:[0,0,1] neg_hi:[0,0,1]
	s_wait_loadcnt 0x1
	v_pk_mul_f32 v[64:65], v[72:73], v[60:61] op_sel:[1,1] op_sel_hi:[0,1]
	v_mov_b32_e32 v57, v83
	v_pk_fma_f32 v[66:67], v[70:71], v[58:59], v[80:81] op_sel_hi:[1,0,1]
	v_pk_add_f32 v[52:53], v[52:53], v[54:55]
	v_mov_b32_e32 v54, v63
	v_pk_fma_f32 v[58:59], v[70:71], v[58:59], v[80:81] neg_lo:[0,0,1] neg_hi:[0,0,1]
	v_pk_fma_f32 v[68:69], v[72:73], v[60:61], v[64:65] op_sel_hi:[1,0,1]
	v_mov_b32_e32 v59, v67
	v_pk_add_f32 v[52:53], v[52:53], v[56:57]
	v_pk_mul_f32 v[54:55], v[86:87], v[54:55] op_sel_hi:[1,0]
	v_pk_fma_f32 v[56:57], v[72:73], v[60:61], v[64:65] neg_lo:[0,0,1] neg_hi:[0,0,1]
	v_mov_b32_e32 v57, v69
	s_delay_alu instid0(VALU_DEP_4) | instskip(NEXT) | instid1(VALU_DEP_4)
	v_pk_add_f32 v[52:53], v[52:53], v[58:59]
	v_pk_fma_f32 v[58:59], v[74:75], v[62:63], v[54:55] op_sel_hi:[1,0,1]
	v_pk_fma_f32 v[54:55], v[74:75], v[62:63], v[54:55] neg_lo:[0,0,1] neg_hi:[0,0,1]
	s_delay_alu instid0(VALU_DEP_3) | instskip(NEXT) | instid1(VALU_DEP_3)
	v_pk_add_f32 v[52:53], v[52:53], v[56:57]
	v_mov_b32_e32 v55, v59
	s_delay_alu instid0(VALU_DEP_1) | instskip(SKIP_1) | instid1(VALU_DEP_1)
	v_pk_add_f32 v[52:53], v[52:53], v[54:55]
	s_wait_loadcnt 0x0
	v_pk_add_f32 v[52:53], v[76:77], v[52:53] neg_lo:[0,1] neg_hi:[0,1]
	scratch_store_b64 off, v[52:53], off offset:144
	s_wait_xcnt 0x0
	v_cmpx_lt_u32_e32 17, v0
	s_cbranch_execz .LBB88_129
; %bb.128:
	scratch_load_b64 v[52:53], off, off offset:136
	v_mov_b64_e32 v[54:55], 0
	scratch_store_b64 off, v[54:55], off offset:136
	s_wait_loadcnt 0x0
	ds_store_b64 v1, v[52:53]
.LBB88_129:
	s_wait_xcnt 0x0
	s_or_b32 exec_lo, exec_lo, s0
	s_wait_storecnt_dscnt 0x0
	s_barrier_signal -1
	s_barrier_wait -1
	s_clause 0x4
	scratch_load_b128 v[52:55], off, off offset:144
	scratch_load_b128 v[56:59], off, off offset:160
	;; [unrolled: 1-line block ×3, first 2 shown]
	scratch_load_b64 v[76:77], off, off offset:192
	scratch_load_b64 v[78:79], off, off offset:136
	v_mov_b32_e32 v7, 0
	ds_load_b128 v[64:67], v7 offset:352
	ds_load_b128 v[68:71], v7 offset:368
	;; [unrolled: 1-line block ×3, first 2 shown]
	ds_load_b64 v[80:81], v7 offset:400
	s_mov_b32 s0, exec_lo
	s_wait_dscnt 0x3
	v_dual_mov_b32 v82, v67 :: v_dual_mov_b32 v83, v66
	s_wait_dscnt 0x2
	v_dual_mov_b32 v84, v71 :: v_dual_mov_b32 v85, v70
	;; [unrolled: 2-line block ×3, first 2 shown]
	s_wait_loadcnt 0x4
	v_pk_mul_f32 v[86:87], v[64:65], v[52:53] op_sel:[1,1] op_sel_hi:[0,1]
	v_mov_b32_e32 v88, v55
	s_wait_loadcnt 0x3
	v_pk_mul_f32 v[92:93], v[68:69], v[56:57] op_sel:[1,1] op_sel_hi:[0,1]
	s_wait_loadcnt 0x2
	v_pk_mul_f32 v[96:97], v[72:73], v[60:61] op_sel:[1,1] op_sel_hi:[0,1]
	v_pk_fma_f32 v[94:95], v[64:65], v[52:53], v[86:87] op_sel_hi:[1,0,1]
	v_pk_mul_f32 v[82:83], v[82:83], v[88:89] op_sel_hi:[1,0]
	v_pk_fma_f32 v[52:53], v[64:65], v[52:53], v[86:87] neg_lo:[0,0,1] neg_hi:[0,0,1]
	v_mov_b32_e32 v88, v59
	v_pk_fma_f32 v[86:87], v[68:69], v[56:57], v[92:93] op_sel_hi:[1,0,1]
	v_mov_b32_e32 v53, v95
	v_pk_fma_f32 v[64:65], v[66:67], v[54:55], v[82:83] op_sel_hi:[1,0,1]
	v_pk_fma_f32 v[54:55], v[66:67], v[54:55], v[82:83] neg_lo:[0,0,1] neg_hi:[0,0,1]
	v_pk_mul_f32 v[84:85], v[84:85], v[88:89] op_sel_hi:[1,0]
	v_pk_fma_f32 v[56:57], v[68:69], v[56:57], v[92:93] neg_lo:[0,0,1] neg_hi:[0,0,1]
	v_pk_add_f32 v[52:53], v[52:53], 0 op_sel_hi:[1,0]
	v_dual_mov_b32 v55, v65 :: v_dual_mov_b32 v64, v63
	s_delay_alu instid0(VALU_DEP_4) | instskip(SKIP_2) | instid1(VALU_DEP_4)
	v_pk_fma_f32 v[66:67], v[70:71], v[58:59], v[84:85] op_sel_hi:[1,0,1]
	v_mov_b32_e32 v57, v87
	v_pk_fma_f32 v[58:59], v[70:71], v[58:59], v[84:85] neg_lo:[0,0,1] neg_hi:[0,0,1]
	v_pk_add_f32 v[52:53], v[52:53], v[54:55]
	v_pk_fma_f32 v[54:55], v[72:73], v[60:61], v[96:97] op_sel_hi:[1,0,1]
	v_pk_mul_f32 v[64:65], v[90:91], v[64:65] op_sel_hi:[1,0]
	v_mov_b32_e32 v59, v67
	s_delay_alu instid0(VALU_DEP_4)
	v_pk_add_f32 v[52:53], v[52:53], v[56:57]
	v_pk_fma_f32 v[56:57], v[72:73], v[60:61], v[96:97] neg_lo:[0,0,1] neg_hi:[0,0,1]
	v_mov_b32_e32 v57, v55
	v_pk_fma_f32 v[54:55], v[74:75], v[62:63], v[64:65] op_sel_hi:[1,0,1]
	v_pk_fma_f32 v[60:61], v[74:75], v[62:63], v[64:65] neg_lo:[0,0,1] neg_hi:[0,0,1]
	v_pk_add_f32 v[52:53], v[52:53], v[58:59]
	s_wait_loadcnt_dscnt 0x100
	v_pk_mul_f32 v[58:59], v[80:81], v[76:77] op_sel:[1,1] op_sel_hi:[0,1]
	v_mov_b32_e32 v61, v55
	s_delay_alu instid0(VALU_DEP_3) | instskip(NEXT) | instid1(VALU_DEP_3)
	v_pk_add_f32 v[52:53], v[52:53], v[56:57]
	v_pk_fma_f32 v[54:55], v[80:81], v[76:77], v[58:59] op_sel_hi:[1,0,1]
	v_pk_fma_f32 v[56:57], v[80:81], v[76:77], v[58:59] neg_lo:[0,0,1] neg_hi:[0,0,1]
	s_delay_alu instid0(VALU_DEP_3) | instskip(NEXT) | instid1(VALU_DEP_3)
	v_pk_add_f32 v[52:53], v[52:53], v[60:61]
	v_mov_b32_e32 v57, v55
	s_delay_alu instid0(VALU_DEP_1) | instskip(SKIP_1) | instid1(VALU_DEP_1)
	v_pk_add_f32 v[52:53], v[52:53], v[56:57]
	s_wait_loadcnt 0x0
	v_pk_add_f32 v[52:53], v[78:79], v[52:53] neg_lo:[0,1] neg_hi:[0,1]
	scratch_store_b64 off, v[52:53], off offset:136
	s_wait_xcnt 0x0
	v_cmpx_lt_u32_e32 16, v0
	s_cbranch_execz .LBB88_131
; %bb.130:
	scratch_load_b64 v[52:53], off, off offset:128
	v_mov_b64_e32 v[54:55], 0
	scratch_store_b64 off, v[54:55], off offset:128
	s_wait_loadcnt 0x0
	ds_store_b64 v1, v[52:53]
.LBB88_131:
	s_wait_xcnt 0x0
	s_or_b32 exec_lo, exec_lo, s0
	s_wait_storecnt_dscnt 0x0
	s_barrier_signal -1
	s_barrier_wait -1
	s_clause 0x4
	scratch_load_b128 v[52:55], off, off offset:136
	scratch_load_b128 v[56:59], off, off offset:152
	;; [unrolled: 1-line block ×4, first 2 shown]
	scratch_load_b64 v[84:85], off, off offset:128
	ds_load_2addr_b64 v[68:71], v7 offset0:43 offset1:44
	ds_load_2addr_b64 v[72:75], v7 offset0:45 offset1:46
	;; [unrolled: 1-line block ×4, first 2 shown]
	s_mov_b32 s0, exec_lo
	s_wait_dscnt 0x3
	v_dual_mov_b32 v86, v71 :: v_dual_mov_b32 v87, v70
	s_wait_dscnt 0x2
	v_dual_mov_b32 v88, v75 :: v_dual_mov_b32 v89, v74
	;; [unrolled: 2-line block ×3, first 2 shown]
	v_dual_mov_b32 v91, v78 :: v_dual_mov_b32 v96, v83
	s_wait_loadcnt 0x4
	v_mov_b32_e32 v94, v55
	v_pk_mul_f32 v[92:93], v[68:69], v[52:53] op_sel:[1,1] op_sel_hi:[0,1]
	s_wait_loadcnt 0x3
	v_pk_mul_f32 v[98:99], v[72:73], v[56:57] op_sel:[1,1] op_sel_hi:[0,1]
	s_wait_loadcnt 0x2
	v_pk_mul_f32 v[102:103], v[76:77], v[60:61] op_sel:[1,1] op_sel_hi:[0,1]
	v_pk_mul_f32 v[86:87], v[86:87], v[94:95] op_sel_hi:[1,0]
	v_pk_fma_f32 v[100:101], v[68:69], v[52:53], v[92:93] op_sel_hi:[1,0,1]
	v_pk_fma_f32 v[52:53], v[68:69], v[52:53], v[92:93] neg_lo:[0,0,1] neg_hi:[0,0,1]
	v_mov_b32_e32 v94, v59
	v_pk_fma_f32 v[92:93], v[72:73], v[56:57], v[98:99] op_sel_hi:[1,0,1]
	v_pk_fma_f32 v[68:69], v[70:71], v[54:55], v[86:87] op_sel_hi:[1,0,1]
	v_mov_b32_e32 v53, v101
	v_pk_fma_f32 v[54:55], v[70:71], v[54:55], v[86:87] neg_lo:[0,0,1] neg_hi:[0,0,1]
	v_pk_mul_f32 v[88:89], v[88:89], v[94:95] op_sel_hi:[1,0]
	s_delay_alu instid0(VALU_DEP_4) | instskip(NEXT) | instid1(VALU_DEP_4)
	v_dual_mov_b32 v68, v63 :: v_dual_mov_b32 v55, v69
	v_pk_add_f32 v[52:53], v[52:53], 0 op_sel_hi:[1,0]
	v_pk_fma_f32 v[56:57], v[72:73], v[56:57], v[98:99] neg_lo:[0,0,1] neg_hi:[0,0,1]
	v_mov_b32_e32 v57, v93
	v_pk_fma_f32 v[70:71], v[74:75], v[58:59], v[88:89] op_sel_hi:[1,0,1]
	v_pk_mul_f32 v[68:69], v[90:91], v[68:69] op_sel_hi:[1,0]
	v_pk_add_f32 v[52:53], v[52:53], v[54:55]
	v_pk_fma_f32 v[54:55], v[76:77], v[60:61], v[102:103] op_sel_hi:[1,0,1]
	v_pk_fma_f32 v[58:59], v[74:75], v[58:59], v[88:89] neg_lo:[0,0,1] neg_hi:[0,0,1]
	v_mov_b32_e32 v59, v71
	v_pk_fma_f32 v[60:61], v[76:77], v[60:61], v[102:103] neg_lo:[0,0,1] neg_hi:[0,0,1]
	v_pk_add_f32 v[52:53], v[52:53], v[56:57]
	v_mov_b32_e32 v61, v55
	v_pk_fma_f32 v[54:55], v[78:79], v[62:63], v[68:69] op_sel_hi:[1,0,1]
	s_wait_loadcnt 0x1
	v_pk_mul_f32 v[56:57], v[80:81], v[64:65] op_sel:[1,1] op_sel_hi:[0,1]
	v_mov_b32_e32 v54, v67
	v_pk_add_f32 v[52:53], v[52:53], v[58:59]
	v_pk_fma_f32 v[62:63], v[78:79], v[62:63], v[68:69] neg_lo:[0,0,1] neg_hi:[0,0,1]
	v_mov_b32_e32 v63, v55
	v_pk_fma_f32 v[58:59], v[80:81], v[64:65], v[56:57] op_sel_hi:[1,0,1]
	v_pk_mul_f32 v[54:55], v[96:97], v[54:55] op_sel_hi:[1,0]
	v_pk_add_f32 v[52:53], v[52:53], v[60:61]
	v_pk_fma_f32 v[56:57], v[80:81], v[64:65], v[56:57] neg_lo:[0,0,1] neg_hi:[0,0,1]
	s_delay_alu instid0(VALU_DEP_4) | instskip(NEXT) | instid1(VALU_DEP_4)
	v_mov_b32_e32 v57, v59
	v_pk_fma_f32 v[58:59], v[82:83], v[66:67], v[54:55] op_sel_hi:[1,0,1]
	s_delay_alu instid0(VALU_DEP_4) | instskip(SKIP_1) | instid1(VALU_DEP_3)
	v_pk_add_f32 v[52:53], v[52:53], v[62:63]
	v_pk_fma_f32 v[54:55], v[82:83], v[66:67], v[54:55] neg_lo:[0,0,1] neg_hi:[0,0,1]
	v_mov_b32_e32 v55, v59
	s_delay_alu instid0(VALU_DEP_3) | instskip(NEXT) | instid1(VALU_DEP_1)
	v_pk_add_f32 v[52:53], v[52:53], v[56:57]
	v_pk_add_f32 v[52:53], v[52:53], v[54:55]
	s_wait_loadcnt 0x0
	s_delay_alu instid0(VALU_DEP_1)
	v_pk_add_f32 v[52:53], v[84:85], v[52:53] neg_lo:[0,1] neg_hi:[0,1]
	scratch_store_b64 off, v[52:53], off offset:128
	s_wait_xcnt 0x0
	v_cmpx_lt_u32_e32 15, v0
	s_cbranch_execz .LBB88_133
; %bb.132:
	scratch_load_b64 v[52:53], off, off offset:120
	v_mov_b64_e32 v[54:55], 0
	scratch_store_b64 off, v[54:55], off offset:120
	s_wait_loadcnt 0x0
	ds_store_b64 v1, v[52:53]
.LBB88_133:
	s_wait_xcnt 0x0
	s_or_b32 exec_lo, exec_lo, s0
	s_wait_storecnt_dscnt 0x0
	s_barrier_signal -1
	s_barrier_wait -1
	s_clause 0x5
	scratch_load_b128 v[52:55], off, off offset:128
	scratch_load_b128 v[56:59], off, off offset:144
	;; [unrolled: 1-line block ×4, first 2 shown]
	scratch_load_b64 v[84:85], off, off offset:192
	scratch_load_b64 v[86:87], off, off offset:120
	v_mov_b32_e32 v7, 0
	ds_load_b128 v[68:71], v7 offset:336
	ds_load_b128 v[72:75], v7 offset:352
	;; [unrolled: 1-line block ×4, first 2 shown]
	ds_load_b64 v[88:89], v7 offset:400
	s_mov_b32 s0, exec_lo
	s_wait_dscnt 0x4
	v_dual_mov_b32 v90, v71 :: v_dual_mov_b32 v91, v70
	s_wait_dscnt 0x1
	v_dual_mov_b32 v92, v75 :: v_dual_mov_b32 v97, v82
	v_dual_mov_b32 v93, v74 :: v_dual_mov_b32 v94, v79
	;; [unrolled: 1-line block ×3, first 2 shown]
	s_wait_loadcnt 0x5
	v_dual_mov_b32 v98, v55 :: v_dual_mul_f32 v99, v68, v53
	v_mul_f32_e32 v9, v69, v53
	s_wait_loadcnt 0x4
	v_pk_mul_f32 v[100:101], v[72:73], v[56:57] op_sel:[1,1] op_sel_hi:[0,1]
	v_mov_b32_e32 v102, v59
	s_wait_loadcnt 0x3
	v_pk_mul_f32 v[104:105], v[76:77], v[60:61] op_sel:[1,1] op_sel_hi:[0,1]
	v_pk_mul_f32 v[90:91], v[90:91], v[98:99] op_sel_hi:[1,0]
	v_dual_fmac_f32 v99, v69, v52 :: v_dual_fma_f32 v98, v68, v52, -v9
	v_mov_b32_e32 v52, v63
	v_pk_fma_f32 v[106:107], v[72:73], v[56:57], v[100:101] op_sel_hi:[1,0,1]
	s_delay_alu instid0(VALU_DEP_4)
	v_pk_fma_f32 v[68:69], v[70:71], v[54:55], v[90:91] op_sel_hi:[1,0,1]
	v_pk_fma_f32 v[54:55], v[70:71], v[54:55], v[90:91] neg_lo:[0,0,1] neg_hi:[0,0,1]
	v_pk_mul_f32 v[92:93], v[92:93], v[102:103] op_sel_hi:[1,0]
	v_pk_add_f32 v[98:99], v[98:99], 0 op_sel_hi:[1,0]
	v_pk_fma_f32 v[56:57], v[72:73], v[56:57], v[100:101] neg_lo:[0,0,1] neg_hi:[0,0,1]
	v_dual_mov_b32 v55, v69 :: v_dual_mov_b32 v57, v107
	s_delay_alu instid0(VALU_DEP_4) | instskip(SKIP_2) | instid1(VALU_DEP_4)
	v_pk_fma_f32 v[70:71], v[74:75], v[58:59], v[92:93] op_sel_hi:[1,0,1]
	v_pk_fma_f32 v[58:59], v[74:75], v[58:59], v[92:93] neg_lo:[0,0,1] neg_hi:[0,0,1]
	v_pk_fma_f32 v[72:73], v[76:77], v[60:61], v[104:105] op_sel_hi:[1,0,1]
	v_pk_add_f32 v[54:55], v[98:99], v[54:55]
	v_pk_mul_f32 v[52:53], v[94:95], v[52:53] op_sel_hi:[1,0]
	v_mov_b32_e32 v59, v71
	v_pk_fma_f32 v[60:61], v[76:77], v[60:61], v[104:105] neg_lo:[0,0,1] neg_hi:[0,0,1]
	s_wait_loadcnt 0x2
	v_pk_mul_f32 v[68:69], v[80:81], v[64:65] op_sel:[1,1] op_sel_hi:[0,1]
	v_pk_add_f32 v[54:55], v[54:55], v[56:57]
	v_mov_b32_e32 v56, v67
	v_pk_fma_f32 v[70:71], v[78:79], v[62:63], v[52:53] op_sel_hi:[1,0,1]
	v_mov_b32_e32 v61, v73
	v_pk_fma_f32 v[52:53], v[78:79], v[62:63], v[52:53] neg_lo:[0,0,1] neg_hi:[0,0,1]
	v_pk_add_f32 v[54:55], v[54:55], v[58:59]
	v_pk_fma_f32 v[58:59], v[80:81], v[64:65], v[68:69] op_sel_hi:[1,0,1]
	v_pk_mul_f32 v[56:57], v[96:97], v[56:57] op_sel_hi:[1,0]
	v_mov_b32_e32 v53, v71
	s_delay_alu instid0(VALU_DEP_4)
	v_pk_add_f32 v[54:55], v[54:55], v[60:61]
	v_pk_fma_f32 v[60:61], v[80:81], v[64:65], v[68:69] neg_lo:[0,0,1] neg_hi:[0,0,1]
	v_mov_b32_e32 v61, v59
	v_pk_fma_f32 v[58:59], v[82:83], v[66:67], v[56:57] op_sel_hi:[1,0,1]
	v_pk_fma_f32 v[56:57], v[82:83], v[66:67], v[56:57] neg_lo:[0,0,1] neg_hi:[0,0,1]
	v_pk_add_f32 v[52:53], v[54:55], v[52:53]
	s_wait_loadcnt_dscnt 0x100
	v_pk_mul_f32 v[54:55], v[88:89], v[84:85] op_sel:[1,1] op_sel_hi:[0,1]
	v_mov_b32_e32 v57, v59
	s_delay_alu instid0(VALU_DEP_3) | instskip(NEXT) | instid1(VALU_DEP_3)
	v_pk_add_f32 v[52:53], v[52:53], v[60:61]
	v_pk_fma_f32 v[58:59], v[88:89], v[84:85], v[54:55] op_sel_hi:[1,0,1]
	v_pk_fma_f32 v[54:55], v[88:89], v[84:85], v[54:55] neg_lo:[0,0,1] neg_hi:[0,0,1]
	s_delay_alu instid0(VALU_DEP_3) | instskip(NEXT) | instid1(VALU_DEP_3)
	v_pk_add_f32 v[52:53], v[52:53], v[56:57]
	v_mov_b32_e32 v55, v59
	s_delay_alu instid0(VALU_DEP_1) | instskip(SKIP_1) | instid1(VALU_DEP_1)
	v_pk_add_f32 v[52:53], v[52:53], v[54:55]
	s_wait_loadcnt 0x0
	v_pk_add_f32 v[52:53], v[86:87], v[52:53] neg_lo:[0,1] neg_hi:[0,1]
	scratch_store_b64 off, v[52:53], off offset:120
	s_wait_xcnt 0x0
	v_cmpx_lt_u32_e32 14, v0
	s_cbranch_execz .LBB88_135
; %bb.134:
	scratch_load_b64 v[52:53], off, off offset:112
	v_mov_b64_e32 v[54:55], 0
	scratch_store_b64 off, v[54:55], off offset:112
	s_wait_loadcnt 0x0
	ds_store_b64 v1, v[52:53]
.LBB88_135:
	s_wait_xcnt 0x0
	s_or_b32 exec_lo, exec_lo, s0
	s_wait_storecnt_dscnt 0x0
	s_barrier_signal -1
	s_barrier_wait -1
	s_clause 0x5
	scratch_load_b128 v[52:55], off, off offset:120
	scratch_load_b128 v[56:59], off, off offset:136
	;; [unrolled: 1-line block ×5, first 2 shown]
	scratch_load_b64 v[92:93], off, off offset:112
	ds_load_2addr_b64 v[72:75], v7 offset0:43 offset1:44
	ds_load_2addr_b64 v[76:79], v7 offset0:45 offset1:46
	;; [unrolled: 1-line block ×5, first 2 shown]
	s_mov_b32 s0, exec_lo
	s_wait_dscnt 0x4
	v_dual_mov_b32 v94, v75 :: v_dual_mov_b32 v95, v74
	s_wait_dscnt 0x3
	v_dual_mov_b32 v96, v79 :: v_dual_mov_b32 v97, v78
	;; [unrolled: 2-line block ×4, first 2 shown]
	s_wait_loadcnt_dscnt 0x500
	v_dual_mul_f32 v103, v88, v53 :: v_dual_mul_f32 v105, v90, v55
	v_dual_mul_f32 v7, v89, v53 :: v_dual_mul_f32 v9, v91, v55
	s_wait_loadcnt 0x4
	v_pk_mul_f32 v[106:107], v[72:73], v[56:57] op_sel:[1,1] op_sel_hi:[0,1]
	s_wait_loadcnt 0x3
	v_dual_mov_b32 v108, v59 :: v_dual_mov_b32 v112, v63
	v_dual_fmac_f32 v103, v89, v52 :: v_dual_fmac_f32 v105, v91, v54
	v_dual_fma_f32 v102, v88, v52, -v7 :: v_dual_fma_f32 v104, v90, v54, -v9
	v_pk_fma_f32 v[52:53], v[72:73], v[56:57], v[106:107] op_sel_hi:[1,0,1]
	s_delay_alu instid0(VALU_DEP_4) | instskip(SKIP_1) | instid1(VALU_DEP_4)
	v_pk_mul_f32 v[54:55], v[94:95], v[108:109] op_sel_hi:[1,0]
	v_pk_fma_f32 v[56:57], v[72:73], v[56:57], v[106:107] neg_lo:[0,0,1] neg_hi:[0,0,1]
	v_pk_add_f32 v[88:89], v[102:103], 0 op_sel_hi:[1,0]
	v_pk_mul_f32 v[110:111], v[76:77], v[60:61] op_sel:[1,1] op_sel_hi:[0,1]
	v_mov_b32_e32 v57, v53
	v_pk_fma_f32 v[52:53], v[74:75], v[58:59], v[54:55] op_sel_hi:[1,0,1]
	v_pk_fma_f32 v[54:55], v[74:75], v[58:59], v[54:55] neg_lo:[0,0,1] neg_hi:[0,0,1]
	v_pk_add_f32 v[72:73], v[88:89], v[104:105]
	v_pk_fma_f32 v[88:89], v[76:77], v[60:61], v[110:111] op_sel_hi:[1,0,1]
	v_pk_mul_f32 v[94:95], v[96:97], v[112:113] op_sel_hi:[1,0]
	v_mov_b32_e32 v55, v53
	s_wait_loadcnt 0x2
	v_pk_mul_f32 v[90:91], v[80:81], v[64:65] op_sel:[1,1] op_sel_hi:[0,1]
	v_pk_add_f32 v[52:53], v[72:73], v[56:57]
	v_mov_b32_e32 v56, v67
	v_pk_fma_f32 v[58:59], v[76:77], v[60:61], v[110:111] neg_lo:[0,0,1] neg_hi:[0,0,1]
	v_mov_b32_e32 v59, v89
	v_pk_fma_f32 v[60:61], v[78:79], v[62:63], v[94:95] op_sel_hi:[1,0,1]
	v_pk_add_f32 v[52:53], v[52:53], v[54:55]
	v_pk_fma_f32 v[54:55], v[80:81], v[64:65], v[90:91] op_sel_hi:[1,0,1]
	v_pk_mul_f32 v[56:57], v[98:99], v[56:57] op_sel_hi:[1,0]
	v_pk_fma_f32 v[62:63], v[78:79], v[62:63], v[94:95] neg_lo:[0,0,1] neg_hi:[0,0,1]
	v_mov_b32_e32 v63, v61
	v_pk_add_f32 v[52:53], v[52:53], v[58:59]
	v_pk_fma_f32 v[60:61], v[80:81], v[64:65], v[90:91] neg_lo:[0,0,1] neg_hi:[0,0,1]
	v_mov_b32_e32 v61, v55
	v_pk_fma_f32 v[54:55], v[82:83], v[66:67], v[56:57] op_sel_hi:[1,0,1]
	s_wait_loadcnt 0x1
	v_pk_mul_f32 v[58:59], v[84:85], v[68:69] op_sel:[1,1] op_sel_hi:[0,1]
	v_pk_add_f32 v[52:53], v[52:53], v[62:63]
	v_mov_b32_e32 v54, v71
	v_pk_fma_f32 v[56:57], v[82:83], v[66:67], v[56:57] neg_lo:[0,0,1] neg_hi:[0,0,1]
	v_mov_b32_e32 v57, v55
	v_pk_fma_f32 v[62:63], v[84:85], v[68:69], v[58:59] op_sel_hi:[1,0,1]
	v_pk_add_f32 v[52:53], v[52:53], v[60:61]
	v_pk_mul_f32 v[54:55], v[100:101], v[54:55] op_sel_hi:[1,0]
	v_pk_fma_f32 v[58:59], v[84:85], v[68:69], v[58:59] neg_lo:[0,0,1] neg_hi:[0,0,1]
	s_delay_alu instid0(VALU_DEP_3) | instskip(NEXT) | instid1(VALU_DEP_3)
	v_pk_add_f32 v[52:53], v[52:53], v[56:57]
	v_pk_fma_f32 v[56:57], v[86:87], v[70:71], v[54:55] op_sel_hi:[1,0,1]
	v_mov_b32_e32 v59, v63
	v_pk_fma_f32 v[54:55], v[86:87], v[70:71], v[54:55] neg_lo:[0,0,1] neg_hi:[0,0,1]
	s_delay_alu instid0(VALU_DEP_3) | instskip(NEXT) | instid1(VALU_DEP_3)
	v_mov_b32_e32 v55, v57
	v_pk_add_f32 v[52:53], v[52:53], v[58:59]
	s_delay_alu instid0(VALU_DEP_1) | instskip(SKIP_1) | instid1(VALU_DEP_1)
	v_pk_add_f32 v[52:53], v[52:53], v[54:55]
	s_wait_loadcnt 0x0
	v_pk_add_f32 v[52:53], v[92:93], v[52:53] neg_lo:[0,1] neg_hi:[0,1]
	scratch_store_b64 off, v[52:53], off offset:112
	s_wait_xcnt 0x0
	v_cmpx_lt_u32_e32 13, v0
	s_cbranch_execz .LBB88_137
; %bb.136:
	scratch_load_b64 v[52:53], off, off offset:104
	v_mov_b64_e32 v[54:55], 0
	scratch_store_b64 off, v[54:55], off offset:104
	s_wait_loadcnt 0x0
	ds_store_b64 v1, v[52:53]
.LBB88_137:
	s_wait_xcnt 0x0
	s_or_b32 exec_lo, exec_lo, s0
	s_wait_storecnt_dscnt 0x0
	s_barrier_signal -1
	s_barrier_wait -1
	s_clause 0x6
	scratch_load_b128 v[52:55], off, off offset:112
	scratch_load_b128 v[56:59], off, off offset:128
	;; [unrolled: 1-line block ×5, first 2 shown]
	scratch_load_b64 v[92:93], off, off offset:192
	scratch_load_b64 v[94:95], off, off offset:104
	v_mov_b32_e32 v7, 0
	ds_load_b128 v[72:75], v7 offset:336
	ds_load_b128 v[76:79], v7 offset:352
	;; [unrolled: 1-line block ×5, first 2 shown]
	ds_load_b64 v[96:97], v7 offset:400
	s_mov_b32 s0, exec_lo
	s_wait_dscnt 0x5
	v_dual_mov_b32 v98, v75 :: v_dual_mov_b32 v99, v74
	s_wait_dscnt 0x2
	v_dual_mov_b32 v100, v79 :: v_dual_mov_b32 v105, v86
	v_dual_mov_b32 v101, v78 :: v_dual_mov_b32 v102, v83
	;; [unrolled: 1-line block ×3, first 2 shown]
	s_wait_loadcnt_dscnt 0x601
	v_dual_mul_f32 v9, v88, v53 :: v_dual_mul_f32 v11, v89, v53
	v_dual_mul_f32 v13, v91, v55 :: v_dual_mul_f32 v107, v90, v55
	s_wait_loadcnt 0x5
	v_dual_mul_f32 v109, v72, v57 :: v_dual_mul_f32 v15, v73, v57
	s_wait_loadcnt 0x4
	v_dual_mov_b32 v108, v59 :: v_dual_mov_b32 v112, v63
	v_dual_fmac_f32 v9, v89, v52 :: v_dual_fma_f32 v11, v88, v52, -v11
	v_dual_fma_f32 v106, v90, v54, -v13 :: v_dual_fmac_f32 v107, v91, v54
	s_delay_alu instid0(VALU_DEP_3) | instskip(NEXT) | instid1(VALU_DEP_3)
	v_pk_mul_f32 v[52:53], v[98:99], v[108:109] op_sel_hi:[1,0]
	v_dual_add_f32 v55, 0, v9 :: v_dual_add_f32 v54, 0, v11
	s_wait_loadcnt 0x3
	v_mov_b32_e32 v88, v67
	v_pk_mul_f32 v[110:111], v[76:77], v[60:61] op_sel:[1,1] op_sel_hi:[0,1]
	v_dual_fmac_f32 v109, v73, v56 :: v_dual_fma_f32 v108, v72, v56, -v15
	v_pk_fma_f32 v[56:57], v[74:75], v[58:59], v[52:53] op_sel_hi:[1,0,1]
	v_pk_add_f32 v[54:55], v[54:55], v[106:107]
	v_pk_fma_f32 v[52:53], v[74:75], v[58:59], v[52:53] neg_lo:[0,0,1] neg_hi:[0,0,1]
	v_pk_fma_f32 v[72:73], v[76:77], v[60:61], v[110:111] op_sel_hi:[1,0,1]
	v_pk_mul_f32 v[90:91], v[100:101], v[112:113] op_sel_hi:[1,0]
	v_mov_b32_e32 v53, v57
	v_pk_add_f32 v[54:55], v[54:55], v[108:109]
	v_pk_fma_f32 v[58:59], v[76:77], v[60:61], v[110:111] neg_lo:[0,0,1] neg_hi:[0,0,1]
	v_pk_mul_f32 v[114:115], v[80:81], v[64:65] op_sel:[1,1] op_sel_hi:[0,1]
	v_mov_b32_e32 v59, v73
	v_pk_fma_f32 v[60:61], v[78:79], v[62:63], v[90:91] op_sel_hi:[1,0,1]
	v_pk_add_f32 v[52:53], v[54:55], v[52:53]
	v_pk_fma_f32 v[62:63], v[78:79], v[62:63], v[90:91] neg_lo:[0,0,1] neg_hi:[0,0,1]
	v_pk_fma_f32 v[54:55], v[80:81], v[64:65], v[114:115] op_sel_hi:[1,0,1]
	v_pk_mul_f32 v[72:73], v[102:103], v[88:89] op_sel_hi:[1,0]
	s_wait_loadcnt 0x2
	v_dual_mov_b32 v63, v61 :: v_dual_mov_b32 v54, v71
	v_pk_add_f32 v[52:53], v[52:53], v[58:59]
	v_pk_fma_f32 v[58:59], v[80:81], v[64:65], v[114:115] neg_lo:[0,0,1] neg_hi:[0,0,1]
	v_pk_mul_f32 v[56:57], v[84:85], v[68:69] op_sel:[1,1] op_sel_hi:[0,1]
	v_pk_fma_f32 v[60:61], v[82:83], v[66:67], v[72:73] op_sel_hi:[1,0,1]
	v_mov_b32_e32 v59, v55
	v_pk_add_f32 v[52:53], v[52:53], v[62:63]
	v_pk_fma_f32 v[64:65], v[82:83], v[66:67], v[72:73] neg_lo:[0,0,1] neg_hi:[0,0,1]
	v_pk_fma_f32 v[62:63], v[84:85], v[68:69], v[56:57] op_sel_hi:[1,0,1]
	v_pk_mul_f32 v[54:55], v[104:105], v[54:55] op_sel_hi:[1,0]
	v_mov_b32_e32 v65, v61
	v_pk_add_f32 v[52:53], v[52:53], v[58:59]
	v_pk_fma_f32 v[56:57], v[84:85], v[68:69], v[56:57] neg_lo:[0,0,1] neg_hi:[0,0,1]
	s_wait_loadcnt_dscnt 0x100
	v_pk_mul_f32 v[60:61], v[96:97], v[92:93] op_sel:[1,1] op_sel_hi:[0,1]
	v_pk_fma_f32 v[58:59], v[86:87], v[70:71], v[54:55] op_sel_hi:[1,0,1]
	v_mov_b32_e32 v57, v63
	v_pk_add_f32 v[52:53], v[52:53], v[64:65]
	v_pk_fma_f32 v[54:55], v[86:87], v[70:71], v[54:55] neg_lo:[0,0,1] neg_hi:[0,0,1]
	s_delay_alu instid0(VALU_DEP_4) | instskip(SKIP_1) | instid1(VALU_DEP_4)
	v_mov_b32_e32 v55, v59
	v_pk_fma_f32 v[58:59], v[96:97], v[92:93], v[60:61] neg_lo:[0,0,1] neg_hi:[0,0,1]
	v_pk_add_f32 v[52:53], v[52:53], v[56:57]
	v_pk_fma_f32 v[56:57], v[96:97], v[92:93], v[60:61] op_sel_hi:[1,0,1]
	s_delay_alu instid0(VALU_DEP_2) | instskip(NEXT) | instid1(VALU_DEP_2)
	v_pk_add_f32 v[52:53], v[52:53], v[54:55]
	v_mov_b32_e32 v59, v57
	s_delay_alu instid0(VALU_DEP_1) | instskip(SKIP_1) | instid1(VALU_DEP_1)
	v_pk_add_f32 v[52:53], v[52:53], v[58:59]
	s_wait_loadcnt 0x0
	v_pk_add_f32 v[52:53], v[94:95], v[52:53] neg_lo:[0,1] neg_hi:[0,1]
	scratch_store_b64 off, v[52:53], off offset:104
	s_wait_xcnt 0x0
	v_cmpx_lt_u32_e32 12, v0
	s_cbranch_execz .LBB88_139
; %bb.138:
	scratch_load_b64 v[52:53], off, off offset:96
	v_mov_b64_e32 v[54:55], 0
	scratch_store_b64 off, v[54:55], off offset:96
	s_wait_loadcnt 0x0
	ds_store_b64 v1, v[52:53]
.LBB88_139:
	s_wait_xcnt 0x0
	s_or_b32 exec_lo, exec_lo, s0
	s_wait_storecnt_dscnt 0x0
	s_barrier_signal -1
	s_barrier_wait -1
	s_clause 0x6
	scratch_load_b128 v[52:55], off, off offset:104
	scratch_load_b128 v[56:59], off, off offset:120
	;; [unrolled: 1-line block ×6, first 2 shown]
	scratch_load_b64 v[100:101], off, off offset:96
	ds_load_2addr_b64 v[76:79], v7 offset0:43 offset1:44
	ds_load_2addr_b64 v[80:83], v7 offset0:45 offset1:46
	;; [unrolled: 1-line block ×6, first 2 shown]
	s_mov_b32 s0, exec_lo
	s_wait_dscnt 0x5
	v_dual_mov_b32 v102, v79 :: v_dual_mov_b32 v103, v78
	s_wait_dscnt 0x4
	v_dual_mov_b32 v104, v83 :: v_dual_mov_b32 v105, v82
	;; [unrolled: 2-line block ×4, first 2 shown]
	s_wait_loadcnt_dscnt 0x601
	v_dual_mul_f32 v7, v92, v53 :: v_dual_mul_f32 v9, v94, v55
	v_dual_mul_f32 v11, v93, v53 :: v_dual_mul_f32 v13, v95, v55
	s_wait_loadcnt 0x4
	s_delay_alu instid0(VALU_DEP_2)
	v_dual_mov_b32 v116, v63 :: v_dual_fmac_f32 v7, v93, v52
	s_wait_dscnt 0x0
	v_dual_mul_f32 v111, v96, v57 :: v_dual_mul_f32 v113, v98, v59
	v_dual_fma_f32 v11, v92, v52, -v11 :: v_dual_fmac_f32 v9, v95, v54
	v_dual_mul_f32 v15, v97, v57 :: v_dual_mul_f32 v17, v99, v59
	v_dual_fma_f32 v13, v94, v54, -v13 :: v_dual_add_f32 v7, 0, v7
	s_wait_loadcnt 0x3
	s_delay_alu instid0(VALU_DEP_3) | instskip(SKIP_3) | instid1(VALU_DEP_4)
	v_dual_add_f32 v11, 0, v11 :: v_dual_mov_b32 v54, v67
	v_pk_mul_f32 v[114:115], v[76:77], v[60:61] op_sel:[1,1] op_sel_hi:[0,1]
	v_pk_mul_f32 v[52:53], v[80:81], v[64:65] op_sel:[1,1] op_sel_hi:[0,1]
	v_dual_fmac_f32 v111, v97, v56 :: v_dual_add_f32 v57, v7, v9
	v_dual_fma_f32 v110, v96, v56, -v15 :: v_dual_add_f32 v56, v11, v13
	v_fmac_f32_e32 v113, v99, v58
	v_fma_f32 v112, v98, v58, -v17
	v_pk_fma_f32 v[58:59], v[76:77], v[60:61], v[114:115] op_sel_hi:[1,0,1]
	v_pk_mul_f32 v[92:93], v[102:103], v[116:117] op_sel_hi:[1,0]
	v_pk_add_f32 v[56:57], v[56:57], v[110:111]
	v_pk_fma_f32 v[60:61], v[76:77], v[60:61], v[114:115] neg_lo:[0,0,1] neg_hi:[0,0,1]
	v_pk_fma_f32 v[76:77], v[80:81], v[64:65], v[52:53] op_sel_hi:[1,0,1]
	v_pk_fma_f32 v[52:53], v[80:81], v[64:65], v[52:53] neg_lo:[0,0,1] neg_hi:[0,0,1]
	v_mov_b32_e32 v61, v59
	v_pk_fma_f32 v[58:59], v[78:79], v[62:63], v[92:93] op_sel_hi:[1,0,1]
	v_pk_fma_f32 v[62:63], v[78:79], v[62:63], v[92:93] neg_lo:[0,0,1] neg_hi:[0,0,1]
	v_mov_b32_e32 v53, v77
	v_pk_add_f32 v[56:57], v[56:57], v[112:113]
	v_pk_mul_f32 v[54:55], v[104:105], v[54:55] op_sel_hi:[1,0]
	s_wait_loadcnt 0x2
	v_dual_mov_b32 v63, v59 :: v_dual_mov_b32 v58, v71
	v_pk_mul_f32 v[94:95], v[84:85], v[68:69] op_sel:[1,1] op_sel_hi:[0,1]
	v_pk_add_f32 v[56:57], v[56:57], v[60:61]
	v_pk_fma_f32 v[60:61], v[82:83], v[66:67], v[54:55] op_sel_hi:[1,0,1]
	v_pk_fma_f32 v[54:55], v[82:83], v[66:67], v[54:55] neg_lo:[0,0,1] neg_hi:[0,0,1]
	v_pk_mul_f32 v[58:59], v[106:107], v[58:59] op_sel_hi:[1,0]
	s_delay_alu instid0(VALU_DEP_4) | instskip(SKIP_3) | instid1(VALU_DEP_4)
	v_pk_add_f32 v[56:57], v[56:57], v[62:63]
	v_pk_fma_f32 v[62:63], v[84:85], v[68:69], v[94:95] op_sel_hi:[1,0,1]
	v_mov_b32_e32 v55, v61
	v_pk_fma_f32 v[60:61], v[84:85], v[68:69], v[94:95] neg_lo:[0,0,1] neg_hi:[0,0,1]
	v_pk_add_f32 v[52:53], v[56:57], v[52:53]
	s_wait_loadcnt 0x1
	v_pk_mul_f32 v[56:57], v[88:89], v[72:73] op_sel:[1,1] op_sel_hi:[0,1]
	v_mov_b32_e32 v61, v63
	v_pk_fma_f32 v[62:63], v[86:87], v[70:71], v[58:59] op_sel_hi:[1,0,1]
	v_pk_fma_f32 v[58:59], v[86:87], v[70:71], v[58:59] neg_lo:[0,0,1] neg_hi:[0,0,1]
	v_pk_add_f32 v[52:53], v[52:53], v[54:55]
	v_mov_b32_e32 v54, v75
	v_pk_fma_f32 v[64:65], v[88:89], v[72:73], v[56:57] op_sel_hi:[1,0,1]
	v_mov_b32_e32 v59, v63
	v_pk_fma_f32 v[56:57], v[88:89], v[72:73], v[56:57] neg_lo:[0,0,1] neg_hi:[0,0,1]
	v_pk_add_f32 v[52:53], v[52:53], v[60:61]
	v_pk_mul_f32 v[54:55], v[108:109], v[54:55] op_sel_hi:[1,0]
	s_delay_alu instid0(VALU_DEP_2) | instskip(NEXT) | instid1(VALU_DEP_2)
	v_pk_add_f32 v[52:53], v[52:53], v[58:59]
	v_pk_fma_f32 v[58:59], v[90:91], v[74:75], v[54:55] op_sel_hi:[1,0,1]
	v_mov_b32_e32 v57, v65
	v_pk_fma_f32 v[54:55], v[90:91], v[74:75], v[54:55] neg_lo:[0,0,1] neg_hi:[0,0,1]
	s_delay_alu instid0(VALU_DEP_3) | instskip(NEXT) | instid1(VALU_DEP_3)
	v_mov_b32_e32 v55, v59
	v_pk_add_f32 v[52:53], v[52:53], v[56:57]
	s_delay_alu instid0(VALU_DEP_1) | instskip(SKIP_1) | instid1(VALU_DEP_1)
	v_pk_add_f32 v[52:53], v[52:53], v[54:55]
	s_wait_loadcnt 0x0
	v_pk_add_f32 v[52:53], v[100:101], v[52:53] neg_lo:[0,1] neg_hi:[0,1]
	scratch_store_b64 off, v[52:53], off offset:96
	s_wait_xcnt 0x0
	v_cmpx_lt_u32_e32 11, v0
	s_cbranch_execz .LBB88_141
; %bb.140:
	scratch_load_b64 v[52:53], off, off offset:88
	v_mov_b64_e32 v[54:55], 0
	scratch_store_b64 off, v[54:55], off offset:88
	s_wait_loadcnt 0x0
	ds_store_b64 v1, v[52:53]
.LBB88_141:
	s_wait_xcnt 0x0
	s_or_b32 exec_lo, exec_lo, s0
	s_wait_storecnt_dscnt 0x0
	s_barrier_signal -1
	s_barrier_wait -1
	s_clause 0x7
	scratch_load_b128 v[52:55], off, off offset:96
	scratch_load_b128 v[56:59], off, off offset:112
	;; [unrolled: 1-line block ×6, first 2 shown]
	scratch_load_b64 v[100:101], off, off offset:192
	scratch_load_b64 v[102:103], off, off offset:88
	v_mov_b32_e32 v7, 0
	ds_load_b128 v[76:79], v7 offset:336
	ds_load_b128 v[80:83], v7 offset:352
	;; [unrolled: 1-line block ×6, first 2 shown]
	ds_load_b64 v[104:105], v7 offset:400
	s_mov_b32 s0, exec_lo
	s_wait_dscnt 0x6
	v_dual_mov_b32 v106, v79 :: v_dual_mov_b32 v107, v78
	s_wait_dscnt 0x3
	v_dual_mov_b32 v108, v83 :: v_dual_mov_b32 v113, v90
	v_dual_mov_b32 v109, v82 :: v_dual_mov_b32 v110, v87
	;; [unrolled: 1-line block ×3, first 2 shown]
	s_wait_loadcnt_dscnt 0x702
	v_dual_mul_f32 v9, v92, v53 :: v_dual_mul_f32 v15, v93, v53
	v_dual_mul_f32 v17, v95, v55 :: v_dual_mul_f32 v11, v94, v55
	s_wait_loadcnt_dscnt 0x601
	s_delay_alu instid0(VALU_DEP_2) | instskip(NEXT) | instid1(VALU_DEP_3)
	v_dual_mul_f32 v13, v96, v57 :: v_dual_fmac_f32 v9, v93, v52
	v_dual_fma_f32 v15, v92, v52, -v15 :: v_dual_mul_f32 v19, v97, v57
	v_mul_f32_e32 v21, v99, v59
	s_wait_loadcnt 0x4
	v_dual_mov_b32 v52, v67 :: v_dual_fma_f32 v17, v94, v54, -v17
	v_dual_fmac_f32 v11, v95, v54 :: v_dual_add_f32 v9, 0, v9
	v_dual_add_f32 v15, 0, v15 :: v_dual_fmac_f32 v13, v97, v56
	v_dual_mul_f32 v115, v98, v59 :: v_dual_mul_f32 v117, v76, v61
	v_dual_mul_f32 v23, v77, v61 :: v_dual_mov_b32 v116, v63
	s_delay_alu instid0(VALU_DEP_4) | instskip(NEXT) | instid1(VALU_DEP_4)
	v_dual_fma_f32 v19, v96, v56, -v19 :: v_dual_add_f32 v9, v9, v11
	v_dual_add_f32 v11, v15, v17 :: v_dual_fma_f32 v114, v98, v58, -v21
	s_delay_alu instid0(VALU_DEP_4) | instskip(NEXT) | instid1(VALU_DEP_4)
	v_fmac_f32_e32 v115, v99, v58
	v_pk_mul_f32 v[56:57], v[106:107], v[116:117] op_sel_hi:[1,0]
	s_delay_alu instid0(VALU_DEP_3)
	v_dual_add_f32 v59, v9, v13 :: v_dual_add_f32 v58, v11, v19
	v_fmac_f32_e32 v117, v77, v60
	v_pk_mul_f32 v[118:119], v[80:81], v[64:65] op_sel:[1,1] op_sel_hi:[0,1]
	s_wait_loadcnt 0x3
	v_dual_mov_b32 v92, v71 :: v_dual_fma_f32 v116, v76, v60, -v23
	v_pk_fma_f32 v[60:61], v[78:79], v[62:63], v[56:57] op_sel_hi:[1,0,1]
	v_pk_add_f32 v[58:59], v[58:59], v[114:115]
	v_pk_fma_f32 v[56:57], v[78:79], v[62:63], v[56:57] neg_lo:[0,0,1] neg_hi:[0,0,1]
	v_pk_fma_f32 v[76:77], v[80:81], v[64:65], v[118:119] op_sel_hi:[1,0,1]
	v_pk_mul_f32 v[52:53], v[108:109], v[52:53] op_sel_hi:[1,0]
	v_mov_b32_e32 v57, v61
	v_pk_add_f32 v[58:59], v[58:59], v[116:117]
	v_pk_fma_f32 v[62:63], v[80:81], v[64:65], v[118:119] neg_lo:[0,0,1] neg_hi:[0,0,1]
	v_pk_mul_f32 v[54:55], v[84:85], v[68:69] op_sel:[1,1] op_sel_hi:[0,1]
	v_mov_b32_e32 v63, v77
	v_pk_fma_f32 v[64:65], v[82:83], v[66:67], v[52:53] op_sel_hi:[1,0,1]
	v_pk_add_f32 v[56:57], v[58:59], v[56:57]
	v_pk_fma_f32 v[52:53], v[82:83], v[66:67], v[52:53] neg_lo:[0,0,1] neg_hi:[0,0,1]
	v_pk_fma_f32 v[58:59], v[84:85], v[68:69], v[54:55] op_sel_hi:[1,0,1]
	v_pk_mul_f32 v[76:77], v[110:111], v[92:93] op_sel_hi:[1,0]
	s_wait_loadcnt 0x2
	v_dual_mov_b32 v53, v65 :: v_dual_mov_b32 v58, v75
	v_pk_add_f32 v[56:57], v[56:57], v[62:63]
	v_pk_fma_f32 v[54:55], v[84:85], v[68:69], v[54:55] neg_lo:[0,0,1] neg_hi:[0,0,1]
	v_pk_mul_f32 v[60:61], v[88:89], v[72:73] op_sel:[1,1] op_sel_hi:[0,1]
	v_pk_fma_f32 v[62:63], v[86:87], v[70:71], v[76:77] op_sel_hi:[1,0,1]
	v_mov_b32_e32 v55, v59
	v_pk_add_f32 v[52:53], v[56:57], v[52:53]
	v_pk_fma_f32 v[64:65], v[86:87], v[70:71], v[76:77] neg_lo:[0,0,1] neg_hi:[0,0,1]
	v_pk_fma_f32 v[56:57], v[88:89], v[72:73], v[60:61] op_sel_hi:[1,0,1]
	v_pk_mul_f32 v[58:59], v[112:113], v[58:59] op_sel_hi:[1,0]
	v_mov_b32_e32 v65, v63
	v_pk_add_f32 v[52:53], v[52:53], v[54:55]
	v_pk_fma_f32 v[54:55], v[88:89], v[72:73], v[60:61] neg_lo:[0,0,1] neg_hi:[0,0,1]
	v_mov_b32_e32 v55, v57
	v_pk_fma_f32 v[56:57], v[90:91], v[74:75], v[58:59] op_sel_hi:[1,0,1]
	s_wait_loadcnt_dscnt 0x100
	v_pk_mul_f32 v[60:61], v[104:105], v[100:101] op_sel:[1,1] op_sel_hi:[0,1]
	v_pk_add_f32 v[52:53], v[52:53], v[64:65]
	v_pk_fma_f32 v[58:59], v[90:91], v[74:75], v[58:59] neg_lo:[0,0,1] neg_hi:[0,0,1]
	v_mov_b32_e32 v59, v57
	s_delay_alu instid0(VALU_DEP_4) | instskip(NEXT) | instid1(VALU_DEP_4)
	v_pk_fma_f32 v[56:57], v[104:105], v[100:101], v[60:61] neg_lo:[0,0,1] neg_hi:[0,0,1]
	v_pk_add_f32 v[52:53], v[52:53], v[54:55]
	v_pk_fma_f32 v[54:55], v[104:105], v[100:101], v[60:61] op_sel_hi:[1,0,1]
	s_delay_alu instid0(VALU_DEP_2) | instskip(NEXT) | instid1(VALU_DEP_2)
	v_pk_add_f32 v[52:53], v[52:53], v[58:59]
	v_mov_b32_e32 v57, v55
	s_delay_alu instid0(VALU_DEP_1) | instskip(SKIP_1) | instid1(VALU_DEP_1)
	v_pk_add_f32 v[52:53], v[52:53], v[56:57]
	s_wait_loadcnt 0x0
	v_pk_add_f32 v[52:53], v[102:103], v[52:53] neg_lo:[0,1] neg_hi:[0,1]
	scratch_store_b64 off, v[52:53], off offset:88
	s_wait_xcnt 0x0
	v_cmpx_lt_u32_e32 10, v0
	s_cbranch_execz .LBB88_143
; %bb.142:
	scratch_load_b64 v[52:53], off, off offset:80
	v_mov_b64_e32 v[54:55], 0
	scratch_store_b64 off, v[54:55], off offset:80
	s_wait_loadcnt 0x0
	ds_store_b64 v1, v[52:53]
.LBB88_143:
	s_wait_xcnt 0x0
	s_or_b32 exec_lo, exec_lo, s0
	s_wait_storecnt_dscnt 0x0
	s_barrier_signal -1
	s_barrier_wait -1
	s_clause 0x7
	scratch_load_b128 v[52:55], off, off offset:88
	scratch_load_b128 v[56:59], off, off offset:104
	;; [unrolled: 1-line block ×7, first 2 shown]
	scratch_load_b64 v[108:109], off, off offset:80
	ds_load_2addr_b64 v[80:83], v7 offset0:43 offset1:44
	ds_load_2addr_b64 v[84:87], v7 offset0:45 offset1:46
	ds_load_2addr_b64 v[88:91], v7 offset0:47 offset1:48
	ds_load_2addr_b64 v[92:95], v7 offset0:49 offset1:50
	ds_load_2addr_b64 v[96:99], v7 offset0:37 offset1:38
	ds_load_2addr_b64 v[100:103], v7 offset0:39 offset1:40
	ds_load_2addr_b64 v[104:107], v7 offset0:41 offset1:42
	s_mov_b32 s0, exec_lo
	s_wait_dscnt 0x6
	v_dual_mov_b32 v110, v83 :: v_dual_mov_b32 v111, v82
	s_wait_dscnt 0x5
	v_dual_mov_b32 v112, v87 :: v_dual_mov_b32 v113, v86
	;; [unrolled: 2-line block ×4, first 2 shown]
	s_wait_loadcnt_dscnt 0x702
	v_dual_mul_f32 v7, v96, v53 :: v_dual_mul_f32 v9, v98, v55
	v_dual_mul_f32 v15, v97, v53 :: v_dual_mul_f32 v17, v99, v55
	s_wait_loadcnt_dscnt 0x601
	v_dual_mul_f32 v11, v100, v57 :: v_dual_mul_f32 v13, v102, v59
	s_delay_alu instid0(VALU_DEP_3) | instskip(NEXT) | instid1(VALU_DEP_3)
	v_dual_fmac_f32 v7, v97, v52 :: v_dual_fmac_f32 v9, v99, v54
	v_dual_fma_f32 v15, v96, v52, -v15 :: v_dual_fma_f32 v17, v98, v54, -v17
	v_dual_mul_f32 v19, v101, v57 :: v_dual_mul_f32 v21, v103, v59
	s_wait_loadcnt 0x4
	s_delay_alu instid0(VALU_DEP_3) | instskip(NEXT) | instid1(VALU_DEP_3)
	v_dual_add_f32 v7, 0, v7 :: v_dual_mov_b32 v54, v67
	v_dual_add_f32 v15, 0, v15 :: v_dual_fmac_f32 v11, v101, v56
	s_delay_alu instid0(VALU_DEP_2) | instskip(SKIP_2) | instid1(VALU_DEP_3)
	v_dual_fma_f32 v19, v100, v56, -v19 :: v_dual_add_f32 v7, v7, v9
	s_wait_dscnt 0x0
	v_dual_mul_f32 v119, v104, v61 :: v_dual_mul_f32 v121, v106, v63
	v_dual_add_f32 v9, v15, v17 :: v_dual_fma_f32 v15, v102, v58, -v21
	v_dual_mul_f32 v23, v105, v61 :: v_dual_mul_f32 v25, v107, v63
	s_delay_alu instid0(VALU_DEP_2) | instskip(NEXT) | instid1(VALU_DEP_4)
	v_dual_fmac_f32 v13, v103, v58 :: v_dual_add_f32 v9, v9, v19
	v_dual_add_f32 v7, v7, v11 :: v_dual_fmac_f32 v119, v105, v60
	v_pk_mul_f32 v[52:53], v[80:81], v[64:65] op_sel:[1,1] op_sel_hi:[0,1]
	s_wait_loadcnt 0x3
	v_pk_mul_f32 v[56:57], v[84:85], v[68:69] op_sel:[1,1] op_sel_hi:[0,1]
	v_dual_mov_b32 v58, v71 :: v_dual_fma_f32 v118, v104, v60, -v23
	v_dual_add_f32 v61, v7, v13 :: v_dual_add_f32 v60, v9, v15
	v_fmac_f32_e32 v121, v107, v62
	v_fma_f32 v120, v106, v62, -v25
	v_pk_fma_f32 v[62:63], v[80:81], v[64:65], v[52:53] op_sel_hi:[1,0,1]
	v_pk_mul_f32 v[54:55], v[110:111], v[54:55] op_sel_hi:[1,0]
	v_pk_add_f32 v[60:61], v[60:61], v[118:119]
	v_pk_fma_f32 v[52:53], v[80:81], v[64:65], v[52:53] neg_lo:[0,0,1] neg_hi:[0,0,1]
	v_pk_fma_f32 v[64:65], v[84:85], v[68:69], v[56:57] op_sel_hi:[1,0,1]
	v_pk_fma_f32 v[56:57], v[84:85], v[68:69], v[56:57] neg_lo:[0,0,1] neg_hi:[0,0,1]
	v_mov_b32_e32 v53, v63
	v_pk_fma_f32 v[62:63], v[82:83], v[66:67], v[54:55] op_sel_hi:[1,0,1]
	v_pk_fma_f32 v[54:55], v[82:83], v[66:67], v[54:55] neg_lo:[0,0,1] neg_hi:[0,0,1]
	v_mov_b32_e32 v57, v65
	v_pk_add_f32 v[60:61], v[60:61], v[120:121]
	v_pk_mul_f32 v[58:59], v[112:113], v[58:59] op_sel_hi:[1,0]
	v_mov_b32_e32 v55, v63
	s_wait_loadcnt 0x2
	v_pk_mul_f32 v[96:97], v[88:89], v[72:73] op_sel:[1,1] op_sel_hi:[0,1]
	v_pk_add_f32 v[52:53], v[60:61], v[52:53]
	v_mov_b32_e32 v60, v75
	v_pk_fma_f32 v[62:63], v[86:87], v[70:71], v[58:59] op_sel_hi:[1,0,1]
	v_pk_fma_f32 v[58:59], v[86:87], v[70:71], v[58:59] neg_lo:[0,0,1] neg_hi:[0,0,1]
	s_delay_alu instid0(VALU_DEP_4)
	v_pk_add_f32 v[52:53], v[52:53], v[54:55]
	v_pk_fma_f32 v[54:55], v[88:89], v[72:73], v[96:97] op_sel_hi:[1,0,1]
	v_pk_mul_f32 v[60:61], v[114:115], v[60:61] op_sel_hi:[1,0]
	v_mov_b32_e32 v59, v63
	v_pk_fma_f32 v[62:63], v[88:89], v[72:73], v[96:97] neg_lo:[0,0,1] neg_hi:[0,0,1]
	v_pk_add_f32 v[52:53], v[52:53], v[56:57]
	v_mov_b32_e32 v63, v55
	v_pk_fma_f32 v[54:55], v[90:91], v[74:75], v[60:61] op_sel_hi:[1,0,1]
	s_wait_loadcnt 0x1
	v_pk_mul_f32 v[56:57], v[92:93], v[76:77] op_sel:[1,1] op_sel_hi:[0,1]
	v_mov_b32_e32 v54, v79
	v_pk_add_f32 v[52:53], v[52:53], v[58:59]
	v_pk_fma_f32 v[60:61], v[90:91], v[74:75], v[60:61] neg_lo:[0,0,1] neg_hi:[0,0,1]
	v_mov_b32_e32 v61, v55
	v_pk_fma_f32 v[58:59], v[92:93], v[76:77], v[56:57] op_sel_hi:[1,0,1]
	v_pk_mul_f32 v[54:55], v[116:117], v[54:55] op_sel_hi:[1,0]
	v_pk_add_f32 v[52:53], v[52:53], v[62:63]
	v_pk_fma_f32 v[56:57], v[92:93], v[76:77], v[56:57] neg_lo:[0,0,1] neg_hi:[0,0,1]
	s_delay_alu instid0(VALU_DEP_4) | instskip(NEXT) | instid1(VALU_DEP_4)
	v_mov_b32_e32 v57, v59
	v_pk_fma_f32 v[58:59], v[94:95], v[78:79], v[54:55] op_sel_hi:[1,0,1]
	s_delay_alu instid0(VALU_DEP_4) | instskip(SKIP_1) | instid1(VALU_DEP_3)
	v_pk_add_f32 v[52:53], v[52:53], v[60:61]
	v_pk_fma_f32 v[54:55], v[94:95], v[78:79], v[54:55] neg_lo:[0,0,1] neg_hi:[0,0,1]
	v_mov_b32_e32 v55, v59
	s_delay_alu instid0(VALU_DEP_3) | instskip(NEXT) | instid1(VALU_DEP_1)
	v_pk_add_f32 v[52:53], v[52:53], v[56:57]
	v_pk_add_f32 v[52:53], v[52:53], v[54:55]
	s_wait_loadcnt 0x0
	s_delay_alu instid0(VALU_DEP_1)
	v_pk_add_f32 v[52:53], v[108:109], v[52:53] neg_lo:[0,1] neg_hi:[0,1]
	scratch_store_b64 off, v[52:53], off offset:80
	s_wait_xcnt 0x0
	v_cmpx_lt_u32_e32 9, v0
	s_cbranch_execz .LBB88_145
; %bb.144:
	scratch_load_b64 v[52:53], off, off offset:72
	v_mov_b64_e32 v[54:55], 0
	scratch_store_b64 off, v[54:55], off offset:72
	s_wait_loadcnt 0x0
	ds_store_b64 v1, v[52:53]
.LBB88_145:
	s_wait_xcnt 0x0
	s_or_b32 exec_lo, exec_lo, s0
	s_wait_storecnt_dscnt 0x0
	s_barrier_signal -1
	s_barrier_wait -1
	s_clause 0x8
	scratch_load_b128 v[52:55], off, off offset:80
	scratch_load_b128 v[56:59], off, off offset:96
	;; [unrolled: 1-line block ×7, first 2 shown]
	scratch_load_b64 v[108:109], off, off offset:192
	scratch_load_b64 v[110:111], off, off offset:72
	v_mov_b32_e32 v7, 0
	ds_load_b128 v[80:83], v7 offset:336
	ds_load_b128 v[84:87], v7 offset:352
	;; [unrolled: 1-line block ×7, first 2 shown]
	ds_load_b64 v[112:113], v7 offset:400
	s_mov_b32 s0, exec_lo
	s_wait_dscnt 0x7
	v_dual_mov_b32 v114, v83 :: v_dual_mov_b32 v115, v82
	s_wait_dscnt 0x4
	v_dual_mov_b32 v116, v87 :: v_dual_mov_b32 v121, v94
	v_dual_mov_b32 v117, v86 :: v_dual_mov_b32 v118, v91
	;; [unrolled: 1-line block ×3, first 2 shown]
	s_wait_loadcnt_dscnt 0x803
	v_dual_mul_f32 v9, v96, v53 :: v_dual_mul_f32 v19, v97, v53
	v_dual_mul_f32 v21, v99, v55 :: v_dual_mul_f32 v11, v98, v55
	s_wait_loadcnt_dscnt 0x702
	v_mul_f32_e32 v13, v100, v57
	s_wait_loadcnt 0x5
	v_dual_mul_f32 v31, v81, v65 :: v_dual_fma_f32 v19, v96, v52, -v19
	v_dual_fmac_f32 v9, v97, v52 :: v_dual_mov_b32 v52, v67
	v_dual_mul_f32 v23, v101, v57 :: v_dual_mul_f32 v25, v103, v59
	v_dual_fmac_f32 v11, v99, v54 :: v_dual_fma_f32 v21, v98, v54, -v21
	s_delay_alu instid0(VALU_DEP_3) | instskip(SKIP_3) | instid1(VALU_DEP_3)
	v_dual_add_f32 v9, 0, v9 :: v_dual_add_f32 v19, 0, v19
	s_wait_dscnt 0x1
	v_dual_mul_f32 v15, v102, v59 :: v_dual_mul_f32 v17, v104, v61
	v_dual_fmac_f32 v13, v101, v56 :: v_dual_fma_f32 v23, v100, v56, -v23
	v_dual_add_f32 v9, v9, v11 :: v_dual_add_f32 v11, v19, v21
	v_dual_mul_f32 v27, v105, v61 :: v_dual_mul_f32 v29, v107, v63
	s_wait_loadcnt 0x4
	v_dual_mov_b32 v56, v71 :: v_dual_fma_f32 v19, v102, v58, -v25
	s_delay_alu instid0(VALU_DEP_3) | instskip(SKIP_2) | instid1(VALU_DEP_3)
	v_dual_fmac_f32 v15, v103, v58 :: v_dual_add_f32 v9, v9, v13
	v_dual_add_f32 v11, v11, v23 :: v_dual_fmac_f32 v17, v105, v60
	v_dual_mul_f32 v123, v106, v63 :: v_dual_mul_f32 v125, v80, v65
	v_dual_fma_f32 v13, v104, v60, -v27 :: v_dual_add_f32 v9, v9, v15
	s_delay_alu instid0(VALU_DEP_3) | instskip(NEXT) | instid1(VALU_DEP_3)
	v_dual_add_f32 v11, v11, v19 :: v_dual_fma_f32 v122, v106, v62, -v29
	v_fmac_f32_e32 v123, v107, v62
	v_pk_mul_f32 v[52:53], v[114:115], v[52:53] op_sel_hi:[1,0]
	s_delay_alu instid0(VALU_DEP_4) | instskip(NEXT) | instid1(VALU_DEP_4)
	v_add_f32_e32 v61, v9, v17
	v_dual_add_f32 v60, v11, v13 :: v_dual_fmac_f32 v125, v81, v64
	v_pk_mul_f32 v[54:55], v[84:85], v[68:69] op_sel:[1,1] op_sel_hi:[0,1]
	s_wait_loadcnt 0x3
	v_dual_mov_b32 v62, v75 :: v_dual_fma_f32 v124, v80, v64, -v31
	v_pk_fma_f32 v[64:65], v[82:83], v[66:67], v[52:53] op_sel_hi:[1,0,1]
	v_pk_add_f32 v[60:61], v[60:61], v[122:123]
	v_pk_fma_f32 v[52:53], v[82:83], v[66:67], v[52:53] neg_lo:[0,0,1] neg_hi:[0,0,1]
	v_pk_fma_f32 v[80:81], v[84:85], v[68:69], v[54:55] op_sel_hi:[1,0,1]
	v_pk_mul_f32 v[56:57], v[116:117], v[56:57] op_sel_hi:[1,0]
	v_mov_b32_e32 v53, v65
	v_pk_add_f32 v[60:61], v[60:61], v[124:125]
	v_pk_fma_f32 v[54:55], v[84:85], v[68:69], v[54:55] neg_lo:[0,0,1] neg_hi:[0,0,1]
	v_pk_mul_f32 v[58:59], v[88:89], v[72:73] op_sel:[1,1] op_sel_hi:[0,1]
	v_mov_b32_e32 v55, v81
	v_pk_fma_f32 v[66:67], v[86:87], v[70:71], v[56:57] op_sel_hi:[1,0,1]
	v_pk_add_f32 v[52:53], v[60:61], v[52:53]
	v_pk_fma_f32 v[56:57], v[86:87], v[70:71], v[56:57] neg_lo:[0,0,1] neg_hi:[0,0,1]
	v_pk_fma_f32 v[60:61], v[88:89], v[72:73], v[58:59] op_sel_hi:[1,0,1]
	v_pk_mul_f32 v[62:63], v[118:119], v[62:63] op_sel_hi:[1,0]
	v_mov_b32_e32 v57, v67
	v_pk_add_f32 v[52:53], v[52:53], v[54:55]
	v_pk_fma_f32 v[58:59], v[88:89], v[72:73], v[58:59] neg_lo:[0,0,1] neg_hi:[0,0,1]
	s_wait_loadcnt 0x2
	v_pk_mul_f32 v[64:65], v[92:93], v[76:77] op_sel:[1,1] op_sel_hi:[0,1]
	v_dual_mov_b32 v54, v79 :: v_dual_mov_b32 v59, v61
	v_pk_fma_f32 v[60:61], v[90:91], v[74:75], v[62:63] op_sel_hi:[1,0,1]
	v_pk_add_f32 v[52:53], v[52:53], v[56:57]
	v_pk_fma_f32 v[62:63], v[90:91], v[74:75], v[62:63] neg_lo:[0,0,1] neg_hi:[0,0,1]
	v_pk_fma_f32 v[56:57], v[92:93], v[76:77], v[64:65] op_sel_hi:[1,0,1]
	v_pk_mul_f32 v[54:55], v[120:121], v[54:55] op_sel_hi:[1,0]
	v_mov_b32_e32 v63, v61
	v_pk_add_f32 v[52:53], v[52:53], v[58:59]
	v_pk_fma_f32 v[58:59], v[92:93], v[76:77], v[64:65] neg_lo:[0,0,1] neg_hi:[0,0,1]
	v_mov_b32_e32 v59, v57
	v_pk_fma_f32 v[56:57], v[94:95], v[78:79], v[54:55] op_sel_hi:[1,0,1]
	s_wait_loadcnt_dscnt 0x100
	v_pk_mul_f32 v[60:61], v[112:113], v[108:109] op_sel:[1,1] op_sel_hi:[0,1]
	v_pk_add_f32 v[52:53], v[52:53], v[62:63]
	v_pk_fma_f32 v[54:55], v[94:95], v[78:79], v[54:55] neg_lo:[0,0,1] neg_hi:[0,0,1]
	v_mov_b32_e32 v55, v57
	s_delay_alu instid0(VALU_DEP_4) | instskip(NEXT) | instid1(VALU_DEP_4)
	v_pk_fma_f32 v[56:57], v[112:113], v[108:109], v[60:61] op_sel_hi:[1,0,1]
	v_pk_add_f32 v[52:53], v[52:53], v[58:59]
	v_pk_fma_f32 v[58:59], v[112:113], v[108:109], v[60:61] neg_lo:[0,0,1] neg_hi:[0,0,1]
	s_delay_alu instid0(VALU_DEP_3) | instskip(NEXT) | instid1(VALU_DEP_3)
	v_mov_b32_e32 v59, v57
	v_pk_add_f32 v[52:53], v[52:53], v[54:55]
	s_delay_alu instid0(VALU_DEP_1) | instskip(SKIP_1) | instid1(VALU_DEP_1)
	v_pk_add_f32 v[52:53], v[52:53], v[58:59]
	s_wait_loadcnt 0x0
	v_pk_add_f32 v[52:53], v[110:111], v[52:53] neg_lo:[0,1] neg_hi:[0,1]
	scratch_store_b64 off, v[52:53], off offset:72
	s_wait_xcnt 0x0
	v_cmpx_lt_u32_e32 8, v0
	s_cbranch_execz .LBB88_147
; %bb.146:
	scratch_load_b64 v[52:53], off, off offset:64
	v_mov_b64_e32 v[54:55], 0
	scratch_store_b64 off, v[54:55], off offset:64
	s_wait_loadcnt 0x0
	ds_store_b64 v1, v[52:53]
.LBB88_147:
	s_wait_xcnt 0x0
	s_or_b32 exec_lo, exec_lo, s0
	s_wait_storecnt_dscnt 0x0
	s_barrier_signal -1
	s_barrier_wait -1
	s_clause 0x8
	scratch_load_b128 v[52:55], off, off offset:72
	scratch_load_b128 v[56:59], off, off offset:88
	scratch_load_b128 v[60:63], off, off offset:104
	scratch_load_b128 v[64:67], off, off offset:120
	scratch_load_b128 v[68:71], off, off offset:136
	scratch_load_b128 v[72:75], off, off offset:152
	scratch_load_b128 v[76:79], off, off offset:168
	scratch_load_b128 v[80:83], off, off offset:184
	scratch_load_b64 v[116:117], off, off offset:64
	ds_load_2addr_b64 v[84:87], v7 offset0:43 offset1:44
	ds_load_2addr_b64 v[88:91], v7 offset0:45 offset1:46
	;; [unrolled: 1-line block ×8, first 2 shown]
	s_mov_b32 s0, exec_lo
	s_wait_dscnt 0x7
	v_dual_mov_b32 v118, v87 :: v_dual_mov_b32 v119, v86
	s_wait_dscnt 0x6
	v_dual_mov_b32 v120, v91 :: v_dual_mov_b32 v121, v90
	;; [unrolled: 2-line block ×4, first 2 shown]
	s_wait_loadcnt_dscnt 0x803
	v_dual_mul_f32 v7, v100, v53 :: v_dual_mul_f32 v9, v102, v55
	v_dual_mul_f32 v19, v101, v53 :: v_dual_mul_f32 v21, v103, v55
	s_wait_loadcnt_dscnt 0x702
	v_dual_mul_f32 v11, v104, v57 :: v_dual_mul_f32 v13, v106, v59
	s_delay_alu instid0(VALU_DEP_3) | instskip(SKIP_3) | instid1(VALU_DEP_3)
	v_dual_fmac_f32 v7, v101, v52 :: v_dual_fmac_f32 v9, v103, v54
	s_wait_loadcnt_dscnt 0x500
	v_dual_fma_f32 v19, v100, v52, -v19 :: v_dual_mul_f32 v31, v113, v65
	v_dual_mul_f32 v23, v105, v57 :: v_dual_mul_f32 v25, v107, v59
	v_dual_fma_f32 v21, v102, v54, -v21 :: v_dual_add_f32 v7, 0, v7
	s_delay_alu instid0(VALU_DEP_3) | instskip(SKIP_1) | instid1(VALU_DEP_4)
	v_dual_add_f32 v19, 0, v19 :: v_dual_fmac_f32 v11, v105, v56
	v_dual_mul_f32 v15, v108, v61 :: v_dual_mul_f32 v17, v110, v63
	v_dual_mul_f32 v33, v115, v67 :: v_dual_fma_f32 v23, v104, v56, -v23
	s_delay_alu instid0(VALU_DEP_4) | instskip(NEXT) | instid1(VALU_DEP_3)
	v_add_f32_e32 v7, v7, v9
	v_dual_add_f32 v9, v19, v21 :: v_dual_fmac_f32 v15, v109, v60
	v_dual_mul_f32 v27, v109, v61 :: v_dual_mul_f32 v29, v111, v63
	s_delay_alu instid0(VALU_DEP_2) | instskip(NEXT) | instid1(VALU_DEP_4)
	v_dual_fmac_f32 v13, v107, v58 :: v_dual_add_f32 v9, v9, v23
	v_dual_fma_f32 v19, v106, v58, -v25 :: v_dual_add_f32 v7, v7, v11
	s_wait_loadcnt 0x4
	s_delay_alu instid0(VALU_DEP_3) | instskip(SKIP_1) | instid1(VALU_DEP_3)
	v_dual_fma_f32 v11, v108, v60, -v27 :: v_dual_mov_b32 v54, v71
	v_dual_mul_f32 v127, v112, v65 :: v_dual_mul_f32 v129, v114, v67
	v_dual_add_f32 v7, v7, v13 :: v_dual_fma_f32 v13, v110, v62, -v29
	v_dual_add_f32 v9, v9, v19 :: v_dual_fmac_f32 v17, v111, v62
	v_pk_mul_f32 v[52:53], v[84:85], v[68:69] op_sel:[1,1] op_sel_hi:[0,1]
	s_delay_alu instid0(VALU_DEP_3) | instskip(SKIP_1) | instid1(VALU_DEP_3)
	v_dual_add_f32 v7, v7, v15 :: v_dual_fmac_f32 v127, v113, v64
	s_wait_loadcnt 0x3
	v_dual_add_f32 v9, v9, v11 :: v_dual_mov_b32 v58, v75
	s_delay_alu instid0(VALU_DEP_2) | instskip(NEXT) | instid1(VALU_DEP_2)
	v_dual_fma_f32 v126, v112, v64, -v31 :: v_dual_add_f32 v61, v7, v17
	v_dual_fma_f32 v128, v114, v66, -v33 :: v_dual_add_f32 v60, v9, v13
	v_fmac_f32_e32 v129, v115, v66
	v_pk_fma_f32 v[62:63], v[84:85], v[68:69], v[52:53] op_sel_hi:[1,0,1]
	v_pk_mul_f32 v[54:55], v[118:119], v[54:55] op_sel_hi:[1,0]
	v_pk_fma_f32 v[52:53], v[84:85], v[68:69], v[52:53] neg_lo:[0,0,1] neg_hi:[0,0,1]
	v_pk_add_f32 v[60:61], v[60:61], v[126:127]
	v_pk_mul_f32 v[56:57], v[88:89], v[72:73] op_sel:[1,1] op_sel_hi:[0,1]
	v_mov_b32_e32 v53, v63
	v_pk_fma_f32 v[62:63], v[86:87], v[70:71], v[54:55] op_sel_hi:[1,0,1]
	v_pk_fma_f32 v[54:55], v[86:87], v[70:71], v[54:55] neg_lo:[0,0,1] neg_hi:[0,0,1]
	v_pk_add_f32 v[60:61], v[60:61], v[128:129]
	v_pk_fma_f32 v[66:67], v[88:89], v[72:73], v[56:57] op_sel_hi:[1,0,1]
	v_pk_mul_f32 v[58:59], v[120:121], v[58:59] op_sel_hi:[1,0]
	v_mov_b32_e32 v55, v63
	s_wait_loadcnt 0x2
	v_pk_mul_f32 v[64:65], v[92:93], v[76:77] op_sel:[1,1] op_sel_hi:[0,1]
	v_pk_add_f32 v[52:53], v[60:61], v[52:53]
	v_mov_b32_e32 v60, v79
	v_pk_fma_f32 v[56:57], v[88:89], v[72:73], v[56:57] neg_lo:[0,0,1] neg_hi:[0,0,1]
	v_mov_b32_e32 v57, v67
	v_pk_fma_f32 v[62:63], v[90:91], v[74:75], v[58:59] op_sel_hi:[1,0,1]
	v_pk_add_f32 v[52:53], v[52:53], v[54:55]
	v_pk_fma_f32 v[54:55], v[92:93], v[76:77], v[64:65] op_sel_hi:[1,0,1]
	v_pk_mul_f32 v[60:61], v[122:123], v[60:61] op_sel_hi:[1,0]
	v_pk_fma_f32 v[58:59], v[90:91], v[74:75], v[58:59] neg_lo:[0,0,1] neg_hi:[0,0,1]
	v_mov_b32_e32 v59, v63
	v_pk_add_f32 v[52:53], v[52:53], v[56:57]
	v_pk_fma_f32 v[62:63], v[92:93], v[76:77], v[64:65] neg_lo:[0,0,1] neg_hi:[0,0,1]
	v_mov_b32_e32 v63, v55
	v_pk_fma_f32 v[54:55], v[94:95], v[78:79], v[60:61] op_sel_hi:[1,0,1]
	s_wait_loadcnt 0x1
	v_pk_mul_f32 v[56:57], v[96:97], v[80:81] op_sel:[1,1] op_sel_hi:[0,1]
	v_pk_add_f32 v[52:53], v[52:53], v[58:59]
	v_mov_b32_e32 v54, v83
	v_pk_fma_f32 v[60:61], v[94:95], v[78:79], v[60:61] neg_lo:[0,0,1] neg_hi:[0,0,1]
	v_mov_b32_e32 v61, v55
	v_pk_fma_f32 v[58:59], v[96:97], v[80:81], v[56:57] op_sel_hi:[1,0,1]
	v_pk_add_f32 v[52:53], v[52:53], v[62:63]
	v_pk_mul_f32 v[54:55], v[124:125], v[54:55] op_sel_hi:[1,0]
	v_pk_fma_f32 v[56:57], v[96:97], v[80:81], v[56:57] neg_lo:[0,0,1] neg_hi:[0,0,1]
	s_delay_alu instid0(VALU_DEP_4) | instskip(NEXT) | instid1(VALU_DEP_4)
	v_mov_b32_e32 v57, v59
	v_pk_add_f32 v[52:53], v[52:53], v[60:61]
	s_delay_alu instid0(VALU_DEP_4) | instskip(SKIP_1) | instid1(VALU_DEP_2)
	v_pk_fma_f32 v[58:59], v[98:99], v[82:83], v[54:55] op_sel_hi:[1,0,1]
	v_pk_fma_f32 v[54:55], v[98:99], v[82:83], v[54:55] neg_lo:[0,0,1] neg_hi:[0,0,1]
	v_mov_b32_e32 v55, v59
	s_delay_alu instid0(VALU_DEP_4) | instskip(NEXT) | instid1(VALU_DEP_1)
	v_pk_add_f32 v[52:53], v[52:53], v[56:57]
	v_pk_add_f32 v[52:53], v[52:53], v[54:55]
	s_wait_loadcnt 0x0
	s_delay_alu instid0(VALU_DEP_1)
	v_pk_add_f32 v[52:53], v[116:117], v[52:53] neg_lo:[0,1] neg_hi:[0,1]
	scratch_store_b64 off, v[52:53], off offset:64
	s_wait_xcnt 0x0
	v_cmpx_lt_u32_e32 7, v0
	s_cbranch_execz .LBB88_149
; %bb.148:
	scratch_load_b64 v[52:53], off, off offset:56
	v_mov_b64_e32 v[54:55], 0
	scratch_store_b64 off, v[54:55], off offset:56
	s_wait_loadcnt 0x0
	ds_store_b64 v1, v[52:53]
.LBB88_149:
	s_wait_xcnt 0x0
	s_or_b32 exec_lo, exec_lo, s0
	s_wait_storecnt_dscnt 0x0
	s_barrier_signal -1
	s_barrier_wait -1
	s_clause 0x9
	scratch_load_b128 v[52:55], off, off offset:64
	scratch_load_b128 v[56:59], off, off offset:80
	;; [unrolled: 1-line block ×8, first 2 shown]
	scratch_load_b64 v[116:117], off, off offset:192
	scratch_load_b64 v[118:119], off, off offset:56
	v_mov_b32_e32 v7, 0
	ds_load_b128 v[84:87], v7 offset:336
	ds_load_b128 v[88:91], v7 offset:352
	;; [unrolled: 1-line block ×8, first 2 shown]
	ds_load_b64 v[120:121], v7 offset:400
	s_mov_b32 s0, exec_lo
	s_wait_dscnt 0x8
	v_dual_mov_b32 v122, v87 :: v_dual_mov_b32 v123, v86
	s_wait_dscnt 0x5
	v_dual_mov_b32 v124, v91 :: v_dual_mov_b32 v129, v98
	v_dual_mov_b32 v125, v90 :: v_dual_mov_b32 v126, v95
	;; [unrolled: 1-line block ×3, first 2 shown]
	s_wait_loadcnt_dscnt 0x904
	v_dual_mul_f32 v9, v100, v53 :: v_dual_mul_f32 v23, v101, v53
	v_dual_mul_f32 v25, v103, v55 :: v_dual_mul_f32 v11, v102, v55
	s_wait_loadcnt_dscnt 0x803
	v_mul_f32_e32 v13, v104, v57
	s_wait_loadcnt_dscnt 0x601
	v_dual_mul_f32 v35, v113, v65 :: v_dual_fma_f32 v23, v100, v52, -v23
	v_dual_fmac_f32 v9, v101, v52 :: v_dual_mul_f32 v37, v115, v67
	v_dual_mul_f32 v27, v105, v57 :: v_dual_mul_f32 v29, v107, v59
	v_dual_fmac_f32 v11, v103, v54 :: v_dual_fma_f32 v25, v102, v54, -v25
	s_delay_alu instid0(VALU_DEP_3)
	v_dual_add_f32 v9, 0, v9 :: v_dual_add_f32 v23, 0, v23
	v_dual_mul_f32 v15, v106, v59 :: v_dual_mul_f32 v17, v108, v61
	s_wait_loadcnt 0x5
	v_dual_mul_f32 v39, v85, v69 :: v_dual_fma_f32 v27, v104, v56, -v27
	v_fmac_f32_e32 v13, v105, v56
	v_dual_add_f32 v9, v9, v11 :: v_dual_mov_b32 v52, v71
	v_add_f32_e32 v11, v23, v25
	v_dual_mul_f32 v31, v109, v61 :: v_dual_mul_f32 v33, v111, v63
	v_dual_fmac_f32 v15, v107, v58 :: v_dual_fma_f32 v23, v106, v58, -v29
	s_delay_alu instid0(VALU_DEP_3) | instskip(SKIP_1) | instid1(VALU_DEP_4)
	v_dual_add_f32 v9, v9, v13 :: v_dual_add_f32 v11, v11, v27
	v_dual_mul_f32 v19, v110, v63 :: v_dual_mul_f32 v21, v112, v65
	v_dual_fmac_f32 v17, v109, v60 :: v_dual_fma_f32 v13, v108, v60, -v31
	s_wait_loadcnt 0x4
	s_delay_alu instid0(VALU_DEP_3) | instskip(SKIP_1) | instid1(VALU_DEP_2)
	v_dual_add_f32 v9, v9, v15 :: v_dual_mov_b32 v56, v75
	v_dual_add_f32 v11, v11, v23 :: v_dual_fma_f32 v15, v110, v62, -v33
	v_dual_fmac_f32 v19, v111, v62 :: v_dual_add_f32 v9, v9, v17
	v_dual_mul_f32 v131, v114, v67 :: v_dual_mul_f32 v133, v84, v69
	s_delay_alu instid0(VALU_DEP_3) | instskip(NEXT) | instid1(VALU_DEP_3)
	v_dual_add_f32 v11, v11, v13 :: v_dual_fmac_f32 v21, v113, v64
	v_dual_fma_f32 v13, v112, v64, -v35 :: v_dual_add_f32 v9, v9, v19
	s_delay_alu instid0(VALU_DEP_3) | instskip(NEXT) | instid1(VALU_DEP_3)
	v_fmac_f32_e32 v131, v115, v66
	v_dual_add_f32 v11, v11, v15 :: v_dual_fma_f32 v130, v114, v66, -v37
	v_pk_mul_f32 v[52:53], v[122:123], v[52:53] op_sel_hi:[1,0]
	s_delay_alu instid0(VALU_DEP_4) | instskip(SKIP_1) | instid1(VALU_DEP_4)
	v_add_f32_e32 v61, v9, v21
	v_pk_mul_f32 v[54:55], v[88:89], v[72:73] op_sel:[1,1] op_sel_hi:[0,1]
	v_dual_add_f32 v60, v11, v13 :: v_dual_fmac_f32 v133, v85, v68
	s_wait_loadcnt 0x3
	v_dual_mov_b32 v62, v79 :: v_dual_fma_f32 v132, v84, v68, -v39
	v_pk_fma_f32 v[64:65], v[86:87], v[70:71], v[52:53] op_sel_hi:[1,0,1]
	s_delay_alu instid0(VALU_DEP_3)
	v_pk_add_f32 v[60:61], v[60:61], v[130:131]
	v_pk_fma_f32 v[52:53], v[86:87], v[70:71], v[52:53] neg_lo:[0,0,1] neg_hi:[0,0,1]
	v_pk_fma_f32 v[66:67], v[88:89], v[72:73], v[54:55] op_sel_hi:[1,0,1]
	v_pk_mul_f32 v[56:57], v[124:125], v[56:57] op_sel_hi:[1,0]
	v_mov_b32_e32 v53, v65
	v_pk_add_f32 v[60:61], v[60:61], v[132:133]
	v_pk_fma_f32 v[54:55], v[88:89], v[72:73], v[54:55] neg_lo:[0,0,1] neg_hi:[0,0,1]
	v_pk_mul_f32 v[58:59], v[92:93], v[76:77] op_sel:[1,1] op_sel_hi:[0,1]
	v_mov_b32_e32 v55, v67
	v_pk_fma_f32 v[66:67], v[90:91], v[74:75], v[56:57] op_sel_hi:[1,0,1]
	v_pk_add_f32 v[52:53], v[60:61], v[52:53]
	v_pk_fma_f32 v[56:57], v[90:91], v[74:75], v[56:57] neg_lo:[0,0,1] neg_hi:[0,0,1]
	v_pk_fma_f32 v[60:61], v[92:93], v[76:77], v[58:59] op_sel_hi:[1,0,1]
	v_pk_mul_f32 v[62:63], v[126:127], v[62:63] op_sel_hi:[1,0]
	v_mov_b32_e32 v57, v67
	v_pk_add_f32 v[52:53], v[52:53], v[54:55]
	v_pk_fma_f32 v[58:59], v[92:93], v[76:77], v[58:59] neg_lo:[0,0,1] neg_hi:[0,0,1]
	s_wait_loadcnt 0x2
	v_pk_mul_f32 v[64:65], v[96:97], v[80:81] op_sel:[1,1] op_sel_hi:[0,1]
	v_dual_mov_b32 v54, v83 :: v_dual_mov_b32 v59, v61
	v_pk_fma_f32 v[60:61], v[94:95], v[78:79], v[62:63] op_sel_hi:[1,0,1]
	v_pk_add_f32 v[52:53], v[52:53], v[56:57]
	v_pk_fma_f32 v[62:63], v[94:95], v[78:79], v[62:63] neg_lo:[0,0,1] neg_hi:[0,0,1]
	v_pk_fma_f32 v[56:57], v[96:97], v[80:81], v[64:65] op_sel_hi:[1,0,1]
	v_pk_mul_f32 v[54:55], v[128:129], v[54:55] op_sel_hi:[1,0]
	v_mov_b32_e32 v63, v61
	v_pk_add_f32 v[52:53], v[52:53], v[58:59]
	v_pk_fma_f32 v[58:59], v[96:97], v[80:81], v[64:65] neg_lo:[0,0,1] neg_hi:[0,0,1]
	v_mov_b32_e32 v59, v57
	v_pk_fma_f32 v[56:57], v[98:99], v[82:83], v[54:55] op_sel_hi:[1,0,1]
	s_wait_loadcnt_dscnt 0x100
	v_pk_mul_f32 v[60:61], v[120:121], v[116:117] op_sel:[1,1] op_sel_hi:[0,1]
	v_pk_add_f32 v[52:53], v[52:53], v[62:63]
	v_pk_fma_f32 v[54:55], v[98:99], v[82:83], v[54:55] neg_lo:[0,0,1] neg_hi:[0,0,1]
	v_mov_b32_e32 v55, v57
	s_delay_alu instid0(VALU_DEP_4) | instskip(NEXT) | instid1(VALU_DEP_4)
	v_pk_fma_f32 v[56:57], v[120:121], v[116:117], v[60:61] op_sel_hi:[1,0,1]
	v_pk_add_f32 v[52:53], v[52:53], v[58:59]
	v_pk_fma_f32 v[58:59], v[120:121], v[116:117], v[60:61] neg_lo:[0,0,1] neg_hi:[0,0,1]
	s_delay_alu instid0(VALU_DEP_3) | instskip(NEXT) | instid1(VALU_DEP_3)
	v_mov_b32_e32 v59, v57
	v_pk_add_f32 v[52:53], v[52:53], v[54:55]
	s_delay_alu instid0(VALU_DEP_1) | instskip(SKIP_1) | instid1(VALU_DEP_1)
	v_pk_add_f32 v[52:53], v[52:53], v[58:59]
	s_wait_loadcnt 0x0
	v_pk_add_f32 v[52:53], v[118:119], v[52:53] neg_lo:[0,1] neg_hi:[0,1]
	scratch_store_b64 off, v[52:53], off offset:56
	s_wait_xcnt 0x0
	v_cmpx_lt_u32_e32 6, v0
	s_cbranch_execz .LBB88_151
; %bb.150:
	scratch_load_b64 v[52:53], off, off offset:48
	v_mov_b64_e32 v[54:55], 0
	scratch_store_b64 off, v[54:55], off offset:48
	s_wait_loadcnt 0x0
	ds_store_b64 v1, v[52:53]
.LBB88_151:
	s_wait_xcnt 0x0
	s_or_b32 exec_lo, exec_lo, s0
	s_wait_storecnt_dscnt 0x0
	s_barrier_signal -1
	s_barrier_wait -1
	s_clause 0x9
	scratch_load_b128 v[52:55], off, off offset:56
	scratch_load_b128 v[56:59], off, off offset:72
	;; [unrolled: 1-line block ×9, first 2 shown]
	scratch_load_b64 v[124:125], off, off offset:48
	ds_load_2addr_b64 v[88:91], v7 offset0:43 offset1:44
	ds_load_2addr_b64 v[92:95], v7 offset0:45 offset1:46
	;; [unrolled: 1-line block ×9, first 2 shown]
	s_mov_b32 s0, exec_lo
	s_wait_dscnt 0x8
	v_dual_mov_b32 v126, v91 :: v_dual_mov_b32 v127, v90
	s_wait_dscnt 0x7
	v_dual_mov_b32 v128, v95 :: v_dual_mov_b32 v129, v94
	;; [unrolled: 2-line block ×4, first 2 shown]
	s_wait_loadcnt_dscnt 0x904
	v_dual_mul_f32 v7, v104, v53 :: v_dual_mul_f32 v9, v106, v55
	v_dual_mul_f32 v23, v105, v53 :: v_dual_mul_f32 v25, v107, v55
	s_wait_loadcnt_dscnt 0x803
	v_dual_mul_f32 v11, v108, v57 :: v_dual_mul_f32 v13, v110, v59
	s_delay_alu instid0(VALU_DEP_3) | instskip(SKIP_3) | instid1(VALU_DEP_3)
	v_dual_fmac_f32 v7, v105, v52 :: v_dual_fmac_f32 v9, v107, v54
	s_wait_loadcnt_dscnt 0x601
	v_dual_fma_f32 v23, v104, v52, -v23 :: v_dual_mul_f32 v35, v117, v65
	v_dual_mul_f32 v27, v109, v57 :: v_dual_mul_f32 v29, v111, v59
	v_dual_fma_f32 v25, v106, v54, -v25 :: v_dual_add_f32 v7, 0, v7
	s_delay_alu instid0(VALU_DEP_3) | instskip(SKIP_1) | instid1(VALU_DEP_4)
	v_dual_add_f32 v23, 0, v23 :: v_dual_fmac_f32 v11, v109, v56
	v_dual_mul_f32 v15, v112, v61 :: v_dual_mul_f32 v17, v114, v63
	v_dual_mul_f32 v37, v119, v67 :: v_dual_fma_f32 v27, v108, v56, -v27
	s_delay_alu instid0(VALU_DEP_4) | instskip(NEXT) | instid1(VALU_DEP_3)
	v_add_f32_e32 v7, v7, v9
	v_dual_add_f32 v9, v23, v25 :: v_dual_fmac_f32 v15, v113, v60
	v_dual_mul_f32 v31, v113, v61 :: v_dual_mul_f32 v33, v115, v63
	s_wait_loadcnt_dscnt 0x500
	v_dual_mul_f32 v23, v121, v69 :: v_dual_fmac_f32 v13, v111, v58
	v_dual_fma_f32 v25, v110, v58, -v29 :: v_dual_add_f32 v7, v7, v11
	s_delay_alu instid0(VALU_DEP_3) | instskip(SKIP_1) | instid1(VALU_DEP_3)
	v_dual_add_f32 v9, v9, v27 :: v_dual_fma_f32 v27, v112, v60, -v31
	v_dual_mul_f32 v19, v116, v65 :: v_dual_mul_f32 v21, v118, v67
	v_add_f32_e32 v7, v7, v13
	s_delay_alu instid0(VALU_DEP_3) | instskip(SKIP_1) | instid1(VALU_DEP_3)
	v_dual_mul_f32 v11, v123, v71 :: v_dual_add_f32 v9, v9, v25
	v_fmac_f32_e32 v17, v115, v62
	v_dual_fma_f32 v13, v114, v62, -v33 :: v_dual_add_f32 v7, v7, v15
	s_wait_loadcnt 0x4
	v_dual_mov_b32 v54, v75 :: v_dual_fmac_f32 v19, v117, v64
	v_dual_add_f32 v9, v9, v27 :: v_dual_fma_f32 v15, v116, v64, -v35
	s_delay_alu instid0(VALU_DEP_3) | instskip(SKIP_1) | instid1(VALU_DEP_3)
	v_add_f32_e32 v7, v7, v17
	v_dual_mul_f32 v135, v120, v69 :: v_dual_mul_f32 v137, v122, v71
	v_dual_add_f32 v9, v9, v13 :: v_dual_fmac_f32 v21, v119, v66
	s_delay_alu instid0(VALU_DEP_3) | instskip(SKIP_2) | instid1(VALU_DEP_3)
	v_dual_fma_f32 v13, v118, v66, -v37 :: v_dual_add_f32 v7, v7, v19
	v_pk_mul_f32 v[52:53], v[88:89], v[72:73] op_sel:[1,1] op_sel_hi:[0,1]
	s_wait_loadcnt 0x3
	v_dual_add_f32 v9, v9, v15 :: v_dual_mov_b32 v58, v79
	s_delay_alu instid0(VALU_DEP_3) | instskip(NEXT) | instid1(VALU_DEP_2)
	v_dual_fmac_f32 v135, v121, v68 :: v_dual_add_f32 v61, v7, v21
	v_dual_fma_f32 v134, v120, v68, -v23 :: v_dual_add_f32 v60, v9, v13
	v_dual_fmac_f32 v137, v123, v70 :: v_dual_fma_f32 v136, v122, v70, -v11
	v_pk_fma_f32 v[62:63], v[88:89], v[72:73], v[52:53] op_sel_hi:[1,0,1]
	v_pk_mul_f32 v[54:55], v[126:127], v[54:55] op_sel_hi:[1,0]
	s_delay_alu instid0(VALU_DEP_4)
	v_pk_add_f32 v[60:61], v[60:61], v[134:135]
	v_pk_fma_f32 v[52:53], v[88:89], v[72:73], v[52:53] neg_lo:[0,0,1] neg_hi:[0,0,1]
	v_pk_mul_f32 v[56:57], v[92:93], v[76:77] op_sel:[1,1] op_sel_hi:[0,1]
	v_mov_b32_e32 v53, v63
	v_pk_fma_f32 v[62:63], v[90:91], v[74:75], v[54:55] op_sel_hi:[1,0,1]
	v_pk_add_f32 v[60:61], v[60:61], v[136:137]
	v_pk_fma_f32 v[54:55], v[90:91], v[74:75], v[54:55] neg_lo:[0,0,1] neg_hi:[0,0,1]
	v_pk_fma_f32 v[66:67], v[92:93], v[76:77], v[56:57] op_sel_hi:[1,0,1]
	v_pk_mul_f32 v[58:59], v[128:129], v[58:59] op_sel_hi:[1,0]
	v_mov_b32_e32 v55, v63
	v_pk_add_f32 v[52:53], v[60:61], v[52:53]
	s_wait_loadcnt 0x2
	v_pk_mul_f32 v[64:65], v[96:97], v[80:81] op_sel:[1,1] op_sel_hi:[0,1]
	v_mov_b32_e32 v60, v83
	v_pk_fma_f32 v[56:57], v[92:93], v[76:77], v[56:57] neg_lo:[0,0,1] neg_hi:[0,0,1]
	v_mov_b32_e32 v57, v67
	v_pk_fma_f32 v[62:63], v[94:95], v[78:79], v[58:59] op_sel_hi:[1,0,1]
	v_pk_add_f32 v[52:53], v[52:53], v[54:55]
	v_pk_fma_f32 v[54:55], v[96:97], v[80:81], v[64:65] op_sel_hi:[1,0,1]
	v_pk_mul_f32 v[60:61], v[130:131], v[60:61] op_sel_hi:[1,0]
	v_pk_fma_f32 v[58:59], v[94:95], v[78:79], v[58:59] neg_lo:[0,0,1] neg_hi:[0,0,1]
	v_mov_b32_e32 v59, v63
	v_pk_add_f32 v[52:53], v[52:53], v[56:57]
	v_pk_fma_f32 v[62:63], v[96:97], v[80:81], v[64:65] neg_lo:[0,0,1] neg_hi:[0,0,1]
	v_mov_b32_e32 v63, v55
	v_pk_fma_f32 v[54:55], v[98:99], v[82:83], v[60:61] op_sel_hi:[1,0,1]
	s_wait_loadcnt 0x1
	v_pk_mul_f32 v[56:57], v[100:101], v[84:85] op_sel:[1,1] op_sel_hi:[0,1]
	v_pk_add_f32 v[52:53], v[52:53], v[58:59]
	v_mov_b32_e32 v54, v87
	v_pk_fma_f32 v[60:61], v[98:99], v[82:83], v[60:61] neg_lo:[0,0,1] neg_hi:[0,0,1]
	v_mov_b32_e32 v61, v55
	v_pk_fma_f32 v[58:59], v[100:101], v[84:85], v[56:57] op_sel_hi:[1,0,1]
	v_pk_add_f32 v[52:53], v[52:53], v[62:63]
	v_pk_mul_f32 v[54:55], v[132:133], v[54:55] op_sel_hi:[1,0]
	v_pk_fma_f32 v[56:57], v[100:101], v[84:85], v[56:57] neg_lo:[0,0,1] neg_hi:[0,0,1]
	s_delay_alu instid0(VALU_DEP_4) | instskip(NEXT) | instid1(VALU_DEP_4)
	v_mov_b32_e32 v57, v59
	v_pk_add_f32 v[52:53], v[52:53], v[60:61]
	s_delay_alu instid0(VALU_DEP_4) | instskip(SKIP_1) | instid1(VALU_DEP_2)
	v_pk_fma_f32 v[58:59], v[102:103], v[86:87], v[54:55] op_sel_hi:[1,0,1]
	v_pk_fma_f32 v[54:55], v[102:103], v[86:87], v[54:55] neg_lo:[0,0,1] neg_hi:[0,0,1]
	v_mov_b32_e32 v55, v59
	s_delay_alu instid0(VALU_DEP_4) | instskip(NEXT) | instid1(VALU_DEP_1)
	v_pk_add_f32 v[52:53], v[52:53], v[56:57]
	v_pk_add_f32 v[52:53], v[52:53], v[54:55]
	s_wait_loadcnt 0x0
	s_delay_alu instid0(VALU_DEP_1)
	v_pk_add_f32 v[52:53], v[124:125], v[52:53] neg_lo:[0,1] neg_hi:[0,1]
	scratch_store_b64 off, v[52:53], off offset:48
	s_wait_xcnt 0x0
	v_cmpx_lt_u32_e32 5, v0
	s_cbranch_execz .LBB88_153
; %bb.152:
	scratch_load_b64 v[52:53], off, off offset:40
	v_mov_b64_e32 v[54:55], 0
	scratch_store_b64 off, v[54:55], off offset:40
	s_wait_loadcnt 0x0
	ds_store_b64 v1, v[52:53]
.LBB88_153:
	s_wait_xcnt 0x0
	s_or_b32 exec_lo, exec_lo, s0
	s_wait_storecnt_dscnt 0x0
	s_barrier_signal -1
	s_barrier_wait -1
	s_clause 0xa
	scratch_load_b128 v[52:55], off, off offset:48
	scratch_load_b128 v[56:59], off, off offset:64
	;; [unrolled: 1-line block ×9, first 2 shown]
	scratch_load_b64 v[124:125], off, off offset:192
	scratch_load_b64 v[126:127], off, off offset:40
	v_mov_b32_e32 v7, 0
	ds_load_b128 v[88:91], v7 offset:336
	ds_load_b128 v[92:95], v7 offset:352
	;; [unrolled: 1-line block ×9, first 2 shown]
	ds_load_b64 v[128:129], v7 offset:400
	s_mov_b32 s0, exec_lo
	s_wait_dscnt 0x9
	v_dual_mov_b32 v130, v91 :: v_dual_mov_b32 v131, v90
	s_wait_dscnt 0x6
	v_dual_mov_b32 v132, v95 :: v_dual_mov_b32 v137, v102
	v_dual_mov_b32 v133, v94 :: v_dual_mov_b32 v134, v99
	;; [unrolled: 1-line block ×3, first 2 shown]
	s_wait_loadcnt_dscnt 0xa05
	v_dual_mul_f32 v9, v104, v53 :: v_dual_mul_f32 v27, v105, v53
	v_dual_mul_f32 v29, v107, v55 :: v_dual_mul_f32 v11, v106, v55
	s_wait_loadcnt_dscnt 0x904
	v_mul_f32_e32 v13, v108, v57
	s_wait_loadcnt_dscnt 0x702
	v_dual_mul_f32 v39, v117, v65 :: v_dual_fma_f32 v27, v104, v52, -v27
	v_dual_fmac_f32 v9, v105, v52 :: v_dual_mul_f32 v41, v119, v67
	v_dual_mul_f32 v31, v109, v57 :: v_dual_mul_f32 v33, v111, v59
	v_dual_fmac_f32 v11, v107, v54 :: v_dual_fma_f32 v29, v106, v54, -v29
	s_delay_alu instid0(VALU_DEP_3) | instskip(SKIP_4) | instid1(VALU_DEP_3)
	v_dual_add_f32 v9, 0, v9 :: v_dual_add_f32 v27, 0, v27
	v_dual_mul_f32 v15, v110, v59 :: v_dual_mul_f32 v17, v112, v61
	s_wait_loadcnt_dscnt 0x601
	v_dual_mul_f32 v43, v121, v69 :: v_dual_fma_f32 v31, v108, v56, -v31
	v_fmac_f32_e32 v13, v109, v56
	v_dual_add_f32 v9, v9, v11 :: v_dual_fmac_f32 v15, v111, v58
	v_add_f32_e32 v11, v27, v29
	v_dual_mul_f32 v35, v113, v61 :: v_dual_mul_f32 v37, v115, v63
	v_dual_mul_f32 v27, v123, v71 :: v_dual_fma_f32 v29, v110, v58, -v33
	s_delay_alu instid0(VALU_DEP_3) | instskip(SKIP_3) | instid1(VALU_DEP_3)
	v_dual_add_f32 v9, v9, v13 :: v_dual_add_f32 v11, v11, v31
	v_dual_mul_f32 v19, v114, v63 :: v_dual_mul_f32 v21, v116, v65
	s_wait_loadcnt 0x5
	v_dual_mul_f32 v13, v89, v73 :: v_dual_fma_f32 v31, v112, v60, -v35
	v_dual_fmac_f32 v17, v113, v60 :: v_dual_add_f32 v11, v11, v29
	v_dual_add_f32 v9, v9, v15 :: v_dual_mov_b32 v52, v75
	v_dual_fmac_f32 v19, v115, v62 :: v_dual_fma_f32 v15, v114, v62, -v37
	s_delay_alu instid0(VALU_DEP_2) | instskip(SKIP_3) | instid1(VALU_DEP_3)
	v_dual_add_f32 v11, v11, v31 :: v_dual_add_f32 v9, v9, v17
	v_dual_mul_f32 v23, v118, v67 :: v_dual_mul_f32 v25, v120, v69
	v_dual_fmac_f32 v21, v117, v64 :: v_dual_fma_f32 v17, v116, v64, -v39
	s_wait_loadcnt 0x4
	v_dual_add_f32 v9, v9, v19 :: v_dual_mov_b32 v56, v79
	v_dual_add_f32 v11, v11, v15 :: v_dual_fma_f32 v15, v118, v66, -v41
	s_delay_alu instid0(VALU_DEP_2) | instskip(SKIP_1) | instid1(VALU_DEP_3)
	v_dual_fmac_f32 v23, v119, v66 :: v_dual_add_f32 v9, v9, v21
	v_dual_mul_f32 v139, v122, v71 :: v_dual_mul_f32 v141, v88, v73
	v_dual_add_f32 v11, v11, v17 :: v_dual_fmac_f32 v25, v121, v68
	s_delay_alu instid0(VALU_DEP_3) | instskip(NEXT) | instid1(VALU_DEP_3)
	v_dual_fma_f32 v17, v120, v68, -v43 :: v_dual_add_f32 v9, v9, v23
	v_fmac_f32_e32 v139, v123, v70
	s_delay_alu instid0(VALU_DEP_3) | instskip(SKIP_1) | instid1(VALU_DEP_4)
	v_dual_add_f32 v11, v11, v15 :: v_dual_fma_f32 v138, v122, v70, -v27
	v_pk_mul_f32 v[52:53], v[130:131], v[52:53] op_sel_hi:[1,0]
	v_add_f32_e32 v61, v9, v25
	v_pk_mul_f32 v[54:55], v[92:93], v[76:77] op_sel:[1,1] op_sel_hi:[0,1]
	s_delay_alu instid0(VALU_DEP_4) | instskip(SKIP_3) | instid1(VALU_DEP_3)
	v_dual_add_f32 v60, v11, v17 :: v_dual_fmac_f32 v141, v89, v72
	s_wait_loadcnt 0x3
	v_dual_mov_b32 v62, v83 :: v_dual_fma_f32 v140, v88, v72, -v13
	v_pk_fma_f32 v[64:65], v[90:91], v[74:75], v[52:53] op_sel_hi:[1,0,1]
	v_pk_add_f32 v[60:61], v[60:61], v[138:139]
	v_pk_fma_f32 v[52:53], v[90:91], v[74:75], v[52:53] neg_lo:[0,0,1] neg_hi:[0,0,1]
	v_pk_fma_f32 v[66:67], v[92:93], v[76:77], v[54:55] op_sel_hi:[1,0,1]
	v_pk_mul_f32 v[56:57], v[132:133], v[56:57] op_sel_hi:[1,0]
	v_mov_b32_e32 v53, v65
	v_pk_add_f32 v[60:61], v[60:61], v[140:141]
	v_pk_fma_f32 v[54:55], v[92:93], v[76:77], v[54:55] neg_lo:[0,0,1] neg_hi:[0,0,1]
	v_pk_mul_f32 v[58:59], v[96:97], v[80:81] op_sel:[1,1] op_sel_hi:[0,1]
	v_mov_b32_e32 v55, v67
	v_pk_fma_f32 v[66:67], v[94:95], v[78:79], v[56:57] op_sel_hi:[1,0,1]
	v_pk_add_f32 v[52:53], v[60:61], v[52:53]
	v_pk_fma_f32 v[56:57], v[94:95], v[78:79], v[56:57] neg_lo:[0,0,1] neg_hi:[0,0,1]
	v_pk_fma_f32 v[60:61], v[96:97], v[80:81], v[58:59] op_sel_hi:[1,0,1]
	v_pk_mul_f32 v[62:63], v[134:135], v[62:63] op_sel_hi:[1,0]
	v_mov_b32_e32 v57, v67
	v_pk_add_f32 v[52:53], v[52:53], v[54:55]
	v_pk_fma_f32 v[58:59], v[96:97], v[80:81], v[58:59] neg_lo:[0,0,1] neg_hi:[0,0,1]
	s_wait_loadcnt 0x2
	v_pk_mul_f32 v[64:65], v[100:101], v[84:85] op_sel:[1,1] op_sel_hi:[0,1]
	v_dual_mov_b32 v54, v87 :: v_dual_mov_b32 v59, v61
	v_pk_fma_f32 v[60:61], v[98:99], v[82:83], v[62:63] op_sel_hi:[1,0,1]
	v_pk_add_f32 v[52:53], v[52:53], v[56:57]
	v_pk_fma_f32 v[62:63], v[98:99], v[82:83], v[62:63] neg_lo:[0,0,1] neg_hi:[0,0,1]
	v_pk_fma_f32 v[56:57], v[100:101], v[84:85], v[64:65] op_sel_hi:[1,0,1]
	v_pk_mul_f32 v[54:55], v[136:137], v[54:55] op_sel_hi:[1,0]
	v_mov_b32_e32 v63, v61
	v_pk_add_f32 v[52:53], v[52:53], v[58:59]
	v_pk_fma_f32 v[58:59], v[100:101], v[84:85], v[64:65] neg_lo:[0,0,1] neg_hi:[0,0,1]
	v_mov_b32_e32 v59, v57
	v_pk_fma_f32 v[56:57], v[102:103], v[86:87], v[54:55] op_sel_hi:[1,0,1]
	s_wait_loadcnt_dscnt 0x100
	v_pk_mul_f32 v[60:61], v[128:129], v[124:125] op_sel:[1,1] op_sel_hi:[0,1]
	v_pk_add_f32 v[52:53], v[52:53], v[62:63]
	v_pk_fma_f32 v[54:55], v[102:103], v[86:87], v[54:55] neg_lo:[0,0,1] neg_hi:[0,0,1]
	v_mov_b32_e32 v55, v57
	s_delay_alu instid0(VALU_DEP_4) | instskip(NEXT) | instid1(VALU_DEP_4)
	v_pk_fma_f32 v[56:57], v[128:129], v[124:125], v[60:61] op_sel_hi:[1,0,1]
	v_pk_add_f32 v[52:53], v[52:53], v[58:59]
	v_pk_fma_f32 v[58:59], v[128:129], v[124:125], v[60:61] neg_lo:[0,0,1] neg_hi:[0,0,1]
	s_delay_alu instid0(VALU_DEP_3) | instskip(NEXT) | instid1(VALU_DEP_3)
	v_mov_b32_e32 v59, v57
	v_pk_add_f32 v[52:53], v[52:53], v[54:55]
	s_delay_alu instid0(VALU_DEP_1) | instskip(SKIP_1) | instid1(VALU_DEP_1)
	v_pk_add_f32 v[52:53], v[52:53], v[58:59]
	s_wait_loadcnt 0x0
	v_pk_add_f32 v[52:53], v[126:127], v[52:53] neg_lo:[0,1] neg_hi:[0,1]
	scratch_store_b64 off, v[52:53], off offset:40
	s_wait_xcnt 0x0
	v_cmpx_lt_u32_e32 4, v0
	s_cbranch_execz .LBB88_155
; %bb.154:
	scratch_load_b64 v[52:53], off, off offset:32
	v_mov_b64_e32 v[54:55], 0
	scratch_store_b64 off, v[54:55], off offset:32
	s_wait_loadcnt 0x0
	ds_store_b64 v1, v[52:53]
.LBB88_155:
	s_wait_xcnt 0x0
	s_or_b32 exec_lo, exec_lo, s0
	s_wait_storecnt_dscnt 0x0
	s_barrier_signal -1
	s_barrier_wait -1
	s_clause 0xa
	scratch_load_b128 v[52:55], off, off offset:40
	scratch_load_b128 v[56:59], off, off offset:56
	;; [unrolled: 1-line block ×10, first 2 shown]
	scratch_load_b64 v[132:133], off, off offset:32
	ds_load_2addr_b64 v[92:95], v7 offset0:43 offset1:44
	ds_load_2addr_b64 v[96:99], v7 offset0:45 offset1:46
	;; [unrolled: 1-line block ×10, first 2 shown]
	s_mov_b32 s0, exec_lo
	s_wait_dscnt 0x9
	v_dual_mov_b32 v134, v95 :: v_dual_mov_b32 v135, v94
	s_wait_dscnt 0x8
	v_dual_mov_b32 v136, v99 :: v_dual_mov_b32 v137, v98
	;; [unrolled: 2-line block ×4, first 2 shown]
	s_wait_loadcnt_dscnt 0xa05
	v_dual_mul_f32 v7, v108, v53 :: v_dual_mul_f32 v9, v110, v55
	v_dual_mul_f32 v27, v109, v53 :: v_dual_mul_f32 v29, v111, v55
	s_wait_loadcnt_dscnt 0x904
	v_dual_mul_f32 v11, v112, v57 :: v_dual_mul_f32 v13, v114, v59
	s_delay_alu instid0(VALU_DEP_3) | instskip(SKIP_3) | instid1(VALU_DEP_3)
	v_dual_fmac_f32 v7, v109, v52 :: v_dual_fmac_f32 v9, v111, v54
	s_wait_loadcnt_dscnt 0x702
	v_dual_fma_f32 v27, v108, v52, -v27 :: v_dual_mul_f32 v39, v121, v65
	v_dual_mul_f32 v31, v113, v57 :: v_dual_mul_f32 v33, v115, v59
	v_dual_fma_f32 v29, v110, v54, -v29 :: v_dual_add_f32 v7, 0, v7
	s_delay_alu instid0(VALU_DEP_3) | instskip(SKIP_1) | instid1(VALU_DEP_4)
	v_dual_add_f32 v27, 0, v27 :: v_dual_fmac_f32 v11, v113, v56
	v_dual_mul_f32 v15, v116, v61 :: v_dual_mul_f32 v17, v118, v63
	v_dual_mul_f32 v41, v123, v67 :: v_dual_fma_f32 v31, v112, v56, -v31
	s_delay_alu instid0(VALU_DEP_4) | instskip(NEXT) | instid1(VALU_DEP_3)
	v_add_f32_e32 v7, v7, v9
	v_dual_add_f32 v9, v27, v29 :: v_dual_fmac_f32 v15, v117, v60
	v_dual_mul_f32 v35, v117, v61 :: v_dual_mul_f32 v37, v119, v63
	s_wait_loadcnt_dscnt 0x601
	v_dual_mul_f32 v27, v125, v69 :: v_dual_fmac_f32 v13, v115, v58
	v_dual_fma_f32 v29, v114, v58, -v33 :: v_dual_add_f32 v7, v7, v11
	s_delay_alu instid0(VALU_DEP_3) | instskip(SKIP_1) | instid1(VALU_DEP_3)
	v_dual_add_f32 v9, v9, v31 :: v_dual_fma_f32 v31, v116, v60, -v35
	v_dual_mul_f32 v19, v120, v65 :: v_dual_mul_f32 v21, v122, v67
	v_add_f32_e32 v7, v7, v13
	s_delay_alu instid0(VALU_DEP_3) | instskip(SKIP_2) | instid1(VALU_DEP_3)
	v_dual_mul_f32 v11, v127, v71 :: v_dual_add_f32 v9, v9, v29
	s_wait_loadcnt_dscnt 0x500
	v_dual_mul_f32 v13, v129, v73 :: v_dual_fmac_f32 v17, v119, v62
	v_dual_fma_f32 v29, v118, v62, -v37 :: v_dual_add_f32 v7, v7, v15
	s_delay_alu instid0(VALU_DEP_3) | instskip(SKIP_1) | instid1(VALU_DEP_3)
	v_dual_add_f32 v9, v9, v31 :: v_dual_fma_f32 v31, v120, v64, -v39
	v_dual_mul_f32 v15, v131, v75 :: v_dual_fmac_f32 v19, v121, v64
	v_dual_add_f32 v7, v7, v17 :: v_dual_fma_f32 v17, v122, v66, -v41
	s_delay_alu instid0(VALU_DEP_3) | instskip(SKIP_1) | instid1(VALU_DEP_3)
	v_dual_add_f32 v9, v9, v29 :: v_dual_fmac_f32 v21, v123, v66
	v_dual_mul_f32 v23, v124, v69 :: v_dual_mul_f32 v25, v126, v71
	v_add_f32_e32 v7, v7, v19
	s_wait_loadcnt 0x4
	s_delay_alu instid0(VALU_DEP_3) | instskip(NEXT) | instid1(VALU_DEP_3)
	v_dual_add_f32 v9, v9, v31 :: v_dual_mov_b32 v54, v79
	v_fmac_f32_e32 v23, v125, v68
	s_delay_alu instid0(VALU_DEP_3) | instskip(NEXT) | instid1(VALU_DEP_3)
	v_dual_fma_f32 v19, v124, v68, -v27 :: v_dual_add_f32 v7, v7, v21
	v_dual_add_f32 v9, v9, v17 :: v_dual_fmac_f32 v25, v127, v70
	v_dual_mul_f32 v143, v128, v73 :: v_dual_mul_f32 v145, v130, v75
	s_delay_alu instid0(VALU_DEP_3) | instskip(SKIP_1) | instid1(VALU_DEP_3)
	v_dual_fma_f32 v11, v126, v70, -v11 :: v_dual_add_f32 v7, v7, v23
	s_wait_loadcnt 0x3
	v_dual_add_f32 v9, v9, v19 :: v_dual_mov_b32 v58, v83
	v_pk_mul_f32 v[52:53], v[92:93], v[76:77] op_sel:[1,1] op_sel_hi:[0,1]
	v_dual_fmac_f32 v143, v129, v72 :: v_dual_fma_f32 v142, v128, v72, -v13
	s_delay_alu instid0(VALU_DEP_3) | instskip(SKIP_1) | instid1(VALU_DEP_4)
	v_dual_add_f32 v61, v7, v25 :: v_dual_add_f32 v60, v9, v11
	v_dual_fmac_f32 v145, v131, v74 :: v_dual_fma_f32 v144, v130, v74, -v15
	v_pk_fma_f32 v[62:63], v[92:93], v[76:77], v[52:53] op_sel_hi:[1,0,1]
	v_pk_mul_f32 v[54:55], v[134:135], v[54:55] op_sel_hi:[1,0]
	s_delay_alu instid0(VALU_DEP_4)
	v_pk_add_f32 v[60:61], v[60:61], v[142:143]
	v_pk_fma_f32 v[52:53], v[92:93], v[76:77], v[52:53] neg_lo:[0,0,1] neg_hi:[0,0,1]
	v_pk_mul_f32 v[56:57], v[96:97], v[80:81] op_sel:[1,1] op_sel_hi:[0,1]
	v_mov_b32_e32 v53, v63
	v_pk_fma_f32 v[62:63], v[94:95], v[78:79], v[54:55] op_sel_hi:[1,0,1]
	v_pk_add_f32 v[60:61], v[60:61], v[144:145]
	v_pk_fma_f32 v[54:55], v[94:95], v[78:79], v[54:55] neg_lo:[0,0,1] neg_hi:[0,0,1]
	v_pk_fma_f32 v[66:67], v[96:97], v[80:81], v[56:57] op_sel_hi:[1,0,1]
	v_pk_mul_f32 v[58:59], v[136:137], v[58:59] op_sel_hi:[1,0]
	v_mov_b32_e32 v55, v63
	v_pk_add_f32 v[52:53], v[60:61], v[52:53]
	s_wait_loadcnt 0x2
	v_pk_mul_f32 v[64:65], v[100:101], v[84:85] op_sel:[1,1] op_sel_hi:[0,1]
	v_mov_b32_e32 v60, v87
	v_pk_fma_f32 v[56:57], v[96:97], v[80:81], v[56:57] neg_lo:[0,0,1] neg_hi:[0,0,1]
	v_mov_b32_e32 v57, v67
	v_pk_fma_f32 v[62:63], v[98:99], v[82:83], v[58:59] op_sel_hi:[1,0,1]
	v_pk_add_f32 v[52:53], v[52:53], v[54:55]
	v_pk_fma_f32 v[54:55], v[100:101], v[84:85], v[64:65] op_sel_hi:[1,0,1]
	v_pk_mul_f32 v[60:61], v[138:139], v[60:61] op_sel_hi:[1,0]
	v_pk_fma_f32 v[58:59], v[98:99], v[82:83], v[58:59] neg_lo:[0,0,1] neg_hi:[0,0,1]
	v_mov_b32_e32 v59, v63
	v_pk_add_f32 v[52:53], v[52:53], v[56:57]
	v_pk_fma_f32 v[62:63], v[100:101], v[84:85], v[64:65] neg_lo:[0,0,1] neg_hi:[0,0,1]
	v_mov_b32_e32 v63, v55
	v_pk_fma_f32 v[54:55], v[102:103], v[86:87], v[60:61] op_sel_hi:[1,0,1]
	s_wait_loadcnt 0x1
	v_pk_mul_f32 v[56:57], v[104:105], v[88:89] op_sel:[1,1] op_sel_hi:[0,1]
	v_pk_add_f32 v[52:53], v[52:53], v[58:59]
	v_mov_b32_e32 v54, v91
	v_pk_fma_f32 v[60:61], v[102:103], v[86:87], v[60:61] neg_lo:[0,0,1] neg_hi:[0,0,1]
	v_mov_b32_e32 v61, v55
	v_pk_fma_f32 v[58:59], v[104:105], v[88:89], v[56:57] op_sel_hi:[1,0,1]
	v_pk_add_f32 v[52:53], v[52:53], v[62:63]
	v_pk_mul_f32 v[54:55], v[140:141], v[54:55] op_sel_hi:[1,0]
	v_pk_fma_f32 v[56:57], v[104:105], v[88:89], v[56:57] neg_lo:[0,0,1] neg_hi:[0,0,1]
	s_delay_alu instid0(VALU_DEP_4) | instskip(NEXT) | instid1(VALU_DEP_4)
	v_mov_b32_e32 v57, v59
	v_pk_add_f32 v[52:53], v[52:53], v[60:61]
	s_delay_alu instid0(VALU_DEP_4) | instskip(SKIP_1) | instid1(VALU_DEP_2)
	v_pk_fma_f32 v[58:59], v[106:107], v[90:91], v[54:55] op_sel_hi:[1,0,1]
	v_pk_fma_f32 v[54:55], v[106:107], v[90:91], v[54:55] neg_lo:[0,0,1] neg_hi:[0,0,1]
	v_mov_b32_e32 v55, v59
	s_delay_alu instid0(VALU_DEP_4) | instskip(NEXT) | instid1(VALU_DEP_1)
	v_pk_add_f32 v[52:53], v[52:53], v[56:57]
	v_pk_add_f32 v[52:53], v[52:53], v[54:55]
	s_wait_loadcnt 0x0
	s_delay_alu instid0(VALU_DEP_1)
	v_pk_add_f32 v[52:53], v[132:133], v[52:53] neg_lo:[0,1] neg_hi:[0,1]
	scratch_store_b64 off, v[52:53], off offset:32
	s_wait_xcnt 0x0
	v_cmpx_lt_u32_e32 3, v0
	s_cbranch_execz .LBB88_157
; %bb.156:
	scratch_load_b64 v[52:53], off, off offset:24
	v_mov_b64_e32 v[54:55], 0
	scratch_store_b64 off, v[54:55], off offset:24
	s_wait_loadcnt 0x0
	ds_store_b64 v1, v[52:53]
.LBB88_157:
	s_wait_xcnt 0x0
	s_or_b32 exec_lo, exec_lo, s0
	s_wait_storecnt_dscnt 0x0
	s_barrier_signal -1
	s_barrier_wait -1
	s_clause 0xb
	scratch_load_b128 v[52:55], off, off offset:32
	scratch_load_b128 v[56:59], off, off offset:48
	;; [unrolled: 1-line block ×10, first 2 shown]
	scratch_load_b64 v[132:133], off, off offset:192
	scratch_load_b64 v[134:135], off, off offset:24
	v_mov_b32_e32 v7, 0
	ds_load_b128 v[92:95], v7 offset:336
	ds_load_b128 v[96:99], v7 offset:352
	;; [unrolled: 1-line block ×10, first 2 shown]
	ds_load_b64 v[136:137], v7 offset:400
	s_mov_b32 s0, exec_lo
	s_wait_dscnt 0xa
	v_dual_mov_b32 v138, v95 :: v_dual_mov_b32 v139, v94
	s_wait_dscnt 0x7
	v_dual_mov_b32 v140, v99 :: v_dual_mov_b32 v145, v106
	v_dual_mov_b32 v141, v98 :: v_dual_mov_b32 v142, v103
	v_dual_mov_b32 v143, v102 :: v_dual_mov_b32 v144, v107
	s_wait_loadcnt_dscnt 0xb06
	v_dual_mul_f32 v9, v108, v53 :: v_dual_mul_f32 v31, v109, v53
	v_dual_mul_f32 v33, v111, v55 :: v_dual_mul_f32 v11, v110, v55
	s_wait_loadcnt_dscnt 0xa05
	v_mul_f32_e32 v13, v112, v57
	s_wait_loadcnt_dscnt 0x803
	v_dual_mul_f32 v43, v121, v65 :: v_dual_fma_f32 v31, v108, v52, -v31
	v_dual_fmac_f32 v9, v109, v52 :: v_dual_mul_f32 v45, v123, v67
	v_dual_mul_f32 v35, v113, v57 :: v_dual_mul_f32 v37, v115, v59
	v_dual_fmac_f32 v11, v111, v54 :: v_dual_fma_f32 v33, v110, v54, -v33
	s_delay_alu instid0(VALU_DEP_3) | instskip(SKIP_4) | instid1(VALU_DEP_3)
	v_dual_add_f32 v9, 0, v9 :: v_dual_add_f32 v31, 0, v31
	v_dual_mul_f32 v15, v114, v59 :: v_dual_mul_f32 v17, v116, v61
	s_wait_loadcnt_dscnt 0x702
	v_dual_mul_f32 v47, v125, v69 :: v_dual_fma_f32 v35, v112, v56, -v35
	v_fmac_f32_e32 v13, v113, v56
	v_dual_add_f32 v9, v9, v11 :: v_dual_fmac_f32 v15, v115, v58
	v_add_f32_e32 v11, v31, v33
	v_dual_mul_f32 v39, v117, v61 :: v_dual_mul_f32 v41, v119, v63
	v_dual_mul_f32 v31, v127, v71 :: v_dual_fma_f32 v33, v114, v58, -v37
	s_delay_alu instid0(VALU_DEP_3) | instskip(SKIP_3) | instid1(VALU_DEP_3)
	v_dual_add_f32 v9, v9, v13 :: v_dual_add_f32 v11, v11, v35
	v_dual_mul_f32 v19, v118, v63 :: v_dual_mul_f32 v21, v120, v65
	s_wait_loadcnt_dscnt 0x601
	v_dual_mul_f32 v13, v129, v73 :: v_dual_fma_f32 v35, v116, v60, -v39
	v_dual_fmac_f32 v17, v117, v60 :: v_dual_add_f32 v11, v11, v33
	s_delay_alu instid0(VALU_DEP_3) | instskip(SKIP_1) | instid1(VALU_DEP_2)
	v_dual_add_f32 v9, v9, v15 :: v_dual_fmac_f32 v19, v119, v62
	v_dual_mul_f32 v15, v131, v75 :: v_dual_fma_f32 v33, v118, v62, -v41
	v_dual_add_f32 v11, v11, v35 :: v_dual_add_f32 v9, v9, v17
	v_dual_mul_f32 v23, v122, v67 :: v_dual_mul_f32 v25, v124, v69
	s_wait_loadcnt 0x5
	v_dual_mul_f32 v17, v93, v77 :: v_dual_fma_f32 v35, v120, v64, -v43
	s_delay_alu instid0(VALU_DEP_3) | instskip(SKIP_2) | instid1(VALU_DEP_2)
	v_dual_fmac_f32 v21, v121, v64 :: v_dual_add_f32 v11, v11, v33
	v_dual_add_f32 v9, v9, v19 :: v_dual_mov_b32 v52, v79
	v_dual_fmac_f32 v23, v123, v66 :: v_dual_fma_f32 v19, v122, v66, -v45
	v_dual_add_f32 v11, v11, v35 :: v_dual_add_f32 v9, v9, v21
	v_dual_mul_f32 v27, v126, v71 :: v_dual_mul_f32 v29, v128, v73
	v_dual_fmac_f32 v25, v125, v68 :: v_dual_fma_f32 v21, v124, v68, -v47
	s_wait_loadcnt 0x4
	s_delay_alu instid0(VALU_DEP_3) | instskip(SKIP_1) | instid1(VALU_DEP_2)
	v_dual_add_f32 v9, v9, v23 :: v_dual_mov_b32 v56, v83
	v_dual_add_f32 v11, v11, v19 :: v_dual_fma_f32 v19, v126, v70, -v31
	v_dual_fmac_f32 v27, v127, v70 :: v_dual_add_f32 v9, v9, v25
	v_dual_mul_f32 v147, v130, v75 :: v_dual_mul_f32 v149, v92, v77
	s_delay_alu instid0(VALU_DEP_3) | instskip(NEXT) | instid1(VALU_DEP_3)
	v_dual_add_f32 v11, v11, v21 :: v_dual_fmac_f32 v29, v129, v72
	v_dual_fma_f32 v13, v128, v72, -v13 :: v_dual_add_f32 v9, v9, v27
	s_delay_alu instid0(VALU_DEP_3) | instskip(NEXT) | instid1(VALU_DEP_3)
	v_fmac_f32_e32 v147, v131, v74
	v_dual_add_f32 v11, v11, v19 :: v_dual_fma_f32 v146, v130, v74, -v15
	v_pk_mul_f32 v[52:53], v[138:139], v[52:53] op_sel_hi:[1,0]
	s_delay_alu instid0(VALU_DEP_4) | instskip(SKIP_1) | instid1(VALU_DEP_4)
	v_add_f32_e32 v61, v9, v29
	v_pk_mul_f32 v[54:55], v[96:97], v[80:81] op_sel:[1,1] op_sel_hi:[0,1]
	v_dual_add_f32 v60, v11, v13 :: v_dual_fmac_f32 v149, v93, v76
	s_wait_loadcnt 0x3
	v_dual_mov_b32 v62, v87 :: v_dual_fma_f32 v148, v92, v76, -v17
	v_pk_fma_f32 v[64:65], v[94:95], v[78:79], v[52:53] op_sel_hi:[1,0,1]
	s_delay_alu instid0(VALU_DEP_3)
	v_pk_add_f32 v[60:61], v[60:61], v[146:147]
	v_pk_fma_f32 v[52:53], v[94:95], v[78:79], v[52:53] neg_lo:[0,0,1] neg_hi:[0,0,1]
	v_pk_fma_f32 v[66:67], v[96:97], v[80:81], v[54:55] op_sel_hi:[1,0,1]
	v_pk_mul_f32 v[56:57], v[140:141], v[56:57] op_sel_hi:[1,0]
	v_mov_b32_e32 v53, v65
	v_pk_add_f32 v[60:61], v[60:61], v[148:149]
	v_pk_fma_f32 v[54:55], v[96:97], v[80:81], v[54:55] neg_lo:[0,0,1] neg_hi:[0,0,1]
	v_pk_mul_f32 v[58:59], v[100:101], v[84:85] op_sel:[1,1] op_sel_hi:[0,1]
	v_mov_b32_e32 v55, v67
	v_pk_fma_f32 v[66:67], v[98:99], v[82:83], v[56:57] op_sel_hi:[1,0,1]
	v_pk_add_f32 v[52:53], v[60:61], v[52:53]
	v_pk_fma_f32 v[56:57], v[98:99], v[82:83], v[56:57] neg_lo:[0,0,1] neg_hi:[0,0,1]
	v_pk_fma_f32 v[60:61], v[100:101], v[84:85], v[58:59] op_sel_hi:[1,0,1]
	v_pk_mul_f32 v[62:63], v[142:143], v[62:63] op_sel_hi:[1,0]
	v_mov_b32_e32 v57, v67
	v_pk_add_f32 v[52:53], v[52:53], v[54:55]
	v_pk_fma_f32 v[58:59], v[100:101], v[84:85], v[58:59] neg_lo:[0,0,1] neg_hi:[0,0,1]
	s_wait_loadcnt 0x2
	v_pk_mul_f32 v[64:65], v[104:105], v[88:89] op_sel:[1,1] op_sel_hi:[0,1]
	v_dual_mov_b32 v54, v91 :: v_dual_mov_b32 v59, v61
	v_pk_fma_f32 v[60:61], v[102:103], v[86:87], v[62:63] op_sel_hi:[1,0,1]
	v_pk_add_f32 v[52:53], v[52:53], v[56:57]
	v_pk_fma_f32 v[62:63], v[102:103], v[86:87], v[62:63] neg_lo:[0,0,1] neg_hi:[0,0,1]
	v_pk_fma_f32 v[56:57], v[104:105], v[88:89], v[64:65] op_sel_hi:[1,0,1]
	v_pk_mul_f32 v[54:55], v[144:145], v[54:55] op_sel_hi:[1,0]
	v_mov_b32_e32 v63, v61
	v_pk_add_f32 v[52:53], v[52:53], v[58:59]
	v_pk_fma_f32 v[58:59], v[104:105], v[88:89], v[64:65] neg_lo:[0,0,1] neg_hi:[0,0,1]
	v_mov_b32_e32 v59, v57
	v_pk_fma_f32 v[56:57], v[106:107], v[90:91], v[54:55] op_sel_hi:[1,0,1]
	s_wait_loadcnt_dscnt 0x100
	v_pk_mul_f32 v[60:61], v[136:137], v[132:133] op_sel:[1,1] op_sel_hi:[0,1]
	v_pk_add_f32 v[52:53], v[52:53], v[62:63]
	v_pk_fma_f32 v[54:55], v[106:107], v[90:91], v[54:55] neg_lo:[0,0,1] neg_hi:[0,0,1]
	v_mov_b32_e32 v55, v57
	s_delay_alu instid0(VALU_DEP_4) | instskip(NEXT) | instid1(VALU_DEP_4)
	v_pk_fma_f32 v[56:57], v[136:137], v[132:133], v[60:61] op_sel_hi:[1,0,1]
	v_pk_add_f32 v[52:53], v[52:53], v[58:59]
	v_pk_fma_f32 v[58:59], v[136:137], v[132:133], v[60:61] neg_lo:[0,0,1] neg_hi:[0,0,1]
	s_delay_alu instid0(VALU_DEP_3) | instskip(NEXT) | instid1(VALU_DEP_3)
	v_mov_b32_e32 v59, v57
	v_pk_add_f32 v[52:53], v[52:53], v[54:55]
	s_delay_alu instid0(VALU_DEP_1) | instskip(SKIP_1) | instid1(VALU_DEP_1)
	v_pk_add_f32 v[52:53], v[52:53], v[58:59]
	s_wait_loadcnt 0x0
	v_pk_add_f32 v[52:53], v[134:135], v[52:53] neg_lo:[0,1] neg_hi:[0,1]
	scratch_store_b64 off, v[52:53], off offset:24
	s_wait_xcnt 0x0
	v_cmpx_lt_u32_e32 2, v0
	s_cbranch_execz .LBB88_159
; %bb.158:
	scratch_load_b64 v[52:53], off, off offset:16
	v_mov_b64_e32 v[54:55], 0
	scratch_store_b64 off, v[54:55], off offset:16
	s_wait_loadcnt 0x0
	ds_store_b64 v1, v[52:53]
.LBB88_159:
	s_wait_xcnt 0x0
	s_or_b32 exec_lo, exec_lo, s0
	s_wait_storecnt_dscnt 0x0
	s_barrier_signal -1
	s_barrier_wait -1
	s_clause 0xb
	scratch_load_b128 v[52:55], off, off offset:24
	scratch_load_b128 v[56:59], off, off offset:40
	scratch_load_b128 v[60:63], off, off offset:56
	scratch_load_b128 v[64:67], off, off offset:72
	scratch_load_b128 v[68:71], off, off offset:88
	scratch_load_b128 v[72:75], off, off offset:104
	scratch_load_b128 v[76:79], off, off offset:120
	scratch_load_b128 v[80:83], off, off offset:136
	scratch_load_b128 v[84:87], off, off offset:152
	scratch_load_b128 v[88:91], off, off offset:168
	scratch_load_b128 v[92:95], off, off offset:184
	scratch_load_b64 v[140:141], off, off offset:16
	ds_load_2addr_b64 v[96:99], v7 offset0:43 offset1:44
	ds_load_2addr_b64 v[100:103], v7 offset0:45 offset1:46
	;; [unrolled: 1-line block ×11, first 2 shown]
	s_mov_b32 s0, exec_lo
	s_wait_dscnt 0xa
	v_dual_mov_b32 v142, v99 :: v_dual_mov_b32 v143, v98
	s_wait_dscnt 0x9
	v_dual_mov_b32 v144, v103 :: v_dual_mov_b32 v145, v102
	;; [unrolled: 2-line block ×4, first 2 shown]
	s_wait_loadcnt_dscnt 0xb06
	v_dual_mul_f32 v7, v112, v53 :: v_dual_mul_f32 v9, v114, v55
	v_dual_mul_f32 v31, v113, v53 :: v_dual_mul_f32 v33, v115, v55
	s_wait_loadcnt_dscnt 0xa05
	v_dual_mul_f32 v11, v116, v57 :: v_dual_mul_f32 v13, v118, v59
	s_delay_alu instid0(VALU_DEP_3) | instskip(SKIP_3) | instid1(VALU_DEP_3)
	v_dual_fmac_f32 v7, v113, v52 :: v_dual_fmac_f32 v9, v115, v54
	s_wait_loadcnt_dscnt 0x803
	v_dual_fma_f32 v31, v112, v52, -v31 :: v_dual_mul_f32 v43, v125, v65
	v_dual_mul_f32 v35, v117, v57 :: v_dual_mul_f32 v37, v119, v59
	v_dual_fma_f32 v33, v114, v54, -v33 :: v_dual_add_f32 v7, 0, v7
	s_delay_alu instid0(VALU_DEP_3) | instskip(SKIP_1) | instid1(VALU_DEP_4)
	v_dual_add_f32 v31, 0, v31 :: v_dual_fmac_f32 v11, v117, v56
	v_dual_mul_f32 v15, v120, v61 :: v_dual_mul_f32 v17, v122, v63
	v_dual_mul_f32 v45, v127, v67 :: v_dual_fma_f32 v35, v116, v56, -v35
	s_delay_alu instid0(VALU_DEP_4) | instskip(NEXT) | instid1(VALU_DEP_3)
	v_add_f32_e32 v7, v7, v9
	v_dual_add_f32 v9, v31, v33 :: v_dual_fmac_f32 v15, v121, v60
	v_dual_mul_f32 v39, v121, v61 :: v_dual_mul_f32 v41, v123, v63
	s_wait_loadcnt_dscnt 0x702
	v_dual_mul_f32 v31, v129, v69 :: v_dual_fmac_f32 v13, v119, v58
	v_dual_fma_f32 v33, v118, v58, -v37 :: v_dual_add_f32 v7, v7, v11
	s_delay_alu instid0(VALU_DEP_3) | instskip(SKIP_1) | instid1(VALU_DEP_3)
	v_dual_add_f32 v9, v9, v35 :: v_dual_fma_f32 v35, v120, v60, -v39
	v_dual_mul_f32 v19, v124, v65 :: v_dual_mul_f32 v21, v126, v67
	v_add_f32_e32 v7, v7, v13
	s_delay_alu instid0(VALU_DEP_3) | instskip(SKIP_2) | instid1(VALU_DEP_3)
	v_dual_mul_f32 v11, v131, v71 :: v_dual_add_f32 v9, v9, v33
	s_wait_loadcnt_dscnt 0x601
	v_dual_mul_f32 v13, v133, v73 :: v_dual_fmac_f32 v17, v123, v62
	v_dual_fma_f32 v33, v122, v62, -v41 :: v_dual_add_f32 v7, v7, v15
	s_delay_alu instid0(VALU_DEP_3) | instskip(SKIP_1) | instid1(VALU_DEP_3)
	v_dual_add_f32 v9, v9, v35 :: v_dual_fma_f32 v35, v124, v64, -v43
	v_dual_mul_f32 v15, v135, v75 :: v_dual_fmac_f32 v19, v125, v64
	v_add_f32_e32 v7, v7, v17
	s_delay_alu instid0(VALU_DEP_3)
	v_dual_add_f32 v9, v9, v33 :: v_dual_fmac_f32 v21, v127, v66
	v_dual_mul_f32 v23, v128, v69 :: v_dual_mul_f32 v25, v130, v71
	s_wait_loadcnt_dscnt 0x500
	v_dual_fma_f32 v33, v126, v66, -v45 :: v_dual_mul_f32 v17, v137, v77
	v_add_f32_e32 v7, v7, v19
	v_dual_add_f32 v9, v9, v35 :: v_dual_fma_f32 v31, v128, v68, -v31
	v_dual_mul_f32 v19, v139, v79 :: v_dual_fmac_f32 v23, v129, v68
	s_delay_alu instid0(VALU_DEP_3) | instskip(NEXT) | instid1(VALU_DEP_3)
	v_dual_add_f32 v7, v7, v21 :: v_dual_fma_f32 v11, v130, v70, -v11
	v_dual_add_f32 v9, v9, v33 :: v_dual_fmac_f32 v25, v131, v70
	v_dual_mul_f32 v27, v132, v73 :: v_dual_mul_f32 v29, v134, v75
	s_delay_alu instid0(VALU_DEP_3) | instskip(SKIP_1) | instid1(VALU_DEP_3)
	v_add_f32_e32 v7, v7, v23
	s_wait_loadcnt 0x4
	v_dual_add_f32 v9, v9, v31 :: v_dual_mov_b32 v54, v83
	s_delay_alu instid0(VALU_DEP_3) | instskip(NEXT) | instid1(VALU_DEP_2)
	v_dual_fmac_f32 v27, v133, v72 :: v_dual_fma_f32 v13, v132, v72, -v13
	v_dual_add_f32 v7, v7, v25 :: v_dual_add_f32 v9, v9, v11
	v_dual_fmac_f32 v29, v135, v74 :: v_dual_mul_f32 v151, v136, v77
	v_mul_f32_e32 v153, v138, v79
	s_delay_alu instid0(VALU_DEP_3) | instskip(SKIP_4) | instid1(VALU_DEP_3)
	v_dual_fma_f32 v11, v134, v74, -v15 :: v_dual_add_f32 v7, v7, v27
	s_wait_loadcnt 0x3
	v_dual_add_f32 v9, v9, v13 :: v_dual_mov_b32 v58, v87
	v_pk_mul_f32 v[52:53], v[96:97], v[80:81] op_sel:[1,1] op_sel_hi:[0,1]
	v_dual_fmac_f32 v151, v137, v76 :: v_dual_fma_f32 v150, v136, v76, -v17
	v_dual_add_f32 v61, v7, v29 :: v_dual_add_f32 v60, v9, v11
	v_dual_fmac_f32 v153, v139, v78 :: v_dual_fma_f32 v152, v138, v78, -v19
	s_delay_alu instid0(VALU_DEP_4) | instskip(SKIP_1) | instid1(VALU_DEP_4)
	v_pk_fma_f32 v[62:63], v[96:97], v[80:81], v[52:53] op_sel_hi:[1,0,1]
	v_pk_mul_f32 v[54:55], v[142:143], v[54:55] op_sel_hi:[1,0]
	v_pk_add_f32 v[60:61], v[60:61], v[150:151]
	v_pk_fma_f32 v[52:53], v[96:97], v[80:81], v[52:53] neg_lo:[0,0,1] neg_hi:[0,0,1]
	v_pk_mul_f32 v[56:57], v[100:101], v[84:85] op_sel:[1,1] op_sel_hi:[0,1]
	v_mov_b32_e32 v53, v63
	v_pk_fma_f32 v[62:63], v[98:99], v[82:83], v[54:55] op_sel_hi:[1,0,1]
	v_pk_add_f32 v[60:61], v[60:61], v[152:153]
	v_pk_fma_f32 v[54:55], v[98:99], v[82:83], v[54:55] neg_lo:[0,0,1] neg_hi:[0,0,1]
	v_pk_fma_f32 v[66:67], v[100:101], v[84:85], v[56:57] op_sel_hi:[1,0,1]
	v_pk_mul_f32 v[58:59], v[144:145], v[58:59] op_sel_hi:[1,0]
	v_mov_b32_e32 v55, v63
	v_pk_add_f32 v[52:53], v[60:61], v[52:53]
	s_wait_loadcnt 0x2
	v_pk_mul_f32 v[64:65], v[104:105], v[88:89] op_sel:[1,1] op_sel_hi:[0,1]
	v_mov_b32_e32 v60, v91
	v_pk_fma_f32 v[56:57], v[100:101], v[84:85], v[56:57] neg_lo:[0,0,1] neg_hi:[0,0,1]
	v_mov_b32_e32 v57, v67
	v_pk_fma_f32 v[62:63], v[102:103], v[86:87], v[58:59] op_sel_hi:[1,0,1]
	v_pk_add_f32 v[52:53], v[52:53], v[54:55]
	v_pk_fma_f32 v[54:55], v[104:105], v[88:89], v[64:65] op_sel_hi:[1,0,1]
	v_pk_mul_f32 v[60:61], v[146:147], v[60:61] op_sel_hi:[1,0]
	v_pk_fma_f32 v[58:59], v[102:103], v[86:87], v[58:59] neg_lo:[0,0,1] neg_hi:[0,0,1]
	v_mov_b32_e32 v59, v63
	v_pk_add_f32 v[52:53], v[52:53], v[56:57]
	v_pk_fma_f32 v[62:63], v[104:105], v[88:89], v[64:65] neg_lo:[0,0,1] neg_hi:[0,0,1]
	v_mov_b32_e32 v63, v55
	v_pk_fma_f32 v[54:55], v[106:107], v[90:91], v[60:61] op_sel_hi:[1,0,1]
	s_wait_loadcnt 0x1
	v_pk_mul_f32 v[56:57], v[108:109], v[92:93] op_sel:[1,1] op_sel_hi:[0,1]
	v_pk_add_f32 v[52:53], v[52:53], v[58:59]
	v_mov_b32_e32 v54, v95
	v_pk_fma_f32 v[60:61], v[106:107], v[90:91], v[60:61] neg_lo:[0,0,1] neg_hi:[0,0,1]
	v_mov_b32_e32 v61, v55
	v_pk_fma_f32 v[58:59], v[108:109], v[92:93], v[56:57] op_sel_hi:[1,0,1]
	v_pk_add_f32 v[52:53], v[52:53], v[62:63]
	v_pk_mul_f32 v[54:55], v[148:149], v[54:55] op_sel_hi:[1,0]
	v_pk_fma_f32 v[56:57], v[108:109], v[92:93], v[56:57] neg_lo:[0,0,1] neg_hi:[0,0,1]
	s_delay_alu instid0(VALU_DEP_4) | instskip(NEXT) | instid1(VALU_DEP_4)
	v_mov_b32_e32 v57, v59
	v_pk_add_f32 v[52:53], v[52:53], v[60:61]
	s_delay_alu instid0(VALU_DEP_4) | instskip(SKIP_1) | instid1(VALU_DEP_2)
	v_pk_fma_f32 v[58:59], v[110:111], v[94:95], v[54:55] op_sel_hi:[1,0,1]
	v_pk_fma_f32 v[54:55], v[110:111], v[94:95], v[54:55] neg_lo:[0,0,1] neg_hi:[0,0,1]
	v_mov_b32_e32 v55, v59
	s_delay_alu instid0(VALU_DEP_4) | instskip(NEXT) | instid1(VALU_DEP_1)
	v_pk_add_f32 v[52:53], v[52:53], v[56:57]
	v_pk_add_f32 v[52:53], v[52:53], v[54:55]
	s_wait_loadcnt 0x0
	s_delay_alu instid0(VALU_DEP_1)
	v_pk_add_f32 v[52:53], v[140:141], v[52:53] neg_lo:[0,1] neg_hi:[0,1]
	scratch_store_b64 off, v[52:53], off offset:16
	s_wait_xcnt 0x0
	v_cmpx_lt_u32_e32 1, v0
	s_cbranch_execz .LBB88_161
; %bb.160:
	scratch_load_b64 v[52:53], off, off offset:8
	v_mov_b64_e32 v[54:55], 0
	scratch_store_b64 off, v[54:55], off offset:8
	s_wait_loadcnt 0x0
	ds_store_b64 v1, v[52:53]
.LBB88_161:
	s_wait_xcnt 0x0
	s_or_b32 exec_lo, exec_lo, s0
	s_wait_storecnt_dscnt 0x0
	s_barrier_signal -1
	s_barrier_wait -1
	s_clause 0xc
	scratch_load_b128 v[54:57], off, off offset:16
	scratch_load_b128 v[58:61], off, off offset:32
	;; [unrolled: 1-line block ×11, first 2 shown]
	scratch_load_b64 v[142:143], off, off offset:192
	scratch_load_b64 v[144:145], off, off offset:8
	v_dual_mov_b32 v52, 0 :: v_dual_ashrrev_i32 v7, 31, v6
	ds_load_b128 v[98:101], v52 offset:320
	ds_load_b128 v[102:105], v52 offset:336
	;; [unrolled: 1-line block ×11, first 2 shown]
	ds_load_b64 v[146:147], v52 offset:400
	v_dual_ashrrev_i32 v9, 31, v8 :: v_dual_ashrrev_i32 v11, 31, v10
	v_dual_ashrrev_i32 v13, 31, v12 :: v_dual_ashrrev_i32 v15, 31, v14
	v_dual_ashrrev_i32 v17, 31, v16 :: v_dual_ashrrev_i32 v19, 31, v18
	v_dual_ashrrev_i32 v21, 31, v20 :: v_dual_ashrrev_i32 v23, 31, v22
	v_dual_ashrrev_i32 v25, 31, v24 :: v_dual_ashrrev_i32 v27, 31, v26
	s_mov_b32 s0, exec_lo
	s_wait_dscnt 0xa
	v_dual_mov_b32 v148, v105 :: v_dual_mov_b32 v149, v104
	s_wait_dscnt 0x7
	v_dual_mov_b32 v150, v109 :: v_dual_mov_b32 v151, v108
	;; [unrolled: 2-line block ×4, first 2 shown]
	s_wait_loadcnt 0xc
	v_dual_mul_f32 v29, v118, v55 :: v_dual_mul_f32 v31, v120, v57
	v_dual_mul_f32 v33, v119, v55 :: v_dual_mul_f32 v35, v121, v57
	s_wait_loadcnt 0xb
	v_dual_mul_f32 v37, v122, v59 :: v_dual_mul_f32 v39, v124, v61
	s_wait_loadcnt 0x5
	v_dual_fmac_f32 v29, v119, v54 :: v_dual_mul_f32 v57, v102, v83
	v_dual_fma_f32 v33, v118, v54, -v33 :: v_dual_fmac_f32 v31, v121, v56
	v_dual_mul_f32 v41, v123, v59 :: v_dual_mul_f32 v43, v125, v61
	s_delay_alu instid0(VALU_DEP_3) | instskip(SKIP_1) | instid1(VALU_DEP_3)
	v_dual_fma_f32 v35, v120, v56, -v35 :: v_dual_add_f32 v29, 0, v29
	s_wait_dscnt 0x2
	v_dual_add_f32 v33, 0, v33 :: v_dual_mul_f32 v54, v135, v71
	v_fmac_f32_e32 v37, v123, v58
	s_delay_alu instid0(VALU_DEP_3) | instskip(NEXT) | instid1(VALU_DEP_3)
	v_dual_fma_f32 v41, v122, v58, -v41 :: v_dual_add_f32 v29, v29, v31
	v_add_f32_e32 v31, v33, v35
	v_dual_mul_f32 v45, v126, v63 :: v_dual_mul_f32 v47, v128, v65
	v_dual_mul_f32 v49, v127, v63 :: v_dual_mul_f32 v51, v129, v65
	v_dual_mul_f32 v33, v137, v73 :: v_dual_fma_f32 v35, v124, v60, -v43
	s_delay_alu instid0(VALU_DEP_4) | instskip(SKIP_3) | instid1(VALU_DEP_3)
	v_dual_fmac_f32 v39, v125, v60 :: v_dual_add_f32 v31, v31, v41
	s_wait_dscnt 0x1
	v_dual_add_f32 v29, v29, v37 :: v_dual_mul_f32 v37, v139, v75
	v_fmac_f32_e32 v45, v127, v62
	v_dual_fma_f32 v41, v126, v62, -v49 :: v_dual_add_f32 v31, v31, v35
	s_delay_alu instid0(VALU_DEP_3)
	v_add_f32_e32 v29, v29, v39
	v_dual_mul_f32 v53, v130, v67 :: v_dual_mul_f32 v59, v132, v69
	v_dual_mul_f32 v63, v131, v67 :: v_dual_mul_f32 v67, v136, v73
	v_dual_mul_f32 v35, v141, v77 :: v_dual_fma_f32 v39, v128, v64, -v51
	v_dual_fmac_f32 v47, v129, v64 :: v_dual_add_f32 v31, v31, v41
	v_dual_add_f32 v29, v29, v45 :: v_dual_mul_f32 v41, v99, v79
	v_dual_mul_f32 v61, v134, v71 :: v_dual_mul_f32 v65, v133, v69
	v_dual_fmac_f32 v53, v131, v66 :: v_dual_fma_f32 v43, v130, v66, -v63
	s_delay_alu instid0(VALU_DEP_3) | instskip(SKIP_1) | instid1(VALU_DEP_4)
	v_add_f32_e32 v29, v29, v47
	v_dual_add_f32 v31, v31, v39 :: v_dual_mul_f32 v39, v101, v81
	v_dual_fmac_f32 v59, v133, v68 :: v_dual_fma_f32 v45, v132, v68, -v65
	s_delay_alu instid0(VALU_DEP_2) | instskip(SKIP_2) | instid1(VALU_DEP_3)
	v_dual_add_f32 v29, v29, v53 :: v_dual_add_f32 v31, v31, v43
	v_mul_f32_e32 v43, v103, v83
	v_dual_fmac_f32 v61, v135, v70 :: v_dual_fma_f32 v47, v134, v70, -v54
	v_dual_add_f32 v29, v29, v59 :: v_dual_add_f32 v31, v31, v45
	v_dual_mul_f32 v69, v138, v75 :: v_dual_mul_f32 v156, v140, v77
	v_dual_mov_b32 v56, v85 :: v_dual_fma_f32 v33, v136, v72, -v33
	s_delay_alu instid0(VALU_DEP_3) | instskip(NEXT) | instid1(VALU_DEP_3)
	v_dual_fmac_f32 v67, v137, v72 :: v_dual_add_f32 v31, v31, v47
	v_dual_add_f32 v29, v29, v61 :: v_dual_fmac_f32 v69, v139, v74
	v_fma_f32 v37, v138, v74, -v37
	v_dual_mul_f32 v157, v98, v79 :: v_dual_mul_f32 v55, v100, v81
	s_delay_alu instid0(VALU_DEP_3) | instskip(SKIP_3) | instid1(VALU_DEP_3)
	v_dual_add_f32 v29, v29, v67 :: v_dual_add_f32 v31, v31, v33
	s_wait_loadcnt 0x4
	v_mov_b32_e32 v60, v89
	v_dual_fmac_f32 v156, v141, v76 :: v_dual_fma_f32 v33, v140, v76, -v35
	v_dual_add_f32 v29, v29, v69 :: v_dual_fmac_f32 v157, v99, v78
	v_dual_add_f32 v31, v31, v37 :: v_dual_fma_f32 v35, v98, v78, -v41
	v_pk_mul_f32 v[64:65], v[148:149], v[56:57] op_sel_hi:[1,0]
	s_delay_alu instid0(VALU_DEP_3) | instskip(SKIP_1) | instid1(VALU_DEP_4)
	v_add_f32_e32 v29, v29, v156
	v_pk_mul_f32 v[58:59], v[106:107], v[86:87] op_sel:[1,1] op_sel_hi:[0,1]
	v_dual_add_f32 v31, v31, v33 :: v_dual_fmac_f32 v55, v101, v80
	s_delay_alu instid0(VALU_DEP_3) | instskip(SKIP_2) | instid1(VALU_DEP_3)
	v_dual_fma_f32 v54, v100, v80, -v39 :: v_dual_add_f32 v67, v29, v157
	s_wait_loadcnt 0x3
	v_dual_mov_b32 v68, v93 :: v_dual_fmac_f32 v57, v103, v82
	v_add_f32_e32 v66, v31, v35
	v_pk_fma_f32 v[70:71], v[104:105], v[84:85], v[64:65] op_sel_hi:[1,0,1]
	v_fma_f32 v56, v102, v82, -v43
	v_pk_fma_f32 v[64:65], v[104:105], v[84:85], v[64:65] neg_lo:[0,0,1] neg_hi:[0,0,1]
	v_pk_mul_f32 v[60:61], v[150:151], v[60:61] op_sel_hi:[1,0]
	v_pk_add_f32 v[54:55], v[66:67], v[54:55]
	v_pk_fma_f32 v[66:67], v[106:107], v[86:87], v[58:59] op_sel_hi:[1,0,1]
	v_mov_b32_e32 v65, v71
	v_pk_fma_f32 v[58:59], v[106:107], v[86:87], v[58:59] neg_lo:[0,0,1] neg_hi:[0,0,1]
	v_pk_mul_f32 v[62:63], v[110:111], v[90:91] op_sel:[1,1] op_sel_hi:[0,1]
	v_pk_add_f32 v[54:55], v[54:55], v[56:57]
	v_mov_b32_e32 v59, v67
	v_pk_fma_f32 v[66:67], v[108:109], v[88:89], v[60:61] op_sel_hi:[1,0,1]
	v_pk_fma_f32 v[60:61], v[108:109], v[88:89], v[60:61] neg_lo:[0,0,1] neg_hi:[0,0,1]
	v_pk_mul_f32 v[68:69], v[152:153], v[68:69] op_sel_hi:[1,0]
	v_pk_add_f32 v[54:55], v[54:55], v[64:65]
	v_pk_fma_f32 v[64:65], v[110:111], v[90:91], v[62:63] op_sel_hi:[1,0,1]
	v_mov_b32_e32 v61, v67
	v_pk_fma_f32 v[62:63], v[110:111], v[90:91], v[62:63] neg_lo:[0,0,1] neg_hi:[0,0,1]
	s_wait_loadcnt 0x2
	v_pk_mul_f32 v[56:57], v[114:115], v[94:95] op_sel:[1,1] op_sel_hi:[0,1]
	v_pk_add_f32 v[54:55], v[54:55], v[58:59]
	v_dual_mov_b32 v58, v97 :: v_dual_mov_b32 v63, v65
	v_pk_fma_f32 v[64:65], v[112:113], v[92:93], v[68:69] op_sel_hi:[1,0,1]
	v_pk_fma_f32 v[66:67], v[112:113], v[92:93], v[68:69] neg_lo:[0,0,1] neg_hi:[0,0,1]
	s_delay_alu instid0(VALU_DEP_4) | instskip(SKIP_3) | instid1(VALU_DEP_4)
	v_pk_add_f32 v[54:55], v[54:55], v[60:61]
	v_pk_fma_f32 v[60:61], v[114:115], v[94:95], v[56:57] op_sel_hi:[1,0,1]
	v_pk_mul_f32 v[58:59], v[154:155], v[58:59] op_sel_hi:[1,0]
	v_dual_mov_b32 v67, v65 :: v_dual_ashrrev_i32 v29, 31, v28
	v_pk_add_f32 v[54:55], v[54:55], v[62:63]
	v_pk_fma_f32 v[56:57], v[114:115], v[94:95], v[56:57] neg_lo:[0,0,1] neg_hi:[0,0,1]
	v_dual_mov_b32 v57, v61 :: v_dual_ashrrev_i32 v31, 31, v30
	v_pk_fma_f32 v[60:61], v[116:117], v[96:97], v[58:59] op_sel_hi:[1,0,1]
	s_delay_alu instid0(VALU_DEP_4)
	v_pk_add_f32 v[54:55], v[54:55], v[66:67]
	s_wait_loadcnt_dscnt 0x100
	v_pk_mul_f32 v[62:63], v[146:147], v[142:143] op_sel:[1,1] op_sel_hi:[0,1]
	v_pk_fma_f32 v[58:59], v[116:117], v[96:97], v[58:59] neg_lo:[0,0,1] neg_hi:[0,0,1]
	v_dual_ashrrev_i32 v33, 31, v32 :: v_dual_mov_b32 v59, v61
	v_pk_add_f32 v[54:55], v[54:55], v[56:57]
	s_delay_alu instid0(VALU_DEP_4)
	v_pk_fma_f32 v[56:57], v[146:147], v[142:143], v[62:63] op_sel_hi:[1,0,1]
	v_pk_fma_f32 v[60:61], v[146:147], v[142:143], v[62:63] neg_lo:[0,0,1] neg_hi:[0,0,1]
	v_dual_ashrrev_i32 v35, 31, v34 :: v_dual_ashrrev_i32 v37, 31, v36
	v_ashrrev_i32_e32 v39, 31, v38
	v_pk_add_f32 v[54:55], v[54:55], v[58:59]
	v_dual_mov_b32 v61, v57 :: v_dual_ashrrev_i32 v41, 31, v40
	v_dual_ashrrev_i32 v43, 31, v42 :: v_dual_ashrrev_i32 v45, 31, v44
	v_ashrrev_i32_e32 v47, 31, v46
	s_delay_alu instid0(VALU_DEP_3) | instskip(SKIP_2) | instid1(VALU_DEP_2)
	v_pk_add_f32 v[54:55], v[54:55], v[60:61]
	v_dual_ashrrev_i32 v49, 31, v48 :: v_dual_ashrrev_i32 v51, 31, v50
	s_wait_loadcnt 0x0
	v_pk_add_f32 v[54:55], v[144:145], v[54:55] neg_lo:[0,1] neg_hi:[0,1]
	scratch_store_b64 off, v[54:55], off offset:8
	s_wait_xcnt 0x0
	v_cmpx_ne_u32_e32 0, v0
	s_cbranch_execz .LBB88_163
; %bb.162:
	scratch_load_b64 v[54:55], off, off
	v_mov_b64_e32 v[56:57], 0
	scratch_store_b64 off, v[56:57], off
	s_wait_loadcnt 0x0
	ds_store_b64 v1, v[54:55]
.LBB88_163:
	s_wait_xcnt 0x0
	s_or_b32 exec_lo, exec_lo, s0
	s_wait_storecnt_dscnt 0x0
	s_barrier_signal -1
	s_barrier_wait -1
	s_clause 0xc
	scratch_load_b128 v[54:57], off, off offset:8
	scratch_load_b128 v[58:61], off, off offset:24
	;; [unrolled: 1-line block ×12, first 2 shown]
	scratch_load_b64 v[0:1], off, off
	ds_load_2addr_b64 v[102:105], v52 offset0:43 offset1:44
	ds_load_2addr_b64 v[106:109], v52 offset0:45 offset1:46
	;; [unrolled: 1-line block ×12, first 2 shown]
	s_and_b32 vcc_lo, exec_lo, s12
	s_wait_dscnt 0xb
	v_dual_mov_b32 v52, v105 :: v_dual_mov_b32 v53, v104
	s_wait_dscnt 0xa
	v_dual_mov_b32 v150, v109 :: v_dual_mov_b32 v151, v108
	;; [unrolled: 2-line block ×4, first 2 shown]
	s_wait_loadcnt_dscnt 0xc07
	v_dual_mul_f32 v156, v118, v55 :: v_dual_mul_f32 v158, v120, v57
	v_dual_mul_f32 v55, v119, v55 :: v_dual_mul_f32 v57, v121, v57
	s_wait_loadcnt_dscnt 0x904
	v_dual_mul_f32 v164, v130, v67 :: v_dual_mul_f32 v165, v132, v69
	v_mul_f32_e32 v67, v131, v67
	s_delay_alu instid0(VALU_DEP_3)
	v_dual_fmac_f32 v156, v119, v54 :: v_dual_fma_f32 v54, v118, v54, -v55
	v_dual_mul_f32 v160, v122, v59 :: v_dual_mul_f32 v161, v124, v61
	v_dual_mul_f32 v59, v123, v59 :: v_dual_mul_f32 v61, v125, v61
	v_mul_f32_e32 v55, v133, v69
	v_dual_fmac_f32 v158, v121, v56 :: v_dual_fma_f32 v56, v120, v56, -v57
	v_dual_add_f32 v57, 0, v156 :: v_dual_add_f32 v54, 0, v54
	s_wait_loadcnt_dscnt 0x803
	v_mul_f32_e32 v69, v135, v71
	v_dual_fmac_f32 v160, v123, v58 :: v_dual_fma_f32 v58, v122, v58, -v59
	s_delay_alu instid0(VALU_DEP_3) | instskip(SKIP_3) | instid1(VALU_DEP_3)
	v_dual_add_f32 v57, v57, v158 :: v_dual_fma_f32 v59, v124, v60, -v61
	v_add_f32_e32 v54, v54, v56
	v_dual_mul_f32 v162, v126, v63 :: v_dual_mul_f32 v163, v128, v65
	v_dual_mul_f32 v63, v127, v63 :: v_dual_mul_f32 v65, v129, v65
	v_dual_mul_f32 v56, v137, v73 :: v_dual_add_f32 v54, v54, v58
	s_wait_loadcnt_dscnt 0x702
	v_dual_fmac_f32 v161, v125, v60 :: v_dual_mul_f32 v58, v139, v75
	v_dual_add_f32 v57, v57, v160 :: v_dual_fmac_f32 v162, v127, v62
	v_fma_f32 v60, v126, v62, -v63
	v_dual_add_f32 v54, v54, v59 :: v_dual_mul_f32 v59, v141, v77
	s_delay_alu instid0(VALU_DEP_3) | instskip(SKIP_2) | instid1(VALU_DEP_3)
	v_add_f32_e32 v57, v57, v161
	v_dual_fmac_f32 v163, v129, v64 :: v_dual_fma_f32 v61, v128, v64, -v65
	s_wait_loadcnt_dscnt 0x601
	v_dual_add_f32 v54, v54, v60 :: v_dual_mul_f32 v60, v143, v79
	v_fma_f32 v62, v130, v66, -v67
	v_add_f32_e32 v57, v57, v162
	s_delay_alu instid0(VALU_DEP_3) | instskip(SKIP_1) | instid1(VALU_DEP_3)
	v_dual_fmac_f32 v164, v131, v66 :: v_dual_add_f32 v54, v54, v61
	v_dual_fmac_f32 v165, v133, v68 :: v_dual_mul_f32 v166, v134, v71
	v_dual_mul_f32 v167, v136, v73 :: v_dual_add_f32 v57, v57, v163
	v_dual_mul_f32 v61, v145, v81 :: v_dual_fma_f32 v55, v132, v68, -v55
	s_wait_loadcnt_dscnt 0x500
	v_dual_add_f32 v54, v54, v62 :: v_dual_mul_f32 v64, v147, v83
	s_delay_alu instid0(VALU_DEP_3) | instskip(NEXT) | instid1(VALU_DEP_2)
	v_dual_fma_f32 v62, v134, v70, -v69 :: v_dual_add_f32 v57, v57, v164
	v_dual_fmac_f32 v166, v135, v70 :: v_dual_add_f32 v54, v54, v55
	v_dual_mul_f32 v66, v149, v85 :: v_dual_mul_f32 v168, v138, v75
	v_mul_f32_e32 v169, v140, v77
	s_delay_alu instid0(VALU_DEP_4) | instskip(SKIP_3) | instid1(VALU_DEP_4)
	v_add_f32_e32 v57, v57, v165
	v_dual_fmac_f32 v167, v137, v72 :: v_dual_fma_f32 v56, v136, v72, -v56
	v_add_f32_e32 v62, v54, v62
	v_dual_fmac_f32 v168, v139, v74 :: v_dual_fma_f32 v58, v138, v74, -v58
	v_dual_add_f32 v57, v57, v166 :: v_dual_mul_f32 v170, v142, v79
	s_delay_alu instid0(VALU_DEP_3) | instskip(SKIP_2) | instid1(VALU_DEP_3)
	v_dual_mul_f32 v171, v144, v81 :: v_dual_add_f32 v62, v62, v56
	s_wait_loadcnt 0x4
	v_dual_mov_b32 v56, v89 :: v_dual_fma_f32 v63, v140, v76, -v59
	v_add_f32_e32 v57, v57, v167
	s_delay_alu instid0(VALU_DEP_3) | instskip(SKIP_1) | instid1(VALU_DEP_3)
	v_dual_fmac_f32 v169, v141, v76 :: v_dual_add_f32 v62, v62, v58
	v_dual_fmac_f32 v170, v143, v78 :: v_dual_mul_f32 v157, v146, v83
	v_dual_mul_f32 v159, v148, v85 :: v_dual_add_f32 v57, v57, v168
	v_fma_f32 v65, v142, v78, -v60
	s_wait_loadcnt 0x3
	v_dual_add_f32 v62, v62, v63 :: v_dual_mov_b32 v60, v93
	v_dual_fmac_f32 v171, v145, v80 :: v_dual_fma_f32 v61, v144, v80, -v61
	v_add_f32_e32 v57, v57, v169
	s_delay_alu instid0(VALU_DEP_3) | instskip(SKIP_2) | instid1(VALU_DEP_3)
	v_add_f32_e32 v67, v62, v65
	v_pk_mul_f32 v[54:55], v[102:103], v[86:87] op_sel:[1,1] op_sel_hi:[0,1]
	v_dual_fmac_f32 v157, v147, v82 :: v_dual_fma_f32 v156, v146, v82, -v64
	v_dual_add_f32 v57, v57, v170 :: v_dual_add_f32 v64, v67, v61
	v_dual_fmac_f32 v159, v149, v84 :: v_dual_fma_f32 v158, v148, v84, -v66
	s_delay_alu instid0(VALU_DEP_4) | instskip(NEXT) | instid1(VALU_DEP_3)
	v_pk_fma_f32 v[66:67], v[102:103], v[86:87], v[54:55] op_sel_hi:[1,0,1]
	v_add_f32_e32 v65, v57, v171
	v_pk_mul_f32 v[52:53], v[52:53], v[56:57] op_sel_hi:[1,0]
	v_pk_fma_f32 v[54:55], v[102:103], v[86:87], v[54:55] neg_lo:[0,0,1] neg_hi:[0,0,1]
	v_pk_mul_f32 v[58:59], v[106:107], v[90:91] op_sel:[1,1] op_sel_hi:[0,1]
	v_mov_b32_e32 v55, v67
	v_pk_add_f32 v[56:57], v[64:65], v[156:157]
	s_wait_loadcnt 0x2
	v_mov_b32_e32 v64, v97
	v_pk_fma_f32 v[66:67], v[104:105], v[88:89], v[52:53] op_sel_hi:[1,0,1]
	v_pk_fma_f32 v[52:53], v[104:105], v[88:89], v[52:53] neg_lo:[0,0,1] neg_hi:[0,0,1]
	v_pk_fma_f32 v[68:69], v[106:107], v[90:91], v[58:59] op_sel_hi:[1,0,1]
	v_pk_add_f32 v[56:57], v[56:57], v[158:159]
	v_pk_mul_f32 v[60:61], v[150:151], v[60:61] op_sel_hi:[1,0]
	v_mov_b32_e32 v53, v67
	v_pk_fma_f32 v[58:59], v[106:107], v[90:91], v[58:59] neg_lo:[0,0,1] neg_hi:[0,0,1]
	v_pk_mul_f32 v[62:63], v[110:111], v[94:95] op_sel:[1,1] op_sel_hi:[0,1]
	v_pk_add_f32 v[54:55], v[56:57], v[54:55]
	v_mov_b32_e32 v59, v69
	v_pk_fma_f32 v[66:67], v[108:109], v[92:93], v[60:61] op_sel_hi:[1,0,1]
	v_pk_fma_f32 v[60:61], v[108:109], v[92:93], v[60:61] neg_lo:[0,0,1] neg_hi:[0,0,1]
	v_pk_mul_f32 v[64:65], v[152:153], v[64:65] op_sel_hi:[1,0]
	v_pk_add_f32 v[52:53], v[54:55], v[52:53]
	v_pk_fma_f32 v[54:55], v[110:111], v[94:95], v[62:63] op_sel_hi:[1,0,1]
	s_wait_loadcnt 0x1
	v_dual_mov_b32 v61, v67 :: v_dual_mov_b32 v54, v101
	v_pk_mul_f32 v[56:57], v[114:115], v[98:99] op_sel:[1,1] op_sel_hi:[0,1]
	v_pk_add_f32 v[52:53], v[52:53], v[58:59]
	v_pk_fma_f32 v[58:59], v[110:111], v[94:95], v[62:63] neg_lo:[0,0,1] neg_hi:[0,0,1]
	v_pk_fma_f32 v[62:63], v[112:113], v[96:97], v[64:65] op_sel_hi:[1,0,1]
	v_mov_b32_e32 v59, v55
	v_pk_fma_f32 v[64:65], v[112:113], v[96:97], v[64:65] neg_lo:[0,0,1] neg_hi:[0,0,1]
	v_pk_add_f32 v[52:53], v[52:53], v[60:61]
	v_pk_fma_f32 v[60:61], v[114:115], v[98:99], v[56:57] op_sel_hi:[1,0,1]
	v_pk_mul_f32 v[54:55], v[154:155], v[54:55] op_sel_hi:[1,0]
	v_mov_b32_e32 v65, v63
	v_pk_fma_f32 v[56:57], v[114:115], v[98:99], v[56:57] neg_lo:[0,0,1] neg_hi:[0,0,1]
	v_pk_add_f32 v[52:53], v[52:53], v[58:59]
	s_delay_alu instid0(VALU_DEP_4) | instskip(SKIP_2) | instid1(VALU_DEP_4)
	v_pk_fma_f32 v[58:59], v[116:117], v[100:101], v[54:55] op_sel_hi:[1,0,1]
	v_mov_b32_e32 v57, v61
	v_pk_fma_f32 v[54:55], v[116:117], v[100:101], v[54:55] neg_lo:[0,0,1] neg_hi:[0,0,1]
	v_pk_add_f32 v[52:53], v[52:53], v[64:65]
	s_delay_alu instid0(VALU_DEP_4) | instskip(NEXT) | instid1(VALU_DEP_2)
	v_mov_b32_e32 v55, v59
	v_pk_add_f32 v[52:53], v[52:53], v[56:57]
	s_delay_alu instid0(VALU_DEP_1) | instskip(SKIP_1) | instid1(VALU_DEP_1)
	v_pk_add_f32 v[52:53], v[52:53], v[54:55]
	s_wait_loadcnt 0x0
	v_pk_add_f32 v[0:1], v[0:1], v[52:53] neg_lo:[0,1] neg_hi:[0,1]
	scratch_store_b64 off, v[0:1], off
	s_cbranch_vccz .LBB88_212
; %bb.164:
	s_wait_xcnt 0x0
	v_mov_b32_e32 v0, 0
	global_load_b32 v1, v0, s[8:9] offset:92
	s_wait_loadcnt 0x0
	v_cmp_ne_u32_e32 vcc_lo, 24, v1
	s_cbranch_vccz .LBB88_166
; %bb.165:
	v_lshlrev_b32_e32 v1, 3, v1
	scratch_load_b64 v[52:53], v1, off offset:-8
	scratch_load_b64 v[54:55], off, off offset:184
	s_wait_loadcnt 0x1
	scratch_store_b64 off, v[52:53], off offset:184
	s_wait_loadcnt 0x0
	scratch_store_b64 v1, v[54:55], off offset:-8
.LBB88_166:
	global_load_b32 v0, v0, s[8:9] offset:88
	s_wait_loadcnt 0x0
	v_cmp_eq_u32_e32 vcc_lo, 23, v0
	s_cbranch_vccnz .LBB88_168
; %bb.167:
	s_wait_xcnt 0x0
	v_lshlrev_b32_e32 v0, 3, v0
	s_delay_alu instid0(VALU_DEP_1)
	v_mov_b32_e32 v54, v0
	scratch_load_b64 v[0:1], v54, off offset:-8
	scratch_load_b64 v[52:53], off, off offset:176
	s_wait_loadcnt 0x1
	scratch_store_b64 off, v[0:1], off offset:176
	s_wait_loadcnt 0x0
	scratch_store_b64 v54, v[52:53], off offset:-8
.LBB88_168:
	s_wait_xcnt 0x0
	v_mov_b32_e32 v0, 0
	global_load_b32 v1, v0, s[8:9] offset:84
	s_wait_loadcnt 0x0
	v_cmp_eq_u32_e32 vcc_lo, 22, v1
	s_cbranch_vccnz .LBB88_170
; %bb.169:
	v_lshlrev_b32_e32 v1, 3, v1
	scratch_load_b64 v[52:53], v1, off offset:-8
	scratch_load_b64 v[54:55], off, off offset:168
	s_wait_loadcnt 0x1
	scratch_store_b64 off, v[52:53], off offset:168
	s_wait_loadcnt 0x0
	scratch_store_b64 v1, v[54:55], off offset:-8
.LBB88_170:
	global_load_b32 v0, v0, s[8:9] offset:80
	s_wait_loadcnt 0x0
	v_cmp_eq_u32_e32 vcc_lo, 21, v0
	s_cbranch_vccnz .LBB88_172
; %bb.171:
	s_wait_xcnt 0x0
	v_lshlrev_b32_e32 v0, 3, v0
	s_delay_alu instid0(VALU_DEP_1)
	v_mov_b32_e32 v54, v0
	scratch_load_b64 v[0:1], v54, off offset:-8
	scratch_load_b64 v[52:53], off, off offset:160
	s_wait_loadcnt 0x1
	scratch_store_b64 off, v[0:1], off offset:160
	s_wait_loadcnt 0x0
	scratch_store_b64 v54, v[52:53], off offset:-8
.LBB88_172:
	s_wait_xcnt 0x0
	v_mov_b32_e32 v0, 0
	global_load_b32 v1, v0, s[8:9] offset:76
	s_wait_loadcnt 0x0
	v_cmp_eq_u32_e32 vcc_lo, 20, v1
	s_cbranch_vccnz .LBB88_174
; %bb.173:
	v_lshlrev_b32_e32 v1, 3, v1
	scratch_load_b64 v[52:53], v1, off offset:-8
	scratch_load_b64 v[54:55], off, off offset:152
	s_wait_loadcnt 0x1
	scratch_store_b64 off, v[52:53], off offset:152
	s_wait_loadcnt 0x0
	scratch_store_b64 v1, v[54:55], off offset:-8
.LBB88_174:
	;; [unrolled: 31-line block ×11, first 2 shown]
	global_load_b32 v52, v0, s[8:9]
	scratch_load_b64 v[0:1], off, off
	s_wait_loadcnt 0x1
	v_cmp_eq_u32_e32 vcc_lo, 1, v52
	s_cbranch_vccnz .LBB88_212
; %bb.211:
	v_lshlrev_b32_e32 v52, 3, v52
	s_delay_alu instid0(VALU_DEP_1)
	v_mov_b32_e32 v54, v52
	scratch_load_b64 v[52:53], v54, off offset:-8
	s_wait_loadcnt 0x0
	scratch_store_b64 off, v[52:53], off
	scratch_store_b64 v54, v[0:1], off offset:-8
	scratch_load_b64 v[0:1], off, off
.LBB88_212:
	s_wait_loadcnt 0x0
	flat_store_b64 v[2:3], v[0:1]
	scratch_load_b64 v[0:1], off, off offset:8
	v_lshl_add_u64 v[72:73], v[6:7], 3, s[2:3]
	v_lshl_add_u64 v[70:71], v[8:9], 3, s[2:3]
	;; [unrolled: 1-line block ×23, first 2 shown]
	s_wait_loadcnt 0x0
	flat_store_b64 v[4:5], v[0:1]
	scratch_load_b64 v[0:1], off, off offset:16
	s_wait_loadcnt 0x0
	flat_store_b64 v[72:73], v[0:1]
	scratch_load_b64 v[0:1], off, off offset:24
	;; [unrolled: 3-line block ×23, first 2 shown]
	s_wait_loadcnt 0x0
	flat_store_b64 v[6:7], v[0:1]
	s_sendmsg sendmsg(MSG_DEALLOC_VGPRS)
	s_endpgm
	.section	.rodata,"a",@progbits
	.p2align	6, 0x0
	.amdhsa_kernel _ZN9rocsolver6v33100L18getri_kernel_smallILi25E19rocblas_complex_numIfEPKPS3_EEvT1_iilPiilS8_bb
		.amdhsa_group_segment_fixed_size 408
		.amdhsa_private_segment_fixed_size 208
		.amdhsa_kernarg_size 60
		.amdhsa_user_sgpr_count 2
		.amdhsa_user_sgpr_dispatch_ptr 0
		.amdhsa_user_sgpr_queue_ptr 0
		.amdhsa_user_sgpr_kernarg_segment_ptr 1
		.amdhsa_user_sgpr_dispatch_id 0
		.amdhsa_user_sgpr_kernarg_preload_length 0
		.amdhsa_user_sgpr_kernarg_preload_offset 0
		.amdhsa_user_sgpr_private_segment_size 0
		.amdhsa_wavefront_size32 1
		.amdhsa_uses_dynamic_stack 0
		.amdhsa_enable_private_segment 1
		.amdhsa_system_sgpr_workgroup_id_x 1
		.amdhsa_system_sgpr_workgroup_id_y 0
		.amdhsa_system_sgpr_workgroup_id_z 0
		.amdhsa_system_sgpr_workgroup_info 0
		.amdhsa_system_vgpr_workitem_id 0
		.amdhsa_next_free_vgpr 172
		.amdhsa_next_free_sgpr 19
		.amdhsa_named_barrier_count 0
		.amdhsa_reserve_vcc 1
		.amdhsa_float_round_mode_32 0
		.amdhsa_float_round_mode_16_64 0
		.amdhsa_float_denorm_mode_32 3
		.amdhsa_float_denorm_mode_16_64 3
		.amdhsa_fp16_overflow 0
		.amdhsa_memory_ordered 1
		.amdhsa_forward_progress 1
		.amdhsa_inst_pref_size 241
		.amdhsa_round_robin_scheduling 0
		.amdhsa_exception_fp_ieee_invalid_op 0
		.amdhsa_exception_fp_denorm_src 0
		.amdhsa_exception_fp_ieee_div_zero 0
		.amdhsa_exception_fp_ieee_overflow 0
		.amdhsa_exception_fp_ieee_underflow 0
		.amdhsa_exception_fp_ieee_inexact 0
		.amdhsa_exception_int_div_zero 0
	.end_amdhsa_kernel
	.section	.text._ZN9rocsolver6v33100L18getri_kernel_smallILi25E19rocblas_complex_numIfEPKPS3_EEvT1_iilPiilS8_bb,"axG",@progbits,_ZN9rocsolver6v33100L18getri_kernel_smallILi25E19rocblas_complex_numIfEPKPS3_EEvT1_iilPiilS8_bb,comdat
.Lfunc_end88:
	.size	_ZN9rocsolver6v33100L18getri_kernel_smallILi25E19rocblas_complex_numIfEPKPS3_EEvT1_iilPiilS8_bb, .Lfunc_end88-_ZN9rocsolver6v33100L18getri_kernel_smallILi25E19rocblas_complex_numIfEPKPS3_EEvT1_iilPiilS8_bb
                                        ; -- End function
	.set _ZN9rocsolver6v33100L18getri_kernel_smallILi25E19rocblas_complex_numIfEPKPS3_EEvT1_iilPiilS8_bb.num_vgpr, 172
	.set _ZN9rocsolver6v33100L18getri_kernel_smallILi25E19rocblas_complex_numIfEPKPS3_EEvT1_iilPiilS8_bb.num_agpr, 0
	.set _ZN9rocsolver6v33100L18getri_kernel_smallILi25E19rocblas_complex_numIfEPKPS3_EEvT1_iilPiilS8_bb.numbered_sgpr, 19
	.set _ZN9rocsolver6v33100L18getri_kernel_smallILi25E19rocblas_complex_numIfEPKPS3_EEvT1_iilPiilS8_bb.num_named_barrier, 0
	.set _ZN9rocsolver6v33100L18getri_kernel_smallILi25E19rocblas_complex_numIfEPKPS3_EEvT1_iilPiilS8_bb.private_seg_size, 208
	.set _ZN9rocsolver6v33100L18getri_kernel_smallILi25E19rocblas_complex_numIfEPKPS3_EEvT1_iilPiilS8_bb.uses_vcc, 1
	.set _ZN9rocsolver6v33100L18getri_kernel_smallILi25E19rocblas_complex_numIfEPKPS3_EEvT1_iilPiilS8_bb.uses_flat_scratch, 1
	.set _ZN9rocsolver6v33100L18getri_kernel_smallILi25E19rocblas_complex_numIfEPKPS3_EEvT1_iilPiilS8_bb.has_dyn_sized_stack, 0
	.set _ZN9rocsolver6v33100L18getri_kernel_smallILi25E19rocblas_complex_numIfEPKPS3_EEvT1_iilPiilS8_bb.has_recursion, 0
	.set _ZN9rocsolver6v33100L18getri_kernel_smallILi25E19rocblas_complex_numIfEPKPS3_EEvT1_iilPiilS8_bb.has_indirect_call, 0
	.section	.AMDGPU.csdata,"",@progbits
; Kernel info:
; codeLenInByte = 30760
; TotalNumSgprs: 21
; NumVgprs: 172
; ScratchSize: 208
; MemoryBound: 0
; FloatMode: 240
; IeeeMode: 1
; LDSByteSize: 408 bytes/workgroup (compile time only)
; SGPRBlocks: 0
; VGPRBlocks: 10
; NumSGPRsForWavesPerEU: 21
; NumVGPRsForWavesPerEU: 172
; NamedBarCnt: 0
; Occupancy: 5
; WaveLimiterHint : 1
; COMPUTE_PGM_RSRC2:SCRATCH_EN: 1
; COMPUTE_PGM_RSRC2:USER_SGPR: 2
; COMPUTE_PGM_RSRC2:TRAP_HANDLER: 0
; COMPUTE_PGM_RSRC2:TGID_X_EN: 1
; COMPUTE_PGM_RSRC2:TGID_Y_EN: 0
; COMPUTE_PGM_RSRC2:TGID_Z_EN: 0
; COMPUTE_PGM_RSRC2:TIDIG_COMP_CNT: 0
	.section	.text._ZN9rocsolver6v33100L18getri_kernel_smallILi26E19rocblas_complex_numIfEPKPS3_EEvT1_iilPiilS8_bb,"axG",@progbits,_ZN9rocsolver6v33100L18getri_kernel_smallILi26E19rocblas_complex_numIfEPKPS3_EEvT1_iilPiilS8_bb,comdat
	.globl	_ZN9rocsolver6v33100L18getri_kernel_smallILi26E19rocblas_complex_numIfEPKPS3_EEvT1_iilPiilS8_bb ; -- Begin function _ZN9rocsolver6v33100L18getri_kernel_smallILi26E19rocblas_complex_numIfEPKPS3_EEvT1_iilPiilS8_bb
	.p2align	8
	.type	_ZN9rocsolver6v33100L18getri_kernel_smallILi26E19rocblas_complex_numIfEPKPS3_EEvT1_iilPiilS8_bb,@function
_ZN9rocsolver6v33100L18getri_kernel_smallILi26E19rocblas_complex_numIfEPKPS3_EEvT1_iilPiilS8_bb: ; @_ZN9rocsolver6v33100L18getri_kernel_smallILi26E19rocblas_complex_numIfEPKPS3_EEvT1_iilPiilS8_bb
; %bb.0:
	s_mov_b32 s2, exec_lo
	v_cmpx_gt_u32_e32 26, v0
	s_cbranch_execz .LBB89_118
; %bb.1:
	s_clause 0x1
	s_load_b32 s13, s[0:1], 0x38
	s_load_b64 s[2:3], s[0:1], 0x0
	s_getreg_b32 s6, hwreg(HW_REG_IB_STS2, 6, 4)
	s_wait_kmcnt 0x0
	s_bitcmp1_b32 s13, 8
	s_cselect_b32 s12, -1, 0
	s_bfe_u32 s4, ttmp6, 0x4000c
	s_and_b32 s5, ttmp6, 15
	s_add_co_i32 s4, s4, 1
	s_delay_alu instid0(SALU_CYCLE_1) | instskip(NEXT) | instid1(SALU_CYCLE_1)
	s_mul_i32 s4, ttmp9, s4
	s_add_co_i32 s5, s5, s4
	s_cmp_eq_u32 s6, 0
	s_cselect_b32 s10, ttmp9, s5
	s_load_b128 s[4:7], s[0:1], 0x28
	s_ashr_i32 s11, s10, 31
	s_delay_alu instid0(SALU_CYCLE_1) | instskip(NEXT) | instid1(SALU_CYCLE_1)
	s_lshl_b64 s[8:9], s[10:11], 3
	s_add_nc_u64 s[2:3], s[2:3], s[8:9]
	s_bfe_u32 s8, s13, 0x10008
	s_load_b64 s[2:3], s[2:3], 0x0
	s_cmp_eq_u32 s8, 0
                                        ; implicit-def: $sgpr8_sgpr9
	s_cbranch_scc1 .LBB89_3
; %bb.2:
	s_load_b96 s[16:18], s[0:1], 0x18
	s_wait_kmcnt 0x0
	s_mul_u64 s[4:5], s[4:5], s[10:11]
	s_delay_alu instid0(SALU_CYCLE_1) | instskip(SKIP_4) | instid1(SALU_CYCLE_1)
	s_lshl_b64 s[4:5], s[4:5], 2
	s_ashr_i32 s9, s18, 31
	s_mov_b32 s8, s18
	s_add_nc_u64 s[4:5], s[16:17], s[4:5]
	s_lshl_b64 s[8:9], s[8:9], 2
	s_add_nc_u64 s[8:9], s[4:5], s[8:9]
.LBB89_3:
	s_wait_kmcnt 0x0
	s_clause 0x1
	s_load_b64 s[4:5], s[0:1], 0x8
	s_load_b32 s13, s[0:1], 0x38
	v_dual_mov_b32 v55, 0 :: v_dual_lshlrev_b32 v54, 3, v0
	s_wait_kmcnt 0x0
	s_ashr_i32 s1, s4, 31
	s_mov_b32 s0, s4
	s_delay_alu instid0(SALU_CYCLE_1) | instskip(NEXT) | instid1(SALU_CYCLE_1)
	s_lshl_b64 s[0:1], s[0:1], 3
	s_add_nc_u64 s[2:3], s[2:3], s[0:1]
	s_ashr_i32 s1, s5, 31
	flat_load_b64 v[6:7], v0, s[2:3] scale_offset
	v_add_nc_u64_e32 v[2:3], s[2:3], v[54:55]
	s_mov_b32 s0, s5
	s_bitcmp0_b32 s13, 0
	s_delay_alu instid0(VALU_DEP_1)
	v_lshl_add_u64 v[4:5], s[0:1], 3, v[2:3]
	s_mov_b32 s1, -1
	s_wait_loadcnt_dscnt 0x0
	scratch_store_b64 off, v[6:7], off
	flat_load_b64 v[8:9], v[4:5]
	s_wait_xcnt 0x1
	v_add3_u32 v6, s5, s5, v0
	s_wait_loadcnt_dscnt 0x0
	scratch_store_b64 off, v[8:9], off offset:8
	flat_load_b64 v[10:11], v6, s[2:3] scale_offset
	s_wait_xcnt 0x1
	v_add_nc_u32_e32 v8, s5, v6
	s_wait_loadcnt_dscnt 0x0
	scratch_store_b64 off, v[10:11], off offset:16
	flat_load_b64 v[12:13], v8, s[2:3] scale_offset
	s_wait_xcnt 0x1
	v_add_nc_u32_e32 v10, s5, v8
	;; [unrolled: 5-line block ×23, first 2 shown]
	s_wait_loadcnt_dscnt 0x0
	scratch_store_b64 off, v[56:57], off offset:192
	flat_load_b64 v[56:57], v52, s[2:3] scale_offset
	s_wait_loadcnt_dscnt 0x0
	scratch_store_b64 off, v[56:57], off offset:200
	s_cbranch_scc1 .LBB89_116
; %bb.4:
	v_cmp_eq_u32_e64 s0, 0, v0
	s_wait_xcnt 0x0
	s_and_saveexec_b32 s1, s0
; %bb.5:
	v_mov_b32_e32 v1, 0
	ds_store_b32 v1, v1 offset:416
; %bb.6:
	s_or_b32 exec_lo, exec_lo, s1
	s_wait_storecnt_dscnt 0x0
	s_barrier_signal -1
	s_barrier_wait -1
	scratch_load_b64 v[56:57], v0, off scale_offset
	s_wait_loadcnt 0x0
	v_cmp_eq_f32_e32 vcc_lo, 0, v56
	v_cmp_eq_f32_e64 s1, 0, v57
	s_and_b32 s1, vcc_lo, s1
	s_delay_alu instid0(SALU_CYCLE_1)
	s_and_saveexec_b32 s4, s1
	s_cbranch_execz .LBB89_10
; %bb.7:
	v_mov_b32_e32 v1, 0
	s_mov_b32 s5, 0
	ds_load_b32 v7, v1 offset:416
	s_wait_dscnt 0x0
	v_readfirstlane_b32 s1, v7
	v_add_nc_u32_e32 v7, 1, v0
	s_cmp_eq_u32 s1, 0
	s_delay_alu instid0(VALU_DEP_1) | instskip(SKIP_1) | instid1(SALU_CYCLE_1)
	v_cmp_gt_i32_e32 vcc_lo, s1, v7
	s_cselect_b32 s13, -1, 0
	s_or_b32 s13, s13, vcc_lo
	s_delay_alu instid0(SALU_CYCLE_1)
	s_and_b32 exec_lo, exec_lo, s13
	s_cbranch_execz .LBB89_10
; %bb.8:
	v_mov_b32_e32 v9, s1
.LBB89_9:                               ; =>This Inner Loop Header: Depth=1
	ds_cmpstore_rtn_b32 v9, v1, v7, v9 offset:416
	s_wait_dscnt 0x0
	v_cmp_ne_u32_e32 vcc_lo, 0, v9
	v_cmp_le_i32_e64 s1, v9, v7
	s_and_b32 s1, vcc_lo, s1
	s_delay_alu instid0(SALU_CYCLE_1) | instskip(NEXT) | instid1(SALU_CYCLE_1)
	s_and_b32 s1, exec_lo, s1
	s_or_b32 s5, s1, s5
	s_delay_alu instid0(SALU_CYCLE_1)
	s_and_not1_b32 exec_lo, exec_lo, s5
	s_cbranch_execnz .LBB89_9
.LBB89_10:
	s_or_b32 exec_lo, exec_lo, s4
	v_mov_b32_e32 v1, 0
	s_barrier_signal -1
	s_barrier_wait -1
	ds_load_b32 v7, v1 offset:416
	s_and_saveexec_b32 s1, s0
	s_cbranch_execz .LBB89_12
; %bb.11:
	s_lshl_b64 s[4:5], s[10:11], 2
	s_delay_alu instid0(SALU_CYCLE_1)
	s_add_nc_u64 s[4:5], s[6:7], s[4:5]
	s_wait_dscnt 0x0
	global_store_b32 v1, v7, s[4:5]
.LBB89_12:
	s_wait_xcnt 0x0
	s_or_b32 exec_lo, exec_lo, s1
	s_wait_dscnt 0x0
	v_cmp_ne_u32_e32 vcc_lo, 0, v7
	s_mov_b32 s1, 0
	s_cbranch_vccnz .LBB89_116
; %bb.13:
	v_lshl_add_u32 v7, v0, 3, 0
                                        ; implicit-def: $vgpr59
                                        ; implicit-def: $vgpr60
	scratch_load_b64 v[56:57], v7, off
	s_wait_loadcnt 0x0
	v_cmp_ngt_f32_e64 s1, |v56|, |v57|
	s_wait_xcnt 0x0
	s_and_saveexec_b32 s4, s1
	s_delay_alu instid0(SALU_CYCLE_1)
	s_xor_b32 s1, exec_lo, s4
	s_cbranch_execz .LBB89_15
; %bb.14:
	v_div_scale_f32 v1, null, v57, v57, v56
	v_div_scale_f32 v13, vcc_lo, v56, v57, v56
	s_delay_alu instid0(VALU_DEP_2) | instskip(SKIP_1) | instid1(TRANS32_DEP_1)
	v_rcp_f32_e32 v9, v1
	v_nop
	v_fma_f32 v11, -v1, v9, 1.0
	s_delay_alu instid0(VALU_DEP_1) | instskip(NEXT) | instid1(VALU_DEP_1)
	v_fmac_f32_e32 v9, v11, v9
	v_mul_f32_e32 v11, v13, v9
	s_delay_alu instid0(VALU_DEP_1) | instskip(NEXT) | instid1(VALU_DEP_1)
	v_fma_f32 v15, -v1, v11, v13
	v_fmac_f32_e32 v11, v15, v9
	s_delay_alu instid0(VALU_DEP_1) | instskip(NEXT) | instid1(VALU_DEP_1)
	v_fma_f32 v1, -v1, v11, v13
	v_div_fmas_f32 v1, v1, v9, v11
	s_delay_alu instid0(VALU_DEP_1) | instskip(NEXT) | instid1(VALU_DEP_1)
	v_div_fixup_f32 v1, v1, v57, v56
	v_fmac_f32_e32 v57, v56, v1
	s_delay_alu instid0(VALU_DEP_1) | instskip(NEXT) | instid1(VALU_DEP_1)
	v_div_scale_f32 v9, null, v57, v57, -1.0
	v_rcp_f32_e32 v11, v9
	v_nop
	s_delay_alu instid0(TRANS32_DEP_1) | instskip(NEXT) | instid1(VALU_DEP_1)
	v_fma_f32 v13, -v9, v11, 1.0
	v_fmac_f32_e32 v11, v13, v11
	v_div_scale_f32 v13, vcc_lo, -1.0, v57, -1.0
	s_delay_alu instid0(VALU_DEP_1) | instskip(NEXT) | instid1(VALU_DEP_1)
	v_mul_f32_e32 v15, v13, v11
	v_fma_f32 v17, -v9, v15, v13
	s_delay_alu instid0(VALU_DEP_1) | instskip(NEXT) | instid1(VALU_DEP_1)
	v_fmac_f32_e32 v15, v17, v11
	v_fma_f32 v9, -v9, v15, v13
	s_delay_alu instid0(VALU_DEP_1) | instskip(NEXT) | instid1(VALU_DEP_1)
	v_div_fmas_f32 v9, v9, v11, v15
	v_div_fixup_f32 v59, v9, v57, -1.0
                                        ; implicit-def: $vgpr56_vgpr57
	s_delay_alu instid0(VALU_DEP_1) | instskip(NEXT) | instid1(VALU_DEP_1)
	v_mul_f32_e32 v60, v1, v59
	v_xor_b32_e32 v58, 0x80000000, v60
.LBB89_15:
	s_and_not1_saveexec_b32 s1, s1
	s_cbranch_execz .LBB89_17
; %bb.16:
	v_div_scale_f32 v1, null, v56, v56, v57
	v_div_scale_f32 v13, vcc_lo, v57, v56, v57
	s_delay_alu instid0(VALU_DEP_2) | instskip(SKIP_1) | instid1(TRANS32_DEP_1)
	v_rcp_f32_e32 v9, v1
	v_nop
	v_fma_f32 v11, -v1, v9, 1.0
	s_delay_alu instid0(VALU_DEP_1) | instskip(NEXT) | instid1(VALU_DEP_1)
	v_fmac_f32_e32 v9, v11, v9
	v_mul_f32_e32 v11, v13, v9
	s_delay_alu instid0(VALU_DEP_1) | instskip(NEXT) | instid1(VALU_DEP_1)
	v_fma_f32 v15, -v1, v11, v13
	v_fmac_f32_e32 v11, v15, v9
	s_delay_alu instid0(VALU_DEP_1) | instskip(NEXT) | instid1(VALU_DEP_1)
	v_fma_f32 v1, -v1, v11, v13
	v_div_fmas_f32 v1, v1, v9, v11
	s_delay_alu instid0(VALU_DEP_1) | instskip(NEXT) | instid1(VALU_DEP_1)
	v_div_fixup_f32 v1, v1, v56, v57
	v_fmac_f32_e32 v56, v57, v1
	s_delay_alu instid0(VALU_DEP_1) | instskip(SKIP_1) | instid1(VALU_DEP_2)
	v_div_scale_f32 v9, null, v56, v56, 1.0
	v_div_scale_f32 v15, vcc_lo, 1.0, v56, 1.0
	v_rcp_f32_e32 v11, v9
	v_nop
	s_delay_alu instid0(TRANS32_DEP_1) | instskip(NEXT) | instid1(VALU_DEP_1)
	v_fma_f32 v13, -v9, v11, 1.0
	v_fmac_f32_e32 v11, v13, v11
	s_delay_alu instid0(VALU_DEP_1) | instskip(NEXT) | instid1(VALU_DEP_1)
	v_mul_f32_e32 v13, v15, v11
	v_fma_f32 v17, -v9, v13, v15
	s_delay_alu instid0(VALU_DEP_1) | instskip(NEXT) | instid1(VALU_DEP_1)
	v_fmac_f32_e32 v13, v17, v11
	v_fma_f32 v9, -v9, v13, v15
	s_delay_alu instid0(VALU_DEP_1) | instskip(NEXT) | instid1(VALU_DEP_1)
	v_div_fmas_f32 v9, v9, v11, v13
	v_div_fixup_f32 v58, v9, v56, 1.0
	s_delay_alu instid0(VALU_DEP_1)
	v_xor_b32_e32 v60, 0x80000000, v58
	v_mul_f32_e64 v59, v1, -v58
.LBB89_17:
	s_or_b32 exec_lo, exec_lo, s1
	scratch_store_b64 v7, v[58:59], off
	scratch_load_b64 v[56:57], off, off offset:8
	v_xor_b32_e32 v61, 0x80000000, v59
	v_add_nc_u32_e32 v1, 0xd0, v54
	s_wait_loadcnt 0x0
	ds_store_2addr_b64 v54, v[60:61], v[56:57] offset1:26
	s_wait_storecnt_dscnt 0x0
	s_barrier_signal -1
	s_barrier_wait -1
	s_wait_xcnt 0x0
	s_and_saveexec_b32 s1, s0
	s_cbranch_execz .LBB89_19
; %bb.18:
	scratch_load_b64 v[56:57], v7, off
	ds_load_b64 v[58:59], v1
	s_wait_loadcnt_dscnt 0x0
	v_pk_mul_f32 v[62:63], v[58:59], v[56:57] op_sel:[1,1] op_sel_hi:[0,1]
	s_delay_alu instid0(VALU_DEP_1) | instskip(SKIP_2) | instid1(VALU_DEP_3)
	v_pk_fma_f32 v[64:65], v[58:59], v[56:57], v[62:63] op_sel_hi:[1,0,1]
	v_mov_b32_e32 v9, 0
	v_pk_fma_f32 v[56:57], v[58:59], v[56:57], v[62:63] neg_lo:[0,0,1] neg_hi:[0,0,1]
	v_mov_b32_e32 v57, v65
	ds_load_b64 v[60:61], v9 offset:8
	v_pk_add_f32 v[56:57], v[56:57], 0 op_sel_hi:[1,0]
	s_wait_dscnt 0x0
	s_delay_alu instid0(VALU_DEP_1) | instskip(NEXT) | instid1(VALU_DEP_1)
	v_pk_mul_f32 v[58:59], v[56:57], v[60:61] op_sel:[1,1] op_sel_hi:[0,1]
	v_pk_fma_f32 v[62:63], v[56:57], v[60:61], v[58:59] op_sel_hi:[1,0,1]
	v_pk_fma_f32 v[56:57], v[56:57], v[60:61], v[58:59] neg_lo:[0,0,1] neg_hi:[0,0,1]
	s_delay_alu instid0(VALU_DEP_2)
	v_mov_b32_e32 v57, v63
	scratch_store_b64 off, v[56:57], off offset:8
.LBB89_19:
	s_wait_xcnt 0x0
	s_or_b32 exec_lo, exec_lo, s1
	s_wait_storecnt 0x0
	s_barrier_signal -1
	s_barrier_wait -1
	scratch_load_b64 v[56:57], off, off offset:16
	s_mov_b32 s1, exec_lo
	s_wait_loadcnt 0x0
	ds_store_b64 v1, v[56:57]
	s_wait_dscnt 0x0
	s_barrier_signal -1
	s_barrier_wait -1
	v_cmpx_gt_u32_e32 2, v0
	s_cbranch_execz .LBB89_23
; %bb.20:
	scratch_load_b64 v[56:57], v7, off
	ds_load_b64 v[58:59], v1
	s_wait_loadcnt_dscnt 0x0
	v_pk_mul_f32 v[60:61], v[58:59], v[56:57] op_sel:[1,1] op_sel_hi:[0,1]
	s_delay_alu instid0(VALU_DEP_1) | instskip(SKIP_1) | instid1(VALU_DEP_2)
	v_pk_fma_f32 v[62:63], v[58:59], v[56:57], v[60:61] op_sel_hi:[1,0,1]
	v_pk_fma_f32 v[56:57], v[58:59], v[56:57], v[60:61] neg_lo:[0,0,1] neg_hi:[0,0,1]
	v_mov_b32_e32 v57, v63
	s_delay_alu instid0(VALU_DEP_1)
	v_pk_add_f32 v[56:57], v[56:57], 0 op_sel_hi:[1,0]
	s_and_saveexec_b32 s4, s0
	s_cbranch_execz .LBB89_22
; %bb.21:
	scratch_load_b64 v[58:59], off, off offset:8
	v_mov_b32_e32 v7, 0
	ds_load_b64 v[60:61], v7 offset:216
	s_wait_loadcnt_dscnt 0x0
	v_pk_mul_f32 v[62:63], v[60:61], v[58:59] op_sel:[1,1] op_sel_hi:[0,1]
	s_delay_alu instid0(VALU_DEP_1) | instskip(SKIP_1) | instid1(VALU_DEP_2)
	v_pk_fma_f32 v[64:65], v[60:61], v[58:59], v[62:63] op_sel_hi:[1,0,1]
	v_pk_fma_f32 v[58:59], v[60:61], v[58:59], v[62:63] neg_lo:[0,0,1] neg_hi:[0,0,1]
	v_mov_b32_e32 v59, v65
	s_delay_alu instid0(VALU_DEP_1)
	v_pk_add_f32 v[56:57], v[56:57], v[58:59]
.LBB89_22:
	s_or_b32 exec_lo, exec_lo, s4
	v_mov_b32_e32 v7, 0
	ds_load_b64 v[58:59], v7 offset:16
	s_wait_dscnt 0x0
	v_pk_mul_f32 v[60:61], v[56:57], v[58:59] op_sel:[1,1] op_sel_hi:[0,1]
	s_delay_alu instid0(VALU_DEP_1) | instskip(SKIP_1) | instid1(VALU_DEP_2)
	v_pk_fma_f32 v[62:63], v[56:57], v[58:59], v[60:61] op_sel_hi:[1,0,1]
	v_pk_fma_f32 v[56:57], v[56:57], v[58:59], v[60:61] neg_lo:[0,0,1] neg_hi:[0,0,1]
	v_mov_b32_e32 v57, v63
	scratch_store_b64 off, v[56:57], off offset:16
.LBB89_23:
	s_wait_xcnt 0x0
	s_or_b32 exec_lo, exec_lo, s1
	s_wait_storecnt 0x0
	s_barrier_signal -1
	s_barrier_wait -1
	scratch_load_b64 v[56:57], off, off offset:24
	v_add_nc_u32_e32 v7, -1, v0
	s_mov_b32 s0, exec_lo
	s_wait_loadcnt 0x0
	ds_store_b64 v1, v[56:57]
	s_wait_dscnt 0x0
	s_barrier_signal -1
	s_barrier_wait -1
	v_cmpx_gt_u32_e32 3, v0
	s_cbranch_execz .LBB89_27
; %bb.24:
	v_dual_mov_b32 v56, 0 :: v_dual_add_nc_u32 v9, -1, v0
	v_add_nc_u32_e32 v11, 0xd0, v54
	v_mov_b32_e32 v13, v54
	s_mov_b32 s1, 0
	s_delay_alu instid0(VALU_DEP_3)
	v_mov_b32_e32 v57, v56
.LBB89_25:                              ; =>This Inner Loop Header: Depth=1
	scratch_load_b64 v[58:59], v13, off
	ds_load_b64 v[60:61], v11
	s_wait_xcnt 0x0
	v_dual_add_nc_u32 v11, 8, v11 :: v_dual_add_nc_u32 v13, 8, v13
	s_wait_loadcnt_dscnt 0x0
	v_pk_mul_f32 v[62:63], v[60:61], v[58:59] op_sel:[1,1] op_sel_hi:[0,1]
	s_delay_alu instid0(VALU_DEP_1) | instskip(SKIP_2) | instid1(VALU_DEP_3)
	v_pk_fma_f32 v[64:65], v[60:61], v[58:59], v[62:63] op_sel_hi:[1,0,1]
	v_add_nc_u32_e32 v9, 1, v9
	v_pk_fma_f32 v[58:59], v[60:61], v[58:59], v[62:63] neg_lo:[0,0,1] neg_hi:[0,0,1]
	v_mov_b32_e32 v59, v65
	s_delay_alu instid0(VALU_DEP_3) | instskip(NEXT) | instid1(VALU_DEP_2)
	v_cmp_lt_u32_e32 vcc_lo, 1, v9
	v_pk_add_f32 v[56:57], v[56:57], v[58:59]
	s_or_b32 s1, vcc_lo, s1
	s_delay_alu instid0(SALU_CYCLE_1)
	s_and_not1_b32 exec_lo, exec_lo, s1
	s_cbranch_execnz .LBB89_25
; %bb.26:
	s_or_b32 exec_lo, exec_lo, s1
	v_mov_b32_e32 v9, 0
	ds_load_b64 v[58:59], v9 offset:24
	s_wait_dscnt 0x0
	v_pk_mul_f32 v[60:61], v[56:57], v[58:59] op_sel:[1,1] op_sel_hi:[0,1]
	s_delay_alu instid0(VALU_DEP_1) | instskip(SKIP_1) | instid1(VALU_DEP_2)
	v_pk_fma_f32 v[62:63], v[56:57], v[58:59], v[60:61] op_sel_hi:[1,0,1]
	v_pk_fma_f32 v[56:57], v[56:57], v[58:59], v[60:61] neg_lo:[0,0,1] neg_hi:[0,0,1]
	v_mov_b32_e32 v57, v63
	scratch_store_b64 off, v[56:57], off offset:24
.LBB89_27:
	s_wait_xcnt 0x0
	s_or_b32 exec_lo, exec_lo, s0
	s_wait_storecnt 0x0
	s_barrier_signal -1
	s_barrier_wait -1
	scratch_load_b64 v[56:57], off, off offset:32
	s_mov_b32 s0, exec_lo
	s_wait_loadcnt 0x0
	ds_store_b64 v1, v[56:57]
	s_wait_dscnt 0x0
	s_barrier_signal -1
	s_barrier_wait -1
	v_cmpx_gt_u32_e32 4, v0
	s_cbranch_execz .LBB89_31
; %bb.28:
	v_dual_mov_b32 v56, 0 :: v_dual_add_nc_u32 v9, -1, v0
	v_add_nc_u32_e32 v11, 0xd0, v54
	v_mov_b32_e32 v13, v54
	s_mov_b32 s1, 0
	s_delay_alu instid0(VALU_DEP_3)
	v_mov_b32_e32 v57, v56
.LBB89_29:                              ; =>This Inner Loop Header: Depth=1
	scratch_load_b64 v[58:59], v13, off
	ds_load_b64 v[60:61], v11
	s_wait_xcnt 0x0
	v_dual_add_nc_u32 v11, 8, v11 :: v_dual_add_nc_u32 v13, 8, v13
	s_wait_loadcnt_dscnt 0x0
	v_pk_mul_f32 v[62:63], v[60:61], v[58:59] op_sel:[1,1] op_sel_hi:[0,1]
	s_delay_alu instid0(VALU_DEP_1) | instskip(SKIP_2) | instid1(VALU_DEP_3)
	v_pk_fma_f32 v[64:65], v[60:61], v[58:59], v[62:63] op_sel_hi:[1,0,1]
	v_add_nc_u32_e32 v9, 1, v9
	v_pk_fma_f32 v[58:59], v[60:61], v[58:59], v[62:63] neg_lo:[0,0,1] neg_hi:[0,0,1]
	v_mov_b32_e32 v59, v65
	s_delay_alu instid0(VALU_DEP_3) | instskip(NEXT) | instid1(VALU_DEP_2)
	v_cmp_lt_u32_e32 vcc_lo, 2, v9
	v_pk_add_f32 v[56:57], v[56:57], v[58:59]
	s_or_b32 s1, vcc_lo, s1
	s_delay_alu instid0(SALU_CYCLE_1)
	s_and_not1_b32 exec_lo, exec_lo, s1
	s_cbranch_execnz .LBB89_29
; %bb.30:
	s_or_b32 exec_lo, exec_lo, s1
	v_mov_b32_e32 v9, 0
	ds_load_b64 v[58:59], v9 offset:32
	s_wait_dscnt 0x0
	v_pk_mul_f32 v[60:61], v[56:57], v[58:59] op_sel:[1,1] op_sel_hi:[0,1]
	s_delay_alu instid0(VALU_DEP_1) | instskip(SKIP_1) | instid1(VALU_DEP_2)
	v_pk_fma_f32 v[62:63], v[56:57], v[58:59], v[60:61] op_sel_hi:[1,0,1]
	v_pk_fma_f32 v[56:57], v[56:57], v[58:59], v[60:61] neg_lo:[0,0,1] neg_hi:[0,0,1]
	v_mov_b32_e32 v57, v63
	scratch_store_b64 off, v[56:57], off offset:32
.LBB89_31:
	s_wait_xcnt 0x0
	s_or_b32 exec_lo, exec_lo, s0
	s_wait_storecnt 0x0
	s_barrier_signal -1
	s_barrier_wait -1
	scratch_load_b64 v[56:57], off, off offset:40
	s_mov_b32 s0, exec_lo
	s_wait_loadcnt 0x0
	ds_store_b64 v1, v[56:57]
	s_wait_dscnt 0x0
	s_barrier_signal -1
	s_barrier_wait -1
	v_cmpx_gt_u32_e32 5, v0
	s_cbranch_execz .LBB89_35
; %bb.32:
	v_dual_mov_b32 v56, 0 :: v_dual_add_nc_u32 v9, -1, v0
	v_add_nc_u32_e32 v11, 0xd0, v54
	v_mov_b32_e32 v13, v54
	s_mov_b32 s1, 0
	s_delay_alu instid0(VALU_DEP_3)
	v_mov_b32_e32 v57, v56
.LBB89_33:                              ; =>This Inner Loop Header: Depth=1
	scratch_load_b64 v[58:59], v13, off
	ds_load_b64 v[60:61], v11
	s_wait_xcnt 0x0
	v_dual_add_nc_u32 v11, 8, v11 :: v_dual_add_nc_u32 v13, 8, v13
	s_wait_loadcnt_dscnt 0x0
	v_pk_mul_f32 v[62:63], v[60:61], v[58:59] op_sel:[1,1] op_sel_hi:[0,1]
	s_delay_alu instid0(VALU_DEP_1) | instskip(SKIP_2) | instid1(VALU_DEP_3)
	v_pk_fma_f32 v[64:65], v[60:61], v[58:59], v[62:63] op_sel_hi:[1,0,1]
	v_add_nc_u32_e32 v9, 1, v9
	v_pk_fma_f32 v[58:59], v[60:61], v[58:59], v[62:63] neg_lo:[0,0,1] neg_hi:[0,0,1]
	v_mov_b32_e32 v59, v65
	s_delay_alu instid0(VALU_DEP_3) | instskip(NEXT) | instid1(VALU_DEP_2)
	v_cmp_lt_u32_e32 vcc_lo, 3, v9
	v_pk_add_f32 v[56:57], v[56:57], v[58:59]
	s_or_b32 s1, vcc_lo, s1
	s_delay_alu instid0(SALU_CYCLE_1)
	s_and_not1_b32 exec_lo, exec_lo, s1
	s_cbranch_execnz .LBB89_33
; %bb.34:
	s_or_b32 exec_lo, exec_lo, s1
	v_mov_b32_e32 v9, 0
	ds_load_b64 v[58:59], v9 offset:40
	s_wait_dscnt 0x0
	v_pk_mul_f32 v[60:61], v[56:57], v[58:59] op_sel:[1,1] op_sel_hi:[0,1]
	s_delay_alu instid0(VALU_DEP_1) | instskip(SKIP_1) | instid1(VALU_DEP_2)
	v_pk_fma_f32 v[62:63], v[56:57], v[58:59], v[60:61] op_sel_hi:[1,0,1]
	v_pk_fma_f32 v[56:57], v[56:57], v[58:59], v[60:61] neg_lo:[0,0,1] neg_hi:[0,0,1]
	v_mov_b32_e32 v57, v63
	scratch_store_b64 off, v[56:57], off offset:40
.LBB89_35:
	s_wait_xcnt 0x0
	s_or_b32 exec_lo, exec_lo, s0
	s_wait_storecnt 0x0
	s_barrier_signal -1
	s_barrier_wait -1
	scratch_load_b64 v[56:57], off, off offset:48
	s_mov_b32 s0, exec_lo
	s_wait_loadcnt 0x0
	ds_store_b64 v1, v[56:57]
	s_wait_dscnt 0x0
	s_barrier_signal -1
	s_barrier_wait -1
	v_cmpx_gt_u32_e32 6, v0
	s_cbranch_execz .LBB89_39
; %bb.36:
	v_dual_mov_b32 v56, 0 :: v_dual_add_nc_u32 v9, -1, v0
	v_add_nc_u32_e32 v11, 0xd0, v54
	v_mov_b32_e32 v13, v54
	s_mov_b32 s1, 0
	s_delay_alu instid0(VALU_DEP_3)
	v_mov_b32_e32 v57, v56
.LBB89_37:                              ; =>This Inner Loop Header: Depth=1
	scratch_load_b64 v[58:59], v13, off
	ds_load_b64 v[60:61], v11
	s_wait_xcnt 0x0
	v_dual_add_nc_u32 v11, 8, v11 :: v_dual_add_nc_u32 v13, 8, v13
	s_wait_loadcnt_dscnt 0x0
	v_pk_mul_f32 v[62:63], v[60:61], v[58:59] op_sel:[1,1] op_sel_hi:[0,1]
	s_delay_alu instid0(VALU_DEP_1) | instskip(SKIP_2) | instid1(VALU_DEP_3)
	v_pk_fma_f32 v[64:65], v[60:61], v[58:59], v[62:63] op_sel_hi:[1,0,1]
	v_add_nc_u32_e32 v9, 1, v9
	v_pk_fma_f32 v[58:59], v[60:61], v[58:59], v[62:63] neg_lo:[0,0,1] neg_hi:[0,0,1]
	v_mov_b32_e32 v59, v65
	s_delay_alu instid0(VALU_DEP_3) | instskip(NEXT) | instid1(VALU_DEP_2)
	v_cmp_lt_u32_e32 vcc_lo, 4, v9
	v_pk_add_f32 v[56:57], v[56:57], v[58:59]
	s_or_b32 s1, vcc_lo, s1
	s_delay_alu instid0(SALU_CYCLE_1)
	s_and_not1_b32 exec_lo, exec_lo, s1
	s_cbranch_execnz .LBB89_37
; %bb.38:
	s_or_b32 exec_lo, exec_lo, s1
	v_mov_b32_e32 v9, 0
	ds_load_b64 v[58:59], v9 offset:48
	s_wait_dscnt 0x0
	v_pk_mul_f32 v[60:61], v[56:57], v[58:59] op_sel:[1,1] op_sel_hi:[0,1]
	s_delay_alu instid0(VALU_DEP_1) | instskip(SKIP_1) | instid1(VALU_DEP_2)
	v_pk_fma_f32 v[62:63], v[56:57], v[58:59], v[60:61] op_sel_hi:[1,0,1]
	v_pk_fma_f32 v[56:57], v[56:57], v[58:59], v[60:61] neg_lo:[0,0,1] neg_hi:[0,0,1]
	v_mov_b32_e32 v57, v63
	scratch_store_b64 off, v[56:57], off offset:48
.LBB89_39:
	s_wait_xcnt 0x0
	s_or_b32 exec_lo, exec_lo, s0
	s_wait_storecnt 0x0
	s_barrier_signal -1
	s_barrier_wait -1
	scratch_load_b64 v[56:57], off, off offset:56
	s_mov_b32 s0, exec_lo
	s_wait_loadcnt 0x0
	ds_store_b64 v1, v[56:57]
	s_wait_dscnt 0x0
	s_barrier_signal -1
	s_barrier_wait -1
	v_cmpx_gt_u32_e32 7, v0
	s_cbranch_execz .LBB89_43
; %bb.40:
	v_dual_mov_b32 v56, 0 :: v_dual_add_nc_u32 v9, -1, v0
	v_add_nc_u32_e32 v11, 0xd0, v54
	v_mov_b32_e32 v13, v54
	s_mov_b32 s1, 0
	s_delay_alu instid0(VALU_DEP_3)
	v_mov_b32_e32 v57, v56
.LBB89_41:                              ; =>This Inner Loop Header: Depth=1
	scratch_load_b64 v[58:59], v13, off
	ds_load_b64 v[60:61], v11
	s_wait_xcnt 0x0
	v_dual_add_nc_u32 v11, 8, v11 :: v_dual_add_nc_u32 v13, 8, v13
	s_wait_loadcnt_dscnt 0x0
	v_pk_mul_f32 v[62:63], v[60:61], v[58:59] op_sel:[1,1] op_sel_hi:[0,1]
	s_delay_alu instid0(VALU_DEP_1) | instskip(SKIP_2) | instid1(VALU_DEP_3)
	v_pk_fma_f32 v[64:65], v[60:61], v[58:59], v[62:63] op_sel_hi:[1,0,1]
	v_add_nc_u32_e32 v9, 1, v9
	v_pk_fma_f32 v[58:59], v[60:61], v[58:59], v[62:63] neg_lo:[0,0,1] neg_hi:[0,0,1]
	v_mov_b32_e32 v59, v65
	s_delay_alu instid0(VALU_DEP_3) | instskip(NEXT) | instid1(VALU_DEP_2)
	v_cmp_lt_u32_e32 vcc_lo, 5, v9
	v_pk_add_f32 v[56:57], v[56:57], v[58:59]
	s_or_b32 s1, vcc_lo, s1
	s_delay_alu instid0(SALU_CYCLE_1)
	s_and_not1_b32 exec_lo, exec_lo, s1
	s_cbranch_execnz .LBB89_41
; %bb.42:
	s_or_b32 exec_lo, exec_lo, s1
	v_mov_b32_e32 v9, 0
	ds_load_b64 v[58:59], v9 offset:56
	s_wait_dscnt 0x0
	v_pk_mul_f32 v[60:61], v[56:57], v[58:59] op_sel:[1,1] op_sel_hi:[0,1]
	s_delay_alu instid0(VALU_DEP_1) | instskip(SKIP_1) | instid1(VALU_DEP_2)
	v_pk_fma_f32 v[62:63], v[56:57], v[58:59], v[60:61] op_sel_hi:[1,0,1]
	v_pk_fma_f32 v[56:57], v[56:57], v[58:59], v[60:61] neg_lo:[0,0,1] neg_hi:[0,0,1]
	v_mov_b32_e32 v57, v63
	scratch_store_b64 off, v[56:57], off offset:56
.LBB89_43:
	s_wait_xcnt 0x0
	s_or_b32 exec_lo, exec_lo, s0
	s_wait_storecnt 0x0
	s_barrier_signal -1
	s_barrier_wait -1
	scratch_load_b64 v[56:57], off, off offset:64
	s_mov_b32 s0, exec_lo
	s_wait_loadcnt 0x0
	ds_store_b64 v1, v[56:57]
	s_wait_dscnt 0x0
	s_barrier_signal -1
	s_barrier_wait -1
	v_cmpx_gt_u32_e32 8, v0
	s_cbranch_execz .LBB89_47
; %bb.44:
	v_dual_mov_b32 v56, 0 :: v_dual_add_nc_u32 v9, -1, v0
	v_add_nc_u32_e32 v11, 0xd0, v54
	v_mov_b32_e32 v13, v54
	s_mov_b32 s1, 0
	s_delay_alu instid0(VALU_DEP_3)
	v_mov_b32_e32 v57, v56
.LBB89_45:                              ; =>This Inner Loop Header: Depth=1
	scratch_load_b64 v[58:59], v13, off
	ds_load_b64 v[60:61], v11
	s_wait_xcnt 0x0
	v_dual_add_nc_u32 v11, 8, v11 :: v_dual_add_nc_u32 v13, 8, v13
	s_wait_loadcnt_dscnt 0x0
	v_pk_mul_f32 v[62:63], v[60:61], v[58:59] op_sel:[1,1] op_sel_hi:[0,1]
	s_delay_alu instid0(VALU_DEP_1) | instskip(SKIP_2) | instid1(VALU_DEP_3)
	v_pk_fma_f32 v[64:65], v[60:61], v[58:59], v[62:63] op_sel_hi:[1,0,1]
	v_add_nc_u32_e32 v9, 1, v9
	v_pk_fma_f32 v[58:59], v[60:61], v[58:59], v[62:63] neg_lo:[0,0,1] neg_hi:[0,0,1]
	v_mov_b32_e32 v59, v65
	s_delay_alu instid0(VALU_DEP_3) | instskip(NEXT) | instid1(VALU_DEP_2)
	v_cmp_lt_u32_e32 vcc_lo, 6, v9
	v_pk_add_f32 v[56:57], v[56:57], v[58:59]
	s_or_b32 s1, vcc_lo, s1
	s_delay_alu instid0(SALU_CYCLE_1)
	s_and_not1_b32 exec_lo, exec_lo, s1
	s_cbranch_execnz .LBB89_45
; %bb.46:
	s_or_b32 exec_lo, exec_lo, s1
	v_mov_b32_e32 v9, 0
	ds_load_b64 v[58:59], v9 offset:64
	s_wait_dscnt 0x0
	v_pk_mul_f32 v[60:61], v[56:57], v[58:59] op_sel:[1,1] op_sel_hi:[0,1]
	s_delay_alu instid0(VALU_DEP_1) | instskip(SKIP_1) | instid1(VALU_DEP_2)
	v_pk_fma_f32 v[62:63], v[56:57], v[58:59], v[60:61] op_sel_hi:[1,0,1]
	v_pk_fma_f32 v[56:57], v[56:57], v[58:59], v[60:61] neg_lo:[0,0,1] neg_hi:[0,0,1]
	v_mov_b32_e32 v57, v63
	scratch_store_b64 off, v[56:57], off offset:64
.LBB89_47:
	s_wait_xcnt 0x0
	s_or_b32 exec_lo, exec_lo, s0
	s_wait_storecnt 0x0
	s_barrier_signal -1
	s_barrier_wait -1
	scratch_load_b64 v[56:57], off, off offset:72
	s_mov_b32 s0, exec_lo
	s_wait_loadcnt 0x0
	ds_store_b64 v1, v[56:57]
	s_wait_dscnt 0x0
	s_barrier_signal -1
	s_barrier_wait -1
	v_cmpx_gt_u32_e32 9, v0
	s_cbranch_execz .LBB89_51
; %bb.48:
	v_dual_mov_b32 v56, 0 :: v_dual_add_nc_u32 v9, -1, v0
	v_add_nc_u32_e32 v11, 0xd0, v54
	v_mov_b32_e32 v13, v54
	s_mov_b32 s1, 0
	s_delay_alu instid0(VALU_DEP_3)
	v_mov_b32_e32 v57, v56
.LBB89_49:                              ; =>This Inner Loop Header: Depth=1
	scratch_load_b64 v[58:59], v13, off
	ds_load_b64 v[60:61], v11
	s_wait_xcnt 0x0
	v_dual_add_nc_u32 v11, 8, v11 :: v_dual_add_nc_u32 v13, 8, v13
	s_wait_loadcnt_dscnt 0x0
	v_pk_mul_f32 v[62:63], v[60:61], v[58:59] op_sel:[1,1] op_sel_hi:[0,1]
	s_delay_alu instid0(VALU_DEP_1) | instskip(SKIP_2) | instid1(VALU_DEP_3)
	v_pk_fma_f32 v[64:65], v[60:61], v[58:59], v[62:63] op_sel_hi:[1,0,1]
	v_add_nc_u32_e32 v9, 1, v9
	v_pk_fma_f32 v[58:59], v[60:61], v[58:59], v[62:63] neg_lo:[0,0,1] neg_hi:[0,0,1]
	v_mov_b32_e32 v59, v65
	s_delay_alu instid0(VALU_DEP_3) | instskip(NEXT) | instid1(VALU_DEP_2)
	v_cmp_lt_u32_e32 vcc_lo, 7, v9
	v_pk_add_f32 v[56:57], v[56:57], v[58:59]
	s_or_b32 s1, vcc_lo, s1
	s_delay_alu instid0(SALU_CYCLE_1)
	s_and_not1_b32 exec_lo, exec_lo, s1
	s_cbranch_execnz .LBB89_49
; %bb.50:
	s_or_b32 exec_lo, exec_lo, s1
	v_mov_b32_e32 v9, 0
	ds_load_b64 v[58:59], v9 offset:72
	s_wait_dscnt 0x0
	v_pk_mul_f32 v[60:61], v[56:57], v[58:59] op_sel:[1,1] op_sel_hi:[0,1]
	s_delay_alu instid0(VALU_DEP_1) | instskip(SKIP_1) | instid1(VALU_DEP_2)
	v_pk_fma_f32 v[62:63], v[56:57], v[58:59], v[60:61] op_sel_hi:[1,0,1]
	v_pk_fma_f32 v[56:57], v[56:57], v[58:59], v[60:61] neg_lo:[0,0,1] neg_hi:[0,0,1]
	v_mov_b32_e32 v57, v63
	scratch_store_b64 off, v[56:57], off offset:72
.LBB89_51:
	s_wait_xcnt 0x0
	s_or_b32 exec_lo, exec_lo, s0
	s_wait_storecnt 0x0
	s_barrier_signal -1
	s_barrier_wait -1
	scratch_load_b64 v[56:57], off, off offset:80
	s_mov_b32 s0, exec_lo
	s_wait_loadcnt 0x0
	ds_store_b64 v1, v[56:57]
	s_wait_dscnt 0x0
	s_barrier_signal -1
	s_barrier_wait -1
	v_cmpx_gt_u32_e32 10, v0
	s_cbranch_execz .LBB89_55
; %bb.52:
	v_dual_mov_b32 v56, 0 :: v_dual_add_nc_u32 v9, -1, v0
	v_add_nc_u32_e32 v11, 0xd0, v54
	v_mov_b32_e32 v13, v54
	s_mov_b32 s1, 0
	s_delay_alu instid0(VALU_DEP_3)
	v_mov_b32_e32 v57, v56
.LBB89_53:                              ; =>This Inner Loop Header: Depth=1
	scratch_load_b64 v[58:59], v13, off
	ds_load_b64 v[60:61], v11
	s_wait_xcnt 0x0
	v_dual_add_nc_u32 v11, 8, v11 :: v_dual_add_nc_u32 v13, 8, v13
	s_wait_loadcnt_dscnt 0x0
	v_pk_mul_f32 v[62:63], v[60:61], v[58:59] op_sel:[1,1] op_sel_hi:[0,1]
	s_delay_alu instid0(VALU_DEP_1) | instskip(SKIP_2) | instid1(VALU_DEP_3)
	v_pk_fma_f32 v[64:65], v[60:61], v[58:59], v[62:63] op_sel_hi:[1,0,1]
	v_add_nc_u32_e32 v9, 1, v9
	v_pk_fma_f32 v[58:59], v[60:61], v[58:59], v[62:63] neg_lo:[0,0,1] neg_hi:[0,0,1]
	v_mov_b32_e32 v59, v65
	s_delay_alu instid0(VALU_DEP_3) | instskip(NEXT) | instid1(VALU_DEP_2)
	v_cmp_lt_u32_e32 vcc_lo, 8, v9
	v_pk_add_f32 v[56:57], v[56:57], v[58:59]
	s_or_b32 s1, vcc_lo, s1
	s_delay_alu instid0(SALU_CYCLE_1)
	s_and_not1_b32 exec_lo, exec_lo, s1
	s_cbranch_execnz .LBB89_53
; %bb.54:
	s_or_b32 exec_lo, exec_lo, s1
	v_mov_b32_e32 v9, 0
	ds_load_b64 v[58:59], v9 offset:80
	s_wait_dscnt 0x0
	v_pk_mul_f32 v[60:61], v[56:57], v[58:59] op_sel:[1,1] op_sel_hi:[0,1]
	s_delay_alu instid0(VALU_DEP_1) | instskip(SKIP_1) | instid1(VALU_DEP_2)
	v_pk_fma_f32 v[62:63], v[56:57], v[58:59], v[60:61] op_sel_hi:[1,0,1]
	v_pk_fma_f32 v[56:57], v[56:57], v[58:59], v[60:61] neg_lo:[0,0,1] neg_hi:[0,0,1]
	v_mov_b32_e32 v57, v63
	scratch_store_b64 off, v[56:57], off offset:80
.LBB89_55:
	s_wait_xcnt 0x0
	s_or_b32 exec_lo, exec_lo, s0
	s_wait_storecnt 0x0
	s_barrier_signal -1
	s_barrier_wait -1
	scratch_load_b64 v[56:57], off, off offset:88
	s_mov_b32 s0, exec_lo
	s_wait_loadcnt 0x0
	ds_store_b64 v1, v[56:57]
	s_wait_dscnt 0x0
	s_barrier_signal -1
	s_barrier_wait -1
	v_cmpx_gt_u32_e32 11, v0
	s_cbranch_execz .LBB89_59
; %bb.56:
	v_dual_mov_b32 v56, 0 :: v_dual_add_nc_u32 v9, -1, v0
	v_add_nc_u32_e32 v11, 0xd0, v54
	v_mov_b32_e32 v13, v54
	s_mov_b32 s1, 0
	s_delay_alu instid0(VALU_DEP_3)
	v_mov_b32_e32 v57, v56
.LBB89_57:                              ; =>This Inner Loop Header: Depth=1
	scratch_load_b64 v[58:59], v13, off
	ds_load_b64 v[60:61], v11
	s_wait_xcnt 0x0
	v_dual_add_nc_u32 v11, 8, v11 :: v_dual_add_nc_u32 v13, 8, v13
	s_wait_loadcnt_dscnt 0x0
	v_pk_mul_f32 v[62:63], v[60:61], v[58:59] op_sel:[1,1] op_sel_hi:[0,1]
	s_delay_alu instid0(VALU_DEP_1) | instskip(SKIP_2) | instid1(VALU_DEP_3)
	v_pk_fma_f32 v[64:65], v[60:61], v[58:59], v[62:63] op_sel_hi:[1,0,1]
	v_add_nc_u32_e32 v9, 1, v9
	v_pk_fma_f32 v[58:59], v[60:61], v[58:59], v[62:63] neg_lo:[0,0,1] neg_hi:[0,0,1]
	v_mov_b32_e32 v59, v65
	s_delay_alu instid0(VALU_DEP_3) | instskip(NEXT) | instid1(VALU_DEP_2)
	v_cmp_lt_u32_e32 vcc_lo, 9, v9
	v_pk_add_f32 v[56:57], v[56:57], v[58:59]
	s_or_b32 s1, vcc_lo, s1
	s_delay_alu instid0(SALU_CYCLE_1)
	s_and_not1_b32 exec_lo, exec_lo, s1
	s_cbranch_execnz .LBB89_57
; %bb.58:
	s_or_b32 exec_lo, exec_lo, s1
	v_mov_b32_e32 v9, 0
	ds_load_b64 v[58:59], v9 offset:88
	s_wait_dscnt 0x0
	v_pk_mul_f32 v[60:61], v[56:57], v[58:59] op_sel:[1,1] op_sel_hi:[0,1]
	s_delay_alu instid0(VALU_DEP_1) | instskip(SKIP_1) | instid1(VALU_DEP_2)
	v_pk_fma_f32 v[62:63], v[56:57], v[58:59], v[60:61] op_sel_hi:[1,0,1]
	v_pk_fma_f32 v[56:57], v[56:57], v[58:59], v[60:61] neg_lo:[0,0,1] neg_hi:[0,0,1]
	v_mov_b32_e32 v57, v63
	scratch_store_b64 off, v[56:57], off offset:88
.LBB89_59:
	s_wait_xcnt 0x0
	s_or_b32 exec_lo, exec_lo, s0
	s_wait_storecnt 0x0
	s_barrier_signal -1
	s_barrier_wait -1
	scratch_load_b64 v[56:57], off, off offset:96
	s_mov_b32 s0, exec_lo
	s_wait_loadcnt 0x0
	ds_store_b64 v1, v[56:57]
	s_wait_dscnt 0x0
	s_barrier_signal -1
	s_barrier_wait -1
	v_cmpx_gt_u32_e32 12, v0
	s_cbranch_execz .LBB89_63
; %bb.60:
	v_dual_mov_b32 v56, 0 :: v_dual_add_nc_u32 v9, -1, v0
	v_add_nc_u32_e32 v11, 0xd0, v54
	v_mov_b32_e32 v13, v54
	s_mov_b32 s1, 0
	s_delay_alu instid0(VALU_DEP_3)
	v_mov_b32_e32 v57, v56
.LBB89_61:                              ; =>This Inner Loop Header: Depth=1
	scratch_load_b64 v[58:59], v13, off
	ds_load_b64 v[60:61], v11
	s_wait_xcnt 0x0
	v_dual_add_nc_u32 v11, 8, v11 :: v_dual_add_nc_u32 v13, 8, v13
	s_wait_loadcnt_dscnt 0x0
	v_pk_mul_f32 v[62:63], v[60:61], v[58:59] op_sel:[1,1] op_sel_hi:[0,1]
	s_delay_alu instid0(VALU_DEP_1) | instskip(SKIP_2) | instid1(VALU_DEP_3)
	v_pk_fma_f32 v[64:65], v[60:61], v[58:59], v[62:63] op_sel_hi:[1,0,1]
	v_add_nc_u32_e32 v9, 1, v9
	v_pk_fma_f32 v[58:59], v[60:61], v[58:59], v[62:63] neg_lo:[0,0,1] neg_hi:[0,0,1]
	v_mov_b32_e32 v59, v65
	s_delay_alu instid0(VALU_DEP_3) | instskip(NEXT) | instid1(VALU_DEP_2)
	v_cmp_lt_u32_e32 vcc_lo, 10, v9
	v_pk_add_f32 v[56:57], v[56:57], v[58:59]
	s_or_b32 s1, vcc_lo, s1
	s_delay_alu instid0(SALU_CYCLE_1)
	s_and_not1_b32 exec_lo, exec_lo, s1
	s_cbranch_execnz .LBB89_61
; %bb.62:
	s_or_b32 exec_lo, exec_lo, s1
	v_mov_b32_e32 v9, 0
	ds_load_b64 v[58:59], v9 offset:96
	s_wait_dscnt 0x0
	v_pk_mul_f32 v[60:61], v[56:57], v[58:59] op_sel:[1,1] op_sel_hi:[0,1]
	s_delay_alu instid0(VALU_DEP_1) | instskip(SKIP_1) | instid1(VALU_DEP_2)
	v_pk_fma_f32 v[62:63], v[56:57], v[58:59], v[60:61] op_sel_hi:[1,0,1]
	v_pk_fma_f32 v[56:57], v[56:57], v[58:59], v[60:61] neg_lo:[0,0,1] neg_hi:[0,0,1]
	v_mov_b32_e32 v57, v63
	scratch_store_b64 off, v[56:57], off offset:96
.LBB89_63:
	s_wait_xcnt 0x0
	s_or_b32 exec_lo, exec_lo, s0
	s_wait_storecnt 0x0
	s_barrier_signal -1
	s_barrier_wait -1
	scratch_load_b64 v[56:57], off, off offset:104
	s_mov_b32 s0, exec_lo
	s_wait_loadcnt 0x0
	ds_store_b64 v1, v[56:57]
	s_wait_dscnt 0x0
	s_barrier_signal -1
	s_barrier_wait -1
	v_cmpx_gt_u32_e32 13, v0
	s_cbranch_execz .LBB89_67
; %bb.64:
	v_dual_mov_b32 v56, 0 :: v_dual_add_nc_u32 v9, -1, v0
	v_add_nc_u32_e32 v11, 0xd0, v54
	v_mov_b32_e32 v13, v54
	s_mov_b32 s1, 0
	s_delay_alu instid0(VALU_DEP_3)
	v_mov_b32_e32 v57, v56
.LBB89_65:                              ; =>This Inner Loop Header: Depth=1
	scratch_load_b64 v[58:59], v13, off
	ds_load_b64 v[60:61], v11
	s_wait_xcnt 0x0
	v_dual_add_nc_u32 v11, 8, v11 :: v_dual_add_nc_u32 v13, 8, v13
	s_wait_loadcnt_dscnt 0x0
	v_pk_mul_f32 v[62:63], v[60:61], v[58:59] op_sel:[1,1] op_sel_hi:[0,1]
	s_delay_alu instid0(VALU_DEP_1) | instskip(SKIP_2) | instid1(VALU_DEP_3)
	v_pk_fma_f32 v[64:65], v[60:61], v[58:59], v[62:63] op_sel_hi:[1,0,1]
	v_add_nc_u32_e32 v9, 1, v9
	v_pk_fma_f32 v[58:59], v[60:61], v[58:59], v[62:63] neg_lo:[0,0,1] neg_hi:[0,0,1]
	v_mov_b32_e32 v59, v65
	s_delay_alu instid0(VALU_DEP_3) | instskip(NEXT) | instid1(VALU_DEP_2)
	v_cmp_lt_u32_e32 vcc_lo, 11, v9
	v_pk_add_f32 v[56:57], v[56:57], v[58:59]
	s_or_b32 s1, vcc_lo, s1
	s_delay_alu instid0(SALU_CYCLE_1)
	s_and_not1_b32 exec_lo, exec_lo, s1
	s_cbranch_execnz .LBB89_65
; %bb.66:
	s_or_b32 exec_lo, exec_lo, s1
	v_mov_b32_e32 v9, 0
	ds_load_b64 v[58:59], v9 offset:104
	s_wait_dscnt 0x0
	v_pk_mul_f32 v[60:61], v[56:57], v[58:59] op_sel:[1,1] op_sel_hi:[0,1]
	s_delay_alu instid0(VALU_DEP_1) | instskip(SKIP_1) | instid1(VALU_DEP_2)
	v_pk_fma_f32 v[62:63], v[56:57], v[58:59], v[60:61] op_sel_hi:[1,0,1]
	v_pk_fma_f32 v[56:57], v[56:57], v[58:59], v[60:61] neg_lo:[0,0,1] neg_hi:[0,0,1]
	v_mov_b32_e32 v57, v63
	scratch_store_b64 off, v[56:57], off offset:104
.LBB89_67:
	s_wait_xcnt 0x0
	s_or_b32 exec_lo, exec_lo, s0
	s_wait_storecnt 0x0
	s_barrier_signal -1
	s_barrier_wait -1
	scratch_load_b64 v[56:57], off, off offset:112
	s_mov_b32 s0, exec_lo
	s_wait_loadcnt 0x0
	ds_store_b64 v1, v[56:57]
	s_wait_dscnt 0x0
	s_barrier_signal -1
	s_barrier_wait -1
	v_cmpx_gt_u32_e32 14, v0
	s_cbranch_execz .LBB89_71
; %bb.68:
	v_dual_mov_b32 v56, 0 :: v_dual_add_nc_u32 v9, -1, v0
	v_add_nc_u32_e32 v11, 0xd0, v54
	v_mov_b32_e32 v13, v54
	s_mov_b32 s1, 0
	s_delay_alu instid0(VALU_DEP_3)
	v_mov_b32_e32 v57, v56
.LBB89_69:                              ; =>This Inner Loop Header: Depth=1
	scratch_load_b64 v[58:59], v13, off
	ds_load_b64 v[60:61], v11
	s_wait_xcnt 0x0
	v_dual_add_nc_u32 v11, 8, v11 :: v_dual_add_nc_u32 v13, 8, v13
	s_wait_loadcnt_dscnt 0x0
	v_pk_mul_f32 v[62:63], v[60:61], v[58:59] op_sel:[1,1] op_sel_hi:[0,1]
	s_delay_alu instid0(VALU_DEP_1) | instskip(SKIP_2) | instid1(VALU_DEP_3)
	v_pk_fma_f32 v[64:65], v[60:61], v[58:59], v[62:63] op_sel_hi:[1,0,1]
	v_add_nc_u32_e32 v9, 1, v9
	v_pk_fma_f32 v[58:59], v[60:61], v[58:59], v[62:63] neg_lo:[0,0,1] neg_hi:[0,0,1]
	v_mov_b32_e32 v59, v65
	s_delay_alu instid0(VALU_DEP_3) | instskip(NEXT) | instid1(VALU_DEP_2)
	v_cmp_lt_u32_e32 vcc_lo, 12, v9
	v_pk_add_f32 v[56:57], v[56:57], v[58:59]
	s_or_b32 s1, vcc_lo, s1
	s_delay_alu instid0(SALU_CYCLE_1)
	s_and_not1_b32 exec_lo, exec_lo, s1
	s_cbranch_execnz .LBB89_69
; %bb.70:
	s_or_b32 exec_lo, exec_lo, s1
	v_mov_b32_e32 v9, 0
	ds_load_b64 v[58:59], v9 offset:112
	s_wait_dscnt 0x0
	v_pk_mul_f32 v[60:61], v[56:57], v[58:59] op_sel:[1,1] op_sel_hi:[0,1]
	s_delay_alu instid0(VALU_DEP_1) | instskip(SKIP_1) | instid1(VALU_DEP_2)
	v_pk_fma_f32 v[62:63], v[56:57], v[58:59], v[60:61] op_sel_hi:[1,0,1]
	v_pk_fma_f32 v[56:57], v[56:57], v[58:59], v[60:61] neg_lo:[0,0,1] neg_hi:[0,0,1]
	v_mov_b32_e32 v57, v63
	scratch_store_b64 off, v[56:57], off offset:112
.LBB89_71:
	s_wait_xcnt 0x0
	s_or_b32 exec_lo, exec_lo, s0
	s_wait_storecnt 0x0
	s_barrier_signal -1
	s_barrier_wait -1
	scratch_load_b64 v[56:57], off, off offset:120
	s_mov_b32 s0, exec_lo
	s_wait_loadcnt 0x0
	ds_store_b64 v1, v[56:57]
	s_wait_dscnt 0x0
	s_barrier_signal -1
	s_barrier_wait -1
	v_cmpx_gt_u32_e32 15, v0
	s_cbranch_execz .LBB89_75
; %bb.72:
	v_dual_mov_b32 v56, 0 :: v_dual_add_nc_u32 v9, -1, v0
	v_add_nc_u32_e32 v11, 0xd0, v54
	v_mov_b32_e32 v13, v54
	s_mov_b32 s1, 0
	s_delay_alu instid0(VALU_DEP_3)
	v_mov_b32_e32 v57, v56
.LBB89_73:                              ; =>This Inner Loop Header: Depth=1
	scratch_load_b64 v[58:59], v13, off
	ds_load_b64 v[60:61], v11
	s_wait_xcnt 0x0
	v_dual_add_nc_u32 v11, 8, v11 :: v_dual_add_nc_u32 v13, 8, v13
	s_wait_loadcnt_dscnt 0x0
	v_pk_mul_f32 v[62:63], v[60:61], v[58:59] op_sel:[1,1] op_sel_hi:[0,1]
	s_delay_alu instid0(VALU_DEP_1) | instskip(SKIP_2) | instid1(VALU_DEP_3)
	v_pk_fma_f32 v[64:65], v[60:61], v[58:59], v[62:63] op_sel_hi:[1,0,1]
	v_add_nc_u32_e32 v9, 1, v9
	v_pk_fma_f32 v[58:59], v[60:61], v[58:59], v[62:63] neg_lo:[0,0,1] neg_hi:[0,0,1]
	v_mov_b32_e32 v59, v65
	s_delay_alu instid0(VALU_DEP_3) | instskip(NEXT) | instid1(VALU_DEP_2)
	v_cmp_lt_u32_e32 vcc_lo, 13, v9
	v_pk_add_f32 v[56:57], v[56:57], v[58:59]
	s_or_b32 s1, vcc_lo, s1
	s_delay_alu instid0(SALU_CYCLE_1)
	s_and_not1_b32 exec_lo, exec_lo, s1
	s_cbranch_execnz .LBB89_73
; %bb.74:
	s_or_b32 exec_lo, exec_lo, s1
	v_mov_b32_e32 v9, 0
	ds_load_b64 v[58:59], v9 offset:120
	s_wait_dscnt 0x0
	v_pk_mul_f32 v[60:61], v[56:57], v[58:59] op_sel:[1,1] op_sel_hi:[0,1]
	s_delay_alu instid0(VALU_DEP_1) | instskip(SKIP_1) | instid1(VALU_DEP_2)
	v_pk_fma_f32 v[62:63], v[56:57], v[58:59], v[60:61] op_sel_hi:[1,0,1]
	v_pk_fma_f32 v[56:57], v[56:57], v[58:59], v[60:61] neg_lo:[0,0,1] neg_hi:[0,0,1]
	v_mov_b32_e32 v57, v63
	scratch_store_b64 off, v[56:57], off offset:120
.LBB89_75:
	s_wait_xcnt 0x0
	s_or_b32 exec_lo, exec_lo, s0
	s_wait_storecnt 0x0
	s_barrier_signal -1
	s_barrier_wait -1
	scratch_load_b64 v[56:57], off, off offset:128
	s_mov_b32 s0, exec_lo
	s_wait_loadcnt 0x0
	ds_store_b64 v1, v[56:57]
	s_wait_dscnt 0x0
	s_barrier_signal -1
	s_barrier_wait -1
	v_cmpx_gt_u32_e32 16, v0
	s_cbranch_execz .LBB89_79
; %bb.76:
	v_dual_mov_b32 v56, 0 :: v_dual_add_nc_u32 v9, -1, v0
	v_add_nc_u32_e32 v11, 0xd0, v54
	v_mov_b32_e32 v13, v54
	s_mov_b32 s1, 0
	s_delay_alu instid0(VALU_DEP_3)
	v_mov_b32_e32 v57, v56
.LBB89_77:                              ; =>This Inner Loop Header: Depth=1
	scratch_load_b64 v[58:59], v13, off
	ds_load_b64 v[60:61], v11
	s_wait_xcnt 0x0
	v_dual_add_nc_u32 v11, 8, v11 :: v_dual_add_nc_u32 v13, 8, v13
	s_wait_loadcnt_dscnt 0x0
	v_pk_mul_f32 v[62:63], v[60:61], v[58:59] op_sel:[1,1] op_sel_hi:[0,1]
	s_delay_alu instid0(VALU_DEP_1) | instskip(SKIP_2) | instid1(VALU_DEP_3)
	v_pk_fma_f32 v[64:65], v[60:61], v[58:59], v[62:63] op_sel_hi:[1,0,1]
	v_add_nc_u32_e32 v9, 1, v9
	v_pk_fma_f32 v[58:59], v[60:61], v[58:59], v[62:63] neg_lo:[0,0,1] neg_hi:[0,0,1]
	v_mov_b32_e32 v59, v65
	s_delay_alu instid0(VALU_DEP_3) | instskip(NEXT) | instid1(VALU_DEP_2)
	v_cmp_lt_u32_e32 vcc_lo, 14, v9
	v_pk_add_f32 v[56:57], v[56:57], v[58:59]
	s_or_b32 s1, vcc_lo, s1
	s_delay_alu instid0(SALU_CYCLE_1)
	s_and_not1_b32 exec_lo, exec_lo, s1
	s_cbranch_execnz .LBB89_77
; %bb.78:
	s_or_b32 exec_lo, exec_lo, s1
	v_mov_b32_e32 v9, 0
	ds_load_b64 v[58:59], v9 offset:128
	s_wait_dscnt 0x0
	v_pk_mul_f32 v[60:61], v[56:57], v[58:59] op_sel:[1,1] op_sel_hi:[0,1]
	s_delay_alu instid0(VALU_DEP_1) | instskip(SKIP_1) | instid1(VALU_DEP_2)
	v_pk_fma_f32 v[62:63], v[56:57], v[58:59], v[60:61] op_sel_hi:[1,0,1]
	v_pk_fma_f32 v[56:57], v[56:57], v[58:59], v[60:61] neg_lo:[0,0,1] neg_hi:[0,0,1]
	v_mov_b32_e32 v57, v63
	scratch_store_b64 off, v[56:57], off offset:128
.LBB89_79:
	s_wait_xcnt 0x0
	s_or_b32 exec_lo, exec_lo, s0
	s_wait_storecnt 0x0
	s_barrier_signal -1
	s_barrier_wait -1
	scratch_load_b64 v[56:57], off, off offset:136
	s_mov_b32 s0, exec_lo
	s_wait_loadcnt 0x0
	ds_store_b64 v1, v[56:57]
	s_wait_dscnt 0x0
	s_barrier_signal -1
	s_barrier_wait -1
	v_cmpx_gt_u32_e32 17, v0
	s_cbranch_execz .LBB89_83
; %bb.80:
	v_dual_mov_b32 v56, 0 :: v_dual_add_nc_u32 v9, -1, v0
	v_add_nc_u32_e32 v11, 0xd0, v54
	v_mov_b32_e32 v13, v54
	s_mov_b32 s1, 0
	s_delay_alu instid0(VALU_DEP_3)
	v_mov_b32_e32 v57, v56
.LBB89_81:                              ; =>This Inner Loop Header: Depth=1
	scratch_load_b64 v[58:59], v13, off
	ds_load_b64 v[60:61], v11
	s_wait_xcnt 0x0
	v_dual_add_nc_u32 v11, 8, v11 :: v_dual_add_nc_u32 v13, 8, v13
	s_wait_loadcnt_dscnt 0x0
	v_pk_mul_f32 v[62:63], v[60:61], v[58:59] op_sel:[1,1] op_sel_hi:[0,1]
	s_delay_alu instid0(VALU_DEP_1) | instskip(SKIP_2) | instid1(VALU_DEP_3)
	v_pk_fma_f32 v[64:65], v[60:61], v[58:59], v[62:63] op_sel_hi:[1,0,1]
	v_add_nc_u32_e32 v9, 1, v9
	v_pk_fma_f32 v[58:59], v[60:61], v[58:59], v[62:63] neg_lo:[0,0,1] neg_hi:[0,0,1]
	v_mov_b32_e32 v59, v65
	s_delay_alu instid0(VALU_DEP_3) | instskip(NEXT) | instid1(VALU_DEP_2)
	v_cmp_lt_u32_e32 vcc_lo, 15, v9
	v_pk_add_f32 v[56:57], v[56:57], v[58:59]
	s_or_b32 s1, vcc_lo, s1
	s_delay_alu instid0(SALU_CYCLE_1)
	s_and_not1_b32 exec_lo, exec_lo, s1
	s_cbranch_execnz .LBB89_81
; %bb.82:
	s_or_b32 exec_lo, exec_lo, s1
	v_mov_b32_e32 v9, 0
	ds_load_b64 v[58:59], v9 offset:136
	s_wait_dscnt 0x0
	v_pk_mul_f32 v[60:61], v[56:57], v[58:59] op_sel:[1,1] op_sel_hi:[0,1]
	s_delay_alu instid0(VALU_DEP_1) | instskip(SKIP_1) | instid1(VALU_DEP_2)
	v_pk_fma_f32 v[62:63], v[56:57], v[58:59], v[60:61] op_sel_hi:[1,0,1]
	v_pk_fma_f32 v[56:57], v[56:57], v[58:59], v[60:61] neg_lo:[0,0,1] neg_hi:[0,0,1]
	v_mov_b32_e32 v57, v63
	scratch_store_b64 off, v[56:57], off offset:136
.LBB89_83:
	s_wait_xcnt 0x0
	s_or_b32 exec_lo, exec_lo, s0
	s_wait_storecnt 0x0
	s_barrier_signal -1
	s_barrier_wait -1
	scratch_load_b64 v[56:57], off, off offset:144
	s_mov_b32 s0, exec_lo
	s_wait_loadcnt 0x0
	ds_store_b64 v1, v[56:57]
	s_wait_dscnt 0x0
	s_barrier_signal -1
	s_barrier_wait -1
	v_cmpx_gt_u32_e32 18, v0
	s_cbranch_execz .LBB89_87
; %bb.84:
	v_dual_mov_b32 v56, 0 :: v_dual_add_nc_u32 v9, -1, v0
	v_add_nc_u32_e32 v11, 0xd0, v54
	v_mov_b32_e32 v13, v54
	s_mov_b32 s1, 0
	s_delay_alu instid0(VALU_DEP_3)
	v_mov_b32_e32 v57, v56
.LBB89_85:                              ; =>This Inner Loop Header: Depth=1
	scratch_load_b64 v[58:59], v13, off
	ds_load_b64 v[60:61], v11
	s_wait_xcnt 0x0
	v_dual_add_nc_u32 v11, 8, v11 :: v_dual_add_nc_u32 v13, 8, v13
	s_wait_loadcnt_dscnt 0x0
	v_pk_mul_f32 v[62:63], v[60:61], v[58:59] op_sel:[1,1] op_sel_hi:[0,1]
	s_delay_alu instid0(VALU_DEP_1) | instskip(SKIP_2) | instid1(VALU_DEP_3)
	v_pk_fma_f32 v[64:65], v[60:61], v[58:59], v[62:63] op_sel_hi:[1,0,1]
	v_add_nc_u32_e32 v9, 1, v9
	v_pk_fma_f32 v[58:59], v[60:61], v[58:59], v[62:63] neg_lo:[0,0,1] neg_hi:[0,0,1]
	v_mov_b32_e32 v59, v65
	s_delay_alu instid0(VALU_DEP_3) | instskip(NEXT) | instid1(VALU_DEP_2)
	v_cmp_lt_u32_e32 vcc_lo, 16, v9
	v_pk_add_f32 v[56:57], v[56:57], v[58:59]
	s_or_b32 s1, vcc_lo, s1
	s_delay_alu instid0(SALU_CYCLE_1)
	s_and_not1_b32 exec_lo, exec_lo, s1
	s_cbranch_execnz .LBB89_85
; %bb.86:
	s_or_b32 exec_lo, exec_lo, s1
	v_mov_b32_e32 v9, 0
	ds_load_b64 v[58:59], v9 offset:144
	s_wait_dscnt 0x0
	v_pk_mul_f32 v[60:61], v[56:57], v[58:59] op_sel:[1,1] op_sel_hi:[0,1]
	s_delay_alu instid0(VALU_DEP_1) | instskip(SKIP_1) | instid1(VALU_DEP_2)
	v_pk_fma_f32 v[62:63], v[56:57], v[58:59], v[60:61] op_sel_hi:[1,0,1]
	v_pk_fma_f32 v[56:57], v[56:57], v[58:59], v[60:61] neg_lo:[0,0,1] neg_hi:[0,0,1]
	v_mov_b32_e32 v57, v63
	scratch_store_b64 off, v[56:57], off offset:144
.LBB89_87:
	s_wait_xcnt 0x0
	s_or_b32 exec_lo, exec_lo, s0
	s_wait_storecnt 0x0
	s_barrier_signal -1
	s_barrier_wait -1
	scratch_load_b64 v[56:57], off, off offset:152
	s_mov_b32 s0, exec_lo
	s_wait_loadcnt 0x0
	ds_store_b64 v1, v[56:57]
	s_wait_dscnt 0x0
	s_barrier_signal -1
	s_barrier_wait -1
	v_cmpx_gt_u32_e32 19, v0
	s_cbranch_execz .LBB89_91
; %bb.88:
	v_dual_mov_b32 v56, 0 :: v_dual_add_nc_u32 v9, -1, v0
	v_add_nc_u32_e32 v11, 0xd0, v54
	v_mov_b32_e32 v13, v54
	s_mov_b32 s1, 0
	s_delay_alu instid0(VALU_DEP_3)
	v_mov_b32_e32 v57, v56
.LBB89_89:                              ; =>This Inner Loop Header: Depth=1
	scratch_load_b64 v[58:59], v13, off
	ds_load_b64 v[60:61], v11
	s_wait_xcnt 0x0
	v_dual_add_nc_u32 v11, 8, v11 :: v_dual_add_nc_u32 v13, 8, v13
	s_wait_loadcnt_dscnt 0x0
	v_pk_mul_f32 v[62:63], v[60:61], v[58:59] op_sel:[1,1] op_sel_hi:[0,1]
	s_delay_alu instid0(VALU_DEP_1) | instskip(SKIP_2) | instid1(VALU_DEP_3)
	v_pk_fma_f32 v[64:65], v[60:61], v[58:59], v[62:63] op_sel_hi:[1,0,1]
	v_add_nc_u32_e32 v9, 1, v9
	v_pk_fma_f32 v[58:59], v[60:61], v[58:59], v[62:63] neg_lo:[0,0,1] neg_hi:[0,0,1]
	v_mov_b32_e32 v59, v65
	s_delay_alu instid0(VALU_DEP_3) | instskip(NEXT) | instid1(VALU_DEP_2)
	v_cmp_lt_u32_e32 vcc_lo, 17, v9
	v_pk_add_f32 v[56:57], v[56:57], v[58:59]
	s_or_b32 s1, vcc_lo, s1
	s_delay_alu instid0(SALU_CYCLE_1)
	s_and_not1_b32 exec_lo, exec_lo, s1
	s_cbranch_execnz .LBB89_89
; %bb.90:
	s_or_b32 exec_lo, exec_lo, s1
	v_mov_b32_e32 v9, 0
	ds_load_b64 v[58:59], v9 offset:152
	s_wait_dscnt 0x0
	v_pk_mul_f32 v[60:61], v[56:57], v[58:59] op_sel:[1,1] op_sel_hi:[0,1]
	s_delay_alu instid0(VALU_DEP_1) | instskip(SKIP_1) | instid1(VALU_DEP_2)
	v_pk_fma_f32 v[62:63], v[56:57], v[58:59], v[60:61] op_sel_hi:[1,0,1]
	v_pk_fma_f32 v[56:57], v[56:57], v[58:59], v[60:61] neg_lo:[0,0,1] neg_hi:[0,0,1]
	v_mov_b32_e32 v57, v63
	scratch_store_b64 off, v[56:57], off offset:152
.LBB89_91:
	s_wait_xcnt 0x0
	s_or_b32 exec_lo, exec_lo, s0
	s_wait_storecnt 0x0
	s_barrier_signal -1
	s_barrier_wait -1
	scratch_load_b64 v[56:57], off, off offset:160
	s_mov_b32 s0, exec_lo
	s_wait_loadcnt 0x0
	ds_store_b64 v1, v[56:57]
	s_wait_dscnt 0x0
	s_barrier_signal -1
	s_barrier_wait -1
	v_cmpx_gt_u32_e32 20, v0
	s_cbranch_execz .LBB89_95
; %bb.92:
	v_dual_mov_b32 v56, 0 :: v_dual_add_nc_u32 v9, -1, v0
	v_add_nc_u32_e32 v11, 0xd0, v54
	v_mov_b32_e32 v13, v54
	s_mov_b32 s1, 0
	s_delay_alu instid0(VALU_DEP_3)
	v_mov_b32_e32 v57, v56
.LBB89_93:                              ; =>This Inner Loop Header: Depth=1
	scratch_load_b64 v[58:59], v13, off
	ds_load_b64 v[60:61], v11
	s_wait_xcnt 0x0
	v_dual_add_nc_u32 v11, 8, v11 :: v_dual_add_nc_u32 v13, 8, v13
	s_wait_loadcnt_dscnt 0x0
	v_pk_mul_f32 v[62:63], v[60:61], v[58:59] op_sel:[1,1] op_sel_hi:[0,1]
	s_delay_alu instid0(VALU_DEP_1) | instskip(SKIP_2) | instid1(VALU_DEP_3)
	v_pk_fma_f32 v[64:65], v[60:61], v[58:59], v[62:63] op_sel_hi:[1,0,1]
	v_add_nc_u32_e32 v9, 1, v9
	v_pk_fma_f32 v[58:59], v[60:61], v[58:59], v[62:63] neg_lo:[0,0,1] neg_hi:[0,0,1]
	v_mov_b32_e32 v59, v65
	s_delay_alu instid0(VALU_DEP_3) | instskip(NEXT) | instid1(VALU_DEP_2)
	v_cmp_lt_u32_e32 vcc_lo, 18, v9
	v_pk_add_f32 v[56:57], v[56:57], v[58:59]
	s_or_b32 s1, vcc_lo, s1
	s_delay_alu instid0(SALU_CYCLE_1)
	s_and_not1_b32 exec_lo, exec_lo, s1
	s_cbranch_execnz .LBB89_93
; %bb.94:
	s_or_b32 exec_lo, exec_lo, s1
	v_mov_b32_e32 v9, 0
	ds_load_b64 v[58:59], v9 offset:160
	s_wait_dscnt 0x0
	v_pk_mul_f32 v[60:61], v[56:57], v[58:59] op_sel:[1,1] op_sel_hi:[0,1]
	s_delay_alu instid0(VALU_DEP_1) | instskip(SKIP_1) | instid1(VALU_DEP_2)
	v_pk_fma_f32 v[62:63], v[56:57], v[58:59], v[60:61] op_sel_hi:[1,0,1]
	v_pk_fma_f32 v[56:57], v[56:57], v[58:59], v[60:61] neg_lo:[0,0,1] neg_hi:[0,0,1]
	v_mov_b32_e32 v57, v63
	scratch_store_b64 off, v[56:57], off offset:160
.LBB89_95:
	s_wait_xcnt 0x0
	s_or_b32 exec_lo, exec_lo, s0
	s_wait_storecnt 0x0
	s_barrier_signal -1
	s_barrier_wait -1
	scratch_load_b64 v[56:57], off, off offset:168
	s_mov_b32 s0, exec_lo
	s_wait_loadcnt 0x0
	ds_store_b64 v1, v[56:57]
	s_wait_dscnt 0x0
	s_barrier_signal -1
	s_barrier_wait -1
	v_cmpx_gt_u32_e32 21, v0
	s_cbranch_execz .LBB89_99
; %bb.96:
	v_dual_mov_b32 v56, 0 :: v_dual_add_nc_u32 v9, -1, v0
	v_add_nc_u32_e32 v11, 0xd0, v54
	v_mov_b32_e32 v13, v54
	s_mov_b32 s1, 0
	s_delay_alu instid0(VALU_DEP_3)
	v_mov_b32_e32 v57, v56
.LBB89_97:                              ; =>This Inner Loop Header: Depth=1
	scratch_load_b64 v[58:59], v13, off
	ds_load_b64 v[60:61], v11
	s_wait_xcnt 0x0
	v_dual_add_nc_u32 v11, 8, v11 :: v_dual_add_nc_u32 v13, 8, v13
	s_wait_loadcnt_dscnt 0x0
	v_pk_mul_f32 v[62:63], v[60:61], v[58:59] op_sel:[1,1] op_sel_hi:[0,1]
	s_delay_alu instid0(VALU_DEP_1) | instskip(SKIP_2) | instid1(VALU_DEP_3)
	v_pk_fma_f32 v[64:65], v[60:61], v[58:59], v[62:63] op_sel_hi:[1,0,1]
	v_add_nc_u32_e32 v9, 1, v9
	v_pk_fma_f32 v[58:59], v[60:61], v[58:59], v[62:63] neg_lo:[0,0,1] neg_hi:[0,0,1]
	v_mov_b32_e32 v59, v65
	s_delay_alu instid0(VALU_DEP_3) | instskip(NEXT) | instid1(VALU_DEP_2)
	v_cmp_lt_u32_e32 vcc_lo, 19, v9
	v_pk_add_f32 v[56:57], v[56:57], v[58:59]
	s_or_b32 s1, vcc_lo, s1
	s_delay_alu instid0(SALU_CYCLE_1)
	s_and_not1_b32 exec_lo, exec_lo, s1
	s_cbranch_execnz .LBB89_97
; %bb.98:
	s_or_b32 exec_lo, exec_lo, s1
	v_mov_b32_e32 v9, 0
	ds_load_b64 v[58:59], v9 offset:168
	s_wait_dscnt 0x0
	v_pk_mul_f32 v[60:61], v[56:57], v[58:59] op_sel:[1,1] op_sel_hi:[0,1]
	s_delay_alu instid0(VALU_DEP_1) | instskip(SKIP_1) | instid1(VALU_DEP_2)
	v_pk_fma_f32 v[62:63], v[56:57], v[58:59], v[60:61] op_sel_hi:[1,0,1]
	v_pk_fma_f32 v[56:57], v[56:57], v[58:59], v[60:61] neg_lo:[0,0,1] neg_hi:[0,0,1]
	v_mov_b32_e32 v57, v63
	scratch_store_b64 off, v[56:57], off offset:168
.LBB89_99:
	s_wait_xcnt 0x0
	s_or_b32 exec_lo, exec_lo, s0
	s_wait_storecnt 0x0
	s_barrier_signal -1
	s_barrier_wait -1
	scratch_load_b64 v[56:57], off, off offset:176
	s_mov_b32 s0, exec_lo
	s_wait_loadcnt 0x0
	ds_store_b64 v1, v[56:57]
	s_wait_dscnt 0x0
	s_barrier_signal -1
	s_barrier_wait -1
	v_cmpx_gt_u32_e32 22, v0
	s_cbranch_execz .LBB89_103
; %bb.100:
	v_dual_mov_b32 v56, 0 :: v_dual_add_nc_u32 v9, -1, v0
	v_add_nc_u32_e32 v11, 0xd0, v54
	v_mov_b32_e32 v13, v54
	s_mov_b32 s1, 0
	s_delay_alu instid0(VALU_DEP_3)
	v_mov_b32_e32 v57, v56
.LBB89_101:                             ; =>This Inner Loop Header: Depth=1
	scratch_load_b64 v[58:59], v13, off
	ds_load_b64 v[60:61], v11
	s_wait_xcnt 0x0
	v_dual_add_nc_u32 v11, 8, v11 :: v_dual_add_nc_u32 v13, 8, v13
	s_wait_loadcnt_dscnt 0x0
	v_pk_mul_f32 v[62:63], v[60:61], v[58:59] op_sel:[1,1] op_sel_hi:[0,1]
	s_delay_alu instid0(VALU_DEP_1) | instskip(SKIP_2) | instid1(VALU_DEP_3)
	v_pk_fma_f32 v[64:65], v[60:61], v[58:59], v[62:63] op_sel_hi:[1,0,1]
	v_add_nc_u32_e32 v9, 1, v9
	v_pk_fma_f32 v[58:59], v[60:61], v[58:59], v[62:63] neg_lo:[0,0,1] neg_hi:[0,0,1]
	v_mov_b32_e32 v59, v65
	s_delay_alu instid0(VALU_DEP_3) | instskip(NEXT) | instid1(VALU_DEP_2)
	v_cmp_lt_u32_e32 vcc_lo, 20, v9
	v_pk_add_f32 v[56:57], v[56:57], v[58:59]
	s_or_b32 s1, vcc_lo, s1
	s_delay_alu instid0(SALU_CYCLE_1)
	s_and_not1_b32 exec_lo, exec_lo, s1
	s_cbranch_execnz .LBB89_101
; %bb.102:
	s_or_b32 exec_lo, exec_lo, s1
	v_mov_b32_e32 v9, 0
	ds_load_b64 v[58:59], v9 offset:176
	s_wait_dscnt 0x0
	v_pk_mul_f32 v[60:61], v[56:57], v[58:59] op_sel:[1,1] op_sel_hi:[0,1]
	s_delay_alu instid0(VALU_DEP_1) | instskip(SKIP_1) | instid1(VALU_DEP_2)
	v_pk_fma_f32 v[62:63], v[56:57], v[58:59], v[60:61] op_sel_hi:[1,0,1]
	v_pk_fma_f32 v[56:57], v[56:57], v[58:59], v[60:61] neg_lo:[0,0,1] neg_hi:[0,0,1]
	v_mov_b32_e32 v57, v63
	scratch_store_b64 off, v[56:57], off offset:176
.LBB89_103:
	s_wait_xcnt 0x0
	s_or_b32 exec_lo, exec_lo, s0
	s_wait_storecnt 0x0
	s_barrier_signal -1
	s_barrier_wait -1
	scratch_load_b64 v[56:57], off, off offset:184
	s_mov_b32 s0, exec_lo
	s_wait_loadcnt 0x0
	ds_store_b64 v1, v[56:57]
	s_wait_dscnt 0x0
	s_barrier_signal -1
	s_barrier_wait -1
	v_cmpx_gt_u32_e32 23, v0
	s_cbranch_execz .LBB89_107
; %bb.104:
	v_dual_mov_b32 v56, 0 :: v_dual_add_nc_u32 v9, -1, v0
	v_add_nc_u32_e32 v11, 0xd0, v54
	v_mov_b32_e32 v13, v54
	s_mov_b32 s1, 0
	s_delay_alu instid0(VALU_DEP_3)
	v_mov_b32_e32 v57, v56
.LBB89_105:                             ; =>This Inner Loop Header: Depth=1
	scratch_load_b64 v[58:59], v13, off
	ds_load_b64 v[60:61], v11
	s_wait_xcnt 0x0
	v_dual_add_nc_u32 v11, 8, v11 :: v_dual_add_nc_u32 v13, 8, v13
	s_wait_loadcnt_dscnt 0x0
	v_pk_mul_f32 v[62:63], v[60:61], v[58:59] op_sel:[1,1] op_sel_hi:[0,1]
	s_delay_alu instid0(VALU_DEP_1) | instskip(SKIP_2) | instid1(VALU_DEP_3)
	v_pk_fma_f32 v[64:65], v[60:61], v[58:59], v[62:63] op_sel_hi:[1,0,1]
	v_add_nc_u32_e32 v9, 1, v9
	v_pk_fma_f32 v[58:59], v[60:61], v[58:59], v[62:63] neg_lo:[0,0,1] neg_hi:[0,0,1]
	v_mov_b32_e32 v59, v65
	s_delay_alu instid0(VALU_DEP_3) | instskip(NEXT) | instid1(VALU_DEP_2)
	v_cmp_lt_u32_e32 vcc_lo, 21, v9
	v_pk_add_f32 v[56:57], v[56:57], v[58:59]
	s_or_b32 s1, vcc_lo, s1
	s_delay_alu instid0(SALU_CYCLE_1)
	s_and_not1_b32 exec_lo, exec_lo, s1
	s_cbranch_execnz .LBB89_105
; %bb.106:
	s_or_b32 exec_lo, exec_lo, s1
	v_mov_b32_e32 v9, 0
	ds_load_b64 v[58:59], v9 offset:184
	s_wait_dscnt 0x0
	v_pk_mul_f32 v[60:61], v[56:57], v[58:59] op_sel:[1,1] op_sel_hi:[0,1]
	s_delay_alu instid0(VALU_DEP_1) | instskip(SKIP_1) | instid1(VALU_DEP_2)
	v_pk_fma_f32 v[62:63], v[56:57], v[58:59], v[60:61] op_sel_hi:[1,0,1]
	v_pk_fma_f32 v[56:57], v[56:57], v[58:59], v[60:61] neg_lo:[0,0,1] neg_hi:[0,0,1]
	v_mov_b32_e32 v57, v63
	scratch_store_b64 off, v[56:57], off offset:184
.LBB89_107:
	s_wait_xcnt 0x0
	s_or_b32 exec_lo, exec_lo, s0
	s_wait_storecnt 0x0
	s_barrier_signal -1
	s_barrier_wait -1
	scratch_load_b64 v[56:57], off, off offset:192
	;; [unrolled: 52-line block ×3, first 2 shown]
	s_mov_b32 s0, exec_lo
	s_wait_loadcnt 0x0
	ds_store_b64 v1, v[56:57]
	s_wait_dscnt 0x0
	s_barrier_signal -1
	s_barrier_wait -1
	v_cmpx_ne_u32_e32 25, v0
	s_cbranch_execz .LBB89_115
; %bb.112:
	v_dual_mov_b32 v56, 0 :: v_dual_mov_b32 v9, v54
	s_mov_b32 s1, 0
	s_delay_alu instid0(VALU_DEP_1)
	v_mov_b32_e32 v57, v56
.LBB89_113:                             ; =>This Inner Loop Header: Depth=1
	scratch_load_b64 v[54:55], v9, off
	ds_load_b64 v[58:59], v1
	v_add_nc_u32_e32 v1, 8, v1
	s_wait_xcnt 0x0
	v_add_nc_u32_e32 v9, 8, v9
	s_wait_loadcnt_dscnt 0x0
	v_pk_mul_f32 v[60:61], v[58:59], v[54:55] op_sel:[1,1] op_sel_hi:[0,1]
	s_delay_alu instid0(VALU_DEP_1) | instskip(SKIP_2) | instid1(VALU_DEP_3)
	v_pk_fma_f32 v[62:63], v[58:59], v[54:55], v[60:61] op_sel_hi:[1,0,1]
	v_add_nc_u32_e32 v7, 1, v7
	v_pk_fma_f32 v[54:55], v[58:59], v[54:55], v[60:61] neg_lo:[0,0,1] neg_hi:[0,0,1]
	v_mov_b32_e32 v55, v63
	s_delay_alu instid0(VALU_DEP_3) | instskip(NEXT) | instid1(VALU_DEP_2)
	v_cmp_lt_u32_e32 vcc_lo, 23, v7
	v_pk_add_f32 v[56:57], v[56:57], v[54:55]
	s_or_b32 s1, vcc_lo, s1
	s_delay_alu instid0(SALU_CYCLE_1)
	s_and_not1_b32 exec_lo, exec_lo, s1
	s_cbranch_execnz .LBB89_113
; %bb.114:
	s_or_b32 exec_lo, exec_lo, s1
	v_mov_b32_e32 v1, 0
	ds_load_b64 v[54:55], v1 offset:200
	s_wait_dscnt 0x0
	v_pk_mul_f32 v[58:59], v[56:57], v[54:55] op_sel:[1,1] op_sel_hi:[0,1]
	s_delay_alu instid0(VALU_DEP_1) | instskip(SKIP_1) | instid1(VALU_DEP_2)
	v_pk_fma_f32 v[60:61], v[56:57], v[54:55], v[58:59] op_sel_hi:[1,0,1]
	v_pk_fma_f32 v[54:55], v[56:57], v[54:55], v[58:59] neg_lo:[0,0,1] neg_hi:[0,0,1]
	v_mov_b32_e32 v55, v61
	scratch_store_b64 off, v[54:55], off offset:200
.LBB89_115:
	s_wait_xcnt 0x0
	s_or_b32 exec_lo, exec_lo, s0
	s_mov_b32 s1, -1
	s_wait_storecnt 0x0
	s_barrier_signal -1
	s_barrier_wait -1
.LBB89_116:
	s_and_b32 vcc_lo, exec_lo, s1
	s_cbranch_vccz .LBB89_118
; %bb.117:
	v_mov_b32_e32 v1, 0
	s_lshl_b64 s[0:1], s[10:11], 2
	s_delay_alu instid0(SALU_CYCLE_1)
	s_add_nc_u64 s[0:1], s[6:7], s[0:1]
	global_load_b32 v1, v1, s[0:1]
	s_wait_loadcnt 0x0
	v_cmp_ne_u32_e32 vcc_lo, 0, v1
	s_cbranch_vccz .LBB89_119
.LBB89_118:
	s_sendmsg sendmsg(MSG_DEALLOC_VGPRS)
	s_endpgm
.LBB89_119:
	s_wait_xcnt 0x0
	v_lshl_add_u32 v1, v0, 3, 0xd0
	s_mov_b32 s0, exec_lo
	v_cmpx_eq_u32_e32 25, v0
	s_cbranch_execz .LBB89_121
; %bb.120:
	scratch_load_b64 v[54:55], off, off offset:192
	v_mov_b64_e32 v[56:57], 0
	scratch_store_b64 off, v[56:57], off offset:192
	s_wait_loadcnt 0x0
	ds_store_b64 v1, v[54:55]
.LBB89_121:
	s_wait_xcnt 0x0
	s_or_b32 exec_lo, exec_lo, s0
	s_wait_storecnt_dscnt 0x0
	s_barrier_signal -1
	s_barrier_wait -1
	s_clause 0x1
	scratch_load_b64 v[54:55], off, off offset:200
	scratch_load_b64 v[56:57], off, off offset:192
	v_mov_b32_e32 v7, 0
	s_mov_b32 s0, exec_lo
	ds_load_b64 v[58:59], v7 offset:408
	s_wait_loadcnt_dscnt 0x100
	v_pk_mul_f32 v[60:61], v[58:59], v[54:55] op_sel:[1,1] op_sel_hi:[0,1]
	s_delay_alu instid0(VALU_DEP_1) | instskip(SKIP_1) | instid1(VALU_DEP_2)
	v_pk_fma_f32 v[62:63], v[58:59], v[54:55], v[60:61] op_sel_hi:[1,0,1]
	v_pk_fma_f32 v[54:55], v[58:59], v[54:55], v[60:61] neg_lo:[0,0,1] neg_hi:[0,0,1]
	v_mov_b32_e32 v55, v63
	s_delay_alu instid0(VALU_DEP_1) | instskip(SKIP_1) | instid1(VALU_DEP_1)
	v_pk_add_f32 v[54:55], v[54:55], 0 op_sel_hi:[1,0]
	s_wait_loadcnt 0x0
	v_pk_add_f32 v[54:55], v[56:57], v[54:55] neg_lo:[0,1] neg_hi:[0,1]
	scratch_store_b64 off, v[54:55], off offset:192
	s_wait_xcnt 0x0
	v_cmpx_lt_u32_e32 23, v0
	s_cbranch_execz .LBB89_123
; %bb.122:
	scratch_load_b64 v[54:55], off, off offset:184
	v_mov_b64_e32 v[56:57], 0
	scratch_store_b64 off, v[56:57], off offset:184
	s_wait_loadcnt 0x0
	ds_store_b64 v1, v[54:55]
.LBB89_123:
	s_wait_xcnt 0x0
	s_or_b32 exec_lo, exec_lo, s0
	s_wait_storecnt_dscnt 0x0
	s_barrier_signal -1
	s_barrier_wait -1
	s_clause 0x1
	scratch_load_b128 v[54:57], off, off offset:192
	scratch_load_b64 v[62:63], off, off offset:184
	ds_load_b128 v[58:61], v7 offset:400
	s_mov_b32 s0, exec_lo
	s_wait_dscnt 0x0
	v_dual_mov_b32 v64, v61 :: v_dual_mov_b32 v65, v60
	s_wait_loadcnt 0x1
	v_pk_mul_f32 v[66:67], v[58:59], v[54:55] op_sel:[1,1] op_sel_hi:[0,1]
	s_delay_alu instid0(VALU_DEP_1) | instskip(SKIP_2) | instid1(VALU_DEP_3)
	v_pk_fma_f32 v[70:71], v[58:59], v[54:55], v[66:67] op_sel_hi:[1,0,1]
	v_mov_b32_e32 v68, v57
	v_pk_fma_f32 v[54:55], v[58:59], v[54:55], v[66:67] neg_lo:[0,0,1] neg_hi:[0,0,1]
	v_mov_b32_e32 v55, v71
	s_delay_alu instid0(VALU_DEP_3) | instskip(NEXT) | instid1(VALU_DEP_2)
	v_pk_mul_f32 v[64:65], v[64:65], v[68:69] op_sel_hi:[1,0]
	v_pk_add_f32 v[54:55], v[54:55], 0 op_sel_hi:[1,0]
	s_delay_alu instid0(VALU_DEP_2) | instskip(SKIP_1) | instid1(VALU_DEP_2)
	v_pk_fma_f32 v[58:59], v[60:61], v[56:57], v[64:65] op_sel_hi:[1,0,1]
	v_pk_fma_f32 v[56:57], v[60:61], v[56:57], v[64:65] neg_lo:[0,0,1] neg_hi:[0,0,1]
	v_mov_b32_e32 v57, v59
	s_delay_alu instid0(VALU_DEP_1) | instskip(SKIP_1) | instid1(VALU_DEP_1)
	v_pk_add_f32 v[54:55], v[54:55], v[56:57]
	s_wait_loadcnt 0x0
	v_pk_add_f32 v[54:55], v[62:63], v[54:55] neg_lo:[0,1] neg_hi:[0,1]
	scratch_store_b64 off, v[54:55], off offset:184
	s_wait_xcnt 0x0
	v_cmpx_lt_u32_e32 22, v0
	s_cbranch_execz .LBB89_125
; %bb.124:
	scratch_load_b64 v[54:55], off, off offset:176
	v_mov_b64_e32 v[56:57], 0
	scratch_store_b64 off, v[56:57], off offset:176
	s_wait_loadcnt 0x0
	ds_store_b64 v1, v[54:55]
.LBB89_125:
	s_wait_xcnt 0x0
	s_or_b32 exec_lo, exec_lo, s0
	s_wait_storecnt_dscnt 0x0
	s_barrier_signal -1
	s_barrier_wait -1
	s_clause 0x2
	scratch_load_b128 v[54:57], off, off offset:184
	scratch_load_b64 v[62:63], off, off offset:200
	scratch_load_b64 v[64:65], off, off offset:176
	v_mov_b32_e32 v7, 0
	ds_load_2addr_b64 v[58:61], v7 offset0:49 offset1:50
	ds_load_b64 v[66:67], v7 offset:408
	s_mov_b32 s0, exec_lo
	s_wait_dscnt 0x1
	v_dual_mov_b32 v68, v61 :: v_dual_mov_b32 v69, v60
	s_wait_loadcnt 0x2
	v_mov_b32_e32 v72, v57
	v_pk_mul_f32 v[70:71], v[58:59], v[54:55] op_sel:[1,1] op_sel_hi:[0,1]
	s_delay_alu instid0(VALU_DEP_2) | instskip(NEXT) | instid1(VALU_DEP_2)
	v_pk_mul_f32 v[68:69], v[68:69], v[72:73] op_sel_hi:[1,0]
	v_pk_fma_f32 v[74:75], v[58:59], v[54:55], v[70:71] op_sel_hi:[1,0,1]
	v_pk_fma_f32 v[54:55], v[58:59], v[54:55], v[70:71] neg_lo:[0,0,1] neg_hi:[0,0,1]
	s_wait_loadcnt_dscnt 0x100
	v_pk_mul_f32 v[70:71], v[66:67], v[62:63] op_sel:[1,1] op_sel_hi:[0,1]
	v_pk_fma_f32 v[58:59], v[60:61], v[56:57], v[68:69] op_sel_hi:[1,0,1]
	v_mov_b32_e32 v55, v75
	v_pk_fma_f32 v[56:57], v[60:61], v[56:57], v[68:69] neg_lo:[0,0,1] neg_hi:[0,0,1]
	s_delay_alu instid0(VALU_DEP_4) | instskip(NEXT) | instid1(VALU_DEP_4)
	v_pk_fma_f32 v[60:61], v[66:67], v[62:63], v[70:71] neg_lo:[0,0,1] neg_hi:[0,0,1]
	v_mov_b32_e32 v57, v59
	s_delay_alu instid0(VALU_DEP_4) | instskip(SKIP_1) | instid1(VALU_DEP_2)
	v_pk_add_f32 v[54:55], v[54:55], 0 op_sel_hi:[1,0]
	v_pk_fma_f32 v[58:59], v[66:67], v[62:63], v[70:71] op_sel_hi:[1,0,1]
	v_pk_add_f32 v[54:55], v[54:55], v[56:57]
	s_delay_alu instid0(VALU_DEP_2) | instskip(NEXT) | instid1(VALU_DEP_1)
	v_mov_b32_e32 v61, v59
	v_pk_add_f32 v[54:55], v[54:55], v[60:61]
	s_wait_loadcnt 0x0
	s_delay_alu instid0(VALU_DEP_1)
	v_pk_add_f32 v[54:55], v[64:65], v[54:55] neg_lo:[0,1] neg_hi:[0,1]
	scratch_store_b64 off, v[54:55], off offset:176
	s_wait_xcnt 0x0
	v_cmpx_lt_u32_e32 21, v0
	s_cbranch_execz .LBB89_127
; %bb.126:
	scratch_load_b64 v[54:55], off, off offset:168
	v_mov_b64_e32 v[56:57], 0
	scratch_store_b64 off, v[56:57], off offset:168
	s_wait_loadcnt 0x0
	ds_store_b64 v1, v[54:55]
.LBB89_127:
	s_wait_xcnt 0x0
	s_or_b32 exec_lo, exec_lo, s0
	s_wait_storecnt_dscnt 0x0
	s_barrier_signal -1
	s_barrier_wait -1
	s_clause 0x2
	scratch_load_b128 v[54:57], off, off offset:176
	scratch_load_b128 v[58:61], off, off offset:192
	scratch_load_b64 v[70:71], off, off offset:168
	ds_load_b128 v[62:65], v7 offset:384
	ds_load_b128 v[66:69], v7 offset:400
	s_mov_b32 s0, exec_lo
	s_wait_dscnt 0x1
	v_dual_mov_b32 v72, v65 :: v_dual_mov_b32 v73, v64
	s_wait_loadcnt_dscnt 0x200
	v_dual_mov_b32 v78, v69 :: v_dual_mov_b32 v76, v57
	v_pk_mul_f32 v[74:75], v[62:63], v[54:55] op_sel:[1,1] op_sel_hi:[0,1]
	s_delay_alu instid0(VALU_DEP_2) | instskip(NEXT) | instid1(VALU_DEP_2)
	v_pk_mul_f32 v[72:73], v[72:73], v[76:77] op_sel_hi:[1,0]
	v_pk_fma_f32 v[80:81], v[62:63], v[54:55], v[74:75] op_sel_hi:[1,0,1]
	v_pk_fma_f32 v[54:55], v[62:63], v[54:55], v[74:75] neg_lo:[0,0,1] neg_hi:[0,0,1]
	v_mov_b32_e32 v79, v68
	s_wait_loadcnt 0x1
	v_pk_mul_f32 v[76:77], v[66:67], v[58:59] op_sel:[1,1] op_sel_hi:[0,1]
	v_pk_fma_f32 v[62:63], v[64:65], v[56:57], v[72:73] op_sel_hi:[1,0,1]
	v_dual_mov_b32 v55, v81 :: v_dual_mov_b32 v62, v61
	v_pk_fma_f32 v[56:57], v[64:65], v[56:57], v[72:73] neg_lo:[0,0,1] neg_hi:[0,0,1]
	s_delay_alu instid0(VALU_DEP_4) | instskip(NEXT) | instid1(VALU_DEP_4)
	v_pk_fma_f32 v[74:75], v[66:67], v[58:59], v[76:77] op_sel_hi:[1,0,1]
	v_mov_b32_e32 v57, v63
	s_delay_alu instid0(VALU_DEP_4) | instskip(SKIP_2) | instid1(VALU_DEP_3)
	v_pk_add_f32 v[54:55], v[54:55], 0 op_sel_hi:[1,0]
	v_pk_mul_f32 v[62:63], v[78:79], v[62:63] op_sel_hi:[1,0]
	v_pk_fma_f32 v[58:59], v[66:67], v[58:59], v[76:77] neg_lo:[0,0,1] neg_hi:[0,0,1]
	v_pk_add_f32 v[54:55], v[54:55], v[56:57]
	s_delay_alu instid0(VALU_DEP_3) | instskip(SKIP_2) | instid1(VALU_DEP_3)
	v_pk_fma_f32 v[56:57], v[68:69], v[60:61], v[62:63] op_sel_hi:[1,0,1]
	v_mov_b32_e32 v59, v75
	v_pk_fma_f32 v[60:61], v[68:69], v[60:61], v[62:63] neg_lo:[0,0,1] neg_hi:[0,0,1]
	v_mov_b32_e32 v61, v57
	s_delay_alu instid0(VALU_DEP_3) | instskip(NEXT) | instid1(VALU_DEP_1)
	v_pk_add_f32 v[54:55], v[54:55], v[58:59]
	v_pk_add_f32 v[54:55], v[54:55], v[60:61]
	s_wait_loadcnt 0x0
	s_delay_alu instid0(VALU_DEP_1)
	v_pk_add_f32 v[54:55], v[70:71], v[54:55] neg_lo:[0,1] neg_hi:[0,1]
	scratch_store_b64 off, v[54:55], off offset:168
	s_wait_xcnt 0x0
	v_cmpx_lt_u32_e32 20, v0
	s_cbranch_execz .LBB89_129
; %bb.128:
	scratch_load_b64 v[54:55], off, off offset:160
	v_mov_b64_e32 v[56:57], 0
	scratch_store_b64 off, v[56:57], off offset:160
	s_wait_loadcnt 0x0
	ds_store_b64 v1, v[54:55]
.LBB89_129:
	s_wait_xcnt 0x0
	s_or_b32 exec_lo, exec_lo, s0
	s_wait_storecnt_dscnt 0x0
	s_barrier_signal -1
	s_barrier_wait -1
	s_clause 0x3
	scratch_load_b128 v[54:57], off, off offset:168
	scratch_load_b128 v[58:61], off, off offset:184
	scratch_load_b64 v[70:71], off, off offset:200
	scratch_load_b64 v[72:73], off, off offset:160
	v_mov_b32_e32 v7, 0
	ds_load_2addr_b64 v[62:65], v7 offset0:47 offset1:48
	ds_load_2addr_b64 v[66:69], v7 offset0:49 offset1:50
	s_mov_b32 s0, exec_lo
	s_wait_dscnt 0x1
	v_dual_mov_b32 v74, v65 :: v_dual_mov_b32 v75, v64
	ds_load_b64 v[80:81], v7 offset:408
	s_wait_dscnt 0x1
	v_dual_mov_b32 v82, v69 :: v_dual_mov_b32 v83, v68
	s_wait_loadcnt 0x3
	v_pk_mul_f32 v[76:77], v[62:63], v[54:55] op_sel:[1,1] op_sel_hi:[0,1]
	v_mov_b32_e32 v78, v57
	s_delay_alu instid0(VALU_DEP_2) | instskip(NEXT) | instid1(VALU_DEP_2)
	v_pk_fma_f32 v[84:85], v[62:63], v[54:55], v[76:77] op_sel_hi:[1,0,1]
	v_pk_mul_f32 v[74:75], v[74:75], v[78:79] op_sel_hi:[1,0]
	v_pk_fma_f32 v[54:55], v[62:63], v[54:55], v[76:77] neg_lo:[0,0,1] neg_hi:[0,0,1]
	s_wait_loadcnt 0x2
	v_pk_mul_f32 v[78:79], v[66:67], v[58:59] op_sel:[1,1] op_sel_hi:[0,1]
	v_dual_mov_b32 v84, v61 :: v_dual_mov_b32 v55, v85
	v_pk_fma_f32 v[62:63], v[64:65], v[56:57], v[74:75] op_sel_hi:[1,0,1]
	v_pk_fma_f32 v[56:57], v[64:65], v[56:57], v[74:75] neg_lo:[0,0,1] neg_hi:[0,0,1]
	s_delay_alu instid0(VALU_DEP_4) | instskip(NEXT) | instid1(VALU_DEP_4)
	v_pk_fma_f32 v[76:77], v[66:67], v[58:59], v[78:79] op_sel_hi:[1,0,1]
	v_pk_mul_f32 v[82:83], v[82:83], v[84:85] op_sel_hi:[1,0]
	v_pk_add_f32 v[54:55], v[54:55], 0 op_sel_hi:[1,0]
	v_mov_b32_e32 v57, v63
	v_pk_fma_f32 v[58:59], v[66:67], v[58:59], v[78:79] neg_lo:[0,0,1] neg_hi:[0,0,1]
	v_mov_b32_e32 v59, v77
	v_pk_fma_f32 v[62:63], v[68:69], v[60:61], v[82:83] op_sel_hi:[1,0,1]
	v_pk_fma_f32 v[60:61], v[68:69], v[60:61], v[82:83] neg_lo:[0,0,1] neg_hi:[0,0,1]
	v_pk_add_f32 v[54:55], v[54:55], v[56:57]
	s_wait_loadcnt_dscnt 0x100
	v_pk_mul_f32 v[56:57], v[80:81], v[70:71] op_sel:[1,1] op_sel_hi:[0,1]
	s_delay_alu instid0(VALU_DEP_2) | instskip(NEXT) | instid1(VALU_DEP_2)
	v_pk_add_f32 v[54:55], v[54:55], v[58:59]
	v_pk_fma_f32 v[58:59], v[80:81], v[70:71], v[56:57] op_sel_hi:[1,0,1]
	v_mov_b32_e32 v61, v63
	v_pk_fma_f32 v[56:57], v[80:81], v[70:71], v[56:57] neg_lo:[0,0,1] neg_hi:[0,0,1]
	s_delay_alu instid0(VALU_DEP_3) | instskip(NEXT) | instid1(VALU_DEP_3)
	v_mov_b32_e32 v57, v59
	v_pk_add_f32 v[54:55], v[54:55], v[60:61]
	s_delay_alu instid0(VALU_DEP_1) | instskip(SKIP_1) | instid1(VALU_DEP_1)
	v_pk_add_f32 v[54:55], v[54:55], v[56:57]
	s_wait_loadcnt 0x0
	v_pk_add_f32 v[54:55], v[72:73], v[54:55] neg_lo:[0,1] neg_hi:[0,1]
	scratch_store_b64 off, v[54:55], off offset:160
	s_wait_xcnt 0x0
	v_cmpx_lt_u32_e32 19, v0
	s_cbranch_execz .LBB89_131
; %bb.130:
	scratch_load_b64 v[54:55], off, off offset:152
	v_mov_b64_e32 v[56:57], 0
	scratch_store_b64 off, v[56:57], off offset:152
	s_wait_loadcnt 0x0
	ds_store_b64 v1, v[54:55]
.LBB89_131:
	s_wait_xcnt 0x0
	s_or_b32 exec_lo, exec_lo, s0
	s_wait_storecnt_dscnt 0x0
	s_barrier_signal -1
	s_barrier_wait -1
	s_clause 0x3
	scratch_load_b128 v[54:57], off, off offset:160
	scratch_load_b128 v[58:61], off, off offset:176
	;; [unrolled: 1-line block ×3, first 2 shown]
	scratch_load_b64 v[78:79], off, off offset:152
	ds_load_b128 v[66:69], v7 offset:368
	ds_load_b128 v[70:73], v7 offset:384
	;; [unrolled: 1-line block ×3, first 2 shown]
	s_mov_b32 s0, exec_lo
	s_wait_dscnt 0x2
	v_dual_mov_b32 v80, v69 :: v_dual_mov_b32 v81, v68
	s_wait_dscnt 0x1
	v_dual_mov_b32 v82, v73 :: v_dual_mov_b32 v83, v72
	;; [unrolled: 2-line block ×3, first 2 shown]
	s_wait_loadcnt 0x3
	v_pk_mul_f32 v[84:85], v[66:67], v[54:55] op_sel:[1,1] op_sel_hi:[0,1]
	v_mov_b32_e32 v86, v57
	s_delay_alu instid0(VALU_DEP_2) | instskip(NEXT) | instid1(VALU_DEP_2)
	v_pk_fma_f32 v[90:91], v[66:67], v[54:55], v[84:85] op_sel_hi:[1,0,1]
	v_pk_mul_f32 v[80:81], v[80:81], v[86:87] op_sel_hi:[1,0]
	v_pk_fma_f32 v[54:55], v[66:67], v[54:55], v[84:85] neg_lo:[0,0,1] neg_hi:[0,0,1]
	s_wait_loadcnt 0x2
	v_pk_mul_f32 v[86:87], v[70:71], v[58:59] op_sel:[1,1] op_sel_hi:[0,1]
	v_mov_b32_e32 v90, v61
	v_pk_fma_f32 v[66:67], v[68:69], v[56:57], v[80:81] op_sel_hi:[1,0,1]
	v_mov_b32_e32 v55, v91
	v_pk_fma_f32 v[56:57], v[68:69], v[56:57], v[80:81] neg_lo:[0,0,1] neg_hi:[0,0,1]
	v_pk_fma_f32 v[84:85], v[70:71], v[58:59], v[86:87] op_sel_hi:[1,0,1]
	v_pk_mul_f32 v[82:83], v[82:83], v[90:91] op_sel_hi:[1,0]
	v_mov_b32_e32 v57, v67
	v_pk_add_f32 v[54:55], v[54:55], 0 op_sel_hi:[1,0]
	v_pk_fma_f32 v[58:59], v[70:71], v[58:59], v[86:87] neg_lo:[0,0,1] neg_hi:[0,0,1]
	s_wait_loadcnt 0x1
	v_pk_mul_f32 v[66:67], v[74:75], v[62:63] op_sel:[1,1] op_sel_hi:[0,1]
	v_mov_b32_e32 v59, v85
	v_pk_fma_f32 v[68:69], v[72:73], v[60:61], v[82:83] op_sel_hi:[1,0,1]
	v_pk_add_f32 v[54:55], v[54:55], v[56:57]
	v_mov_b32_e32 v56, v65
	v_pk_fma_f32 v[60:61], v[72:73], v[60:61], v[82:83] neg_lo:[0,0,1] neg_hi:[0,0,1]
	v_pk_fma_f32 v[70:71], v[74:75], v[62:63], v[66:67] op_sel_hi:[1,0,1]
	v_mov_b32_e32 v61, v69
	v_pk_add_f32 v[54:55], v[54:55], v[58:59]
	v_pk_mul_f32 v[56:57], v[88:89], v[56:57] op_sel_hi:[1,0]
	v_pk_fma_f32 v[58:59], v[74:75], v[62:63], v[66:67] neg_lo:[0,0,1] neg_hi:[0,0,1]
	v_mov_b32_e32 v59, v71
	s_delay_alu instid0(VALU_DEP_4) | instskip(NEXT) | instid1(VALU_DEP_4)
	v_pk_add_f32 v[54:55], v[54:55], v[60:61]
	v_pk_fma_f32 v[60:61], v[76:77], v[64:65], v[56:57] op_sel_hi:[1,0,1]
	v_pk_fma_f32 v[56:57], v[76:77], v[64:65], v[56:57] neg_lo:[0,0,1] neg_hi:[0,0,1]
	s_delay_alu instid0(VALU_DEP_3) | instskip(NEXT) | instid1(VALU_DEP_3)
	v_pk_add_f32 v[54:55], v[54:55], v[58:59]
	v_mov_b32_e32 v57, v61
	s_delay_alu instid0(VALU_DEP_1) | instskip(SKIP_1) | instid1(VALU_DEP_1)
	v_pk_add_f32 v[54:55], v[54:55], v[56:57]
	s_wait_loadcnt 0x0
	v_pk_add_f32 v[54:55], v[78:79], v[54:55] neg_lo:[0,1] neg_hi:[0,1]
	scratch_store_b64 off, v[54:55], off offset:152
	s_wait_xcnt 0x0
	v_cmpx_lt_u32_e32 18, v0
	s_cbranch_execz .LBB89_133
; %bb.132:
	scratch_load_b64 v[54:55], off, off offset:144
	v_mov_b64_e32 v[56:57], 0
	scratch_store_b64 off, v[56:57], off offset:144
	s_wait_loadcnt 0x0
	ds_store_b64 v1, v[54:55]
.LBB89_133:
	s_wait_xcnt 0x0
	s_or_b32 exec_lo, exec_lo, s0
	s_wait_storecnt_dscnt 0x0
	s_barrier_signal -1
	s_barrier_wait -1
	s_clause 0x4
	scratch_load_b128 v[54:57], off, off offset:152
	scratch_load_b128 v[58:61], off, off offset:168
	;; [unrolled: 1-line block ×3, first 2 shown]
	scratch_load_b64 v[78:79], off, off offset:200
	scratch_load_b64 v[80:81], off, off offset:144
	v_mov_b32_e32 v7, 0
	ds_load_2addr_b64 v[66:69], v7 offset0:45 offset1:46
	ds_load_2addr_b64 v[70:73], v7 offset0:47 offset1:48
	;; [unrolled: 1-line block ×3, first 2 shown]
	ds_load_b64 v[82:83], v7 offset:408
	s_mov_b32 s0, exec_lo
	s_wait_dscnt 0x3
	v_dual_mov_b32 v84, v69 :: v_dual_mov_b32 v85, v68
	s_wait_dscnt 0x2
	v_dual_mov_b32 v86, v73 :: v_dual_mov_b32 v87, v72
	;; [unrolled: 2-line block ×3, first 2 shown]
	s_wait_loadcnt 0x4
	v_pk_mul_f32 v[88:89], v[66:67], v[54:55] op_sel:[1,1] op_sel_hi:[0,1]
	v_mov_b32_e32 v90, v57
	s_wait_loadcnt 0x3
	v_pk_mul_f32 v[94:95], v[70:71], v[58:59] op_sel:[1,1] op_sel_hi:[0,1]
	s_wait_loadcnt 0x2
	v_pk_mul_f32 v[98:99], v[74:75], v[62:63] op_sel:[1,1] op_sel_hi:[0,1]
	v_pk_fma_f32 v[96:97], v[66:67], v[54:55], v[88:89] op_sel_hi:[1,0,1]
	v_pk_mul_f32 v[84:85], v[84:85], v[90:91] op_sel_hi:[1,0]
	v_pk_fma_f32 v[54:55], v[66:67], v[54:55], v[88:89] neg_lo:[0,0,1] neg_hi:[0,0,1]
	v_mov_b32_e32 v90, v61
	v_pk_fma_f32 v[88:89], v[70:71], v[58:59], v[94:95] op_sel_hi:[1,0,1]
	v_mov_b32_e32 v55, v97
	v_pk_fma_f32 v[66:67], v[68:69], v[56:57], v[84:85] op_sel_hi:[1,0,1]
	v_pk_fma_f32 v[56:57], v[68:69], v[56:57], v[84:85] neg_lo:[0,0,1] neg_hi:[0,0,1]
	v_pk_mul_f32 v[86:87], v[86:87], v[90:91] op_sel_hi:[1,0]
	v_pk_fma_f32 v[58:59], v[70:71], v[58:59], v[94:95] neg_lo:[0,0,1] neg_hi:[0,0,1]
	v_pk_add_f32 v[54:55], v[54:55], 0 op_sel_hi:[1,0]
	v_dual_mov_b32 v57, v67 :: v_dual_mov_b32 v66, v65
	s_delay_alu instid0(VALU_DEP_4) | instskip(SKIP_2) | instid1(VALU_DEP_4)
	v_pk_fma_f32 v[68:69], v[72:73], v[60:61], v[86:87] op_sel_hi:[1,0,1]
	v_mov_b32_e32 v59, v89
	v_pk_fma_f32 v[60:61], v[72:73], v[60:61], v[86:87] neg_lo:[0,0,1] neg_hi:[0,0,1]
	v_pk_add_f32 v[54:55], v[54:55], v[56:57]
	v_pk_fma_f32 v[56:57], v[74:75], v[62:63], v[98:99] op_sel_hi:[1,0,1]
	v_pk_mul_f32 v[66:67], v[92:93], v[66:67] op_sel_hi:[1,0]
	v_mov_b32_e32 v61, v69
	s_delay_alu instid0(VALU_DEP_4)
	v_pk_add_f32 v[54:55], v[54:55], v[58:59]
	v_pk_fma_f32 v[58:59], v[74:75], v[62:63], v[98:99] neg_lo:[0,0,1] neg_hi:[0,0,1]
	v_mov_b32_e32 v59, v57
	v_pk_fma_f32 v[56:57], v[76:77], v[64:65], v[66:67] op_sel_hi:[1,0,1]
	v_pk_fma_f32 v[62:63], v[76:77], v[64:65], v[66:67] neg_lo:[0,0,1] neg_hi:[0,0,1]
	v_pk_add_f32 v[54:55], v[54:55], v[60:61]
	s_wait_loadcnt_dscnt 0x100
	v_pk_mul_f32 v[60:61], v[82:83], v[78:79] op_sel:[1,1] op_sel_hi:[0,1]
	v_mov_b32_e32 v63, v57
	s_delay_alu instid0(VALU_DEP_3) | instskip(NEXT) | instid1(VALU_DEP_3)
	v_pk_add_f32 v[54:55], v[54:55], v[58:59]
	v_pk_fma_f32 v[56:57], v[82:83], v[78:79], v[60:61] op_sel_hi:[1,0,1]
	v_pk_fma_f32 v[58:59], v[82:83], v[78:79], v[60:61] neg_lo:[0,0,1] neg_hi:[0,0,1]
	s_delay_alu instid0(VALU_DEP_3) | instskip(NEXT) | instid1(VALU_DEP_3)
	v_pk_add_f32 v[54:55], v[54:55], v[62:63]
	v_mov_b32_e32 v59, v57
	s_delay_alu instid0(VALU_DEP_1) | instskip(SKIP_1) | instid1(VALU_DEP_1)
	v_pk_add_f32 v[54:55], v[54:55], v[58:59]
	s_wait_loadcnt 0x0
	v_pk_add_f32 v[54:55], v[80:81], v[54:55] neg_lo:[0,1] neg_hi:[0,1]
	scratch_store_b64 off, v[54:55], off offset:144
	s_wait_xcnt 0x0
	v_cmpx_lt_u32_e32 17, v0
	s_cbranch_execz .LBB89_135
; %bb.134:
	scratch_load_b64 v[54:55], off, off offset:136
	v_mov_b64_e32 v[56:57], 0
	scratch_store_b64 off, v[56:57], off offset:136
	s_wait_loadcnt 0x0
	ds_store_b64 v1, v[54:55]
.LBB89_135:
	s_wait_xcnt 0x0
	s_or_b32 exec_lo, exec_lo, s0
	s_wait_storecnt_dscnt 0x0
	s_barrier_signal -1
	s_barrier_wait -1
	s_clause 0x4
	scratch_load_b128 v[54:57], off, off offset:144
	scratch_load_b128 v[58:61], off, off offset:160
	;; [unrolled: 1-line block ×4, first 2 shown]
	scratch_load_b64 v[86:87], off, off offset:136
	ds_load_b128 v[70:73], v7 offset:352
	ds_load_b128 v[74:77], v7 offset:368
	;; [unrolled: 1-line block ×4, first 2 shown]
	s_mov_b32 s0, exec_lo
	s_wait_dscnt 0x3
	v_dual_mov_b32 v88, v73 :: v_dual_mov_b32 v89, v72
	s_wait_dscnt 0x2
	v_dual_mov_b32 v90, v77 :: v_dual_mov_b32 v91, v76
	;; [unrolled: 2-line block ×3, first 2 shown]
	v_dual_mov_b32 v93, v80 :: v_dual_mov_b32 v98, v85
	s_wait_loadcnt 0x4
	v_mov_b32_e32 v96, v57
	v_pk_mul_f32 v[94:95], v[70:71], v[54:55] op_sel:[1,1] op_sel_hi:[0,1]
	s_wait_loadcnt 0x3
	v_pk_mul_f32 v[100:101], v[74:75], v[58:59] op_sel:[1,1] op_sel_hi:[0,1]
	s_wait_loadcnt 0x2
	v_pk_mul_f32 v[104:105], v[78:79], v[62:63] op_sel:[1,1] op_sel_hi:[0,1]
	v_pk_mul_f32 v[88:89], v[88:89], v[96:97] op_sel_hi:[1,0]
	v_pk_fma_f32 v[102:103], v[70:71], v[54:55], v[94:95] op_sel_hi:[1,0,1]
	v_pk_fma_f32 v[54:55], v[70:71], v[54:55], v[94:95] neg_lo:[0,0,1] neg_hi:[0,0,1]
	v_mov_b32_e32 v96, v61
	v_pk_fma_f32 v[94:95], v[74:75], v[58:59], v[100:101] op_sel_hi:[1,0,1]
	v_pk_fma_f32 v[70:71], v[72:73], v[56:57], v[88:89] op_sel_hi:[1,0,1]
	v_mov_b32_e32 v55, v103
	v_pk_fma_f32 v[56:57], v[72:73], v[56:57], v[88:89] neg_lo:[0,0,1] neg_hi:[0,0,1]
	v_pk_mul_f32 v[90:91], v[90:91], v[96:97] op_sel_hi:[1,0]
	s_delay_alu instid0(VALU_DEP_4) | instskip(NEXT) | instid1(VALU_DEP_4)
	v_dual_mov_b32 v70, v65 :: v_dual_mov_b32 v57, v71
	v_pk_add_f32 v[54:55], v[54:55], 0 op_sel_hi:[1,0]
	v_pk_fma_f32 v[58:59], v[74:75], v[58:59], v[100:101] neg_lo:[0,0,1] neg_hi:[0,0,1]
	v_mov_b32_e32 v59, v95
	v_pk_fma_f32 v[72:73], v[76:77], v[60:61], v[90:91] op_sel_hi:[1,0,1]
	v_pk_mul_f32 v[70:71], v[92:93], v[70:71] op_sel_hi:[1,0]
	v_pk_add_f32 v[54:55], v[54:55], v[56:57]
	v_pk_fma_f32 v[56:57], v[78:79], v[62:63], v[104:105] op_sel_hi:[1,0,1]
	v_pk_fma_f32 v[60:61], v[76:77], v[60:61], v[90:91] neg_lo:[0,0,1] neg_hi:[0,0,1]
	v_mov_b32_e32 v61, v73
	v_pk_fma_f32 v[62:63], v[78:79], v[62:63], v[104:105] neg_lo:[0,0,1] neg_hi:[0,0,1]
	v_pk_add_f32 v[54:55], v[54:55], v[58:59]
	v_mov_b32_e32 v63, v57
	v_pk_fma_f32 v[56:57], v[80:81], v[64:65], v[70:71] op_sel_hi:[1,0,1]
	s_wait_loadcnt 0x1
	v_pk_mul_f32 v[58:59], v[82:83], v[66:67] op_sel:[1,1] op_sel_hi:[0,1]
	v_mov_b32_e32 v56, v69
	v_pk_add_f32 v[54:55], v[54:55], v[60:61]
	v_pk_fma_f32 v[64:65], v[80:81], v[64:65], v[70:71] neg_lo:[0,0,1] neg_hi:[0,0,1]
	v_mov_b32_e32 v65, v57
	v_pk_fma_f32 v[60:61], v[82:83], v[66:67], v[58:59] op_sel_hi:[1,0,1]
	v_pk_mul_f32 v[56:57], v[98:99], v[56:57] op_sel_hi:[1,0]
	v_pk_add_f32 v[54:55], v[54:55], v[62:63]
	v_pk_fma_f32 v[58:59], v[82:83], v[66:67], v[58:59] neg_lo:[0,0,1] neg_hi:[0,0,1]
	s_delay_alu instid0(VALU_DEP_4) | instskip(NEXT) | instid1(VALU_DEP_4)
	v_mov_b32_e32 v59, v61
	v_pk_fma_f32 v[60:61], v[84:85], v[68:69], v[56:57] op_sel_hi:[1,0,1]
	s_delay_alu instid0(VALU_DEP_4) | instskip(SKIP_1) | instid1(VALU_DEP_3)
	v_pk_add_f32 v[54:55], v[54:55], v[64:65]
	v_pk_fma_f32 v[56:57], v[84:85], v[68:69], v[56:57] neg_lo:[0,0,1] neg_hi:[0,0,1]
	v_mov_b32_e32 v57, v61
	s_delay_alu instid0(VALU_DEP_3) | instskip(NEXT) | instid1(VALU_DEP_1)
	v_pk_add_f32 v[54:55], v[54:55], v[58:59]
	v_pk_add_f32 v[54:55], v[54:55], v[56:57]
	s_wait_loadcnt 0x0
	s_delay_alu instid0(VALU_DEP_1)
	v_pk_add_f32 v[54:55], v[86:87], v[54:55] neg_lo:[0,1] neg_hi:[0,1]
	scratch_store_b64 off, v[54:55], off offset:136
	s_wait_xcnt 0x0
	v_cmpx_lt_u32_e32 16, v0
	s_cbranch_execz .LBB89_137
; %bb.136:
	scratch_load_b64 v[54:55], off, off offset:128
	v_mov_b64_e32 v[56:57], 0
	scratch_store_b64 off, v[56:57], off offset:128
	s_wait_loadcnt 0x0
	ds_store_b64 v1, v[54:55]
.LBB89_137:
	s_wait_xcnt 0x0
	s_or_b32 exec_lo, exec_lo, s0
	s_wait_storecnt_dscnt 0x0
	s_barrier_signal -1
	s_barrier_wait -1
	s_clause 0x5
	scratch_load_b128 v[54:57], off, off offset:136
	scratch_load_b128 v[58:61], off, off offset:152
	;; [unrolled: 1-line block ×4, first 2 shown]
	scratch_load_b64 v[86:87], off, off offset:200
	scratch_load_b64 v[88:89], off, off offset:128
	v_mov_b32_e32 v7, 0
	ds_load_2addr_b64 v[70:73], v7 offset0:43 offset1:44
	ds_load_2addr_b64 v[74:77], v7 offset0:45 offset1:46
	;; [unrolled: 1-line block ×4, first 2 shown]
	ds_load_b64 v[90:91], v7 offset:408
	s_mov_b32 s0, exec_lo
	s_wait_dscnt 0x4
	v_dual_mov_b32 v92, v73 :: v_dual_mov_b32 v93, v72
	s_wait_dscnt 0x1
	v_dual_mov_b32 v94, v77 :: v_dual_mov_b32 v99, v84
	v_dual_mov_b32 v95, v76 :: v_dual_mov_b32 v96, v81
	;; [unrolled: 1-line block ×3, first 2 shown]
	s_wait_loadcnt 0x5
	v_dual_mov_b32 v100, v57 :: v_dual_mul_f32 v101, v70, v55
	v_mul_f32_e32 v9, v71, v55
	s_wait_loadcnt 0x4
	v_pk_mul_f32 v[102:103], v[74:75], v[58:59] op_sel:[1,1] op_sel_hi:[0,1]
	v_mov_b32_e32 v104, v61
	s_wait_loadcnt 0x3
	v_pk_mul_f32 v[106:107], v[78:79], v[62:63] op_sel:[1,1] op_sel_hi:[0,1]
	v_pk_mul_f32 v[92:93], v[92:93], v[100:101] op_sel_hi:[1,0]
	v_fmac_f32_e32 v101, v71, v54
	v_dual_fma_f32 v100, v70, v54, -v9 :: v_dual_mov_b32 v54, v65
	v_pk_fma_f32 v[108:109], v[74:75], v[58:59], v[102:103] op_sel_hi:[1,0,1]
	s_delay_alu instid0(VALU_DEP_4)
	v_pk_fma_f32 v[70:71], v[72:73], v[56:57], v[92:93] op_sel_hi:[1,0,1]
	v_pk_fma_f32 v[56:57], v[72:73], v[56:57], v[92:93] neg_lo:[0,0,1] neg_hi:[0,0,1]
	v_pk_mul_f32 v[94:95], v[94:95], v[104:105] op_sel_hi:[1,0]
	v_pk_add_f32 v[100:101], v[100:101], 0 op_sel_hi:[1,0]
	v_pk_fma_f32 v[58:59], v[74:75], v[58:59], v[102:103] neg_lo:[0,0,1] neg_hi:[0,0,1]
	v_dual_mov_b32 v57, v71 :: v_dual_mov_b32 v59, v109
	s_delay_alu instid0(VALU_DEP_4) | instskip(SKIP_2) | instid1(VALU_DEP_4)
	v_pk_fma_f32 v[72:73], v[76:77], v[60:61], v[94:95] op_sel_hi:[1,0,1]
	v_pk_fma_f32 v[60:61], v[76:77], v[60:61], v[94:95] neg_lo:[0,0,1] neg_hi:[0,0,1]
	v_pk_fma_f32 v[74:75], v[78:79], v[62:63], v[106:107] op_sel_hi:[1,0,1]
	v_pk_add_f32 v[56:57], v[100:101], v[56:57]
	v_pk_mul_f32 v[54:55], v[96:97], v[54:55] op_sel_hi:[1,0]
	v_mov_b32_e32 v61, v73
	v_pk_fma_f32 v[62:63], v[78:79], v[62:63], v[106:107] neg_lo:[0,0,1] neg_hi:[0,0,1]
	s_wait_loadcnt 0x2
	v_pk_mul_f32 v[70:71], v[82:83], v[66:67] op_sel:[1,1] op_sel_hi:[0,1]
	v_pk_add_f32 v[56:57], v[56:57], v[58:59]
	v_mov_b32_e32 v58, v69
	v_pk_fma_f32 v[72:73], v[80:81], v[64:65], v[54:55] op_sel_hi:[1,0,1]
	v_mov_b32_e32 v63, v75
	v_pk_fma_f32 v[54:55], v[80:81], v[64:65], v[54:55] neg_lo:[0,0,1] neg_hi:[0,0,1]
	v_pk_add_f32 v[56:57], v[56:57], v[60:61]
	v_pk_fma_f32 v[60:61], v[82:83], v[66:67], v[70:71] op_sel_hi:[1,0,1]
	v_pk_mul_f32 v[58:59], v[98:99], v[58:59] op_sel_hi:[1,0]
	v_mov_b32_e32 v55, v73
	s_delay_alu instid0(VALU_DEP_4)
	v_pk_add_f32 v[56:57], v[56:57], v[62:63]
	v_pk_fma_f32 v[62:63], v[82:83], v[66:67], v[70:71] neg_lo:[0,0,1] neg_hi:[0,0,1]
	v_mov_b32_e32 v63, v61
	v_pk_fma_f32 v[60:61], v[84:85], v[68:69], v[58:59] op_sel_hi:[1,0,1]
	v_pk_fma_f32 v[58:59], v[84:85], v[68:69], v[58:59] neg_lo:[0,0,1] neg_hi:[0,0,1]
	v_pk_add_f32 v[54:55], v[56:57], v[54:55]
	s_wait_loadcnt_dscnt 0x100
	v_pk_mul_f32 v[56:57], v[90:91], v[86:87] op_sel:[1,1] op_sel_hi:[0,1]
	v_mov_b32_e32 v59, v61
	s_delay_alu instid0(VALU_DEP_3) | instskip(NEXT) | instid1(VALU_DEP_3)
	v_pk_add_f32 v[54:55], v[54:55], v[62:63]
	v_pk_fma_f32 v[60:61], v[90:91], v[86:87], v[56:57] op_sel_hi:[1,0,1]
	v_pk_fma_f32 v[56:57], v[90:91], v[86:87], v[56:57] neg_lo:[0,0,1] neg_hi:[0,0,1]
	s_delay_alu instid0(VALU_DEP_3) | instskip(NEXT) | instid1(VALU_DEP_3)
	v_pk_add_f32 v[54:55], v[54:55], v[58:59]
	v_mov_b32_e32 v57, v61
	s_delay_alu instid0(VALU_DEP_1) | instskip(SKIP_1) | instid1(VALU_DEP_1)
	v_pk_add_f32 v[54:55], v[54:55], v[56:57]
	s_wait_loadcnt 0x0
	v_pk_add_f32 v[54:55], v[88:89], v[54:55] neg_lo:[0,1] neg_hi:[0,1]
	scratch_store_b64 off, v[54:55], off offset:128
	s_wait_xcnt 0x0
	v_cmpx_lt_u32_e32 15, v0
	s_cbranch_execz .LBB89_139
; %bb.138:
	scratch_load_b64 v[54:55], off, off offset:120
	v_mov_b64_e32 v[56:57], 0
	scratch_store_b64 off, v[56:57], off offset:120
	s_wait_loadcnt 0x0
	ds_store_b64 v1, v[54:55]
.LBB89_139:
	s_wait_xcnt 0x0
	s_or_b32 exec_lo, exec_lo, s0
	s_wait_storecnt_dscnt 0x0
	s_barrier_signal -1
	s_barrier_wait -1
	s_clause 0x5
	scratch_load_b128 v[54:57], off, off offset:128
	scratch_load_b128 v[58:61], off, off offset:144
	;; [unrolled: 1-line block ×5, first 2 shown]
	scratch_load_b64 v[94:95], off, off offset:120
	ds_load_b128 v[74:77], v7 offset:352
	ds_load_b128 v[78:81], v7 offset:368
	;; [unrolled: 1-line block ×5, first 2 shown]
	s_mov_b32 s0, exec_lo
	s_wait_dscnt 0x4
	v_dual_mov_b32 v96, v77 :: v_dual_mov_b32 v97, v76
	s_wait_dscnt 0x3
	v_dual_mov_b32 v98, v81 :: v_dual_mov_b32 v99, v80
	;; [unrolled: 2-line block ×4, first 2 shown]
	s_wait_loadcnt_dscnt 0x500
	v_dual_mul_f32 v105, v90, v55 :: v_dual_mul_f32 v107, v92, v57
	v_dual_mul_f32 v7, v91, v55 :: v_dual_mul_f32 v9, v93, v57
	s_wait_loadcnt 0x4
	v_pk_mul_f32 v[108:109], v[74:75], v[58:59] op_sel:[1,1] op_sel_hi:[0,1]
	s_wait_loadcnt 0x3
	v_dual_mov_b32 v110, v61 :: v_dual_mov_b32 v114, v65
	v_dual_fmac_f32 v105, v91, v54 :: v_dual_fma_f32 v104, v90, v54, -v7
	v_dual_fmac_f32 v107, v93, v56 :: v_dual_fma_f32 v106, v92, v56, -v9
	v_pk_fma_f32 v[54:55], v[74:75], v[58:59], v[108:109] op_sel_hi:[1,0,1]
	s_delay_alu instid0(VALU_DEP_4) | instskip(NEXT) | instid1(VALU_DEP_4)
	v_pk_mul_f32 v[56:57], v[96:97], v[110:111] op_sel_hi:[1,0]
	v_pk_add_f32 v[90:91], v[104:105], 0 op_sel_hi:[1,0]
	v_pk_fma_f32 v[58:59], v[74:75], v[58:59], v[108:109] neg_lo:[0,0,1] neg_hi:[0,0,1]
	v_pk_mul_f32 v[112:113], v[78:79], v[62:63] op_sel:[1,1] op_sel_hi:[0,1]
	v_mov_b32_e32 v59, v55
	v_pk_fma_f32 v[54:55], v[76:77], v[60:61], v[56:57] op_sel_hi:[1,0,1]
	v_pk_add_f32 v[74:75], v[90:91], v[106:107]
	v_pk_fma_f32 v[56:57], v[76:77], v[60:61], v[56:57] neg_lo:[0,0,1] neg_hi:[0,0,1]
	v_pk_fma_f32 v[90:91], v[78:79], v[62:63], v[112:113] op_sel_hi:[1,0,1]
	v_pk_mul_f32 v[96:97], v[98:99], v[114:115] op_sel_hi:[1,0]
	v_mov_b32_e32 v57, v55
	v_pk_add_f32 v[54:55], v[74:75], v[58:59]
	s_wait_loadcnt 0x2
	v_pk_mul_f32 v[92:93], v[82:83], v[66:67] op_sel:[1,1] op_sel_hi:[0,1]
	v_mov_b32_e32 v58, v69
	v_pk_fma_f32 v[60:61], v[78:79], v[62:63], v[112:113] neg_lo:[0,0,1] neg_hi:[0,0,1]
	v_mov_b32_e32 v61, v91
	v_pk_fma_f32 v[62:63], v[80:81], v[64:65], v[96:97] op_sel_hi:[1,0,1]
	v_pk_add_f32 v[54:55], v[54:55], v[56:57]
	v_pk_fma_f32 v[56:57], v[82:83], v[66:67], v[92:93] op_sel_hi:[1,0,1]
	v_pk_mul_f32 v[58:59], v[100:101], v[58:59] op_sel_hi:[1,0]
	v_pk_fma_f32 v[64:65], v[80:81], v[64:65], v[96:97] neg_lo:[0,0,1] neg_hi:[0,0,1]
	v_mov_b32_e32 v65, v63
	v_pk_add_f32 v[54:55], v[54:55], v[60:61]
	v_pk_fma_f32 v[62:63], v[82:83], v[66:67], v[92:93] neg_lo:[0,0,1] neg_hi:[0,0,1]
	v_mov_b32_e32 v63, v57
	v_pk_fma_f32 v[56:57], v[84:85], v[68:69], v[58:59] op_sel_hi:[1,0,1]
	s_wait_loadcnt 0x1
	v_pk_mul_f32 v[60:61], v[86:87], v[70:71] op_sel:[1,1] op_sel_hi:[0,1]
	v_pk_add_f32 v[54:55], v[54:55], v[64:65]
	v_mov_b32_e32 v56, v73
	v_pk_fma_f32 v[58:59], v[84:85], v[68:69], v[58:59] neg_lo:[0,0,1] neg_hi:[0,0,1]
	v_mov_b32_e32 v59, v57
	v_pk_fma_f32 v[64:65], v[86:87], v[70:71], v[60:61] op_sel_hi:[1,0,1]
	v_pk_add_f32 v[54:55], v[54:55], v[62:63]
	v_pk_mul_f32 v[56:57], v[102:103], v[56:57] op_sel_hi:[1,0]
	v_pk_fma_f32 v[60:61], v[86:87], v[70:71], v[60:61] neg_lo:[0,0,1] neg_hi:[0,0,1]
	s_delay_alu instid0(VALU_DEP_3) | instskip(NEXT) | instid1(VALU_DEP_3)
	v_pk_add_f32 v[54:55], v[54:55], v[58:59]
	v_pk_fma_f32 v[58:59], v[88:89], v[72:73], v[56:57] op_sel_hi:[1,0,1]
	v_mov_b32_e32 v61, v65
	v_pk_fma_f32 v[56:57], v[88:89], v[72:73], v[56:57] neg_lo:[0,0,1] neg_hi:[0,0,1]
	s_delay_alu instid0(VALU_DEP_3) | instskip(NEXT) | instid1(VALU_DEP_3)
	v_mov_b32_e32 v57, v59
	v_pk_add_f32 v[54:55], v[54:55], v[60:61]
	s_delay_alu instid0(VALU_DEP_1) | instskip(SKIP_1) | instid1(VALU_DEP_1)
	v_pk_add_f32 v[54:55], v[54:55], v[56:57]
	s_wait_loadcnt 0x0
	v_pk_add_f32 v[54:55], v[94:95], v[54:55] neg_lo:[0,1] neg_hi:[0,1]
	scratch_store_b64 off, v[54:55], off offset:120
	s_wait_xcnt 0x0
	v_cmpx_lt_u32_e32 14, v0
	s_cbranch_execz .LBB89_141
; %bb.140:
	scratch_load_b64 v[54:55], off, off offset:112
	v_mov_b64_e32 v[56:57], 0
	scratch_store_b64 off, v[56:57], off offset:112
	s_wait_loadcnt 0x0
	ds_store_b64 v1, v[54:55]
.LBB89_141:
	s_wait_xcnt 0x0
	s_or_b32 exec_lo, exec_lo, s0
	s_wait_storecnt_dscnt 0x0
	s_barrier_signal -1
	s_barrier_wait -1
	s_clause 0x6
	scratch_load_b128 v[54:57], off, off offset:120
	scratch_load_b128 v[58:61], off, off offset:136
	scratch_load_b128 v[62:65], off, off offset:152
	scratch_load_b128 v[66:69], off, off offset:168
	scratch_load_b128 v[70:73], off, off offset:184
	scratch_load_b64 v[94:95], off, off offset:200
	scratch_load_b64 v[96:97], off, off offset:112
	v_mov_b32_e32 v7, 0
	ds_load_2addr_b64 v[74:77], v7 offset0:43 offset1:44
	ds_load_2addr_b64 v[78:81], v7 offset0:45 offset1:46
	;; [unrolled: 1-line block ×5, first 2 shown]
	ds_load_b64 v[98:99], v7 offset:408
	s_mov_b32 s0, exec_lo
	s_wait_dscnt 0x5
	v_dual_mov_b32 v100, v77 :: v_dual_mov_b32 v101, v76
	s_wait_dscnt 0x2
	v_dual_mov_b32 v102, v81 :: v_dual_mov_b32 v107, v88
	v_dual_mov_b32 v103, v80 :: v_dual_mov_b32 v104, v85
	;; [unrolled: 1-line block ×3, first 2 shown]
	s_wait_loadcnt_dscnt 0x601
	v_dual_mul_f32 v9, v90, v55 :: v_dual_mul_f32 v11, v91, v55
	v_dual_mul_f32 v13, v93, v57 :: v_dual_mul_f32 v109, v92, v57
	s_wait_loadcnt 0x5
	v_dual_mul_f32 v111, v74, v59 :: v_dual_mul_f32 v15, v75, v59
	s_wait_loadcnt 0x4
	v_dual_mov_b32 v110, v61 :: v_dual_mov_b32 v114, v65
	v_dual_fmac_f32 v9, v91, v54 :: v_dual_fma_f32 v11, v90, v54, -v11
	v_fmac_f32_e32 v109, v93, v56
	v_pk_mul_f32 v[112:113], v[78:79], v[62:63] op_sel:[1,1] op_sel_hi:[0,1]
	s_delay_alu instid0(VALU_DEP_3)
	v_dual_fma_f32 v108, v92, v56, -v13 :: v_dual_add_f32 v57, 0, v9
	v_pk_mul_f32 v[54:55], v[100:101], v[110:111] op_sel_hi:[1,0]
	s_wait_loadcnt 0x3
	v_dual_add_f32 v56, 0, v11 :: v_dual_mov_b32 v90, v69
	v_fmac_f32_e32 v111, v75, v58
	v_fma_f32 v110, v74, v58, -v15
	v_pk_fma_f32 v[58:59], v[76:77], v[60:61], v[54:55] op_sel_hi:[1,0,1]
	s_delay_alu instid0(VALU_DEP_4) | instskip(SKIP_4) | instid1(VALU_DEP_4)
	v_pk_add_f32 v[56:57], v[56:57], v[108:109]
	v_pk_fma_f32 v[74:75], v[78:79], v[62:63], v[112:113] op_sel_hi:[1,0,1]
	v_pk_fma_f32 v[54:55], v[76:77], v[60:61], v[54:55] neg_lo:[0,0,1] neg_hi:[0,0,1]
	v_pk_fma_f32 v[60:61], v[78:79], v[62:63], v[112:113] neg_lo:[0,0,1] neg_hi:[0,0,1]
	v_pk_mul_f32 v[92:93], v[102:103], v[114:115] op_sel_hi:[1,0]
	v_dual_mov_b32 v55, v59 :: v_dual_mov_b32 v61, v75
	v_pk_add_f32 v[56:57], v[56:57], v[110:111]
	v_pk_mul_f32 v[116:117], v[82:83], v[66:67] op_sel:[1,1] op_sel_hi:[0,1]
	s_delay_alu instid0(VALU_DEP_4)
	v_pk_fma_f32 v[62:63], v[80:81], v[64:65], v[92:93] op_sel_hi:[1,0,1]
	v_pk_fma_f32 v[64:65], v[80:81], v[64:65], v[92:93] neg_lo:[0,0,1] neg_hi:[0,0,1]
	v_pk_mul_f32 v[74:75], v[104:105], v[90:91] op_sel_hi:[1,0]
	v_pk_add_f32 v[54:55], v[56:57], v[54:55]
	v_pk_fma_f32 v[56:57], v[82:83], v[66:67], v[116:117] op_sel_hi:[1,0,1]
	s_wait_loadcnt 0x2
	v_dual_mov_b32 v65, v63 :: v_dual_mov_b32 v56, v73
	v_pk_mul_f32 v[58:59], v[86:87], v[70:71] op_sel:[1,1] op_sel_hi:[0,1]
	v_pk_add_f32 v[54:55], v[54:55], v[60:61]
	v_pk_fma_f32 v[60:61], v[82:83], v[66:67], v[116:117] neg_lo:[0,0,1] neg_hi:[0,0,1]
	v_pk_fma_f32 v[62:63], v[84:85], v[68:69], v[74:75] op_sel_hi:[1,0,1]
	v_mov_b32_e32 v61, v57
	v_pk_fma_f32 v[66:67], v[84:85], v[68:69], v[74:75] neg_lo:[0,0,1] neg_hi:[0,0,1]
	v_pk_add_f32 v[54:55], v[54:55], v[64:65]
	v_pk_fma_f32 v[64:65], v[86:87], v[70:71], v[58:59] op_sel_hi:[1,0,1]
	v_pk_mul_f32 v[56:57], v[106:107], v[56:57] op_sel_hi:[1,0]
	v_mov_b32_e32 v67, v63
	v_pk_fma_f32 v[58:59], v[86:87], v[70:71], v[58:59] neg_lo:[0,0,1] neg_hi:[0,0,1]
	v_pk_add_f32 v[54:55], v[54:55], v[60:61]
	s_wait_loadcnt_dscnt 0x100
	v_pk_mul_f32 v[62:63], v[98:99], v[94:95] op_sel:[1,1] op_sel_hi:[0,1]
	v_pk_fma_f32 v[60:61], v[88:89], v[72:73], v[56:57] op_sel_hi:[1,0,1]
	v_mov_b32_e32 v59, v65
	v_pk_fma_f32 v[56:57], v[88:89], v[72:73], v[56:57] neg_lo:[0,0,1] neg_hi:[0,0,1]
	v_pk_add_f32 v[54:55], v[54:55], v[66:67]
	s_delay_alu instid0(VALU_DEP_4) | instskip(SKIP_1) | instid1(VALU_DEP_3)
	v_mov_b32_e32 v57, v61
	v_pk_fma_f32 v[60:61], v[98:99], v[94:95], v[62:63] neg_lo:[0,0,1] neg_hi:[0,0,1]
	v_pk_add_f32 v[54:55], v[54:55], v[58:59]
	v_pk_fma_f32 v[58:59], v[98:99], v[94:95], v[62:63] op_sel_hi:[1,0,1]
	s_delay_alu instid0(VALU_DEP_2) | instskip(NEXT) | instid1(VALU_DEP_2)
	v_pk_add_f32 v[54:55], v[54:55], v[56:57]
	v_mov_b32_e32 v61, v59
	s_delay_alu instid0(VALU_DEP_1) | instskip(SKIP_1) | instid1(VALU_DEP_1)
	v_pk_add_f32 v[54:55], v[54:55], v[60:61]
	s_wait_loadcnt 0x0
	v_pk_add_f32 v[54:55], v[96:97], v[54:55] neg_lo:[0,1] neg_hi:[0,1]
	scratch_store_b64 off, v[54:55], off offset:112
	s_wait_xcnt 0x0
	v_cmpx_lt_u32_e32 13, v0
	s_cbranch_execz .LBB89_143
; %bb.142:
	scratch_load_b64 v[54:55], off, off offset:104
	v_mov_b64_e32 v[56:57], 0
	scratch_store_b64 off, v[56:57], off offset:104
	s_wait_loadcnt 0x0
	ds_store_b64 v1, v[54:55]
.LBB89_143:
	s_wait_xcnt 0x0
	s_or_b32 exec_lo, exec_lo, s0
	s_wait_storecnt_dscnt 0x0
	s_barrier_signal -1
	s_barrier_wait -1
	s_clause 0x6
	scratch_load_b128 v[54:57], off, off offset:112
	scratch_load_b128 v[58:61], off, off offset:128
	;; [unrolled: 1-line block ×6, first 2 shown]
	scratch_load_b64 v[102:103], off, off offset:104
	ds_load_b128 v[78:81], v7 offset:352
	ds_load_b128 v[82:85], v7 offset:368
	;; [unrolled: 1-line block ×6, first 2 shown]
	s_mov_b32 s0, exec_lo
	s_wait_dscnt 0x5
	v_dual_mov_b32 v104, v81 :: v_dual_mov_b32 v105, v80
	s_wait_dscnt 0x4
	v_dual_mov_b32 v106, v85 :: v_dual_mov_b32 v107, v84
	;; [unrolled: 2-line block ×4, first 2 shown]
	s_wait_loadcnt_dscnt 0x601
	v_dual_mul_f32 v7, v94, v55 :: v_dual_mul_f32 v9, v96, v57
	v_dual_mul_f32 v11, v95, v55 :: v_dual_mul_f32 v13, v97, v57
	s_wait_loadcnt 0x4
	s_delay_alu instid0(VALU_DEP_2)
	v_dual_mov_b32 v118, v65 :: v_dual_fmac_f32 v7, v95, v54
	s_wait_dscnt 0x0
	v_dual_mul_f32 v113, v98, v59 :: v_dual_mul_f32 v115, v100, v61
	v_dual_fma_f32 v11, v94, v54, -v11 :: v_dual_fmac_f32 v9, v97, v56
	v_dual_mul_f32 v15, v99, v59 :: v_dual_mul_f32 v17, v101, v61
	v_dual_fma_f32 v13, v96, v56, -v13 :: v_dual_add_f32 v7, 0, v7
	s_wait_loadcnt 0x3
	s_delay_alu instid0(VALU_DEP_3) | instskip(SKIP_3) | instid1(VALU_DEP_4)
	v_dual_add_f32 v11, 0, v11 :: v_dual_mov_b32 v56, v69
	v_pk_mul_f32 v[116:117], v[78:79], v[62:63] op_sel:[1,1] op_sel_hi:[0,1]
	v_dual_fmac_f32 v113, v99, v58 :: v_dual_fma_f32 v112, v98, v58, -v15
	v_dual_add_f32 v59, v7, v9 :: v_dual_fmac_f32 v115, v101, v60
	v_dual_add_f32 v58, v11, v13 :: v_dual_fma_f32 v114, v100, v60, -v17
	s_delay_alu instid0(VALU_DEP_4) | instskip(SKIP_2) | instid1(VALU_DEP_4)
	v_pk_fma_f32 v[60:61], v[78:79], v[62:63], v[116:117] op_sel_hi:[1,0,1]
	v_pk_mul_f32 v[94:95], v[104:105], v[118:119] op_sel_hi:[1,0]
	v_pk_fma_f32 v[62:63], v[78:79], v[62:63], v[116:117] neg_lo:[0,0,1] neg_hi:[0,0,1]
	v_pk_add_f32 v[58:59], v[58:59], v[112:113]
	v_pk_mul_f32 v[54:55], v[82:83], v[66:67] op_sel:[1,1] op_sel_hi:[0,1]
	v_mov_b32_e32 v63, v61
	v_pk_fma_f32 v[60:61], v[80:81], v[64:65], v[94:95] op_sel_hi:[1,0,1]
	v_pk_fma_f32 v[64:65], v[80:81], v[64:65], v[94:95] neg_lo:[0,0,1] neg_hi:[0,0,1]
	v_pk_add_f32 v[58:59], v[58:59], v[114:115]
	v_pk_fma_f32 v[78:79], v[82:83], v[66:67], v[54:55] op_sel_hi:[1,0,1]
	v_pk_mul_f32 v[56:57], v[106:107], v[56:57] op_sel_hi:[1,0]
	v_mov_b32_e32 v65, v61
	v_pk_fma_f32 v[54:55], v[82:83], v[66:67], v[54:55] neg_lo:[0,0,1] neg_hi:[0,0,1]
	v_pk_add_f32 v[58:59], v[58:59], v[62:63]
	s_wait_loadcnt 0x2
	v_pk_mul_f32 v[96:97], v[86:87], v[70:71] op_sel:[1,1] op_sel_hi:[0,1]
	v_dual_mov_b32 v60, v73 :: v_dual_mov_b32 v55, v79
	v_pk_fma_f32 v[62:63], v[84:85], v[68:69], v[56:57] op_sel_hi:[1,0,1]
	v_pk_add_f32 v[58:59], v[58:59], v[64:65]
	v_pk_fma_f32 v[56:57], v[84:85], v[68:69], v[56:57] neg_lo:[0,0,1] neg_hi:[0,0,1]
	v_pk_fma_f32 v[64:65], v[86:87], v[70:71], v[96:97] op_sel_hi:[1,0,1]
	v_pk_mul_f32 v[60:61], v[108:109], v[60:61] op_sel_hi:[1,0]
	v_mov_b32_e32 v57, v63
	v_pk_add_f32 v[54:55], v[58:59], v[54:55]
	v_pk_fma_f32 v[62:63], v[86:87], v[70:71], v[96:97] neg_lo:[0,0,1] neg_hi:[0,0,1]
	s_wait_loadcnt 0x1
	v_pk_mul_f32 v[58:59], v[90:91], v[74:75] op_sel:[1,1] op_sel_hi:[0,1]
	v_mov_b32_e32 v63, v65
	v_pk_fma_f32 v[64:65], v[88:89], v[72:73], v[60:61] op_sel_hi:[1,0,1]
	v_pk_add_f32 v[54:55], v[54:55], v[56:57]
	v_mov_b32_e32 v56, v77
	v_pk_fma_f32 v[60:61], v[88:89], v[72:73], v[60:61] neg_lo:[0,0,1] neg_hi:[0,0,1]
	v_pk_fma_f32 v[66:67], v[90:91], v[74:75], v[58:59] op_sel_hi:[1,0,1]
	v_mov_b32_e32 v61, v65
	v_pk_add_f32 v[54:55], v[54:55], v[62:63]
	v_pk_mul_f32 v[56:57], v[110:111], v[56:57] op_sel_hi:[1,0]
	v_pk_fma_f32 v[58:59], v[90:91], v[74:75], v[58:59] neg_lo:[0,0,1] neg_hi:[0,0,1]
	s_delay_alu instid0(VALU_DEP_3) | instskip(NEXT) | instid1(VALU_DEP_3)
	v_pk_add_f32 v[54:55], v[54:55], v[60:61]
	v_pk_fma_f32 v[60:61], v[92:93], v[76:77], v[56:57] op_sel_hi:[1,0,1]
	v_mov_b32_e32 v59, v67
	v_pk_fma_f32 v[56:57], v[92:93], v[76:77], v[56:57] neg_lo:[0,0,1] neg_hi:[0,0,1]
	s_delay_alu instid0(VALU_DEP_3) | instskip(NEXT) | instid1(VALU_DEP_3)
	v_mov_b32_e32 v57, v61
	v_pk_add_f32 v[54:55], v[54:55], v[58:59]
	s_delay_alu instid0(VALU_DEP_1) | instskip(SKIP_1) | instid1(VALU_DEP_1)
	v_pk_add_f32 v[54:55], v[54:55], v[56:57]
	s_wait_loadcnt 0x0
	v_pk_add_f32 v[54:55], v[102:103], v[54:55] neg_lo:[0,1] neg_hi:[0,1]
	scratch_store_b64 off, v[54:55], off offset:104
	s_wait_xcnt 0x0
	v_cmpx_lt_u32_e32 12, v0
	s_cbranch_execz .LBB89_145
; %bb.144:
	scratch_load_b64 v[54:55], off, off offset:96
	v_mov_b64_e32 v[56:57], 0
	scratch_store_b64 off, v[56:57], off offset:96
	s_wait_loadcnt 0x0
	ds_store_b64 v1, v[54:55]
.LBB89_145:
	s_wait_xcnt 0x0
	s_or_b32 exec_lo, exec_lo, s0
	s_wait_storecnt_dscnt 0x0
	s_barrier_signal -1
	s_barrier_wait -1
	s_clause 0x7
	scratch_load_b128 v[54:57], off, off offset:104
	scratch_load_b128 v[58:61], off, off offset:120
	;; [unrolled: 1-line block ×6, first 2 shown]
	scratch_load_b64 v[102:103], off, off offset:200
	scratch_load_b64 v[104:105], off, off offset:96
	v_mov_b32_e32 v7, 0
	ds_load_2addr_b64 v[78:81], v7 offset0:43 offset1:44
	ds_load_2addr_b64 v[82:85], v7 offset0:45 offset1:46
	;; [unrolled: 1-line block ×6, first 2 shown]
	ds_load_b64 v[106:107], v7 offset:408
	s_mov_b32 s0, exec_lo
	s_wait_dscnt 0x6
	v_dual_mov_b32 v108, v81 :: v_dual_mov_b32 v109, v80
	s_wait_dscnt 0x3
	v_dual_mov_b32 v110, v85 :: v_dual_mov_b32 v115, v92
	v_dual_mov_b32 v111, v84 :: v_dual_mov_b32 v112, v89
	;; [unrolled: 1-line block ×3, first 2 shown]
	s_wait_loadcnt_dscnt 0x702
	v_dual_mul_f32 v9, v94, v55 :: v_dual_mul_f32 v15, v95, v55
	v_dual_mul_f32 v17, v97, v57 :: v_dual_mul_f32 v11, v96, v57
	s_wait_loadcnt_dscnt 0x601
	s_delay_alu instid0(VALU_DEP_2) | instskip(NEXT) | instid1(VALU_DEP_3)
	v_dual_mul_f32 v13, v98, v59 :: v_dual_fmac_f32 v9, v95, v54
	v_dual_fma_f32 v15, v94, v54, -v15 :: v_dual_mul_f32 v19, v99, v59
	v_mul_f32_e32 v21, v101, v61
	s_wait_loadcnt 0x4
	v_dual_mov_b32 v54, v69 :: v_dual_fma_f32 v17, v96, v56, -v17
	v_dual_fmac_f32 v11, v97, v56 :: v_dual_add_f32 v9, 0, v9
	v_dual_add_f32 v15, 0, v15 :: v_dual_fmac_f32 v13, v99, v58
	v_dual_mul_f32 v117, v100, v61 :: v_dual_mul_f32 v119, v78, v63
	v_dual_mul_f32 v23, v79, v63 :: v_dual_mov_b32 v118, v65
	s_delay_alu instid0(VALU_DEP_4) | instskip(NEXT) | instid1(VALU_DEP_3)
	v_dual_fma_f32 v19, v98, v58, -v19 :: v_dual_add_f32 v9, v9, v11
	v_dual_add_f32 v11, v15, v17 :: v_dual_fmac_f32 v117, v101, v60
	v_pk_mul_f32 v[120:121], v[82:83], v[66:67] op_sel:[1,1] op_sel_hi:[0,1]
	s_delay_alu instid0(VALU_DEP_3)
	v_dual_fma_f32 v116, v100, v60, -v21 :: v_dual_add_f32 v61, v9, v13
	v_pk_mul_f32 v[58:59], v[108:109], v[118:119] op_sel_hi:[1,0]
	s_wait_loadcnt 0x3
	v_dual_add_f32 v60, v11, v19 :: v_dual_mov_b32 v94, v73
	v_fmac_f32_e32 v119, v79, v62
	v_fma_f32 v118, v78, v62, -v23
	v_pk_fma_f32 v[62:63], v[80:81], v[64:65], v[58:59] op_sel_hi:[1,0,1]
	s_delay_alu instid0(VALU_DEP_4) | instskip(SKIP_4) | instid1(VALU_DEP_4)
	v_pk_add_f32 v[60:61], v[60:61], v[116:117]
	v_pk_fma_f32 v[78:79], v[82:83], v[66:67], v[120:121] op_sel_hi:[1,0,1]
	v_pk_fma_f32 v[58:59], v[80:81], v[64:65], v[58:59] neg_lo:[0,0,1] neg_hi:[0,0,1]
	v_pk_fma_f32 v[64:65], v[82:83], v[66:67], v[120:121] neg_lo:[0,0,1] neg_hi:[0,0,1]
	v_pk_mul_f32 v[54:55], v[110:111], v[54:55] op_sel_hi:[1,0]
	v_dual_mov_b32 v59, v63 :: v_dual_mov_b32 v65, v79
	v_pk_add_f32 v[60:61], v[60:61], v[118:119]
	v_pk_mul_f32 v[56:57], v[86:87], v[70:71] op_sel:[1,1] op_sel_hi:[0,1]
	s_delay_alu instid0(VALU_DEP_4)
	v_pk_fma_f32 v[66:67], v[84:85], v[68:69], v[54:55] op_sel_hi:[1,0,1]
	v_pk_fma_f32 v[54:55], v[84:85], v[68:69], v[54:55] neg_lo:[0,0,1] neg_hi:[0,0,1]
	v_pk_mul_f32 v[78:79], v[112:113], v[94:95] op_sel_hi:[1,0]
	v_pk_add_f32 v[58:59], v[60:61], v[58:59]
	v_pk_fma_f32 v[60:61], v[86:87], v[70:71], v[56:57] op_sel_hi:[1,0,1]
	s_wait_loadcnt 0x2
	v_dual_mov_b32 v55, v67 :: v_dual_mov_b32 v60, v77
	v_pk_fma_f32 v[56:57], v[86:87], v[70:71], v[56:57] neg_lo:[0,0,1] neg_hi:[0,0,1]
	v_pk_add_f32 v[58:59], v[58:59], v[64:65]
	v_pk_mul_f32 v[62:63], v[90:91], v[74:75] op_sel:[1,1] op_sel_hi:[0,1]
	v_pk_fma_f32 v[64:65], v[88:89], v[72:73], v[78:79] op_sel_hi:[1,0,1]
	v_mov_b32_e32 v57, v61
	v_pk_fma_f32 v[66:67], v[88:89], v[72:73], v[78:79] neg_lo:[0,0,1] neg_hi:[0,0,1]
	v_pk_add_f32 v[54:55], v[58:59], v[54:55]
	v_pk_fma_f32 v[58:59], v[90:91], v[74:75], v[62:63] op_sel_hi:[1,0,1]
	v_pk_mul_f32 v[60:61], v[114:115], v[60:61] op_sel_hi:[1,0]
	v_mov_b32_e32 v67, v65
	s_delay_alu instid0(VALU_DEP_4)
	v_pk_add_f32 v[54:55], v[54:55], v[56:57]
	v_pk_fma_f32 v[56:57], v[90:91], v[74:75], v[62:63] neg_lo:[0,0,1] neg_hi:[0,0,1]
	v_mov_b32_e32 v57, v59
	v_pk_fma_f32 v[58:59], v[92:93], v[76:77], v[60:61] op_sel_hi:[1,0,1]
	s_wait_loadcnt_dscnt 0x100
	v_pk_mul_f32 v[62:63], v[106:107], v[102:103] op_sel:[1,1] op_sel_hi:[0,1]
	v_pk_add_f32 v[54:55], v[54:55], v[66:67]
	v_pk_fma_f32 v[60:61], v[92:93], v[76:77], v[60:61] neg_lo:[0,0,1] neg_hi:[0,0,1]
	v_mov_b32_e32 v61, v59
	s_delay_alu instid0(VALU_DEP_4) | instskip(NEXT) | instid1(VALU_DEP_4)
	v_pk_fma_f32 v[58:59], v[106:107], v[102:103], v[62:63] neg_lo:[0,0,1] neg_hi:[0,0,1]
	v_pk_add_f32 v[54:55], v[54:55], v[56:57]
	v_pk_fma_f32 v[56:57], v[106:107], v[102:103], v[62:63] op_sel_hi:[1,0,1]
	s_delay_alu instid0(VALU_DEP_2) | instskip(NEXT) | instid1(VALU_DEP_2)
	v_pk_add_f32 v[54:55], v[54:55], v[60:61]
	v_mov_b32_e32 v59, v57
	s_delay_alu instid0(VALU_DEP_1) | instskip(SKIP_1) | instid1(VALU_DEP_1)
	v_pk_add_f32 v[54:55], v[54:55], v[58:59]
	s_wait_loadcnt 0x0
	v_pk_add_f32 v[54:55], v[104:105], v[54:55] neg_lo:[0,1] neg_hi:[0,1]
	scratch_store_b64 off, v[54:55], off offset:96
	s_wait_xcnt 0x0
	v_cmpx_lt_u32_e32 11, v0
	s_cbranch_execz .LBB89_147
; %bb.146:
	scratch_load_b64 v[54:55], off, off offset:88
	v_mov_b64_e32 v[56:57], 0
	scratch_store_b64 off, v[56:57], off offset:88
	s_wait_loadcnt 0x0
	ds_store_b64 v1, v[54:55]
.LBB89_147:
	s_wait_xcnt 0x0
	s_or_b32 exec_lo, exec_lo, s0
	s_wait_storecnt_dscnt 0x0
	s_barrier_signal -1
	s_barrier_wait -1
	s_clause 0x7
	scratch_load_b128 v[54:57], off, off offset:96
	scratch_load_b128 v[58:61], off, off offset:112
	;; [unrolled: 1-line block ×7, first 2 shown]
	scratch_load_b64 v[110:111], off, off offset:88
	ds_load_b128 v[82:85], v7 offset:352
	ds_load_b128 v[86:89], v7 offset:368
	;; [unrolled: 1-line block ×7, first 2 shown]
	s_mov_b32 s0, exec_lo
	s_wait_dscnt 0x6
	v_dual_mov_b32 v112, v85 :: v_dual_mov_b32 v113, v84
	s_wait_dscnt 0x5
	v_dual_mov_b32 v114, v89 :: v_dual_mov_b32 v115, v88
	;; [unrolled: 2-line block ×4, first 2 shown]
	s_wait_loadcnt_dscnt 0x702
	v_dual_mul_f32 v7, v98, v55 :: v_dual_mul_f32 v9, v100, v57
	v_dual_mul_f32 v15, v99, v55 :: v_dual_mul_f32 v17, v101, v57
	s_wait_loadcnt_dscnt 0x601
	v_dual_mul_f32 v11, v102, v59 :: v_dual_mul_f32 v13, v104, v61
	s_delay_alu instid0(VALU_DEP_3) | instskip(NEXT) | instid1(VALU_DEP_3)
	v_dual_fmac_f32 v7, v99, v54 :: v_dual_fmac_f32 v9, v101, v56
	v_dual_fma_f32 v15, v98, v54, -v15 :: v_dual_fma_f32 v17, v100, v56, -v17
	v_dual_mul_f32 v19, v103, v59 :: v_dual_mul_f32 v21, v105, v61
	s_wait_loadcnt 0x4
	s_delay_alu instid0(VALU_DEP_3) | instskip(NEXT) | instid1(VALU_DEP_3)
	v_dual_add_f32 v7, 0, v7 :: v_dual_mov_b32 v56, v69
	v_dual_add_f32 v15, 0, v15 :: v_dual_fmac_f32 v11, v103, v58
	s_delay_alu instid0(VALU_DEP_2) | instskip(SKIP_2) | instid1(VALU_DEP_3)
	v_dual_fma_f32 v19, v102, v58, -v19 :: v_dual_add_f32 v7, v7, v9
	s_wait_dscnt 0x0
	v_dual_mul_f32 v121, v106, v63 :: v_dual_mul_f32 v123, v108, v65
	v_dual_add_f32 v9, v15, v17 :: v_dual_fmac_f32 v13, v105, v60
	v_dual_mul_f32 v23, v107, v63 :: v_dual_mul_f32 v25, v109, v65
	v_dual_fma_f32 v15, v104, v60, -v21 :: v_dual_add_f32 v7, v7, v11
	s_delay_alu instid0(VALU_DEP_3) | instskip(SKIP_3) | instid1(VALU_DEP_3)
	v_dual_add_f32 v9, v9, v19 :: v_dual_fmac_f32 v121, v107, v62
	v_pk_mul_f32 v[54:55], v[82:83], v[66:67] op_sel:[1,1] op_sel_hi:[0,1]
	s_wait_loadcnt 0x3
	v_dual_mov_b32 v60, v73 :: v_dual_fma_f32 v120, v106, v62, -v23
	v_dual_add_f32 v63, v7, v13 :: v_dual_add_f32 v62, v9, v15
	v_dual_fmac_f32 v123, v109, v64 :: v_dual_fma_f32 v122, v108, v64, -v25
	v_pk_fma_f32 v[64:65], v[82:83], v[66:67], v[54:55] op_sel_hi:[1,0,1]
	v_pk_mul_f32 v[56:57], v[112:113], v[56:57] op_sel_hi:[1,0]
	s_delay_alu instid0(VALU_DEP_4)
	v_pk_add_f32 v[62:63], v[62:63], v[120:121]
	v_pk_fma_f32 v[54:55], v[82:83], v[66:67], v[54:55] neg_lo:[0,0,1] neg_hi:[0,0,1]
	v_pk_mul_f32 v[58:59], v[86:87], v[70:71] op_sel:[1,1] op_sel_hi:[0,1]
	v_mov_b32_e32 v55, v65
	v_pk_fma_f32 v[64:65], v[84:85], v[68:69], v[56:57] op_sel_hi:[1,0,1]
	v_pk_add_f32 v[62:63], v[62:63], v[122:123]
	v_pk_fma_f32 v[56:57], v[84:85], v[68:69], v[56:57] neg_lo:[0,0,1] neg_hi:[0,0,1]
	v_pk_fma_f32 v[66:67], v[86:87], v[70:71], v[58:59] op_sel_hi:[1,0,1]
	v_pk_mul_f32 v[60:61], v[114:115], v[60:61] op_sel_hi:[1,0]
	v_mov_b32_e32 v57, v65
	v_pk_add_f32 v[54:55], v[62:63], v[54:55]
	s_wait_loadcnt 0x2
	v_pk_mul_f32 v[98:99], v[90:91], v[74:75] op_sel:[1,1] op_sel_hi:[0,1]
	v_mov_b32_e32 v62, v77
	v_pk_fma_f32 v[58:59], v[86:87], v[70:71], v[58:59] neg_lo:[0,0,1] neg_hi:[0,0,1]
	v_mov_b32_e32 v59, v67
	v_pk_fma_f32 v[64:65], v[88:89], v[72:73], v[60:61] op_sel_hi:[1,0,1]
	v_pk_add_f32 v[54:55], v[54:55], v[56:57]
	v_pk_fma_f32 v[56:57], v[90:91], v[74:75], v[98:99] op_sel_hi:[1,0,1]
	v_pk_mul_f32 v[62:63], v[116:117], v[62:63] op_sel_hi:[1,0]
	v_pk_fma_f32 v[60:61], v[88:89], v[72:73], v[60:61] neg_lo:[0,0,1] neg_hi:[0,0,1]
	v_mov_b32_e32 v61, v65
	v_pk_add_f32 v[54:55], v[54:55], v[58:59]
	v_pk_fma_f32 v[64:65], v[90:91], v[74:75], v[98:99] neg_lo:[0,0,1] neg_hi:[0,0,1]
	v_mov_b32_e32 v65, v57
	v_pk_fma_f32 v[56:57], v[92:93], v[76:77], v[62:63] op_sel_hi:[1,0,1]
	s_wait_loadcnt 0x1
	v_pk_mul_f32 v[58:59], v[94:95], v[78:79] op_sel:[1,1] op_sel_hi:[0,1]
	v_pk_add_f32 v[54:55], v[54:55], v[60:61]
	v_mov_b32_e32 v56, v81
	v_pk_fma_f32 v[62:63], v[92:93], v[76:77], v[62:63] neg_lo:[0,0,1] neg_hi:[0,0,1]
	v_mov_b32_e32 v63, v57
	v_pk_fma_f32 v[60:61], v[94:95], v[78:79], v[58:59] op_sel_hi:[1,0,1]
	v_pk_add_f32 v[54:55], v[54:55], v[64:65]
	v_pk_mul_f32 v[56:57], v[118:119], v[56:57] op_sel_hi:[1,0]
	v_pk_fma_f32 v[58:59], v[94:95], v[78:79], v[58:59] neg_lo:[0,0,1] neg_hi:[0,0,1]
	s_delay_alu instid0(VALU_DEP_4) | instskip(NEXT) | instid1(VALU_DEP_4)
	v_mov_b32_e32 v59, v61
	v_pk_add_f32 v[54:55], v[54:55], v[62:63]
	s_delay_alu instid0(VALU_DEP_4) | instskip(SKIP_1) | instid1(VALU_DEP_2)
	v_pk_fma_f32 v[60:61], v[96:97], v[80:81], v[56:57] op_sel_hi:[1,0,1]
	v_pk_fma_f32 v[56:57], v[96:97], v[80:81], v[56:57] neg_lo:[0,0,1] neg_hi:[0,0,1]
	v_mov_b32_e32 v57, v61
	s_delay_alu instid0(VALU_DEP_4) | instskip(NEXT) | instid1(VALU_DEP_1)
	v_pk_add_f32 v[54:55], v[54:55], v[58:59]
	v_pk_add_f32 v[54:55], v[54:55], v[56:57]
	s_wait_loadcnt 0x0
	s_delay_alu instid0(VALU_DEP_1)
	v_pk_add_f32 v[54:55], v[110:111], v[54:55] neg_lo:[0,1] neg_hi:[0,1]
	scratch_store_b64 off, v[54:55], off offset:88
	s_wait_xcnt 0x0
	v_cmpx_lt_u32_e32 10, v0
	s_cbranch_execz .LBB89_149
; %bb.148:
	scratch_load_b64 v[54:55], off, off offset:80
	v_mov_b64_e32 v[56:57], 0
	scratch_store_b64 off, v[56:57], off offset:80
	s_wait_loadcnt 0x0
	ds_store_b64 v1, v[54:55]
.LBB89_149:
	s_wait_xcnt 0x0
	s_or_b32 exec_lo, exec_lo, s0
	s_wait_storecnt_dscnt 0x0
	s_barrier_signal -1
	s_barrier_wait -1
	s_clause 0x8
	scratch_load_b128 v[54:57], off, off offset:88
	scratch_load_b128 v[58:61], off, off offset:104
	;; [unrolled: 1-line block ×7, first 2 shown]
	scratch_load_b64 v[110:111], off, off offset:200
	scratch_load_b64 v[112:113], off, off offset:80
	v_mov_b32_e32 v7, 0
	ds_load_2addr_b64 v[82:85], v7 offset0:43 offset1:44
	ds_load_2addr_b64 v[86:89], v7 offset0:45 offset1:46
	;; [unrolled: 1-line block ×7, first 2 shown]
	ds_load_b64 v[114:115], v7 offset:408
	s_mov_b32 s0, exec_lo
	s_wait_dscnt 0x7
	v_dual_mov_b32 v116, v85 :: v_dual_mov_b32 v117, v84
	s_wait_dscnt 0x4
	v_dual_mov_b32 v118, v89 :: v_dual_mov_b32 v123, v96
	v_dual_mov_b32 v119, v88 :: v_dual_mov_b32 v120, v93
	;; [unrolled: 1-line block ×3, first 2 shown]
	s_wait_loadcnt_dscnt 0x803
	v_dual_mul_f32 v9, v98, v55 :: v_dual_mul_f32 v19, v99, v55
	v_dual_mul_f32 v21, v101, v57 :: v_dual_mul_f32 v11, v100, v57
	s_wait_loadcnt_dscnt 0x702
	v_mul_f32_e32 v13, v102, v59
	s_wait_loadcnt 0x5
	v_dual_mul_f32 v31, v83, v67 :: v_dual_fma_f32 v19, v98, v54, -v19
	v_dual_fmac_f32 v9, v99, v54 :: v_dual_mov_b32 v54, v69
	v_dual_mul_f32 v23, v103, v59 :: v_dual_mul_f32 v25, v105, v61
	v_dual_fmac_f32 v11, v101, v56 :: v_dual_fma_f32 v21, v100, v56, -v21
	s_delay_alu instid0(VALU_DEP_3) | instskip(SKIP_3) | instid1(VALU_DEP_3)
	v_dual_add_f32 v9, 0, v9 :: v_dual_add_f32 v19, 0, v19
	s_wait_dscnt 0x1
	v_dual_mul_f32 v15, v104, v61 :: v_dual_mul_f32 v17, v106, v63
	v_dual_fmac_f32 v13, v103, v58 :: v_dual_fma_f32 v23, v102, v58, -v23
	v_dual_add_f32 v9, v9, v11 :: v_dual_add_f32 v11, v19, v21
	v_dual_mul_f32 v27, v107, v63 :: v_dual_mul_f32 v29, v109, v65
	s_wait_loadcnt 0x4
	v_dual_mov_b32 v58, v73 :: v_dual_fma_f32 v19, v104, v60, -v25
	s_delay_alu instid0(VALU_DEP_3) | instskip(SKIP_2) | instid1(VALU_DEP_2)
	v_dual_fmac_f32 v15, v105, v60 :: v_dual_add_f32 v11, v11, v23
	v_dual_add_f32 v9, v9, v13 :: v_dual_fmac_f32 v17, v107, v62
	v_dual_mul_f32 v125, v108, v65 :: v_dual_mul_f32 v127, v82, v67
	v_dual_fma_f32 v13, v106, v62, -v27 :: v_dual_add_f32 v9, v9, v15
	s_delay_alu instid0(VALU_DEP_2) | instskip(SKIP_1) | instid1(VALU_DEP_3)
	v_dual_add_f32 v11, v11, v19 :: v_dual_fmac_f32 v125, v109, v64
	v_pk_mul_f32 v[56:57], v[86:87], v[70:71] op_sel:[1,1] op_sel_hi:[0,1]
	v_dual_fma_f32 v124, v108, v64, -v29 :: v_dual_add_f32 v63, v9, v17
	v_pk_mul_f32 v[54:55], v[116:117], v[54:55] op_sel_hi:[1,0]
	s_wait_loadcnt 0x3
	v_dual_add_f32 v62, v11, v13 :: v_dual_mov_b32 v64, v77
	v_fmac_f32_e32 v127, v83, v66
	v_fma_f32 v126, v82, v66, -v31
	v_pk_fma_f32 v[66:67], v[84:85], v[68:69], v[54:55] op_sel_hi:[1,0,1]
	s_delay_alu instid0(VALU_DEP_4) | instskip(SKIP_4) | instid1(VALU_DEP_4)
	v_pk_add_f32 v[62:63], v[62:63], v[124:125]
	v_pk_fma_f32 v[82:83], v[86:87], v[70:71], v[56:57] op_sel_hi:[1,0,1]
	v_pk_fma_f32 v[54:55], v[84:85], v[68:69], v[54:55] neg_lo:[0,0,1] neg_hi:[0,0,1]
	v_pk_fma_f32 v[56:57], v[86:87], v[70:71], v[56:57] neg_lo:[0,0,1] neg_hi:[0,0,1]
	v_pk_mul_f32 v[58:59], v[118:119], v[58:59] op_sel_hi:[1,0]
	v_dual_mov_b32 v55, v67 :: v_dual_mov_b32 v57, v83
	v_pk_add_f32 v[62:63], v[62:63], v[126:127]
	v_pk_mul_f32 v[60:61], v[90:91], v[74:75] op_sel:[1,1] op_sel_hi:[0,1]
	s_delay_alu instid0(VALU_DEP_4)
	v_pk_fma_f32 v[68:69], v[88:89], v[72:73], v[58:59] op_sel_hi:[1,0,1]
	v_pk_fma_f32 v[58:59], v[88:89], v[72:73], v[58:59] neg_lo:[0,0,1] neg_hi:[0,0,1]
	v_pk_mul_f32 v[64:65], v[120:121], v[64:65] op_sel_hi:[1,0]
	v_pk_add_f32 v[54:55], v[62:63], v[54:55]
	v_pk_fma_f32 v[62:63], v[90:91], v[74:75], v[60:61] op_sel_hi:[1,0,1]
	v_mov_b32_e32 v59, v69
	v_pk_fma_f32 v[60:61], v[90:91], v[74:75], v[60:61] neg_lo:[0,0,1] neg_hi:[0,0,1]
	s_wait_loadcnt 0x2
	v_pk_mul_f32 v[66:67], v[94:95], v[78:79] op_sel:[1,1] op_sel_hi:[0,1]
	v_pk_add_f32 v[54:55], v[54:55], v[56:57]
	v_dual_mov_b32 v56, v81 :: v_dual_mov_b32 v61, v63
	v_pk_fma_f32 v[62:63], v[92:93], v[76:77], v[64:65] op_sel_hi:[1,0,1]
	v_pk_fma_f32 v[64:65], v[92:93], v[76:77], v[64:65] neg_lo:[0,0,1] neg_hi:[0,0,1]
	s_delay_alu instid0(VALU_DEP_4)
	v_pk_add_f32 v[54:55], v[54:55], v[58:59]
	v_pk_fma_f32 v[58:59], v[94:95], v[78:79], v[66:67] op_sel_hi:[1,0,1]
	v_pk_mul_f32 v[56:57], v[122:123], v[56:57] op_sel_hi:[1,0]
	v_mov_b32_e32 v65, v63
	s_wait_loadcnt_dscnt 0x100
	v_pk_mul_f32 v[62:63], v[114:115], v[110:111] op_sel:[1,1] op_sel_hi:[0,1]
	v_pk_add_f32 v[54:55], v[54:55], v[60:61]
	v_pk_fma_f32 v[60:61], v[94:95], v[78:79], v[66:67] neg_lo:[0,0,1] neg_hi:[0,0,1]
	v_mov_b32_e32 v61, v59
	v_pk_fma_f32 v[58:59], v[96:97], v[80:81], v[56:57] op_sel_hi:[1,0,1]
	v_pk_fma_f32 v[56:57], v[96:97], v[80:81], v[56:57] neg_lo:[0,0,1] neg_hi:[0,0,1]
	v_pk_add_f32 v[54:55], v[54:55], v[64:65]
	s_delay_alu instid0(VALU_DEP_3) | instskip(SKIP_1) | instid1(VALU_DEP_3)
	v_mov_b32_e32 v57, v59
	v_pk_fma_f32 v[58:59], v[114:115], v[110:111], v[62:63] op_sel_hi:[1,0,1]
	v_pk_add_f32 v[54:55], v[54:55], v[60:61]
	v_pk_fma_f32 v[60:61], v[114:115], v[110:111], v[62:63] neg_lo:[0,0,1] neg_hi:[0,0,1]
	s_delay_alu instid0(VALU_DEP_3) | instskip(NEXT) | instid1(VALU_DEP_3)
	v_mov_b32_e32 v61, v59
	v_pk_add_f32 v[54:55], v[54:55], v[56:57]
	s_delay_alu instid0(VALU_DEP_1) | instskip(SKIP_1) | instid1(VALU_DEP_1)
	v_pk_add_f32 v[54:55], v[54:55], v[60:61]
	s_wait_loadcnt 0x0
	v_pk_add_f32 v[54:55], v[112:113], v[54:55] neg_lo:[0,1] neg_hi:[0,1]
	scratch_store_b64 off, v[54:55], off offset:80
	s_wait_xcnt 0x0
	v_cmpx_lt_u32_e32 9, v0
	s_cbranch_execz .LBB89_151
; %bb.150:
	scratch_load_b64 v[54:55], off, off offset:72
	v_mov_b64_e32 v[56:57], 0
	scratch_store_b64 off, v[56:57], off offset:72
	s_wait_loadcnt 0x0
	ds_store_b64 v1, v[54:55]
.LBB89_151:
	s_wait_xcnt 0x0
	s_or_b32 exec_lo, exec_lo, s0
	s_wait_storecnt_dscnt 0x0
	s_barrier_signal -1
	s_barrier_wait -1
	s_clause 0x8
	scratch_load_b128 v[54:57], off, off offset:80
	scratch_load_b128 v[58:61], off, off offset:96
	;; [unrolled: 1-line block ×8, first 2 shown]
	scratch_load_b64 v[118:119], off, off offset:72
	ds_load_b128 v[86:89], v7 offset:352
	ds_load_b128 v[90:93], v7 offset:368
	;; [unrolled: 1-line block ×8, first 2 shown]
	s_mov_b32 s0, exec_lo
	s_wait_dscnt 0x7
	v_dual_mov_b32 v120, v89 :: v_dual_mov_b32 v121, v88
	s_wait_dscnt 0x6
	v_dual_mov_b32 v122, v93 :: v_dual_mov_b32 v123, v92
	;; [unrolled: 2-line block ×4, first 2 shown]
	s_wait_loadcnt_dscnt 0x803
	v_dual_mul_f32 v7, v102, v55 :: v_dual_mul_f32 v9, v104, v57
	v_dual_mul_f32 v19, v103, v55 :: v_dual_mul_f32 v21, v105, v57
	s_wait_loadcnt_dscnt 0x702
	v_dual_mul_f32 v11, v106, v59 :: v_dual_mul_f32 v13, v108, v61
	s_delay_alu instid0(VALU_DEP_3) | instskip(SKIP_3) | instid1(VALU_DEP_3)
	v_dual_fmac_f32 v7, v103, v54 :: v_dual_fmac_f32 v9, v105, v56
	s_wait_loadcnt_dscnt 0x500
	v_dual_fma_f32 v19, v102, v54, -v19 :: v_dual_mul_f32 v31, v115, v67
	v_dual_mul_f32 v23, v107, v59 :: v_dual_mul_f32 v25, v109, v61
	v_dual_fma_f32 v21, v104, v56, -v21 :: v_dual_add_f32 v7, 0, v7
	s_delay_alu instid0(VALU_DEP_3) | instskip(SKIP_1) | instid1(VALU_DEP_3)
	v_dual_add_f32 v19, 0, v19 :: v_dual_mul_f32 v33, v117, v69
	v_dual_fmac_f32 v11, v107, v58 :: v_dual_fmac_f32 v13, v109, v60
	v_dual_fma_f32 v23, v106, v58, -v23 :: v_dual_add_f32 v7, v7, v9
	s_delay_alu instid0(VALU_DEP_3) | instskip(SKIP_4) | instid1(VALU_DEP_3)
	v_dual_add_f32 v9, v19, v21 :: v_dual_fma_f32 v19, v108, v60, -v25
	v_dual_mul_f32 v15, v110, v63 :: v_dual_mul_f32 v17, v112, v65
	v_dual_mul_f32 v27, v111, v63 :: v_dual_mul_f32 v29, v113, v65
	s_wait_loadcnt 0x4
	v_dual_add_f32 v7, v7, v11 :: v_dual_mov_b32 v56, v73
	v_dual_add_f32 v9, v9, v23 :: v_dual_fmac_f32 v15, v111, v62
	s_delay_alu instid0(VALU_DEP_2) | instskip(SKIP_1) | instid1(VALU_DEP_3)
	v_dual_fma_f32 v11, v110, v62, -v27 :: v_dual_add_f32 v7, v7, v13
	v_dual_mul_f32 v129, v114, v67 :: v_dual_mul_f32 v131, v116, v69
	v_dual_add_f32 v9, v9, v19 :: v_dual_fma_f32 v13, v112, v64, -v29
	s_delay_alu instid0(VALU_DEP_3) | instskip(SKIP_1) | instid1(VALU_DEP_3)
	v_dual_fmac_f32 v17, v113, v64 :: v_dual_add_f32 v7, v7, v15
	v_pk_mul_f32 v[54:55], v[86:87], v[70:71] op_sel:[1,1] op_sel_hi:[0,1]
	v_dual_add_f32 v9, v9, v11 :: v_dual_fmac_f32 v129, v115, v66
	s_wait_loadcnt 0x3
	v_dual_mov_b32 v60, v77 :: v_dual_fma_f32 v128, v114, v66, -v31
	v_dual_add_f32 v63, v7, v17 :: v_dual_fmac_f32 v131, v117, v68
	s_delay_alu instid0(VALU_DEP_3) | instskip(SKIP_3) | instid1(VALU_DEP_4)
	v_dual_add_f32 v62, v9, v13 :: v_dual_fma_f32 v130, v116, v68, -v33
	v_pk_fma_f32 v[64:65], v[86:87], v[70:71], v[54:55] op_sel_hi:[1,0,1]
	v_pk_mul_f32 v[56:57], v[120:121], v[56:57] op_sel_hi:[1,0]
	v_pk_fma_f32 v[54:55], v[86:87], v[70:71], v[54:55] neg_lo:[0,0,1] neg_hi:[0,0,1]
	v_pk_add_f32 v[62:63], v[62:63], v[128:129]
	v_pk_mul_f32 v[58:59], v[90:91], v[74:75] op_sel:[1,1] op_sel_hi:[0,1]
	v_mov_b32_e32 v55, v65
	v_pk_fma_f32 v[64:65], v[88:89], v[72:73], v[56:57] op_sel_hi:[1,0,1]
	v_pk_fma_f32 v[56:57], v[88:89], v[72:73], v[56:57] neg_lo:[0,0,1] neg_hi:[0,0,1]
	v_pk_add_f32 v[62:63], v[62:63], v[130:131]
	v_pk_fma_f32 v[68:69], v[90:91], v[74:75], v[58:59] op_sel_hi:[1,0,1]
	v_pk_mul_f32 v[60:61], v[122:123], v[60:61] op_sel_hi:[1,0]
	v_mov_b32_e32 v57, v65
	s_wait_loadcnt 0x2
	v_pk_mul_f32 v[66:67], v[94:95], v[78:79] op_sel:[1,1] op_sel_hi:[0,1]
	v_pk_add_f32 v[54:55], v[62:63], v[54:55]
	v_mov_b32_e32 v62, v81
	v_pk_fma_f32 v[58:59], v[90:91], v[74:75], v[58:59] neg_lo:[0,0,1] neg_hi:[0,0,1]
	v_mov_b32_e32 v59, v69
	v_pk_fma_f32 v[64:65], v[92:93], v[76:77], v[60:61] op_sel_hi:[1,0,1]
	v_pk_add_f32 v[54:55], v[54:55], v[56:57]
	v_pk_fma_f32 v[56:57], v[94:95], v[78:79], v[66:67] op_sel_hi:[1,0,1]
	v_pk_mul_f32 v[62:63], v[124:125], v[62:63] op_sel_hi:[1,0]
	v_pk_fma_f32 v[60:61], v[92:93], v[76:77], v[60:61] neg_lo:[0,0,1] neg_hi:[0,0,1]
	v_mov_b32_e32 v61, v65
	v_pk_add_f32 v[54:55], v[54:55], v[58:59]
	v_pk_fma_f32 v[64:65], v[94:95], v[78:79], v[66:67] neg_lo:[0,0,1] neg_hi:[0,0,1]
	v_mov_b32_e32 v65, v57
	v_pk_fma_f32 v[56:57], v[96:97], v[80:81], v[62:63] op_sel_hi:[1,0,1]
	s_wait_loadcnt 0x1
	v_pk_mul_f32 v[58:59], v[98:99], v[82:83] op_sel:[1,1] op_sel_hi:[0,1]
	v_pk_add_f32 v[54:55], v[54:55], v[60:61]
	v_mov_b32_e32 v56, v85
	v_pk_fma_f32 v[62:63], v[96:97], v[80:81], v[62:63] neg_lo:[0,0,1] neg_hi:[0,0,1]
	v_mov_b32_e32 v63, v57
	v_pk_fma_f32 v[60:61], v[98:99], v[82:83], v[58:59] op_sel_hi:[1,0,1]
	v_pk_add_f32 v[54:55], v[54:55], v[64:65]
	v_pk_mul_f32 v[56:57], v[126:127], v[56:57] op_sel_hi:[1,0]
	v_pk_fma_f32 v[58:59], v[98:99], v[82:83], v[58:59] neg_lo:[0,0,1] neg_hi:[0,0,1]
	s_delay_alu instid0(VALU_DEP_4) | instskip(NEXT) | instid1(VALU_DEP_4)
	v_mov_b32_e32 v59, v61
	v_pk_add_f32 v[54:55], v[54:55], v[62:63]
	s_delay_alu instid0(VALU_DEP_4) | instskip(SKIP_1) | instid1(VALU_DEP_2)
	v_pk_fma_f32 v[60:61], v[100:101], v[84:85], v[56:57] op_sel_hi:[1,0,1]
	v_pk_fma_f32 v[56:57], v[100:101], v[84:85], v[56:57] neg_lo:[0,0,1] neg_hi:[0,0,1]
	v_mov_b32_e32 v57, v61
	s_delay_alu instid0(VALU_DEP_4) | instskip(NEXT) | instid1(VALU_DEP_1)
	v_pk_add_f32 v[54:55], v[54:55], v[58:59]
	v_pk_add_f32 v[54:55], v[54:55], v[56:57]
	s_wait_loadcnt 0x0
	s_delay_alu instid0(VALU_DEP_1)
	v_pk_add_f32 v[54:55], v[118:119], v[54:55] neg_lo:[0,1] neg_hi:[0,1]
	scratch_store_b64 off, v[54:55], off offset:72
	s_wait_xcnt 0x0
	v_cmpx_lt_u32_e32 8, v0
	s_cbranch_execz .LBB89_153
; %bb.152:
	scratch_load_b64 v[54:55], off, off offset:64
	v_mov_b64_e32 v[56:57], 0
	scratch_store_b64 off, v[56:57], off offset:64
	s_wait_loadcnt 0x0
	ds_store_b64 v1, v[54:55]
.LBB89_153:
	s_wait_xcnt 0x0
	s_or_b32 exec_lo, exec_lo, s0
	s_wait_storecnt_dscnt 0x0
	s_barrier_signal -1
	s_barrier_wait -1
	s_clause 0x9
	scratch_load_b128 v[54:57], off, off offset:72
	scratch_load_b128 v[58:61], off, off offset:88
	;; [unrolled: 1-line block ×8, first 2 shown]
	scratch_load_b64 v[118:119], off, off offset:200
	scratch_load_b64 v[120:121], off, off offset:64
	v_mov_b32_e32 v7, 0
	ds_load_2addr_b64 v[86:89], v7 offset0:43 offset1:44
	ds_load_2addr_b64 v[90:93], v7 offset0:45 offset1:46
	;; [unrolled: 1-line block ×8, first 2 shown]
	ds_load_b64 v[122:123], v7 offset:408
	s_mov_b32 s0, exec_lo
	s_wait_dscnt 0x8
	v_dual_mov_b32 v124, v89 :: v_dual_mov_b32 v125, v88
	s_wait_dscnt 0x5
	v_dual_mov_b32 v126, v93 :: v_dual_mov_b32 v131, v100
	v_dual_mov_b32 v127, v92 :: v_dual_mov_b32 v128, v97
	;; [unrolled: 1-line block ×3, first 2 shown]
	s_wait_loadcnt_dscnt 0x904
	v_dual_mul_f32 v9, v102, v55 :: v_dual_mul_f32 v23, v103, v55
	v_dual_mul_f32 v25, v105, v57 :: v_dual_mul_f32 v11, v104, v57
	s_wait_loadcnt_dscnt 0x803
	v_mul_f32_e32 v13, v106, v59
	s_wait_loadcnt_dscnt 0x601
	v_dual_mul_f32 v35, v115, v67 :: v_dual_fma_f32 v23, v102, v54, -v23
	v_dual_fmac_f32 v9, v103, v54 :: v_dual_mul_f32 v37, v117, v69
	v_dual_mul_f32 v27, v107, v59 :: v_dual_mul_f32 v29, v109, v61
	v_dual_fmac_f32 v11, v105, v56 :: v_dual_fma_f32 v25, v104, v56, -v25
	s_delay_alu instid0(VALU_DEP_3) | instskip(SKIP_3) | instid1(VALU_DEP_3)
	v_dual_add_f32 v9, 0, v9 :: v_dual_add_f32 v23, 0, v23
	v_dual_mul_f32 v15, v108, v61 :: v_dual_mul_f32 v17, v110, v63
	s_wait_loadcnt 0x5
	v_dual_mul_f32 v39, v87, v71 :: v_dual_fma_f32 v27, v106, v58, -v27
	v_dual_fmac_f32 v13, v107, v58 :: v_dual_add_f32 v9, v9, v11
	v_dual_add_f32 v11, v23, v25 :: v_dual_mov_b32 v54, v73
	v_dual_mul_f32 v31, v111, v63 :: v_dual_mul_f32 v33, v113, v65
	v_dual_fmac_f32 v15, v109, v60 :: v_dual_fma_f32 v23, v108, v60, -v29
	s_delay_alu instid0(VALU_DEP_3) | instskip(SKIP_1) | instid1(VALU_DEP_4)
	v_dual_add_f32 v9, v9, v13 :: v_dual_add_f32 v11, v11, v27
	v_dual_mul_f32 v19, v112, v65 :: v_dual_mul_f32 v21, v114, v67
	v_dual_fmac_f32 v17, v111, v62 :: v_dual_fma_f32 v13, v110, v62, -v31
	s_delay_alu instid0(VALU_DEP_3) | instskip(SKIP_3) | instid1(VALU_DEP_3)
	v_dual_add_f32 v9, v9, v15 :: v_dual_fma_f32 v15, v112, v64, -v33
	s_wait_loadcnt 0x4
	v_dual_add_f32 v11, v11, v23 :: v_dual_mov_b32 v58, v77
	v_fmac_f32_e32 v19, v113, v64
	v_dual_add_f32 v9, v9, v17 :: v_dual_fmac_f32 v21, v115, v66
	s_delay_alu instid0(VALU_DEP_3) | instskip(SKIP_1) | instid1(VALU_DEP_3)
	v_add_f32_e32 v11, v11, v13
	v_dual_mul_f32 v133, v116, v69 :: v_dual_mul_f32 v135, v86, v71
	v_dual_fma_f32 v13, v114, v66, -v35 :: v_dual_add_f32 v9, v9, v19
	s_delay_alu instid0(VALU_DEP_2) | instskip(SKIP_1) | instid1(VALU_DEP_3)
	v_dual_add_f32 v11, v11, v15 :: v_dual_fmac_f32 v133, v117, v68
	v_pk_mul_f32 v[56:57], v[90:91], v[74:75] op_sel:[1,1] op_sel_hi:[0,1]
	v_dual_fma_f32 v132, v116, v68, -v37 :: v_dual_add_f32 v63, v9, v21
	v_pk_mul_f32 v[54:55], v[124:125], v[54:55] op_sel_hi:[1,0]
	s_wait_loadcnt 0x3
	v_dual_add_f32 v62, v11, v13 :: v_dual_mov_b32 v64, v81
	v_pk_fma_f32 v[68:69], v[90:91], v[74:75], v[56:57] op_sel_hi:[1,0,1]
	v_fmac_f32_e32 v135, v87, v70
	v_pk_fma_f32 v[66:67], v[88:89], v[72:73], v[54:55] op_sel_hi:[1,0,1]
	v_fma_f32 v134, v86, v70, -v39
	v_pk_add_f32 v[62:63], v[62:63], v[132:133]
	v_pk_fma_f32 v[54:55], v[88:89], v[72:73], v[54:55] neg_lo:[0,0,1] neg_hi:[0,0,1]
	v_pk_fma_f32 v[56:57], v[90:91], v[74:75], v[56:57] neg_lo:[0,0,1] neg_hi:[0,0,1]
	v_pk_mul_f32 v[58:59], v[126:127], v[58:59] op_sel_hi:[1,0]
	v_dual_mov_b32 v55, v67 :: v_dual_mov_b32 v57, v69
	v_pk_add_f32 v[62:63], v[62:63], v[134:135]
	v_pk_mul_f32 v[60:61], v[94:95], v[78:79] op_sel:[1,1] op_sel_hi:[0,1]
	s_delay_alu instid0(VALU_DEP_4)
	v_pk_fma_f32 v[68:69], v[92:93], v[76:77], v[58:59] op_sel_hi:[1,0,1]
	v_pk_fma_f32 v[58:59], v[92:93], v[76:77], v[58:59] neg_lo:[0,0,1] neg_hi:[0,0,1]
	v_pk_mul_f32 v[64:65], v[128:129], v[64:65] op_sel_hi:[1,0]
	v_pk_add_f32 v[54:55], v[62:63], v[54:55]
	v_pk_fma_f32 v[62:63], v[94:95], v[78:79], v[60:61] op_sel_hi:[1,0,1]
	v_mov_b32_e32 v59, v69
	v_pk_fma_f32 v[60:61], v[94:95], v[78:79], v[60:61] neg_lo:[0,0,1] neg_hi:[0,0,1]
	s_wait_loadcnt 0x2
	v_pk_mul_f32 v[66:67], v[98:99], v[82:83] op_sel:[1,1] op_sel_hi:[0,1]
	v_pk_add_f32 v[54:55], v[54:55], v[56:57]
	v_dual_mov_b32 v56, v85 :: v_dual_mov_b32 v61, v63
	v_pk_fma_f32 v[62:63], v[96:97], v[80:81], v[64:65] op_sel_hi:[1,0,1]
	v_pk_fma_f32 v[64:65], v[96:97], v[80:81], v[64:65] neg_lo:[0,0,1] neg_hi:[0,0,1]
	s_delay_alu instid0(VALU_DEP_4)
	v_pk_add_f32 v[54:55], v[54:55], v[58:59]
	v_pk_fma_f32 v[58:59], v[98:99], v[82:83], v[66:67] op_sel_hi:[1,0,1]
	v_pk_mul_f32 v[56:57], v[130:131], v[56:57] op_sel_hi:[1,0]
	v_mov_b32_e32 v65, v63
	s_wait_loadcnt_dscnt 0x100
	v_pk_mul_f32 v[62:63], v[122:123], v[118:119] op_sel:[1,1] op_sel_hi:[0,1]
	v_pk_add_f32 v[54:55], v[54:55], v[60:61]
	v_pk_fma_f32 v[60:61], v[98:99], v[82:83], v[66:67] neg_lo:[0,0,1] neg_hi:[0,0,1]
	v_mov_b32_e32 v61, v59
	v_pk_fma_f32 v[58:59], v[100:101], v[84:85], v[56:57] op_sel_hi:[1,0,1]
	v_pk_fma_f32 v[56:57], v[100:101], v[84:85], v[56:57] neg_lo:[0,0,1] neg_hi:[0,0,1]
	v_pk_add_f32 v[54:55], v[54:55], v[64:65]
	s_delay_alu instid0(VALU_DEP_3) | instskip(SKIP_1) | instid1(VALU_DEP_3)
	v_mov_b32_e32 v57, v59
	v_pk_fma_f32 v[58:59], v[122:123], v[118:119], v[62:63] op_sel_hi:[1,0,1]
	v_pk_add_f32 v[54:55], v[54:55], v[60:61]
	v_pk_fma_f32 v[60:61], v[122:123], v[118:119], v[62:63] neg_lo:[0,0,1] neg_hi:[0,0,1]
	s_delay_alu instid0(VALU_DEP_3) | instskip(NEXT) | instid1(VALU_DEP_3)
	v_mov_b32_e32 v61, v59
	v_pk_add_f32 v[54:55], v[54:55], v[56:57]
	s_delay_alu instid0(VALU_DEP_1) | instskip(SKIP_1) | instid1(VALU_DEP_1)
	v_pk_add_f32 v[54:55], v[54:55], v[60:61]
	s_wait_loadcnt 0x0
	v_pk_add_f32 v[54:55], v[120:121], v[54:55] neg_lo:[0,1] neg_hi:[0,1]
	scratch_store_b64 off, v[54:55], off offset:64
	s_wait_xcnt 0x0
	v_cmpx_lt_u32_e32 7, v0
	s_cbranch_execz .LBB89_155
; %bb.154:
	scratch_load_b64 v[54:55], off, off offset:56
	v_mov_b64_e32 v[56:57], 0
	scratch_store_b64 off, v[56:57], off offset:56
	s_wait_loadcnt 0x0
	ds_store_b64 v1, v[54:55]
.LBB89_155:
	s_wait_xcnt 0x0
	s_or_b32 exec_lo, exec_lo, s0
	s_wait_storecnt_dscnt 0x0
	s_barrier_signal -1
	s_barrier_wait -1
	s_clause 0x9
	scratch_load_b128 v[54:57], off, off offset:64
	scratch_load_b128 v[58:61], off, off offset:80
	;; [unrolled: 1-line block ×9, first 2 shown]
	scratch_load_b64 v[126:127], off, off offset:56
	ds_load_b128 v[90:93], v7 offset:352
	ds_load_b128 v[94:97], v7 offset:368
	;; [unrolled: 1-line block ×9, first 2 shown]
	s_mov_b32 s0, exec_lo
	s_wait_dscnt 0x8
	v_dual_mov_b32 v128, v93 :: v_dual_mov_b32 v129, v92
	s_wait_dscnt 0x7
	v_dual_mov_b32 v130, v97 :: v_dual_mov_b32 v131, v96
	;; [unrolled: 2-line block ×4, first 2 shown]
	s_wait_loadcnt_dscnt 0x904
	v_dual_mul_f32 v7, v106, v55 :: v_dual_mul_f32 v9, v108, v57
	v_dual_mul_f32 v23, v107, v55 :: v_dual_mul_f32 v25, v109, v57
	s_wait_loadcnt_dscnt 0x803
	v_dual_mul_f32 v11, v110, v59 :: v_dual_mul_f32 v13, v112, v61
	s_delay_alu instid0(VALU_DEP_3) | instskip(SKIP_3) | instid1(VALU_DEP_3)
	v_dual_fmac_f32 v7, v107, v54 :: v_dual_fmac_f32 v9, v109, v56
	s_wait_loadcnt_dscnt 0x601
	v_dual_fma_f32 v23, v106, v54, -v23 :: v_dual_mul_f32 v35, v119, v67
	v_dual_mul_f32 v27, v111, v59 :: v_dual_mul_f32 v29, v113, v61
	v_dual_fma_f32 v25, v108, v56, -v25 :: v_dual_add_f32 v7, 0, v7
	s_delay_alu instid0(VALU_DEP_3) | instskip(SKIP_1) | instid1(VALU_DEP_3)
	v_dual_add_f32 v23, 0, v23 :: v_dual_mul_f32 v37, v121, v69
	v_dual_fmac_f32 v11, v111, v58 :: v_dual_fmac_f32 v13, v113, v60
	v_dual_fma_f32 v27, v110, v58, -v27 :: v_dual_add_f32 v7, v7, v9
	s_delay_alu instid0(VALU_DEP_3) | instskip(SKIP_2) | instid1(VALU_DEP_4)
	v_dual_add_f32 v9, v23, v25 :: v_dual_fma_f32 v25, v112, v60, -v29
	v_dual_mul_f32 v15, v114, v63 :: v_dual_mul_f32 v17, v116, v65
	v_dual_mul_f32 v31, v115, v63 :: v_dual_mul_f32 v33, v117, v65
	v_add_f32_e32 v7, v7, v11
	s_delay_alu instid0(VALU_DEP_3) | instskip(NEXT) | instid1(VALU_DEP_3)
	v_dual_add_f32 v9, v9, v27 :: v_dual_fmac_f32 v15, v115, v62
	v_fma_f32 v27, v114, v62, -v31
	v_dual_mul_f32 v19, v118, v67 :: v_dual_mul_f32 v21, v120, v69
	s_delay_alu instid0(VALU_DEP_4) | instskip(NEXT) | instid1(VALU_DEP_4)
	v_dual_add_f32 v7, v7, v13 :: v_dual_fmac_f32 v17, v117, v64
	v_dual_add_f32 v9, v9, v25 :: v_dual_fma_f32 v13, v116, v64, -v33
	s_wait_loadcnt 0x4
	s_delay_alu instid0(VALU_DEP_2) | instskip(NEXT) | instid1(VALU_DEP_2)
	v_dual_mov_b32 v56, v77 :: v_dual_add_f32 v7, v7, v15
	v_dual_fmac_f32 v19, v119, v66 :: v_dual_add_f32 v9, v9, v27
	v_fma_f32 v15, v118, v66, -v35
	s_wait_dscnt 0x0
	v_dual_mul_f32 v137, v122, v71 :: v_dual_mul_f32 v139, v124, v73
	v_add_f32_e32 v7, v7, v17
	v_dual_add_f32 v9, v9, v13 :: v_dual_fma_f32 v13, v120, v68, -v37
	v_dual_mul_f32 v23, v123, v71 :: v_dual_mul_f32 v11, v125, v73
	s_delay_alu instid0(VALU_DEP_3) | instskip(NEXT) | instid1(VALU_DEP_3)
	v_dual_fmac_f32 v21, v121, v68 :: v_dual_add_f32 v7, v7, v19
	v_dual_add_f32 v9, v9, v15 :: v_dual_fmac_f32 v137, v123, v70
	v_pk_mul_f32 v[54:55], v[90:91], v[74:75] op_sel:[1,1] op_sel_hi:[0,1]
	s_wait_loadcnt 0x3
	v_dual_mov_b32 v60, v81 :: v_dual_fma_f32 v136, v122, v70, -v23
	v_dual_add_f32 v63, v7, v21 :: v_dual_fmac_f32 v139, v125, v72
	v_dual_add_f32 v62, v9, v13 :: v_dual_fma_f32 v138, v124, v72, -v11
	v_pk_fma_f32 v[64:65], v[90:91], v[74:75], v[54:55] op_sel_hi:[1,0,1]
	v_pk_mul_f32 v[56:57], v[128:129], v[56:57] op_sel_hi:[1,0]
	v_pk_fma_f32 v[54:55], v[90:91], v[74:75], v[54:55] neg_lo:[0,0,1] neg_hi:[0,0,1]
	s_delay_alu instid0(VALU_DEP_4)
	v_pk_add_f32 v[62:63], v[62:63], v[136:137]
	v_pk_mul_f32 v[58:59], v[94:95], v[78:79] op_sel:[1,1] op_sel_hi:[0,1]
	v_mov_b32_e32 v55, v65
	v_pk_fma_f32 v[64:65], v[92:93], v[76:77], v[56:57] op_sel_hi:[1,0,1]
	v_pk_fma_f32 v[56:57], v[92:93], v[76:77], v[56:57] neg_lo:[0,0,1] neg_hi:[0,0,1]
	v_pk_add_f32 v[62:63], v[62:63], v[138:139]
	v_pk_fma_f32 v[68:69], v[94:95], v[78:79], v[58:59] op_sel_hi:[1,0,1]
	v_pk_mul_f32 v[60:61], v[130:131], v[60:61] op_sel_hi:[1,0]
	v_mov_b32_e32 v57, v65
	s_wait_loadcnt 0x2
	v_pk_mul_f32 v[66:67], v[98:99], v[82:83] op_sel:[1,1] op_sel_hi:[0,1]
	v_pk_add_f32 v[54:55], v[62:63], v[54:55]
	v_mov_b32_e32 v62, v85
	v_pk_fma_f32 v[58:59], v[94:95], v[78:79], v[58:59] neg_lo:[0,0,1] neg_hi:[0,0,1]
	v_mov_b32_e32 v59, v69
	v_pk_fma_f32 v[64:65], v[96:97], v[80:81], v[60:61] op_sel_hi:[1,0,1]
	v_pk_add_f32 v[54:55], v[54:55], v[56:57]
	v_pk_fma_f32 v[56:57], v[98:99], v[82:83], v[66:67] op_sel_hi:[1,0,1]
	v_pk_mul_f32 v[62:63], v[132:133], v[62:63] op_sel_hi:[1,0]
	v_pk_fma_f32 v[60:61], v[96:97], v[80:81], v[60:61] neg_lo:[0,0,1] neg_hi:[0,0,1]
	v_mov_b32_e32 v61, v65
	v_pk_add_f32 v[54:55], v[54:55], v[58:59]
	v_pk_fma_f32 v[64:65], v[98:99], v[82:83], v[66:67] neg_lo:[0,0,1] neg_hi:[0,0,1]
	v_mov_b32_e32 v65, v57
	v_pk_fma_f32 v[56:57], v[100:101], v[84:85], v[62:63] op_sel_hi:[1,0,1]
	s_wait_loadcnt 0x1
	v_pk_mul_f32 v[58:59], v[102:103], v[86:87] op_sel:[1,1] op_sel_hi:[0,1]
	v_pk_add_f32 v[54:55], v[54:55], v[60:61]
	v_mov_b32_e32 v56, v89
	v_pk_fma_f32 v[62:63], v[100:101], v[84:85], v[62:63] neg_lo:[0,0,1] neg_hi:[0,0,1]
	v_mov_b32_e32 v63, v57
	v_pk_fma_f32 v[60:61], v[102:103], v[86:87], v[58:59] op_sel_hi:[1,0,1]
	v_pk_add_f32 v[54:55], v[54:55], v[64:65]
	v_pk_mul_f32 v[56:57], v[134:135], v[56:57] op_sel_hi:[1,0]
	v_pk_fma_f32 v[58:59], v[102:103], v[86:87], v[58:59] neg_lo:[0,0,1] neg_hi:[0,0,1]
	s_delay_alu instid0(VALU_DEP_4) | instskip(NEXT) | instid1(VALU_DEP_4)
	v_mov_b32_e32 v59, v61
	v_pk_add_f32 v[54:55], v[54:55], v[62:63]
	s_delay_alu instid0(VALU_DEP_4) | instskip(SKIP_1) | instid1(VALU_DEP_2)
	v_pk_fma_f32 v[60:61], v[104:105], v[88:89], v[56:57] op_sel_hi:[1,0,1]
	v_pk_fma_f32 v[56:57], v[104:105], v[88:89], v[56:57] neg_lo:[0,0,1] neg_hi:[0,0,1]
	v_mov_b32_e32 v57, v61
	s_delay_alu instid0(VALU_DEP_4) | instskip(NEXT) | instid1(VALU_DEP_1)
	v_pk_add_f32 v[54:55], v[54:55], v[58:59]
	v_pk_add_f32 v[54:55], v[54:55], v[56:57]
	s_wait_loadcnt 0x0
	s_delay_alu instid0(VALU_DEP_1)
	v_pk_add_f32 v[54:55], v[126:127], v[54:55] neg_lo:[0,1] neg_hi:[0,1]
	scratch_store_b64 off, v[54:55], off offset:56
	s_wait_xcnt 0x0
	v_cmpx_lt_u32_e32 6, v0
	s_cbranch_execz .LBB89_157
; %bb.156:
	scratch_load_b64 v[54:55], off, off offset:48
	v_mov_b64_e32 v[56:57], 0
	scratch_store_b64 off, v[56:57], off offset:48
	s_wait_loadcnt 0x0
	ds_store_b64 v1, v[54:55]
.LBB89_157:
	s_wait_xcnt 0x0
	s_or_b32 exec_lo, exec_lo, s0
	s_wait_storecnt_dscnt 0x0
	s_barrier_signal -1
	s_barrier_wait -1
	s_clause 0xa
	scratch_load_b128 v[54:57], off, off offset:56
	scratch_load_b128 v[58:61], off, off offset:72
	;; [unrolled: 1-line block ×9, first 2 shown]
	scratch_load_b64 v[126:127], off, off offset:200
	scratch_load_b64 v[128:129], off, off offset:48
	v_mov_b32_e32 v7, 0
	ds_load_2addr_b64 v[90:93], v7 offset0:43 offset1:44
	ds_load_2addr_b64 v[94:97], v7 offset0:45 offset1:46
	;; [unrolled: 1-line block ×9, first 2 shown]
	ds_load_b64 v[130:131], v7 offset:408
	s_mov_b32 s0, exec_lo
	s_wait_dscnt 0x9
	v_dual_mov_b32 v132, v93 :: v_dual_mov_b32 v133, v92
	s_wait_dscnt 0x6
	v_dual_mov_b32 v134, v97 :: v_dual_mov_b32 v139, v104
	v_dual_mov_b32 v135, v96 :: v_dual_mov_b32 v136, v101
	;; [unrolled: 1-line block ×3, first 2 shown]
	s_wait_loadcnt_dscnt 0xa05
	v_dual_mul_f32 v9, v106, v55 :: v_dual_mul_f32 v27, v107, v55
	v_dual_mul_f32 v29, v109, v57 :: v_dual_mul_f32 v11, v108, v57
	s_wait_loadcnt_dscnt 0x904
	v_mul_f32_e32 v13, v110, v59
	s_wait_loadcnt_dscnt 0x702
	v_dual_mul_f32 v39, v119, v67 :: v_dual_fma_f32 v27, v106, v54, -v27
	v_dual_fmac_f32 v9, v107, v54 :: v_dual_mul_f32 v41, v121, v69
	v_dual_mul_f32 v31, v111, v59 :: v_dual_mul_f32 v33, v113, v61
	v_dual_fmac_f32 v11, v109, v56 :: v_dual_fma_f32 v29, v108, v56, -v29
	s_delay_alu instid0(VALU_DEP_3) | instskip(SKIP_3) | instid1(VALU_DEP_3)
	v_dual_add_f32 v9, 0, v9 :: v_dual_add_f32 v27, 0, v27
	v_dual_mul_f32 v15, v112, v61 :: v_dual_mul_f32 v17, v114, v63
	s_wait_loadcnt_dscnt 0x601
	v_dual_mul_f32 v43, v123, v71 :: v_dual_fma_f32 v31, v110, v58, -v31
	v_dual_fmac_f32 v13, v111, v58 :: v_dual_add_f32 v9, v9, v11
	s_delay_alu instid0(VALU_DEP_3) | instskip(SKIP_2) | instid1(VALU_DEP_3)
	v_dual_add_f32 v11, v27, v29 :: v_dual_fmac_f32 v15, v113, v60
	v_dual_mul_f32 v35, v115, v63 :: v_dual_mul_f32 v37, v117, v65
	v_dual_mul_f32 v27, v125, v73 :: v_dual_fma_f32 v29, v112, v60, -v33
	v_dual_add_f32 v9, v9, v13 :: v_dual_add_f32 v11, v11, v31
	v_dual_mul_f32 v19, v116, v65 :: v_dual_mul_f32 v21, v118, v67
	s_wait_loadcnt 0x5
	v_dual_mul_f32 v13, v91, v75 :: v_dual_fma_f32 v31, v114, v62, -v35
	s_delay_alu instid0(VALU_DEP_3) | instskip(SKIP_2) | instid1(VALU_DEP_2)
	v_dual_fmac_f32 v17, v115, v62 :: v_dual_add_f32 v9, v9, v15
	v_dual_add_f32 v11, v11, v29 :: v_dual_mov_b32 v54, v77
	v_dual_fmac_f32 v19, v117, v64 :: v_dual_fma_f32 v15, v116, v64, -v37
	v_dual_add_f32 v9, v9, v17 :: v_dual_add_f32 v11, v11, v31
	v_dual_mul_f32 v23, v120, v69 :: v_dual_mul_f32 v25, v122, v71
	v_dual_fmac_f32 v21, v119, v66 :: v_dual_fma_f32 v17, v118, v66, -v39
	s_delay_alu instid0(VALU_DEP_3) | instskip(SKIP_3) | instid1(VALU_DEP_3)
	v_add_f32_e32 v9, v9, v19
	s_wait_loadcnt 0x4
	v_dual_add_f32 v11, v11, v15 :: v_dual_mov_b32 v58, v81
	v_dual_fmac_f32 v23, v121, v68 :: v_dual_fma_f32 v15, v120, v68, -v41
	v_dual_add_f32 v9, v9, v21 :: v_dual_fmac_f32 v25, v123, v70
	s_delay_alu instid0(VALU_DEP_3) | instskip(SKIP_1) | instid1(VALU_DEP_3)
	v_add_f32_e32 v11, v11, v17
	v_dual_mul_f32 v141, v124, v73 :: v_dual_mul_f32 v143, v90, v75
	v_dual_fma_f32 v17, v122, v70, -v43 :: v_dual_add_f32 v9, v9, v23
	s_delay_alu instid0(VALU_DEP_2) | instskip(SKIP_2) | instid1(VALU_DEP_4)
	v_dual_add_f32 v11, v11, v15 :: v_dual_fmac_f32 v141, v125, v72
	v_fma_f32 v140, v124, v72, -v27
	v_pk_mul_f32 v[54:55], v[132:133], v[54:55] op_sel_hi:[1,0]
	v_add_f32_e32 v63, v9, v25
	s_wait_loadcnt 0x3
	v_dual_add_f32 v62, v11, v17 :: v_dual_mov_b32 v64, v85
	v_pk_mul_f32 v[56:57], v[94:95], v[78:79] op_sel:[1,1] op_sel_hi:[0,1]
	v_dual_fmac_f32 v143, v91, v74 :: v_dual_fma_f32 v142, v90, v74, -v13
	v_pk_fma_f32 v[66:67], v[92:93], v[76:77], v[54:55] op_sel_hi:[1,0,1]
	s_delay_alu instid0(VALU_DEP_4)
	v_pk_add_f32 v[62:63], v[62:63], v[140:141]
	v_pk_fma_f32 v[54:55], v[92:93], v[76:77], v[54:55] neg_lo:[0,0,1] neg_hi:[0,0,1]
	v_pk_fma_f32 v[68:69], v[94:95], v[78:79], v[56:57] op_sel_hi:[1,0,1]
	v_pk_mul_f32 v[58:59], v[134:135], v[58:59] op_sel_hi:[1,0]
	v_mov_b32_e32 v55, v67
	v_pk_add_f32 v[62:63], v[62:63], v[142:143]
	v_pk_fma_f32 v[56:57], v[94:95], v[78:79], v[56:57] neg_lo:[0,0,1] neg_hi:[0,0,1]
	v_pk_mul_f32 v[60:61], v[98:99], v[82:83] op_sel:[1,1] op_sel_hi:[0,1]
	v_mov_b32_e32 v57, v69
	v_pk_fma_f32 v[68:69], v[96:97], v[80:81], v[58:59] op_sel_hi:[1,0,1]
	v_pk_add_f32 v[54:55], v[62:63], v[54:55]
	v_pk_fma_f32 v[58:59], v[96:97], v[80:81], v[58:59] neg_lo:[0,0,1] neg_hi:[0,0,1]
	v_pk_fma_f32 v[62:63], v[98:99], v[82:83], v[60:61] op_sel_hi:[1,0,1]
	v_pk_mul_f32 v[64:65], v[136:137], v[64:65] op_sel_hi:[1,0]
	v_mov_b32_e32 v59, v69
	v_pk_add_f32 v[54:55], v[54:55], v[56:57]
	v_pk_fma_f32 v[60:61], v[98:99], v[82:83], v[60:61] neg_lo:[0,0,1] neg_hi:[0,0,1]
	s_wait_loadcnt 0x2
	v_pk_mul_f32 v[66:67], v[102:103], v[86:87] op_sel:[1,1] op_sel_hi:[0,1]
	v_dual_mov_b32 v56, v89 :: v_dual_mov_b32 v61, v63
	v_pk_fma_f32 v[62:63], v[100:101], v[84:85], v[64:65] op_sel_hi:[1,0,1]
	v_pk_add_f32 v[54:55], v[54:55], v[58:59]
	v_pk_fma_f32 v[64:65], v[100:101], v[84:85], v[64:65] neg_lo:[0,0,1] neg_hi:[0,0,1]
	v_pk_fma_f32 v[58:59], v[102:103], v[86:87], v[66:67] op_sel_hi:[1,0,1]
	v_pk_mul_f32 v[56:57], v[138:139], v[56:57] op_sel_hi:[1,0]
	v_mov_b32_e32 v65, v63
	v_pk_add_f32 v[54:55], v[54:55], v[60:61]
	v_pk_fma_f32 v[60:61], v[102:103], v[86:87], v[66:67] neg_lo:[0,0,1] neg_hi:[0,0,1]
	v_mov_b32_e32 v61, v59
	v_pk_fma_f32 v[58:59], v[104:105], v[88:89], v[56:57] op_sel_hi:[1,0,1]
	s_wait_loadcnt_dscnt 0x100
	v_pk_mul_f32 v[62:63], v[130:131], v[126:127] op_sel:[1,1] op_sel_hi:[0,1]
	v_pk_add_f32 v[54:55], v[54:55], v[64:65]
	v_pk_fma_f32 v[56:57], v[104:105], v[88:89], v[56:57] neg_lo:[0,0,1] neg_hi:[0,0,1]
	v_mov_b32_e32 v57, v59
	s_delay_alu instid0(VALU_DEP_4) | instskip(NEXT) | instid1(VALU_DEP_4)
	v_pk_fma_f32 v[58:59], v[130:131], v[126:127], v[62:63] op_sel_hi:[1,0,1]
	v_pk_add_f32 v[54:55], v[54:55], v[60:61]
	v_pk_fma_f32 v[60:61], v[130:131], v[126:127], v[62:63] neg_lo:[0,0,1] neg_hi:[0,0,1]
	s_delay_alu instid0(VALU_DEP_3) | instskip(NEXT) | instid1(VALU_DEP_3)
	v_mov_b32_e32 v61, v59
	v_pk_add_f32 v[54:55], v[54:55], v[56:57]
	s_delay_alu instid0(VALU_DEP_1) | instskip(SKIP_1) | instid1(VALU_DEP_1)
	v_pk_add_f32 v[54:55], v[54:55], v[60:61]
	s_wait_loadcnt 0x0
	v_pk_add_f32 v[54:55], v[128:129], v[54:55] neg_lo:[0,1] neg_hi:[0,1]
	scratch_store_b64 off, v[54:55], off offset:48
	s_wait_xcnt 0x0
	v_cmpx_lt_u32_e32 5, v0
	s_cbranch_execz .LBB89_159
; %bb.158:
	scratch_load_b64 v[54:55], off, off offset:40
	v_mov_b64_e32 v[56:57], 0
	scratch_store_b64 off, v[56:57], off offset:40
	s_wait_loadcnt 0x0
	ds_store_b64 v1, v[54:55]
.LBB89_159:
	s_wait_xcnt 0x0
	s_or_b32 exec_lo, exec_lo, s0
	s_wait_storecnt_dscnt 0x0
	s_barrier_signal -1
	s_barrier_wait -1
	s_clause 0xa
	scratch_load_b128 v[54:57], off, off offset:48
	scratch_load_b128 v[58:61], off, off offset:64
	;; [unrolled: 1-line block ×10, first 2 shown]
	scratch_load_b64 v[134:135], off, off offset:40
	ds_load_b128 v[94:97], v7 offset:352
	ds_load_b128 v[98:101], v7 offset:368
	ds_load_b128 v[102:105], v7 offset:384
	ds_load_b128 v[106:109], v7 offset:400
	ds_load_b128 v[110:113], v7 offset:256
	ds_load_b128 v[114:117], v7 offset:272
	ds_load_b128 v[118:121], v7 offset:288
	ds_load_b128 v[122:125], v7 offset:304
	ds_load_b128 v[126:129], v7 offset:320
	ds_load_b128 v[130:133], v7 offset:336
	s_mov_b32 s0, exec_lo
	s_wait_dscnt 0x9
	v_dual_mov_b32 v136, v97 :: v_dual_mov_b32 v137, v96
	s_wait_dscnt 0x8
	v_dual_mov_b32 v138, v101 :: v_dual_mov_b32 v139, v100
	;; [unrolled: 2-line block ×4, first 2 shown]
	s_wait_loadcnt_dscnt 0xa05
	v_dual_mul_f32 v7, v110, v55 :: v_dual_mul_f32 v9, v112, v57
	v_dual_mul_f32 v27, v111, v55 :: v_dual_mul_f32 v29, v113, v57
	s_wait_loadcnt_dscnt 0x904
	v_dual_mul_f32 v11, v114, v59 :: v_dual_mul_f32 v13, v116, v61
	s_delay_alu instid0(VALU_DEP_3) | instskip(SKIP_3) | instid1(VALU_DEP_3)
	v_dual_fmac_f32 v7, v111, v54 :: v_dual_fmac_f32 v9, v113, v56
	s_wait_loadcnt_dscnt 0x702
	v_dual_fma_f32 v27, v110, v54, -v27 :: v_dual_mul_f32 v39, v123, v67
	v_dual_mul_f32 v31, v115, v59 :: v_dual_mul_f32 v33, v117, v61
	v_dual_fma_f32 v29, v112, v56, -v29 :: v_dual_add_f32 v7, 0, v7
	s_delay_alu instid0(VALU_DEP_3) | instskip(SKIP_1) | instid1(VALU_DEP_3)
	v_dual_add_f32 v27, 0, v27 :: v_dual_mul_f32 v41, v125, v69
	v_dual_fmac_f32 v11, v115, v58 :: v_dual_fmac_f32 v13, v117, v60
	v_dual_fma_f32 v31, v114, v58, -v31 :: v_dual_add_f32 v7, v7, v9
	s_delay_alu instid0(VALU_DEP_3) | instskip(SKIP_2) | instid1(VALU_DEP_4)
	v_dual_add_f32 v9, v27, v29 :: v_dual_fma_f32 v29, v116, v60, -v33
	v_dual_mul_f32 v15, v118, v63 :: v_dual_mul_f32 v17, v120, v65
	v_dual_mul_f32 v35, v119, v63 :: v_dual_mul_f32 v37, v121, v65
	v_add_f32_e32 v7, v7, v11
	s_delay_alu instid0(VALU_DEP_3) | instskip(NEXT) | instid1(VALU_DEP_3)
	v_dual_add_f32 v9, v9, v31 :: v_dual_fmac_f32 v15, v119, v62
	v_fma_f32 v31, v118, v62, -v35
	v_dual_mul_f32 v19, v122, v67 :: v_dual_mul_f32 v21, v124, v69
	s_delay_alu instid0(VALU_DEP_4) | instskip(SKIP_2) | instid1(VALU_DEP_2)
	v_dual_add_f32 v7, v7, v13 :: v_dual_fmac_f32 v17, v121, v64
	s_wait_loadcnt_dscnt 0x500
	v_dual_add_f32 v9, v9, v29 :: v_dual_mul_f32 v13, v131, v75
	v_dual_fma_f32 v29, v120, v64, -v37 :: v_dual_add_f32 v7, v7, v15
	v_mul_f32_e32 v15, v133, v77
	s_delay_alu instid0(VALU_DEP_3) | instskip(NEXT) | instid1(VALU_DEP_3)
	v_dual_add_f32 v9, v9, v31 :: v_dual_fmac_f32 v19, v123, v66
	v_dual_fma_f32 v31, v122, v66, -v39 :: v_dual_add_f32 v7, v7, v17
	v_fmac_f32_e32 v21, v125, v68
	s_delay_alu instid0(VALU_DEP_3) | instskip(SKIP_4) | instid1(VALU_DEP_3)
	v_dual_add_f32 v9, v9, v29 :: v_dual_fma_f32 v17, v124, v68, -v41
	v_dual_mul_f32 v23, v126, v71 :: v_dual_mul_f32 v25, v128, v73
	v_dual_mul_f32 v27, v127, v71 :: v_dual_mul_f32 v11, v129, v73
	s_wait_loadcnt 0x4
	v_dual_add_f32 v7, v7, v19 :: v_dual_mov_b32 v56, v81
	v_dual_add_f32 v9, v9, v31 :: v_dual_fmac_f32 v23, v127, v70
	s_delay_alu instid0(VALU_DEP_2) | instskip(SKIP_1) | instid1(VALU_DEP_3)
	v_dual_fma_f32 v19, v126, v70, -v27 :: v_dual_add_f32 v7, v7, v21
	v_dual_mul_f32 v145, v130, v75 :: v_dual_mul_f32 v147, v132, v77
	v_dual_add_f32 v9, v9, v17 :: v_dual_fma_f32 v11, v128, v72, -v11
	s_delay_alu instid0(VALU_DEP_3) | instskip(SKIP_1) | instid1(VALU_DEP_3)
	v_dual_fmac_f32 v25, v129, v72 :: v_dual_add_f32 v7, v7, v23
	v_pk_mul_f32 v[54:55], v[94:95], v[78:79] op_sel:[1,1] op_sel_hi:[0,1]
	v_dual_add_f32 v9, v9, v19 :: v_dual_fmac_f32 v145, v131, v74
	s_wait_loadcnt 0x3
	v_dual_mov_b32 v60, v85 :: v_dual_fma_f32 v144, v130, v74, -v13
	s_delay_alu instid0(VALU_DEP_2)
	v_dual_add_f32 v63, v7, v25 :: v_dual_add_f32 v62, v9, v11
	v_fmac_f32_e32 v147, v133, v76
	v_pk_fma_f32 v[64:65], v[94:95], v[78:79], v[54:55] op_sel_hi:[1,0,1]
	v_fma_f32 v146, v132, v76, -v15
	v_pk_mul_f32 v[56:57], v[136:137], v[56:57] op_sel_hi:[1,0]
	v_pk_add_f32 v[62:63], v[62:63], v[144:145]
	v_pk_fma_f32 v[54:55], v[94:95], v[78:79], v[54:55] neg_lo:[0,0,1] neg_hi:[0,0,1]
	v_pk_mul_f32 v[58:59], v[98:99], v[82:83] op_sel:[1,1] op_sel_hi:[0,1]
	v_mov_b32_e32 v55, v65
	v_pk_fma_f32 v[64:65], v[96:97], v[80:81], v[56:57] op_sel_hi:[1,0,1]
	v_pk_add_f32 v[62:63], v[62:63], v[146:147]
	v_pk_fma_f32 v[56:57], v[96:97], v[80:81], v[56:57] neg_lo:[0,0,1] neg_hi:[0,0,1]
	v_pk_fma_f32 v[68:69], v[98:99], v[82:83], v[58:59] op_sel_hi:[1,0,1]
	v_pk_mul_f32 v[60:61], v[138:139], v[60:61] op_sel_hi:[1,0]
	v_mov_b32_e32 v57, v65
	v_pk_add_f32 v[54:55], v[62:63], v[54:55]
	s_wait_loadcnt 0x2
	v_pk_mul_f32 v[66:67], v[102:103], v[86:87] op_sel:[1,1] op_sel_hi:[0,1]
	v_mov_b32_e32 v62, v89
	v_pk_fma_f32 v[58:59], v[98:99], v[82:83], v[58:59] neg_lo:[0,0,1] neg_hi:[0,0,1]
	v_pk_fma_f32 v[64:65], v[100:101], v[84:85], v[60:61] op_sel_hi:[1,0,1]
	v_mov_b32_e32 v59, v69
	v_pk_add_f32 v[54:55], v[54:55], v[56:57]
	v_pk_fma_f32 v[56:57], v[102:103], v[86:87], v[66:67] op_sel_hi:[1,0,1]
	v_pk_mul_f32 v[62:63], v[140:141], v[62:63] op_sel_hi:[1,0]
	v_pk_fma_f32 v[60:61], v[100:101], v[84:85], v[60:61] neg_lo:[0,0,1] neg_hi:[0,0,1]
	v_mov_b32_e32 v61, v65
	v_pk_add_f32 v[54:55], v[54:55], v[58:59]
	v_pk_fma_f32 v[64:65], v[102:103], v[86:87], v[66:67] neg_lo:[0,0,1] neg_hi:[0,0,1]
	v_mov_b32_e32 v65, v57
	v_pk_fma_f32 v[56:57], v[104:105], v[88:89], v[62:63] op_sel_hi:[1,0,1]
	s_wait_loadcnt 0x1
	v_pk_mul_f32 v[58:59], v[106:107], v[90:91] op_sel:[1,1] op_sel_hi:[0,1]
	v_pk_add_f32 v[54:55], v[54:55], v[60:61]
	v_mov_b32_e32 v56, v93
	v_pk_fma_f32 v[62:63], v[104:105], v[88:89], v[62:63] neg_lo:[0,0,1] neg_hi:[0,0,1]
	s_delay_alu instid0(VALU_DEP_4)
	v_pk_fma_f32 v[60:61], v[106:107], v[90:91], v[58:59] op_sel_hi:[1,0,1]
	v_mov_b32_e32 v63, v57
	v_pk_add_f32 v[54:55], v[54:55], v[64:65]
	v_pk_mul_f32 v[56:57], v[142:143], v[56:57] op_sel_hi:[1,0]
	v_pk_fma_f32 v[58:59], v[106:107], v[90:91], v[58:59] neg_lo:[0,0,1] neg_hi:[0,0,1]
	v_mov_b32_e32 v59, v61
	s_delay_alu instid0(VALU_DEP_4) | instskip(NEXT) | instid1(VALU_DEP_4)
	v_pk_add_f32 v[54:55], v[54:55], v[62:63]
	v_pk_fma_f32 v[60:61], v[108:109], v[92:93], v[56:57] op_sel_hi:[1,0,1]
	v_pk_fma_f32 v[56:57], v[108:109], v[92:93], v[56:57] neg_lo:[0,0,1] neg_hi:[0,0,1]
	s_delay_alu instid0(VALU_DEP_3) | instskip(NEXT) | instid1(VALU_DEP_3)
	v_pk_add_f32 v[54:55], v[54:55], v[58:59]
	v_mov_b32_e32 v57, v61
	s_delay_alu instid0(VALU_DEP_1) | instskip(SKIP_1) | instid1(VALU_DEP_1)
	v_pk_add_f32 v[54:55], v[54:55], v[56:57]
	s_wait_loadcnt 0x0
	v_pk_add_f32 v[54:55], v[134:135], v[54:55] neg_lo:[0,1] neg_hi:[0,1]
	scratch_store_b64 off, v[54:55], off offset:40
	s_wait_xcnt 0x0
	v_cmpx_lt_u32_e32 4, v0
	s_cbranch_execz .LBB89_161
; %bb.160:
	scratch_load_b64 v[54:55], off, off offset:32
	v_mov_b64_e32 v[56:57], 0
	scratch_store_b64 off, v[56:57], off offset:32
	s_wait_loadcnt 0x0
	ds_store_b64 v1, v[54:55]
.LBB89_161:
	s_wait_xcnt 0x0
	s_or_b32 exec_lo, exec_lo, s0
	s_wait_storecnt_dscnt 0x0
	s_barrier_signal -1
	s_barrier_wait -1
	s_clause 0xb
	scratch_load_b128 v[54:57], off, off offset:40
	scratch_load_b128 v[58:61], off, off offset:56
	;; [unrolled: 1-line block ×10, first 2 shown]
	scratch_load_b64 v[134:135], off, off offset:200
	scratch_load_b64 v[136:137], off, off offset:32
	v_mov_b32_e32 v7, 0
	ds_load_2addr_b64 v[94:97], v7 offset0:43 offset1:44
	ds_load_2addr_b64 v[98:101], v7 offset0:45 offset1:46
	;; [unrolled: 1-line block ×10, first 2 shown]
	ds_load_b64 v[138:139], v7 offset:408
	s_mov_b32 s0, exec_lo
	s_wait_dscnt 0xa
	v_dual_mov_b32 v140, v97 :: v_dual_mov_b32 v141, v96
	s_wait_dscnt 0x7
	v_dual_mov_b32 v142, v101 :: v_dual_mov_b32 v147, v108
	v_dual_mov_b32 v143, v100 :: v_dual_mov_b32 v144, v105
	;; [unrolled: 1-line block ×3, first 2 shown]
	s_wait_loadcnt_dscnt 0xb06
	v_dual_mul_f32 v9, v110, v55 :: v_dual_mul_f32 v31, v111, v55
	v_dual_mul_f32 v33, v113, v57 :: v_dual_mul_f32 v11, v112, v57
	s_wait_loadcnt_dscnt 0xa05
	v_mul_f32_e32 v13, v114, v59
	s_wait_loadcnt_dscnt 0x803
	v_dual_mul_f32 v43, v123, v67 :: v_dual_fma_f32 v31, v110, v54, -v31
	v_dual_fmac_f32 v9, v111, v54 :: v_dual_mul_f32 v45, v125, v69
	v_dual_mul_f32 v35, v115, v59 :: v_dual_mul_f32 v37, v117, v61
	v_dual_fmac_f32 v11, v113, v56 :: v_dual_fma_f32 v33, v112, v56, -v33
	s_delay_alu instid0(VALU_DEP_3) | instskip(SKIP_3) | instid1(VALU_DEP_3)
	v_dual_add_f32 v9, 0, v9 :: v_dual_add_f32 v31, 0, v31
	v_dual_mul_f32 v15, v116, v61 :: v_dual_mul_f32 v17, v118, v63
	s_wait_loadcnt_dscnt 0x702
	v_dual_mul_f32 v47, v127, v71 :: v_dual_fma_f32 v35, v114, v58, -v35
	v_dual_fmac_f32 v13, v115, v58 :: v_dual_add_f32 v9, v9, v11
	s_delay_alu instid0(VALU_DEP_3) | instskip(SKIP_2) | instid1(VALU_DEP_3)
	v_dual_add_f32 v11, v31, v33 :: v_dual_fmac_f32 v15, v117, v60
	v_dual_mul_f32 v39, v119, v63 :: v_dual_mul_f32 v41, v121, v65
	v_dual_mul_f32 v31, v129, v73 :: v_dual_fma_f32 v33, v116, v60, -v37
	v_dual_add_f32 v9, v9, v13 :: v_dual_add_f32 v11, v11, v35
	v_dual_mul_f32 v19, v120, v65 :: v_dual_mul_f32 v21, v122, v67
	s_wait_loadcnt_dscnt 0x601
	v_dual_mul_f32 v13, v131, v75 :: v_dual_fma_f32 v35, v118, v62, -v39
	s_delay_alu instid0(VALU_DEP_3) | instskip(NEXT) | instid1(VALU_DEP_3)
	v_dual_fmac_f32 v17, v119, v62 :: v_dual_add_f32 v9, v9, v15
	v_dual_add_f32 v11, v11, v33 :: v_dual_fmac_f32 v19, v121, v64
	v_dual_mul_f32 v15, v133, v77 :: v_dual_fma_f32 v33, v120, v64, -v41
	s_delay_alu instid0(VALU_DEP_2) | instskip(SKIP_3) | instid1(VALU_DEP_3)
	v_dual_add_f32 v9, v9, v17 :: v_dual_add_f32 v11, v11, v35
	v_dual_mul_f32 v23, v124, v69 :: v_dual_mul_f32 v25, v126, v71
	s_wait_loadcnt 0x5
	v_dual_mul_f32 v17, v95, v79 :: v_dual_fma_f32 v35, v122, v66, -v43
	v_dual_fmac_f32 v21, v123, v66 :: v_dual_add_f32 v9, v9, v19
	v_dual_add_f32 v11, v11, v33 :: v_dual_mov_b32 v54, v81
	v_dual_fmac_f32 v23, v125, v68 :: v_dual_fma_f32 v19, v124, v68, -v45
	s_delay_alu instid0(VALU_DEP_2) | instskip(SKIP_2) | instid1(VALU_DEP_3)
	v_dual_add_f32 v9, v9, v21 :: v_dual_add_f32 v11, v11, v35
	v_dual_mul_f32 v27, v128, v73 :: v_dual_mul_f32 v29, v130, v75
	v_dual_fmac_f32 v25, v127, v70 :: v_dual_fma_f32 v21, v126, v70, -v47
	v_add_f32_e32 v9, v9, v23
	s_wait_loadcnt 0x4
	v_dual_add_f32 v11, v11, v19 :: v_dual_mov_b32 v58, v85
	v_fmac_f32_e32 v27, v129, v72
	s_delay_alu instid0(VALU_DEP_3) | instskip(SKIP_1) | instid1(VALU_DEP_4)
	v_dual_fma_f32 v19, v128, v72, -v31 :: v_dual_add_f32 v9, v9, v25
	v_fmac_f32_e32 v29, v131, v74
	v_add_f32_e32 v11, v11, v21
	v_dual_mul_f32 v149, v132, v77 :: v_dual_mul_f32 v151, v94, v79
	s_delay_alu instid0(VALU_DEP_4) | instskip(NEXT) | instid1(VALU_DEP_2)
	v_dual_fma_f32 v13, v130, v74, -v13 :: v_dual_add_f32 v9, v9, v27
	v_dual_add_f32 v11, v11, v19 :: v_dual_fmac_f32 v149, v133, v76
	v_fma_f32 v148, v132, v76, -v15
	v_pk_mul_f32 v[54:55], v[140:141], v[54:55] op_sel_hi:[1,0]
	s_delay_alu instid0(VALU_DEP_4)
	v_add_f32_e32 v63, v9, v29
	s_wait_loadcnt 0x3
	v_dual_add_f32 v62, v11, v13 :: v_dual_mov_b32 v64, v89
	v_pk_mul_f32 v[56:57], v[98:99], v[82:83] op_sel:[1,1] op_sel_hi:[0,1]
	v_dual_fmac_f32 v151, v95, v78 :: v_dual_fma_f32 v150, v94, v78, -v17
	v_pk_fma_f32 v[66:67], v[96:97], v[80:81], v[54:55] op_sel_hi:[1,0,1]
	s_delay_alu instid0(VALU_DEP_4)
	v_pk_add_f32 v[62:63], v[62:63], v[148:149]
	v_pk_fma_f32 v[54:55], v[96:97], v[80:81], v[54:55] neg_lo:[0,0,1] neg_hi:[0,0,1]
	v_pk_fma_f32 v[68:69], v[98:99], v[82:83], v[56:57] op_sel_hi:[1,0,1]
	v_pk_mul_f32 v[58:59], v[142:143], v[58:59] op_sel_hi:[1,0]
	v_mov_b32_e32 v55, v67
	v_pk_add_f32 v[62:63], v[62:63], v[150:151]
	v_pk_fma_f32 v[56:57], v[98:99], v[82:83], v[56:57] neg_lo:[0,0,1] neg_hi:[0,0,1]
	v_pk_mul_f32 v[60:61], v[102:103], v[86:87] op_sel:[1,1] op_sel_hi:[0,1]
	v_mov_b32_e32 v57, v69
	v_pk_fma_f32 v[68:69], v[100:101], v[84:85], v[58:59] op_sel_hi:[1,0,1]
	v_pk_add_f32 v[54:55], v[62:63], v[54:55]
	v_pk_fma_f32 v[58:59], v[100:101], v[84:85], v[58:59] neg_lo:[0,0,1] neg_hi:[0,0,1]
	v_pk_fma_f32 v[62:63], v[102:103], v[86:87], v[60:61] op_sel_hi:[1,0,1]
	v_pk_mul_f32 v[64:65], v[144:145], v[64:65] op_sel_hi:[1,0]
	v_mov_b32_e32 v59, v69
	v_pk_add_f32 v[54:55], v[54:55], v[56:57]
	v_pk_fma_f32 v[60:61], v[102:103], v[86:87], v[60:61] neg_lo:[0,0,1] neg_hi:[0,0,1]
	s_wait_loadcnt 0x2
	v_pk_mul_f32 v[66:67], v[106:107], v[90:91] op_sel:[1,1] op_sel_hi:[0,1]
	v_dual_mov_b32 v56, v93 :: v_dual_mov_b32 v61, v63
	v_pk_fma_f32 v[62:63], v[104:105], v[88:89], v[64:65] op_sel_hi:[1,0,1]
	v_pk_add_f32 v[54:55], v[54:55], v[58:59]
	v_pk_fma_f32 v[64:65], v[104:105], v[88:89], v[64:65] neg_lo:[0,0,1] neg_hi:[0,0,1]
	v_pk_fma_f32 v[58:59], v[106:107], v[90:91], v[66:67] op_sel_hi:[1,0,1]
	v_pk_mul_f32 v[56:57], v[146:147], v[56:57] op_sel_hi:[1,0]
	v_mov_b32_e32 v65, v63
	v_pk_add_f32 v[54:55], v[54:55], v[60:61]
	v_pk_fma_f32 v[60:61], v[106:107], v[90:91], v[66:67] neg_lo:[0,0,1] neg_hi:[0,0,1]
	v_mov_b32_e32 v61, v59
	v_pk_fma_f32 v[58:59], v[108:109], v[92:93], v[56:57] op_sel_hi:[1,0,1]
	s_wait_loadcnt_dscnt 0x100
	v_pk_mul_f32 v[62:63], v[138:139], v[134:135] op_sel:[1,1] op_sel_hi:[0,1]
	v_pk_add_f32 v[54:55], v[54:55], v[64:65]
	v_pk_fma_f32 v[56:57], v[108:109], v[92:93], v[56:57] neg_lo:[0,0,1] neg_hi:[0,0,1]
	v_mov_b32_e32 v57, v59
	s_delay_alu instid0(VALU_DEP_4) | instskip(NEXT) | instid1(VALU_DEP_4)
	v_pk_fma_f32 v[58:59], v[138:139], v[134:135], v[62:63] op_sel_hi:[1,0,1]
	v_pk_add_f32 v[54:55], v[54:55], v[60:61]
	v_pk_fma_f32 v[60:61], v[138:139], v[134:135], v[62:63] neg_lo:[0,0,1] neg_hi:[0,0,1]
	s_delay_alu instid0(VALU_DEP_3) | instskip(NEXT) | instid1(VALU_DEP_3)
	v_mov_b32_e32 v61, v59
	v_pk_add_f32 v[54:55], v[54:55], v[56:57]
	s_delay_alu instid0(VALU_DEP_1) | instskip(SKIP_1) | instid1(VALU_DEP_1)
	v_pk_add_f32 v[54:55], v[54:55], v[60:61]
	s_wait_loadcnt 0x0
	v_pk_add_f32 v[54:55], v[136:137], v[54:55] neg_lo:[0,1] neg_hi:[0,1]
	scratch_store_b64 off, v[54:55], off offset:32
	s_wait_xcnt 0x0
	v_cmpx_lt_u32_e32 3, v0
	s_cbranch_execz .LBB89_163
; %bb.162:
	scratch_load_b64 v[54:55], off, off offset:24
	v_mov_b64_e32 v[56:57], 0
	scratch_store_b64 off, v[56:57], off offset:24
	s_wait_loadcnt 0x0
	ds_store_b64 v1, v[54:55]
.LBB89_163:
	s_wait_xcnt 0x0
	s_or_b32 exec_lo, exec_lo, s0
	s_wait_storecnt_dscnt 0x0
	s_barrier_signal -1
	s_barrier_wait -1
	s_clause 0xb
	scratch_load_b128 v[54:57], off, off offset:32
	scratch_load_b128 v[58:61], off, off offset:48
	;; [unrolled: 1-line block ×11, first 2 shown]
	scratch_load_b64 v[142:143], off, off offset:24
	ds_load_b128 v[98:101], v7 offset:352
	ds_load_b128 v[102:105], v7 offset:368
	;; [unrolled: 1-line block ×11, first 2 shown]
	s_mov_b32 s0, exec_lo
	s_wait_dscnt 0xa
	v_dual_mov_b32 v144, v101 :: v_dual_mov_b32 v145, v100
	s_wait_dscnt 0x9
	v_dual_mov_b32 v146, v105 :: v_dual_mov_b32 v147, v104
	;; [unrolled: 2-line block ×4, first 2 shown]
	s_wait_loadcnt_dscnt 0xb06
	v_dual_mul_f32 v7, v114, v55 :: v_dual_mul_f32 v9, v116, v57
	v_dual_mul_f32 v31, v115, v55 :: v_dual_mul_f32 v33, v117, v57
	s_wait_loadcnt_dscnt 0xa05
	v_dual_mul_f32 v11, v118, v59 :: v_dual_mul_f32 v13, v120, v61
	s_delay_alu instid0(VALU_DEP_3) | instskip(SKIP_3) | instid1(VALU_DEP_3)
	v_dual_fmac_f32 v7, v115, v54 :: v_dual_fmac_f32 v9, v117, v56
	s_wait_loadcnt_dscnt 0x803
	v_dual_fma_f32 v31, v114, v54, -v31 :: v_dual_mul_f32 v43, v127, v67
	v_dual_mul_f32 v35, v119, v59 :: v_dual_mul_f32 v37, v121, v61
	v_dual_fma_f32 v33, v116, v56, -v33 :: v_dual_add_f32 v7, 0, v7
	s_delay_alu instid0(VALU_DEP_3) | instskip(SKIP_1) | instid1(VALU_DEP_3)
	v_dual_add_f32 v31, 0, v31 :: v_dual_mul_f32 v45, v129, v69
	v_dual_fmac_f32 v11, v119, v58 :: v_dual_fmac_f32 v13, v121, v60
	v_dual_fma_f32 v35, v118, v58, -v35 :: v_dual_add_f32 v7, v7, v9
	s_delay_alu instid0(VALU_DEP_3) | instskip(SKIP_2) | instid1(VALU_DEP_4)
	v_dual_add_f32 v9, v31, v33 :: v_dual_fma_f32 v33, v120, v60, -v37
	v_dual_mul_f32 v15, v122, v63 :: v_dual_mul_f32 v17, v124, v65
	v_dual_mul_f32 v39, v123, v63 :: v_dual_mul_f32 v41, v125, v65
	v_add_f32_e32 v7, v7, v11
	s_delay_alu instid0(VALU_DEP_3) | instskip(NEXT) | instid1(VALU_DEP_3)
	v_dual_add_f32 v9, v9, v35 :: v_dual_fmac_f32 v15, v123, v62
	v_fma_f32 v35, v122, v62, -v39
	v_dual_mul_f32 v19, v126, v67 :: v_dual_mul_f32 v21, v128, v69
	s_delay_alu instid0(VALU_DEP_4) | instskip(SKIP_2) | instid1(VALU_DEP_2)
	v_dual_add_f32 v7, v7, v13 :: v_dual_fmac_f32 v17, v125, v64
	s_wait_loadcnt_dscnt 0x601
	v_dual_add_f32 v9, v9, v33 :: v_dual_mul_f32 v13, v135, v75
	v_dual_fma_f32 v33, v124, v64, -v41 :: v_dual_add_f32 v7, v7, v15
	v_mul_f32_e32 v15, v137, v77
	s_delay_alu instid0(VALU_DEP_3) | instskip(NEXT) | instid1(VALU_DEP_3)
	v_dual_add_f32 v9, v9, v35 :: v_dual_fmac_f32 v19, v127, v66
	v_dual_fma_f32 v35, v126, v66, -v43 :: v_dual_add_f32 v7, v7, v17
	v_fmac_f32_e32 v21, v129, v68
	s_wait_loadcnt_dscnt 0x500
	s_delay_alu instid0(VALU_DEP_3) | instskip(SKIP_3) | instid1(VALU_DEP_3)
	v_dual_add_f32 v9, v9, v33 :: v_dual_mul_f32 v17, v139, v79
	v_dual_mul_f32 v23, v130, v71 :: v_dual_mul_f32 v25, v132, v73
	v_dual_mul_f32 v31, v131, v71 :: v_dual_mul_f32 v11, v133, v73
	v_dual_fma_f32 v33, v128, v68, -v45 :: v_dual_add_f32 v7, v7, v19
	v_dual_add_f32 v9, v9, v35 :: v_dual_fmac_f32 v23, v131, v70
	s_delay_alu instid0(VALU_DEP_3) | instskip(NEXT) | instid1(VALU_DEP_3)
	v_dual_mul_f32 v19, v141, v81 :: v_dual_fma_f32 v31, v130, v70, -v31
	v_dual_add_f32 v7, v7, v21 :: v_dual_fmac_f32 v25, v133, v72
	s_delay_alu instid0(VALU_DEP_3) | instskip(SKIP_2) | instid1(VALU_DEP_3)
	v_dual_add_f32 v9, v9, v33 :: v_dual_fma_f32 v11, v132, v72, -v11
	v_dual_mul_f32 v27, v134, v75 :: v_dual_mul_f32 v29, v136, v77
	s_wait_loadcnt 0x4
	v_dual_add_f32 v7, v7, v23 :: v_dual_mov_b32 v56, v85
	s_delay_alu instid0(VALU_DEP_2) | instskip(NEXT) | instid1(VALU_DEP_2)
	v_dual_add_f32 v9, v9, v31 :: v_dual_fmac_f32 v27, v135, v74
	v_dual_fma_f32 v13, v134, v74, -v13 :: v_dual_add_f32 v7, v7, v25
	v_dual_mul_f32 v153, v138, v79 :: v_dual_mul_f32 v155, v140, v81
	s_delay_alu instid0(VALU_DEP_3) | instskip(NEXT) | instid1(VALU_DEP_3)
	v_dual_add_f32 v9, v9, v11 :: v_dual_fma_f32 v11, v136, v76, -v15
	v_dual_fmac_f32 v29, v137, v76 :: v_dual_add_f32 v7, v7, v27
	v_pk_mul_f32 v[54:55], v[98:99], v[82:83] op_sel:[1,1] op_sel_hi:[0,1]
	s_delay_alu instid0(VALU_DEP_3) | instskip(SKIP_2) | instid1(VALU_DEP_2)
	v_dual_add_f32 v9, v9, v13 :: v_dual_fmac_f32 v153, v139, v78
	s_wait_loadcnt 0x3
	v_dual_mov_b32 v60, v89 :: v_dual_fma_f32 v152, v138, v78, -v17
	v_dual_add_f32 v63, v7, v29 :: v_dual_add_f32 v62, v9, v11
	v_fmac_f32_e32 v155, v141, v80
	v_pk_fma_f32 v[64:65], v[98:99], v[82:83], v[54:55] op_sel_hi:[1,0,1]
	v_fma_f32 v154, v140, v80, -v19
	v_pk_mul_f32 v[56:57], v[144:145], v[56:57] op_sel_hi:[1,0]
	v_pk_add_f32 v[62:63], v[62:63], v[152:153]
	v_pk_fma_f32 v[54:55], v[98:99], v[82:83], v[54:55] neg_lo:[0,0,1] neg_hi:[0,0,1]
	v_pk_mul_f32 v[58:59], v[102:103], v[86:87] op_sel:[1,1] op_sel_hi:[0,1]
	v_mov_b32_e32 v55, v65
	v_pk_fma_f32 v[64:65], v[100:101], v[84:85], v[56:57] op_sel_hi:[1,0,1]
	v_pk_add_f32 v[62:63], v[62:63], v[154:155]
	v_pk_fma_f32 v[56:57], v[100:101], v[84:85], v[56:57] neg_lo:[0,0,1] neg_hi:[0,0,1]
	v_pk_fma_f32 v[68:69], v[102:103], v[86:87], v[58:59] op_sel_hi:[1,0,1]
	v_pk_mul_f32 v[60:61], v[146:147], v[60:61] op_sel_hi:[1,0]
	v_mov_b32_e32 v57, v65
	v_pk_add_f32 v[54:55], v[62:63], v[54:55]
	s_wait_loadcnt 0x2
	v_pk_mul_f32 v[66:67], v[106:107], v[90:91] op_sel:[1,1] op_sel_hi:[0,1]
	v_mov_b32_e32 v62, v93
	v_pk_fma_f32 v[58:59], v[102:103], v[86:87], v[58:59] neg_lo:[0,0,1] neg_hi:[0,0,1]
	v_pk_fma_f32 v[64:65], v[104:105], v[88:89], v[60:61] op_sel_hi:[1,0,1]
	v_mov_b32_e32 v59, v69
	v_pk_add_f32 v[54:55], v[54:55], v[56:57]
	v_pk_fma_f32 v[56:57], v[106:107], v[90:91], v[66:67] op_sel_hi:[1,0,1]
	v_pk_mul_f32 v[62:63], v[148:149], v[62:63] op_sel_hi:[1,0]
	v_pk_fma_f32 v[60:61], v[104:105], v[88:89], v[60:61] neg_lo:[0,0,1] neg_hi:[0,0,1]
	v_mov_b32_e32 v61, v65
	v_pk_add_f32 v[54:55], v[54:55], v[58:59]
	v_pk_fma_f32 v[64:65], v[106:107], v[90:91], v[66:67] neg_lo:[0,0,1] neg_hi:[0,0,1]
	v_mov_b32_e32 v65, v57
	v_pk_fma_f32 v[56:57], v[108:109], v[92:93], v[62:63] op_sel_hi:[1,0,1]
	s_wait_loadcnt 0x1
	v_pk_mul_f32 v[58:59], v[110:111], v[94:95] op_sel:[1,1] op_sel_hi:[0,1]
	v_pk_add_f32 v[54:55], v[54:55], v[60:61]
	v_mov_b32_e32 v56, v97
	v_pk_fma_f32 v[62:63], v[108:109], v[92:93], v[62:63] neg_lo:[0,0,1] neg_hi:[0,0,1]
	s_delay_alu instid0(VALU_DEP_4)
	v_pk_fma_f32 v[60:61], v[110:111], v[94:95], v[58:59] op_sel_hi:[1,0,1]
	v_mov_b32_e32 v63, v57
	v_pk_add_f32 v[54:55], v[54:55], v[64:65]
	v_pk_mul_f32 v[56:57], v[150:151], v[56:57] op_sel_hi:[1,0]
	v_pk_fma_f32 v[58:59], v[110:111], v[94:95], v[58:59] neg_lo:[0,0,1] neg_hi:[0,0,1]
	v_mov_b32_e32 v59, v61
	s_delay_alu instid0(VALU_DEP_4) | instskip(NEXT) | instid1(VALU_DEP_4)
	v_pk_add_f32 v[54:55], v[54:55], v[62:63]
	v_pk_fma_f32 v[60:61], v[112:113], v[96:97], v[56:57] op_sel_hi:[1,0,1]
	v_pk_fma_f32 v[56:57], v[112:113], v[96:97], v[56:57] neg_lo:[0,0,1] neg_hi:[0,0,1]
	s_delay_alu instid0(VALU_DEP_3) | instskip(NEXT) | instid1(VALU_DEP_3)
	v_pk_add_f32 v[54:55], v[54:55], v[58:59]
	v_mov_b32_e32 v57, v61
	s_delay_alu instid0(VALU_DEP_1) | instskip(SKIP_1) | instid1(VALU_DEP_1)
	v_pk_add_f32 v[54:55], v[54:55], v[56:57]
	s_wait_loadcnt 0x0
	v_pk_add_f32 v[54:55], v[142:143], v[54:55] neg_lo:[0,1] neg_hi:[0,1]
	scratch_store_b64 off, v[54:55], off offset:24
	s_wait_xcnt 0x0
	v_cmpx_lt_u32_e32 2, v0
	s_cbranch_execz .LBB89_165
; %bb.164:
	scratch_load_b64 v[54:55], off, off offset:16
	v_mov_b64_e32 v[56:57], 0
	scratch_store_b64 off, v[56:57], off offset:16
	s_wait_loadcnt 0x0
	ds_store_b64 v1, v[54:55]
.LBB89_165:
	s_wait_xcnt 0x0
	s_or_b32 exec_lo, exec_lo, s0
	s_wait_storecnt_dscnt 0x0
	s_barrier_signal -1
	s_barrier_wait -1
	s_clause 0xc
	scratch_load_b128 v[54:57], off, off offset:24
	scratch_load_b128 v[58:61], off, off offset:40
	scratch_load_b128 v[62:65], off, off offset:56
	scratch_load_b128 v[66:69], off, off offset:72
	scratch_load_b128 v[70:73], off, off offset:88
	scratch_load_b128 v[74:77], off, off offset:104
	scratch_load_b128 v[78:81], off, off offset:120
	scratch_load_b128 v[82:85], off, off offset:136
	scratch_load_b128 v[86:89], off, off offset:152
	scratch_load_b128 v[90:93], off, off offset:168
	scratch_load_b128 v[94:97], off, off offset:184
	scratch_load_b64 v[142:143], off, off offset:200
	scratch_load_b64 v[144:145], off, off offset:16
	v_mov_b32_e32 v33, 0
	ds_load_2addr_b64 v[98:101], v33 offset0:43 offset1:44
	ds_load_2addr_b64 v[102:105], v33 offset0:45 offset1:46
	;; [unrolled: 1-line block ×11, first 2 shown]
	ds_load_b64 v[146:147], v33 offset:408
	s_mov_b32 s0, exec_lo
	s_wait_dscnt 0xb
	v_dual_mov_b32 v148, v101 :: v_dual_mov_b32 v149, v100
	s_wait_dscnt 0x8
	v_dual_mov_b32 v150, v105 :: v_dual_mov_b32 v155, v112
	v_dual_mov_b32 v151, v104 :: v_dual_mov_b32 v152, v109
	;; [unrolled: 1-line block ×3, first 2 shown]
	s_wait_loadcnt_dscnt 0xc07
	v_dual_mul_f32 v7, v114, v55 :: v_dual_mul_f32 v35, v115, v55
	v_dual_mul_f32 v37, v117, v57 :: v_dual_mul_f32 v9, v116, v57
	s_wait_loadcnt_dscnt 0xb06
	v_mul_f32_e32 v11, v118, v59
	s_wait_loadcnt_dscnt 0x904
	v_dual_mul_f32 v47, v127, v67 :: v_dual_fma_f32 v35, v114, v54, -v35
	v_dual_fmac_f32 v7, v115, v54 :: v_dual_mul_f32 v49, v129, v69
	v_dual_mul_f32 v39, v119, v59 :: v_dual_mul_f32 v41, v121, v61
	s_delay_alu instid0(VALU_DEP_2) | instskip(NEXT) | instid1(VALU_DEP_4)
	v_dual_fmac_f32 v9, v117, v56 :: v_dual_add_f32 v7, 0, v7
	v_dual_fma_f32 v37, v116, v56, -v37 :: v_dual_add_f32 v35, 0, v35
	v_dual_mul_f32 v13, v120, v61 :: v_dual_mul_f32 v15, v122, v63
	s_wait_loadcnt_dscnt 0x803
	v_dual_mul_f32 v51, v131, v71 :: v_dual_fma_f32 v39, v118, v58, -v39
	v_fmac_f32_e32 v11, v119, v58
	s_delay_alu instid0(VALU_DEP_3) | instskip(SKIP_2) | instid1(VALU_DEP_3)
	v_dual_add_f32 v7, v7, v9 :: v_dual_fmac_f32 v13, v121, v60
	v_dual_add_f32 v9, v35, v37 :: v_dual_fma_f32 v37, v120, v60, -v41
	v_dual_mul_f32 v43, v123, v63 :: v_dual_mul_f32 v45, v125, v65
	v_dual_mul_f32 v35, v133, v73 :: v_dual_add_f32 v7, v7, v11
	s_delay_alu instid0(VALU_DEP_3) | instskip(SKIP_2) | instid1(VALU_DEP_2)
	v_dual_add_f32 v9, v9, v39 :: v_dual_fmac_f32 v15, v123, v62
	v_dual_mul_f32 v17, v124, v65 :: v_dual_mul_f32 v19, v126, v67
	s_wait_loadcnt_dscnt 0x701
	v_dual_mul_f32 v11, v139, v75 :: v_dual_add_f32 v9, v9, v37
	v_dual_fma_f32 v39, v122, v62, -v43 :: v_dual_add_f32 v7, v7, v13
	s_delay_alu instid0(VALU_DEP_3) | instskip(SKIP_1) | instid1(VALU_DEP_3)
	v_fmac_f32_e32 v17, v125, v64
	v_dual_mul_f32 v13, v141, v77 :: v_dual_fma_f32 v37, v124, v64, -v45
	v_dual_add_f32 v9, v9, v39 :: v_dual_fmac_f32 v19, v127, v66
	s_delay_alu instid0(VALU_DEP_4) | instskip(SKIP_2) | instid1(VALU_DEP_3)
	v_dual_add_f32 v7, v7, v15 :: v_dual_fma_f32 v39, v126, v66, -v47
	v_dual_mul_f32 v21, v128, v69 :: v_dual_mul_f32 v23, v130, v71
	s_wait_loadcnt 0x6
	v_dual_mul_f32 v15, v135, v79 :: v_dual_add_f32 v9, v9, v37
	s_delay_alu instid0(VALU_DEP_2) | instskip(SKIP_1) | instid1(VALU_DEP_3)
	v_dual_add_f32 v7, v7, v17 :: v_dual_fmac_f32 v21, v129, v68
	v_dual_mul_f32 v17, v137, v81 :: v_dual_fma_f32 v37, v128, v68, -v49
	v_dual_add_f32 v9, v9, v39 :: v_dual_fmac_f32 v23, v131, v70
	s_delay_alu instid0(VALU_DEP_3) | instskip(SKIP_2) | instid1(VALU_DEP_3)
	v_dual_add_f32 v7, v7, v19 :: v_dual_fma_f32 v39, v130, v70, -v51
	v_dual_mul_f32 v25, v132, v73 :: v_dual_mul_f32 v27, v138, v75
	s_wait_loadcnt 0x5
	v_dual_mul_f32 v19, v99, v83 :: v_dual_add_f32 v9, v9, v37
	s_delay_alu instid0(VALU_DEP_3) | instskip(NEXT) | instid1(VALU_DEP_3)
	v_dual_add_f32 v7, v7, v21 :: v_dual_mov_b32 v54, v85
	v_dual_fmac_f32 v25, v133, v72 :: v_dual_fma_f32 v21, v132, v72, -v35
	s_delay_alu instid0(VALU_DEP_3) | instskip(NEXT) | instid1(VALU_DEP_3)
	v_dual_add_f32 v9, v9, v39 :: v_dual_fmac_f32 v27, v139, v74
	v_dual_add_f32 v7, v7, v23 :: v_dual_fma_f32 v11, v138, v74, -v11
	v_dual_mul_f32 v29, v140, v77 :: v_dual_mul_f32 v31, v134, v79
	s_delay_alu instid0(VALU_DEP_3) | instskip(SKIP_1) | instid1(VALU_DEP_3)
	v_dual_add_f32 v9, v9, v21 :: v_dual_fma_f32 v13, v140, v76, -v13
	s_wait_loadcnt 0x4
	v_dual_add_f32 v7, v7, v25 :: v_dual_mov_b32 v58, v89
	s_delay_alu instid0(VALU_DEP_3) | instskip(NEXT) | instid1(VALU_DEP_3)
	v_fmac_f32_e32 v29, v141, v76
	v_dual_add_f32 v9, v9, v11 :: v_dual_fmac_f32 v31, v135, v78
	s_delay_alu instid0(VALU_DEP_3) | instskip(SKIP_1) | instid1(VALU_DEP_3)
	v_dual_add_f32 v7, v7, v27 :: v_dual_mul_f32 v157, v136, v81
	v_mul_f32_e32 v159, v98, v83
	v_dual_fma_f32 v11, v134, v78, -v15 :: v_dual_add_f32 v9, v9, v13
	s_delay_alu instid0(VALU_DEP_3) | instskip(NEXT) | instid1(VALU_DEP_4)
	v_dual_fma_f32 v156, v136, v80, -v17 :: v_dual_add_f32 v7, v7, v29
	v_fmac_f32_e32 v157, v137, v80
	v_pk_mul_f32 v[54:55], v[148:149], v[54:55] op_sel_hi:[1,0]
	s_delay_alu instid0(VALU_DEP_4) | instskip(NEXT) | instid1(VALU_DEP_4)
	v_dual_add_f32 v62, v9, v11 :: v_dual_fmac_f32 v159, v99, v82
	v_add_f32_e32 v63, v7, v31
	v_pk_mul_f32 v[56:57], v[102:103], v[86:87] op_sel:[1,1] op_sel_hi:[0,1]
	s_wait_loadcnt 0x3
	v_dual_mov_b32 v64, v93 :: v_dual_fma_f32 v158, v98, v82, -v19
	v_pk_fma_f32 v[66:67], v[100:101], v[84:85], v[54:55] op_sel_hi:[1,0,1]
	v_pk_add_f32 v[62:63], v[62:63], v[156:157]
	v_pk_fma_f32 v[54:55], v[100:101], v[84:85], v[54:55] neg_lo:[0,0,1] neg_hi:[0,0,1]
	v_pk_fma_f32 v[68:69], v[102:103], v[86:87], v[56:57] op_sel_hi:[1,0,1]
	v_pk_mul_f32 v[58:59], v[150:151], v[58:59] op_sel_hi:[1,0]
	v_mov_b32_e32 v55, v67
	v_pk_add_f32 v[62:63], v[62:63], v[158:159]
	v_pk_fma_f32 v[56:57], v[102:103], v[86:87], v[56:57] neg_lo:[0,0,1] neg_hi:[0,0,1]
	v_pk_mul_f32 v[60:61], v[106:107], v[90:91] op_sel:[1,1] op_sel_hi:[0,1]
	v_mov_b32_e32 v57, v69
	v_pk_fma_f32 v[68:69], v[104:105], v[88:89], v[58:59] op_sel_hi:[1,0,1]
	v_pk_add_f32 v[54:55], v[62:63], v[54:55]
	v_pk_fma_f32 v[58:59], v[104:105], v[88:89], v[58:59] neg_lo:[0,0,1] neg_hi:[0,0,1]
	v_pk_fma_f32 v[62:63], v[106:107], v[90:91], v[60:61] op_sel_hi:[1,0,1]
	v_pk_mul_f32 v[64:65], v[152:153], v[64:65] op_sel_hi:[1,0]
	v_mov_b32_e32 v59, v69
	v_pk_add_f32 v[54:55], v[54:55], v[56:57]
	v_pk_fma_f32 v[60:61], v[106:107], v[90:91], v[60:61] neg_lo:[0,0,1] neg_hi:[0,0,1]
	s_wait_loadcnt 0x2
	v_pk_mul_f32 v[66:67], v[110:111], v[94:95] op_sel:[1,1] op_sel_hi:[0,1]
	v_dual_mov_b32 v56, v97 :: v_dual_mov_b32 v61, v63
	v_pk_fma_f32 v[62:63], v[108:109], v[92:93], v[64:65] op_sel_hi:[1,0,1]
	v_pk_add_f32 v[54:55], v[54:55], v[58:59]
	v_pk_fma_f32 v[64:65], v[108:109], v[92:93], v[64:65] neg_lo:[0,0,1] neg_hi:[0,0,1]
	v_pk_fma_f32 v[58:59], v[110:111], v[94:95], v[66:67] op_sel_hi:[1,0,1]
	v_pk_mul_f32 v[56:57], v[154:155], v[56:57] op_sel_hi:[1,0]
	v_mov_b32_e32 v65, v63
	v_pk_add_f32 v[54:55], v[54:55], v[60:61]
	v_pk_fma_f32 v[60:61], v[110:111], v[94:95], v[66:67] neg_lo:[0,0,1] neg_hi:[0,0,1]
	v_mov_b32_e32 v61, v59
	v_pk_fma_f32 v[58:59], v[112:113], v[96:97], v[56:57] op_sel_hi:[1,0,1]
	s_wait_loadcnt_dscnt 0x100
	v_pk_mul_f32 v[62:63], v[146:147], v[142:143] op_sel:[1,1] op_sel_hi:[0,1]
	v_pk_add_f32 v[54:55], v[54:55], v[64:65]
	v_pk_fma_f32 v[56:57], v[112:113], v[96:97], v[56:57] neg_lo:[0,0,1] neg_hi:[0,0,1]
	v_mov_b32_e32 v57, v59
	s_delay_alu instid0(VALU_DEP_4) | instskip(NEXT) | instid1(VALU_DEP_4)
	v_pk_fma_f32 v[58:59], v[146:147], v[142:143], v[62:63] op_sel_hi:[1,0,1]
	v_pk_add_f32 v[54:55], v[54:55], v[60:61]
	v_pk_fma_f32 v[60:61], v[146:147], v[142:143], v[62:63] neg_lo:[0,0,1] neg_hi:[0,0,1]
	s_delay_alu instid0(VALU_DEP_3) | instskip(NEXT) | instid1(VALU_DEP_3)
	v_mov_b32_e32 v61, v59
	v_pk_add_f32 v[54:55], v[54:55], v[56:57]
	s_delay_alu instid0(VALU_DEP_1) | instskip(SKIP_1) | instid1(VALU_DEP_1)
	v_pk_add_f32 v[54:55], v[54:55], v[60:61]
	s_wait_loadcnt 0x0
	v_pk_add_f32 v[54:55], v[144:145], v[54:55] neg_lo:[0,1] neg_hi:[0,1]
	scratch_store_b64 off, v[54:55], off offset:16
	s_wait_xcnt 0x0
	v_cmpx_lt_u32_e32 1, v0
	s_cbranch_execz .LBB89_167
; %bb.166:
	scratch_load_b64 v[54:55], off, off offset:8
	v_mov_b64_e32 v[56:57], 0
	scratch_store_b64 off, v[56:57], off offset:8
	s_wait_loadcnt 0x0
	ds_store_b64 v1, v[54:55]
.LBB89_167:
	s_wait_xcnt 0x0
	s_or_b32 exec_lo, exec_lo, s0
	s_wait_storecnt_dscnt 0x0
	s_barrier_signal -1
	s_barrier_wait -1
	s_clause 0xc
	scratch_load_b128 v[54:57], off, off offset:16
	scratch_load_b128 v[58:61], off, off offset:32
	;; [unrolled: 1-line block ×12, first 2 shown]
	scratch_load_b64 v[150:151], off, off offset:8
	ds_load_b128 v[102:105], v33 offset:352
	ds_load_b128 v[106:109], v33 offset:368
	;; [unrolled: 1-line block ×12, first 2 shown]
	v_ashrrev_i32_e32 v31, 31, v30
	v_dual_ashrrev_i32 v7, 31, v6 :: v_dual_ashrrev_i32 v9, 31, v8
	v_dual_ashrrev_i32 v11, 31, v10 :: v_dual_ashrrev_i32 v13, 31, v12
	;; [unrolled: 1-line block ×6, first 2 shown]
	s_mov_b32 s0, exec_lo
	s_wait_dscnt 0xa
	v_dual_mov_b32 v154, v109 :: v_dual_mov_b32 v153, v104
	s_wait_dscnt 0x7
	v_dual_mov_b32 v152, v105 :: v_dual_mov_b32 v159, v120
	v_dual_mov_b32 v155, v108 :: v_dual_mov_b32 v156, v117
	;; [unrolled: 1-line block ×3, first 2 shown]
	s_wait_loadcnt 0xc
	v_dual_mul_f32 v33, v110, v55 :: v_dual_mul_f32 v35, v112, v57
	v_dual_mul_f32 v37, v111, v55 :: v_dual_mul_f32 v39, v113, v57
	s_wait_loadcnt_dscnt 0xb06
	s_delay_alu instid0(VALU_DEP_2)
	v_dual_mul_f32 v41, v122, v59 :: v_dual_fmac_f32 v33, v111, v54
	v_dual_mul_f32 v43, v124, v61 :: v_dual_mul_f32 v45, v123, v59
	s_wait_loadcnt_dscnt 0x500
	v_dual_mul_f32 v57, v148, v85 :: v_dual_fma_f32 v37, v110, v54, -v37
	v_dual_mul_f32 v54, v131, v67 :: v_dual_fmac_f32 v35, v113, v56
	v_dual_add_f32 v33, 0, v33 :: v_dual_fma_f32 v39, v112, v56, -v39
	s_delay_alu instid0(VALU_DEP_3) | instskip(SKIP_2) | instid1(VALU_DEP_4)
	v_add_f32_e32 v37, 0, v37
	v_dual_mul_f32 v47, v125, v61 :: v_dual_mul_f32 v49, v126, v63
	v_dual_mul_f32 v56, v133, v69 :: v_dual_fmac_f32 v41, v123, v58
	v_dual_fma_f32 v45, v122, v58, -v45 :: v_dual_add_f32 v33, v33, v35
	s_delay_alu instid0(VALU_DEP_3) | instskip(SKIP_2) | instid1(VALU_DEP_4)
	v_dual_add_f32 v35, v37, v39 :: v_dual_fma_f32 v39, v124, v60, -v47
	v_dual_mul_f32 v162, v140, v77 :: v_dual_mul_f32 v63, v127, v63
	v_dual_mul_f32 v37, v135, v71 :: v_dual_fmac_f32 v43, v125, v60
	v_dual_add_f32 v33, v33, v41 :: v_dual_fmac_f32 v49, v127, v62
	s_delay_alu instid0(VALU_DEP_3) | instskip(SKIP_2) | instid1(VALU_DEP_3)
	v_dual_add_f32 v35, v35, v45 :: v_dual_fma_f32 v45, v126, v62, -v63
	v_dual_mul_f32 v51, v128, v65 :: v_dual_mul_f32 v53, v130, v67
	v_dual_mul_f32 v65, v129, v65 :: v_dual_mul_f32 v163, v142, v79
	v_dual_mul_f32 v41, v137, v73 :: v_dual_add_f32 v35, v35, v39
	s_delay_alu instid0(VALU_DEP_2) | instskip(NEXT) | instid1(VALU_DEP_4)
	v_dual_add_f32 v33, v33, v43 :: v_dual_fma_f32 v43, v128, v64, -v65
	v_dual_mul_f32 v39, v139, v75 :: v_dual_fmac_f32 v51, v129, v64
	s_delay_alu instid0(VALU_DEP_3) | instskip(NEXT) | instid1(VALU_DEP_3)
	v_dual_add_f32 v35, v35, v45 :: v_dual_fma_f32 v47, v130, v66, -v54
	v_dual_add_f32 v33, v33, v49 :: v_dual_fmac_f32 v53, v131, v66
	v_dual_mul_f32 v59, v132, v69 :: v_dual_mul_f32 v61, v134, v71
	s_delay_alu instid0(VALU_DEP_3) | instskip(NEXT) | instid1(VALU_DEP_3)
	v_dual_mul_f32 v45, v141, v77 :: v_dual_add_f32 v35, v35, v43
	v_dual_add_f32 v33, v33, v51 :: v_dual_fma_f32 v49, v132, v68, -v56
	s_delay_alu instid0(VALU_DEP_3) | instskip(NEXT) | instid1(VALU_DEP_2)
	v_dual_mul_f32 v43, v143, v79 :: v_dual_fmac_f32 v59, v133, v68
	v_dual_add_f32 v35, v35, v47 :: v_dual_add_f32 v33, v33, v53
	v_dual_mul_f32 v160, v136, v73 :: v_dual_mul_f32 v161, v138, v75
	v_dual_mul_f32 v47, v145, v81 :: v_dual_fmac_f32 v61, v135, v70
	s_delay_alu instid0(VALU_DEP_3) | instskip(NEXT) | instid1(VALU_DEP_3)
	v_dual_fma_f32 v37, v134, v70, -v37 :: v_dual_add_f32 v33, v33, v59
	v_dual_add_f32 v35, v35, v49 :: v_dual_fmac_f32 v160, v137, v72
	v_dual_mul_f32 v49, v147, v83 :: v_dual_fma_f32 v41, v136, v72, -v41
	s_delay_alu instid0(VALU_DEP_3) | instskip(NEXT) | instid1(VALU_DEP_3)
	v_dual_add_f32 v33, v33, v61 :: v_dual_fmac_f32 v161, v139, v74
	v_dual_add_f32 v35, v35, v37 :: v_dual_fma_f32 v39, v138, v74, -v39
	v_mul_f32_e32 v37, v149, v85
	s_delay_alu instid0(VALU_DEP_3) | instskip(NEXT) | instid1(VALU_DEP_3)
	v_dual_add_f32 v33, v33, v160 :: v_dual_mul_f32 v164, v144, v81
	v_dual_mul_f32 v55, v146, v83 :: v_dual_add_f32 v35, v35, v41
	v_dual_fmac_f32 v162, v141, v76 :: v_dual_fma_f32 v41, v140, v76, -v45
	s_delay_alu instid0(VALU_DEP_3) | instskip(SKIP_1) | instid1(VALU_DEP_3)
	v_dual_add_f32 v33, v33, v161 :: v_dual_fmac_f32 v163, v143, v78
	s_wait_loadcnt 0x4
	v_dual_add_f32 v35, v35, v39 :: v_dual_mov_b32 v60, v89
	v_fma_f32 v39, v142, v78, -v43
	s_delay_alu instid0(VALU_DEP_3) | instskip(NEXT) | instid1(VALU_DEP_3)
	v_add_f32_e32 v33, v33, v162
	v_dual_fmac_f32 v164, v145, v80 :: v_dual_add_f32 v35, v35, v41
	v_fma_f32 v41, v144, v80, -v47
	v_pk_mul_f32 v[58:59], v[102:103], v[86:87] op_sel:[1,1] op_sel_hi:[0,1]
	s_delay_alu instid0(VALU_DEP_4) | instskip(SKIP_2) | instid1(VALU_DEP_2)
	v_dual_add_f32 v33, v33, v163 :: v_dual_fmac_f32 v55, v147, v82
	s_wait_loadcnt 0x3
	v_dual_add_f32 v35, v35, v39 :: v_dual_mov_b32 v64, v93
	v_dual_fma_f32 v54, v146, v82, -v49 :: v_dual_add_f32 v67, v33, v164
	s_delay_alu instid0(VALU_DEP_2)
	v_dual_fmac_f32 v57, v149, v84 :: v_dual_add_f32 v66, v35, v41
	v_pk_fma_f32 v[68:69], v[102:103], v[86:87], v[58:59] op_sel_hi:[1,0,1]
	v_fma_f32 v56, v148, v84, -v37
	v_pk_mul_f32 v[60:61], v[152:153], v[60:61] op_sel_hi:[1,0]
	v_pk_fma_f32 v[58:59], v[102:103], v[86:87], v[58:59] neg_lo:[0,0,1] neg_hi:[0,0,1]
	v_pk_add_f32 v[54:55], v[66:67], v[54:55]
	v_pk_mul_f32 v[62:63], v[106:107], v[90:91] op_sel:[1,1] op_sel_hi:[0,1]
	v_mov_b32_e32 v59, v69
	v_pk_fma_f32 v[68:69], v[104:105], v[88:89], v[60:61] op_sel_hi:[1,0,1]
	v_pk_fma_f32 v[60:61], v[104:105], v[88:89], v[60:61] neg_lo:[0,0,1] neg_hi:[0,0,1]
	v_pk_add_f32 v[54:55], v[54:55], v[56:57]
	v_pk_fma_f32 v[56:57], v[106:107], v[90:91], v[62:63] op_sel_hi:[1,0,1]
	v_pk_mul_f32 v[64:65], v[154:155], v[64:65] op_sel_hi:[1,0]
	s_wait_loadcnt 0x2
	v_dual_mov_b32 v61, v69 :: v_dual_mov_b32 v56, v97
	v_pk_add_f32 v[54:55], v[54:55], v[58:59]
	v_pk_mul_f32 v[66:67], v[114:115], v[94:95] op_sel:[1,1] op_sel_hi:[0,1]
	v_pk_fma_f32 v[58:59], v[106:107], v[90:91], v[62:63] neg_lo:[0,0,1] neg_hi:[0,0,1]
	v_pk_fma_f32 v[62:63], v[108:109], v[92:93], v[64:65] op_sel_hi:[1,0,1]
	v_mov_b32_e32 v59, v57
	v_pk_add_f32 v[54:55], v[54:55], v[60:61]
	v_pk_fma_f32 v[60:61], v[114:115], v[94:95], v[66:67] op_sel_hi:[1,0,1]
	v_pk_mul_f32 v[56:57], v[156:157], v[56:57] op_sel_hi:[1,0]
	v_pk_fma_f32 v[64:65], v[108:109], v[92:93], v[64:65] neg_lo:[0,0,1] neg_hi:[0,0,1]
	v_mov_b32_e32 v65, v63
	v_pk_add_f32 v[54:55], v[54:55], v[58:59]
	v_pk_fma_f32 v[62:63], v[114:115], v[94:95], v[66:67] neg_lo:[0,0,1] neg_hi:[0,0,1]
	v_mov_b32_e32 v63, v61
	v_pk_fma_f32 v[60:61], v[116:117], v[96:97], v[56:57] op_sel_hi:[1,0,1]
	s_wait_loadcnt 0x1
	v_pk_mul_f32 v[58:59], v[118:119], v[98:99] op_sel:[1,1] op_sel_hi:[0,1]
	v_pk_add_f32 v[54:55], v[54:55], v[64:65]
	v_mov_b32_e32 v60, v101
	v_pk_fma_f32 v[56:57], v[116:117], v[96:97], v[56:57] neg_lo:[0,0,1] neg_hi:[0,0,1]
	v_dual_mov_b32 v57, v61 :: v_dual_ashrrev_i32 v33, 31, v32
	v_pk_fma_f32 v[64:65], v[118:119], v[98:99], v[58:59] op_sel_hi:[1,0,1]
	v_pk_add_f32 v[54:55], v[54:55], v[62:63]
	v_pk_mul_f32 v[60:61], v[158:159], v[60:61] op_sel_hi:[1,0]
	v_pk_fma_f32 v[58:59], v[118:119], v[98:99], v[58:59] neg_lo:[0,0,1] neg_hi:[0,0,1]
	s_delay_alu instid0(VALU_DEP_4) | instskip(NEXT) | instid1(VALU_DEP_4)
	v_dual_ashrrev_i32 v35, 31, v34 :: v_dual_mov_b32 v59, v65
	v_pk_add_f32 v[54:55], v[54:55], v[56:57]
	s_delay_alu instid0(VALU_DEP_4)
	v_pk_fma_f32 v[56:57], v[120:121], v[100:101], v[60:61] op_sel_hi:[1,0,1]
	v_pk_fma_f32 v[60:61], v[120:121], v[100:101], v[60:61] neg_lo:[0,0,1] neg_hi:[0,0,1]
	v_dual_ashrrev_i32 v37, 31, v36 :: v_dual_ashrrev_i32 v39, 31, v38
	v_ashrrev_i32_e32 v41, 31, v40
	v_pk_add_f32 v[54:55], v[54:55], v[58:59]
	v_dual_mov_b32 v61, v57 :: v_dual_ashrrev_i32 v43, 31, v42
	v_dual_ashrrev_i32 v45, 31, v44 :: v_dual_ashrrev_i32 v47, 31, v46
	v_ashrrev_i32_e32 v49, 31, v48
	s_delay_alu instid0(VALU_DEP_3) | instskip(SKIP_2) | instid1(VALU_DEP_2)
	v_pk_add_f32 v[54:55], v[54:55], v[60:61]
	v_dual_ashrrev_i32 v51, 31, v50 :: v_dual_ashrrev_i32 v53, 31, v52
	s_wait_loadcnt 0x0
	v_pk_add_f32 v[54:55], v[150:151], v[54:55] neg_lo:[0,1] neg_hi:[0,1]
	scratch_store_b64 off, v[54:55], off offset:8
	s_wait_xcnt 0x0
	v_cmpx_ne_u32_e32 0, v0
	s_cbranch_execz .LBB89_169
; %bb.168:
	scratch_load_b64 v[54:55], off, off
	v_mov_b64_e32 v[56:57], 0
	scratch_store_b64 off, v[56:57], off
	s_wait_loadcnt 0x0
	ds_store_b64 v1, v[54:55]
.LBB89_169:
	s_wait_xcnt 0x0
	s_or_b32 exec_lo, exec_lo, s0
	s_wait_storecnt_dscnt 0x0
	s_barrier_signal -1
	s_barrier_wait -1
	s_clause 0xd
	scratch_load_b128 v[56:59], off, off offset:8
	scratch_load_b128 v[60:63], off, off offset:24
	;; [unrolled: 1-line block ×12, first 2 shown]
	scratch_load_b64 v[0:1], off, off offset:200
	scratch_load_b64 v[152:153], off, off
	v_mov_b32_e32 v54, 0
	ds_load_2addr_b64 v[104:107], v54 offset0:43 offset1:44
	ds_load_2addr_b64 v[108:111], v54 offset0:45 offset1:46
	;; [unrolled: 1-line block ×12, first 2 shown]
	ds_load_b64 v[154:155], v54 offset:408
	s_and_b32 vcc_lo, exec_lo, s12
	s_wait_dscnt 0xc
	v_dual_mov_b32 v156, v107 :: v_dual_mov_b32 v157, v106
	s_wait_dscnt 0x9
	v_dual_mov_b32 v158, v111 :: v_dual_mov_b32 v163, v118
	v_dual_mov_b32 v159, v110 :: v_dual_mov_b32 v160, v115
	;; [unrolled: 1-line block ×3, first 2 shown]
	s_wait_loadcnt_dscnt 0xd08
	v_dual_mul_f32 v55, v120, v57 :: v_dual_mul_f32 v57, v121, v57
	s_wait_loadcnt_dscnt 0xc07
	v_dual_mul_f32 v164, v122, v59 :: v_dual_mul_f32 v166, v124, v61
	;; [unrolled: 2-line block ×3, first 2 shown]
	v_dual_mul_f32 v59, v123, v59 :: v_dual_mul_f32 v69, v133, v69
	v_dual_fmac_f32 v55, v121, v56 :: v_dual_fma_f32 v56, v120, v56, -v57
	v_dual_mul_f32 v61, v125, v61 :: v_dual_mul_f32 v57, v135, v71
	s_delay_alu instid0(VALU_DEP_3) | instskip(NEXT) | instid1(VALU_DEP_3)
	v_dual_fmac_f32 v164, v123, v58 :: v_dual_fma_f32 v58, v122, v58, -v59
	v_dual_add_f32 v55, 0, v55 :: v_dual_add_f32 v56, 0, v56
	v_dual_mul_f32 v168, v126, v63 :: v_dual_mul_f32 v169, v128, v65
	s_wait_loadcnt_dscnt 0x904
	v_dual_mul_f32 v63, v127, v63 :: v_dual_mul_f32 v59, v137, v73
	s_delay_alu instid0(VALU_DEP_3) | instskip(SKIP_1) | instid1(VALU_DEP_3)
	v_dual_fmac_f32 v166, v125, v60 :: v_dual_add_f32 v56, v56, v58
	v_fma_f32 v60, v124, v60, -v61
	v_dual_add_f32 v55, v55, v164 :: v_dual_fma_f32 v61, v126, v62, -v63
	v_dual_mul_f32 v65, v129, v65 :: v_dual_mul_f32 v67, v131, v67
	s_delay_alu instid0(VALU_DEP_3)
	v_dual_mul_f32 v58, v139, v75 :: v_dual_add_f32 v56, v56, v60
	s_wait_loadcnt_dscnt 0x803
	v_dual_fmac_f32 v168, v127, v62 :: v_dual_mul_f32 v60, v141, v77
	v_dual_add_f32 v55, v55, v166 :: v_dual_fmac_f32 v169, v129, v64
	v_fma_f32 v62, v128, v64, -v65
	v_dual_add_f32 v56, v56, v61 :: v_dual_mul_f32 v61, v143, v79
	s_delay_alu instid0(VALU_DEP_3) | instskip(SKIP_1) | instid1(VALU_DEP_3)
	v_add_f32_e32 v55, v55, v168
	v_dual_fmac_f32 v170, v131, v66 :: v_dual_fma_f32 v63, v130, v66, -v67
	v_dual_add_f32 v56, v56, v62 :: v_dual_mul_f32 v172, v134, v71
	v_mul_f32_e32 v173, v136, v73
	s_delay_alu instid0(VALU_DEP_4)
	v_add_f32_e32 v55, v55, v169
	s_wait_loadcnt_dscnt 0x702
	v_dual_mul_f32 v62, v145, v81 :: v_dual_fma_f32 v64, v132, v68, -v69
	v_dual_fmac_f32 v171, v133, v68 :: v_dual_add_f32 v56, v56, v63
	v_fmac_f32_e32 v172, v135, v70
	v_add_f32_e32 v55, v55, v170
	v_dual_mul_f32 v63, v147, v83 :: v_dual_fma_f32 v57, v134, v70, -v57
	s_delay_alu instid0(VALU_DEP_4) | instskip(NEXT) | instid1(VALU_DEP_3)
	v_dual_add_f32 v56, v56, v64 :: v_dual_mul_f32 v174, v138, v75
	v_dual_mul_f32 v175, v140, v77 :: v_dual_add_f32 v55, v55, v171
	s_wait_loadcnt_dscnt 0x601
	v_dual_mul_f32 v64, v149, v85 :: v_dual_fma_f32 v59, v136, v72, -v59
	s_delay_alu instid0(VALU_DEP_3) | instskip(NEXT) | instid1(VALU_DEP_3)
	v_dual_fmac_f32 v173, v137, v72 :: v_dual_add_f32 v56, v56, v57
	v_dual_add_f32 v55, v55, v172 :: v_dual_fma_f32 v58, v138, v74, -v58
	v_dual_fmac_f32 v174, v139, v74 :: v_dual_mul_f32 v176, v142, v79
	v_mul_f32_e32 v177, v144, v81
	s_delay_alu instid0(VALU_DEP_3) | instskip(SKIP_3) | instid1(VALU_DEP_4)
	v_dual_add_f32 v55, v55, v173 :: v_dual_fmac_f32 v175, v141, v76
	v_add_f32_e32 v56, v56, v59
	v_fma_f32 v59, v140, v76, -v60
	v_dual_fmac_f32 v176, v143, v78 :: v_dual_fma_f32 v60, v142, v78, -v61
	v_add_f32_e32 v55, v55, v174
	s_wait_loadcnt 0x5
	v_dual_add_f32 v58, v56, v58 :: v_dual_mov_b32 v56, v91
	v_dual_mul_f32 v178, v146, v83 :: v_dual_mul_f32 v179, v148, v85
	s_delay_alu instid0(VALU_DEP_3) | instskip(NEXT) | instid1(VALU_DEP_3)
	v_dual_add_f32 v55, v55, v175 :: v_dual_fmac_f32 v177, v145, v80
	v_dual_add_f32 v61, v58, v59 :: v_dual_fma_f32 v62, v144, v80, -v62
	s_delay_alu instid0(VALU_DEP_3) | instskip(NEXT) | instid1(VALU_DEP_3)
	v_dual_fmac_f32 v178, v147, v82 :: v_dual_fmac_f32 v179, v149, v84
	v_dual_add_f32 v55, v55, v176 :: v_dual_fma_f32 v65, v146, v82, -v63
	s_wait_loadcnt 0x4
	s_delay_alu instid0(VALU_DEP_3) | instskip(SKIP_1) | instid1(VALU_DEP_2)
	v_dual_add_f32 v61, v61, v60 :: v_dual_mov_b32 v60, v95
	v_dual_mul_f32 v165, v150, v87 :: v_dual_mul_f32 v167, v104, v89
	v_dual_add_f32 v55, v55, v177 :: v_dual_add_f32 v61, v61, v62
	v_dual_mul_f32 v57, v151, v87 :: v_dual_mul_f32 v67, v105, v89
	s_delay_alu instid0(VALU_DEP_2) | instskip(NEXT) | instid1(VALU_DEP_3)
	v_dual_fma_f32 v64, v148, v84, -v64 :: v_dual_add_f32 v55, v55, v178
	v_dual_add_f32 v61, v61, v65 :: v_dual_fmac_f32 v165, v151, v86
	v_pk_mul_f32 v[58:59], v[108:109], v[92:93] op_sel:[1,1] op_sel_hi:[0,1]
	s_delay_alu instid0(VALU_DEP_3)
	v_dual_fma_f32 v164, v150, v86, -v57 :: v_dual_add_f32 v65, v55, v179
	v_pk_mul_f32 v[56:57], v[156:157], v[56:57] op_sel_hi:[1,0]
	s_wait_loadcnt 0x3
	v_dual_add_f32 v64, v61, v64 :: v_dual_mov_b32 v66, v99
	v_pk_fma_f32 v[70:71], v[108:109], v[92:93], v[58:59] op_sel_hi:[1,0,1]
	v_fmac_f32_e32 v167, v105, v88
	v_pk_fma_f32 v[68:69], v[106:107], v[90:91], v[56:57] op_sel_hi:[1,0,1]
	v_fma_f32 v166, v104, v88, -v67
	v_pk_add_f32 v[64:65], v[64:65], v[164:165]
	v_pk_fma_f32 v[56:57], v[106:107], v[90:91], v[56:57] neg_lo:[0,0,1] neg_hi:[0,0,1]
	v_pk_fma_f32 v[58:59], v[108:109], v[92:93], v[58:59] neg_lo:[0,0,1] neg_hi:[0,0,1]
	v_pk_mul_f32 v[60:61], v[158:159], v[60:61] op_sel_hi:[1,0]
	v_dual_mov_b32 v57, v69 :: v_dual_mov_b32 v59, v71
	v_pk_add_f32 v[64:65], v[64:65], v[166:167]
	v_pk_mul_f32 v[62:63], v[112:113], v[96:97] op_sel:[1,1] op_sel_hi:[0,1]
	s_delay_alu instid0(VALU_DEP_4)
	v_pk_fma_f32 v[70:71], v[110:111], v[94:95], v[60:61] op_sel_hi:[1,0,1]
	v_pk_fma_f32 v[60:61], v[110:111], v[94:95], v[60:61] neg_lo:[0,0,1] neg_hi:[0,0,1]
	v_pk_mul_f32 v[66:67], v[160:161], v[66:67] op_sel_hi:[1,0]
	v_pk_add_f32 v[56:57], v[64:65], v[56:57]
	v_pk_fma_f32 v[64:65], v[112:113], v[96:97], v[62:63] op_sel_hi:[1,0,1]
	v_mov_b32_e32 v61, v71
	v_pk_fma_f32 v[62:63], v[112:113], v[96:97], v[62:63] neg_lo:[0,0,1] neg_hi:[0,0,1]
	s_wait_loadcnt 0x2
	v_pk_mul_f32 v[68:69], v[116:117], v[100:101] op_sel:[1,1] op_sel_hi:[0,1]
	v_pk_add_f32 v[56:57], v[56:57], v[58:59]
	v_dual_mov_b32 v58, v103 :: v_dual_mov_b32 v63, v65
	v_pk_fma_f32 v[64:65], v[114:115], v[98:99], v[66:67] op_sel_hi:[1,0,1]
	v_pk_fma_f32 v[66:67], v[114:115], v[98:99], v[66:67] neg_lo:[0,0,1] neg_hi:[0,0,1]
	s_delay_alu instid0(VALU_DEP_4)
	v_pk_add_f32 v[56:57], v[56:57], v[60:61]
	v_pk_fma_f32 v[60:61], v[116:117], v[100:101], v[68:69] op_sel_hi:[1,0,1]
	v_pk_mul_f32 v[58:59], v[162:163], v[58:59] op_sel_hi:[1,0]
	v_mov_b32_e32 v67, v65
	v_pk_fma_f32 v[64:65], v[116:117], v[100:101], v[68:69] neg_lo:[0,0,1] neg_hi:[0,0,1]
	v_pk_add_f32 v[56:57], v[56:57], v[62:63]
	s_wait_loadcnt_dscnt 0x100
	v_pk_mul_f32 v[62:63], v[154:155], v[0:1] op_sel:[1,1] op_sel_hi:[0,1]
	v_mov_b32_e32 v65, v61
	v_pk_fma_f32 v[60:61], v[118:119], v[102:103], v[58:59] op_sel_hi:[1,0,1]
	v_pk_fma_f32 v[58:59], v[118:119], v[102:103], v[58:59] neg_lo:[0,0,1] neg_hi:[0,0,1]
	v_pk_add_f32 v[56:57], v[56:57], v[66:67]
	v_pk_fma_f32 v[66:67], v[154:155], v[0:1], v[62:63] op_sel_hi:[1,0,1]
	v_pk_fma_f32 v[0:1], v[154:155], v[0:1], v[62:63] neg_lo:[0,0,1] neg_hi:[0,0,1]
	v_mov_b32_e32 v59, v61
	s_delay_alu instid0(VALU_DEP_4) | instskip(NEXT) | instid1(VALU_DEP_4)
	v_pk_add_f32 v[56:57], v[56:57], v[64:65]
	v_mov_b32_e32 v1, v67
	s_delay_alu instid0(VALU_DEP_2) | instskip(NEXT) | instid1(VALU_DEP_1)
	v_pk_add_f32 v[56:57], v[56:57], v[58:59]
	v_pk_add_f32 v[0:1], v[56:57], v[0:1]
	s_wait_loadcnt 0x0
	s_delay_alu instid0(VALU_DEP_1)
	v_pk_add_f32 v[0:1], v[152:153], v[0:1] neg_lo:[0,1] neg_hi:[0,1]
	scratch_store_b64 off, v[0:1], off
	s_cbranch_vccz .LBB89_220
; %bb.170:
	global_load_b32 v0, v54, s[8:9] offset:96
	s_wait_loadcnt 0x0
	v_cmp_ne_u32_e32 vcc_lo, 25, v0
	s_cbranch_vccz .LBB89_172
; %bb.171:
	v_lshlrev_b32_e32 v0, 3, v0
	s_delay_alu instid0(VALU_DEP_1)
	v_mov_b32_e32 v56, v0
	scratch_load_b64 v[0:1], v56, off offset:-8
	scratch_load_b64 v[54:55], off, off offset:192
	s_wait_loadcnt 0x1
	scratch_store_b64 off, v[0:1], off offset:192
	s_wait_loadcnt 0x0
	scratch_store_b64 v56, v[54:55], off offset:-8
.LBB89_172:
	s_wait_xcnt 0x1
	v_mov_b32_e32 v0, 0
	global_load_b32 v1, v0, s[8:9] offset:92
	s_wait_loadcnt 0x0
	v_cmp_eq_u32_e32 vcc_lo, 24, v1
	s_cbranch_vccnz .LBB89_174
; %bb.173:
	v_lshlrev_b32_e32 v1, 3, v1
	scratch_load_b64 v[54:55], v1, off offset:-8
	scratch_load_b64 v[56:57], off, off offset:184
	s_wait_loadcnt 0x1
	scratch_store_b64 off, v[54:55], off offset:184
	s_wait_loadcnt 0x0
	scratch_store_b64 v1, v[56:57], off offset:-8
.LBB89_174:
	global_load_b32 v0, v0, s[8:9] offset:88
	s_wait_loadcnt 0x0
	v_cmp_eq_u32_e32 vcc_lo, 23, v0
	s_cbranch_vccnz .LBB89_176
; %bb.175:
	s_wait_xcnt 0x0
	v_lshlrev_b32_e32 v0, 3, v0
	s_delay_alu instid0(VALU_DEP_1)
	v_mov_b32_e32 v56, v0
	scratch_load_b64 v[0:1], v56, off offset:-8
	scratch_load_b64 v[54:55], off, off offset:176
	s_wait_loadcnt 0x1
	scratch_store_b64 off, v[0:1], off offset:176
	s_wait_loadcnt 0x0
	scratch_store_b64 v56, v[54:55], off offset:-8
.LBB89_176:
	s_wait_xcnt 0x0
	v_mov_b32_e32 v0, 0
	global_load_b32 v1, v0, s[8:9] offset:84
	s_wait_loadcnt 0x0
	v_cmp_eq_u32_e32 vcc_lo, 22, v1
	s_cbranch_vccnz .LBB89_178
; %bb.177:
	v_lshlrev_b32_e32 v1, 3, v1
	scratch_load_b64 v[54:55], v1, off offset:-8
	scratch_load_b64 v[56:57], off, off offset:168
	s_wait_loadcnt 0x1
	scratch_store_b64 off, v[54:55], off offset:168
	s_wait_loadcnt 0x0
	scratch_store_b64 v1, v[56:57], off offset:-8
.LBB89_178:
	global_load_b32 v0, v0, s[8:9] offset:80
	s_wait_loadcnt 0x0
	v_cmp_eq_u32_e32 vcc_lo, 21, v0
	s_cbranch_vccnz .LBB89_180
; %bb.179:
	s_wait_xcnt 0x0
	v_lshlrev_b32_e32 v0, 3, v0
	s_delay_alu instid0(VALU_DEP_1)
	v_mov_b32_e32 v56, v0
	scratch_load_b64 v[0:1], v56, off offset:-8
	scratch_load_b64 v[54:55], off, off offset:160
	s_wait_loadcnt 0x1
	scratch_store_b64 off, v[0:1], off offset:160
	s_wait_loadcnt 0x0
	scratch_store_b64 v56, v[54:55], off offset:-8
.LBB89_180:
	;; [unrolled: 31-line block ×11, first 2 shown]
	s_wait_xcnt 0x0
	v_mov_b32_e32 v0, 0
	global_load_b32 v1, v0, s[8:9] offset:4
	s_wait_loadcnt 0x0
	v_cmp_eq_u32_e32 vcc_lo, 2, v1
	s_cbranch_vccnz .LBB89_218
; %bb.217:
	v_lshlrev_b32_e32 v1, 3, v1
	scratch_load_b64 v[54:55], v1, off offset:-8
	scratch_load_b64 v[56:57], off, off offset:8
	s_wait_loadcnt 0x1
	scratch_store_b64 off, v[54:55], off offset:8
	s_wait_loadcnt 0x0
	scratch_store_b64 v1, v[56:57], off offset:-8
.LBB89_218:
	global_load_b32 v54, v0, s[8:9]
	scratch_load_b64 v[0:1], off, off
	s_wait_loadcnt 0x1
	v_cmp_eq_u32_e32 vcc_lo, 1, v54
	s_cbranch_vccnz .LBB89_220
; %bb.219:
	v_lshlrev_b32_e32 v54, 3, v54
	s_delay_alu instid0(VALU_DEP_1)
	v_mov_b32_e32 v56, v54
	scratch_load_b64 v[54:55], v56, off offset:-8
	s_wait_loadcnt 0x0
	scratch_store_b64 off, v[54:55], off
	scratch_store_b64 v56, v[0:1], off offset:-8
	scratch_load_b64 v[0:1], off, off
.LBB89_220:
	s_wait_loadcnt 0x0
	flat_store_b64 v[2:3], v[0:1]
	scratch_load_b64 v[0:1], off, off offset:8
	v_lshl_add_u64 v[76:77], v[6:7], 3, s[2:3]
	v_lshl_add_u64 v[74:75], v[8:9], 3, s[2:3]
	;; [unrolled: 1-line block ×24, first 2 shown]
	s_wait_loadcnt 0x0
	flat_store_b64 v[4:5], v[0:1]
	scratch_load_b64 v[0:1], off, off offset:16
	s_wait_loadcnt 0x0
	flat_store_b64 v[76:77], v[0:1]
	scratch_load_b64 v[0:1], off, off offset:24
	;; [unrolled: 3-line block ×24, first 2 shown]
	s_wait_loadcnt 0x0
	flat_store_b64 v[6:7], v[0:1]
	s_sendmsg sendmsg(MSG_DEALLOC_VGPRS)
	s_endpgm
	.section	.rodata,"a",@progbits
	.p2align	6, 0x0
	.amdhsa_kernel _ZN9rocsolver6v33100L18getri_kernel_smallILi26E19rocblas_complex_numIfEPKPS3_EEvT1_iilPiilS8_bb
		.amdhsa_group_segment_fixed_size 420
		.amdhsa_private_segment_fixed_size 224
		.amdhsa_kernarg_size 60
		.amdhsa_user_sgpr_count 2
		.amdhsa_user_sgpr_dispatch_ptr 0
		.amdhsa_user_sgpr_queue_ptr 0
		.amdhsa_user_sgpr_kernarg_segment_ptr 1
		.amdhsa_user_sgpr_dispatch_id 0
		.amdhsa_user_sgpr_kernarg_preload_length 0
		.amdhsa_user_sgpr_kernarg_preload_offset 0
		.amdhsa_user_sgpr_private_segment_size 0
		.amdhsa_wavefront_size32 1
		.amdhsa_uses_dynamic_stack 0
		.amdhsa_enable_private_segment 1
		.amdhsa_system_sgpr_workgroup_id_x 1
		.amdhsa_system_sgpr_workgroup_id_y 0
		.amdhsa_system_sgpr_workgroup_id_z 0
		.amdhsa_system_sgpr_workgroup_info 0
		.amdhsa_system_vgpr_workitem_id 0
		.amdhsa_next_free_vgpr 180
		.amdhsa_next_free_sgpr 19
		.amdhsa_named_barrier_count 0
		.amdhsa_reserve_vcc 1
		.amdhsa_float_round_mode_32 0
		.amdhsa_float_round_mode_16_64 0
		.amdhsa_float_denorm_mode_32 3
		.amdhsa_float_denorm_mode_16_64 3
		.amdhsa_fp16_overflow 0
		.amdhsa_memory_ordered 1
		.amdhsa_forward_progress 1
		.amdhsa_inst_pref_size 255
		.amdhsa_round_robin_scheduling 0
		.amdhsa_exception_fp_ieee_invalid_op 0
		.amdhsa_exception_fp_denorm_src 0
		.amdhsa_exception_fp_ieee_div_zero 0
		.amdhsa_exception_fp_ieee_overflow 0
		.amdhsa_exception_fp_ieee_underflow 0
		.amdhsa_exception_fp_ieee_inexact 0
		.amdhsa_exception_int_div_zero 0
	.end_amdhsa_kernel
	.section	.text._ZN9rocsolver6v33100L18getri_kernel_smallILi26E19rocblas_complex_numIfEPKPS3_EEvT1_iilPiilS8_bb,"axG",@progbits,_ZN9rocsolver6v33100L18getri_kernel_smallILi26E19rocblas_complex_numIfEPKPS3_EEvT1_iilPiilS8_bb,comdat
.Lfunc_end89:
	.size	_ZN9rocsolver6v33100L18getri_kernel_smallILi26E19rocblas_complex_numIfEPKPS3_EEvT1_iilPiilS8_bb, .Lfunc_end89-_ZN9rocsolver6v33100L18getri_kernel_smallILi26E19rocblas_complex_numIfEPKPS3_EEvT1_iilPiilS8_bb
                                        ; -- End function
	.set _ZN9rocsolver6v33100L18getri_kernel_smallILi26E19rocblas_complex_numIfEPKPS3_EEvT1_iilPiilS8_bb.num_vgpr, 180
	.set _ZN9rocsolver6v33100L18getri_kernel_smallILi26E19rocblas_complex_numIfEPKPS3_EEvT1_iilPiilS8_bb.num_agpr, 0
	.set _ZN9rocsolver6v33100L18getri_kernel_smallILi26E19rocblas_complex_numIfEPKPS3_EEvT1_iilPiilS8_bb.numbered_sgpr, 19
	.set _ZN9rocsolver6v33100L18getri_kernel_smallILi26E19rocblas_complex_numIfEPKPS3_EEvT1_iilPiilS8_bb.num_named_barrier, 0
	.set _ZN9rocsolver6v33100L18getri_kernel_smallILi26E19rocblas_complex_numIfEPKPS3_EEvT1_iilPiilS8_bb.private_seg_size, 224
	.set _ZN9rocsolver6v33100L18getri_kernel_smallILi26E19rocblas_complex_numIfEPKPS3_EEvT1_iilPiilS8_bb.uses_vcc, 1
	.set _ZN9rocsolver6v33100L18getri_kernel_smallILi26E19rocblas_complex_numIfEPKPS3_EEvT1_iilPiilS8_bb.uses_flat_scratch, 1
	.set _ZN9rocsolver6v33100L18getri_kernel_smallILi26E19rocblas_complex_numIfEPKPS3_EEvT1_iilPiilS8_bb.has_dyn_sized_stack, 0
	.set _ZN9rocsolver6v33100L18getri_kernel_smallILi26E19rocblas_complex_numIfEPKPS3_EEvT1_iilPiilS8_bb.has_recursion, 0
	.set _ZN9rocsolver6v33100L18getri_kernel_smallILi26E19rocblas_complex_numIfEPKPS3_EEvT1_iilPiilS8_bb.has_indirect_call, 0
	.section	.AMDGPU.csdata,"",@progbits
; Kernel info:
; codeLenInByte = 32748
; TotalNumSgprs: 21
; NumVgprs: 180
; ScratchSize: 224
; MemoryBound: 0
; FloatMode: 240
; IeeeMode: 1
; LDSByteSize: 420 bytes/workgroup (compile time only)
; SGPRBlocks: 0
; VGPRBlocks: 11
; NumSGPRsForWavesPerEU: 21
; NumVGPRsForWavesPerEU: 180
; NamedBarCnt: 0
; Occupancy: 5
; WaveLimiterHint : 1
; COMPUTE_PGM_RSRC2:SCRATCH_EN: 1
; COMPUTE_PGM_RSRC2:USER_SGPR: 2
; COMPUTE_PGM_RSRC2:TRAP_HANDLER: 0
; COMPUTE_PGM_RSRC2:TGID_X_EN: 1
; COMPUTE_PGM_RSRC2:TGID_Y_EN: 0
; COMPUTE_PGM_RSRC2:TGID_Z_EN: 0
; COMPUTE_PGM_RSRC2:TIDIG_COMP_CNT: 0
	.section	.text._ZN9rocsolver6v33100L18getri_kernel_smallILi27E19rocblas_complex_numIfEPKPS3_EEvT1_iilPiilS8_bb,"axG",@progbits,_ZN9rocsolver6v33100L18getri_kernel_smallILi27E19rocblas_complex_numIfEPKPS3_EEvT1_iilPiilS8_bb,comdat
	.globl	_ZN9rocsolver6v33100L18getri_kernel_smallILi27E19rocblas_complex_numIfEPKPS3_EEvT1_iilPiilS8_bb ; -- Begin function _ZN9rocsolver6v33100L18getri_kernel_smallILi27E19rocblas_complex_numIfEPKPS3_EEvT1_iilPiilS8_bb
	.p2align	8
	.type	_ZN9rocsolver6v33100L18getri_kernel_smallILi27E19rocblas_complex_numIfEPKPS3_EEvT1_iilPiilS8_bb,@function
_ZN9rocsolver6v33100L18getri_kernel_smallILi27E19rocblas_complex_numIfEPKPS3_EEvT1_iilPiilS8_bb: ; @_ZN9rocsolver6v33100L18getri_kernel_smallILi27E19rocblas_complex_numIfEPKPS3_EEvT1_iilPiilS8_bb
; %bb.0:
	s_mov_b32 s2, exec_lo
	v_cmpx_gt_u32_e32 27, v0
	s_cbranch_execz .LBB90_122
; %bb.1:
	s_clause 0x1
	s_load_b32 s13, s[0:1], 0x38
	s_load_b64 s[2:3], s[0:1], 0x0
	s_getreg_b32 s6, hwreg(HW_REG_IB_STS2, 6, 4)
	s_wait_kmcnt 0x0
	s_bitcmp1_b32 s13, 8
	s_cselect_b32 s12, -1, 0
	s_bfe_u32 s4, ttmp6, 0x4000c
	s_and_b32 s5, ttmp6, 15
	s_add_co_i32 s4, s4, 1
	s_delay_alu instid0(SALU_CYCLE_1) | instskip(NEXT) | instid1(SALU_CYCLE_1)
	s_mul_i32 s4, ttmp9, s4
	s_add_co_i32 s5, s5, s4
	s_cmp_eq_u32 s6, 0
	s_cselect_b32 s10, ttmp9, s5
	s_load_b128 s[4:7], s[0:1], 0x28
	s_ashr_i32 s11, s10, 31
	s_delay_alu instid0(SALU_CYCLE_1) | instskip(NEXT) | instid1(SALU_CYCLE_1)
	s_lshl_b64 s[8:9], s[10:11], 3
	s_add_nc_u64 s[2:3], s[2:3], s[8:9]
	s_bfe_u32 s8, s13, 0x10008
	s_load_b64 s[2:3], s[2:3], 0x0
	s_cmp_eq_u32 s8, 0
                                        ; implicit-def: $sgpr8_sgpr9
	s_cbranch_scc1 .LBB90_3
; %bb.2:
	s_load_b96 s[16:18], s[0:1], 0x18
	s_wait_kmcnt 0x0
	s_mul_u64 s[4:5], s[4:5], s[10:11]
	s_delay_alu instid0(SALU_CYCLE_1) | instskip(SKIP_4) | instid1(SALU_CYCLE_1)
	s_lshl_b64 s[4:5], s[4:5], 2
	s_ashr_i32 s9, s18, 31
	s_mov_b32 s8, s18
	s_add_nc_u64 s[4:5], s[16:17], s[4:5]
	s_lshl_b64 s[8:9], s[8:9], 2
	s_add_nc_u64 s[8:9], s[4:5], s[8:9]
.LBB90_3:
	s_wait_kmcnt 0x0
	s_clause 0x1
	s_load_b64 s[4:5], s[0:1], 0x8
	s_load_b32 s13, s[0:1], 0x38
	v_dual_mov_b32 v57, 0 :: v_dual_lshlrev_b32 v56, 3, v0
	s_wait_kmcnt 0x0
	s_ashr_i32 s1, s4, 31
	s_mov_b32 s0, s4
	s_delay_alu instid0(SALU_CYCLE_1) | instskip(NEXT) | instid1(SALU_CYCLE_1)
	s_lshl_b64 s[0:1], s[0:1], 3
	s_add_nc_u64 s[2:3], s[2:3], s[0:1]
	s_ashr_i32 s1, s5, 31
	flat_load_b64 v[6:7], v0, s[2:3] scale_offset
	v_add_nc_u64_e32 v[2:3], s[2:3], v[56:57]
	s_mov_b32 s0, s5
	s_bitcmp0_b32 s13, 0
	s_delay_alu instid0(VALU_DEP_1)
	v_lshl_add_u64 v[4:5], s[0:1], 3, v[2:3]
	s_mov_b32 s1, -1
	s_wait_loadcnt_dscnt 0x0
	scratch_store_b64 off, v[6:7], off
	flat_load_b64 v[8:9], v[4:5]
	s_wait_xcnt 0x1
	v_add3_u32 v6, s5, s5, v0
	s_wait_loadcnt_dscnt 0x0
	scratch_store_b64 off, v[8:9], off offset:8
	flat_load_b64 v[10:11], v6, s[2:3] scale_offset
	s_wait_xcnt 0x1
	v_add_nc_u32_e32 v8, s5, v6
	s_wait_loadcnt_dscnt 0x0
	scratch_store_b64 off, v[10:11], off offset:16
	flat_load_b64 v[12:13], v8, s[2:3] scale_offset
	s_wait_xcnt 0x1
	v_add_nc_u32_e32 v10, s5, v8
	s_wait_loadcnt_dscnt 0x0
	scratch_store_b64 off, v[12:13], off offset:24
	flat_load_b64 v[14:15], v10, s[2:3] scale_offset
	s_wait_xcnt 0x1
	v_add_nc_u32_e32 v12, s5, v10
	s_wait_loadcnt_dscnt 0x0
	scratch_store_b64 off, v[14:15], off offset:32
	flat_load_b64 v[16:17], v12, s[2:3] scale_offset
	s_wait_xcnt 0x1
	v_add_nc_u32_e32 v14, s5, v12
	s_wait_loadcnt_dscnt 0x0
	scratch_store_b64 off, v[16:17], off offset:40
	flat_load_b64 v[18:19], v14, s[2:3] scale_offset
	s_wait_xcnt 0x1
	v_add_nc_u32_e32 v16, s5, v14
	s_wait_loadcnt_dscnt 0x0
	scratch_store_b64 off, v[18:19], off offset:48
	flat_load_b64 v[20:21], v16, s[2:3] scale_offset
	s_wait_xcnt 0x1
	v_add_nc_u32_e32 v18, s5, v16
	s_wait_loadcnt_dscnt 0x0
	scratch_store_b64 off, v[20:21], off offset:56
	flat_load_b64 v[22:23], v18, s[2:3] scale_offset
	s_wait_xcnt 0x1
	v_add_nc_u32_e32 v20, s5, v18
	s_wait_loadcnt_dscnt 0x0
	scratch_store_b64 off, v[22:23], off offset:64
	flat_load_b64 v[24:25], v20, s[2:3] scale_offset
	s_wait_xcnt 0x1
	v_add_nc_u32_e32 v22, s5, v20
	s_wait_loadcnt_dscnt 0x0
	scratch_store_b64 off, v[24:25], off offset:72
	flat_load_b64 v[26:27], v22, s[2:3] scale_offset
	s_wait_xcnt 0x1
	v_add_nc_u32_e32 v24, s5, v22
	s_wait_loadcnt_dscnt 0x0
	scratch_store_b64 off, v[26:27], off offset:80
	flat_load_b64 v[28:29], v24, s[2:3] scale_offset
	s_wait_xcnt 0x1
	v_add_nc_u32_e32 v26, s5, v24
	s_wait_loadcnt_dscnt 0x0
	scratch_store_b64 off, v[28:29], off offset:88
	flat_load_b64 v[30:31], v26, s[2:3] scale_offset
	s_wait_xcnt 0x1
	v_add_nc_u32_e32 v28, s5, v26
	s_wait_loadcnt_dscnt 0x0
	scratch_store_b64 off, v[30:31], off offset:96
	flat_load_b64 v[32:33], v28, s[2:3] scale_offset
	s_wait_xcnt 0x1
	v_add_nc_u32_e32 v30, s5, v28
	s_wait_loadcnt_dscnt 0x0
	scratch_store_b64 off, v[32:33], off offset:104
	flat_load_b64 v[34:35], v30, s[2:3] scale_offset
	s_wait_xcnt 0x1
	v_add_nc_u32_e32 v32, s5, v30
	s_wait_loadcnt_dscnt 0x0
	scratch_store_b64 off, v[34:35], off offset:112
	flat_load_b64 v[36:37], v32, s[2:3] scale_offset
	s_wait_xcnt 0x1
	v_add_nc_u32_e32 v34, s5, v32
	s_wait_loadcnt_dscnt 0x0
	scratch_store_b64 off, v[36:37], off offset:120
	flat_load_b64 v[38:39], v34, s[2:3] scale_offset
	s_wait_xcnt 0x1
	v_add_nc_u32_e32 v36, s5, v34
	s_wait_loadcnt_dscnt 0x0
	scratch_store_b64 off, v[38:39], off offset:128
	flat_load_b64 v[40:41], v36, s[2:3] scale_offset
	s_wait_xcnt 0x1
	v_add_nc_u32_e32 v38, s5, v36
	s_wait_loadcnt_dscnt 0x0
	scratch_store_b64 off, v[40:41], off offset:136
	flat_load_b64 v[42:43], v38, s[2:3] scale_offset
	s_wait_xcnt 0x1
	v_add_nc_u32_e32 v40, s5, v38
	s_wait_loadcnt_dscnt 0x0
	scratch_store_b64 off, v[42:43], off offset:144
	flat_load_b64 v[44:45], v40, s[2:3] scale_offset
	s_wait_xcnt 0x1
	v_add_nc_u32_e32 v42, s5, v40
	s_wait_loadcnt_dscnt 0x0
	scratch_store_b64 off, v[44:45], off offset:152
	flat_load_b64 v[46:47], v42, s[2:3] scale_offset
	s_wait_xcnt 0x1
	v_add_nc_u32_e32 v44, s5, v42
	s_wait_loadcnt_dscnt 0x0
	scratch_store_b64 off, v[46:47], off offset:160
	flat_load_b64 v[48:49], v44, s[2:3] scale_offset
	s_wait_xcnt 0x1
	v_add_nc_u32_e32 v46, s5, v44
	s_wait_loadcnt_dscnt 0x0
	scratch_store_b64 off, v[48:49], off offset:168
	flat_load_b64 v[50:51], v46, s[2:3] scale_offset
	s_wait_xcnt 0x1
	v_add_nc_u32_e32 v48, s5, v46
	s_wait_loadcnt_dscnt 0x0
	scratch_store_b64 off, v[50:51], off offset:176
	flat_load_b64 v[52:53], v48, s[2:3] scale_offset
	s_wait_xcnt 0x1
	v_add_nc_u32_e32 v50, s5, v48
	s_wait_loadcnt_dscnt 0x0
	scratch_store_b64 off, v[52:53], off offset:184
	flat_load_b64 v[54:55], v50, s[2:3] scale_offset
	s_wait_xcnt 0x1
	v_add_nc_u32_e32 v52, s5, v50
	s_wait_loadcnt_dscnt 0x0
	scratch_store_b64 off, v[54:55], off offset:192
	flat_load_b64 v[58:59], v52, s[2:3] scale_offset
	s_wait_xcnt 0x1
	v_add_nc_u32_e32 v54, s5, v52
	s_wait_loadcnt_dscnt 0x0
	scratch_store_b64 off, v[58:59], off offset:200
	flat_load_b64 v[58:59], v54, s[2:3] scale_offset
	s_wait_loadcnt_dscnt 0x0
	scratch_store_b64 off, v[58:59], off offset:208
	s_cbranch_scc1 .LBB90_120
; %bb.4:
	v_cmp_eq_u32_e64 s0, 0, v0
	s_wait_xcnt 0x0
	s_and_saveexec_b32 s1, s0
; %bb.5:
	v_mov_b32_e32 v1, 0
	ds_store_b32 v1, v1 offset:216
; %bb.6:
	s_or_b32 exec_lo, exec_lo, s1
	s_wait_storecnt_dscnt 0x0
	s_barrier_signal -1
	s_barrier_wait -1
	scratch_load_b64 v[58:59], v0, off scale_offset
	s_wait_loadcnt 0x0
	v_cmp_eq_f32_e32 vcc_lo, 0, v58
	v_cmp_eq_f32_e64 s1, 0, v59
	s_and_b32 s1, vcc_lo, s1
	s_delay_alu instid0(SALU_CYCLE_1)
	s_and_saveexec_b32 s4, s1
	s_cbranch_execz .LBB90_10
; %bb.7:
	v_mov_b32_e32 v1, 0
	s_mov_b32 s5, 0
	ds_load_b32 v7, v1 offset:216
	s_wait_dscnt 0x0
	v_readfirstlane_b32 s1, v7
	v_add_nc_u32_e32 v7, 1, v0
	s_cmp_eq_u32 s1, 0
	s_delay_alu instid0(VALU_DEP_1) | instskip(SKIP_1) | instid1(SALU_CYCLE_1)
	v_cmp_gt_i32_e32 vcc_lo, s1, v7
	s_cselect_b32 s13, -1, 0
	s_or_b32 s13, s13, vcc_lo
	s_delay_alu instid0(SALU_CYCLE_1)
	s_and_b32 exec_lo, exec_lo, s13
	s_cbranch_execz .LBB90_10
; %bb.8:
	v_mov_b32_e32 v9, s1
.LBB90_9:                               ; =>This Inner Loop Header: Depth=1
	ds_cmpstore_rtn_b32 v9, v1, v7, v9 offset:216
	s_wait_dscnt 0x0
	v_cmp_ne_u32_e32 vcc_lo, 0, v9
	v_cmp_le_i32_e64 s1, v9, v7
	s_and_b32 s1, vcc_lo, s1
	s_delay_alu instid0(SALU_CYCLE_1) | instskip(NEXT) | instid1(SALU_CYCLE_1)
	s_and_b32 s1, exec_lo, s1
	s_or_b32 s5, s1, s5
	s_delay_alu instid0(SALU_CYCLE_1)
	s_and_not1_b32 exec_lo, exec_lo, s5
	s_cbranch_execnz .LBB90_9
.LBB90_10:
	s_or_b32 exec_lo, exec_lo, s4
	v_mov_b32_e32 v1, 0
	s_barrier_signal -1
	s_barrier_wait -1
	ds_load_b32 v7, v1 offset:216
	s_and_saveexec_b32 s1, s0
	s_cbranch_execz .LBB90_12
; %bb.11:
	s_lshl_b64 s[4:5], s[10:11], 2
	s_delay_alu instid0(SALU_CYCLE_1)
	s_add_nc_u64 s[4:5], s[6:7], s[4:5]
	s_wait_dscnt 0x0
	global_store_b32 v1, v7, s[4:5]
.LBB90_12:
	s_wait_xcnt 0x0
	s_or_b32 exec_lo, exec_lo, s1
	s_wait_dscnt 0x0
	v_cmp_ne_u32_e32 vcc_lo, 0, v7
	s_mov_b32 s1, 0
	s_cbranch_vccnz .LBB90_120
; %bb.13:
	v_lshl_add_u32 v7, v0, 3, 0
                                        ; implicit-def: $vgpr61
                                        ; implicit-def: $vgpr62
	scratch_load_b64 v[58:59], v7, off
	s_wait_loadcnt 0x0
	v_cmp_ngt_f32_e64 s1, |v58|, |v59|
	s_wait_xcnt 0x0
	s_and_saveexec_b32 s4, s1
	s_delay_alu instid0(SALU_CYCLE_1)
	s_xor_b32 s1, exec_lo, s4
	s_cbranch_execz .LBB90_15
; %bb.14:
	v_div_scale_f32 v1, null, v59, v59, v58
	v_div_scale_f32 v13, vcc_lo, v58, v59, v58
	s_delay_alu instid0(VALU_DEP_2) | instskip(SKIP_1) | instid1(TRANS32_DEP_1)
	v_rcp_f32_e32 v9, v1
	v_nop
	v_fma_f32 v11, -v1, v9, 1.0
	s_delay_alu instid0(VALU_DEP_1) | instskip(NEXT) | instid1(VALU_DEP_1)
	v_fmac_f32_e32 v9, v11, v9
	v_mul_f32_e32 v11, v13, v9
	s_delay_alu instid0(VALU_DEP_1) | instskip(NEXT) | instid1(VALU_DEP_1)
	v_fma_f32 v15, -v1, v11, v13
	v_fmac_f32_e32 v11, v15, v9
	s_delay_alu instid0(VALU_DEP_1) | instskip(NEXT) | instid1(VALU_DEP_1)
	v_fma_f32 v1, -v1, v11, v13
	v_div_fmas_f32 v1, v1, v9, v11
	s_delay_alu instid0(VALU_DEP_1) | instskip(NEXT) | instid1(VALU_DEP_1)
	v_div_fixup_f32 v1, v1, v59, v58
	v_fmac_f32_e32 v59, v58, v1
	s_delay_alu instid0(VALU_DEP_1) | instskip(NEXT) | instid1(VALU_DEP_1)
	v_div_scale_f32 v9, null, v59, v59, -1.0
	v_rcp_f32_e32 v11, v9
	v_nop
	s_delay_alu instid0(TRANS32_DEP_1) | instskip(NEXT) | instid1(VALU_DEP_1)
	v_fma_f32 v13, -v9, v11, 1.0
	v_fmac_f32_e32 v11, v13, v11
	v_div_scale_f32 v13, vcc_lo, -1.0, v59, -1.0
	s_delay_alu instid0(VALU_DEP_1) | instskip(NEXT) | instid1(VALU_DEP_1)
	v_mul_f32_e32 v15, v13, v11
	v_fma_f32 v17, -v9, v15, v13
	s_delay_alu instid0(VALU_DEP_1) | instskip(NEXT) | instid1(VALU_DEP_1)
	v_fmac_f32_e32 v15, v17, v11
	v_fma_f32 v9, -v9, v15, v13
	s_delay_alu instid0(VALU_DEP_1) | instskip(NEXT) | instid1(VALU_DEP_1)
	v_div_fmas_f32 v9, v9, v11, v15
	v_div_fixup_f32 v61, v9, v59, -1.0
                                        ; implicit-def: $vgpr58_vgpr59
	s_delay_alu instid0(VALU_DEP_1) | instskip(NEXT) | instid1(VALU_DEP_1)
	v_mul_f32_e32 v62, v1, v61
	v_xor_b32_e32 v60, 0x80000000, v62
.LBB90_15:
	s_and_not1_saveexec_b32 s1, s1
	s_cbranch_execz .LBB90_17
; %bb.16:
	v_div_scale_f32 v1, null, v58, v58, v59
	v_div_scale_f32 v13, vcc_lo, v59, v58, v59
	s_delay_alu instid0(VALU_DEP_2) | instskip(SKIP_1) | instid1(TRANS32_DEP_1)
	v_rcp_f32_e32 v9, v1
	v_nop
	v_fma_f32 v11, -v1, v9, 1.0
	s_delay_alu instid0(VALU_DEP_1) | instskip(NEXT) | instid1(VALU_DEP_1)
	v_fmac_f32_e32 v9, v11, v9
	v_mul_f32_e32 v11, v13, v9
	s_delay_alu instid0(VALU_DEP_1) | instskip(NEXT) | instid1(VALU_DEP_1)
	v_fma_f32 v15, -v1, v11, v13
	v_fmac_f32_e32 v11, v15, v9
	s_delay_alu instid0(VALU_DEP_1) | instskip(NEXT) | instid1(VALU_DEP_1)
	v_fma_f32 v1, -v1, v11, v13
	v_div_fmas_f32 v1, v1, v9, v11
	s_delay_alu instid0(VALU_DEP_1) | instskip(NEXT) | instid1(VALU_DEP_1)
	v_div_fixup_f32 v1, v1, v58, v59
	v_fmac_f32_e32 v58, v59, v1
	s_delay_alu instid0(VALU_DEP_1) | instskip(SKIP_1) | instid1(VALU_DEP_2)
	v_div_scale_f32 v9, null, v58, v58, 1.0
	v_div_scale_f32 v15, vcc_lo, 1.0, v58, 1.0
	v_rcp_f32_e32 v11, v9
	v_nop
	s_delay_alu instid0(TRANS32_DEP_1) | instskip(NEXT) | instid1(VALU_DEP_1)
	v_fma_f32 v13, -v9, v11, 1.0
	v_fmac_f32_e32 v11, v13, v11
	s_delay_alu instid0(VALU_DEP_1) | instskip(NEXT) | instid1(VALU_DEP_1)
	v_mul_f32_e32 v13, v15, v11
	v_fma_f32 v17, -v9, v13, v15
	s_delay_alu instid0(VALU_DEP_1) | instskip(NEXT) | instid1(VALU_DEP_1)
	v_fmac_f32_e32 v13, v17, v11
	v_fma_f32 v9, -v9, v13, v15
	s_delay_alu instid0(VALU_DEP_1) | instskip(NEXT) | instid1(VALU_DEP_1)
	v_div_fmas_f32 v9, v9, v11, v13
	v_div_fixup_f32 v60, v9, v58, 1.0
	s_delay_alu instid0(VALU_DEP_1)
	v_xor_b32_e32 v62, 0x80000000, v60
	v_mul_f32_e64 v61, v1, -v60
.LBB90_17:
	s_or_b32 exec_lo, exec_lo, s1
	scratch_store_b64 v7, v[60:61], off
	scratch_load_b64 v[58:59], off, off offset:8
	v_xor_b32_e32 v63, 0x80000000, v61
	v_add_nc_u32_e32 v1, 0xe0, v56
	s_wait_loadcnt 0x0
	ds_store_2addr_b64 v56, v[62:63], v[58:59] offset1:28
	s_wait_storecnt_dscnt 0x0
	s_barrier_signal -1
	s_barrier_wait -1
	s_wait_xcnt 0x0
	s_and_saveexec_b32 s1, s0
	s_cbranch_execz .LBB90_19
; %bb.18:
	scratch_load_b64 v[58:59], v7, off
	ds_load_b64 v[60:61], v1
	s_wait_loadcnt_dscnt 0x0
	v_pk_mul_f32 v[64:65], v[60:61], v[58:59] op_sel:[1,1] op_sel_hi:[0,1]
	s_delay_alu instid0(VALU_DEP_1) | instskip(SKIP_2) | instid1(VALU_DEP_3)
	v_pk_fma_f32 v[66:67], v[60:61], v[58:59], v[64:65] op_sel_hi:[1,0,1]
	v_mov_b32_e32 v9, 0
	v_pk_fma_f32 v[58:59], v[60:61], v[58:59], v[64:65] neg_lo:[0,0,1] neg_hi:[0,0,1]
	v_mov_b32_e32 v59, v67
	ds_load_b64 v[62:63], v9 offset:8
	v_pk_add_f32 v[58:59], v[58:59], 0 op_sel_hi:[1,0]
	s_wait_dscnt 0x0
	s_delay_alu instid0(VALU_DEP_1) | instskip(NEXT) | instid1(VALU_DEP_1)
	v_pk_mul_f32 v[60:61], v[58:59], v[62:63] op_sel:[1,1] op_sel_hi:[0,1]
	v_pk_fma_f32 v[64:65], v[58:59], v[62:63], v[60:61] op_sel_hi:[1,0,1]
	v_pk_fma_f32 v[58:59], v[58:59], v[62:63], v[60:61] neg_lo:[0,0,1] neg_hi:[0,0,1]
	s_delay_alu instid0(VALU_DEP_2)
	v_mov_b32_e32 v59, v65
	scratch_store_b64 off, v[58:59], off offset:8
.LBB90_19:
	s_wait_xcnt 0x0
	s_or_b32 exec_lo, exec_lo, s1
	s_wait_storecnt 0x0
	s_barrier_signal -1
	s_barrier_wait -1
	scratch_load_b64 v[58:59], off, off offset:16
	s_mov_b32 s1, exec_lo
	s_wait_loadcnt 0x0
	ds_store_b64 v1, v[58:59]
	s_wait_dscnt 0x0
	s_barrier_signal -1
	s_barrier_wait -1
	v_cmpx_gt_u32_e32 2, v0
	s_cbranch_execz .LBB90_23
; %bb.20:
	scratch_load_b64 v[58:59], v7, off
	ds_load_b64 v[60:61], v1
	s_wait_loadcnt_dscnt 0x0
	v_pk_mul_f32 v[62:63], v[60:61], v[58:59] op_sel:[1,1] op_sel_hi:[0,1]
	s_delay_alu instid0(VALU_DEP_1) | instskip(SKIP_1) | instid1(VALU_DEP_2)
	v_pk_fma_f32 v[64:65], v[60:61], v[58:59], v[62:63] op_sel_hi:[1,0,1]
	v_pk_fma_f32 v[58:59], v[60:61], v[58:59], v[62:63] neg_lo:[0,0,1] neg_hi:[0,0,1]
	v_mov_b32_e32 v59, v65
	s_delay_alu instid0(VALU_DEP_1)
	v_pk_add_f32 v[58:59], v[58:59], 0 op_sel_hi:[1,0]
	s_and_saveexec_b32 s4, s0
	s_cbranch_execz .LBB90_22
; %bb.21:
	scratch_load_b64 v[60:61], off, off offset:8
	v_mov_b32_e32 v7, 0
	ds_load_b64 v[62:63], v7 offset:232
	s_wait_loadcnt_dscnt 0x0
	v_pk_mul_f32 v[64:65], v[62:63], v[60:61] op_sel:[1,1] op_sel_hi:[0,1]
	s_delay_alu instid0(VALU_DEP_1) | instskip(SKIP_1) | instid1(VALU_DEP_2)
	v_pk_fma_f32 v[66:67], v[62:63], v[60:61], v[64:65] op_sel_hi:[1,0,1]
	v_pk_fma_f32 v[60:61], v[62:63], v[60:61], v[64:65] neg_lo:[0,0,1] neg_hi:[0,0,1]
	v_mov_b32_e32 v61, v67
	s_delay_alu instid0(VALU_DEP_1)
	v_pk_add_f32 v[58:59], v[58:59], v[60:61]
.LBB90_22:
	s_or_b32 exec_lo, exec_lo, s4
	v_mov_b32_e32 v7, 0
	ds_load_b64 v[60:61], v7 offset:16
	s_wait_dscnt 0x0
	v_pk_mul_f32 v[62:63], v[58:59], v[60:61] op_sel:[1,1] op_sel_hi:[0,1]
	s_delay_alu instid0(VALU_DEP_1) | instskip(SKIP_1) | instid1(VALU_DEP_2)
	v_pk_fma_f32 v[64:65], v[58:59], v[60:61], v[62:63] op_sel_hi:[1,0,1]
	v_pk_fma_f32 v[58:59], v[58:59], v[60:61], v[62:63] neg_lo:[0,0,1] neg_hi:[0,0,1]
	v_mov_b32_e32 v59, v65
	scratch_store_b64 off, v[58:59], off offset:16
.LBB90_23:
	s_wait_xcnt 0x0
	s_or_b32 exec_lo, exec_lo, s1
	s_wait_storecnt 0x0
	s_barrier_signal -1
	s_barrier_wait -1
	scratch_load_b64 v[58:59], off, off offset:24
	v_add_nc_u32_e32 v7, -1, v0
	s_mov_b32 s0, exec_lo
	s_wait_loadcnt 0x0
	ds_store_b64 v1, v[58:59]
	s_wait_dscnt 0x0
	s_barrier_signal -1
	s_barrier_wait -1
	v_cmpx_gt_u32_e32 3, v0
	s_cbranch_execz .LBB90_27
; %bb.24:
	v_dual_mov_b32 v58, 0 :: v_dual_add_nc_u32 v9, -1, v0
	v_add_nc_u32_e32 v11, 0xe0, v56
	v_mov_b32_e32 v13, v56
	s_mov_b32 s1, 0
	s_delay_alu instid0(VALU_DEP_3)
	v_mov_b32_e32 v59, v58
.LBB90_25:                              ; =>This Inner Loop Header: Depth=1
	scratch_load_b64 v[60:61], v13, off
	ds_load_b64 v[62:63], v11
	s_wait_xcnt 0x0
	v_dual_add_nc_u32 v11, 8, v11 :: v_dual_add_nc_u32 v13, 8, v13
	s_wait_loadcnt_dscnt 0x0
	v_pk_mul_f32 v[64:65], v[62:63], v[60:61] op_sel:[1,1] op_sel_hi:[0,1]
	s_delay_alu instid0(VALU_DEP_1) | instskip(SKIP_2) | instid1(VALU_DEP_3)
	v_pk_fma_f32 v[66:67], v[62:63], v[60:61], v[64:65] op_sel_hi:[1,0,1]
	v_add_nc_u32_e32 v9, 1, v9
	v_pk_fma_f32 v[60:61], v[62:63], v[60:61], v[64:65] neg_lo:[0,0,1] neg_hi:[0,0,1]
	v_mov_b32_e32 v61, v67
	s_delay_alu instid0(VALU_DEP_3) | instskip(NEXT) | instid1(VALU_DEP_2)
	v_cmp_lt_u32_e32 vcc_lo, 1, v9
	v_pk_add_f32 v[58:59], v[58:59], v[60:61]
	s_or_b32 s1, vcc_lo, s1
	s_delay_alu instid0(SALU_CYCLE_1)
	s_and_not1_b32 exec_lo, exec_lo, s1
	s_cbranch_execnz .LBB90_25
; %bb.26:
	s_or_b32 exec_lo, exec_lo, s1
	v_mov_b32_e32 v9, 0
	ds_load_b64 v[60:61], v9 offset:24
	s_wait_dscnt 0x0
	v_pk_mul_f32 v[62:63], v[58:59], v[60:61] op_sel:[1,1] op_sel_hi:[0,1]
	s_delay_alu instid0(VALU_DEP_1) | instskip(SKIP_1) | instid1(VALU_DEP_2)
	v_pk_fma_f32 v[64:65], v[58:59], v[60:61], v[62:63] op_sel_hi:[1,0,1]
	v_pk_fma_f32 v[58:59], v[58:59], v[60:61], v[62:63] neg_lo:[0,0,1] neg_hi:[0,0,1]
	v_mov_b32_e32 v59, v65
	scratch_store_b64 off, v[58:59], off offset:24
.LBB90_27:
	s_wait_xcnt 0x0
	s_or_b32 exec_lo, exec_lo, s0
	s_wait_storecnt 0x0
	s_barrier_signal -1
	s_barrier_wait -1
	scratch_load_b64 v[58:59], off, off offset:32
	s_mov_b32 s0, exec_lo
	s_wait_loadcnt 0x0
	ds_store_b64 v1, v[58:59]
	s_wait_dscnt 0x0
	s_barrier_signal -1
	s_barrier_wait -1
	v_cmpx_gt_u32_e32 4, v0
	s_cbranch_execz .LBB90_31
; %bb.28:
	v_dual_mov_b32 v58, 0 :: v_dual_add_nc_u32 v9, -1, v0
	v_add_nc_u32_e32 v11, 0xe0, v56
	v_mov_b32_e32 v13, v56
	s_mov_b32 s1, 0
	s_delay_alu instid0(VALU_DEP_3)
	v_mov_b32_e32 v59, v58
.LBB90_29:                              ; =>This Inner Loop Header: Depth=1
	scratch_load_b64 v[60:61], v13, off
	ds_load_b64 v[62:63], v11
	s_wait_xcnt 0x0
	v_dual_add_nc_u32 v11, 8, v11 :: v_dual_add_nc_u32 v13, 8, v13
	s_wait_loadcnt_dscnt 0x0
	v_pk_mul_f32 v[64:65], v[62:63], v[60:61] op_sel:[1,1] op_sel_hi:[0,1]
	s_delay_alu instid0(VALU_DEP_1) | instskip(SKIP_2) | instid1(VALU_DEP_3)
	v_pk_fma_f32 v[66:67], v[62:63], v[60:61], v[64:65] op_sel_hi:[1,0,1]
	v_add_nc_u32_e32 v9, 1, v9
	v_pk_fma_f32 v[60:61], v[62:63], v[60:61], v[64:65] neg_lo:[0,0,1] neg_hi:[0,0,1]
	v_mov_b32_e32 v61, v67
	s_delay_alu instid0(VALU_DEP_3) | instskip(NEXT) | instid1(VALU_DEP_2)
	v_cmp_lt_u32_e32 vcc_lo, 2, v9
	v_pk_add_f32 v[58:59], v[58:59], v[60:61]
	s_or_b32 s1, vcc_lo, s1
	s_delay_alu instid0(SALU_CYCLE_1)
	s_and_not1_b32 exec_lo, exec_lo, s1
	s_cbranch_execnz .LBB90_29
; %bb.30:
	s_or_b32 exec_lo, exec_lo, s1
	v_mov_b32_e32 v9, 0
	ds_load_b64 v[60:61], v9 offset:32
	s_wait_dscnt 0x0
	v_pk_mul_f32 v[62:63], v[58:59], v[60:61] op_sel:[1,1] op_sel_hi:[0,1]
	s_delay_alu instid0(VALU_DEP_1) | instskip(SKIP_1) | instid1(VALU_DEP_2)
	v_pk_fma_f32 v[64:65], v[58:59], v[60:61], v[62:63] op_sel_hi:[1,0,1]
	v_pk_fma_f32 v[58:59], v[58:59], v[60:61], v[62:63] neg_lo:[0,0,1] neg_hi:[0,0,1]
	v_mov_b32_e32 v59, v65
	scratch_store_b64 off, v[58:59], off offset:32
.LBB90_31:
	s_wait_xcnt 0x0
	s_or_b32 exec_lo, exec_lo, s0
	s_wait_storecnt 0x0
	s_barrier_signal -1
	s_barrier_wait -1
	scratch_load_b64 v[58:59], off, off offset:40
	;; [unrolled: 52-line block ×19, first 2 shown]
	s_mov_b32 s0, exec_lo
	s_wait_loadcnt 0x0
	ds_store_b64 v1, v[58:59]
	s_wait_dscnt 0x0
	s_barrier_signal -1
	s_barrier_wait -1
	v_cmpx_gt_u32_e32 22, v0
	s_cbranch_execz .LBB90_103
; %bb.100:
	v_dual_mov_b32 v58, 0 :: v_dual_add_nc_u32 v9, -1, v0
	v_add_nc_u32_e32 v11, 0xe0, v56
	v_mov_b32_e32 v13, v56
	s_mov_b32 s1, 0
	s_delay_alu instid0(VALU_DEP_3)
	v_mov_b32_e32 v59, v58
.LBB90_101:                             ; =>This Inner Loop Header: Depth=1
	scratch_load_b64 v[60:61], v13, off
	ds_load_b64 v[62:63], v11
	s_wait_xcnt 0x0
	v_dual_add_nc_u32 v11, 8, v11 :: v_dual_add_nc_u32 v13, 8, v13
	s_wait_loadcnt_dscnt 0x0
	v_pk_mul_f32 v[64:65], v[62:63], v[60:61] op_sel:[1,1] op_sel_hi:[0,1]
	s_delay_alu instid0(VALU_DEP_1) | instskip(SKIP_2) | instid1(VALU_DEP_3)
	v_pk_fma_f32 v[66:67], v[62:63], v[60:61], v[64:65] op_sel_hi:[1,0,1]
	v_add_nc_u32_e32 v9, 1, v9
	v_pk_fma_f32 v[60:61], v[62:63], v[60:61], v[64:65] neg_lo:[0,0,1] neg_hi:[0,0,1]
	v_mov_b32_e32 v61, v67
	s_delay_alu instid0(VALU_DEP_3) | instskip(NEXT) | instid1(VALU_DEP_2)
	v_cmp_lt_u32_e32 vcc_lo, 20, v9
	v_pk_add_f32 v[58:59], v[58:59], v[60:61]
	s_or_b32 s1, vcc_lo, s1
	s_delay_alu instid0(SALU_CYCLE_1)
	s_and_not1_b32 exec_lo, exec_lo, s1
	s_cbranch_execnz .LBB90_101
; %bb.102:
	s_or_b32 exec_lo, exec_lo, s1
	v_mov_b32_e32 v9, 0
	ds_load_b64 v[60:61], v9 offset:176
	s_wait_dscnt 0x0
	v_pk_mul_f32 v[62:63], v[58:59], v[60:61] op_sel:[1,1] op_sel_hi:[0,1]
	s_delay_alu instid0(VALU_DEP_1) | instskip(SKIP_1) | instid1(VALU_DEP_2)
	v_pk_fma_f32 v[64:65], v[58:59], v[60:61], v[62:63] op_sel_hi:[1,0,1]
	v_pk_fma_f32 v[58:59], v[58:59], v[60:61], v[62:63] neg_lo:[0,0,1] neg_hi:[0,0,1]
	v_mov_b32_e32 v59, v65
	scratch_store_b64 off, v[58:59], off offset:176
.LBB90_103:
	s_wait_xcnt 0x0
	s_or_b32 exec_lo, exec_lo, s0
	s_wait_storecnt 0x0
	s_barrier_signal -1
	s_barrier_wait -1
	scratch_load_b64 v[58:59], off, off offset:184
	s_mov_b32 s0, exec_lo
	s_wait_loadcnt 0x0
	ds_store_b64 v1, v[58:59]
	s_wait_dscnt 0x0
	s_barrier_signal -1
	s_barrier_wait -1
	v_cmpx_gt_u32_e32 23, v0
	s_cbranch_execz .LBB90_107
; %bb.104:
	v_dual_mov_b32 v58, 0 :: v_dual_add_nc_u32 v9, -1, v0
	v_add_nc_u32_e32 v11, 0xe0, v56
	v_mov_b32_e32 v13, v56
	s_mov_b32 s1, 0
	s_delay_alu instid0(VALU_DEP_3)
	v_mov_b32_e32 v59, v58
.LBB90_105:                             ; =>This Inner Loop Header: Depth=1
	scratch_load_b64 v[60:61], v13, off
	ds_load_b64 v[62:63], v11
	s_wait_xcnt 0x0
	v_dual_add_nc_u32 v11, 8, v11 :: v_dual_add_nc_u32 v13, 8, v13
	s_wait_loadcnt_dscnt 0x0
	v_pk_mul_f32 v[64:65], v[62:63], v[60:61] op_sel:[1,1] op_sel_hi:[0,1]
	s_delay_alu instid0(VALU_DEP_1) | instskip(SKIP_2) | instid1(VALU_DEP_3)
	v_pk_fma_f32 v[66:67], v[62:63], v[60:61], v[64:65] op_sel_hi:[1,0,1]
	v_add_nc_u32_e32 v9, 1, v9
	v_pk_fma_f32 v[60:61], v[62:63], v[60:61], v[64:65] neg_lo:[0,0,1] neg_hi:[0,0,1]
	v_mov_b32_e32 v61, v67
	s_delay_alu instid0(VALU_DEP_3) | instskip(NEXT) | instid1(VALU_DEP_2)
	v_cmp_lt_u32_e32 vcc_lo, 21, v9
	v_pk_add_f32 v[58:59], v[58:59], v[60:61]
	s_or_b32 s1, vcc_lo, s1
	s_delay_alu instid0(SALU_CYCLE_1)
	s_and_not1_b32 exec_lo, exec_lo, s1
	s_cbranch_execnz .LBB90_105
; %bb.106:
	s_or_b32 exec_lo, exec_lo, s1
	v_mov_b32_e32 v9, 0
	ds_load_b64 v[60:61], v9 offset:184
	s_wait_dscnt 0x0
	v_pk_mul_f32 v[62:63], v[58:59], v[60:61] op_sel:[1,1] op_sel_hi:[0,1]
	s_delay_alu instid0(VALU_DEP_1) | instskip(SKIP_1) | instid1(VALU_DEP_2)
	v_pk_fma_f32 v[64:65], v[58:59], v[60:61], v[62:63] op_sel_hi:[1,0,1]
	v_pk_fma_f32 v[58:59], v[58:59], v[60:61], v[62:63] neg_lo:[0,0,1] neg_hi:[0,0,1]
	v_mov_b32_e32 v59, v65
	scratch_store_b64 off, v[58:59], off offset:184
.LBB90_107:
	s_wait_xcnt 0x0
	s_or_b32 exec_lo, exec_lo, s0
	s_wait_storecnt 0x0
	s_barrier_signal -1
	s_barrier_wait -1
	scratch_load_b64 v[58:59], off, off offset:192
	;; [unrolled: 52-line block ×4, first 2 shown]
	s_mov_b32 s0, exec_lo
	s_wait_loadcnt 0x0
	ds_store_b64 v1, v[58:59]
	s_wait_dscnt 0x0
	s_barrier_signal -1
	s_barrier_wait -1
	v_cmpx_ne_u32_e32 26, v0
	s_cbranch_execz .LBB90_119
; %bb.116:
	v_dual_mov_b32 v58, 0 :: v_dual_mov_b32 v9, v56
	s_mov_b32 s1, 0
	s_delay_alu instid0(VALU_DEP_1)
	v_mov_b32_e32 v59, v58
.LBB90_117:                             ; =>This Inner Loop Header: Depth=1
	scratch_load_b64 v[56:57], v9, off
	ds_load_b64 v[60:61], v1
	v_add_nc_u32_e32 v1, 8, v1
	s_wait_xcnt 0x0
	v_add_nc_u32_e32 v9, 8, v9
	s_wait_loadcnt_dscnt 0x0
	v_pk_mul_f32 v[62:63], v[60:61], v[56:57] op_sel:[1,1] op_sel_hi:[0,1]
	s_delay_alu instid0(VALU_DEP_1) | instskip(SKIP_2) | instid1(VALU_DEP_3)
	v_pk_fma_f32 v[64:65], v[60:61], v[56:57], v[62:63] op_sel_hi:[1,0,1]
	v_add_nc_u32_e32 v7, 1, v7
	v_pk_fma_f32 v[56:57], v[60:61], v[56:57], v[62:63] neg_lo:[0,0,1] neg_hi:[0,0,1]
	v_mov_b32_e32 v57, v65
	s_delay_alu instid0(VALU_DEP_3) | instskip(NEXT) | instid1(VALU_DEP_2)
	v_cmp_lt_u32_e32 vcc_lo, 24, v7
	v_pk_add_f32 v[58:59], v[58:59], v[56:57]
	s_or_b32 s1, vcc_lo, s1
	s_delay_alu instid0(SALU_CYCLE_1)
	s_and_not1_b32 exec_lo, exec_lo, s1
	s_cbranch_execnz .LBB90_117
; %bb.118:
	s_or_b32 exec_lo, exec_lo, s1
	v_mov_b32_e32 v1, 0
	ds_load_b64 v[56:57], v1 offset:208
	s_wait_dscnt 0x0
	v_pk_mul_f32 v[60:61], v[58:59], v[56:57] op_sel:[1,1] op_sel_hi:[0,1]
	s_delay_alu instid0(VALU_DEP_1) | instskip(SKIP_1) | instid1(VALU_DEP_2)
	v_pk_fma_f32 v[62:63], v[58:59], v[56:57], v[60:61] op_sel_hi:[1,0,1]
	v_pk_fma_f32 v[56:57], v[58:59], v[56:57], v[60:61] neg_lo:[0,0,1] neg_hi:[0,0,1]
	v_mov_b32_e32 v57, v63
	scratch_store_b64 off, v[56:57], off offset:208
.LBB90_119:
	s_wait_xcnt 0x0
	s_or_b32 exec_lo, exec_lo, s0
	s_mov_b32 s1, -1
	s_wait_storecnt 0x0
	s_barrier_signal -1
	s_barrier_wait -1
.LBB90_120:
	s_and_b32 vcc_lo, exec_lo, s1
	s_cbranch_vccz .LBB90_122
; %bb.121:
	v_mov_b32_e32 v1, 0
	s_lshl_b64 s[0:1], s[10:11], 2
	s_delay_alu instid0(SALU_CYCLE_1)
	s_add_nc_u64 s[0:1], s[6:7], s[0:1]
	global_load_b32 v1, v1, s[0:1]
	s_wait_loadcnt 0x0
	v_cmp_ne_u32_e32 vcc_lo, 0, v1
	s_cbranch_vccz .LBB90_123
.LBB90_122:
	s_sendmsg sendmsg(MSG_DEALLOC_VGPRS)
	s_endpgm
.LBB90_123:
	s_wait_xcnt 0x0
	v_lshl_add_u32 v1, v0, 3, 0xe0
	s_mov_b32 s0, exec_lo
	v_cmpx_eq_u32_e32 26, v0
	s_cbranch_execz .LBB90_125
; %bb.124:
	scratch_load_b64 v[56:57], off, off offset:200
	v_mov_b64_e32 v[58:59], 0
	scratch_store_b64 off, v[58:59], off offset:200
	s_wait_loadcnt 0x0
	ds_store_b64 v1, v[56:57]
.LBB90_125:
	s_wait_xcnt 0x0
	s_or_b32 exec_lo, exec_lo, s0
	s_wait_storecnt_dscnt 0x0
	s_barrier_signal -1
	s_barrier_wait -1
	s_clause 0x1
	scratch_load_b64 v[56:57], off, off offset:208
	scratch_load_b64 v[58:59], off, off offset:200
	v_mov_b32_e32 v7, 0
	s_mov_b32 s0, exec_lo
	ds_load_b64 v[60:61], v7 offset:432
	s_wait_loadcnt_dscnt 0x100
	v_pk_mul_f32 v[62:63], v[60:61], v[56:57] op_sel:[1,1] op_sel_hi:[0,1]
	s_delay_alu instid0(VALU_DEP_1) | instskip(SKIP_1) | instid1(VALU_DEP_2)
	v_pk_fma_f32 v[64:65], v[60:61], v[56:57], v[62:63] op_sel_hi:[1,0,1]
	v_pk_fma_f32 v[56:57], v[60:61], v[56:57], v[62:63] neg_lo:[0,0,1] neg_hi:[0,0,1]
	v_mov_b32_e32 v57, v65
	s_delay_alu instid0(VALU_DEP_1) | instskip(SKIP_1) | instid1(VALU_DEP_1)
	v_pk_add_f32 v[56:57], v[56:57], 0 op_sel_hi:[1,0]
	s_wait_loadcnt 0x0
	v_pk_add_f32 v[56:57], v[58:59], v[56:57] neg_lo:[0,1] neg_hi:[0,1]
	scratch_store_b64 off, v[56:57], off offset:200
	s_wait_xcnt 0x0
	v_cmpx_lt_u32_e32 24, v0
	s_cbranch_execz .LBB90_127
; %bb.126:
	scratch_load_b64 v[56:57], off, off offset:192
	v_mov_b64_e32 v[58:59], 0
	scratch_store_b64 off, v[58:59], off offset:192
	s_wait_loadcnt 0x0
	ds_store_b64 v1, v[56:57]
.LBB90_127:
	s_wait_xcnt 0x0
	s_or_b32 exec_lo, exec_lo, s0
	s_wait_storecnt_dscnt 0x0
	s_barrier_signal -1
	s_barrier_wait -1
	s_clause 0x1
	scratch_load_b128 v[56:59], off, off offset:200
	scratch_load_b64 v[64:65], off, off offset:192
	ds_load_2addr_b64 v[60:63], v7 offset0:53 offset1:54
	s_mov_b32 s0, exec_lo
	s_wait_dscnt 0x0
	v_dual_mov_b32 v66, v63 :: v_dual_mov_b32 v67, v62
	s_wait_loadcnt 0x1
	v_pk_mul_f32 v[68:69], v[60:61], v[56:57] op_sel:[1,1] op_sel_hi:[0,1]
	s_delay_alu instid0(VALU_DEP_1) | instskip(SKIP_2) | instid1(VALU_DEP_3)
	v_pk_fma_f32 v[72:73], v[60:61], v[56:57], v[68:69] op_sel_hi:[1,0,1]
	v_mov_b32_e32 v70, v59
	v_pk_fma_f32 v[56:57], v[60:61], v[56:57], v[68:69] neg_lo:[0,0,1] neg_hi:[0,0,1]
	v_mov_b32_e32 v57, v73
	s_delay_alu instid0(VALU_DEP_3) | instskip(NEXT) | instid1(VALU_DEP_2)
	v_pk_mul_f32 v[66:67], v[66:67], v[70:71] op_sel_hi:[1,0]
	v_pk_add_f32 v[56:57], v[56:57], 0 op_sel_hi:[1,0]
	s_delay_alu instid0(VALU_DEP_2) | instskip(SKIP_1) | instid1(VALU_DEP_2)
	v_pk_fma_f32 v[60:61], v[62:63], v[58:59], v[66:67] op_sel_hi:[1,0,1]
	v_pk_fma_f32 v[58:59], v[62:63], v[58:59], v[66:67] neg_lo:[0,0,1] neg_hi:[0,0,1]
	v_mov_b32_e32 v59, v61
	s_delay_alu instid0(VALU_DEP_1) | instskip(SKIP_1) | instid1(VALU_DEP_1)
	v_pk_add_f32 v[56:57], v[56:57], v[58:59]
	s_wait_loadcnt 0x0
	v_pk_add_f32 v[56:57], v[64:65], v[56:57] neg_lo:[0,1] neg_hi:[0,1]
	scratch_store_b64 off, v[56:57], off offset:192
	s_wait_xcnt 0x0
	v_cmpx_lt_u32_e32 23, v0
	s_cbranch_execz .LBB90_129
; %bb.128:
	scratch_load_b64 v[56:57], off, off offset:184
	v_mov_b64_e32 v[58:59], 0
	scratch_store_b64 off, v[58:59], off offset:184
	s_wait_loadcnt 0x0
	ds_store_b64 v1, v[56:57]
.LBB90_129:
	s_wait_xcnt 0x0
	s_or_b32 exec_lo, exec_lo, s0
	s_wait_storecnt_dscnt 0x0
	s_barrier_signal -1
	s_barrier_wait -1
	s_clause 0x2
	scratch_load_b128 v[56:59], off, off offset:192
	scratch_load_b64 v[64:65], off, off offset:208
	scratch_load_b64 v[66:67], off, off offset:184
	v_mov_b32_e32 v7, 0
	ds_load_b128 v[60:63], v7 offset:416
	ds_load_b64 v[68:69], v7 offset:432
	s_mov_b32 s0, exec_lo
	s_wait_dscnt 0x1
	v_dual_mov_b32 v70, v63 :: v_dual_mov_b32 v71, v62
	s_wait_loadcnt 0x2
	v_mov_b32_e32 v74, v59
	v_pk_mul_f32 v[72:73], v[60:61], v[56:57] op_sel:[1,1] op_sel_hi:[0,1]
	s_delay_alu instid0(VALU_DEP_2) | instskip(NEXT) | instid1(VALU_DEP_2)
	v_pk_mul_f32 v[70:71], v[70:71], v[74:75] op_sel_hi:[1,0]
	v_pk_fma_f32 v[76:77], v[60:61], v[56:57], v[72:73] op_sel_hi:[1,0,1]
	v_pk_fma_f32 v[56:57], v[60:61], v[56:57], v[72:73] neg_lo:[0,0,1] neg_hi:[0,0,1]
	s_wait_loadcnt_dscnt 0x100
	v_pk_mul_f32 v[72:73], v[68:69], v[64:65] op_sel:[1,1] op_sel_hi:[0,1]
	v_pk_fma_f32 v[60:61], v[62:63], v[58:59], v[70:71] op_sel_hi:[1,0,1]
	v_mov_b32_e32 v57, v77
	v_pk_fma_f32 v[58:59], v[62:63], v[58:59], v[70:71] neg_lo:[0,0,1] neg_hi:[0,0,1]
	s_delay_alu instid0(VALU_DEP_4) | instskip(NEXT) | instid1(VALU_DEP_4)
	v_pk_fma_f32 v[62:63], v[68:69], v[64:65], v[72:73] neg_lo:[0,0,1] neg_hi:[0,0,1]
	v_mov_b32_e32 v59, v61
	s_delay_alu instid0(VALU_DEP_4) | instskip(SKIP_1) | instid1(VALU_DEP_2)
	v_pk_add_f32 v[56:57], v[56:57], 0 op_sel_hi:[1,0]
	v_pk_fma_f32 v[60:61], v[68:69], v[64:65], v[72:73] op_sel_hi:[1,0,1]
	v_pk_add_f32 v[56:57], v[56:57], v[58:59]
	s_delay_alu instid0(VALU_DEP_2) | instskip(NEXT) | instid1(VALU_DEP_1)
	v_mov_b32_e32 v63, v61
	v_pk_add_f32 v[56:57], v[56:57], v[62:63]
	s_wait_loadcnt 0x0
	s_delay_alu instid0(VALU_DEP_1)
	v_pk_add_f32 v[56:57], v[66:67], v[56:57] neg_lo:[0,1] neg_hi:[0,1]
	scratch_store_b64 off, v[56:57], off offset:184
	s_wait_xcnt 0x0
	v_cmpx_lt_u32_e32 22, v0
	s_cbranch_execz .LBB90_131
; %bb.130:
	scratch_load_b64 v[56:57], off, off offset:176
	v_mov_b64_e32 v[58:59], 0
	scratch_store_b64 off, v[58:59], off offset:176
	s_wait_loadcnt 0x0
	ds_store_b64 v1, v[56:57]
.LBB90_131:
	s_wait_xcnt 0x0
	s_or_b32 exec_lo, exec_lo, s0
	s_wait_storecnt_dscnt 0x0
	s_barrier_signal -1
	s_barrier_wait -1
	s_clause 0x2
	scratch_load_b128 v[56:59], off, off offset:184
	scratch_load_b128 v[60:63], off, off offset:200
	scratch_load_b64 v[72:73], off, off offset:176
	ds_load_2addr_b64 v[64:67], v7 offset0:51 offset1:52
	ds_load_2addr_b64 v[68:71], v7 offset0:53 offset1:54
	s_mov_b32 s0, exec_lo
	s_wait_dscnt 0x1
	v_dual_mov_b32 v74, v67 :: v_dual_mov_b32 v75, v66
	s_wait_loadcnt_dscnt 0x200
	v_dual_mov_b32 v80, v71 :: v_dual_mov_b32 v78, v59
	v_pk_mul_f32 v[76:77], v[64:65], v[56:57] op_sel:[1,1] op_sel_hi:[0,1]
	s_delay_alu instid0(VALU_DEP_2) | instskip(NEXT) | instid1(VALU_DEP_2)
	v_pk_mul_f32 v[74:75], v[74:75], v[78:79] op_sel_hi:[1,0]
	v_pk_fma_f32 v[82:83], v[64:65], v[56:57], v[76:77] op_sel_hi:[1,0,1]
	v_pk_fma_f32 v[56:57], v[64:65], v[56:57], v[76:77] neg_lo:[0,0,1] neg_hi:[0,0,1]
	v_mov_b32_e32 v81, v70
	s_wait_loadcnt 0x1
	v_pk_mul_f32 v[78:79], v[68:69], v[60:61] op_sel:[1,1] op_sel_hi:[0,1]
	v_pk_fma_f32 v[64:65], v[66:67], v[58:59], v[74:75] op_sel_hi:[1,0,1]
	v_dual_mov_b32 v57, v83 :: v_dual_mov_b32 v64, v63
	v_pk_fma_f32 v[58:59], v[66:67], v[58:59], v[74:75] neg_lo:[0,0,1] neg_hi:[0,0,1]
	s_delay_alu instid0(VALU_DEP_4) | instskip(NEXT) | instid1(VALU_DEP_4)
	v_pk_fma_f32 v[76:77], v[68:69], v[60:61], v[78:79] op_sel_hi:[1,0,1]
	v_mov_b32_e32 v59, v65
	s_delay_alu instid0(VALU_DEP_4) | instskip(SKIP_2) | instid1(VALU_DEP_3)
	v_pk_add_f32 v[56:57], v[56:57], 0 op_sel_hi:[1,0]
	v_pk_mul_f32 v[64:65], v[80:81], v[64:65] op_sel_hi:[1,0]
	v_pk_fma_f32 v[60:61], v[68:69], v[60:61], v[78:79] neg_lo:[0,0,1] neg_hi:[0,0,1]
	v_pk_add_f32 v[56:57], v[56:57], v[58:59]
	s_delay_alu instid0(VALU_DEP_3) | instskip(SKIP_2) | instid1(VALU_DEP_3)
	v_pk_fma_f32 v[58:59], v[70:71], v[62:63], v[64:65] op_sel_hi:[1,0,1]
	v_mov_b32_e32 v61, v77
	v_pk_fma_f32 v[62:63], v[70:71], v[62:63], v[64:65] neg_lo:[0,0,1] neg_hi:[0,0,1]
	v_mov_b32_e32 v63, v59
	s_delay_alu instid0(VALU_DEP_3) | instskip(NEXT) | instid1(VALU_DEP_1)
	v_pk_add_f32 v[56:57], v[56:57], v[60:61]
	v_pk_add_f32 v[56:57], v[56:57], v[62:63]
	s_wait_loadcnt 0x0
	s_delay_alu instid0(VALU_DEP_1)
	v_pk_add_f32 v[56:57], v[72:73], v[56:57] neg_lo:[0,1] neg_hi:[0,1]
	scratch_store_b64 off, v[56:57], off offset:176
	s_wait_xcnt 0x0
	v_cmpx_lt_u32_e32 21, v0
	s_cbranch_execz .LBB90_133
; %bb.132:
	scratch_load_b64 v[56:57], off, off offset:168
	v_mov_b64_e32 v[58:59], 0
	scratch_store_b64 off, v[58:59], off offset:168
	s_wait_loadcnt 0x0
	ds_store_b64 v1, v[56:57]
.LBB90_133:
	s_wait_xcnt 0x0
	s_or_b32 exec_lo, exec_lo, s0
	s_wait_storecnt_dscnt 0x0
	s_barrier_signal -1
	s_barrier_wait -1
	s_clause 0x3
	scratch_load_b128 v[56:59], off, off offset:176
	scratch_load_b128 v[60:63], off, off offset:192
	scratch_load_b64 v[72:73], off, off offset:208
	scratch_load_b64 v[74:75], off, off offset:168
	v_mov_b32_e32 v7, 0
	ds_load_b128 v[64:67], v7 offset:400
	ds_load_b128 v[68:71], v7 offset:416
	s_mov_b32 s0, exec_lo
	s_wait_dscnt 0x1
	v_dual_mov_b32 v76, v67 :: v_dual_mov_b32 v77, v66
	ds_load_b64 v[82:83], v7 offset:432
	s_wait_dscnt 0x1
	v_dual_mov_b32 v84, v71 :: v_dual_mov_b32 v85, v70
	s_wait_loadcnt 0x3
	v_pk_mul_f32 v[78:79], v[64:65], v[56:57] op_sel:[1,1] op_sel_hi:[0,1]
	v_mov_b32_e32 v80, v59
	s_delay_alu instid0(VALU_DEP_2) | instskip(NEXT) | instid1(VALU_DEP_2)
	v_pk_fma_f32 v[86:87], v[64:65], v[56:57], v[78:79] op_sel_hi:[1,0,1]
	v_pk_mul_f32 v[76:77], v[76:77], v[80:81] op_sel_hi:[1,0]
	v_pk_fma_f32 v[56:57], v[64:65], v[56:57], v[78:79] neg_lo:[0,0,1] neg_hi:[0,0,1]
	s_wait_loadcnt 0x2
	v_pk_mul_f32 v[80:81], v[68:69], v[60:61] op_sel:[1,1] op_sel_hi:[0,1]
	v_dual_mov_b32 v86, v63 :: v_dual_mov_b32 v57, v87
	v_pk_fma_f32 v[64:65], v[66:67], v[58:59], v[76:77] op_sel_hi:[1,0,1]
	v_pk_fma_f32 v[58:59], v[66:67], v[58:59], v[76:77] neg_lo:[0,0,1] neg_hi:[0,0,1]
	s_delay_alu instid0(VALU_DEP_4) | instskip(NEXT) | instid1(VALU_DEP_4)
	v_pk_fma_f32 v[78:79], v[68:69], v[60:61], v[80:81] op_sel_hi:[1,0,1]
	v_pk_mul_f32 v[84:85], v[84:85], v[86:87] op_sel_hi:[1,0]
	v_pk_add_f32 v[56:57], v[56:57], 0 op_sel_hi:[1,0]
	v_mov_b32_e32 v59, v65
	v_pk_fma_f32 v[60:61], v[68:69], v[60:61], v[80:81] neg_lo:[0,0,1] neg_hi:[0,0,1]
	v_mov_b32_e32 v61, v79
	v_pk_fma_f32 v[64:65], v[70:71], v[62:63], v[84:85] op_sel_hi:[1,0,1]
	v_pk_fma_f32 v[62:63], v[70:71], v[62:63], v[84:85] neg_lo:[0,0,1] neg_hi:[0,0,1]
	v_pk_add_f32 v[56:57], v[56:57], v[58:59]
	s_wait_loadcnt_dscnt 0x100
	v_pk_mul_f32 v[58:59], v[82:83], v[72:73] op_sel:[1,1] op_sel_hi:[0,1]
	s_delay_alu instid0(VALU_DEP_2) | instskip(NEXT) | instid1(VALU_DEP_2)
	v_pk_add_f32 v[56:57], v[56:57], v[60:61]
	v_pk_fma_f32 v[60:61], v[82:83], v[72:73], v[58:59] op_sel_hi:[1,0,1]
	v_mov_b32_e32 v63, v65
	v_pk_fma_f32 v[58:59], v[82:83], v[72:73], v[58:59] neg_lo:[0,0,1] neg_hi:[0,0,1]
	s_delay_alu instid0(VALU_DEP_3) | instskip(NEXT) | instid1(VALU_DEP_3)
	v_mov_b32_e32 v59, v61
	v_pk_add_f32 v[56:57], v[56:57], v[62:63]
	s_delay_alu instid0(VALU_DEP_1) | instskip(SKIP_1) | instid1(VALU_DEP_1)
	v_pk_add_f32 v[56:57], v[56:57], v[58:59]
	s_wait_loadcnt 0x0
	v_pk_add_f32 v[56:57], v[74:75], v[56:57] neg_lo:[0,1] neg_hi:[0,1]
	scratch_store_b64 off, v[56:57], off offset:168
	s_wait_xcnt 0x0
	v_cmpx_lt_u32_e32 20, v0
	s_cbranch_execz .LBB90_135
; %bb.134:
	scratch_load_b64 v[56:57], off, off offset:160
	v_mov_b64_e32 v[58:59], 0
	scratch_store_b64 off, v[58:59], off offset:160
	s_wait_loadcnt 0x0
	ds_store_b64 v1, v[56:57]
.LBB90_135:
	s_wait_xcnt 0x0
	s_or_b32 exec_lo, exec_lo, s0
	s_wait_storecnt_dscnt 0x0
	s_barrier_signal -1
	s_barrier_wait -1
	s_clause 0x3
	scratch_load_b128 v[56:59], off, off offset:168
	scratch_load_b128 v[60:63], off, off offset:184
	;; [unrolled: 1-line block ×3, first 2 shown]
	scratch_load_b64 v[80:81], off, off offset:160
	ds_load_2addr_b64 v[68:71], v7 offset0:49 offset1:50
	ds_load_2addr_b64 v[72:75], v7 offset0:51 offset1:52
	ds_load_2addr_b64 v[76:79], v7 offset0:53 offset1:54
	s_mov_b32 s0, exec_lo
	s_wait_dscnt 0x2
	v_dual_mov_b32 v82, v71 :: v_dual_mov_b32 v83, v70
	s_wait_dscnt 0x1
	v_dual_mov_b32 v84, v75 :: v_dual_mov_b32 v85, v74
	;; [unrolled: 2-line block ×3, first 2 shown]
	s_wait_loadcnt 0x3
	v_pk_mul_f32 v[86:87], v[68:69], v[56:57] op_sel:[1,1] op_sel_hi:[0,1]
	v_mov_b32_e32 v88, v59
	s_delay_alu instid0(VALU_DEP_2) | instskip(NEXT) | instid1(VALU_DEP_2)
	v_pk_fma_f32 v[92:93], v[68:69], v[56:57], v[86:87] op_sel_hi:[1,0,1]
	v_pk_mul_f32 v[82:83], v[82:83], v[88:89] op_sel_hi:[1,0]
	v_pk_fma_f32 v[56:57], v[68:69], v[56:57], v[86:87] neg_lo:[0,0,1] neg_hi:[0,0,1]
	s_wait_loadcnt 0x2
	v_pk_mul_f32 v[88:89], v[72:73], v[60:61] op_sel:[1,1] op_sel_hi:[0,1]
	v_mov_b32_e32 v92, v63
	v_pk_fma_f32 v[68:69], v[70:71], v[58:59], v[82:83] op_sel_hi:[1,0,1]
	v_mov_b32_e32 v57, v93
	v_pk_fma_f32 v[58:59], v[70:71], v[58:59], v[82:83] neg_lo:[0,0,1] neg_hi:[0,0,1]
	v_pk_fma_f32 v[86:87], v[72:73], v[60:61], v[88:89] op_sel_hi:[1,0,1]
	v_pk_mul_f32 v[84:85], v[84:85], v[92:93] op_sel_hi:[1,0]
	v_mov_b32_e32 v59, v69
	v_pk_add_f32 v[56:57], v[56:57], 0 op_sel_hi:[1,0]
	v_pk_fma_f32 v[60:61], v[72:73], v[60:61], v[88:89] neg_lo:[0,0,1] neg_hi:[0,0,1]
	s_wait_loadcnt 0x1
	v_pk_mul_f32 v[68:69], v[76:77], v[64:65] op_sel:[1,1] op_sel_hi:[0,1]
	v_mov_b32_e32 v61, v87
	v_pk_fma_f32 v[70:71], v[74:75], v[62:63], v[84:85] op_sel_hi:[1,0,1]
	v_pk_add_f32 v[56:57], v[56:57], v[58:59]
	v_mov_b32_e32 v58, v67
	v_pk_fma_f32 v[62:63], v[74:75], v[62:63], v[84:85] neg_lo:[0,0,1] neg_hi:[0,0,1]
	v_pk_fma_f32 v[72:73], v[76:77], v[64:65], v[68:69] op_sel_hi:[1,0,1]
	v_mov_b32_e32 v63, v71
	v_pk_add_f32 v[56:57], v[56:57], v[60:61]
	v_pk_mul_f32 v[58:59], v[90:91], v[58:59] op_sel_hi:[1,0]
	v_pk_fma_f32 v[60:61], v[76:77], v[64:65], v[68:69] neg_lo:[0,0,1] neg_hi:[0,0,1]
	v_mov_b32_e32 v61, v73
	s_delay_alu instid0(VALU_DEP_4) | instskip(NEXT) | instid1(VALU_DEP_4)
	v_pk_add_f32 v[56:57], v[56:57], v[62:63]
	v_pk_fma_f32 v[62:63], v[78:79], v[66:67], v[58:59] op_sel_hi:[1,0,1]
	v_pk_fma_f32 v[58:59], v[78:79], v[66:67], v[58:59] neg_lo:[0,0,1] neg_hi:[0,0,1]
	s_delay_alu instid0(VALU_DEP_3) | instskip(NEXT) | instid1(VALU_DEP_3)
	v_pk_add_f32 v[56:57], v[56:57], v[60:61]
	v_mov_b32_e32 v59, v63
	s_delay_alu instid0(VALU_DEP_1) | instskip(SKIP_1) | instid1(VALU_DEP_1)
	v_pk_add_f32 v[56:57], v[56:57], v[58:59]
	s_wait_loadcnt 0x0
	v_pk_add_f32 v[56:57], v[80:81], v[56:57] neg_lo:[0,1] neg_hi:[0,1]
	scratch_store_b64 off, v[56:57], off offset:160
	s_wait_xcnt 0x0
	v_cmpx_lt_u32_e32 19, v0
	s_cbranch_execz .LBB90_137
; %bb.136:
	scratch_load_b64 v[56:57], off, off offset:152
	v_mov_b64_e32 v[58:59], 0
	scratch_store_b64 off, v[58:59], off offset:152
	s_wait_loadcnt 0x0
	ds_store_b64 v1, v[56:57]
.LBB90_137:
	s_wait_xcnt 0x0
	s_or_b32 exec_lo, exec_lo, s0
	s_wait_storecnt_dscnt 0x0
	s_barrier_signal -1
	s_barrier_wait -1
	s_clause 0x4
	scratch_load_b128 v[56:59], off, off offset:160
	scratch_load_b128 v[60:63], off, off offset:176
	;; [unrolled: 1-line block ×3, first 2 shown]
	scratch_load_b64 v[80:81], off, off offset:208
	scratch_load_b64 v[82:83], off, off offset:152
	v_mov_b32_e32 v7, 0
	ds_load_b128 v[68:71], v7 offset:384
	ds_load_b128 v[72:75], v7 offset:400
	;; [unrolled: 1-line block ×3, first 2 shown]
	ds_load_b64 v[84:85], v7 offset:432
	s_mov_b32 s0, exec_lo
	s_wait_dscnt 0x3
	v_dual_mov_b32 v86, v71 :: v_dual_mov_b32 v87, v70
	s_wait_dscnt 0x2
	v_dual_mov_b32 v88, v75 :: v_dual_mov_b32 v89, v74
	;; [unrolled: 2-line block ×3, first 2 shown]
	s_wait_loadcnt 0x4
	v_pk_mul_f32 v[90:91], v[68:69], v[56:57] op_sel:[1,1] op_sel_hi:[0,1]
	v_mov_b32_e32 v92, v59
	s_wait_loadcnt 0x3
	v_pk_mul_f32 v[96:97], v[72:73], v[60:61] op_sel:[1,1] op_sel_hi:[0,1]
	s_wait_loadcnt 0x2
	v_pk_mul_f32 v[100:101], v[76:77], v[64:65] op_sel:[1,1] op_sel_hi:[0,1]
	v_pk_fma_f32 v[98:99], v[68:69], v[56:57], v[90:91] op_sel_hi:[1,0,1]
	v_pk_mul_f32 v[86:87], v[86:87], v[92:93] op_sel_hi:[1,0]
	v_pk_fma_f32 v[56:57], v[68:69], v[56:57], v[90:91] neg_lo:[0,0,1] neg_hi:[0,0,1]
	v_mov_b32_e32 v92, v63
	v_pk_fma_f32 v[90:91], v[72:73], v[60:61], v[96:97] op_sel_hi:[1,0,1]
	v_mov_b32_e32 v57, v99
	v_pk_fma_f32 v[68:69], v[70:71], v[58:59], v[86:87] op_sel_hi:[1,0,1]
	v_pk_fma_f32 v[58:59], v[70:71], v[58:59], v[86:87] neg_lo:[0,0,1] neg_hi:[0,0,1]
	v_pk_mul_f32 v[88:89], v[88:89], v[92:93] op_sel_hi:[1,0]
	v_pk_fma_f32 v[60:61], v[72:73], v[60:61], v[96:97] neg_lo:[0,0,1] neg_hi:[0,0,1]
	v_pk_add_f32 v[56:57], v[56:57], 0 op_sel_hi:[1,0]
	v_dual_mov_b32 v59, v69 :: v_dual_mov_b32 v68, v67
	s_delay_alu instid0(VALU_DEP_4) | instskip(SKIP_2) | instid1(VALU_DEP_4)
	v_pk_fma_f32 v[70:71], v[74:75], v[62:63], v[88:89] op_sel_hi:[1,0,1]
	v_mov_b32_e32 v61, v91
	v_pk_fma_f32 v[62:63], v[74:75], v[62:63], v[88:89] neg_lo:[0,0,1] neg_hi:[0,0,1]
	v_pk_add_f32 v[56:57], v[56:57], v[58:59]
	v_pk_fma_f32 v[58:59], v[76:77], v[64:65], v[100:101] op_sel_hi:[1,0,1]
	v_pk_mul_f32 v[68:69], v[94:95], v[68:69] op_sel_hi:[1,0]
	v_mov_b32_e32 v63, v71
	s_delay_alu instid0(VALU_DEP_4)
	v_pk_add_f32 v[56:57], v[56:57], v[60:61]
	v_pk_fma_f32 v[60:61], v[76:77], v[64:65], v[100:101] neg_lo:[0,0,1] neg_hi:[0,0,1]
	v_mov_b32_e32 v61, v59
	v_pk_fma_f32 v[58:59], v[78:79], v[66:67], v[68:69] op_sel_hi:[1,0,1]
	v_pk_fma_f32 v[64:65], v[78:79], v[66:67], v[68:69] neg_lo:[0,0,1] neg_hi:[0,0,1]
	v_pk_add_f32 v[56:57], v[56:57], v[62:63]
	s_wait_loadcnt_dscnt 0x100
	v_pk_mul_f32 v[62:63], v[84:85], v[80:81] op_sel:[1,1] op_sel_hi:[0,1]
	v_mov_b32_e32 v65, v59
	s_delay_alu instid0(VALU_DEP_3) | instskip(NEXT) | instid1(VALU_DEP_3)
	v_pk_add_f32 v[56:57], v[56:57], v[60:61]
	v_pk_fma_f32 v[58:59], v[84:85], v[80:81], v[62:63] op_sel_hi:[1,0,1]
	v_pk_fma_f32 v[60:61], v[84:85], v[80:81], v[62:63] neg_lo:[0,0,1] neg_hi:[0,0,1]
	s_delay_alu instid0(VALU_DEP_3) | instskip(NEXT) | instid1(VALU_DEP_3)
	v_pk_add_f32 v[56:57], v[56:57], v[64:65]
	v_mov_b32_e32 v61, v59
	s_delay_alu instid0(VALU_DEP_1) | instskip(SKIP_1) | instid1(VALU_DEP_1)
	v_pk_add_f32 v[56:57], v[56:57], v[60:61]
	s_wait_loadcnt 0x0
	v_pk_add_f32 v[56:57], v[82:83], v[56:57] neg_lo:[0,1] neg_hi:[0,1]
	scratch_store_b64 off, v[56:57], off offset:152
	s_wait_xcnt 0x0
	v_cmpx_lt_u32_e32 18, v0
	s_cbranch_execz .LBB90_139
; %bb.138:
	scratch_load_b64 v[56:57], off, off offset:144
	v_mov_b64_e32 v[58:59], 0
	scratch_store_b64 off, v[58:59], off offset:144
	s_wait_loadcnt 0x0
	ds_store_b64 v1, v[56:57]
.LBB90_139:
	s_wait_xcnt 0x0
	s_or_b32 exec_lo, exec_lo, s0
	s_wait_storecnt_dscnt 0x0
	s_barrier_signal -1
	s_barrier_wait -1
	s_clause 0x4
	scratch_load_b128 v[56:59], off, off offset:152
	scratch_load_b128 v[60:63], off, off offset:168
	;; [unrolled: 1-line block ×4, first 2 shown]
	scratch_load_b64 v[88:89], off, off offset:144
	ds_load_2addr_b64 v[72:75], v7 offset0:47 offset1:48
	ds_load_2addr_b64 v[76:79], v7 offset0:49 offset1:50
	;; [unrolled: 1-line block ×4, first 2 shown]
	s_mov_b32 s0, exec_lo
	s_wait_dscnt 0x3
	v_dual_mov_b32 v90, v75 :: v_dual_mov_b32 v91, v74
	s_wait_dscnt 0x2
	v_dual_mov_b32 v92, v79 :: v_dual_mov_b32 v93, v78
	;; [unrolled: 2-line block ×3, first 2 shown]
	v_dual_mov_b32 v95, v82 :: v_dual_mov_b32 v100, v87
	s_wait_loadcnt 0x4
	v_mov_b32_e32 v98, v59
	v_pk_mul_f32 v[96:97], v[72:73], v[56:57] op_sel:[1,1] op_sel_hi:[0,1]
	s_wait_loadcnt 0x3
	v_pk_mul_f32 v[102:103], v[76:77], v[60:61] op_sel:[1,1] op_sel_hi:[0,1]
	s_wait_loadcnt 0x2
	v_pk_mul_f32 v[106:107], v[80:81], v[64:65] op_sel:[1,1] op_sel_hi:[0,1]
	v_pk_mul_f32 v[90:91], v[90:91], v[98:99] op_sel_hi:[1,0]
	v_pk_fma_f32 v[104:105], v[72:73], v[56:57], v[96:97] op_sel_hi:[1,0,1]
	v_pk_fma_f32 v[56:57], v[72:73], v[56:57], v[96:97] neg_lo:[0,0,1] neg_hi:[0,0,1]
	v_mov_b32_e32 v98, v63
	v_pk_fma_f32 v[96:97], v[76:77], v[60:61], v[102:103] op_sel_hi:[1,0,1]
	v_pk_fma_f32 v[72:73], v[74:75], v[58:59], v[90:91] op_sel_hi:[1,0,1]
	v_mov_b32_e32 v57, v105
	v_pk_fma_f32 v[58:59], v[74:75], v[58:59], v[90:91] neg_lo:[0,0,1] neg_hi:[0,0,1]
	v_pk_mul_f32 v[92:93], v[92:93], v[98:99] op_sel_hi:[1,0]
	s_delay_alu instid0(VALU_DEP_4) | instskip(NEXT) | instid1(VALU_DEP_4)
	v_dual_mov_b32 v72, v67 :: v_dual_mov_b32 v59, v73
	v_pk_add_f32 v[56:57], v[56:57], 0 op_sel_hi:[1,0]
	v_pk_fma_f32 v[60:61], v[76:77], v[60:61], v[102:103] neg_lo:[0,0,1] neg_hi:[0,0,1]
	v_mov_b32_e32 v61, v97
	v_pk_fma_f32 v[74:75], v[78:79], v[62:63], v[92:93] op_sel_hi:[1,0,1]
	v_pk_mul_f32 v[72:73], v[94:95], v[72:73] op_sel_hi:[1,0]
	v_pk_add_f32 v[56:57], v[56:57], v[58:59]
	v_pk_fma_f32 v[58:59], v[80:81], v[64:65], v[106:107] op_sel_hi:[1,0,1]
	v_pk_fma_f32 v[62:63], v[78:79], v[62:63], v[92:93] neg_lo:[0,0,1] neg_hi:[0,0,1]
	v_mov_b32_e32 v63, v75
	v_pk_fma_f32 v[64:65], v[80:81], v[64:65], v[106:107] neg_lo:[0,0,1] neg_hi:[0,0,1]
	v_pk_add_f32 v[56:57], v[56:57], v[60:61]
	v_mov_b32_e32 v65, v59
	v_pk_fma_f32 v[58:59], v[82:83], v[66:67], v[72:73] op_sel_hi:[1,0,1]
	s_wait_loadcnt 0x1
	v_pk_mul_f32 v[60:61], v[84:85], v[68:69] op_sel:[1,1] op_sel_hi:[0,1]
	v_mov_b32_e32 v58, v71
	v_pk_add_f32 v[56:57], v[56:57], v[62:63]
	v_pk_fma_f32 v[66:67], v[82:83], v[66:67], v[72:73] neg_lo:[0,0,1] neg_hi:[0,0,1]
	v_mov_b32_e32 v67, v59
	v_pk_fma_f32 v[62:63], v[84:85], v[68:69], v[60:61] op_sel_hi:[1,0,1]
	v_pk_mul_f32 v[58:59], v[100:101], v[58:59] op_sel_hi:[1,0]
	v_pk_add_f32 v[56:57], v[56:57], v[64:65]
	v_pk_fma_f32 v[60:61], v[84:85], v[68:69], v[60:61] neg_lo:[0,0,1] neg_hi:[0,0,1]
	s_delay_alu instid0(VALU_DEP_4) | instskip(NEXT) | instid1(VALU_DEP_4)
	v_mov_b32_e32 v61, v63
	v_pk_fma_f32 v[62:63], v[86:87], v[70:71], v[58:59] op_sel_hi:[1,0,1]
	s_delay_alu instid0(VALU_DEP_4) | instskip(SKIP_1) | instid1(VALU_DEP_3)
	v_pk_add_f32 v[56:57], v[56:57], v[66:67]
	v_pk_fma_f32 v[58:59], v[86:87], v[70:71], v[58:59] neg_lo:[0,0,1] neg_hi:[0,0,1]
	v_mov_b32_e32 v59, v63
	s_delay_alu instid0(VALU_DEP_3) | instskip(NEXT) | instid1(VALU_DEP_1)
	v_pk_add_f32 v[56:57], v[56:57], v[60:61]
	v_pk_add_f32 v[56:57], v[56:57], v[58:59]
	s_wait_loadcnt 0x0
	s_delay_alu instid0(VALU_DEP_1)
	v_pk_add_f32 v[56:57], v[88:89], v[56:57] neg_lo:[0,1] neg_hi:[0,1]
	scratch_store_b64 off, v[56:57], off offset:144
	s_wait_xcnt 0x0
	v_cmpx_lt_u32_e32 17, v0
	s_cbranch_execz .LBB90_141
; %bb.140:
	scratch_load_b64 v[56:57], off, off offset:136
	v_mov_b64_e32 v[58:59], 0
	scratch_store_b64 off, v[58:59], off offset:136
	s_wait_loadcnt 0x0
	ds_store_b64 v1, v[56:57]
.LBB90_141:
	s_wait_xcnt 0x0
	s_or_b32 exec_lo, exec_lo, s0
	s_wait_storecnt_dscnt 0x0
	s_barrier_signal -1
	s_barrier_wait -1
	s_clause 0x5
	scratch_load_b128 v[56:59], off, off offset:144
	scratch_load_b128 v[60:63], off, off offset:160
	scratch_load_b128 v[64:67], off, off offset:176
	scratch_load_b128 v[68:71], off, off offset:192
	scratch_load_b64 v[88:89], off, off offset:208
	scratch_load_b64 v[90:91], off, off offset:136
	v_mov_b32_e32 v7, 0
	ds_load_b128 v[72:75], v7 offset:368
	ds_load_b128 v[76:79], v7 offset:384
	;; [unrolled: 1-line block ×4, first 2 shown]
	ds_load_b64 v[92:93], v7 offset:432
	s_mov_b32 s0, exec_lo
	s_wait_dscnt 0x4
	v_dual_mov_b32 v94, v75 :: v_dual_mov_b32 v95, v74
	s_wait_dscnt 0x1
	v_dual_mov_b32 v96, v79 :: v_dual_mov_b32 v101, v86
	v_dual_mov_b32 v97, v78 :: v_dual_mov_b32 v98, v83
	;; [unrolled: 1-line block ×3, first 2 shown]
	s_wait_loadcnt 0x5
	v_dual_mov_b32 v102, v59 :: v_dual_mul_f32 v103, v72, v57
	v_mul_f32_e32 v9, v73, v57
	s_wait_loadcnt 0x4
	v_pk_mul_f32 v[104:105], v[76:77], v[60:61] op_sel:[1,1] op_sel_hi:[0,1]
	v_mov_b32_e32 v106, v63
	s_wait_loadcnt 0x3
	v_pk_mul_f32 v[108:109], v[80:81], v[64:65] op_sel:[1,1] op_sel_hi:[0,1]
	v_pk_mul_f32 v[94:95], v[94:95], v[102:103] op_sel_hi:[1,0]
	v_dual_fmac_f32 v103, v73, v56 :: v_dual_fma_f32 v102, v72, v56, -v9
	v_mov_b32_e32 v56, v67
	v_pk_fma_f32 v[110:111], v[76:77], v[60:61], v[104:105] op_sel_hi:[1,0,1]
	s_delay_alu instid0(VALU_DEP_4)
	v_pk_fma_f32 v[72:73], v[74:75], v[58:59], v[94:95] op_sel_hi:[1,0,1]
	v_pk_fma_f32 v[58:59], v[74:75], v[58:59], v[94:95] neg_lo:[0,0,1] neg_hi:[0,0,1]
	v_pk_mul_f32 v[96:97], v[96:97], v[106:107] op_sel_hi:[1,0]
	v_pk_add_f32 v[102:103], v[102:103], 0 op_sel_hi:[1,0]
	v_pk_fma_f32 v[60:61], v[76:77], v[60:61], v[104:105] neg_lo:[0,0,1] neg_hi:[0,0,1]
	v_dual_mov_b32 v59, v73 :: v_dual_mov_b32 v61, v111
	s_delay_alu instid0(VALU_DEP_4) | instskip(SKIP_2) | instid1(VALU_DEP_4)
	v_pk_fma_f32 v[74:75], v[78:79], v[62:63], v[96:97] op_sel_hi:[1,0,1]
	v_pk_fma_f32 v[62:63], v[78:79], v[62:63], v[96:97] neg_lo:[0,0,1] neg_hi:[0,0,1]
	v_pk_fma_f32 v[76:77], v[80:81], v[64:65], v[108:109] op_sel_hi:[1,0,1]
	v_pk_add_f32 v[58:59], v[102:103], v[58:59]
	v_pk_mul_f32 v[56:57], v[98:99], v[56:57] op_sel_hi:[1,0]
	v_mov_b32_e32 v63, v75
	v_pk_fma_f32 v[64:65], v[80:81], v[64:65], v[108:109] neg_lo:[0,0,1] neg_hi:[0,0,1]
	s_wait_loadcnt 0x2
	v_pk_mul_f32 v[72:73], v[84:85], v[68:69] op_sel:[1,1] op_sel_hi:[0,1]
	v_pk_add_f32 v[58:59], v[58:59], v[60:61]
	v_mov_b32_e32 v60, v71
	v_pk_fma_f32 v[74:75], v[82:83], v[66:67], v[56:57] op_sel_hi:[1,0,1]
	v_mov_b32_e32 v65, v77
	v_pk_fma_f32 v[56:57], v[82:83], v[66:67], v[56:57] neg_lo:[0,0,1] neg_hi:[0,0,1]
	v_pk_add_f32 v[58:59], v[58:59], v[62:63]
	v_pk_fma_f32 v[62:63], v[84:85], v[68:69], v[72:73] op_sel_hi:[1,0,1]
	v_pk_mul_f32 v[60:61], v[100:101], v[60:61] op_sel_hi:[1,0]
	v_mov_b32_e32 v57, v75
	s_delay_alu instid0(VALU_DEP_4)
	v_pk_add_f32 v[58:59], v[58:59], v[64:65]
	v_pk_fma_f32 v[64:65], v[84:85], v[68:69], v[72:73] neg_lo:[0,0,1] neg_hi:[0,0,1]
	v_mov_b32_e32 v65, v63
	v_pk_fma_f32 v[62:63], v[86:87], v[70:71], v[60:61] op_sel_hi:[1,0,1]
	v_pk_fma_f32 v[60:61], v[86:87], v[70:71], v[60:61] neg_lo:[0,0,1] neg_hi:[0,0,1]
	v_pk_add_f32 v[56:57], v[58:59], v[56:57]
	s_wait_loadcnt_dscnt 0x100
	v_pk_mul_f32 v[58:59], v[92:93], v[88:89] op_sel:[1,1] op_sel_hi:[0,1]
	v_mov_b32_e32 v61, v63
	s_delay_alu instid0(VALU_DEP_3) | instskip(NEXT) | instid1(VALU_DEP_3)
	v_pk_add_f32 v[56:57], v[56:57], v[64:65]
	v_pk_fma_f32 v[62:63], v[92:93], v[88:89], v[58:59] op_sel_hi:[1,0,1]
	v_pk_fma_f32 v[58:59], v[92:93], v[88:89], v[58:59] neg_lo:[0,0,1] neg_hi:[0,0,1]
	s_delay_alu instid0(VALU_DEP_3) | instskip(NEXT) | instid1(VALU_DEP_3)
	v_pk_add_f32 v[56:57], v[56:57], v[60:61]
	v_mov_b32_e32 v59, v63
	s_delay_alu instid0(VALU_DEP_1) | instskip(SKIP_1) | instid1(VALU_DEP_1)
	v_pk_add_f32 v[56:57], v[56:57], v[58:59]
	s_wait_loadcnt 0x0
	v_pk_add_f32 v[56:57], v[90:91], v[56:57] neg_lo:[0,1] neg_hi:[0,1]
	scratch_store_b64 off, v[56:57], off offset:136
	s_wait_xcnt 0x0
	v_cmpx_lt_u32_e32 16, v0
	s_cbranch_execz .LBB90_143
; %bb.142:
	scratch_load_b64 v[56:57], off, off offset:128
	v_mov_b64_e32 v[58:59], 0
	scratch_store_b64 off, v[58:59], off offset:128
	s_wait_loadcnt 0x0
	ds_store_b64 v1, v[56:57]
.LBB90_143:
	s_wait_xcnt 0x0
	s_or_b32 exec_lo, exec_lo, s0
	s_wait_storecnt_dscnt 0x0
	s_barrier_signal -1
	s_barrier_wait -1
	s_clause 0x5
	scratch_load_b128 v[56:59], off, off offset:136
	scratch_load_b128 v[60:63], off, off offset:152
	;; [unrolled: 1-line block ×5, first 2 shown]
	scratch_load_b64 v[96:97], off, off offset:128
	ds_load_2addr_b64 v[76:79], v7 offset0:47 offset1:48
	ds_load_2addr_b64 v[80:83], v7 offset0:49 offset1:50
	;; [unrolled: 1-line block ×5, first 2 shown]
	s_mov_b32 s0, exec_lo
	s_wait_dscnt 0x4
	v_dual_mov_b32 v98, v79 :: v_dual_mov_b32 v99, v78
	s_wait_dscnt 0x3
	v_dual_mov_b32 v100, v83 :: v_dual_mov_b32 v101, v82
	;; [unrolled: 2-line block ×4, first 2 shown]
	s_wait_loadcnt_dscnt 0x500
	v_dual_mul_f32 v107, v92, v57 :: v_dual_mul_f32 v109, v94, v59
	v_dual_mul_f32 v7, v93, v57 :: v_dual_mul_f32 v9, v95, v59
	s_wait_loadcnt 0x4
	v_pk_mul_f32 v[110:111], v[76:77], v[60:61] op_sel:[1,1] op_sel_hi:[0,1]
	s_wait_loadcnt 0x3
	v_dual_mov_b32 v112, v63 :: v_dual_mov_b32 v116, v67
	v_dual_fmac_f32 v107, v93, v56 :: v_dual_fmac_f32 v109, v95, v58
	v_dual_fma_f32 v106, v92, v56, -v7 :: v_dual_fma_f32 v108, v94, v58, -v9
	v_pk_fma_f32 v[56:57], v[76:77], v[60:61], v[110:111] op_sel_hi:[1,0,1]
	s_delay_alu instid0(VALU_DEP_4) | instskip(SKIP_1) | instid1(VALU_DEP_4)
	v_pk_mul_f32 v[58:59], v[98:99], v[112:113] op_sel_hi:[1,0]
	v_pk_fma_f32 v[60:61], v[76:77], v[60:61], v[110:111] neg_lo:[0,0,1] neg_hi:[0,0,1]
	v_pk_add_f32 v[92:93], v[106:107], 0 op_sel_hi:[1,0]
	v_pk_mul_f32 v[114:115], v[80:81], v[64:65] op_sel:[1,1] op_sel_hi:[0,1]
	v_mov_b32_e32 v61, v57
	v_pk_fma_f32 v[56:57], v[78:79], v[62:63], v[58:59] op_sel_hi:[1,0,1]
	v_pk_fma_f32 v[58:59], v[78:79], v[62:63], v[58:59] neg_lo:[0,0,1] neg_hi:[0,0,1]
	v_pk_add_f32 v[76:77], v[92:93], v[108:109]
	v_pk_fma_f32 v[92:93], v[80:81], v[64:65], v[114:115] op_sel_hi:[1,0,1]
	v_pk_mul_f32 v[98:99], v[100:101], v[116:117] op_sel_hi:[1,0]
	v_mov_b32_e32 v59, v57
	s_wait_loadcnt 0x2
	v_pk_mul_f32 v[94:95], v[84:85], v[68:69] op_sel:[1,1] op_sel_hi:[0,1]
	v_pk_add_f32 v[56:57], v[76:77], v[60:61]
	v_mov_b32_e32 v60, v71
	v_pk_fma_f32 v[62:63], v[80:81], v[64:65], v[114:115] neg_lo:[0,0,1] neg_hi:[0,0,1]
	v_mov_b32_e32 v63, v93
	v_pk_fma_f32 v[64:65], v[82:83], v[66:67], v[98:99] op_sel_hi:[1,0,1]
	v_pk_add_f32 v[56:57], v[56:57], v[58:59]
	v_pk_fma_f32 v[58:59], v[84:85], v[68:69], v[94:95] op_sel_hi:[1,0,1]
	v_pk_mul_f32 v[60:61], v[102:103], v[60:61] op_sel_hi:[1,0]
	v_pk_fma_f32 v[66:67], v[82:83], v[66:67], v[98:99] neg_lo:[0,0,1] neg_hi:[0,0,1]
	v_mov_b32_e32 v67, v65
	v_pk_add_f32 v[56:57], v[56:57], v[62:63]
	v_pk_fma_f32 v[64:65], v[84:85], v[68:69], v[94:95] neg_lo:[0,0,1] neg_hi:[0,0,1]
	v_mov_b32_e32 v65, v59
	v_pk_fma_f32 v[58:59], v[86:87], v[70:71], v[60:61] op_sel_hi:[1,0,1]
	s_wait_loadcnt 0x1
	v_pk_mul_f32 v[62:63], v[88:89], v[72:73] op_sel:[1,1] op_sel_hi:[0,1]
	v_pk_add_f32 v[56:57], v[56:57], v[66:67]
	v_mov_b32_e32 v58, v75
	v_pk_fma_f32 v[60:61], v[86:87], v[70:71], v[60:61] neg_lo:[0,0,1] neg_hi:[0,0,1]
	v_mov_b32_e32 v61, v59
	v_pk_fma_f32 v[66:67], v[88:89], v[72:73], v[62:63] op_sel_hi:[1,0,1]
	v_pk_add_f32 v[56:57], v[56:57], v[64:65]
	v_pk_mul_f32 v[58:59], v[104:105], v[58:59] op_sel_hi:[1,0]
	v_pk_fma_f32 v[62:63], v[88:89], v[72:73], v[62:63] neg_lo:[0,0,1] neg_hi:[0,0,1]
	s_delay_alu instid0(VALU_DEP_3) | instskip(NEXT) | instid1(VALU_DEP_3)
	v_pk_add_f32 v[56:57], v[56:57], v[60:61]
	v_pk_fma_f32 v[60:61], v[90:91], v[74:75], v[58:59] op_sel_hi:[1,0,1]
	v_mov_b32_e32 v63, v67
	v_pk_fma_f32 v[58:59], v[90:91], v[74:75], v[58:59] neg_lo:[0,0,1] neg_hi:[0,0,1]
	s_delay_alu instid0(VALU_DEP_3) | instskip(NEXT) | instid1(VALU_DEP_3)
	v_mov_b32_e32 v59, v61
	v_pk_add_f32 v[56:57], v[56:57], v[62:63]
	s_delay_alu instid0(VALU_DEP_1) | instskip(SKIP_1) | instid1(VALU_DEP_1)
	v_pk_add_f32 v[56:57], v[56:57], v[58:59]
	s_wait_loadcnt 0x0
	v_pk_add_f32 v[56:57], v[96:97], v[56:57] neg_lo:[0,1] neg_hi:[0,1]
	scratch_store_b64 off, v[56:57], off offset:128
	s_wait_xcnt 0x0
	v_cmpx_lt_u32_e32 15, v0
	s_cbranch_execz .LBB90_145
; %bb.144:
	scratch_load_b64 v[56:57], off, off offset:120
	v_mov_b64_e32 v[58:59], 0
	scratch_store_b64 off, v[58:59], off offset:120
	s_wait_loadcnt 0x0
	ds_store_b64 v1, v[56:57]
.LBB90_145:
	s_wait_xcnt 0x0
	s_or_b32 exec_lo, exec_lo, s0
	s_wait_storecnt_dscnt 0x0
	s_barrier_signal -1
	s_barrier_wait -1
	s_clause 0x6
	scratch_load_b128 v[56:59], off, off offset:128
	scratch_load_b128 v[60:63], off, off offset:144
	;; [unrolled: 1-line block ×5, first 2 shown]
	scratch_load_b64 v[96:97], off, off offset:208
	scratch_load_b64 v[98:99], off, off offset:120
	v_mov_b32_e32 v7, 0
	ds_load_b128 v[76:79], v7 offset:368
	ds_load_b128 v[80:83], v7 offset:384
	;; [unrolled: 1-line block ×5, first 2 shown]
	ds_load_b64 v[100:101], v7 offset:432
	s_mov_b32 s0, exec_lo
	s_wait_dscnt 0x5
	v_dual_mov_b32 v102, v79 :: v_dual_mov_b32 v103, v78
	s_wait_dscnt 0x2
	v_dual_mov_b32 v104, v83 :: v_dual_mov_b32 v109, v90
	v_dual_mov_b32 v105, v82 :: v_dual_mov_b32 v106, v87
	;; [unrolled: 1-line block ×3, first 2 shown]
	s_wait_loadcnt_dscnt 0x601
	v_dual_mul_f32 v9, v92, v57 :: v_dual_mul_f32 v11, v93, v57
	v_dual_mul_f32 v13, v95, v59 :: v_dual_mul_f32 v111, v94, v59
	s_wait_loadcnt 0x5
	v_dual_mul_f32 v113, v76, v61 :: v_dual_mul_f32 v15, v77, v61
	s_wait_loadcnt 0x4
	v_dual_mov_b32 v112, v63 :: v_dual_mov_b32 v116, v67
	v_dual_fmac_f32 v9, v93, v56 :: v_dual_fma_f32 v11, v92, v56, -v11
	v_dual_fma_f32 v110, v94, v58, -v13 :: v_dual_fmac_f32 v111, v95, v58
	s_delay_alu instid0(VALU_DEP_3) | instskip(NEXT) | instid1(VALU_DEP_3)
	v_pk_mul_f32 v[56:57], v[102:103], v[112:113] op_sel_hi:[1,0]
	v_dual_add_f32 v59, 0, v9 :: v_dual_add_f32 v58, 0, v11
	s_wait_loadcnt 0x3
	v_mov_b32_e32 v92, v71
	v_pk_mul_f32 v[114:115], v[80:81], v[64:65] op_sel:[1,1] op_sel_hi:[0,1]
	v_dual_fmac_f32 v113, v77, v60 :: v_dual_fma_f32 v112, v76, v60, -v15
	v_pk_fma_f32 v[60:61], v[78:79], v[62:63], v[56:57] op_sel_hi:[1,0,1]
	v_pk_add_f32 v[58:59], v[58:59], v[110:111]
	v_pk_fma_f32 v[56:57], v[78:79], v[62:63], v[56:57] neg_lo:[0,0,1] neg_hi:[0,0,1]
	v_pk_fma_f32 v[76:77], v[80:81], v[64:65], v[114:115] op_sel_hi:[1,0,1]
	v_pk_mul_f32 v[94:95], v[104:105], v[116:117] op_sel_hi:[1,0]
	v_mov_b32_e32 v57, v61
	v_pk_add_f32 v[58:59], v[58:59], v[112:113]
	v_pk_fma_f32 v[62:63], v[80:81], v[64:65], v[114:115] neg_lo:[0,0,1] neg_hi:[0,0,1]
	v_pk_mul_f32 v[118:119], v[84:85], v[68:69] op_sel:[1,1] op_sel_hi:[0,1]
	v_mov_b32_e32 v63, v77
	v_pk_fma_f32 v[64:65], v[82:83], v[66:67], v[94:95] op_sel_hi:[1,0,1]
	v_pk_add_f32 v[56:57], v[58:59], v[56:57]
	v_pk_fma_f32 v[66:67], v[82:83], v[66:67], v[94:95] neg_lo:[0,0,1] neg_hi:[0,0,1]
	v_pk_fma_f32 v[58:59], v[84:85], v[68:69], v[118:119] op_sel_hi:[1,0,1]
	v_pk_mul_f32 v[76:77], v[106:107], v[92:93] op_sel_hi:[1,0]
	s_wait_loadcnt 0x2
	v_dual_mov_b32 v67, v65 :: v_dual_mov_b32 v58, v75
	v_pk_add_f32 v[56:57], v[56:57], v[62:63]
	v_pk_fma_f32 v[62:63], v[84:85], v[68:69], v[118:119] neg_lo:[0,0,1] neg_hi:[0,0,1]
	v_pk_mul_f32 v[60:61], v[88:89], v[72:73] op_sel:[1,1] op_sel_hi:[0,1]
	v_pk_fma_f32 v[64:65], v[86:87], v[70:71], v[76:77] op_sel_hi:[1,0,1]
	v_mov_b32_e32 v63, v59
	v_pk_add_f32 v[56:57], v[56:57], v[66:67]
	v_pk_fma_f32 v[68:69], v[86:87], v[70:71], v[76:77] neg_lo:[0,0,1] neg_hi:[0,0,1]
	v_pk_fma_f32 v[66:67], v[88:89], v[72:73], v[60:61] op_sel_hi:[1,0,1]
	v_pk_mul_f32 v[58:59], v[108:109], v[58:59] op_sel_hi:[1,0]
	v_mov_b32_e32 v69, v65
	v_pk_add_f32 v[56:57], v[56:57], v[62:63]
	v_pk_fma_f32 v[60:61], v[88:89], v[72:73], v[60:61] neg_lo:[0,0,1] neg_hi:[0,0,1]
	s_wait_loadcnt_dscnt 0x100
	v_pk_mul_f32 v[64:65], v[100:101], v[96:97] op_sel:[1,1] op_sel_hi:[0,1]
	v_pk_fma_f32 v[62:63], v[90:91], v[74:75], v[58:59] op_sel_hi:[1,0,1]
	v_mov_b32_e32 v61, v67
	v_pk_add_f32 v[56:57], v[56:57], v[68:69]
	v_pk_fma_f32 v[58:59], v[90:91], v[74:75], v[58:59] neg_lo:[0,0,1] neg_hi:[0,0,1]
	s_delay_alu instid0(VALU_DEP_4) | instskip(SKIP_1) | instid1(VALU_DEP_4)
	v_mov_b32_e32 v59, v63
	v_pk_fma_f32 v[62:63], v[100:101], v[96:97], v[64:65] neg_lo:[0,0,1] neg_hi:[0,0,1]
	v_pk_add_f32 v[56:57], v[56:57], v[60:61]
	v_pk_fma_f32 v[60:61], v[100:101], v[96:97], v[64:65] op_sel_hi:[1,0,1]
	s_delay_alu instid0(VALU_DEP_2) | instskip(NEXT) | instid1(VALU_DEP_2)
	v_pk_add_f32 v[56:57], v[56:57], v[58:59]
	v_mov_b32_e32 v63, v61
	s_delay_alu instid0(VALU_DEP_1) | instskip(SKIP_1) | instid1(VALU_DEP_1)
	v_pk_add_f32 v[56:57], v[56:57], v[62:63]
	s_wait_loadcnt 0x0
	v_pk_add_f32 v[56:57], v[98:99], v[56:57] neg_lo:[0,1] neg_hi:[0,1]
	scratch_store_b64 off, v[56:57], off offset:120
	s_wait_xcnt 0x0
	v_cmpx_lt_u32_e32 14, v0
	s_cbranch_execz .LBB90_147
; %bb.146:
	scratch_load_b64 v[56:57], off, off offset:112
	v_mov_b64_e32 v[58:59], 0
	scratch_store_b64 off, v[58:59], off offset:112
	s_wait_loadcnt 0x0
	ds_store_b64 v1, v[56:57]
.LBB90_147:
	s_wait_xcnt 0x0
	s_or_b32 exec_lo, exec_lo, s0
	s_wait_storecnt_dscnt 0x0
	s_barrier_signal -1
	s_barrier_wait -1
	s_clause 0x6
	scratch_load_b128 v[56:59], off, off offset:120
	scratch_load_b128 v[60:63], off, off offset:136
	;; [unrolled: 1-line block ×6, first 2 shown]
	scratch_load_b64 v[104:105], off, off offset:112
	ds_load_2addr_b64 v[80:83], v7 offset0:47 offset1:48
	ds_load_2addr_b64 v[84:87], v7 offset0:49 offset1:50
	;; [unrolled: 1-line block ×6, first 2 shown]
	s_mov_b32 s0, exec_lo
	s_wait_dscnt 0x5
	v_dual_mov_b32 v106, v83 :: v_dual_mov_b32 v107, v82
	s_wait_dscnt 0x4
	v_dual_mov_b32 v108, v87 :: v_dual_mov_b32 v109, v86
	;; [unrolled: 2-line block ×4, first 2 shown]
	s_wait_loadcnt_dscnt 0x601
	v_dual_mul_f32 v7, v96, v57 :: v_dual_mul_f32 v9, v98, v59
	v_dual_mul_f32 v11, v97, v57 :: v_dual_mul_f32 v13, v99, v59
	s_wait_loadcnt 0x4
	s_delay_alu instid0(VALU_DEP_2)
	v_dual_mov_b32 v120, v67 :: v_dual_fmac_f32 v7, v97, v56
	s_wait_dscnt 0x0
	v_dual_mul_f32 v115, v100, v61 :: v_dual_mul_f32 v117, v102, v63
	v_dual_fma_f32 v11, v96, v56, -v11 :: v_dual_fmac_f32 v9, v99, v58
	v_dual_mul_f32 v15, v101, v61 :: v_dual_mul_f32 v17, v103, v63
	v_dual_fma_f32 v13, v98, v58, -v13 :: v_dual_add_f32 v7, 0, v7
	s_wait_loadcnt 0x3
	s_delay_alu instid0(VALU_DEP_3) | instskip(SKIP_3) | instid1(VALU_DEP_4)
	v_dual_add_f32 v11, 0, v11 :: v_dual_mov_b32 v58, v71
	v_pk_mul_f32 v[118:119], v[80:81], v[64:65] op_sel:[1,1] op_sel_hi:[0,1]
	v_pk_mul_f32 v[56:57], v[84:85], v[68:69] op_sel:[1,1] op_sel_hi:[0,1]
	v_dual_fmac_f32 v115, v101, v60 :: v_dual_add_f32 v61, v7, v9
	v_dual_fma_f32 v114, v100, v60, -v15 :: v_dual_add_f32 v60, v11, v13
	v_fmac_f32_e32 v117, v103, v62
	v_fma_f32 v116, v102, v62, -v17
	v_pk_fma_f32 v[62:63], v[80:81], v[64:65], v[118:119] op_sel_hi:[1,0,1]
	v_pk_mul_f32 v[96:97], v[106:107], v[120:121] op_sel_hi:[1,0]
	v_pk_add_f32 v[60:61], v[60:61], v[114:115]
	v_pk_fma_f32 v[64:65], v[80:81], v[64:65], v[118:119] neg_lo:[0,0,1] neg_hi:[0,0,1]
	v_pk_fma_f32 v[80:81], v[84:85], v[68:69], v[56:57] op_sel_hi:[1,0,1]
	v_pk_fma_f32 v[56:57], v[84:85], v[68:69], v[56:57] neg_lo:[0,0,1] neg_hi:[0,0,1]
	v_mov_b32_e32 v65, v63
	v_pk_fma_f32 v[62:63], v[82:83], v[66:67], v[96:97] op_sel_hi:[1,0,1]
	v_pk_fma_f32 v[66:67], v[82:83], v[66:67], v[96:97] neg_lo:[0,0,1] neg_hi:[0,0,1]
	v_mov_b32_e32 v57, v81
	v_pk_add_f32 v[60:61], v[60:61], v[116:117]
	v_pk_mul_f32 v[58:59], v[108:109], v[58:59] op_sel_hi:[1,0]
	s_wait_loadcnt 0x2
	v_dual_mov_b32 v67, v63 :: v_dual_mov_b32 v62, v75
	v_pk_mul_f32 v[98:99], v[88:89], v[72:73] op_sel:[1,1] op_sel_hi:[0,1]
	v_pk_add_f32 v[60:61], v[60:61], v[64:65]
	v_pk_fma_f32 v[64:65], v[86:87], v[70:71], v[58:59] op_sel_hi:[1,0,1]
	v_pk_fma_f32 v[58:59], v[86:87], v[70:71], v[58:59] neg_lo:[0,0,1] neg_hi:[0,0,1]
	v_pk_mul_f32 v[62:63], v[110:111], v[62:63] op_sel_hi:[1,0]
	s_delay_alu instid0(VALU_DEP_4) | instskip(SKIP_3) | instid1(VALU_DEP_4)
	v_pk_add_f32 v[60:61], v[60:61], v[66:67]
	v_pk_fma_f32 v[66:67], v[88:89], v[72:73], v[98:99] op_sel_hi:[1,0,1]
	v_mov_b32_e32 v59, v65
	v_pk_fma_f32 v[64:65], v[88:89], v[72:73], v[98:99] neg_lo:[0,0,1] neg_hi:[0,0,1]
	v_pk_add_f32 v[56:57], v[60:61], v[56:57]
	s_wait_loadcnt 0x1
	v_pk_mul_f32 v[60:61], v[92:93], v[76:77] op_sel:[1,1] op_sel_hi:[0,1]
	v_mov_b32_e32 v65, v67
	v_pk_fma_f32 v[66:67], v[90:91], v[74:75], v[62:63] op_sel_hi:[1,0,1]
	v_pk_fma_f32 v[62:63], v[90:91], v[74:75], v[62:63] neg_lo:[0,0,1] neg_hi:[0,0,1]
	v_pk_add_f32 v[56:57], v[56:57], v[58:59]
	v_mov_b32_e32 v58, v79
	v_pk_fma_f32 v[68:69], v[92:93], v[76:77], v[60:61] op_sel_hi:[1,0,1]
	v_mov_b32_e32 v63, v67
	v_pk_fma_f32 v[60:61], v[92:93], v[76:77], v[60:61] neg_lo:[0,0,1] neg_hi:[0,0,1]
	v_pk_add_f32 v[56:57], v[56:57], v[64:65]
	v_pk_mul_f32 v[58:59], v[112:113], v[58:59] op_sel_hi:[1,0]
	s_delay_alu instid0(VALU_DEP_2) | instskip(NEXT) | instid1(VALU_DEP_2)
	v_pk_add_f32 v[56:57], v[56:57], v[62:63]
	v_pk_fma_f32 v[62:63], v[94:95], v[78:79], v[58:59] op_sel_hi:[1,0,1]
	v_mov_b32_e32 v61, v69
	v_pk_fma_f32 v[58:59], v[94:95], v[78:79], v[58:59] neg_lo:[0,0,1] neg_hi:[0,0,1]
	s_delay_alu instid0(VALU_DEP_3) | instskip(NEXT) | instid1(VALU_DEP_3)
	v_mov_b32_e32 v59, v63
	v_pk_add_f32 v[56:57], v[56:57], v[60:61]
	s_delay_alu instid0(VALU_DEP_1) | instskip(SKIP_1) | instid1(VALU_DEP_1)
	v_pk_add_f32 v[56:57], v[56:57], v[58:59]
	s_wait_loadcnt 0x0
	v_pk_add_f32 v[56:57], v[104:105], v[56:57] neg_lo:[0,1] neg_hi:[0,1]
	scratch_store_b64 off, v[56:57], off offset:112
	s_wait_xcnt 0x0
	v_cmpx_lt_u32_e32 13, v0
	s_cbranch_execz .LBB90_149
; %bb.148:
	scratch_load_b64 v[56:57], off, off offset:104
	v_mov_b64_e32 v[58:59], 0
	scratch_store_b64 off, v[58:59], off offset:104
	s_wait_loadcnt 0x0
	ds_store_b64 v1, v[56:57]
.LBB90_149:
	s_wait_xcnt 0x0
	s_or_b32 exec_lo, exec_lo, s0
	s_wait_storecnt_dscnt 0x0
	s_barrier_signal -1
	s_barrier_wait -1
	s_clause 0x7
	scratch_load_b128 v[56:59], off, off offset:112
	scratch_load_b128 v[60:63], off, off offset:128
	;; [unrolled: 1-line block ×6, first 2 shown]
	scratch_load_b64 v[104:105], off, off offset:208
	scratch_load_b64 v[106:107], off, off offset:104
	v_mov_b32_e32 v7, 0
	ds_load_b128 v[80:83], v7 offset:368
	ds_load_b128 v[84:87], v7 offset:384
	ds_load_b128 v[88:91], v7 offset:400
	ds_load_b128 v[92:95], v7 offset:416
	ds_load_b128 v[96:99], v7 offset:336
	ds_load_b128 v[100:103], v7 offset:352
	ds_load_b64 v[108:109], v7 offset:432
	s_mov_b32 s0, exec_lo
	s_wait_dscnt 0x6
	v_dual_mov_b32 v110, v83 :: v_dual_mov_b32 v111, v82
	s_wait_dscnt 0x3
	v_dual_mov_b32 v112, v87 :: v_dual_mov_b32 v117, v94
	v_dual_mov_b32 v113, v86 :: v_dual_mov_b32 v114, v91
	v_dual_mov_b32 v115, v90 :: v_dual_mov_b32 v116, v95
	s_wait_loadcnt_dscnt 0x702
	v_dual_mul_f32 v9, v96, v57 :: v_dual_mul_f32 v15, v97, v57
	v_dual_mul_f32 v17, v99, v59 :: v_dual_mul_f32 v11, v98, v59
	s_wait_loadcnt_dscnt 0x601
	s_delay_alu instid0(VALU_DEP_2) | instskip(NEXT) | instid1(VALU_DEP_3)
	v_dual_mul_f32 v13, v100, v61 :: v_dual_fmac_f32 v9, v97, v56
	v_dual_fma_f32 v15, v96, v56, -v15 :: v_dual_mul_f32 v19, v101, v61
	v_mul_f32_e32 v21, v103, v63
	s_wait_loadcnt 0x4
	v_dual_mov_b32 v56, v71 :: v_dual_fma_f32 v17, v98, v58, -v17
	v_dual_fmac_f32 v11, v99, v58 :: v_dual_add_f32 v9, 0, v9
	v_dual_add_f32 v15, 0, v15 :: v_dual_fmac_f32 v13, v101, v60
	v_dual_mul_f32 v119, v102, v63 :: v_dual_mul_f32 v121, v80, v65
	v_dual_mul_f32 v23, v81, v65 :: v_dual_mov_b32 v120, v67
	s_delay_alu instid0(VALU_DEP_4) | instskip(NEXT) | instid1(VALU_DEP_4)
	v_dual_fma_f32 v19, v100, v60, -v19 :: v_dual_add_f32 v9, v9, v11
	v_dual_add_f32 v11, v15, v17 :: v_dual_fma_f32 v118, v102, v62, -v21
	s_delay_alu instid0(VALU_DEP_4) | instskip(NEXT) | instid1(VALU_DEP_4)
	v_fmac_f32_e32 v119, v103, v62
	v_pk_mul_f32 v[60:61], v[110:111], v[120:121] op_sel_hi:[1,0]
	s_delay_alu instid0(VALU_DEP_3)
	v_dual_add_f32 v63, v9, v13 :: v_dual_add_f32 v62, v11, v19
	v_fmac_f32_e32 v121, v81, v64
	v_pk_mul_f32 v[122:123], v[84:85], v[68:69] op_sel:[1,1] op_sel_hi:[0,1]
	s_wait_loadcnt 0x3
	v_dual_mov_b32 v96, v75 :: v_dual_fma_f32 v120, v80, v64, -v23
	v_pk_fma_f32 v[64:65], v[82:83], v[66:67], v[60:61] op_sel_hi:[1,0,1]
	v_pk_add_f32 v[62:63], v[62:63], v[118:119]
	v_pk_fma_f32 v[60:61], v[82:83], v[66:67], v[60:61] neg_lo:[0,0,1] neg_hi:[0,0,1]
	v_pk_fma_f32 v[80:81], v[84:85], v[68:69], v[122:123] op_sel_hi:[1,0,1]
	v_pk_mul_f32 v[56:57], v[112:113], v[56:57] op_sel_hi:[1,0]
	v_mov_b32_e32 v61, v65
	v_pk_add_f32 v[62:63], v[62:63], v[120:121]
	v_pk_fma_f32 v[66:67], v[84:85], v[68:69], v[122:123] neg_lo:[0,0,1] neg_hi:[0,0,1]
	v_pk_mul_f32 v[58:59], v[88:89], v[72:73] op_sel:[1,1] op_sel_hi:[0,1]
	v_mov_b32_e32 v67, v81
	v_pk_fma_f32 v[68:69], v[86:87], v[70:71], v[56:57] op_sel_hi:[1,0,1]
	v_pk_add_f32 v[60:61], v[62:63], v[60:61]
	v_pk_fma_f32 v[56:57], v[86:87], v[70:71], v[56:57] neg_lo:[0,0,1] neg_hi:[0,0,1]
	v_pk_fma_f32 v[62:63], v[88:89], v[72:73], v[58:59] op_sel_hi:[1,0,1]
	v_pk_mul_f32 v[80:81], v[114:115], v[96:97] op_sel_hi:[1,0]
	s_wait_loadcnt 0x2
	v_dual_mov_b32 v57, v69 :: v_dual_mov_b32 v62, v79
	v_pk_add_f32 v[60:61], v[60:61], v[66:67]
	v_pk_fma_f32 v[58:59], v[88:89], v[72:73], v[58:59] neg_lo:[0,0,1] neg_hi:[0,0,1]
	v_pk_mul_f32 v[64:65], v[92:93], v[76:77] op_sel:[1,1] op_sel_hi:[0,1]
	v_pk_fma_f32 v[66:67], v[90:91], v[74:75], v[80:81] op_sel_hi:[1,0,1]
	v_mov_b32_e32 v59, v63
	v_pk_add_f32 v[56:57], v[60:61], v[56:57]
	v_pk_fma_f32 v[68:69], v[90:91], v[74:75], v[80:81] neg_lo:[0,0,1] neg_hi:[0,0,1]
	v_pk_fma_f32 v[60:61], v[92:93], v[76:77], v[64:65] op_sel_hi:[1,0,1]
	v_pk_mul_f32 v[62:63], v[116:117], v[62:63] op_sel_hi:[1,0]
	v_mov_b32_e32 v69, v67
	v_pk_add_f32 v[56:57], v[56:57], v[58:59]
	v_pk_fma_f32 v[58:59], v[92:93], v[76:77], v[64:65] neg_lo:[0,0,1] neg_hi:[0,0,1]
	v_mov_b32_e32 v59, v61
	v_pk_fma_f32 v[60:61], v[94:95], v[78:79], v[62:63] op_sel_hi:[1,0,1]
	s_wait_loadcnt_dscnt 0x100
	v_pk_mul_f32 v[64:65], v[108:109], v[104:105] op_sel:[1,1] op_sel_hi:[0,1]
	v_pk_add_f32 v[56:57], v[56:57], v[68:69]
	v_pk_fma_f32 v[62:63], v[94:95], v[78:79], v[62:63] neg_lo:[0,0,1] neg_hi:[0,0,1]
	v_mov_b32_e32 v63, v61
	s_delay_alu instid0(VALU_DEP_4) | instskip(NEXT) | instid1(VALU_DEP_4)
	v_pk_fma_f32 v[60:61], v[108:109], v[104:105], v[64:65] neg_lo:[0,0,1] neg_hi:[0,0,1]
	v_pk_add_f32 v[56:57], v[56:57], v[58:59]
	v_pk_fma_f32 v[58:59], v[108:109], v[104:105], v[64:65] op_sel_hi:[1,0,1]
	s_delay_alu instid0(VALU_DEP_2) | instskip(NEXT) | instid1(VALU_DEP_2)
	v_pk_add_f32 v[56:57], v[56:57], v[62:63]
	v_mov_b32_e32 v61, v59
	s_delay_alu instid0(VALU_DEP_1) | instskip(SKIP_1) | instid1(VALU_DEP_1)
	v_pk_add_f32 v[56:57], v[56:57], v[60:61]
	s_wait_loadcnt 0x0
	v_pk_add_f32 v[56:57], v[106:107], v[56:57] neg_lo:[0,1] neg_hi:[0,1]
	scratch_store_b64 off, v[56:57], off offset:104
	s_wait_xcnt 0x0
	v_cmpx_lt_u32_e32 12, v0
	s_cbranch_execz .LBB90_151
; %bb.150:
	scratch_load_b64 v[56:57], off, off offset:96
	v_mov_b64_e32 v[58:59], 0
	scratch_store_b64 off, v[58:59], off offset:96
	s_wait_loadcnt 0x0
	ds_store_b64 v1, v[56:57]
.LBB90_151:
	s_wait_xcnt 0x0
	s_or_b32 exec_lo, exec_lo, s0
	s_wait_storecnt_dscnt 0x0
	s_barrier_signal -1
	s_barrier_wait -1
	s_clause 0x7
	scratch_load_b128 v[56:59], off, off offset:104
	scratch_load_b128 v[60:63], off, off offset:120
	;; [unrolled: 1-line block ×7, first 2 shown]
	scratch_load_b64 v[112:113], off, off offset:96
	ds_load_2addr_b64 v[84:87], v7 offset0:47 offset1:48
	ds_load_2addr_b64 v[88:91], v7 offset0:49 offset1:50
	;; [unrolled: 1-line block ×7, first 2 shown]
	s_mov_b32 s0, exec_lo
	s_wait_dscnt 0x6
	v_dual_mov_b32 v114, v87 :: v_dual_mov_b32 v115, v86
	s_wait_dscnt 0x5
	v_dual_mov_b32 v116, v91 :: v_dual_mov_b32 v117, v90
	;; [unrolled: 2-line block ×4, first 2 shown]
	s_wait_loadcnt_dscnt 0x702
	v_dual_mul_f32 v7, v100, v57 :: v_dual_mul_f32 v9, v102, v59
	v_dual_mul_f32 v15, v101, v57 :: v_dual_mul_f32 v17, v103, v59
	s_wait_loadcnt_dscnt 0x601
	v_dual_mul_f32 v11, v104, v61 :: v_dual_mul_f32 v13, v106, v63
	s_delay_alu instid0(VALU_DEP_3) | instskip(NEXT) | instid1(VALU_DEP_3)
	v_dual_fmac_f32 v7, v101, v56 :: v_dual_fmac_f32 v9, v103, v58
	v_dual_fma_f32 v15, v100, v56, -v15 :: v_dual_fma_f32 v17, v102, v58, -v17
	v_dual_mul_f32 v19, v105, v61 :: v_dual_mul_f32 v21, v107, v63
	s_wait_loadcnt 0x4
	s_delay_alu instid0(VALU_DEP_3) | instskip(NEXT) | instid1(VALU_DEP_3)
	v_dual_add_f32 v7, 0, v7 :: v_dual_mov_b32 v58, v71
	v_dual_add_f32 v15, 0, v15 :: v_dual_fmac_f32 v11, v105, v60
	s_delay_alu instid0(VALU_DEP_2) | instskip(SKIP_2) | instid1(VALU_DEP_3)
	v_dual_fma_f32 v19, v104, v60, -v19 :: v_dual_add_f32 v7, v7, v9
	s_wait_dscnt 0x0
	v_dual_mul_f32 v123, v108, v65 :: v_dual_mul_f32 v125, v110, v67
	v_dual_add_f32 v9, v15, v17 :: v_dual_fma_f32 v15, v106, v62, -v21
	v_dual_mul_f32 v23, v109, v65 :: v_dual_mul_f32 v25, v111, v67
	s_delay_alu instid0(VALU_DEP_2) | instskip(NEXT) | instid1(VALU_DEP_4)
	v_dual_fmac_f32 v13, v107, v62 :: v_dual_add_f32 v9, v9, v19
	v_dual_add_f32 v7, v7, v11 :: v_dual_fmac_f32 v123, v109, v64
	v_pk_mul_f32 v[56:57], v[84:85], v[68:69] op_sel:[1,1] op_sel_hi:[0,1]
	s_wait_loadcnt 0x3
	v_pk_mul_f32 v[60:61], v[88:89], v[72:73] op_sel:[1,1] op_sel_hi:[0,1]
	v_dual_mov_b32 v62, v75 :: v_dual_fma_f32 v122, v108, v64, -v23
	v_dual_add_f32 v65, v7, v13 :: v_dual_add_f32 v64, v9, v15
	v_fmac_f32_e32 v125, v111, v66
	v_fma_f32 v124, v110, v66, -v25
	v_pk_fma_f32 v[66:67], v[84:85], v[68:69], v[56:57] op_sel_hi:[1,0,1]
	v_pk_mul_f32 v[58:59], v[114:115], v[58:59] op_sel_hi:[1,0]
	v_pk_add_f32 v[64:65], v[64:65], v[122:123]
	v_pk_fma_f32 v[56:57], v[84:85], v[68:69], v[56:57] neg_lo:[0,0,1] neg_hi:[0,0,1]
	v_pk_fma_f32 v[68:69], v[88:89], v[72:73], v[60:61] op_sel_hi:[1,0,1]
	v_pk_fma_f32 v[60:61], v[88:89], v[72:73], v[60:61] neg_lo:[0,0,1] neg_hi:[0,0,1]
	v_mov_b32_e32 v57, v67
	v_pk_fma_f32 v[66:67], v[86:87], v[70:71], v[58:59] op_sel_hi:[1,0,1]
	v_pk_fma_f32 v[58:59], v[86:87], v[70:71], v[58:59] neg_lo:[0,0,1] neg_hi:[0,0,1]
	v_mov_b32_e32 v61, v69
	v_pk_add_f32 v[64:65], v[64:65], v[124:125]
	v_pk_mul_f32 v[62:63], v[116:117], v[62:63] op_sel_hi:[1,0]
	v_mov_b32_e32 v59, v67
	s_wait_loadcnt 0x2
	v_pk_mul_f32 v[100:101], v[92:93], v[76:77] op_sel:[1,1] op_sel_hi:[0,1]
	v_pk_add_f32 v[56:57], v[64:65], v[56:57]
	v_mov_b32_e32 v64, v79
	v_pk_fma_f32 v[66:67], v[90:91], v[74:75], v[62:63] op_sel_hi:[1,0,1]
	v_pk_fma_f32 v[62:63], v[90:91], v[74:75], v[62:63] neg_lo:[0,0,1] neg_hi:[0,0,1]
	s_delay_alu instid0(VALU_DEP_4)
	v_pk_add_f32 v[56:57], v[56:57], v[58:59]
	v_pk_fma_f32 v[58:59], v[92:93], v[76:77], v[100:101] op_sel_hi:[1,0,1]
	v_pk_mul_f32 v[64:65], v[118:119], v[64:65] op_sel_hi:[1,0]
	v_mov_b32_e32 v63, v67
	v_pk_fma_f32 v[66:67], v[92:93], v[76:77], v[100:101] neg_lo:[0,0,1] neg_hi:[0,0,1]
	v_pk_add_f32 v[56:57], v[56:57], v[60:61]
	v_mov_b32_e32 v67, v59
	v_pk_fma_f32 v[58:59], v[94:95], v[78:79], v[64:65] op_sel_hi:[1,0,1]
	s_wait_loadcnt 0x1
	v_pk_mul_f32 v[60:61], v[96:97], v[80:81] op_sel:[1,1] op_sel_hi:[0,1]
	v_mov_b32_e32 v58, v83
	v_pk_add_f32 v[56:57], v[56:57], v[62:63]
	v_pk_fma_f32 v[64:65], v[94:95], v[78:79], v[64:65] neg_lo:[0,0,1] neg_hi:[0,0,1]
	v_mov_b32_e32 v65, v59
	v_pk_fma_f32 v[62:63], v[96:97], v[80:81], v[60:61] op_sel_hi:[1,0,1]
	v_pk_mul_f32 v[58:59], v[120:121], v[58:59] op_sel_hi:[1,0]
	v_pk_add_f32 v[56:57], v[56:57], v[66:67]
	v_pk_fma_f32 v[60:61], v[96:97], v[80:81], v[60:61] neg_lo:[0,0,1] neg_hi:[0,0,1]
	s_delay_alu instid0(VALU_DEP_4) | instskip(NEXT) | instid1(VALU_DEP_4)
	v_mov_b32_e32 v61, v63
	v_pk_fma_f32 v[62:63], v[98:99], v[82:83], v[58:59] op_sel_hi:[1,0,1]
	s_delay_alu instid0(VALU_DEP_4) | instskip(SKIP_1) | instid1(VALU_DEP_3)
	v_pk_add_f32 v[56:57], v[56:57], v[64:65]
	v_pk_fma_f32 v[58:59], v[98:99], v[82:83], v[58:59] neg_lo:[0,0,1] neg_hi:[0,0,1]
	v_mov_b32_e32 v59, v63
	s_delay_alu instid0(VALU_DEP_3) | instskip(NEXT) | instid1(VALU_DEP_1)
	v_pk_add_f32 v[56:57], v[56:57], v[60:61]
	v_pk_add_f32 v[56:57], v[56:57], v[58:59]
	s_wait_loadcnt 0x0
	s_delay_alu instid0(VALU_DEP_1)
	v_pk_add_f32 v[56:57], v[112:113], v[56:57] neg_lo:[0,1] neg_hi:[0,1]
	scratch_store_b64 off, v[56:57], off offset:96
	s_wait_xcnt 0x0
	v_cmpx_lt_u32_e32 11, v0
	s_cbranch_execz .LBB90_153
; %bb.152:
	scratch_load_b64 v[56:57], off, off offset:88
	v_mov_b64_e32 v[58:59], 0
	scratch_store_b64 off, v[58:59], off offset:88
	s_wait_loadcnt 0x0
	ds_store_b64 v1, v[56:57]
.LBB90_153:
	s_wait_xcnt 0x0
	s_or_b32 exec_lo, exec_lo, s0
	s_wait_storecnt_dscnt 0x0
	s_barrier_signal -1
	s_barrier_wait -1
	s_clause 0x8
	scratch_load_b128 v[56:59], off, off offset:96
	scratch_load_b128 v[60:63], off, off offset:112
	;; [unrolled: 1-line block ×7, first 2 shown]
	scratch_load_b64 v[112:113], off, off offset:208
	scratch_load_b64 v[114:115], off, off offset:88
	v_mov_b32_e32 v7, 0
	ds_load_b128 v[84:87], v7 offset:368
	ds_load_b128 v[88:91], v7 offset:384
	;; [unrolled: 1-line block ×7, first 2 shown]
	ds_load_b64 v[116:117], v7 offset:432
	s_mov_b32 s0, exec_lo
	s_wait_dscnt 0x7
	v_dual_mov_b32 v118, v87 :: v_dual_mov_b32 v119, v86
	s_wait_dscnt 0x4
	v_dual_mov_b32 v120, v91 :: v_dual_mov_b32 v125, v98
	v_dual_mov_b32 v121, v90 :: v_dual_mov_b32 v122, v95
	;; [unrolled: 1-line block ×3, first 2 shown]
	s_wait_loadcnt_dscnt 0x803
	v_dual_mul_f32 v9, v100, v57 :: v_dual_mul_f32 v19, v101, v57
	v_dual_mul_f32 v21, v103, v59 :: v_dual_mul_f32 v11, v102, v59
	s_wait_loadcnt_dscnt 0x702
	v_mul_f32_e32 v13, v104, v61
	s_wait_loadcnt 0x5
	v_dual_mul_f32 v31, v85, v69 :: v_dual_fma_f32 v19, v100, v56, -v19
	v_dual_fmac_f32 v9, v101, v56 :: v_dual_mov_b32 v56, v71
	v_dual_mul_f32 v23, v105, v61 :: v_dual_mul_f32 v25, v107, v63
	v_dual_fmac_f32 v11, v103, v58 :: v_dual_fma_f32 v21, v102, v58, -v21
	s_delay_alu instid0(VALU_DEP_3) | instskip(SKIP_3) | instid1(VALU_DEP_3)
	v_dual_add_f32 v9, 0, v9 :: v_dual_add_f32 v19, 0, v19
	s_wait_dscnt 0x1
	v_dual_mul_f32 v15, v106, v63 :: v_dual_mul_f32 v17, v108, v65
	v_dual_fmac_f32 v13, v105, v60 :: v_dual_fma_f32 v23, v104, v60, -v23
	v_dual_add_f32 v9, v9, v11 :: v_dual_add_f32 v11, v19, v21
	v_dual_mul_f32 v27, v109, v65 :: v_dual_mul_f32 v29, v111, v67
	s_wait_loadcnt 0x4
	v_dual_mov_b32 v60, v75 :: v_dual_fma_f32 v19, v106, v62, -v25
	s_delay_alu instid0(VALU_DEP_3) | instskip(SKIP_2) | instid1(VALU_DEP_3)
	v_dual_fmac_f32 v15, v107, v62 :: v_dual_add_f32 v9, v9, v13
	v_dual_add_f32 v11, v11, v23 :: v_dual_fmac_f32 v17, v109, v64
	v_dual_mul_f32 v127, v110, v67 :: v_dual_mul_f32 v129, v84, v69
	v_dual_fma_f32 v13, v108, v64, -v27 :: v_dual_add_f32 v9, v9, v15
	s_delay_alu instid0(VALU_DEP_3) | instskip(NEXT) | instid1(VALU_DEP_3)
	v_dual_add_f32 v11, v11, v19 :: v_dual_fma_f32 v126, v110, v66, -v29
	v_fmac_f32_e32 v127, v111, v66
	v_pk_mul_f32 v[56:57], v[118:119], v[56:57] op_sel_hi:[1,0]
	s_delay_alu instid0(VALU_DEP_4) | instskip(NEXT) | instid1(VALU_DEP_4)
	v_add_f32_e32 v65, v9, v17
	v_dual_add_f32 v64, v11, v13 :: v_dual_fmac_f32 v129, v85, v68
	v_pk_mul_f32 v[58:59], v[88:89], v[72:73] op_sel:[1,1] op_sel_hi:[0,1]
	s_wait_loadcnt 0x3
	v_dual_mov_b32 v66, v79 :: v_dual_fma_f32 v128, v84, v68, -v31
	v_pk_fma_f32 v[68:69], v[86:87], v[70:71], v[56:57] op_sel_hi:[1,0,1]
	v_pk_add_f32 v[64:65], v[64:65], v[126:127]
	v_pk_fma_f32 v[56:57], v[86:87], v[70:71], v[56:57] neg_lo:[0,0,1] neg_hi:[0,0,1]
	v_pk_fma_f32 v[84:85], v[88:89], v[72:73], v[58:59] op_sel_hi:[1,0,1]
	v_pk_mul_f32 v[60:61], v[120:121], v[60:61] op_sel_hi:[1,0]
	v_mov_b32_e32 v57, v69
	v_pk_add_f32 v[64:65], v[64:65], v[128:129]
	v_pk_fma_f32 v[58:59], v[88:89], v[72:73], v[58:59] neg_lo:[0,0,1] neg_hi:[0,0,1]
	v_pk_mul_f32 v[62:63], v[92:93], v[76:77] op_sel:[1,1] op_sel_hi:[0,1]
	v_mov_b32_e32 v59, v85
	v_pk_fma_f32 v[70:71], v[90:91], v[74:75], v[60:61] op_sel_hi:[1,0,1]
	v_pk_add_f32 v[56:57], v[64:65], v[56:57]
	v_pk_fma_f32 v[60:61], v[90:91], v[74:75], v[60:61] neg_lo:[0,0,1] neg_hi:[0,0,1]
	v_pk_fma_f32 v[64:65], v[92:93], v[76:77], v[62:63] op_sel_hi:[1,0,1]
	v_pk_mul_f32 v[66:67], v[122:123], v[66:67] op_sel_hi:[1,0]
	v_mov_b32_e32 v61, v71
	v_pk_add_f32 v[56:57], v[56:57], v[58:59]
	v_pk_fma_f32 v[62:63], v[92:93], v[76:77], v[62:63] neg_lo:[0,0,1] neg_hi:[0,0,1]
	s_wait_loadcnt 0x2
	v_pk_mul_f32 v[68:69], v[96:97], v[80:81] op_sel:[1,1] op_sel_hi:[0,1]
	v_dual_mov_b32 v58, v83 :: v_dual_mov_b32 v63, v65
	v_pk_fma_f32 v[64:65], v[94:95], v[78:79], v[66:67] op_sel_hi:[1,0,1]
	v_pk_add_f32 v[56:57], v[56:57], v[60:61]
	v_pk_fma_f32 v[66:67], v[94:95], v[78:79], v[66:67] neg_lo:[0,0,1] neg_hi:[0,0,1]
	v_pk_fma_f32 v[60:61], v[96:97], v[80:81], v[68:69] op_sel_hi:[1,0,1]
	v_pk_mul_f32 v[58:59], v[124:125], v[58:59] op_sel_hi:[1,0]
	v_mov_b32_e32 v67, v65
	v_pk_add_f32 v[56:57], v[56:57], v[62:63]
	v_pk_fma_f32 v[62:63], v[96:97], v[80:81], v[68:69] neg_lo:[0,0,1] neg_hi:[0,0,1]
	v_mov_b32_e32 v63, v61
	v_pk_fma_f32 v[60:61], v[98:99], v[82:83], v[58:59] op_sel_hi:[1,0,1]
	s_wait_loadcnt_dscnt 0x100
	v_pk_mul_f32 v[64:65], v[116:117], v[112:113] op_sel:[1,1] op_sel_hi:[0,1]
	v_pk_add_f32 v[56:57], v[56:57], v[66:67]
	v_pk_fma_f32 v[58:59], v[98:99], v[82:83], v[58:59] neg_lo:[0,0,1] neg_hi:[0,0,1]
	v_mov_b32_e32 v59, v61
	s_delay_alu instid0(VALU_DEP_4) | instskip(NEXT) | instid1(VALU_DEP_4)
	v_pk_fma_f32 v[60:61], v[116:117], v[112:113], v[64:65] op_sel_hi:[1,0,1]
	v_pk_add_f32 v[56:57], v[56:57], v[62:63]
	v_pk_fma_f32 v[62:63], v[116:117], v[112:113], v[64:65] neg_lo:[0,0,1] neg_hi:[0,0,1]
	s_delay_alu instid0(VALU_DEP_3) | instskip(NEXT) | instid1(VALU_DEP_3)
	v_mov_b32_e32 v63, v61
	v_pk_add_f32 v[56:57], v[56:57], v[58:59]
	s_delay_alu instid0(VALU_DEP_1) | instskip(SKIP_1) | instid1(VALU_DEP_1)
	v_pk_add_f32 v[56:57], v[56:57], v[62:63]
	s_wait_loadcnt 0x0
	v_pk_add_f32 v[56:57], v[114:115], v[56:57] neg_lo:[0,1] neg_hi:[0,1]
	scratch_store_b64 off, v[56:57], off offset:88
	s_wait_xcnt 0x0
	v_cmpx_lt_u32_e32 10, v0
	s_cbranch_execz .LBB90_155
; %bb.154:
	scratch_load_b64 v[56:57], off, off offset:80
	v_mov_b64_e32 v[58:59], 0
	scratch_store_b64 off, v[58:59], off offset:80
	s_wait_loadcnt 0x0
	ds_store_b64 v1, v[56:57]
.LBB90_155:
	s_wait_xcnt 0x0
	s_or_b32 exec_lo, exec_lo, s0
	s_wait_storecnt_dscnt 0x0
	s_barrier_signal -1
	s_barrier_wait -1
	s_clause 0x8
	scratch_load_b128 v[56:59], off, off offset:88
	scratch_load_b128 v[60:63], off, off offset:104
	;; [unrolled: 1-line block ×8, first 2 shown]
	scratch_load_b64 v[120:121], off, off offset:80
	ds_load_2addr_b64 v[88:91], v7 offset0:47 offset1:48
	ds_load_2addr_b64 v[92:95], v7 offset0:49 offset1:50
	;; [unrolled: 1-line block ×8, first 2 shown]
	s_mov_b32 s0, exec_lo
	s_wait_dscnt 0x7
	v_dual_mov_b32 v122, v91 :: v_dual_mov_b32 v123, v90
	s_wait_dscnt 0x6
	v_dual_mov_b32 v124, v95 :: v_dual_mov_b32 v125, v94
	;; [unrolled: 2-line block ×4, first 2 shown]
	s_wait_loadcnt_dscnt 0x803
	v_dual_mul_f32 v7, v104, v57 :: v_dual_mul_f32 v9, v106, v59
	v_dual_mul_f32 v19, v105, v57 :: v_dual_mul_f32 v21, v107, v59
	s_wait_loadcnt_dscnt 0x702
	v_dual_mul_f32 v11, v108, v61 :: v_dual_mul_f32 v13, v110, v63
	s_delay_alu instid0(VALU_DEP_3) | instskip(SKIP_3) | instid1(VALU_DEP_3)
	v_dual_fmac_f32 v7, v105, v56 :: v_dual_fmac_f32 v9, v107, v58
	s_wait_loadcnt_dscnt 0x500
	v_dual_fma_f32 v19, v104, v56, -v19 :: v_dual_mul_f32 v31, v117, v69
	v_dual_mul_f32 v23, v109, v61 :: v_dual_mul_f32 v25, v111, v63
	v_dual_fma_f32 v21, v106, v58, -v21 :: v_dual_add_f32 v7, 0, v7
	s_delay_alu instid0(VALU_DEP_3) | instskip(SKIP_1) | instid1(VALU_DEP_4)
	v_dual_add_f32 v19, 0, v19 :: v_dual_fmac_f32 v11, v109, v60
	v_dual_mul_f32 v15, v112, v65 :: v_dual_mul_f32 v17, v114, v67
	v_dual_mul_f32 v33, v119, v71 :: v_dual_fma_f32 v23, v108, v60, -v23
	s_delay_alu instid0(VALU_DEP_4) | instskip(NEXT) | instid1(VALU_DEP_3)
	v_add_f32_e32 v7, v7, v9
	v_dual_add_f32 v9, v19, v21 :: v_dual_fmac_f32 v15, v113, v64
	v_dual_mul_f32 v27, v113, v65 :: v_dual_mul_f32 v29, v115, v67
	s_delay_alu instid0(VALU_DEP_2) | instskip(NEXT) | instid1(VALU_DEP_4)
	v_dual_fmac_f32 v13, v111, v62 :: v_dual_add_f32 v9, v9, v23
	v_dual_fma_f32 v19, v110, v62, -v25 :: v_dual_add_f32 v7, v7, v11
	s_wait_loadcnt 0x4
	s_delay_alu instid0(VALU_DEP_3) | instskip(SKIP_1) | instid1(VALU_DEP_3)
	v_dual_fma_f32 v11, v112, v64, -v27 :: v_dual_mov_b32 v58, v75
	v_dual_mul_f32 v131, v116, v69 :: v_dual_mul_f32 v133, v118, v71
	v_dual_add_f32 v7, v7, v13 :: v_dual_fma_f32 v13, v114, v66, -v29
	v_dual_add_f32 v9, v9, v19 :: v_dual_fmac_f32 v17, v115, v66
	v_pk_mul_f32 v[56:57], v[88:89], v[72:73] op_sel:[1,1] op_sel_hi:[0,1]
	s_delay_alu instid0(VALU_DEP_3) | instskip(SKIP_1) | instid1(VALU_DEP_3)
	v_dual_add_f32 v7, v7, v15 :: v_dual_fmac_f32 v131, v117, v68
	s_wait_loadcnt 0x3
	v_dual_add_f32 v9, v9, v11 :: v_dual_mov_b32 v62, v79
	s_delay_alu instid0(VALU_DEP_2) | instskip(NEXT) | instid1(VALU_DEP_2)
	v_dual_fma_f32 v130, v116, v68, -v31 :: v_dual_add_f32 v65, v7, v17
	v_dual_fma_f32 v132, v118, v70, -v33 :: v_dual_add_f32 v64, v9, v13
	v_fmac_f32_e32 v133, v119, v70
	v_pk_fma_f32 v[66:67], v[88:89], v[72:73], v[56:57] op_sel_hi:[1,0,1]
	v_pk_mul_f32 v[58:59], v[122:123], v[58:59] op_sel_hi:[1,0]
	v_pk_fma_f32 v[56:57], v[88:89], v[72:73], v[56:57] neg_lo:[0,0,1] neg_hi:[0,0,1]
	v_pk_add_f32 v[64:65], v[64:65], v[130:131]
	v_pk_mul_f32 v[60:61], v[92:93], v[76:77] op_sel:[1,1] op_sel_hi:[0,1]
	v_mov_b32_e32 v57, v67
	v_pk_fma_f32 v[66:67], v[90:91], v[74:75], v[58:59] op_sel_hi:[1,0,1]
	v_pk_fma_f32 v[58:59], v[90:91], v[74:75], v[58:59] neg_lo:[0,0,1] neg_hi:[0,0,1]
	v_pk_add_f32 v[64:65], v[64:65], v[132:133]
	v_pk_fma_f32 v[70:71], v[92:93], v[76:77], v[60:61] op_sel_hi:[1,0,1]
	v_pk_mul_f32 v[62:63], v[124:125], v[62:63] op_sel_hi:[1,0]
	v_mov_b32_e32 v59, v67
	s_wait_loadcnt 0x2
	v_pk_mul_f32 v[68:69], v[96:97], v[80:81] op_sel:[1,1] op_sel_hi:[0,1]
	v_pk_add_f32 v[56:57], v[64:65], v[56:57]
	v_mov_b32_e32 v64, v83
	v_pk_fma_f32 v[60:61], v[92:93], v[76:77], v[60:61] neg_lo:[0,0,1] neg_hi:[0,0,1]
	v_mov_b32_e32 v61, v71
	v_pk_fma_f32 v[66:67], v[94:95], v[78:79], v[62:63] op_sel_hi:[1,0,1]
	v_pk_add_f32 v[56:57], v[56:57], v[58:59]
	v_pk_fma_f32 v[58:59], v[96:97], v[80:81], v[68:69] op_sel_hi:[1,0,1]
	v_pk_mul_f32 v[64:65], v[126:127], v[64:65] op_sel_hi:[1,0]
	v_pk_fma_f32 v[62:63], v[94:95], v[78:79], v[62:63] neg_lo:[0,0,1] neg_hi:[0,0,1]
	v_mov_b32_e32 v63, v67
	v_pk_add_f32 v[56:57], v[56:57], v[60:61]
	v_pk_fma_f32 v[66:67], v[96:97], v[80:81], v[68:69] neg_lo:[0,0,1] neg_hi:[0,0,1]
	v_mov_b32_e32 v67, v59
	v_pk_fma_f32 v[58:59], v[98:99], v[82:83], v[64:65] op_sel_hi:[1,0,1]
	s_wait_loadcnt 0x1
	v_pk_mul_f32 v[60:61], v[100:101], v[84:85] op_sel:[1,1] op_sel_hi:[0,1]
	v_pk_add_f32 v[56:57], v[56:57], v[62:63]
	v_mov_b32_e32 v58, v87
	v_pk_fma_f32 v[64:65], v[98:99], v[82:83], v[64:65] neg_lo:[0,0,1] neg_hi:[0,0,1]
	v_mov_b32_e32 v65, v59
	v_pk_fma_f32 v[62:63], v[100:101], v[84:85], v[60:61] op_sel_hi:[1,0,1]
	v_pk_add_f32 v[56:57], v[56:57], v[66:67]
	v_pk_mul_f32 v[58:59], v[128:129], v[58:59] op_sel_hi:[1,0]
	v_pk_fma_f32 v[60:61], v[100:101], v[84:85], v[60:61] neg_lo:[0,0,1] neg_hi:[0,0,1]
	s_delay_alu instid0(VALU_DEP_4) | instskip(NEXT) | instid1(VALU_DEP_4)
	v_mov_b32_e32 v61, v63
	v_pk_add_f32 v[56:57], v[56:57], v[64:65]
	s_delay_alu instid0(VALU_DEP_4) | instskip(SKIP_1) | instid1(VALU_DEP_2)
	v_pk_fma_f32 v[62:63], v[102:103], v[86:87], v[58:59] op_sel_hi:[1,0,1]
	v_pk_fma_f32 v[58:59], v[102:103], v[86:87], v[58:59] neg_lo:[0,0,1] neg_hi:[0,0,1]
	v_mov_b32_e32 v59, v63
	s_delay_alu instid0(VALU_DEP_4) | instskip(NEXT) | instid1(VALU_DEP_1)
	v_pk_add_f32 v[56:57], v[56:57], v[60:61]
	v_pk_add_f32 v[56:57], v[56:57], v[58:59]
	s_wait_loadcnt 0x0
	s_delay_alu instid0(VALU_DEP_1)
	v_pk_add_f32 v[56:57], v[120:121], v[56:57] neg_lo:[0,1] neg_hi:[0,1]
	scratch_store_b64 off, v[56:57], off offset:80
	s_wait_xcnt 0x0
	v_cmpx_lt_u32_e32 9, v0
	s_cbranch_execz .LBB90_157
; %bb.156:
	scratch_load_b64 v[56:57], off, off offset:72
	v_mov_b64_e32 v[58:59], 0
	scratch_store_b64 off, v[58:59], off offset:72
	s_wait_loadcnt 0x0
	ds_store_b64 v1, v[56:57]
.LBB90_157:
	s_wait_xcnt 0x0
	s_or_b32 exec_lo, exec_lo, s0
	s_wait_storecnt_dscnt 0x0
	s_barrier_signal -1
	s_barrier_wait -1
	s_clause 0x9
	scratch_load_b128 v[56:59], off, off offset:80
	scratch_load_b128 v[60:63], off, off offset:96
	;; [unrolled: 1-line block ×8, first 2 shown]
	scratch_load_b64 v[120:121], off, off offset:208
	scratch_load_b64 v[122:123], off, off offset:72
	v_mov_b32_e32 v7, 0
	ds_load_b128 v[88:91], v7 offset:368
	ds_load_b128 v[92:95], v7 offset:384
	;; [unrolled: 1-line block ×8, first 2 shown]
	ds_load_b64 v[124:125], v7 offset:432
	s_mov_b32 s0, exec_lo
	s_wait_dscnt 0x8
	v_dual_mov_b32 v126, v91 :: v_dual_mov_b32 v127, v90
	s_wait_dscnt 0x5
	v_dual_mov_b32 v128, v95 :: v_dual_mov_b32 v133, v102
	v_dual_mov_b32 v129, v94 :: v_dual_mov_b32 v130, v99
	;; [unrolled: 1-line block ×3, first 2 shown]
	s_wait_loadcnt_dscnt 0x904
	v_dual_mul_f32 v9, v104, v57 :: v_dual_mul_f32 v23, v105, v57
	v_dual_mul_f32 v25, v107, v59 :: v_dual_mul_f32 v11, v106, v59
	s_wait_loadcnt_dscnt 0x803
	v_mul_f32_e32 v13, v108, v61
	s_wait_loadcnt_dscnt 0x601
	v_dual_mul_f32 v35, v117, v69 :: v_dual_fma_f32 v23, v104, v56, -v23
	v_dual_fmac_f32 v9, v105, v56 :: v_dual_mul_f32 v37, v119, v71
	v_dual_mul_f32 v27, v109, v61 :: v_dual_mul_f32 v29, v111, v63
	v_dual_fmac_f32 v11, v107, v58 :: v_dual_fma_f32 v25, v106, v58, -v25
	s_delay_alu instid0(VALU_DEP_3)
	v_dual_add_f32 v9, 0, v9 :: v_dual_add_f32 v23, 0, v23
	v_dual_mul_f32 v15, v110, v63 :: v_dual_mul_f32 v17, v112, v65
	s_wait_loadcnt 0x5
	v_dual_mul_f32 v39, v89, v73 :: v_dual_fma_f32 v27, v108, v60, -v27
	v_fmac_f32_e32 v13, v109, v60
	v_dual_add_f32 v9, v9, v11 :: v_dual_mov_b32 v56, v75
	v_add_f32_e32 v11, v23, v25
	v_dual_mul_f32 v31, v113, v65 :: v_dual_mul_f32 v33, v115, v67
	v_dual_fmac_f32 v15, v111, v62 :: v_dual_fma_f32 v23, v110, v62, -v29
	s_delay_alu instid0(VALU_DEP_3) | instskip(SKIP_1) | instid1(VALU_DEP_4)
	v_dual_add_f32 v9, v9, v13 :: v_dual_add_f32 v11, v11, v27
	v_dual_mul_f32 v19, v114, v67 :: v_dual_mul_f32 v21, v116, v69
	v_dual_fmac_f32 v17, v113, v64 :: v_dual_fma_f32 v13, v112, v64, -v31
	s_wait_loadcnt 0x4
	s_delay_alu instid0(VALU_DEP_3) | instskip(SKIP_1) | instid1(VALU_DEP_2)
	v_dual_add_f32 v9, v9, v15 :: v_dual_mov_b32 v60, v79
	v_dual_add_f32 v11, v11, v23 :: v_dual_fma_f32 v15, v114, v66, -v33
	v_dual_fmac_f32 v19, v115, v66 :: v_dual_add_f32 v9, v9, v17
	v_dual_mul_f32 v135, v118, v71 :: v_dual_mul_f32 v137, v88, v73
	s_delay_alu instid0(VALU_DEP_3) | instskip(NEXT) | instid1(VALU_DEP_3)
	v_dual_add_f32 v11, v11, v13 :: v_dual_fmac_f32 v21, v117, v68
	v_dual_fma_f32 v13, v116, v68, -v35 :: v_dual_add_f32 v9, v9, v19
	s_delay_alu instid0(VALU_DEP_3) | instskip(NEXT) | instid1(VALU_DEP_3)
	v_fmac_f32_e32 v135, v119, v70
	v_dual_add_f32 v11, v11, v15 :: v_dual_fma_f32 v134, v118, v70, -v37
	v_pk_mul_f32 v[56:57], v[126:127], v[56:57] op_sel_hi:[1,0]
	s_delay_alu instid0(VALU_DEP_4) | instskip(SKIP_1) | instid1(VALU_DEP_4)
	v_add_f32_e32 v65, v9, v21
	v_pk_mul_f32 v[58:59], v[92:93], v[76:77] op_sel:[1,1] op_sel_hi:[0,1]
	v_dual_add_f32 v64, v11, v13 :: v_dual_fmac_f32 v137, v89, v72
	s_wait_loadcnt 0x3
	v_dual_mov_b32 v66, v83 :: v_dual_fma_f32 v136, v88, v72, -v39
	v_pk_fma_f32 v[68:69], v[90:91], v[74:75], v[56:57] op_sel_hi:[1,0,1]
	s_delay_alu instid0(VALU_DEP_3)
	v_pk_add_f32 v[64:65], v[64:65], v[134:135]
	v_pk_fma_f32 v[56:57], v[90:91], v[74:75], v[56:57] neg_lo:[0,0,1] neg_hi:[0,0,1]
	v_pk_fma_f32 v[70:71], v[92:93], v[76:77], v[58:59] op_sel_hi:[1,0,1]
	v_pk_mul_f32 v[60:61], v[128:129], v[60:61] op_sel_hi:[1,0]
	v_mov_b32_e32 v57, v69
	v_pk_add_f32 v[64:65], v[64:65], v[136:137]
	v_pk_fma_f32 v[58:59], v[92:93], v[76:77], v[58:59] neg_lo:[0,0,1] neg_hi:[0,0,1]
	v_pk_mul_f32 v[62:63], v[96:97], v[80:81] op_sel:[1,1] op_sel_hi:[0,1]
	v_mov_b32_e32 v59, v71
	v_pk_fma_f32 v[70:71], v[94:95], v[78:79], v[60:61] op_sel_hi:[1,0,1]
	v_pk_add_f32 v[56:57], v[64:65], v[56:57]
	v_pk_fma_f32 v[60:61], v[94:95], v[78:79], v[60:61] neg_lo:[0,0,1] neg_hi:[0,0,1]
	v_pk_fma_f32 v[64:65], v[96:97], v[80:81], v[62:63] op_sel_hi:[1,0,1]
	v_pk_mul_f32 v[66:67], v[130:131], v[66:67] op_sel_hi:[1,0]
	v_mov_b32_e32 v61, v71
	v_pk_add_f32 v[56:57], v[56:57], v[58:59]
	v_pk_fma_f32 v[62:63], v[96:97], v[80:81], v[62:63] neg_lo:[0,0,1] neg_hi:[0,0,1]
	s_wait_loadcnt 0x2
	v_pk_mul_f32 v[68:69], v[100:101], v[84:85] op_sel:[1,1] op_sel_hi:[0,1]
	v_dual_mov_b32 v58, v87 :: v_dual_mov_b32 v63, v65
	v_pk_fma_f32 v[64:65], v[98:99], v[82:83], v[66:67] op_sel_hi:[1,0,1]
	v_pk_add_f32 v[56:57], v[56:57], v[60:61]
	v_pk_fma_f32 v[66:67], v[98:99], v[82:83], v[66:67] neg_lo:[0,0,1] neg_hi:[0,0,1]
	v_pk_fma_f32 v[60:61], v[100:101], v[84:85], v[68:69] op_sel_hi:[1,0,1]
	v_pk_mul_f32 v[58:59], v[132:133], v[58:59] op_sel_hi:[1,0]
	v_mov_b32_e32 v67, v65
	v_pk_add_f32 v[56:57], v[56:57], v[62:63]
	v_pk_fma_f32 v[62:63], v[100:101], v[84:85], v[68:69] neg_lo:[0,0,1] neg_hi:[0,0,1]
	v_mov_b32_e32 v63, v61
	v_pk_fma_f32 v[60:61], v[102:103], v[86:87], v[58:59] op_sel_hi:[1,0,1]
	s_wait_loadcnt_dscnt 0x100
	v_pk_mul_f32 v[64:65], v[124:125], v[120:121] op_sel:[1,1] op_sel_hi:[0,1]
	v_pk_add_f32 v[56:57], v[56:57], v[66:67]
	v_pk_fma_f32 v[58:59], v[102:103], v[86:87], v[58:59] neg_lo:[0,0,1] neg_hi:[0,0,1]
	v_mov_b32_e32 v59, v61
	s_delay_alu instid0(VALU_DEP_4) | instskip(NEXT) | instid1(VALU_DEP_4)
	v_pk_fma_f32 v[60:61], v[124:125], v[120:121], v[64:65] op_sel_hi:[1,0,1]
	v_pk_add_f32 v[56:57], v[56:57], v[62:63]
	v_pk_fma_f32 v[62:63], v[124:125], v[120:121], v[64:65] neg_lo:[0,0,1] neg_hi:[0,0,1]
	s_delay_alu instid0(VALU_DEP_3) | instskip(NEXT) | instid1(VALU_DEP_3)
	v_mov_b32_e32 v63, v61
	v_pk_add_f32 v[56:57], v[56:57], v[58:59]
	s_delay_alu instid0(VALU_DEP_1) | instskip(SKIP_1) | instid1(VALU_DEP_1)
	v_pk_add_f32 v[56:57], v[56:57], v[62:63]
	s_wait_loadcnt 0x0
	v_pk_add_f32 v[56:57], v[122:123], v[56:57] neg_lo:[0,1] neg_hi:[0,1]
	scratch_store_b64 off, v[56:57], off offset:72
	s_wait_xcnt 0x0
	v_cmpx_lt_u32_e32 8, v0
	s_cbranch_execz .LBB90_159
; %bb.158:
	scratch_load_b64 v[56:57], off, off offset:64
	v_mov_b64_e32 v[58:59], 0
	scratch_store_b64 off, v[58:59], off offset:64
	s_wait_loadcnt 0x0
	ds_store_b64 v1, v[56:57]
.LBB90_159:
	s_wait_xcnt 0x0
	s_or_b32 exec_lo, exec_lo, s0
	s_wait_storecnt_dscnt 0x0
	s_barrier_signal -1
	s_barrier_wait -1
	s_clause 0x9
	scratch_load_b128 v[56:59], off, off offset:72
	scratch_load_b128 v[60:63], off, off offset:88
	;; [unrolled: 1-line block ×9, first 2 shown]
	scratch_load_b64 v[128:129], off, off offset:64
	ds_load_2addr_b64 v[92:95], v7 offset0:47 offset1:48
	ds_load_2addr_b64 v[96:99], v7 offset0:49 offset1:50
	;; [unrolled: 1-line block ×9, first 2 shown]
	s_mov_b32 s0, exec_lo
	s_wait_dscnt 0x8
	v_dual_mov_b32 v130, v95 :: v_dual_mov_b32 v131, v94
	s_wait_dscnt 0x7
	v_dual_mov_b32 v132, v99 :: v_dual_mov_b32 v133, v98
	;; [unrolled: 2-line block ×4, first 2 shown]
	s_wait_loadcnt_dscnt 0x904
	v_dual_mul_f32 v7, v108, v57 :: v_dual_mul_f32 v9, v110, v59
	v_dual_mul_f32 v23, v109, v57 :: v_dual_mul_f32 v25, v111, v59
	s_wait_loadcnt_dscnt 0x803
	v_dual_mul_f32 v11, v112, v61 :: v_dual_mul_f32 v13, v114, v63
	s_delay_alu instid0(VALU_DEP_3) | instskip(SKIP_3) | instid1(VALU_DEP_3)
	v_dual_fmac_f32 v7, v109, v56 :: v_dual_fmac_f32 v9, v111, v58
	s_wait_loadcnt_dscnt 0x601
	v_dual_fma_f32 v23, v108, v56, -v23 :: v_dual_mul_f32 v35, v121, v69
	v_dual_mul_f32 v27, v113, v61 :: v_dual_mul_f32 v29, v115, v63
	v_dual_fma_f32 v25, v110, v58, -v25 :: v_dual_add_f32 v7, 0, v7
	s_delay_alu instid0(VALU_DEP_3) | instskip(SKIP_1) | instid1(VALU_DEP_4)
	v_dual_add_f32 v23, 0, v23 :: v_dual_fmac_f32 v11, v113, v60
	v_dual_mul_f32 v15, v116, v65 :: v_dual_mul_f32 v17, v118, v67
	v_dual_mul_f32 v37, v123, v71 :: v_dual_fma_f32 v27, v112, v60, -v27
	s_delay_alu instid0(VALU_DEP_4) | instskip(NEXT) | instid1(VALU_DEP_3)
	v_add_f32_e32 v7, v7, v9
	v_dual_add_f32 v9, v23, v25 :: v_dual_fmac_f32 v15, v117, v64
	v_dual_mul_f32 v31, v117, v65 :: v_dual_mul_f32 v33, v119, v67
	s_wait_loadcnt_dscnt 0x500
	v_dual_mul_f32 v23, v125, v73 :: v_dual_fmac_f32 v13, v115, v62
	v_dual_fma_f32 v25, v114, v62, -v29 :: v_dual_add_f32 v7, v7, v11
	s_delay_alu instid0(VALU_DEP_3) | instskip(SKIP_1) | instid1(VALU_DEP_3)
	v_dual_add_f32 v9, v9, v27 :: v_dual_fma_f32 v27, v116, v64, -v31
	v_dual_mul_f32 v19, v120, v69 :: v_dual_mul_f32 v21, v122, v71
	v_add_f32_e32 v7, v7, v13
	s_delay_alu instid0(VALU_DEP_3) | instskip(SKIP_1) | instid1(VALU_DEP_3)
	v_dual_mul_f32 v11, v127, v75 :: v_dual_add_f32 v9, v9, v25
	v_fmac_f32_e32 v17, v119, v66
	v_dual_fma_f32 v13, v118, v66, -v33 :: v_dual_add_f32 v7, v7, v15
	s_wait_loadcnt 0x4
	v_dual_mov_b32 v58, v79 :: v_dual_fmac_f32 v19, v121, v68
	v_dual_add_f32 v9, v9, v27 :: v_dual_fma_f32 v15, v120, v68, -v35
	s_delay_alu instid0(VALU_DEP_3) | instskip(SKIP_1) | instid1(VALU_DEP_3)
	v_add_f32_e32 v7, v7, v17
	v_dual_mul_f32 v139, v124, v73 :: v_dual_mul_f32 v141, v126, v75
	v_dual_add_f32 v9, v9, v13 :: v_dual_fmac_f32 v21, v123, v70
	s_delay_alu instid0(VALU_DEP_3) | instskip(SKIP_2) | instid1(VALU_DEP_3)
	v_dual_fma_f32 v13, v122, v70, -v37 :: v_dual_add_f32 v7, v7, v19
	v_pk_mul_f32 v[56:57], v[92:93], v[76:77] op_sel:[1,1] op_sel_hi:[0,1]
	s_wait_loadcnt 0x3
	v_dual_add_f32 v9, v9, v15 :: v_dual_mov_b32 v62, v83
	s_delay_alu instid0(VALU_DEP_3) | instskip(NEXT) | instid1(VALU_DEP_2)
	v_dual_fmac_f32 v139, v125, v72 :: v_dual_add_f32 v65, v7, v21
	v_dual_fma_f32 v138, v124, v72, -v23 :: v_dual_add_f32 v64, v9, v13
	v_dual_fmac_f32 v141, v127, v74 :: v_dual_fma_f32 v140, v126, v74, -v11
	v_pk_fma_f32 v[66:67], v[92:93], v[76:77], v[56:57] op_sel_hi:[1,0,1]
	v_pk_mul_f32 v[58:59], v[130:131], v[58:59] op_sel_hi:[1,0]
	s_delay_alu instid0(VALU_DEP_4)
	v_pk_add_f32 v[64:65], v[64:65], v[138:139]
	v_pk_fma_f32 v[56:57], v[92:93], v[76:77], v[56:57] neg_lo:[0,0,1] neg_hi:[0,0,1]
	v_pk_mul_f32 v[60:61], v[96:97], v[80:81] op_sel:[1,1] op_sel_hi:[0,1]
	v_mov_b32_e32 v57, v67
	v_pk_fma_f32 v[66:67], v[94:95], v[78:79], v[58:59] op_sel_hi:[1,0,1]
	v_pk_add_f32 v[64:65], v[64:65], v[140:141]
	v_pk_fma_f32 v[58:59], v[94:95], v[78:79], v[58:59] neg_lo:[0,0,1] neg_hi:[0,0,1]
	v_pk_fma_f32 v[70:71], v[96:97], v[80:81], v[60:61] op_sel_hi:[1,0,1]
	v_pk_mul_f32 v[62:63], v[132:133], v[62:63] op_sel_hi:[1,0]
	v_mov_b32_e32 v59, v67
	v_pk_add_f32 v[56:57], v[64:65], v[56:57]
	s_wait_loadcnt 0x2
	v_pk_mul_f32 v[68:69], v[100:101], v[84:85] op_sel:[1,1] op_sel_hi:[0,1]
	v_mov_b32_e32 v64, v87
	v_pk_fma_f32 v[60:61], v[96:97], v[80:81], v[60:61] neg_lo:[0,0,1] neg_hi:[0,0,1]
	v_mov_b32_e32 v61, v71
	v_pk_fma_f32 v[66:67], v[98:99], v[82:83], v[62:63] op_sel_hi:[1,0,1]
	v_pk_add_f32 v[56:57], v[56:57], v[58:59]
	v_pk_fma_f32 v[58:59], v[100:101], v[84:85], v[68:69] op_sel_hi:[1,0,1]
	v_pk_mul_f32 v[64:65], v[134:135], v[64:65] op_sel_hi:[1,0]
	v_pk_fma_f32 v[62:63], v[98:99], v[82:83], v[62:63] neg_lo:[0,0,1] neg_hi:[0,0,1]
	v_mov_b32_e32 v63, v67
	v_pk_add_f32 v[56:57], v[56:57], v[60:61]
	v_pk_fma_f32 v[66:67], v[100:101], v[84:85], v[68:69] neg_lo:[0,0,1] neg_hi:[0,0,1]
	v_mov_b32_e32 v67, v59
	v_pk_fma_f32 v[58:59], v[102:103], v[86:87], v[64:65] op_sel_hi:[1,0,1]
	s_wait_loadcnt 0x1
	v_pk_mul_f32 v[60:61], v[104:105], v[88:89] op_sel:[1,1] op_sel_hi:[0,1]
	v_pk_add_f32 v[56:57], v[56:57], v[62:63]
	v_mov_b32_e32 v58, v91
	v_pk_fma_f32 v[64:65], v[102:103], v[86:87], v[64:65] neg_lo:[0,0,1] neg_hi:[0,0,1]
	v_mov_b32_e32 v65, v59
	v_pk_fma_f32 v[62:63], v[104:105], v[88:89], v[60:61] op_sel_hi:[1,0,1]
	v_pk_add_f32 v[56:57], v[56:57], v[66:67]
	v_pk_mul_f32 v[58:59], v[136:137], v[58:59] op_sel_hi:[1,0]
	v_pk_fma_f32 v[60:61], v[104:105], v[88:89], v[60:61] neg_lo:[0,0,1] neg_hi:[0,0,1]
	s_delay_alu instid0(VALU_DEP_4) | instskip(NEXT) | instid1(VALU_DEP_4)
	v_mov_b32_e32 v61, v63
	v_pk_add_f32 v[56:57], v[56:57], v[64:65]
	s_delay_alu instid0(VALU_DEP_4) | instskip(SKIP_1) | instid1(VALU_DEP_2)
	v_pk_fma_f32 v[62:63], v[106:107], v[90:91], v[58:59] op_sel_hi:[1,0,1]
	v_pk_fma_f32 v[58:59], v[106:107], v[90:91], v[58:59] neg_lo:[0,0,1] neg_hi:[0,0,1]
	v_mov_b32_e32 v59, v63
	s_delay_alu instid0(VALU_DEP_4) | instskip(NEXT) | instid1(VALU_DEP_1)
	v_pk_add_f32 v[56:57], v[56:57], v[60:61]
	v_pk_add_f32 v[56:57], v[56:57], v[58:59]
	s_wait_loadcnt 0x0
	s_delay_alu instid0(VALU_DEP_1)
	v_pk_add_f32 v[56:57], v[128:129], v[56:57] neg_lo:[0,1] neg_hi:[0,1]
	scratch_store_b64 off, v[56:57], off offset:64
	s_wait_xcnt 0x0
	v_cmpx_lt_u32_e32 7, v0
	s_cbranch_execz .LBB90_161
; %bb.160:
	scratch_load_b64 v[56:57], off, off offset:56
	v_mov_b64_e32 v[58:59], 0
	scratch_store_b64 off, v[58:59], off offset:56
	s_wait_loadcnt 0x0
	ds_store_b64 v1, v[56:57]
.LBB90_161:
	s_wait_xcnt 0x0
	s_or_b32 exec_lo, exec_lo, s0
	s_wait_storecnt_dscnt 0x0
	s_barrier_signal -1
	s_barrier_wait -1
	s_clause 0xa
	scratch_load_b128 v[56:59], off, off offset:64
	scratch_load_b128 v[60:63], off, off offset:80
	;; [unrolled: 1-line block ×9, first 2 shown]
	scratch_load_b64 v[128:129], off, off offset:208
	scratch_load_b64 v[130:131], off, off offset:56
	v_mov_b32_e32 v7, 0
	ds_load_b128 v[92:95], v7 offset:368
	ds_load_b128 v[96:99], v7 offset:384
	;; [unrolled: 1-line block ×9, first 2 shown]
	ds_load_b64 v[132:133], v7 offset:432
	s_mov_b32 s0, exec_lo
	s_wait_dscnt 0x9
	v_dual_mov_b32 v134, v95 :: v_dual_mov_b32 v135, v94
	s_wait_dscnt 0x6
	v_dual_mov_b32 v136, v99 :: v_dual_mov_b32 v141, v106
	v_dual_mov_b32 v137, v98 :: v_dual_mov_b32 v138, v103
	;; [unrolled: 1-line block ×3, first 2 shown]
	s_wait_loadcnt_dscnt 0xa05
	v_dual_mul_f32 v9, v108, v57 :: v_dual_mul_f32 v27, v109, v57
	v_dual_mul_f32 v29, v111, v59 :: v_dual_mul_f32 v11, v110, v59
	s_wait_loadcnt_dscnt 0x904
	v_mul_f32_e32 v13, v112, v61
	s_wait_loadcnt_dscnt 0x702
	v_dual_mul_f32 v39, v121, v69 :: v_dual_fma_f32 v27, v108, v56, -v27
	v_dual_fmac_f32 v9, v109, v56 :: v_dual_mul_f32 v41, v123, v71
	v_dual_mul_f32 v31, v113, v61 :: v_dual_mul_f32 v33, v115, v63
	v_dual_fmac_f32 v11, v111, v58 :: v_dual_fma_f32 v29, v110, v58, -v29
	s_delay_alu instid0(VALU_DEP_3) | instskip(SKIP_4) | instid1(VALU_DEP_3)
	v_dual_add_f32 v9, 0, v9 :: v_dual_add_f32 v27, 0, v27
	v_dual_mul_f32 v15, v114, v63 :: v_dual_mul_f32 v17, v116, v65
	s_wait_loadcnt_dscnt 0x601
	v_dual_mul_f32 v43, v125, v73 :: v_dual_fma_f32 v31, v112, v60, -v31
	v_fmac_f32_e32 v13, v113, v60
	v_dual_add_f32 v9, v9, v11 :: v_dual_fmac_f32 v15, v115, v62
	v_add_f32_e32 v11, v27, v29
	v_dual_mul_f32 v35, v117, v65 :: v_dual_mul_f32 v37, v119, v67
	v_dual_mul_f32 v27, v127, v75 :: v_dual_fma_f32 v29, v114, v62, -v33
	s_delay_alu instid0(VALU_DEP_3) | instskip(SKIP_3) | instid1(VALU_DEP_3)
	v_dual_add_f32 v9, v9, v13 :: v_dual_add_f32 v11, v11, v31
	v_dual_mul_f32 v19, v118, v67 :: v_dual_mul_f32 v21, v120, v69
	s_wait_loadcnt 0x5
	v_dual_mul_f32 v13, v93, v77 :: v_dual_fma_f32 v31, v116, v64, -v35
	v_dual_fmac_f32 v17, v117, v64 :: v_dual_add_f32 v11, v11, v29
	v_dual_add_f32 v9, v9, v15 :: v_dual_mov_b32 v56, v79
	v_dual_fmac_f32 v19, v119, v66 :: v_dual_fma_f32 v15, v118, v66, -v37
	s_delay_alu instid0(VALU_DEP_2) | instskip(SKIP_3) | instid1(VALU_DEP_3)
	v_dual_add_f32 v11, v11, v31 :: v_dual_add_f32 v9, v9, v17
	v_dual_mul_f32 v23, v122, v71 :: v_dual_mul_f32 v25, v124, v73
	v_dual_fmac_f32 v21, v121, v68 :: v_dual_fma_f32 v17, v120, v68, -v39
	s_wait_loadcnt 0x4
	v_dual_add_f32 v9, v9, v19 :: v_dual_mov_b32 v60, v83
	v_dual_add_f32 v11, v11, v15 :: v_dual_fma_f32 v15, v122, v70, -v41
	s_delay_alu instid0(VALU_DEP_2) | instskip(SKIP_1) | instid1(VALU_DEP_3)
	v_dual_fmac_f32 v23, v123, v70 :: v_dual_add_f32 v9, v9, v21
	v_dual_mul_f32 v143, v126, v75 :: v_dual_mul_f32 v145, v92, v77
	v_dual_add_f32 v11, v11, v17 :: v_dual_fmac_f32 v25, v125, v72
	s_delay_alu instid0(VALU_DEP_3) | instskip(NEXT) | instid1(VALU_DEP_3)
	v_dual_fma_f32 v17, v124, v72, -v43 :: v_dual_add_f32 v9, v9, v23
	v_fmac_f32_e32 v143, v127, v74
	s_delay_alu instid0(VALU_DEP_3) | instskip(SKIP_1) | instid1(VALU_DEP_4)
	v_dual_add_f32 v11, v11, v15 :: v_dual_fma_f32 v142, v126, v74, -v27
	v_pk_mul_f32 v[56:57], v[134:135], v[56:57] op_sel_hi:[1,0]
	v_add_f32_e32 v65, v9, v25
	v_pk_mul_f32 v[58:59], v[96:97], v[80:81] op_sel:[1,1] op_sel_hi:[0,1]
	s_delay_alu instid0(VALU_DEP_4) | instskip(SKIP_3) | instid1(VALU_DEP_3)
	v_dual_add_f32 v64, v11, v17 :: v_dual_fmac_f32 v145, v93, v76
	s_wait_loadcnt 0x3
	v_dual_mov_b32 v66, v87 :: v_dual_fma_f32 v144, v92, v76, -v13
	v_pk_fma_f32 v[68:69], v[94:95], v[78:79], v[56:57] op_sel_hi:[1,0,1]
	v_pk_add_f32 v[64:65], v[64:65], v[142:143]
	v_pk_fma_f32 v[56:57], v[94:95], v[78:79], v[56:57] neg_lo:[0,0,1] neg_hi:[0,0,1]
	v_pk_fma_f32 v[70:71], v[96:97], v[80:81], v[58:59] op_sel_hi:[1,0,1]
	v_pk_mul_f32 v[60:61], v[136:137], v[60:61] op_sel_hi:[1,0]
	v_mov_b32_e32 v57, v69
	v_pk_add_f32 v[64:65], v[64:65], v[144:145]
	v_pk_fma_f32 v[58:59], v[96:97], v[80:81], v[58:59] neg_lo:[0,0,1] neg_hi:[0,0,1]
	v_pk_mul_f32 v[62:63], v[100:101], v[84:85] op_sel:[1,1] op_sel_hi:[0,1]
	v_mov_b32_e32 v59, v71
	v_pk_fma_f32 v[70:71], v[98:99], v[82:83], v[60:61] op_sel_hi:[1,0,1]
	v_pk_add_f32 v[56:57], v[64:65], v[56:57]
	v_pk_fma_f32 v[60:61], v[98:99], v[82:83], v[60:61] neg_lo:[0,0,1] neg_hi:[0,0,1]
	v_pk_fma_f32 v[64:65], v[100:101], v[84:85], v[62:63] op_sel_hi:[1,0,1]
	v_pk_mul_f32 v[66:67], v[138:139], v[66:67] op_sel_hi:[1,0]
	v_mov_b32_e32 v61, v71
	v_pk_add_f32 v[56:57], v[56:57], v[58:59]
	v_pk_fma_f32 v[62:63], v[100:101], v[84:85], v[62:63] neg_lo:[0,0,1] neg_hi:[0,0,1]
	s_wait_loadcnt 0x2
	v_pk_mul_f32 v[68:69], v[104:105], v[88:89] op_sel:[1,1] op_sel_hi:[0,1]
	v_dual_mov_b32 v58, v91 :: v_dual_mov_b32 v63, v65
	v_pk_fma_f32 v[64:65], v[102:103], v[86:87], v[66:67] op_sel_hi:[1,0,1]
	v_pk_add_f32 v[56:57], v[56:57], v[60:61]
	v_pk_fma_f32 v[66:67], v[102:103], v[86:87], v[66:67] neg_lo:[0,0,1] neg_hi:[0,0,1]
	v_pk_fma_f32 v[60:61], v[104:105], v[88:89], v[68:69] op_sel_hi:[1,0,1]
	v_pk_mul_f32 v[58:59], v[140:141], v[58:59] op_sel_hi:[1,0]
	v_mov_b32_e32 v67, v65
	v_pk_add_f32 v[56:57], v[56:57], v[62:63]
	v_pk_fma_f32 v[62:63], v[104:105], v[88:89], v[68:69] neg_lo:[0,0,1] neg_hi:[0,0,1]
	v_mov_b32_e32 v63, v61
	v_pk_fma_f32 v[60:61], v[106:107], v[90:91], v[58:59] op_sel_hi:[1,0,1]
	s_wait_loadcnt_dscnt 0x100
	v_pk_mul_f32 v[64:65], v[132:133], v[128:129] op_sel:[1,1] op_sel_hi:[0,1]
	v_pk_add_f32 v[56:57], v[56:57], v[66:67]
	v_pk_fma_f32 v[58:59], v[106:107], v[90:91], v[58:59] neg_lo:[0,0,1] neg_hi:[0,0,1]
	v_mov_b32_e32 v59, v61
	s_delay_alu instid0(VALU_DEP_4) | instskip(NEXT) | instid1(VALU_DEP_4)
	v_pk_fma_f32 v[60:61], v[132:133], v[128:129], v[64:65] op_sel_hi:[1,0,1]
	v_pk_add_f32 v[56:57], v[56:57], v[62:63]
	v_pk_fma_f32 v[62:63], v[132:133], v[128:129], v[64:65] neg_lo:[0,0,1] neg_hi:[0,0,1]
	s_delay_alu instid0(VALU_DEP_3) | instskip(NEXT) | instid1(VALU_DEP_3)
	v_mov_b32_e32 v63, v61
	v_pk_add_f32 v[56:57], v[56:57], v[58:59]
	s_delay_alu instid0(VALU_DEP_1) | instskip(SKIP_1) | instid1(VALU_DEP_1)
	v_pk_add_f32 v[56:57], v[56:57], v[62:63]
	s_wait_loadcnt 0x0
	v_pk_add_f32 v[56:57], v[130:131], v[56:57] neg_lo:[0,1] neg_hi:[0,1]
	scratch_store_b64 off, v[56:57], off offset:56
	s_wait_xcnt 0x0
	v_cmpx_lt_u32_e32 6, v0
	s_cbranch_execz .LBB90_163
; %bb.162:
	scratch_load_b64 v[56:57], off, off offset:48
	v_mov_b64_e32 v[58:59], 0
	scratch_store_b64 off, v[58:59], off offset:48
	s_wait_loadcnt 0x0
	ds_store_b64 v1, v[56:57]
.LBB90_163:
	s_wait_xcnt 0x0
	s_or_b32 exec_lo, exec_lo, s0
	s_wait_storecnt_dscnt 0x0
	s_barrier_signal -1
	s_barrier_wait -1
	s_clause 0xa
	scratch_load_b128 v[56:59], off, off offset:56
	scratch_load_b128 v[60:63], off, off offset:72
	;; [unrolled: 1-line block ×10, first 2 shown]
	scratch_load_b64 v[136:137], off, off offset:48
	ds_load_2addr_b64 v[96:99], v7 offset0:47 offset1:48
	ds_load_2addr_b64 v[100:103], v7 offset0:49 offset1:50
	;; [unrolled: 1-line block ×10, first 2 shown]
	s_mov_b32 s0, exec_lo
	s_wait_dscnt 0x9
	v_dual_mov_b32 v138, v99 :: v_dual_mov_b32 v139, v98
	s_wait_dscnt 0x8
	v_dual_mov_b32 v140, v103 :: v_dual_mov_b32 v141, v102
	;; [unrolled: 2-line block ×4, first 2 shown]
	s_wait_loadcnt_dscnt 0xa05
	v_dual_mul_f32 v7, v112, v57 :: v_dual_mul_f32 v9, v114, v59
	v_dual_mul_f32 v27, v113, v57 :: v_dual_mul_f32 v29, v115, v59
	s_wait_loadcnt_dscnt 0x904
	v_dual_mul_f32 v11, v116, v61 :: v_dual_mul_f32 v13, v118, v63
	s_delay_alu instid0(VALU_DEP_3) | instskip(SKIP_3) | instid1(VALU_DEP_3)
	v_dual_fmac_f32 v7, v113, v56 :: v_dual_fmac_f32 v9, v115, v58
	s_wait_loadcnt_dscnt 0x702
	v_dual_fma_f32 v27, v112, v56, -v27 :: v_dual_mul_f32 v39, v125, v69
	v_dual_mul_f32 v31, v117, v61 :: v_dual_mul_f32 v33, v119, v63
	v_dual_fma_f32 v29, v114, v58, -v29 :: v_dual_add_f32 v7, 0, v7
	s_delay_alu instid0(VALU_DEP_3) | instskip(SKIP_1) | instid1(VALU_DEP_4)
	v_dual_add_f32 v27, 0, v27 :: v_dual_fmac_f32 v11, v117, v60
	v_dual_mul_f32 v15, v120, v65 :: v_dual_mul_f32 v17, v122, v67
	v_dual_mul_f32 v41, v127, v71 :: v_dual_fma_f32 v31, v116, v60, -v31
	s_delay_alu instid0(VALU_DEP_4) | instskip(NEXT) | instid1(VALU_DEP_3)
	v_add_f32_e32 v7, v7, v9
	v_dual_add_f32 v9, v27, v29 :: v_dual_fmac_f32 v15, v121, v64
	v_dual_mul_f32 v35, v121, v65 :: v_dual_mul_f32 v37, v123, v67
	s_wait_loadcnt_dscnt 0x601
	v_dual_mul_f32 v27, v129, v73 :: v_dual_fmac_f32 v13, v119, v62
	v_dual_fma_f32 v29, v118, v62, -v33 :: v_dual_add_f32 v7, v7, v11
	s_delay_alu instid0(VALU_DEP_3) | instskip(SKIP_1) | instid1(VALU_DEP_3)
	v_dual_add_f32 v9, v9, v31 :: v_dual_fma_f32 v31, v120, v64, -v35
	v_dual_mul_f32 v19, v124, v69 :: v_dual_mul_f32 v21, v126, v71
	v_add_f32_e32 v7, v7, v13
	s_delay_alu instid0(VALU_DEP_3) | instskip(SKIP_2) | instid1(VALU_DEP_3)
	v_dual_mul_f32 v11, v131, v75 :: v_dual_add_f32 v9, v9, v29
	s_wait_loadcnt_dscnt 0x500
	v_dual_mul_f32 v13, v133, v77 :: v_dual_fmac_f32 v17, v123, v66
	v_dual_fma_f32 v29, v122, v66, -v37 :: v_dual_add_f32 v7, v7, v15
	s_delay_alu instid0(VALU_DEP_3) | instskip(SKIP_1) | instid1(VALU_DEP_3)
	v_dual_add_f32 v9, v9, v31 :: v_dual_fma_f32 v31, v124, v68, -v39
	v_dual_mul_f32 v15, v135, v79 :: v_dual_fmac_f32 v19, v125, v68
	v_dual_add_f32 v7, v7, v17 :: v_dual_fma_f32 v17, v126, v70, -v41
	s_delay_alu instid0(VALU_DEP_3) | instskip(SKIP_1) | instid1(VALU_DEP_3)
	v_dual_add_f32 v9, v9, v29 :: v_dual_fmac_f32 v21, v127, v70
	v_dual_mul_f32 v23, v128, v73 :: v_dual_mul_f32 v25, v130, v75
	v_add_f32_e32 v7, v7, v19
	s_wait_loadcnt 0x4
	s_delay_alu instid0(VALU_DEP_3) | instskip(NEXT) | instid1(VALU_DEP_3)
	v_dual_add_f32 v9, v9, v31 :: v_dual_mov_b32 v58, v83
	v_fmac_f32_e32 v23, v129, v72
	s_delay_alu instid0(VALU_DEP_3) | instskip(NEXT) | instid1(VALU_DEP_3)
	v_dual_fma_f32 v19, v128, v72, -v27 :: v_dual_add_f32 v7, v7, v21
	v_dual_add_f32 v9, v9, v17 :: v_dual_fmac_f32 v25, v131, v74
	v_dual_mul_f32 v147, v132, v77 :: v_dual_mul_f32 v149, v134, v79
	s_delay_alu instid0(VALU_DEP_3) | instskip(SKIP_1) | instid1(VALU_DEP_3)
	v_dual_fma_f32 v11, v130, v74, -v11 :: v_dual_add_f32 v7, v7, v23
	s_wait_loadcnt 0x3
	v_dual_add_f32 v9, v9, v19 :: v_dual_mov_b32 v62, v87
	v_pk_mul_f32 v[56:57], v[96:97], v[80:81] op_sel:[1,1] op_sel_hi:[0,1]
	v_dual_fmac_f32 v147, v133, v76 :: v_dual_fma_f32 v146, v132, v76, -v13
	s_delay_alu instid0(VALU_DEP_3) | instskip(SKIP_1) | instid1(VALU_DEP_4)
	v_dual_add_f32 v65, v7, v25 :: v_dual_add_f32 v64, v9, v11
	v_dual_fmac_f32 v149, v135, v78 :: v_dual_fma_f32 v148, v134, v78, -v15
	v_pk_fma_f32 v[66:67], v[96:97], v[80:81], v[56:57] op_sel_hi:[1,0,1]
	v_pk_mul_f32 v[58:59], v[138:139], v[58:59] op_sel_hi:[1,0]
	s_delay_alu instid0(VALU_DEP_4)
	v_pk_add_f32 v[64:65], v[64:65], v[146:147]
	v_pk_fma_f32 v[56:57], v[96:97], v[80:81], v[56:57] neg_lo:[0,0,1] neg_hi:[0,0,1]
	v_pk_mul_f32 v[60:61], v[100:101], v[84:85] op_sel:[1,1] op_sel_hi:[0,1]
	v_mov_b32_e32 v57, v67
	v_pk_fma_f32 v[66:67], v[98:99], v[82:83], v[58:59] op_sel_hi:[1,0,1]
	v_pk_add_f32 v[64:65], v[64:65], v[148:149]
	v_pk_fma_f32 v[58:59], v[98:99], v[82:83], v[58:59] neg_lo:[0,0,1] neg_hi:[0,0,1]
	v_pk_fma_f32 v[70:71], v[100:101], v[84:85], v[60:61] op_sel_hi:[1,0,1]
	v_pk_mul_f32 v[62:63], v[140:141], v[62:63] op_sel_hi:[1,0]
	v_mov_b32_e32 v59, v67
	v_pk_add_f32 v[56:57], v[64:65], v[56:57]
	s_wait_loadcnt 0x2
	v_pk_mul_f32 v[68:69], v[104:105], v[88:89] op_sel:[1,1] op_sel_hi:[0,1]
	v_mov_b32_e32 v64, v91
	v_pk_fma_f32 v[60:61], v[100:101], v[84:85], v[60:61] neg_lo:[0,0,1] neg_hi:[0,0,1]
	v_mov_b32_e32 v61, v71
	v_pk_fma_f32 v[66:67], v[102:103], v[86:87], v[62:63] op_sel_hi:[1,0,1]
	v_pk_add_f32 v[56:57], v[56:57], v[58:59]
	v_pk_fma_f32 v[58:59], v[104:105], v[88:89], v[68:69] op_sel_hi:[1,0,1]
	v_pk_mul_f32 v[64:65], v[142:143], v[64:65] op_sel_hi:[1,0]
	v_pk_fma_f32 v[62:63], v[102:103], v[86:87], v[62:63] neg_lo:[0,0,1] neg_hi:[0,0,1]
	v_mov_b32_e32 v63, v67
	v_pk_add_f32 v[56:57], v[56:57], v[60:61]
	v_pk_fma_f32 v[66:67], v[104:105], v[88:89], v[68:69] neg_lo:[0,0,1] neg_hi:[0,0,1]
	v_mov_b32_e32 v67, v59
	v_pk_fma_f32 v[58:59], v[106:107], v[90:91], v[64:65] op_sel_hi:[1,0,1]
	s_wait_loadcnt 0x1
	v_pk_mul_f32 v[60:61], v[108:109], v[92:93] op_sel:[1,1] op_sel_hi:[0,1]
	v_pk_add_f32 v[56:57], v[56:57], v[62:63]
	v_mov_b32_e32 v58, v95
	v_pk_fma_f32 v[64:65], v[106:107], v[90:91], v[64:65] neg_lo:[0,0,1] neg_hi:[0,0,1]
	v_mov_b32_e32 v65, v59
	v_pk_fma_f32 v[62:63], v[108:109], v[92:93], v[60:61] op_sel_hi:[1,0,1]
	v_pk_add_f32 v[56:57], v[56:57], v[66:67]
	v_pk_mul_f32 v[58:59], v[144:145], v[58:59] op_sel_hi:[1,0]
	v_pk_fma_f32 v[60:61], v[108:109], v[92:93], v[60:61] neg_lo:[0,0,1] neg_hi:[0,0,1]
	s_delay_alu instid0(VALU_DEP_4) | instskip(NEXT) | instid1(VALU_DEP_4)
	v_mov_b32_e32 v61, v63
	v_pk_add_f32 v[56:57], v[56:57], v[64:65]
	s_delay_alu instid0(VALU_DEP_4) | instskip(SKIP_1) | instid1(VALU_DEP_2)
	v_pk_fma_f32 v[62:63], v[110:111], v[94:95], v[58:59] op_sel_hi:[1,0,1]
	v_pk_fma_f32 v[58:59], v[110:111], v[94:95], v[58:59] neg_lo:[0,0,1] neg_hi:[0,0,1]
	v_mov_b32_e32 v59, v63
	s_delay_alu instid0(VALU_DEP_4) | instskip(NEXT) | instid1(VALU_DEP_1)
	v_pk_add_f32 v[56:57], v[56:57], v[60:61]
	v_pk_add_f32 v[56:57], v[56:57], v[58:59]
	s_wait_loadcnt 0x0
	s_delay_alu instid0(VALU_DEP_1)
	v_pk_add_f32 v[56:57], v[136:137], v[56:57] neg_lo:[0,1] neg_hi:[0,1]
	scratch_store_b64 off, v[56:57], off offset:48
	s_wait_xcnt 0x0
	v_cmpx_lt_u32_e32 5, v0
	s_cbranch_execz .LBB90_165
; %bb.164:
	scratch_load_b64 v[56:57], off, off offset:40
	v_mov_b64_e32 v[58:59], 0
	scratch_store_b64 off, v[58:59], off offset:40
	s_wait_loadcnt 0x0
	ds_store_b64 v1, v[56:57]
.LBB90_165:
	s_wait_xcnt 0x0
	s_or_b32 exec_lo, exec_lo, s0
	s_wait_storecnt_dscnt 0x0
	s_barrier_signal -1
	s_barrier_wait -1
	s_clause 0xb
	scratch_load_b128 v[56:59], off, off offset:48
	scratch_load_b128 v[60:63], off, off offset:64
	;; [unrolled: 1-line block ×10, first 2 shown]
	scratch_load_b64 v[136:137], off, off offset:208
	scratch_load_b64 v[138:139], off, off offset:40
	v_mov_b32_e32 v7, 0
	ds_load_b128 v[96:99], v7 offset:368
	ds_load_b128 v[100:103], v7 offset:384
	;; [unrolled: 1-line block ×10, first 2 shown]
	ds_load_b64 v[140:141], v7 offset:432
	s_mov_b32 s0, exec_lo
	s_wait_dscnt 0xa
	v_dual_mov_b32 v142, v99 :: v_dual_mov_b32 v143, v98
	s_wait_dscnt 0x7
	v_dual_mov_b32 v144, v103 :: v_dual_mov_b32 v149, v110
	v_dual_mov_b32 v145, v102 :: v_dual_mov_b32 v146, v107
	;; [unrolled: 1-line block ×3, first 2 shown]
	s_wait_loadcnt_dscnt 0xb06
	v_dual_mul_f32 v9, v112, v57 :: v_dual_mul_f32 v31, v113, v57
	v_dual_mul_f32 v33, v115, v59 :: v_dual_mul_f32 v11, v114, v59
	s_wait_loadcnt_dscnt 0xa05
	v_mul_f32_e32 v13, v116, v61
	s_wait_loadcnt_dscnt 0x803
	v_dual_mul_f32 v43, v125, v69 :: v_dual_fma_f32 v31, v112, v56, -v31
	v_dual_fmac_f32 v9, v113, v56 :: v_dual_mul_f32 v45, v127, v71
	v_dual_mul_f32 v35, v117, v61 :: v_dual_mul_f32 v37, v119, v63
	v_dual_fmac_f32 v11, v115, v58 :: v_dual_fma_f32 v33, v114, v58, -v33
	s_delay_alu instid0(VALU_DEP_3) | instskip(SKIP_4) | instid1(VALU_DEP_3)
	v_dual_add_f32 v9, 0, v9 :: v_dual_add_f32 v31, 0, v31
	v_dual_mul_f32 v15, v118, v63 :: v_dual_mul_f32 v17, v120, v65
	s_wait_loadcnt_dscnt 0x702
	v_dual_mul_f32 v47, v129, v73 :: v_dual_fma_f32 v35, v116, v60, -v35
	v_fmac_f32_e32 v13, v117, v60
	v_dual_add_f32 v9, v9, v11 :: v_dual_fmac_f32 v15, v119, v62
	v_add_f32_e32 v11, v31, v33
	v_dual_mul_f32 v39, v121, v65 :: v_dual_mul_f32 v41, v123, v67
	v_dual_mul_f32 v31, v131, v75 :: v_dual_fma_f32 v33, v118, v62, -v37
	s_delay_alu instid0(VALU_DEP_3) | instskip(SKIP_3) | instid1(VALU_DEP_3)
	v_dual_add_f32 v9, v9, v13 :: v_dual_add_f32 v11, v11, v35
	v_dual_mul_f32 v19, v122, v67 :: v_dual_mul_f32 v21, v124, v69
	s_wait_loadcnt_dscnt 0x601
	v_dual_mul_f32 v13, v133, v77 :: v_dual_fma_f32 v35, v120, v64, -v39
	v_dual_fmac_f32 v17, v121, v64 :: v_dual_add_f32 v11, v11, v33
	s_delay_alu instid0(VALU_DEP_3) | instskip(SKIP_1) | instid1(VALU_DEP_2)
	v_dual_add_f32 v9, v9, v15 :: v_dual_fmac_f32 v19, v123, v66
	v_dual_mul_f32 v15, v135, v79 :: v_dual_fma_f32 v33, v122, v66, -v41
	v_dual_add_f32 v11, v11, v35 :: v_dual_add_f32 v9, v9, v17
	v_dual_mul_f32 v23, v126, v71 :: v_dual_mul_f32 v25, v128, v73
	s_wait_loadcnt 0x5
	v_dual_mul_f32 v17, v97, v81 :: v_dual_fma_f32 v35, v124, v68, -v43
	s_delay_alu instid0(VALU_DEP_3) | instskip(SKIP_2) | instid1(VALU_DEP_2)
	v_dual_fmac_f32 v21, v125, v68 :: v_dual_add_f32 v11, v11, v33
	v_dual_add_f32 v9, v9, v19 :: v_dual_mov_b32 v56, v83
	v_dual_fmac_f32 v23, v127, v70 :: v_dual_fma_f32 v19, v126, v70, -v45
	v_dual_add_f32 v11, v11, v35 :: v_dual_add_f32 v9, v9, v21
	v_dual_mul_f32 v27, v130, v75 :: v_dual_mul_f32 v29, v132, v77
	v_dual_fmac_f32 v25, v129, v72 :: v_dual_fma_f32 v21, v128, v72, -v47
	s_wait_loadcnt 0x4
	s_delay_alu instid0(VALU_DEP_3) | instskip(SKIP_1) | instid1(VALU_DEP_2)
	v_dual_add_f32 v9, v9, v23 :: v_dual_mov_b32 v60, v87
	v_dual_add_f32 v11, v11, v19 :: v_dual_fma_f32 v19, v130, v74, -v31
	v_dual_fmac_f32 v27, v131, v74 :: v_dual_add_f32 v9, v9, v25
	v_dual_mul_f32 v151, v134, v79 :: v_dual_mul_f32 v153, v96, v81
	s_delay_alu instid0(VALU_DEP_3) | instskip(NEXT) | instid1(VALU_DEP_3)
	v_dual_add_f32 v11, v11, v21 :: v_dual_fmac_f32 v29, v133, v76
	v_dual_fma_f32 v13, v132, v76, -v13 :: v_dual_add_f32 v9, v9, v27
	s_delay_alu instid0(VALU_DEP_3) | instskip(NEXT) | instid1(VALU_DEP_3)
	v_fmac_f32_e32 v151, v135, v78
	v_dual_add_f32 v11, v11, v19 :: v_dual_fma_f32 v150, v134, v78, -v15
	v_pk_mul_f32 v[56:57], v[142:143], v[56:57] op_sel_hi:[1,0]
	s_delay_alu instid0(VALU_DEP_4) | instskip(SKIP_1) | instid1(VALU_DEP_4)
	v_add_f32_e32 v65, v9, v29
	v_pk_mul_f32 v[58:59], v[100:101], v[84:85] op_sel:[1,1] op_sel_hi:[0,1]
	v_dual_add_f32 v64, v11, v13 :: v_dual_fmac_f32 v153, v97, v80
	s_wait_loadcnt 0x3
	v_dual_mov_b32 v66, v91 :: v_dual_fma_f32 v152, v96, v80, -v17
	v_pk_fma_f32 v[68:69], v[98:99], v[82:83], v[56:57] op_sel_hi:[1,0,1]
	s_delay_alu instid0(VALU_DEP_3)
	v_pk_add_f32 v[64:65], v[64:65], v[150:151]
	v_pk_fma_f32 v[56:57], v[98:99], v[82:83], v[56:57] neg_lo:[0,0,1] neg_hi:[0,0,1]
	v_pk_fma_f32 v[70:71], v[100:101], v[84:85], v[58:59] op_sel_hi:[1,0,1]
	v_pk_mul_f32 v[60:61], v[144:145], v[60:61] op_sel_hi:[1,0]
	v_mov_b32_e32 v57, v69
	v_pk_add_f32 v[64:65], v[64:65], v[152:153]
	v_pk_fma_f32 v[58:59], v[100:101], v[84:85], v[58:59] neg_lo:[0,0,1] neg_hi:[0,0,1]
	v_pk_mul_f32 v[62:63], v[104:105], v[88:89] op_sel:[1,1] op_sel_hi:[0,1]
	v_mov_b32_e32 v59, v71
	v_pk_fma_f32 v[70:71], v[102:103], v[86:87], v[60:61] op_sel_hi:[1,0,1]
	v_pk_add_f32 v[56:57], v[64:65], v[56:57]
	v_pk_fma_f32 v[60:61], v[102:103], v[86:87], v[60:61] neg_lo:[0,0,1] neg_hi:[0,0,1]
	v_pk_fma_f32 v[64:65], v[104:105], v[88:89], v[62:63] op_sel_hi:[1,0,1]
	v_pk_mul_f32 v[66:67], v[146:147], v[66:67] op_sel_hi:[1,0]
	v_mov_b32_e32 v61, v71
	v_pk_add_f32 v[56:57], v[56:57], v[58:59]
	v_pk_fma_f32 v[62:63], v[104:105], v[88:89], v[62:63] neg_lo:[0,0,1] neg_hi:[0,0,1]
	s_wait_loadcnt 0x2
	v_pk_mul_f32 v[68:69], v[108:109], v[92:93] op_sel:[1,1] op_sel_hi:[0,1]
	v_dual_mov_b32 v58, v95 :: v_dual_mov_b32 v63, v65
	v_pk_fma_f32 v[64:65], v[106:107], v[90:91], v[66:67] op_sel_hi:[1,0,1]
	v_pk_add_f32 v[56:57], v[56:57], v[60:61]
	v_pk_fma_f32 v[66:67], v[106:107], v[90:91], v[66:67] neg_lo:[0,0,1] neg_hi:[0,0,1]
	v_pk_fma_f32 v[60:61], v[108:109], v[92:93], v[68:69] op_sel_hi:[1,0,1]
	v_pk_mul_f32 v[58:59], v[148:149], v[58:59] op_sel_hi:[1,0]
	v_mov_b32_e32 v67, v65
	v_pk_add_f32 v[56:57], v[56:57], v[62:63]
	v_pk_fma_f32 v[62:63], v[108:109], v[92:93], v[68:69] neg_lo:[0,0,1] neg_hi:[0,0,1]
	v_mov_b32_e32 v63, v61
	v_pk_fma_f32 v[60:61], v[110:111], v[94:95], v[58:59] op_sel_hi:[1,0,1]
	s_wait_loadcnt_dscnt 0x100
	v_pk_mul_f32 v[64:65], v[140:141], v[136:137] op_sel:[1,1] op_sel_hi:[0,1]
	v_pk_add_f32 v[56:57], v[56:57], v[66:67]
	v_pk_fma_f32 v[58:59], v[110:111], v[94:95], v[58:59] neg_lo:[0,0,1] neg_hi:[0,0,1]
	v_mov_b32_e32 v59, v61
	s_delay_alu instid0(VALU_DEP_4) | instskip(NEXT) | instid1(VALU_DEP_4)
	v_pk_fma_f32 v[60:61], v[140:141], v[136:137], v[64:65] op_sel_hi:[1,0,1]
	v_pk_add_f32 v[56:57], v[56:57], v[62:63]
	v_pk_fma_f32 v[62:63], v[140:141], v[136:137], v[64:65] neg_lo:[0,0,1] neg_hi:[0,0,1]
	s_delay_alu instid0(VALU_DEP_3) | instskip(NEXT) | instid1(VALU_DEP_3)
	v_mov_b32_e32 v63, v61
	v_pk_add_f32 v[56:57], v[56:57], v[58:59]
	s_delay_alu instid0(VALU_DEP_1) | instskip(SKIP_1) | instid1(VALU_DEP_1)
	v_pk_add_f32 v[56:57], v[56:57], v[62:63]
	s_wait_loadcnt 0x0
	v_pk_add_f32 v[56:57], v[138:139], v[56:57] neg_lo:[0,1] neg_hi:[0,1]
	scratch_store_b64 off, v[56:57], off offset:40
	s_wait_xcnt 0x0
	v_cmpx_lt_u32_e32 4, v0
	s_cbranch_execz .LBB90_167
; %bb.166:
	scratch_load_b64 v[56:57], off, off offset:32
	v_mov_b64_e32 v[58:59], 0
	scratch_store_b64 off, v[58:59], off offset:32
	s_wait_loadcnt 0x0
	ds_store_b64 v1, v[56:57]
.LBB90_167:
	s_wait_xcnt 0x0
	s_or_b32 exec_lo, exec_lo, s0
	s_wait_storecnt_dscnt 0x0
	s_barrier_signal -1
	s_barrier_wait -1
	s_clause 0xb
	scratch_load_b128 v[56:59], off, off offset:40
	scratch_load_b128 v[60:63], off, off offset:56
	;; [unrolled: 1-line block ×11, first 2 shown]
	scratch_load_b64 v[144:145], off, off offset:32
	ds_load_2addr_b64 v[100:103], v7 offset0:47 offset1:48
	ds_load_2addr_b64 v[104:107], v7 offset0:49 offset1:50
	;; [unrolled: 1-line block ×11, first 2 shown]
	s_mov_b32 s0, exec_lo
	s_wait_dscnt 0xa
	v_dual_mov_b32 v146, v103 :: v_dual_mov_b32 v147, v102
	s_wait_dscnt 0x9
	v_dual_mov_b32 v148, v107 :: v_dual_mov_b32 v149, v106
	;; [unrolled: 2-line block ×4, first 2 shown]
	s_wait_loadcnt_dscnt 0xb06
	v_dual_mul_f32 v7, v116, v57 :: v_dual_mul_f32 v9, v118, v59
	v_dual_mul_f32 v31, v117, v57 :: v_dual_mul_f32 v33, v119, v59
	s_wait_loadcnt_dscnt 0xa05
	v_dual_mul_f32 v11, v120, v61 :: v_dual_mul_f32 v13, v122, v63
	s_delay_alu instid0(VALU_DEP_3) | instskip(SKIP_3) | instid1(VALU_DEP_3)
	v_dual_fmac_f32 v7, v117, v56 :: v_dual_fmac_f32 v9, v119, v58
	s_wait_loadcnt_dscnt 0x803
	v_dual_fma_f32 v31, v116, v56, -v31 :: v_dual_mul_f32 v43, v129, v69
	v_dual_mul_f32 v35, v121, v61 :: v_dual_mul_f32 v37, v123, v63
	v_dual_fma_f32 v33, v118, v58, -v33 :: v_dual_add_f32 v7, 0, v7
	s_delay_alu instid0(VALU_DEP_3) | instskip(SKIP_1) | instid1(VALU_DEP_4)
	v_dual_add_f32 v31, 0, v31 :: v_dual_fmac_f32 v11, v121, v60
	v_dual_mul_f32 v15, v124, v65 :: v_dual_mul_f32 v17, v126, v67
	v_dual_mul_f32 v45, v131, v71 :: v_dual_fma_f32 v35, v120, v60, -v35
	s_delay_alu instid0(VALU_DEP_4) | instskip(NEXT) | instid1(VALU_DEP_3)
	v_add_f32_e32 v7, v7, v9
	v_dual_add_f32 v9, v31, v33 :: v_dual_fmac_f32 v15, v125, v64
	v_dual_mul_f32 v39, v125, v65 :: v_dual_mul_f32 v41, v127, v67
	s_wait_loadcnt_dscnt 0x702
	v_dual_mul_f32 v31, v133, v73 :: v_dual_fmac_f32 v13, v123, v62
	v_dual_fma_f32 v33, v122, v62, -v37 :: v_dual_add_f32 v7, v7, v11
	s_delay_alu instid0(VALU_DEP_3) | instskip(SKIP_1) | instid1(VALU_DEP_3)
	v_dual_add_f32 v9, v9, v35 :: v_dual_fma_f32 v35, v124, v64, -v39
	v_dual_mul_f32 v19, v128, v69 :: v_dual_mul_f32 v21, v130, v71
	v_add_f32_e32 v7, v7, v13
	s_delay_alu instid0(VALU_DEP_3) | instskip(SKIP_2) | instid1(VALU_DEP_3)
	v_dual_mul_f32 v11, v135, v75 :: v_dual_add_f32 v9, v9, v33
	s_wait_loadcnt_dscnt 0x601
	v_dual_mul_f32 v13, v137, v77 :: v_dual_fmac_f32 v17, v127, v66
	v_dual_fma_f32 v33, v126, v66, -v41 :: v_dual_add_f32 v7, v7, v15
	s_delay_alu instid0(VALU_DEP_3) | instskip(SKIP_1) | instid1(VALU_DEP_3)
	v_dual_add_f32 v9, v9, v35 :: v_dual_fma_f32 v35, v128, v68, -v43
	v_dual_mul_f32 v15, v139, v79 :: v_dual_fmac_f32 v19, v129, v68
	v_add_f32_e32 v7, v7, v17
	s_delay_alu instid0(VALU_DEP_3)
	v_dual_add_f32 v9, v9, v33 :: v_dual_fmac_f32 v21, v131, v70
	v_dual_mul_f32 v23, v132, v73 :: v_dual_mul_f32 v25, v134, v75
	s_wait_loadcnt_dscnt 0x500
	v_dual_fma_f32 v33, v130, v70, -v45 :: v_dual_mul_f32 v17, v141, v81
	v_add_f32_e32 v7, v7, v19
	v_dual_add_f32 v9, v9, v35 :: v_dual_fma_f32 v31, v132, v72, -v31
	v_dual_mul_f32 v19, v143, v83 :: v_dual_fmac_f32 v23, v133, v72
	s_delay_alu instid0(VALU_DEP_3) | instskip(NEXT) | instid1(VALU_DEP_3)
	v_dual_add_f32 v7, v7, v21 :: v_dual_fma_f32 v11, v134, v74, -v11
	v_dual_add_f32 v9, v9, v33 :: v_dual_fmac_f32 v25, v135, v74
	v_dual_mul_f32 v27, v136, v77 :: v_dual_mul_f32 v29, v138, v79
	s_delay_alu instid0(VALU_DEP_3) | instskip(SKIP_1) | instid1(VALU_DEP_3)
	v_add_f32_e32 v7, v7, v23
	s_wait_loadcnt 0x4
	v_dual_add_f32 v9, v9, v31 :: v_dual_mov_b32 v58, v87
	s_delay_alu instid0(VALU_DEP_3) | instskip(NEXT) | instid1(VALU_DEP_2)
	v_dual_fmac_f32 v27, v137, v76 :: v_dual_fma_f32 v13, v136, v76, -v13
	v_dual_add_f32 v7, v7, v25 :: v_dual_add_f32 v9, v9, v11
	v_dual_fmac_f32 v29, v139, v78 :: v_dual_mul_f32 v155, v140, v81
	v_mul_f32_e32 v157, v142, v83
	s_delay_alu instid0(VALU_DEP_3) | instskip(SKIP_4) | instid1(VALU_DEP_3)
	v_dual_fma_f32 v11, v138, v78, -v15 :: v_dual_add_f32 v7, v7, v27
	s_wait_loadcnt 0x3
	v_dual_add_f32 v9, v9, v13 :: v_dual_mov_b32 v62, v91
	v_pk_mul_f32 v[56:57], v[100:101], v[84:85] op_sel:[1,1] op_sel_hi:[0,1]
	v_dual_fmac_f32 v155, v141, v80 :: v_dual_fma_f32 v154, v140, v80, -v17
	v_dual_add_f32 v65, v7, v29 :: v_dual_add_f32 v64, v9, v11
	v_dual_fmac_f32 v157, v143, v82 :: v_dual_fma_f32 v156, v142, v82, -v19
	s_delay_alu instid0(VALU_DEP_4) | instskip(SKIP_1) | instid1(VALU_DEP_4)
	v_pk_fma_f32 v[66:67], v[100:101], v[84:85], v[56:57] op_sel_hi:[1,0,1]
	v_pk_mul_f32 v[58:59], v[146:147], v[58:59] op_sel_hi:[1,0]
	v_pk_add_f32 v[64:65], v[64:65], v[154:155]
	v_pk_fma_f32 v[56:57], v[100:101], v[84:85], v[56:57] neg_lo:[0,0,1] neg_hi:[0,0,1]
	v_pk_mul_f32 v[60:61], v[104:105], v[88:89] op_sel:[1,1] op_sel_hi:[0,1]
	v_mov_b32_e32 v57, v67
	v_pk_fma_f32 v[66:67], v[102:103], v[86:87], v[58:59] op_sel_hi:[1,0,1]
	v_pk_add_f32 v[64:65], v[64:65], v[156:157]
	v_pk_fma_f32 v[58:59], v[102:103], v[86:87], v[58:59] neg_lo:[0,0,1] neg_hi:[0,0,1]
	v_pk_fma_f32 v[70:71], v[104:105], v[88:89], v[60:61] op_sel_hi:[1,0,1]
	v_pk_mul_f32 v[62:63], v[148:149], v[62:63] op_sel_hi:[1,0]
	v_mov_b32_e32 v59, v67
	v_pk_add_f32 v[56:57], v[64:65], v[56:57]
	s_wait_loadcnt 0x2
	v_pk_mul_f32 v[68:69], v[108:109], v[92:93] op_sel:[1,1] op_sel_hi:[0,1]
	v_mov_b32_e32 v64, v95
	v_pk_fma_f32 v[60:61], v[104:105], v[88:89], v[60:61] neg_lo:[0,0,1] neg_hi:[0,0,1]
	v_mov_b32_e32 v61, v71
	v_pk_fma_f32 v[66:67], v[106:107], v[90:91], v[62:63] op_sel_hi:[1,0,1]
	v_pk_add_f32 v[56:57], v[56:57], v[58:59]
	v_pk_fma_f32 v[58:59], v[108:109], v[92:93], v[68:69] op_sel_hi:[1,0,1]
	v_pk_mul_f32 v[64:65], v[150:151], v[64:65] op_sel_hi:[1,0]
	v_pk_fma_f32 v[62:63], v[106:107], v[90:91], v[62:63] neg_lo:[0,0,1] neg_hi:[0,0,1]
	v_mov_b32_e32 v63, v67
	v_pk_add_f32 v[56:57], v[56:57], v[60:61]
	v_pk_fma_f32 v[66:67], v[108:109], v[92:93], v[68:69] neg_lo:[0,0,1] neg_hi:[0,0,1]
	v_mov_b32_e32 v67, v59
	v_pk_fma_f32 v[58:59], v[110:111], v[94:95], v[64:65] op_sel_hi:[1,0,1]
	s_wait_loadcnt 0x1
	v_pk_mul_f32 v[60:61], v[112:113], v[96:97] op_sel:[1,1] op_sel_hi:[0,1]
	v_pk_add_f32 v[56:57], v[56:57], v[62:63]
	v_mov_b32_e32 v58, v99
	v_pk_fma_f32 v[64:65], v[110:111], v[94:95], v[64:65] neg_lo:[0,0,1] neg_hi:[0,0,1]
	v_mov_b32_e32 v65, v59
	v_pk_fma_f32 v[62:63], v[112:113], v[96:97], v[60:61] op_sel_hi:[1,0,1]
	v_pk_add_f32 v[56:57], v[56:57], v[66:67]
	v_pk_mul_f32 v[58:59], v[152:153], v[58:59] op_sel_hi:[1,0]
	v_pk_fma_f32 v[60:61], v[112:113], v[96:97], v[60:61] neg_lo:[0,0,1] neg_hi:[0,0,1]
	s_delay_alu instid0(VALU_DEP_4) | instskip(NEXT) | instid1(VALU_DEP_4)
	v_mov_b32_e32 v61, v63
	v_pk_add_f32 v[56:57], v[56:57], v[64:65]
	s_delay_alu instid0(VALU_DEP_4) | instskip(SKIP_1) | instid1(VALU_DEP_2)
	v_pk_fma_f32 v[62:63], v[114:115], v[98:99], v[58:59] op_sel_hi:[1,0,1]
	v_pk_fma_f32 v[58:59], v[114:115], v[98:99], v[58:59] neg_lo:[0,0,1] neg_hi:[0,0,1]
	v_mov_b32_e32 v59, v63
	s_delay_alu instid0(VALU_DEP_4) | instskip(NEXT) | instid1(VALU_DEP_1)
	v_pk_add_f32 v[56:57], v[56:57], v[60:61]
	v_pk_add_f32 v[56:57], v[56:57], v[58:59]
	s_wait_loadcnt 0x0
	s_delay_alu instid0(VALU_DEP_1)
	v_pk_add_f32 v[56:57], v[144:145], v[56:57] neg_lo:[0,1] neg_hi:[0,1]
	scratch_store_b64 off, v[56:57], off offset:32
	s_wait_xcnt 0x0
	v_cmpx_lt_u32_e32 3, v0
	s_cbranch_execz .LBB90_169
; %bb.168:
	scratch_load_b64 v[56:57], off, off offset:24
	v_mov_b64_e32 v[58:59], 0
	scratch_store_b64 off, v[58:59], off offset:24
	s_wait_loadcnt 0x0
	ds_store_b64 v1, v[56:57]
.LBB90_169:
	s_wait_xcnt 0x0
	s_or_b32 exec_lo, exec_lo, s0
	s_wait_storecnt_dscnt 0x0
	s_barrier_signal -1
	s_barrier_wait -1
	s_clause 0xc
	scratch_load_b128 v[56:59], off, off offset:32
	scratch_load_b128 v[60:63], off, off offset:48
	;; [unrolled: 1-line block ×11, first 2 shown]
	scratch_load_b64 v[144:145], off, off offset:208
	scratch_load_b64 v[146:147], off, off offset:24
	v_mov_b32_e32 v7, 0
	ds_load_b128 v[100:103], v7 offset:368
	ds_load_b128 v[104:107], v7 offset:384
	;; [unrolled: 1-line block ×11, first 2 shown]
	ds_load_b64 v[148:149], v7 offset:432
	s_mov_b32 s0, exec_lo
	s_wait_dscnt 0xb
	v_dual_mov_b32 v150, v103 :: v_dual_mov_b32 v151, v102
	s_wait_dscnt 0x8
	v_dual_mov_b32 v152, v107 :: v_dual_mov_b32 v157, v114
	v_dual_mov_b32 v153, v106 :: v_dual_mov_b32 v154, v111
	;; [unrolled: 1-line block ×3, first 2 shown]
	s_wait_loadcnt_dscnt 0xc07
	v_dual_mul_f32 v9, v116, v57 :: v_dual_mul_f32 v35, v117, v57
	v_dual_mul_f32 v37, v119, v59 :: v_dual_mul_f32 v11, v118, v59
	s_wait_loadcnt_dscnt 0xb06
	v_mul_f32_e32 v13, v120, v61
	s_wait_loadcnt_dscnt 0x904
	v_dual_mul_f32 v47, v129, v69 :: v_dual_fma_f32 v35, v116, v56, -v35
	v_dual_fmac_f32 v9, v117, v56 :: v_dual_mul_f32 v49, v131, v71
	v_dual_mul_f32 v39, v121, v61 :: v_dual_mul_f32 v41, v123, v63
	v_dual_fmac_f32 v11, v119, v58 :: v_dual_fma_f32 v37, v118, v58, -v37
	s_delay_alu instid0(VALU_DEP_3) | instskip(SKIP_4) | instid1(VALU_DEP_3)
	v_dual_add_f32 v9, 0, v9 :: v_dual_add_f32 v35, 0, v35
	v_dual_mul_f32 v15, v122, v63 :: v_dual_mul_f32 v17, v124, v65
	s_wait_loadcnt_dscnt 0x803
	v_dual_mul_f32 v51, v133, v73 :: v_dual_fma_f32 v39, v120, v60, -v39
	v_fmac_f32_e32 v13, v121, v60
	v_dual_add_f32 v9, v9, v11 :: v_dual_fmac_f32 v15, v123, v62
	v_add_f32_e32 v11, v35, v37
	v_dual_mul_f32 v43, v125, v65 :: v_dual_mul_f32 v45, v127, v67
	v_dual_mul_f32 v35, v135, v75 :: v_dual_fma_f32 v37, v122, v62, -v41
	s_delay_alu instid0(VALU_DEP_3) | instskip(SKIP_3) | instid1(VALU_DEP_3)
	v_dual_add_f32 v9, v9, v13 :: v_dual_add_f32 v11, v11, v39
	v_dual_mul_f32 v19, v126, v67 :: v_dual_mul_f32 v21, v128, v69
	s_wait_loadcnt_dscnt 0x701
	v_dual_mul_f32 v13, v141, v77 :: v_dual_fma_f32 v39, v124, v64, -v43
	v_dual_fmac_f32 v17, v125, v64 :: v_dual_add_f32 v11, v11, v37
	s_delay_alu instid0(VALU_DEP_3) | instskip(SKIP_1) | instid1(VALU_DEP_2)
	v_dual_add_f32 v9, v9, v15 :: v_dual_fmac_f32 v19, v127, v66
	v_dual_mul_f32 v15, v143, v79 :: v_dual_fma_f32 v37, v126, v66, -v45
	v_dual_add_f32 v11, v11, v39 :: v_dual_add_f32 v9, v9, v17
	v_dual_mul_f32 v23, v130, v71 :: v_dual_mul_f32 v25, v132, v73
	s_wait_loadcnt 0x6
	v_dual_mul_f32 v17, v137, v81 :: v_dual_fma_f32 v39, v128, v68, -v47
	s_delay_alu instid0(VALU_DEP_3) | instskip(NEXT) | instid1(VALU_DEP_3)
	v_dual_fmac_f32 v21, v129, v68 :: v_dual_add_f32 v11, v11, v37
	v_dual_add_f32 v9, v9, v19 :: v_dual_fmac_f32 v23, v131, v70
	v_dual_mul_f32 v19, v139, v83 :: v_dual_fma_f32 v37, v130, v70, -v49
	s_delay_alu instid0(VALU_DEP_2) | instskip(SKIP_3) | instid1(VALU_DEP_3)
	v_dual_add_f32 v11, v11, v39 :: v_dual_add_f32 v9, v9, v21
	v_dual_mul_f32 v27, v134, v75 :: v_dual_mul_f32 v29, v140, v77
	s_wait_loadcnt 0x5
	v_dual_mul_f32 v21, v101, v85 :: v_dual_fma_f32 v39, v132, v72, -v51
	v_dual_fmac_f32 v25, v133, v72 :: v_dual_add_f32 v11, v11, v37
	v_dual_add_f32 v9, v9, v23 :: v_dual_mov_b32 v56, v87
	v_fmac_f32_e32 v27, v135, v74
	s_delay_alu instid0(VALU_DEP_3) | instskip(NEXT) | instid1(VALU_DEP_3)
	v_dual_fma_f32 v23, v134, v74, -v35 :: v_dual_add_f32 v11, v11, v39
	v_dual_add_f32 v9, v9, v25 :: v_dual_mul_f32 v31, v142, v79
	v_dual_mul_f32 v33, v136, v81 :: v_dual_fmac_f32 v29, v141, v76
	s_delay_alu instid0(VALU_DEP_3) | instskip(SKIP_1) | instid1(VALU_DEP_3)
	v_dual_add_f32 v11, v11, v23 :: v_dual_fma_f32 v13, v140, v76, -v13
	s_wait_loadcnt 0x4
	v_dual_add_f32 v9, v9, v27 :: v_dual_mov_b32 v60, v91
	v_fma_f32 v15, v142, v78, -v15
	v_fmac_f32_e32 v31, v143, v78
	v_dual_add_f32 v11, v11, v13 :: v_dual_fmac_f32 v33, v137, v80
	s_delay_alu instid0(VALU_DEP_4) | instskip(SKIP_1) | instid1(VALU_DEP_3)
	v_dual_add_f32 v9, v9, v29 :: v_dual_mul_f32 v159, v138, v83
	v_mul_f32_e32 v161, v100, v85
	v_dual_fma_f32 v13, v136, v80, -v17 :: v_dual_add_f32 v11, v11, v15
	s_delay_alu instid0(VALU_DEP_3) | instskip(NEXT) | instid1(VALU_DEP_4)
	v_dual_fma_f32 v158, v138, v82, -v19 :: v_dual_add_f32 v9, v9, v31
	v_fmac_f32_e32 v159, v139, v82
	v_pk_mul_f32 v[56:57], v[150:151], v[56:57] op_sel_hi:[1,0]
	s_delay_alu instid0(VALU_DEP_4) | instskip(NEXT) | instid1(VALU_DEP_4)
	v_dual_add_f32 v64, v11, v13 :: v_dual_fmac_f32 v161, v101, v84
	v_add_f32_e32 v65, v9, v33
	v_pk_mul_f32 v[58:59], v[104:105], v[88:89] op_sel:[1,1] op_sel_hi:[0,1]
	s_wait_loadcnt 0x3
	v_dual_mov_b32 v66, v95 :: v_dual_fma_f32 v160, v100, v84, -v21
	v_pk_fma_f32 v[68:69], v[102:103], v[86:87], v[56:57] op_sel_hi:[1,0,1]
	v_pk_add_f32 v[64:65], v[64:65], v[158:159]
	v_pk_fma_f32 v[56:57], v[102:103], v[86:87], v[56:57] neg_lo:[0,0,1] neg_hi:[0,0,1]
	v_pk_fma_f32 v[70:71], v[104:105], v[88:89], v[58:59] op_sel_hi:[1,0,1]
	v_pk_mul_f32 v[60:61], v[152:153], v[60:61] op_sel_hi:[1,0]
	v_mov_b32_e32 v57, v69
	v_pk_add_f32 v[64:65], v[64:65], v[160:161]
	v_pk_fma_f32 v[58:59], v[104:105], v[88:89], v[58:59] neg_lo:[0,0,1] neg_hi:[0,0,1]
	v_pk_mul_f32 v[62:63], v[108:109], v[92:93] op_sel:[1,1] op_sel_hi:[0,1]
	v_mov_b32_e32 v59, v71
	v_pk_fma_f32 v[70:71], v[106:107], v[90:91], v[60:61] op_sel_hi:[1,0,1]
	v_pk_add_f32 v[56:57], v[64:65], v[56:57]
	v_pk_fma_f32 v[60:61], v[106:107], v[90:91], v[60:61] neg_lo:[0,0,1] neg_hi:[0,0,1]
	v_pk_fma_f32 v[64:65], v[108:109], v[92:93], v[62:63] op_sel_hi:[1,0,1]
	v_pk_mul_f32 v[66:67], v[154:155], v[66:67] op_sel_hi:[1,0]
	v_mov_b32_e32 v61, v71
	v_pk_add_f32 v[56:57], v[56:57], v[58:59]
	v_pk_fma_f32 v[62:63], v[108:109], v[92:93], v[62:63] neg_lo:[0,0,1] neg_hi:[0,0,1]
	s_wait_loadcnt 0x2
	v_pk_mul_f32 v[68:69], v[112:113], v[96:97] op_sel:[1,1] op_sel_hi:[0,1]
	v_dual_mov_b32 v58, v99 :: v_dual_mov_b32 v63, v65
	v_pk_fma_f32 v[64:65], v[110:111], v[94:95], v[66:67] op_sel_hi:[1,0,1]
	v_pk_add_f32 v[56:57], v[56:57], v[60:61]
	v_pk_fma_f32 v[66:67], v[110:111], v[94:95], v[66:67] neg_lo:[0,0,1] neg_hi:[0,0,1]
	v_pk_fma_f32 v[60:61], v[112:113], v[96:97], v[68:69] op_sel_hi:[1,0,1]
	v_pk_mul_f32 v[58:59], v[156:157], v[58:59] op_sel_hi:[1,0]
	v_mov_b32_e32 v67, v65
	v_pk_add_f32 v[56:57], v[56:57], v[62:63]
	v_pk_fma_f32 v[62:63], v[112:113], v[96:97], v[68:69] neg_lo:[0,0,1] neg_hi:[0,0,1]
	v_mov_b32_e32 v63, v61
	v_pk_fma_f32 v[60:61], v[114:115], v[98:99], v[58:59] op_sel_hi:[1,0,1]
	s_wait_loadcnt_dscnt 0x100
	v_pk_mul_f32 v[64:65], v[148:149], v[144:145] op_sel:[1,1] op_sel_hi:[0,1]
	v_pk_add_f32 v[56:57], v[56:57], v[66:67]
	v_pk_fma_f32 v[58:59], v[114:115], v[98:99], v[58:59] neg_lo:[0,0,1] neg_hi:[0,0,1]
	v_mov_b32_e32 v59, v61
	s_delay_alu instid0(VALU_DEP_4) | instskip(NEXT) | instid1(VALU_DEP_4)
	v_pk_fma_f32 v[60:61], v[148:149], v[144:145], v[64:65] op_sel_hi:[1,0,1]
	v_pk_add_f32 v[56:57], v[56:57], v[62:63]
	v_pk_fma_f32 v[62:63], v[148:149], v[144:145], v[64:65] neg_lo:[0,0,1] neg_hi:[0,0,1]
	s_delay_alu instid0(VALU_DEP_3) | instskip(NEXT) | instid1(VALU_DEP_3)
	v_mov_b32_e32 v63, v61
	v_pk_add_f32 v[56:57], v[56:57], v[58:59]
	s_delay_alu instid0(VALU_DEP_1) | instskip(SKIP_1) | instid1(VALU_DEP_1)
	v_pk_add_f32 v[56:57], v[56:57], v[62:63]
	s_wait_loadcnt 0x0
	v_pk_add_f32 v[56:57], v[146:147], v[56:57] neg_lo:[0,1] neg_hi:[0,1]
	scratch_store_b64 off, v[56:57], off offset:24
	s_wait_xcnt 0x0
	v_cmpx_lt_u32_e32 2, v0
	s_cbranch_execz .LBB90_171
; %bb.170:
	scratch_load_b64 v[56:57], off, off offset:16
	v_mov_b64_e32 v[58:59], 0
	scratch_store_b64 off, v[58:59], off offset:16
	s_wait_loadcnt 0x0
	ds_store_b64 v1, v[56:57]
.LBB90_171:
	s_wait_xcnt 0x0
	s_or_b32 exec_lo, exec_lo, s0
	s_wait_storecnt_dscnt 0x0
	s_barrier_signal -1
	s_barrier_wait -1
	s_clause 0xc
	scratch_load_b128 v[56:59], off, off offset:24
	scratch_load_b128 v[60:63], off, off offset:40
	;; [unrolled: 1-line block ×12, first 2 shown]
	scratch_load_b64 v[152:153], off, off offset:16
	ds_load_2addr_b64 v[104:107], v7 offset0:47 offset1:48
	ds_load_2addr_b64 v[108:111], v7 offset0:49 offset1:50
	;; [unrolled: 1-line block ×12, first 2 shown]
	s_mov_b32 s0, exec_lo
	s_wait_dscnt 0xb
	v_dual_mov_b32 v154, v107 :: v_dual_mov_b32 v155, v106
	s_wait_dscnt 0xa
	v_dual_mov_b32 v156, v111 :: v_dual_mov_b32 v157, v110
	;; [unrolled: 2-line block ×4, first 2 shown]
	s_wait_loadcnt_dscnt 0xc07
	v_dual_mul_f32 v7, v120, v57 :: v_dual_mul_f32 v9, v122, v59
	v_dual_mul_f32 v35, v121, v57 :: v_dual_mul_f32 v37, v123, v59
	s_wait_loadcnt_dscnt 0xb06
	v_dual_mul_f32 v11, v124, v61 :: v_dual_mul_f32 v13, v126, v63
	s_delay_alu instid0(VALU_DEP_3) | instskip(SKIP_3) | instid1(VALU_DEP_3)
	v_dual_fmac_f32 v7, v121, v56 :: v_dual_fmac_f32 v9, v123, v58
	s_wait_loadcnt_dscnt 0x904
	v_dual_fma_f32 v35, v120, v56, -v35 :: v_dual_mul_f32 v47, v133, v69
	v_dual_mul_f32 v39, v125, v61 :: v_dual_mul_f32 v41, v127, v63
	v_dual_fma_f32 v37, v122, v58, -v37 :: v_dual_add_f32 v7, 0, v7
	s_delay_alu instid0(VALU_DEP_3) | instskip(SKIP_1) | instid1(VALU_DEP_4)
	v_dual_add_f32 v35, 0, v35 :: v_dual_fmac_f32 v11, v125, v60
	v_dual_mul_f32 v15, v128, v65 :: v_dual_mul_f32 v17, v130, v67
	v_dual_mul_f32 v49, v135, v71 :: v_dual_fma_f32 v39, v124, v60, -v39
	s_delay_alu instid0(VALU_DEP_4) | instskip(NEXT) | instid1(VALU_DEP_3)
	v_add_f32_e32 v7, v7, v9
	v_dual_add_f32 v9, v35, v37 :: v_dual_fmac_f32 v15, v129, v64
	v_dual_mul_f32 v43, v129, v65 :: v_dual_mul_f32 v45, v131, v67
	s_wait_loadcnt_dscnt 0x803
	v_dual_mul_f32 v35, v137, v73 :: v_dual_fmac_f32 v13, v127, v62
	v_dual_fma_f32 v37, v126, v62, -v41 :: v_dual_add_f32 v7, v7, v11
	s_delay_alu instid0(VALU_DEP_3) | instskip(SKIP_1) | instid1(VALU_DEP_3)
	v_dual_add_f32 v9, v9, v39 :: v_dual_fma_f32 v39, v128, v64, -v43
	v_dual_mul_f32 v19, v132, v69 :: v_dual_mul_f32 v21, v134, v71
	v_add_f32_e32 v7, v7, v13
	s_delay_alu instid0(VALU_DEP_3) | instskip(SKIP_2) | instid1(VALU_DEP_3)
	v_dual_mul_f32 v11, v139, v75 :: v_dual_add_f32 v9, v9, v37
	s_wait_loadcnt_dscnt 0x702
	v_dual_mul_f32 v13, v141, v77 :: v_dual_fmac_f32 v17, v131, v66
	v_dual_fma_f32 v37, v130, v66, -v45 :: v_dual_add_f32 v7, v7, v15
	s_delay_alu instid0(VALU_DEP_3) | instskip(SKIP_1) | instid1(VALU_DEP_3)
	v_dual_add_f32 v9, v9, v39 :: v_dual_fma_f32 v39, v132, v68, -v47
	v_dual_mul_f32 v15, v143, v79 :: v_dual_fmac_f32 v19, v133, v68
	v_add_f32_e32 v7, v7, v17
	s_delay_alu instid0(VALU_DEP_3)
	v_dual_add_f32 v9, v9, v37 :: v_dual_fmac_f32 v21, v135, v70
	v_dual_mul_f32 v23, v136, v73 :: v_dual_mul_f32 v25, v138, v75
	s_wait_loadcnt_dscnt 0x601
	v_dual_fma_f32 v37, v134, v70, -v49 :: v_dual_mul_f32 v17, v145, v81
	v_add_f32_e32 v7, v7, v19
	v_dual_add_f32 v9, v9, v39 :: v_dual_fma_f32 v35, v136, v72, -v35
	v_dual_mul_f32 v19, v147, v83 :: v_dual_fmac_f32 v23, v137, v72
	s_delay_alu instid0(VALU_DEP_3) | instskip(NEXT) | instid1(VALU_DEP_3)
	v_dual_add_f32 v7, v7, v21 :: v_dual_fma_f32 v11, v138, v74, -v11
	v_dual_add_f32 v9, v9, v37 :: v_dual_fmac_f32 v25, v139, v74
	v_dual_mul_f32 v27, v140, v77 :: v_dual_mul_f32 v29, v142, v79
	s_wait_loadcnt_dscnt 0x500
	s_delay_alu instid0(VALU_DEP_3) | instskip(NEXT) | instid1(VALU_DEP_3)
	v_dual_mul_f32 v21, v149, v85 :: v_dual_add_f32 v7, v7, v23
	v_dual_add_f32 v9, v9, v35 :: v_dual_fma_f32 v13, v140, v76, -v13
	s_delay_alu instid0(VALU_DEP_3) | instskip(NEXT) | instid1(VALU_DEP_2)
	v_dual_mul_f32 v23, v151, v87 :: v_dual_fmac_f32 v27, v141, v76
	v_dual_add_f32 v7, v7, v25 :: v_dual_add_f32 v9, v9, v11
	v_dual_mul_f32 v31, v144, v81 :: v_dual_mul_f32 v33, v146, v83
	v_dual_fmac_f32 v29, v143, v78 :: v_dual_fma_f32 v11, v142, v78, -v15
	s_delay_alu instid0(VALU_DEP_3) | instskip(SKIP_1) | instid1(VALU_DEP_3)
	v_dual_add_f32 v7, v7, v27 :: v_dual_add_f32 v9, v9, v13
	s_wait_loadcnt 0x4
	v_dual_mov_b32 v58, v91 :: v_dual_fmac_f32 v31, v145, v80
	s_delay_alu instid0(VALU_DEP_2) | instskip(NEXT) | instid1(VALU_DEP_3)
	v_dual_fma_f32 v13, v144, v80, -v17 :: v_dual_add_f32 v7, v7, v29
	v_dual_add_f32 v9, v9, v11 :: v_dual_fmac_f32 v33, v147, v82
	v_dual_mul_f32 v163, v148, v85 :: v_dual_mul_f32 v165, v150, v87
	s_delay_alu instid0(VALU_DEP_3) | instskip(SKIP_1) | instid1(VALU_DEP_3)
	v_dual_fma_f32 v11, v146, v82, -v19 :: v_dual_add_f32 v7, v7, v31
	s_wait_loadcnt 0x3
	v_dual_add_f32 v9, v9, v13 :: v_dual_mov_b32 v62, v95
	v_pk_mul_f32 v[56:57], v[104:105], v[88:89] op_sel:[1,1] op_sel_hi:[0,1]
	v_dual_fmac_f32 v163, v149, v84 :: v_dual_fma_f32 v162, v148, v84, -v21
	s_delay_alu instid0(VALU_DEP_3) | instskip(SKIP_1) | instid1(VALU_DEP_4)
	v_dual_add_f32 v65, v7, v33 :: v_dual_add_f32 v64, v9, v11
	v_dual_fmac_f32 v165, v151, v86 :: v_dual_fma_f32 v164, v150, v86, -v23
	v_pk_fma_f32 v[66:67], v[104:105], v[88:89], v[56:57] op_sel_hi:[1,0,1]
	v_pk_mul_f32 v[58:59], v[154:155], v[58:59] op_sel_hi:[1,0]
	s_delay_alu instid0(VALU_DEP_4)
	v_pk_add_f32 v[64:65], v[64:65], v[162:163]
	v_pk_fma_f32 v[56:57], v[104:105], v[88:89], v[56:57] neg_lo:[0,0,1] neg_hi:[0,0,1]
	v_pk_mul_f32 v[60:61], v[108:109], v[92:93] op_sel:[1,1] op_sel_hi:[0,1]
	v_mov_b32_e32 v57, v67
	v_pk_fma_f32 v[66:67], v[106:107], v[90:91], v[58:59] op_sel_hi:[1,0,1]
	v_pk_add_f32 v[64:65], v[64:65], v[164:165]
	v_pk_fma_f32 v[58:59], v[106:107], v[90:91], v[58:59] neg_lo:[0,0,1] neg_hi:[0,0,1]
	v_pk_fma_f32 v[70:71], v[108:109], v[92:93], v[60:61] op_sel_hi:[1,0,1]
	v_pk_mul_f32 v[62:63], v[156:157], v[62:63] op_sel_hi:[1,0]
	v_mov_b32_e32 v59, v67
	v_pk_add_f32 v[56:57], v[64:65], v[56:57]
	s_wait_loadcnt 0x2
	v_pk_mul_f32 v[68:69], v[112:113], v[96:97] op_sel:[1,1] op_sel_hi:[0,1]
	v_mov_b32_e32 v64, v99
	v_pk_fma_f32 v[60:61], v[108:109], v[92:93], v[60:61] neg_lo:[0,0,1] neg_hi:[0,0,1]
	v_mov_b32_e32 v61, v71
	v_pk_fma_f32 v[66:67], v[110:111], v[94:95], v[62:63] op_sel_hi:[1,0,1]
	v_pk_add_f32 v[56:57], v[56:57], v[58:59]
	v_pk_fma_f32 v[58:59], v[112:113], v[96:97], v[68:69] op_sel_hi:[1,0,1]
	v_pk_mul_f32 v[64:65], v[158:159], v[64:65] op_sel_hi:[1,0]
	v_pk_fma_f32 v[62:63], v[110:111], v[94:95], v[62:63] neg_lo:[0,0,1] neg_hi:[0,0,1]
	v_mov_b32_e32 v63, v67
	v_pk_add_f32 v[56:57], v[56:57], v[60:61]
	v_pk_fma_f32 v[66:67], v[112:113], v[96:97], v[68:69] neg_lo:[0,0,1] neg_hi:[0,0,1]
	v_mov_b32_e32 v67, v59
	v_pk_fma_f32 v[58:59], v[114:115], v[98:99], v[64:65] op_sel_hi:[1,0,1]
	s_wait_loadcnt 0x1
	v_pk_mul_f32 v[60:61], v[116:117], v[100:101] op_sel:[1,1] op_sel_hi:[0,1]
	v_pk_add_f32 v[56:57], v[56:57], v[62:63]
	v_mov_b32_e32 v58, v103
	v_pk_fma_f32 v[64:65], v[114:115], v[98:99], v[64:65] neg_lo:[0,0,1] neg_hi:[0,0,1]
	v_mov_b32_e32 v65, v59
	v_pk_fma_f32 v[62:63], v[116:117], v[100:101], v[60:61] op_sel_hi:[1,0,1]
	v_pk_add_f32 v[56:57], v[56:57], v[66:67]
	v_pk_mul_f32 v[58:59], v[160:161], v[58:59] op_sel_hi:[1,0]
	v_pk_fma_f32 v[60:61], v[116:117], v[100:101], v[60:61] neg_lo:[0,0,1] neg_hi:[0,0,1]
	s_delay_alu instid0(VALU_DEP_4) | instskip(NEXT) | instid1(VALU_DEP_4)
	v_mov_b32_e32 v61, v63
	v_pk_add_f32 v[56:57], v[56:57], v[64:65]
	s_delay_alu instid0(VALU_DEP_4) | instskip(SKIP_1) | instid1(VALU_DEP_2)
	v_pk_fma_f32 v[62:63], v[118:119], v[102:103], v[58:59] op_sel_hi:[1,0,1]
	v_pk_fma_f32 v[58:59], v[118:119], v[102:103], v[58:59] neg_lo:[0,0,1] neg_hi:[0,0,1]
	v_mov_b32_e32 v59, v63
	s_delay_alu instid0(VALU_DEP_4) | instskip(NEXT) | instid1(VALU_DEP_1)
	v_pk_add_f32 v[56:57], v[56:57], v[60:61]
	v_pk_add_f32 v[56:57], v[56:57], v[58:59]
	s_wait_loadcnt 0x0
	s_delay_alu instid0(VALU_DEP_1)
	v_pk_add_f32 v[56:57], v[152:153], v[56:57] neg_lo:[0,1] neg_hi:[0,1]
	scratch_store_b64 off, v[56:57], off offset:16
	s_wait_xcnt 0x0
	v_cmpx_lt_u32_e32 1, v0
	s_cbranch_execz .LBB90_173
; %bb.172:
	scratch_load_b64 v[56:57], off, off offset:8
	v_mov_b64_e32 v[58:59], 0
	scratch_store_b64 off, v[58:59], off offset:8
	s_wait_loadcnt 0x0
	ds_store_b64 v1, v[56:57]
.LBB90_173:
	s_wait_xcnt 0x0
	s_or_b32 exec_lo, exec_lo, s0
	s_wait_storecnt_dscnt 0x0
	s_barrier_signal -1
	s_barrier_wait -1
	s_clause 0xd
	scratch_load_b128 v[58:61], off, off offset:16
	scratch_load_b128 v[62:65], off, off offset:32
	;; [unrolled: 1-line block ×12, first 2 shown]
	scratch_load_b64 v[154:155], off, off offset:208
	scratch_load_b64 v[156:157], off, off offset:8
	v_dual_mov_b32 v56, 0 :: v_dual_ashrrev_i32 v7, 31, v6
	v_dual_ashrrev_i32 v9, 31, v8 :: v_dual_ashrrev_i32 v11, 31, v10
	v_dual_ashrrev_i32 v13, 31, v12 :: v_dual_ashrrev_i32 v15, 31, v14
	ds_load_b128 v[106:109], v56 offset:368
	ds_load_b128 v[122:125], v56 offset:240
	;; [unrolled: 1-line block ×12, first 2 shown]
	ds_load_b64 v[158:159], v56 offset:432
	v_dual_ashrrev_i32 v17, 31, v16 :: v_dual_ashrrev_i32 v19, 31, v18
	v_dual_ashrrev_i32 v21, 31, v20 :: v_dual_ashrrev_i32 v23, 31, v22
	v_dual_ashrrev_i32 v25, 31, v24 :: v_dual_ashrrev_i32 v27, 31, v26
	v_dual_ashrrev_i32 v29, 31, v28 :: v_dual_ashrrev_i32 v31, 31, v30
	s_mov_b32 s0, exec_lo
	s_wait_dscnt 0xc
	v_dual_mov_b32 v160, v109 :: v_dual_mov_b32 v161, v108
	s_wait_dscnt 0xa
	v_dual_mov_b32 v162, v113 :: v_dual_mov_b32 v163, v112
	;; [unrolled: 2-line block ×4, first 2 shown]
	s_wait_loadcnt 0xd
	v_dual_mul_f32 v33, v122, v59 :: v_dual_mul_f32 v35, v124, v61
	v_dual_mul_f32 v37, v123, v59 :: v_dual_mul_f32 v39, v125, v61
	s_wait_loadcnt_dscnt 0xc07
	v_dual_mul_f32 v41, v126, v63 :: v_dual_mul_f32 v43, v128, v65
	s_delay_alu instid0(VALU_DEP_3) | instskip(NEXT) | instid1(VALU_DEP_3)
	v_dual_fmac_f32 v33, v123, v58 :: v_dual_fmac_f32 v35, v125, v60
	v_dual_fma_f32 v37, v122, v58, -v37 :: v_dual_fma_f32 v39, v124, v60, -v39
	v_dual_mul_f32 v45, v127, v63 :: v_dual_mul_f32 v47, v129, v65
	s_wait_loadcnt 0x5
	s_delay_alu instid0(VALU_DEP_3) | instskip(SKIP_3) | instid1(VALU_DEP_3)
	v_dual_mul_f32 v61, v106, v91 :: v_dual_add_f32 v33, 0, v33
	s_wait_dscnt 0x4
	v_dual_add_f32 v37, 0, v37 :: v_dual_mul_f32 v58, v139, v75
	v_fmac_f32_e32 v41, v127, v62
	v_dual_fma_f32 v45, v126, v62, -v45 :: v_dual_add_f32 v33, v33, v35
	s_delay_alu instid0(VALU_DEP_3) | instskip(SKIP_3) | instid1(VALU_DEP_4)
	v_add_f32_e32 v35, v37, v39
	v_dual_mul_f32 v49, v130, v67 :: v_dual_mul_f32 v51, v132, v69
	v_dual_mul_f32 v53, v131, v67 :: v_dual_mul_f32 v55, v133, v69
	v_dual_mul_f32 v37, v141, v77 :: v_dual_fma_f32 v39, v128, v64, -v47
	v_dual_fmac_f32 v43, v129, v64 :: v_dual_add_f32 v35, v35, v45
	s_wait_dscnt 0x3
	v_dual_add_f32 v33, v33, v41 :: v_dual_mul_f32 v41, v143, v79
	v_fmac_f32_e32 v49, v131, v66
	s_delay_alu instid0(VALU_DEP_3) | instskip(NEXT) | instid1(VALU_DEP_3)
	v_dual_fma_f32 v45, v130, v66, -v53 :: v_dual_add_f32 v35, v35, v39
	v_add_f32_e32 v33, v33, v43
	v_dual_mul_f32 v57, v134, v71 :: v_dual_mul_f32 v63, v136, v73
	s_wait_dscnt 0x1
	v_dual_mul_f32 v71, v135, v71 :: v_dual_mul_f32 v59, v152, v89
	v_dual_mul_f32 v39, v145, v81 :: v_dual_fma_f32 v43, v132, v68, -v55
	v_dual_fmac_f32 v51, v133, v68 :: v_dual_add_f32 v35, v35, v45
	v_dual_add_f32 v33, v33, v49 :: v_dual_mul_f32 v45, v147, v83
	v_dual_mul_f32 v171, v150, v87 :: v_dual_mul_f32 v73, v137, v73
	v_dual_fmac_f32 v57, v135, v70 :: v_dual_fma_f32 v47, v134, v70, -v71
	s_delay_alu instid0(VALU_DEP_3) | instskip(SKIP_2) | instid1(VALU_DEP_2)
	v_add_f32_e32 v33, v33, v51
	v_dual_add_f32 v35, v35, v43 :: v_dual_mul_f32 v43, v149, v85
	v_dual_mul_f32 v65, v138, v75 :: v_dual_mul_f32 v67, v140, v77
	v_dual_fmac_f32 v63, v137, v72 :: v_dual_add_f32 v35, v35, v47
	s_delay_alu instid0(VALU_DEP_4) | instskip(SKIP_1) | instid1(VALU_DEP_4)
	v_dual_fma_f32 v49, v136, v72, -v73 :: v_dual_add_f32 v33, v33, v57
	v_mul_f32_e32 v47, v151, v87
	v_dual_fmac_f32 v65, v139, v74 :: v_dual_fma_f32 v51, v138, v74, -v58
	s_delay_alu instid0(VALU_DEP_3) | instskip(SKIP_2) | instid1(VALU_DEP_3)
	v_dual_add_f32 v35, v35, v49 :: v_dual_add_f32 v33, v33, v63
	v_dual_mul_f32 v69, v142, v79 :: v_dual_mul_f32 v168, v144, v81
	v_dual_mul_f32 v49, v153, v89 :: v_dual_fma_f32 v37, v140, v76, -v37
	v_dual_fmac_f32 v67, v141, v76 :: v_dual_add_f32 v35, v35, v51
	s_delay_alu instid0(VALU_DEP_4) | instskip(NEXT) | instid1(VALU_DEP_4)
	v_dual_add_f32 v33, v33, v65 :: v_dual_mul_f32 v51, v107, v91
	v_fmac_f32_e32 v69, v143, v78
	s_delay_alu instid0(VALU_DEP_3) | instskip(NEXT) | instid1(VALU_DEP_3)
	v_dual_fma_f32 v41, v142, v78, -v41 :: v_dual_add_f32 v35, v35, v37
	v_add_f32_e32 v33, v33, v67
	v_dual_mul_f32 v169, v146, v83 :: v_dual_mul_f32 v170, v148, v85
	v_dual_mov_b32 v60, v93 :: v_dual_fma_f32 v37, v144, v80, -v39
	s_delay_alu instid0(VALU_DEP_4) | instskip(NEXT) | instid1(VALU_DEP_3)
	v_dual_fmac_f32 v168, v145, v80 :: v_dual_add_f32 v35, v35, v41
	v_dual_add_f32 v33, v33, v69 :: v_dual_fmac_f32 v169, v147, v82
	s_wait_loadcnt 0x4
	v_dual_fma_f32 v39, v146, v82, -v45 :: v_dual_mov_b32 v64, v97
	s_delay_alu instid0(VALU_DEP_2) | instskip(SKIP_2) | instid1(VALU_DEP_3)
	v_dual_add_f32 v35, v35, v37 :: v_dual_add_f32 v33, v33, v168
	v_dual_fmac_f32 v170, v149, v84 :: v_dual_fma_f32 v37, v148, v84, -v43
	v_dual_fmac_f32 v171, v151, v86 :: v_dual_fma_f32 v58, v152, v88, -v49
	v_dual_add_f32 v33, v33, v169 :: v_dual_add_f32 v35, v35, v39
	v_fma_f32 v39, v150, v86, -v47
	v_fmac_f32_e32 v59, v153, v88
	v_pk_mul_f32 v[68:69], v[160:161], v[60:61] op_sel_hi:[1,0]
	v_pk_mul_f32 v[62:63], v[110:111], v[94:95] op_sel:[1,1] op_sel_hi:[0,1]
	v_dual_add_f32 v35, v35, v37 :: v_dual_add_f32 v33, v33, v170
	v_dual_fmac_f32 v61, v107, v90 :: v_dual_fma_f32 v60, v106, v90, -v51
	s_delay_alu instid0(VALU_DEP_4) | instskip(NEXT) | instid1(VALU_DEP_3)
	v_pk_fma_f32 v[74:75], v[108:109], v[92:93], v[68:69] op_sel_hi:[1,0,1]
	v_add_f32_e32 v70, v35, v39
	s_delay_alu instid0(VALU_DEP_4)
	v_add_f32_e32 v71, v33, v171
	v_pk_fma_f32 v[68:69], v[108:109], v[92:93], v[68:69] neg_lo:[0,0,1] neg_hi:[0,0,1]
	s_wait_loadcnt 0x3
	v_dual_mov_b32 v72, v101 :: v_dual_mov_b32 v69, v75
	v_pk_mul_f32 v[64:65], v[162:163], v[64:65] op_sel_hi:[1,0]
	v_pk_add_f32 v[58:59], v[70:71], v[58:59]
	v_pk_fma_f32 v[70:71], v[110:111], v[94:95], v[62:63] op_sel_hi:[1,0,1]
	v_pk_fma_f32 v[62:63], v[110:111], v[94:95], v[62:63] neg_lo:[0,0,1] neg_hi:[0,0,1]
	v_pk_mul_f32 v[66:67], v[114:115], v[98:99] op_sel:[1,1] op_sel_hi:[0,1]
	v_pk_mul_f32 v[72:73], v[164:165], v[72:73] op_sel_hi:[1,0]
	v_pk_add_f32 v[58:59], v[58:59], v[60:61]
	v_mov_b32_e32 v63, v71
	v_pk_fma_f32 v[70:71], v[112:113], v[96:97], v[64:65] op_sel_hi:[1,0,1]
	v_pk_fma_f32 v[64:65], v[112:113], v[96:97], v[64:65] neg_lo:[0,0,1] neg_hi:[0,0,1]
	s_wait_loadcnt 0x2
	v_pk_mul_f32 v[60:61], v[118:119], v[102:103] op_sel:[1,1] op_sel_hi:[0,1]
	v_pk_add_f32 v[58:59], v[58:59], v[68:69]
	v_pk_fma_f32 v[68:69], v[114:115], v[98:99], v[66:67] op_sel_hi:[1,0,1]
	v_mov_b32_e32 v65, v71
	v_pk_fma_f32 v[66:67], v[114:115], v[98:99], v[66:67] neg_lo:[0,0,1] neg_hi:[0,0,1]
	v_pk_fma_f32 v[70:71], v[116:117], v[100:101], v[72:73] neg_lo:[0,0,1] neg_hi:[0,0,1]
	v_pk_add_f32 v[58:59], v[58:59], v[62:63]
	v_dual_mov_b32 v62, v105 :: v_dual_mov_b32 v67, v69
	v_pk_fma_f32 v[68:69], v[116:117], v[100:101], v[72:73] op_sel_hi:[1,0,1]
	v_ashrrev_i32_e32 v33, 31, v32
	s_delay_alu instid0(VALU_DEP_4)
	v_pk_add_f32 v[58:59], v[58:59], v[64:65]
	v_pk_fma_f32 v[64:65], v[118:119], v[102:103], v[60:61] op_sel_hi:[1,0,1]
	v_pk_mul_f32 v[62:63], v[166:167], v[62:63] op_sel_hi:[1,0]
	v_mov_b32_e32 v71, v69
	v_pk_fma_f32 v[60:61], v[118:119], v[102:103], v[60:61] neg_lo:[0,0,1] neg_hi:[0,0,1]
	v_pk_add_f32 v[58:59], v[58:59], v[66:67]
	v_dual_mov_b32 v61, v65 :: v_dual_ashrrev_i32 v35, 31, v34
	v_pk_fma_f32 v[64:65], v[120:121], v[104:105], v[62:63] op_sel_hi:[1,0,1]
	s_wait_loadcnt_dscnt 0x100
	v_pk_mul_f32 v[66:67], v[158:159], v[154:155] op_sel:[1,1] op_sel_hi:[0,1]
	v_pk_add_f32 v[58:59], v[58:59], v[70:71]
	v_pk_fma_f32 v[62:63], v[120:121], v[104:105], v[62:63] neg_lo:[0,0,1] neg_hi:[0,0,1]
	v_dual_ashrrev_i32 v37, 31, v36 :: v_dual_mov_b32 v63, v65
	s_delay_alu instid0(VALU_DEP_4) | instskip(NEXT) | instid1(VALU_DEP_4)
	v_pk_fma_f32 v[64:65], v[158:159], v[154:155], v[66:67] neg_lo:[0,0,1] neg_hi:[0,0,1]
	v_pk_add_f32 v[58:59], v[58:59], v[60:61]
	v_pk_fma_f32 v[60:61], v[158:159], v[154:155], v[66:67] op_sel_hi:[1,0,1]
	v_dual_ashrrev_i32 v39, 31, v38 :: v_dual_ashrrev_i32 v41, 31, v40
	v_ashrrev_i32_e32 v43, 31, v42
	s_delay_alu instid0(VALU_DEP_4) | instskip(NEXT) | instid1(VALU_DEP_4)
	v_pk_add_f32 v[58:59], v[58:59], v[62:63]
	v_dual_mov_b32 v65, v61 :: v_dual_ashrrev_i32 v45, 31, v44
	v_dual_ashrrev_i32 v47, 31, v46 :: v_dual_ashrrev_i32 v49, 31, v48
	v_ashrrev_i32_e32 v51, 31, v50
	s_delay_alu instid0(VALU_DEP_3) | instskip(SKIP_2) | instid1(VALU_DEP_2)
	v_pk_add_f32 v[58:59], v[58:59], v[64:65]
	v_dual_ashrrev_i32 v53, 31, v52 :: v_dual_ashrrev_i32 v55, 31, v54
	s_wait_loadcnt 0x0
	v_pk_add_f32 v[58:59], v[156:157], v[58:59] neg_lo:[0,1] neg_hi:[0,1]
	scratch_store_b64 off, v[58:59], off offset:8
	s_wait_xcnt 0x0
	v_cmpx_ne_u32_e32 0, v0
	s_cbranch_execz .LBB90_175
; %bb.174:
	scratch_load_b64 v[58:59], off, off
	v_mov_b64_e32 v[60:61], 0
	scratch_store_b64 off, v[60:61], off
	s_wait_loadcnt 0x0
	ds_store_b64 v1, v[58:59]
.LBB90_175:
	s_wait_xcnt 0x0
	s_or_b32 exec_lo, exec_lo, s0
	s_wait_storecnt_dscnt 0x0
	s_barrier_signal -1
	s_barrier_wait -1
	s_clause 0xd
	scratch_load_b128 v[58:61], off, off offset:8
	scratch_load_b128 v[62:65], off, off offset:24
	;; [unrolled: 1-line block ×13, first 2 shown]
	scratch_load_b64 v[0:1], off, off
	ds_load_2addr_b64 v[110:113], v56 offset0:47 offset1:48
	ds_load_2addr_b64 v[114:117], v56 offset0:49 offset1:50
	;; [unrolled: 1-line block ×13, first 2 shown]
	s_and_b32 vcc_lo, exec_lo, s12
	s_wait_dscnt 0xc
	v_dual_mov_b32 v56, v113 :: v_dual_mov_b32 v57, v112
	s_wait_dscnt 0xb
	v_dual_mov_b32 v162, v117 :: v_dual_mov_b32 v163, v116
	;; [unrolled: 2-line block ×4, first 2 shown]
	s_wait_loadcnt_dscnt 0xd08
	v_dual_mul_f32 v168, v126, v59 :: v_dual_mul_f32 v170, v128, v61
	v_dual_mul_f32 v59, v127, v59 :: v_dual_mul_f32 v61, v129, v61
	s_wait_loadcnt_dscnt 0xa05
	v_dual_mul_f32 v176, v138, v71 :: v_dual_mul_f32 v177, v140, v73
	v_mul_f32_e32 v71, v139, v71
	s_delay_alu instid0(VALU_DEP_3)
	v_dual_fmac_f32 v168, v127, v58 :: v_dual_fma_f32 v58, v126, v58, -v59
	v_dual_mul_f32 v172, v130, v63 :: v_dual_mul_f32 v173, v132, v65
	v_dual_mul_f32 v63, v131, v63 :: v_dual_mul_f32 v65, v133, v65
	v_mul_f32_e32 v59, v141, v73
	v_dual_fmac_f32 v170, v129, v60 :: v_dual_fma_f32 v60, v128, v60, -v61
	v_dual_add_f32 v61, 0, v168 :: v_dual_add_f32 v58, 0, v58
	s_wait_loadcnt_dscnt 0x903
	v_mul_f32_e32 v73, v147, v75
	v_dual_fmac_f32 v172, v131, v62 :: v_dual_fma_f32 v62, v130, v62, -v63
	s_delay_alu instid0(VALU_DEP_3) | instskip(SKIP_3) | instid1(VALU_DEP_3)
	v_dual_add_f32 v61, v61, v170 :: v_dual_fma_f32 v63, v132, v64, -v65
	v_add_f32_e32 v58, v58, v60
	v_dual_mul_f32 v174, v134, v67 :: v_dual_mul_f32 v175, v136, v69
	v_dual_mul_f32 v67, v135, v67 :: v_dual_mul_f32 v69, v137, v69
	v_dual_mul_f32 v60, v149, v77 :: v_dual_add_f32 v58, v58, v62
	s_wait_loadcnt_dscnt 0x802
	v_dual_fmac_f32 v173, v133, v64 :: v_dual_mul_f32 v62, v151, v79
	v_dual_add_f32 v61, v61, v172 :: v_dual_fmac_f32 v174, v135, v66
	v_fma_f32 v64, v134, v66, -v67
	v_dual_add_f32 v58, v58, v63 :: v_dual_mul_f32 v63, v153, v81
	s_delay_alu instid0(VALU_DEP_3) | instskip(SKIP_2) | instid1(VALU_DEP_3)
	v_add_f32_e32 v61, v61, v173
	v_dual_fmac_f32 v175, v137, v68 :: v_dual_fma_f32 v65, v136, v68, -v69
	s_wait_loadcnt_dscnt 0x701
	v_dual_add_f32 v58, v58, v64 :: v_dual_mul_f32 v64, v155, v83
	v_fma_f32 v66, v138, v70, -v71
	v_add_f32_e32 v61, v61, v174
	s_delay_alu instid0(VALU_DEP_3) | instskip(SKIP_1) | instid1(VALU_DEP_3)
	v_dual_fmac_f32 v176, v139, v70 :: v_dual_add_f32 v58, v58, v65
	v_dual_fmac_f32 v177, v141, v72 :: v_dual_mul_f32 v178, v146, v75
	v_dual_mul_f32 v179, v148, v77 :: v_dual_add_f32 v61, v61, v175
	v_dual_mul_f32 v65, v157, v85 :: v_dual_fma_f32 v59, v140, v72, -v59
	s_wait_loadcnt_dscnt 0x600
	v_dual_add_f32 v58, v58, v66 :: v_dual_mul_f32 v66, v159, v87
	s_delay_alu instid0(VALU_DEP_3) | instskip(NEXT) | instid1(VALU_DEP_2)
	v_dual_fma_f32 v67, v146, v74, -v73 :: v_dual_add_f32 v61, v61, v176
	v_dual_fmac_f32 v178, v147, v74 :: v_dual_add_f32 v58, v58, v59
	v_dual_mul_f32 v68, v161, v89 :: v_dual_mul_f32 v180, v150, v79
	v_mul_f32_e32 v181, v152, v81
	s_delay_alu instid0(VALU_DEP_4)
	v_add_f32_e32 v61, v61, v177
	v_dual_fmac_f32 v179, v149, v76 :: v_dual_fma_f32 v59, v148, v76, -v60
	v_add_f32_e32 v58, v58, v67
	v_fma_f32 v62, v150, v78, -v62
	s_wait_loadcnt 0x5
	v_dual_add_f32 v60, v61, v178 :: v_dual_mul_f32 v61, v143, v91
	s_delay_alu instid0(VALU_DEP_3) | instskip(NEXT) | instid1(VALU_DEP_2)
	v_dual_fmac_f32 v180, v151, v78 :: v_dual_add_f32 v58, v58, v59
	v_dual_mul_f32 v70, v145, v93 :: v_dual_add_f32 v60, v60, v179
	v_dual_mul_f32 v182, v154, v83 :: v_dual_mul_f32 v183, v156, v85
	v_dual_fmac_f32 v181, v153, v80 :: v_dual_fma_f32 v63, v152, v80, -v63
	s_delay_alu instid0(VALU_DEP_3) | instskip(NEXT) | instid1(VALU_DEP_3)
	v_dual_add_f32 v60, v60, v180 :: v_dual_add_f32 v62, v58, v62
	v_dual_fmac_f32 v182, v155, v82 :: v_dual_fma_f32 v64, v154, v82, -v64
	v_dual_mul_f32 v184, v158, v87 :: v_dual_mul_f32 v185, v160, v89
	s_delay_alu instid0(VALU_DEP_3) | instskip(SKIP_2) | instid1(VALU_DEP_2)
	v_dual_add_f32 v67, v60, v181 :: v_dual_add_f32 v62, v62, v63
	s_wait_loadcnt 0x4
	v_dual_mov_b32 v60, v97 :: v_dual_fma_f32 v65, v156, v84, -v65
	v_dual_fmac_f32 v183, v157, v84 :: v_dual_add_f32 v67, v67, v182
	s_delay_alu instid0(VALU_DEP_3) | instskip(SKIP_2) | instid1(VALU_DEP_3)
	v_dual_add_f32 v64, v62, v64 :: v_dual_fmac_f32 v184, v159, v86
	v_fma_f32 v66, v158, v86, -v66
	v_dual_mul_f32 v169, v142, v91 :: v_dual_mul_f32 v171, v144, v93
	v_dual_add_f32 v67, v67, v183 :: v_dual_add_f32 v65, v64, v65
	s_wait_loadcnt 0x3
	v_mov_b32_e32 v64, v101
	v_dual_fmac_f32 v185, v161, v88 :: v_dual_fma_f32 v68, v160, v88, -v68
	s_delay_alu instid0(VALU_DEP_3) | instskip(SKIP_2) | instid1(VALU_DEP_3)
	v_dual_add_f32 v69, v67, v184 :: v_dual_add_f32 v65, v65, v66
	v_pk_mul_f32 v[58:59], v[110:111], v[94:95] op_sel:[1,1] op_sel_hi:[0,1]
	v_fmac_f32_e32 v169, v143, v90
	v_dual_fma_f32 v168, v142, v90, -v61 :: v_dual_add_f32 v69, v69, v185
	s_delay_alu instid0(VALU_DEP_4) | instskip(SKIP_3) | instid1(VALU_DEP_4)
	v_add_f32_e32 v68, v65, v68
	v_dual_fmac_f32 v171, v145, v92 :: v_dual_fma_f32 v170, v144, v92, -v70
	v_pk_fma_f32 v[70:71], v[110:111], v[94:95], v[58:59] op_sel_hi:[1,0,1]
	v_pk_mul_f32 v[56:57], v[56:57], v[60:61] op_sel_hi:[1,0]
	v_pk_add_f32 v[60:61], v[68:69], v[168:169]
	v_pk_fma_f32 v[58:59], v[110:111], v[94:95], v[58:59] neg_lo:[0,0,1] neg_hi:[0,0,1]
	v_pk_mul_f32 v[62:63], v[114:115], v[98:99] op_sel:[1,1] op_sel_hi:[0,1]
	s_wait_loadcnt 0x2
	v_dual_mov_b32 v68, v105 :: v_dual_mov_b32 v59, v71
	v_pk_fma_f32 v[70:71], v[112:113], v[96:97], v[56:57] op_sel_hi:[1,0,1]
	v_pk_add_f32 v[60:61], v[60:61], v[170:171]
	v_pk_fma_f32 v[56:57], v[112:113], v[96:97], v[56:57] neg_lo:[0,0,1] neg_hi:[0,0,1]
	v_pk_fma_f32 v[72:73], v[114:115], v[98:99], v[62:63] op_sel_hi:[1,0,1]
	v_pk_mul_f32 v[64:65], v[162:163], v[64:65] op_sel_hi:[1,0]
	v_mov_b32_e32 v57, v71
	v_pk_add_f32 v[58:59], v[60:61], v[58:59]
	v_pk_fma_f32 v[62:63], v[114:115], v[98:99], v[62:63] neg_lo:[0,0,1] neg_hi:[0,0,1]
	v_pk_mul_f32 v[66:67], v[118:119], v[102:103] op_sel:[1,1] op_sel_hi:[0,1]
	v_mov_b32_e32 v63, v73
	v_pk_fma_f32 v[70:71], v[116:117], v[100:101], v[64:65] op_sel_hi:[1,0,1]
	v_pk_add_f32 v[56:57], v[58:59], v[56:57]
	v_pk_fma_f32 v[64:65], v[116:117], v[100:101], v[64:65] neg_lo:[0,0,1] neg_hi:[0,0,1]
	v_pk_fma_f32 v[58:59], v[118:119], v[102:103], v[66:67] op_sel_hi:[1,0,1]
	v_pk_mul_f32 v[68:69], v[164:165], v[68:69] op_sel_hi:[1,0]
	s_wait_loadcnt 0x1
	v_dual_mov_b32 v65, v71 :: v_dual_mov_b32 v58, v109
	v_pk_add_f32 v[56:57], v[56:57], v[62:63]
	v_pk_fma_f32 v[62:63], v[118:119], v[102:103], v[66:67] neg_lo:[0,0,1] neg_hi:[0,0,1]
	v_pk_mul_f32 v[60:61], v[122:123], v[106:107] op_sel:[1,1] op_sel_hi:[0,1]
	v_pk_fma_f32 v[66:67], v[120:121], v[104:105], v[68:69] op_sel_hi:[1,0,1]
	v_mov_b32_e32 v63, v59
	v_pk_add_f32 v[56:57], v[56:57], v[64:65]
	v_pk_fma_f32 v[68:69], v[120:121], v[104:105], v[68:69] neg_lo:[0,0,1] neg_hi:[0,0,1]
	v_pk_fma_f32 v[64:65], v[122:123], v[106:107], v[60:61] op_sel_hi:[1,0,1]
	v_pk_mul_f32 v[58:59], v[166:167], v[58:59] op_sel_hi:[1,0]
	v_mov_b32_e32 v69, v67
	v_pk_add_f32 v[56:57], v[56:57], v[62:63]
	v_pk_fma_f32 v[60:61], v[122:123], v[106:107], v[60:61] neg_lo:[0,0,1] neg_hi:[0,0,1]
	s_delay_alu instid0(VALU_DEP_4) | instskip(SKIP_1) | instid1(VALU_DEP_4)
	v_pk_fma_f32 v[62:63], v[124:125], v[108:109], v[58:59] op_sel_hi:[1,0,1]
	v_mov_b32_e32 v61, v65
	v_pk_add_f32 v[56:57], v[56:57], v[68:69]
	v_pk_fma_f32 v[58:59], v[124:125], v[108:109], v[58:59] neg_lo:[0,0,1] neg_hi:[0,0,1]
	s_delay_alu instid0(VALU_DEP_4) | instskip(NEXT) | instid1(VALU_DEP_3)
	v_mov_b32_e32 v59, v63
	v_pk_add_f32 v[56:57], v[56:57], v[60:61]
	s_delay_alu instid0(VALU_DEP_1) | instskip(SKIP_1) | instid1(VALU_DEP_1)
	v_pk_add_f32 v[56:57], v[56:57], v[58:59]
	s_wait_loadcnt 0x0
	v_pk_add_f32 v[56:57], v[0:1], v[56:57] neg_lo:[0,1] neg_hi:[0,1]
	scratch_store_b64 off, v[56:57], off
	s_cbranch_vccz .LBB90_228
; %bb.176:
	v_mov_b32_e32 v0, 0
	global_load_b32 v1, v0, s[8:9] offset:100
	s_wait_loadcnt 0x0
	v_cmp_ne_u32_e32 vcc_lo, 26, v1
	s_cbranch_vccz .LBB90_178
; %bb.177:
	v_lshlrev_b32_e32 v1, 3, v1
	scratch_load_b64 v[56:57], v1, off offset:-8
	scratch_load_b64 v[58:59], off, off offset:200
	s_wait_loadcnt 0x1
	scratch_store_b64 off, v[56:57], off offset:200
	s_wait_loadcnt 0x0
	scratch_store_b64 v1, v[58:59], off offset:-8
.LBB90_178:
	global_load_b32 v0, v0, s[8:9] offset:96
	s_wait_loadcnt 0x0
	v_cmp_eq_u32_e32 vcc_lo, 25, v0
	s_cbranch_vccnz .LBB90_180
; %bb.179:
	s_wait_xcnt 0x0
	v_lshlrev_b32_e32 v0, 3, v0
	s_delay_alu instid0(VALU_DEP_1)
	v_mov_b32_e32 v58, v0
	scratch_load_b64 v[0:1], v58, off offset:-8
	scratch_load_b64 v[56:57], off, off offset:192
	s_wait_loadcnt 0x1
	scratch_store_b64 off, v[0:1], off offset:192
	s_wait_loadcnt 0x0
	scratch_store_b64 v58, v[56:57], off offset:-8
.LBB90_180:
	s_wait_xcnt 0x0
	v_mov_b32_e32 v0, 0
	global_load_b32 v1, v0, s[8:9] offset:92
	s_wait_loadcnt 0x0
	v_cmp_eq_u32_e32 vcc_lo, 24, v1
	s_cbranch_vccnz .LBB90_182
; %bb.181:
	v_lshlrev_b32_e32 v1, 3, v1
	scratch_load_b64 v[56:57], v1, off offset:-8
	scratch_load_b64 v[58:59], off, off offset:184
	s_wait_loadcnt 0x1
	scratch_store_b64 off, v[56:57], off offset:184
	s_wait_loadcnt 0x0
	scratch_store_b64 v1, v[58:59], off offset:-8
.LBB90_182:
	global_load_b32 v0, v0, s[8:9] offset:88
	s_wait_loadcnt 0x0
	v_cmp_eq_u32_e32 vcc_lo, 23, v0
	s_cbranch_vccnz .LBB90_184
; %bb.183:
	s_wait_xcnt 0x0
	v_lshlrev_b32_e32 v0, 3, v0
	s_delay_alu instid0(VALU_DEP_1)
	v_mov_b32_e32 v58, v0
	scratch_load_b64 v[0:1], v58, off offset:-8
	scratch_load_b64 v[56:57], off, off offset:176
	s_wait_loadcnt 0x1
	scratch_store_b64 off, v[0:1], off offset:176
	s_wait_loadcnt 0x0
	scratch_store_b64 v58, v[56:57], off offset:-8
.LBB90_184:
	s_wait_xcnt 0x0
	v_mov_b32_e32 v0, 0
	global_load_b32 v1, v0, s[8:9] offset:84
	s_wait_loadcnt 0x0
	v_cmp_eq_u32_e32 vcc_lo, 22, v1
	s_cbranch_vccnz .LBB90_186
; %bb.185:
	v_lshlrev_b32_e32 v1, 3, v1
	scratch_load_b64 v[56:57], v1, off offset:-8
	scratch_load_b64 v[58:59], off, off offset:168
	s_wait_loadcnt 0x1
	scratch_store_b64 off, v[56:57], off offset:168
	s_wait_loadcnt 0x0
	scratch_store_b64 v1, v[58:59], off offset:-8
.LBB90_186:
	;; [unrolled: 31-line block ×12, first 2 shown]
	global_load_b32 v0, v0, s[8:9]
	scratch_load_b64 v[56:57], off, off
	s_wait_loadcnt 0x1
	v_cmp_eq_u32_e32 vcc_lo, 1, v0
	s_cbranch_vccnz .LBB90_228
; %bb.227:
	s_wait_xcnt 0x1
	v_lshlrev_b32_e32 v0, 3, v0
	s_delay_alu instid0(VALU_DEP_1)
	v_mov_b32_e32 v58, v0
	scratch_load_b64 v[0:1], v58, off offset:-8
	s_wait_loadcnt 0x0
	scratch_store_b64 off, v[0:1], off
	scratch_store_b64 v58, v[56:57], off offset:-8
	scratch_load_b64 v[56:57], off, off
.LBB90_228:
	s_wait_loadcnt 0x0
	flat_store_b64 v[2:3], v[56:57]
	scratch_load_b64 v[2:3], off, off offset:8
	v_lshl_add_u64 v[80:81], v[6:7], 3, s[2:3]
	v_lshl_add_u64 v[78:79], v[8:9], 3, s[2:3]
	;; [unrolled: 1-line block ×25, first 2 shown]
	s_wait_loadcnt 0x0
	flat_store_b64 v[4:5], v[2:3]
	scratch_load_b64 v[2:3], off, off offset:16
	s_wait_loadcnt 0x0
	flat_store_b64 v[80:81], v[2:3]
	scratch_load_b64 v[2:3], off, off offset:24
	;; [unrolled: 3-line block ×25, first 2 shown]
	s_wait_loadcnt 0x0
	flat_store_b64 v[0:1], v[2:3]
	s_sendmsg sendmsg(MSG_DEALLOC_VGPRS)
	s_endpgm
	.section	.rodata,"a",@progbits
	.p2align	6, 0x0
	.amdhsa_kernel _ZN9rocsolver6v33100L18getri_kernel_smallILi27E19rocblas_complex_numIfEPKPS3_EEvT1_iilPiilS8_bb
		.amdhsa_group_segment_fixed_size 440
		.amdhsa_private_segment_fixed_size 224
		.amdhsa_kernarg_size 60
		.amdhsa_user_sgpr_count 2
		.amdhsa_user_sgpr_dispatch_ptr 0
		.amdhsa_user_sgpr_queue_ptr 0
		.amdhsa_user_sgpr_kernarg_segment_ptr 1
		.amdhsa_user_sgpr_dispatch_id 0
		.amdhsa_user_sgpr_kernarg_preload_length 0
		.amdhsa_user_sgpr_kernarg_preload_offset 0
		.amdhsa_user_sgpr_private_segment_size 0
		.amdhsa_wavefront_size32 1
		.amdhsa_uses_dynamic_stack 0
		.amdhsa_enable_private_segment 1
		.amdhsa_system_sgpr_workgroup_id_x 1
		.amdhsa_system_sgpr_workgroup_id_y 0
		.amdhsa_system_sgpr_workgroup_id_z 0
		.amdhsa_system_sgpr_workgroup_info 0
		.amdhsa_system_vgpr_workitem_id 0
		.amdhsa_next_free_vgpr 186
		.amdhsa_next_free_sgpr 19
		.amdhsa_named_barrier_count 0
		.amdhsa_reserve_vcc 1
		.amdhsa_float_round_mode_32 0
		.amdhsa_float_round_mode_16_64 0
		.amdhsa_float_denorm_mode_32 3
		.amdhsa_float_denorm_mode_16_64 3
		.amdhsa_fp16_overflow 0
		.amdhsa_memory_ordered 1
		.amdhsa_forward_progress 1
		.amdhsa_inst_pref_size 255
		.amdhsa_round_robin_scheduling 0
		.amdhsa_exception_fp_ieee_invalid_op 0
		.amdhsa_exception_fp_denorm_src 0
		.amdhsa_exception_fp_ieee_div_zero 0
		.amdhsa_exception_fp_ieee_overflow 0
		.amdhsa_exception_fp_ieee_underflow 0
		.amdhsa_exception_fp_ieee_inexact 0
		.amdhsa_exception_int_div_zero 0
	.end_amdhsa_kernel
	.section	.text._ZN9rocsolver6v33100L18getri_kernel_smallILi27E19rocblas_complex_numIfEPKPS3_EEvT1_iilPiilS8_bb,"axG",@progbits,_ZN9rocsolver6v33100L18getri_kernel_smallILi27E19rocblas_complex_numIfEPKPS3_EEvT1_iilPiilS8_bb,comdat
.Lfunc_end90:
	.size	_ZN9rocsolver6v33100L18getri_kernel_smallILi27E19rocblas_complex_numIfEPKPS3_EEvT1_iilPiilS8_bb, .Lfunc_end90-_ZN9rocsolver6v33100L18getri_kernel_smallILi27E19rocblas_complex_numIfEPKPS3_EEvT1_iilPiilS8_bb
                                        ; -- End function
	.set _ZN9rocsolver6v33100L18getri_kernel_smallILi27E19rocblas_complex_numIfEPKPS3_EEvT1_iilPiilS8_bb.num_vgpr, 186
	.set _ZN9rocsolver6v33100L18getri_kernel_smallILi27E19rocblas_complex_numIfEPKPS3_EEvT1_iilPiilS8_bb.num_agpr, 0
	.set _ZN9rocsolver6v33100L18getri_kernel_smallILi27E19rocblas_complex_numIfEPKPS3_EEvT1_iilPiilS8_bb.numbered_sgpr, 19
	.set _ZN9rocsolver6v33100L18getri_kernel_smallILi27E19rocblas_complex_numIfEPKPS3_EEvT1_iilPiilS8_bb.num_named_barrier, 0
	.set _ZN9rocsolver6v33100L18getri_kernel_smallILi27E19rocblas_complex_numIfEPKPS3_EEvT1_iilPiilS8_bb.private_seg_size, 224
	.set _ZN9rocsolver6v33100L18getri_kernel_smallILi27E19rocblas_complex_numIfEPKPS3_EEvT1_iilPiilS8_bb.uses_vcc, 1
	.set _ZN9rocsolver6v33100L18getri_kernel_smallILi27E19rocblas_complex_numIfEPKPS3_EEvT1_iilPiilS8_bb.uses_flat_scratch, 1
	.set _ZN9rocsolver6v33100L18getri_kernel_smallILi27E19rocblas_complex_numIfEPKPS3_EEvT1_iilPiilS8_bb.has_dyn_sized_stack, 0
	.set _ZN9rocsolver6v33100L18getri_kernel_smallILi27E19rocblas_complex_numIfEPKPS3_EEvT1_iilPiilS8_bb.has_recursion, 0
	.set _ZN9rocsolver6v33100L18getri_kernel_smallILi27E19rocblas_complex_numIfEPKPS3_EEvT1_iilPiilS8_bb.has_indirect_call, 0
	.section	.AMDGPU.csdata,"",@progbits
; Kernel info:
; codeLenInByte = 34544
; TotalNumSgprs: 21
; NumVgprs: 186
; ScratchSize: 224
; MemoryBound: 0
; FloatMode: 240
; IeeeMode: 1
; LDSByteSize: 440 bytes/workgroup (compile time only)
; SGPRBlocks: 0
; VGPRBlocks: 11
; NumSGPRsForWavesPerEU: 21
; NumVGPRsForWavesPerEU: 186
; NamedBarCnt: 0
; Occupancy: 5
; WaveLimiterHint : 1
; COMPUTE_PGM_RSRC2:SCRATCH_EN: 1
; COMPUTE_PGM_RSRC2:USER_SGPR: 2
; COMPUTE_PGM_RSRC2:TRAP_HANDLER: 0
; COMPUTE_PGM_RSRC2:TGID_X_EN: 1
; COMPUTE_PGM_RSRC2:TGID_Y_EN: 0
; COMPUTE_PGM_RSRC2:TGID_Z_EN: 0
; COMPUTE_PGM_RSRC2:TIDIG_COMP_CNT: 0
	.section	.text._ZN9rocsolver6v33100L18getri_kernel_smallILi28E19rocblas_complex_numIfEPKPS3_EEvT1_iilPiilS8_bb,"axG",@progbits,_ZN9rocsolver6v33100L18getri_kernel_smallILi28E19rocblas_complex_numIfEPKPS3_EEvT1_iilPiilS8_bb,comdat
	.globl	_ZN9rocsolver6v33100L18getri_kernel_smallILi28E19rocblas_complex_numIfEPKPS3_EEvT1_iilPiilS8_bb ; -- Begin function _ZN9rocsolver6v33100L18getri_kernel_smallILi28E19rocblas_complex_numIfEPKPS3_EEvT1_iilPiilS8_bb
	.p2align	8
	.type	_ZN9rocsolver6v33100L18getri_kernel_smallILi28E19rocblas_complex_numIfEPKPS3_EEvT1_iilPiilS8_bb,@function
_ZN9rocsolver6v33100L18getri_kernel_smallILi28E19rocblas_complex_numIfEPKPS3_EEvT1_iilPiilS8_bb: ; @_ZN9rocsolver6v33100L18getri_kernel_smallILi28E19rocblas_complex_numIfEPKPS3_EEvT1_iilPiilS8_bb
; %bb.0:
	s_mov_b32 s2, exec_lo
	v_cmpx_gt_u32_e32 28, v0
	s_cbranch_execz .LBB91_126
; %bb.1:
	s_clause 0x1
	s_load_b32 s13, s[0:1], 0x38
	s_load_b64 s[2:3], s[0:1], 0x0
	s_getreg_b32 s6, hwreg(HW_REG_IB_STS2, 6, 4)
	s_wait_kmcnt 0x0
	s_bitcmp1_b32 s13, 8
	s_cselect_b32 s12, -1, 0
	s_bfe_u32 s4, ttmp6, 0x4000c
	s_and_b32 s5, ttmp6, 15
	s_add_co_i32 s4, s4, 1
	s_delay_alu instid0(SALU_CYCLE_1) | instskip(NEXT) | instid1(SALU_CYCLE_1)
	s_mul_i32 s4, ttmp9, s4
	s_add_co_i32 s5, s5, s4
	s_cmp_eq_u32 s6, 0
	s_cselect_b32 s10, ttmp9, s5
	s_load_b128 s[4:7], s[0:1], 0x28
	s_ashr_i32 s11, s10, 31
	s_delay_alu instid0(SALU_CYCLE_1) | instskip(NEXT) | instid1(SALU_CYCLE_1)
	s_lshl_b64 s[8:9], s[10:11], 3
	s_add_nc_u64 s[2:3], s[2:3], s[8:9]
	s_bfe_u32 s8, s13, 0x10008
	s_load_b64 s[2:3], s[2:3], 0x0
	s_cmp_eq_u32 s8, 0
                                        ; implicit-def: $sgpr8_sgpr9
	s_cbranch_scc1 .LBB91_3
; %bb.2:
	s_load_b96 s[16:18], s[0:1], 0x18
	s_wait_kmcnt 0x0
	s_mul_u64 s[4:5], s[4:5], s[10:11]
	s_delay_alu instid0(SALU_CYCLE_1) | instskip(SKIP_4) | instid1(SALU_CYCLE_1)
	s_lshl_b64 s[4:5], s[4:5], 2
	s_ashr_i32 s9, s18, 31
	s_mov_b32 s8, s18
	s_add_nc_u64 s[4:5], s[16:17], s[4:5]
	s_lshl_b64 s[8:9], s[8:9], 2
	s_add_nc_u64 s[8:9], s[4:5], s[8:9]
.LBB91_3:
	s_wait_kmcnt 0x0
	s_clause 0x1
	s_load_b64 s[4:5], s[0:1], 0x8
	s_load_b32 s13, s[0:1], 0x38
	v_dual_mov_b32 v59, 0 :: v_dual_lshlrev_b32 v58, 3, v0
	s_wait_kmcnt 0x0
	s_ashr_i32 s1, s4, 31
	s_mov_b32 s0, s4
	s_delay_alu instid0(SALU_CYCLE_1) | instskip(NEXT) | instid1(SALU_CYCLE_1)
	s_lshl_b64 s[0:1], s[0:1], 3
	s_add_nc_u64 s[2:3], s[2:3], s[0:1]
	s_ashr_i32 s1, s5, 31
	flat_load_b64 v[6:7], v0, s[2:3] scale_offset
	v_add_nc_u64_e32 v[2:3], s[2:3], v[58:59]
	s_mov_b32 s0, s5
	s_bitcmp0_b32 s13, 0
	s_delay_alu instid0(VALU_DEP_1)
	v_lshl_add_u64 v[4:5], s[0:1], 3, v[2:3]
	s_mov_b32 s1, -1
	s_wait_loadcnt_dscnt 0x0
	scratch_store_b64 off, v[6:7], off
	flat_load_b64 v[8:9], v[4:5]
	s_wait_xcnt 0x1
	v_add3_u32 v6, s5, s5, v0
	s_wait_loadcnt_dscnt 0x0
	scratch_store_b64 off, v[8:9], off offset:8
	flat_load_b64 v[10:11], v6, s[2:3] scale_offset
	s_wait_xcnt 0x1
	v_add_nc_u32_e32 v8, s5, v6
	s_wait_loadcnt_dscnt 0x0
	scratch_store_b64 off, v[10:11], off offset:16
	flat_load_b64 v[12:13], v8, s[2:3] scale_offset
	s_wait_xcnt 0x1
	v_add_nc_u32_e32 v10, s5, v8
	;; [unrolled: 5-line block ×25, first 2 shown]
	s_wait_loadcnt_dscnt 0x0
	scratch_store_b64 off, v[60:61], off offset:208
	flat_load_b64 v[60:61], v56, s[2:3] scale_offset
	s_wait_loadcnt_dscnt 0x0
	scratch_store_b64 off, v[60:61], off offset:216
	s_cbranch_scc1 .LBB91_124
; %bb.4:
	v_cmp_eq_u32_e64 s0, 0, v0
	s_wait_xcnt 0x0
	s_and_saveexec_b32 s1, s0
; %bb.5:
	v_mov_b32_e32 v1, 0
	ds_store_b32 v1, v1 offset:448
; %bb.6:
	s_or_b32 exec_lo, exec_lo, s1
	s_wait_storecnt_dscnt 0x0
	s_barrier_signal -1
	s_barrier_wait -1
	scratch_load_b64 v[60:61], v0, off scale_offset
	s_wait_loadcnt 0x0
	v_cmp_eq_f32_e32 vcc_lo, 0, v60
	v_cmp_eq_f32_e64 s1, 0, v61
	s_and_b32 s1, vcc_lo, s1
	s_delay_alu instid0(SALU_CYCLE_1)
	s_and_saveexec_b32 s4, s1
	s_cbranch_execz .LBB91_10
; %bb.7:
	v_mov_b32_e32 v1, 0
	s_mov_b32 s5, 0
	ds_load_b32 v7, v1 offset:448
	s_wait_dscnt 0x0
	v_readfirstlane_b32 s1, v7
	v_add_nc_u32_e32 v7, 1, v0
	s_cmp_eq_u32 s1, 0
	s_delay_alu instid0(VALU_DEP_1) | instskip(SKIP_1) | instid1(SALU_CYCLE_1)
	v_cmp_gt_i32_e32 vcc_lo, s1, v7
	s_cselect_b32 s13, -1, 0
	s_or_b32 s13, s13, vcc_lo
	s_delay_alu instid0(SALU_CYCLE_1)
	s_and_b32 exec_lo, exec_lo, s13
	s_cbranch_execz .LBB91_10
; %bb.8:
	v_mov_b32_e32 v9, s1
.LBB91_9:                               ; =>This Inner Loop Header: Depth=1
	ds_cmpstore_rtn_b32 v9, v1, v7, v9 offset:448
	s_wait_dscnt 0x0
	v_cmp_ne_u32_e32 vcc_lo, 0, v9
	v_cmp_le_i32_e64 s1, v9, v7
	s_and_b32 s1, vcc_lo, s1
	s_delay_alu instid0(SALU_CYCLE_1) | instskip(NEXT) | instid1(SALU_CYCLE_1)
	s_and_b32 s1, exec_lo, s1
	s_or_b32 s5, s1, s5
	s_delay_alu instid0(SALU_CYCLE_1)
	s_and_not1_b32 exec_lo, exec_lo, s5
	s_cbranch_execnz .LBB91_9
.LBB91_10:
	s_or_b32 exec_lo, exec_lo, s4
	v_mov_b32_e32 v1, 0
	s_barrier_signal -1
	s_barrier_wait -1
	ds_load_b32 v7, v1 offset:448
	s_and_saveexec_b32 s1, s0
	s_cbranch_execz .LBB91_12
; %bb.11:
	s_lshl_b64 s[4:5], s[10:11], 2
	s_delay_alu instid0(SALU_CYCLE_1)
	s_add_nc_u64 s[4:5], s[6:7], s[4:5]
	s_wait_dscnt 0x0
	global_store_b32 v1, v7, s[4:5]
.LBB91_12:
	s_wait_xcnt 0x0
	s_or_b32 exec_lo, exec_lo, s1
	s_wait_dscnt 0x0
	v_cmp_ne_u32_e32 vcc_lo, 0, v7
	s_mov_b32 s1, 0
	s_cbranch_vccnz .LBB91_124
; %bb.13:
	v_lshl_add_u32 v7, v0, 3, 0
                                        ; implicit-def: $vgpr63
                                        ; implicit-def: $vgpr64
	scratch_load_b64 v[60:61], v7, off
	s_wait_loadcnt 0x0
	v_cmp_ngt_f32_e64 s1, |v60|, |v61|
	s_wait_xcnt 0x0
	s_and_saveexec_b32 s4, s1
	s_delay_alu instid0(SALU_CYCLE_1)
	s_xor_b32 s1, exec_lo, s4
	s_cbranch_execz .LBB91_15
; %bb.14:
	v_div_scale_f32 v1, null, v61, v61, v60
	v_div_scale_f32 v13, vcc_lo, v60, v61, v60
	s_delay_alu instid0(VALU_DEP_2) | instskip(SKIP_1) | instid1(TRANS32_DEP_1)
	v_rcp_f32_e32 v9, v1
	v_nop
	v_fma_f32 v11, -v1, v9, 1.0
	s_delay_alu instid0(VALU_DEP_1) | instskip(NEXT) | instid1(VALU_DEP_1)
	v_fmac_f32_e32 v9, v11, v9
	v_mul_f32_e32 v11, v13, v9
	s_delay_alu instid0(VALU_DEP_1) | instskip(NEXT) | instid1(VALU_DEP_1)
	v_fma_f32 v15, -v1, v11, v13
	v_fmac_f32_e32 v11, v15, v9
	s_delay_alu instid0(VALU_DEP_1) | instskip(NEXT) | instid1(VALU_DEP_1)
	v_fma_f32 v1, -v1, v11, v13
	v_div_fmas_f32 v1, v1, v9, v11
	s_delay_alu instid0(VALU_DEP_1) | instskip(NEXT) | instid1(VALU_DEP_1)
	v_div_fixup_f32 v1, v1, v61, v60
	v_fmac_f32_e32 v61, v60, v1
	s_delay_alu instid0(VALU_DEP_1) | instskip(NEXT) | instid1(VALU_DEP_1)
	v_div_scale_f32 v9, null, v61, v61, -1.0
	v_rcp_f32_e32 v11, v9
	v_nop
	s_delay_alu instid0(TRANS32_DEP_1) | instskip(NEXT) | instid1(VALU_DEP_1)
	v_fma_f32 v13, -v9, v11, 1.0
	v_fmac_f32_e32 v11, v13, v11
	v_div_scale_f32 v13, vcc_lo, -1.0, v61, -1.0
	s_delay_alu instid0(VALU_DEP_1) | instskip(NEXT) | instid1(VALU_DEP_1)
	v_mul_f32_e32 v15, v13, v11
	v_fma_f32 v17, -v9, v15, v13
	s_delay_alu instid0(VALU_DEP_1) | instskip(NEXT) | instid1(VALU_DEP_1)
	v_fmac_f32_e32 v15, v17, v11
	v_fma_f32 v9, -v9, v15, v13
	s_delay_alu instid0(VALU_DEP_1) | instskip(NEXT) | instid1(VALU_DEP_1)
	v_div_fmas_f32 v9, v9, v11, v15
	v_div_fixup_f32 v63, v9, v61, -1.0
                                        ; implicit-def: $vgpr60_vgpr61
	s_delay_alu instid0(VALU_DEP_1) | instskip(NEXT) | instid1(VALU_DEP_1)
	v_mul_f32_e32 v64, v1, v63
	v_xor_b32_e32 v62, 0x80000000, v64
.LBB91_15:
	s_and_not1_saveexec_b32 s1, s1
	s_cbranch_execz .LBB91_17
; %bb.16:
	v_div_scale_f32 v1, null, v60, v60, v61
	v_div_scale_f32 v13, vcc_lo, v61, v60, v61
	s_delay_alu instid0(VALU_DEP_2) | instskip(SKIP_1) | instid1(TRANS32_DEP_1)
	v_rcp_f32_e32 v9, v1
	v_nop
	v_fma_f32 v11, -v1, v9, 1.0
	s_delay_alu instid0(VALU_DEP_1) | instskip(NEXT) | instid1(VALU_DEP_1)
	v_fmac_f32_e32 v9, v11, v9
	v_mul_f32_e32 v11, v13, v9
	s_delay_alu instid0(VALU_DEP_1) | instskip(NEXT) | instid1(VALU_DEP_1)
	v_fma_f32 v15, -v1, v11, v13
	v_fmac_f32_e32 v11, v15, v9
	s_delay_alu instid0(VALU_DEP_1) | instskip(NEXT) | instid1(VALU_DEP_1)
	v_fma_f32 v1, -v1, v11, v13
	v_div_fmas_f32 v1, v1, v9, v11
	s_delay_alu instid0(VALU_DEP_1) | instskip(NEXT) | instid1(VALU_DEP_1)
	v_div_fixup_f32 v1, v1, v60, v61
	v_fmac_f32_e32 v60, v61, v1
	s_delay_alu instid0(VALU_DEP_1) | instskip(SKIP_1) | instid1(VALU_DEP_2)
	v_div_scale_f32 v9, null, v60, v60, 1.0
	v_div_scale_f32 v15, vcc_lo, 1.0, v60, 1.0
	v_rcp_f32_e32 v11, v9
	v_nop
	s_delay_alu instid0(TRANS32_DEP_1) | instskip(NEXT) | instid1(VALU_DEP_1)
	v_fma_f32 v13, -v9, v11, 1.0
	v_fmac_f32_e32 v11, v13, v11
	s_delay_alu instid0(VALU_DEP_1) | instskip(NEXT) | instid1(VALU_DEP_1)
	v_mul_f32_e32 v13, v15, v11
	v_fma_f32 v17, -v9, v13, v15
	s_delay_alu instid0(VALU_DEP_1) | instskip(NEXT) | instid1(VALU_DEP_1)
	v_fmac_f32_e32 v13, v17, v11
	v_fma_f32 v9, -v9, v13, v15
	s_delay_alu instid0(VALU_DEP_1) | instskip(NEXT) | instid1(VALU_DEP_1)
	v_div_fmas_f32 v9, v9, v11, v13
	v_div_fixup_f32 v62, v9, v60, 1.0
	s_delay_alu instid0(VALU_DEP_1)
	v_xor_b32_e32 v64, 0x80000000, v62
	v_mul_f32_e64 v63, v1, -v62
.LBB91_17:
	s_or_b32 exec_lo, exec_lo, s1
	scratch_store_b64 v7, v[62:63], off
	scratch_load_b64 v[60:61], off, off offset:8
	v_xor_b32_e32 v65, 0x80000000, v63
	v_add_nc_u32_e32 v1, 0xe0, v58
	s_wait_loadcnt 0x0
	ds_store_2addr_b64 v58, v[64:65], v[60:61] offset1:28
	s_wait_storecnt_dscnt 0x0
	s_barrier_signal -1
	s_barrier_wait -1
	s_wait_xcnt 0x0
	s_and_saveexec_b32 s1, s0
	s_cbranch_execz .LBB91_19
; %bb.18:
	scratch_load_b64 v[60:61], v7, off
	ds_load_b64 v[62:63], v1
	s_wait_loadcnt_dscnt 0x0
	v_pk_mul_f32 v[66:67], v[62:63], v[60:61] op_sel:[1,1] op_sel_hi:[0,1]
	s_delay_alu instid0(VALU_DEP_1) | instskip(SKIP_2) | instid1(VALU_DEP_3)
	v_pk_fma_f32 v[68:69], v[62:63], v[60:61], v[66:67] op_sel_hi:[1,0,1]
	v_mov_b32_e32 v9, 0
	v_pk_fma_f32 v[60:61], v[62:63], v[60:61], v[66:67] neg_lo:[0,0,1] neg_hi:[0,0,1]
	v_mov_b32_e32 v61, v69
	ds_load_b64 v[64:65], v9 offset:8
	v_pk_add_f32 v[60:61], v[60:61], 0 op_sel_hi:[1,0]
	s_wait_dscnt 0x0
	s_delay_alu instid0(VALU_DEP_1) | instskip(NEXT) | instid1(VALU_DEP_1)
	v_pk_mul_f32 v[62:63], v[60:61], v[64:65] op_sel:[1,1] op_sel_hi:[0,1]
	v_pk_fma_f32 v[66:67], v[60:61], v[64:65], v[62:63] op_sel_hi:[1,0,1]
	v_pk_fma_f32 v[60:61], v[60:61], v[64:65], v[62:63] neg_lo:[0,0,1] neg_hi:[0,0,1]
	s_delay_alu instid0(VALU_DEP_2)
	v_mov_b32_e32 v61, v67
	scratch_store_b64 off, v[60:61], off offset:8
.LBB91_19:
	s_wait_xcnt 0x0
	s_or_b32 exec_lo, exec_lo, s1
	s_wait_storecnt 0x0
	s_barrier_signal -1
	s_barrier_wait -1
	scratch_load_b64 v[60:61], off, off offset:16
	s_mov_b32 s1, exec_lo
	s_wait_loadcnt 0x0
	ds_store_b64 v1, v[60:61]
	s_wait_dscnt 0x0
	s_barrier_signal -1
	s_barrier_wait -1
	v_cmpx_gt_u32_e32 2, v0
	s_cbranch_execz .LBB91_23
; %bb.20:
	scratch_load_b64 v[60:61], v7, off
	ds_load_b64 v[62:63], v1
	s_wait_loadcnt_dscnt 0x0
	v_pk_mul_f32 v[64:65], v[62:63], v[60:61] op_sel:[1,1] op_sel_hi:[0,1]
	s_delay_alu instid0(VALU_DEP_1) | instskip(SKIP_1) | instid1(VALU_DEP_2)
	v_pk_fma_f32 v[66:67], v[62:63], v[60:61], v[64:65] op_sel_hi:[1,0,1]
	v_pk_fma_f32 v[60:61], v[62:63], v[60:61], v[64:65] neg_lo:[0,0,1] neg_hi:[0,0,1]
	v_mov_b32_e32 v61, v67
	s_delay_alu instid0(VALU_DEP_1)
	v_pk_add_f32 v[60:61], v[60:61], 0 op_sel_hi:[1,0]
	s_and_saveexec_b32 s4, s0
	s_cbranch_execz .LBB91_22
; %bb.21:
	scratch_load_b64 v[62:63], off, off offset:8
	v_mov_b32_e32 v7, 0
	ds_load_b64 v[64:65], v7 offset:232
	s_wait_loadcnt_dscnt 0x0
	v_pk_mul_f32 v[66:67], v[64:65], v[62:63] op_sel:[1,1] op_sel_hi:[0,1]
	s_delay_alu instid0(VALU_DEP_1) | instskip(SKIP_1) | instid1(VALU_DEP_2)
	v_pk_fma_f32 v[68:69], v[64:65], v[62:63], v[66:67] op_sel_hi:[1,0,1]
	v_pk_fma_f32 v[62:63], v[64:65], v[62:63], v[66:67] neg_lo:[0,0,1] neg_hi:[0,0,1]
	v_mov_b32_e32 v63, v69
	s_delay_alu instid0(VALU_DEP_1)
	v_pk_add_f32 v[60:61], v[60:61], v[62:63]
.LBB91_22:
	s_or_b32 exec_lo, exec_lo, s4
	v_mov_b32_e32 v7, 0
	ds_load_b64 v[62:63], v7 offset:16
	s_wait_dscnt 0x0
	v_pk_mul_f32 v[64:65], v[60:61], v[62:63] op_sel:[1,1] op_sel_hi:[0,1]
	s_delay_alu instid0(VALU_DEP_1) | instskip(SKIP_1) | instid1(VALU_DEP_2)
	v_pk_fma_f32 v[66:67], v[60:61], v[62:63], v[64:65] op_sel_hi:[1,0,1]
	v_pk_fma_f32 v[60:61], v[60:61], v[62:63], v[64:65] neg_lo:[0,0,1] neg_hi:[0,0,1]
	v_mov_b32_e32 v61, v67
	scratch_store_b64 off, v[60:61], off offset:16
.LBB91_23:
	s_wait_xcnt 0x0
	s_or_b32 exec_lo, exec_lo, s1
	s_wait_storecnt 0x0
	s_barrier_signal -1
	s_barrier_wait -1
	scratch_load_b64 v[60:61], off, off offset:24
	v_add_nc_u32_e32 v7, -1, v0
	s_mov_b32 s0, exec_lo
	s_wait_loadcnt 0x0
	ds_store_b64 v1, v[60:61]
	s_wait_dscnt 0x0
	s_barrier_signal -1
	s_barrier_wait -1
	v_cmpx_gt_u32_e32 3, v0
	s_cbranch_execz .LBB91_27
; %bb.24:
	v_dual_mov_b32 v60, 0 :: v_dual_add_nc_u32 v9, -1, v0
	v_add_nc_u32_e32 v11, 0xe0, v58
	v_mov_b32_e32 v13, v58
	s_mov_b32 s1, 0
	s_delay_alu instid0(VALU_DEP_3)
	v_mov_b32_e32 v61, v60
.LBB91_25:                              ; =>This Inner Loop Header: Depth=1
	scratch_load_b64 v[62:63], v13, off
	ds_load_b64 v[64:65], v11
	s_wait_xcnt 0x0
	v_dual_add_nc_u32 v11, 8, v11 :: v_dual_add_nc_u32 v13, 8, v13
	s_wait_loadcnt_dscnt 0x0
	v_pk_mul_f32 v[66:67], v[64:65], v[62:63] op_sel:[1,1] op_sel_hi:[0,1]
	s_delay_alu instid0(VALU_DEP_1) | instskip(SKIP_2) | instid1(VALU_DEP_3)
	v_pk_fma_f32 v[68:69], v[64:65], v[62:63], v[66:67] op_sel_hi:[1,0,1]
	v_add_nc_u32_e32 v9, 1, v9
	v_pk_fma_f32 v[62:63], v[64:65], v[62:63], v[66:67] neg_lo:[0,0,1] neg_hi:[0,0,1]
	v_mov_b32_e32 v63, v69
	s_delay_alu instid0(VALU_DEP_3) | instskip(NEXT) | instid1(VALU_DEP_2)
	v_cmp_lt_u32_e32 vcc_lo, 1, v9
	v_pk_add_f32 v[60:61], v[60:61], v[62:63]
	s_or_b32 s1, vcc_lo, s1
	s_delay_alu instid0(SALU_CYCLE_1)
	s_and_not1_b32 exec_lo, exec_lo, s1
	s_cbranch_execnz .LBB91_25
; %bb.26:
	s_or_b32 exec_lo, exec_lo, s1
	v_mov_b32_e32 v9, 0
	ds_load_b64 v[62:63], v9 offset:24
	s_wait_dscnt 0x0
	v_pk_mul_f32 v[64:65], v[60:61], v[62:63] op_sel:[1,1] op_sel_hi:[0,1]
	s_delay_alu instid0(VALU_DEP_1) | instskip(SKIP_1) | instid1(VALU_DEP_2)
	v_pk_fma_f32 v[66:67], v[60:61], v[62:63], v[64:65] op_sel_hi:[1,0,1]
	v_pk_fma_f32 v[60:61], v[60:61], v[62:63], v[64:65] neg_lo:[0,0,1] neg_hi:[0,0,1]
	v_mov_b32_e32 v61, v67
	scratch_store_b64 off, v[60:61], off offset:24
.LBB91_27:
	s_wait_xcnt 0x0
	s_or_b32 exec_lo, exec_lo, s0
	s_wait_storecnt 0x0
	s_barrier_signal -1
	s_barrier_wait -1
	scratch_load_b64 v[60:61], off, off offset:32
	s_mov_b32 s0, exec_lo
	s_wait_loadcnt 0x0
	ds_store_b64 v1, v[60:61]
	s_wait_dscnt 0x0
	s_barrier_signal -1
	s_barrier_wait -1
	v_cmpx_gt_u32_e32 4, v0
	s_cbranch_execz .LBB91_31
; %bb.28:
	v_dual_mov_b32 v60, 0 :: v_dual_add_nc_u32 v9, -1, v0
	v_add_nc_u32_e32 v11, 0xe0, v58
	v_mov_b32_e32 v13, v58
	s_mov_b32 s1, 0
	s_delay_alu instid0(VALU_DEP_3)
	v_mov_b32_e32 v61, v60
.LBB91_29:                              ; =>This Inner Loop Header: Depth=1
	scratch_load_b64 v[62:63], v13, off
	ds_load_b64 v[64:65], v11
	s_wait_xcnt 0x0
	v_dual_add_nc_u32 v11, 8, v11 :: v_dual_add_nc_u32 v13, 8, v13
	s_wait_loadcnt_dscnt 0x0
	v_pk_mul_f32 v[66:67], v[64:65], v[62:63] op_sel:[1,1] op_sel_hi:[0,1]
	s_delay_alu instid0(VALU_DEP_1) | instskip(SKIP_2) | instid1(VALU_DEP_3)
	v_pk_fma_f32 v[68:69], v[64:65], v[62:63], v[66:67] op_sel_hi:[1,0,1]
	v_add_nc_u32_e32 v9, 1, v9
	v_pk_fma_f32 v[62:63], v[64:65], v[62:63], v[66:67] neg_lo:[0,0,1] neg_hi:[0,0,1]
	v_mov_b32_e32 v63, v69
	s_delay_alu instid0(VALU_DEP_3) | instskip(NEXT) | instid1(VALU_DEP_2)
	v_cmp_lt_u32_e32 vcc_lo, 2, v9
	v_pk_add_f32 v[60:61], v[60:61], v[62:63]
	s_or_b32 s1, vcc_lo, s1
	s_delay_alu instid0(SALU_CYCLE_1)
	s_and_not1_b32 exec_lo, exec_lo, s1
	s_cbranch_execnz .LBB91_29
; %bb.30:
	s_or_b32 exec_lo, exec_lo, s1
	v_mov_b32_e32 v9, 0
	ds_load_b64 v[62:63], v9 offset:32
	s_wait_dscnt 0x0
	v_pk_mul_f32 v[64:65], v[60:61], v[62:63] op_sel:[1,1] op_sel_hi:[0,1]
	s_delay_alu instid0(VALU_DEP_1) | instskip(SKIP_1) | instid1(VALU_DEP_2)
	v_pk_fma_f32 v[66:67], v[60:61], v[62:63], v[64:65] op_sel_hi:[1,0,1]
	v_pk_fma_f32 v[60:61], v[60:61], v[62:63], v[64:65] neg_lo:[0,0,1] neg_hi:[0,0,1]
	v_mov_b32_e32 v61, v67
	scratch_store_b64 off, v[60:61], off offset:32
.LBB91_31:
	s_wait_xcnt 0x0
	s_or_b32 exec_lo, exec_lo, s0
	s_wait_storecnt 0x0
	s_barrier_signal -1
	s_barrier_wait -1
	scratch_load_b64 v[60:61], off, off offset:40
	s_mov_b32 s0, exec_lo
	s_wait_loadcnt 0x0
	ds_store_b64 v1, v[60:61]
	s_wait_dscnt 0x0
	s_barrier_signal -1
	s_barrier_wait -1
	v_cmpx_gt_u32_e32 5, v0
	s_cbranch_execz .LBB91_35
; %bb.32:
	v_dual_mov_b32 v60, 0 :: v_dual_add_nc_u32 v9, -1, v0
	v_add_nc_u32_e32 v11, 0xe0, v58
	v_mov_b32_e32 v13, v58
	s_mov_b32 s1, 0
	s_delay_alu instid0(VALU_DEP_3)
	v_mov_b32_e32 v61, v60
.LBB91_33:                              ; =>This Inner Loop Header: Depth=1
	scratch_load_b64 v[62:63], v13, off
	ds_load_b64 v[64:65], v11
	s_wait_xcnt 0x0
	v_dual_add_nc_u32 v11, 8, v11 :: v_dual_add_nc_u32 v13, 8, v13
	s_wait_loadcnt_dscnt 0x0
	v_pk_mul_f32 v[66:67], v[64:65], v[62:63] op_sel:[1,1] op_sel_hi:[0,1]
	s_delay_alu instid0(VALU_DEP_1) | instskip(SKIP_2) | instid1(VALU_DEP_3)
	v_pk_fma_f32 v[68:69], v[64:65], v[62:63], v[66:67] op_sel_hi:[1,0,1]
	v_add_nc_u32_e32 v9, 1, v9
	v_pk_fma_f32 v[62:63], v[64:65], v[62:63], v[66:67] neg_lo:[0,0,1] neg_hi:[0,0,1]
	v_mov_b32_e32 v63, v69
	s_delay_alu instid0(VALU_DEP_3) | instskip(NEXT) | instid1(VALU_DEP_2)
	v_cmp_lt_u32_e32 vcc_lo, 3, v9
	v_pk_add_f32 v[60:61], v[60:61], v[62:63]
	s_or_b32 s1, vcc_lo, s1
	s_delay_alu instid0(SALU_CYCLE_1)
	s_and_not1_b32 exec_lo, exec_lo, s1
	s_cbranch_execnz .LBB91_33
; %bb.34:
	s_or_b32 exec_lo, exec_lo, s1
	v_mov_b32_e32 v9, 0
	ds_load_b64 v[62:63], v9 offset:40
	s_wait_dscnt 0x0
	v_pk_mul_f32 v[64:65], v[60:61], v[62:63] op_sel:[1,1] op_sel_hi:[0,1]
	s_delay_alu instid0(VALU_DEP_1) | instskip(SKIP_1) | instid1(VALU_DEP_2)
	v_pk_fma_f32 v[66:67], v[60:61], v[62:63], v[64:65] op_sel_hi:[1,0,1]
	v_pk_fma_f32 v[60:61], v[60:61], v[62:63], v[64:65] neg_lo:[0,0,1] neg_hi:[0,0,1]
	v_mov_b32_e32 v61, v67
	scratch_store_b64 off, v[60:61], off offset:40
.LBB91_35:
	s_wait_xcnt 0x0
	s_or_b32 exec_lo, exec_lo, s0
	s_wait_storecnt 0x0
	s_barrier_signal -1
	s_barrier_wait -1
	scratch_load_b64 v[60:61], off, off offset:48
	s_mov_b32 s0, exec_lo
	s_wait_loadcnt 0x0
	ds_store_b64 v1, v[60:61]
	s_wait_dscnt 0x0
	s_barrier_signal -1
	s_barrier_wait -1
	v_cmpx_gt_u32_e32 6, v0
	s_cbranch_execz .LBB91_39
; %bb.36:
	v_dual_mov_b32 v60, 0 :: v_dual_add_nc_u32 v9, -1, v0
	v_add_nc_u32_e32 v11, 0xe0, v58
	v_mov_b32_e32 v13, v58
	s_mov_b32 s1, 0
	s_delay_alu instid0(VALU_DEP_3)
	v_mov_b32_e32 v61, v60
.LBB91_37:                              ; =>This Inner Loop Header: Depth=1
	scratch_load_b64 v[62:63], v13, off
	ds_load_b64 v[64:65], v11
	s_wait_xcnt 0x0
	v_dual_add_nc_u32 v11, 8, v11 :: v_dual_add_nc_u32 v13, 8, v13
	s_wait_loadcnt_dscnt 0x0
	v_pk_mul_f32 v[66:67], v[64:65], v[62:63] op_sel:[1,1] op_sel_hi:[0,1]
	s_delay_alu instid0(VALU_DEP_1) | instskip(SKIP_2) | instid1(VALU_DEP_3)
	v_pk_fma_f32 v[68:69], v[64:65], v[62:63], v[66:67] op_sel_hi:[1,0,1]
	v_add_nc_u32_e32 v9, 1, v9
	v_pk_fma_f32 v[62:63], v[64:65], v[62:63], v[66:67] neg_lo:[0,0,1] neg_hi:[0,0,1]
	v_mov_b32_e32 v63, v69
	s_delay_alu instid0(VALU_DEP_3) | instskip(NEXT) | instid1(VALU_DEP_2)
	v_cmp_lt_u32_e32 vcc_lo, 4, v9
	v_pk_add_f32 v[60:61], v[60:61], v[62:63]
	s_or_b32 s1, vcc_lo, s1
	s_delay_alu instid0(SALU_CYCLE_1)
	s_and_not1_b32 exec_lo, exec_lo, s1
	s_cbranch_execnz .LBB91_37
; %bb.38:
	s_or_b32 exec_lo, exec_lo, s1
	v_mov_b32_e32 v9, 0
	ds_load_b64 v[62:63], v9 offset:48
	s_wait_dscnt 0x0
	v_pk_mul_f32 v[64:65], v[60:61], v[62:63] op_sel:[1,1] op_sel_hi:[0,1]
	s_delay_alu instid0(VALU_DEP_1) | instskip(SKIP_1) | instid1(VALU_DEP_2)
	v_pk_fma_f32 v[66:67], v[60:61], v[62:63], v[64:65] op_sel_hi:[1,0,1]
	v_pk_fma_f32 v[60:61], v[60:61], v[62:63], v[64:65] neg_lo:[0,0,1] neg_hi:[0,0,1]
	v_mov_b32_e32 v61, v67
	scratch_store_b64 off, v[60:61], off offset:48
.LBB91_39:
	s_wait_xcnt 0x0
	s_or_b32 exec_lo, exec_lo, s0
	s_wait_storecnt 0x0
	s_barrier_signal -1
	s_barrier_wait -1
	scratch_load_b64 v[60:61], off, off offset:56
	s_mov_b32 s0, exec_lo
	s_wait_loadcnt 0x0
	ds_store_b64 v1, v[60:61]
	s_wait_dscnt 0x0
	s_barrier_signal -1
	s_barrier_wait -1
	v_cmpx_gt_u32_e32 7, v0
	s_cbranch_execz .LBB91_43
; %bb.40:
	v_dual_mov_b32 v60, 0 :: v_dual_add_nc_u32 v9, -1, v0
	v_add_nc_u32_e32 v11, 0xe0, v58
	v_mov_b32_e32 v13, v58
	s_mov_b32 s1, 0
	s_delay_alu instid0(VALU_DEP_3)
	v_mov_b32_e32 v61, v60
.LBB91_41:                              ; =>This Inner Loop Header: Depth=1
	scratch_load_b64 v[62:63], v13, off
	ds_load_b64 v[64:65], v11
	s_wait_xcnt 0x0
	v_dual_add_nc_u32 v11, 8, v11 :: v_dual_add_nc_u32 v13, 8, v13
	s_wait_loadcnt_dscnt 0x0
	v_pk_mul_f32 v[66:67], v[64:65], v[62:63] op_sel:[1,1] op_sel_hi:[0,1]
	s_delay_alu instid0(VALU_DEP_1) | instskip(SKIP_2) | instid1(VALU_DEP_3)
	v_pk_fma_f32 v[68:69], v[64:65], v[62:63], v[66:67] op_sel_hi:[1,0,1]
	v_add_nc_u32_e32 v9, 1, v9
	v_pk_fma_f32 v[62:63], v[64:65], v[62:63], v[66:67] neg_lo:[0,0,1] neg_hi:[0,0,1]
	v_mov_b32_e32 v63, v69
	s_delay_alu instid0(VALU_DEP_3) | instskip(NEXT) | instid1(VALU_DEP_2)
	v_cmp_lt_u32_e32 vcc_lo, 5, v9
	v_pk_add_f32 v[60:61], v[60:61], v[62:63]
	s_or_b32 s1, vcc_lo, s1
	s_delay_alu instid0(SALU_CYCLE_1)
	s_and_not1_b32 exec_lo, exec_lo, s1
	s_cbranch_execnz .LBB91_41
; %bb.42:
	s_or_b32 exec_lo, exec_lo, s1
	v_mov_b32_e32 v9, 0
	ds_load_b64 v[62:63], v9 offset:56
	s_wait_dscnt 0x0
	v_pk_mul_f32 v[64:65], v[60:61], v[62:63] op_sel:[1,1] op_sel_hi:[0,1]
	s_delay_alu instid0(VALU_DEP_1) | instskip(SKIP_1) | instid1(VALU_DEP_2)
	v_pk_fma_f32 v[66:67], v[60:61], v[62:63], v[64:65] op_sel_hi:[1,0,1]
	v_pk_fma_f32 v[60:61], v[60:61], v[62:63], v[64:65] neg_lo:[0,0,1] neg_hi:[0,0,1]
	v_mov_b32_e32 v61, v67
	scratch_store_b64 off, v[60:61], off offset:56
.LBB91_43:
	s_wait_xcnt 0x0
	s_or_b32 exec_lo, exec_lo, s0
	s_wait_storecnt 0x0
	s_barrier_signal -1
	s_barrier_wait -1
	scratch_load_b64 v[60:61], off, off offset:64
	s_mov_b32 s0, exec_lo
	s_wait_loadcnt 0x0
	ds_store_b64 v1, v[60:61]
	s_wait_dscnt 0x0
	s_barrier_signal -1
	s_barrier_wait -1
	v_cmpx_gt_u32_e32 8, v0
	s_cbranch_execz .LBB91_47
; %bb.44:
	v_dual_mov_b32 v60, 0 :: v_dual_add_nc_u32 v9, -1, v0
	v_add_nc_u32_e32 v11, 0xe0, v58
	v_mov_b32_e32 v13, v58
	s_mov_b32 s1, 0
	s_delay_alu instid0(VALU_DEP_3)
	v_mov_b32_e32 v61, v60
.LBB91_45:                              ; =>This Inner Loop Header: Depth=1
	scratch_load_b64 v[62:63], v13, off
	ds_load_b64 v[64:65], v11
	s_wait_xcnt 0x0
	v_dual_add_nc_u32 v11, 8, v11 :: v_dual_add_nc_u32 v13, 8, v13
	s_wait_loadcnt_dscnt 0x0
	v_pk_mul_f32 v[66:67], v[64:65], v[62:63] op_sel:[1,1] op_sel_hi:[0,1]
	s_delay_alu instid0(VALU_DEP_1) | instskip(SKIP_2) | instid1(VALU_DEP_3)
	v_pk_fma_f32 v[68:69], v[64:65], v[62:63], v[66:67] op_sel_hi:[1,0,1]
	v_add_nc_u32_e32 v9, 1, v9
	v_pk_fma_f32 v[62:63], v[64:65], v[62:63], v[66:67] neg_lo:[0,0,1] neg_hi:[0,0,1]
	v_mov_b32_e32 v63, v69
	s_delay_alu instid0(VALU_DEP_3) | instskip(NEXT) | instid1(VALU_DEP_2)
	v_cmp_lt_u32_e32 vcc_lo, 6, v9
	v_pk_add_f32 v[60:61], v[60:61], v[62:63]
	s_or_b32 s1, vcc_lo, s1
	s_delay_alu instid0(SALU_CYCLE_1)
	s_and_not1_b32 exec_lo, exec_lo, s1
	s_cbranch_execnz .LBB91_45
; %bb.46:
	s_or_b32 exec_lo, exec_lo, s1
	v_mov_b32_e32 v9, 0
	ds_load_b64 v[62:63], v9 offset:64
	s_wait_dscnt 0x0
	v_pk_mul_f32 v[64:65], v[60:61], v[62:63] op_sel:[1,1] op_sel_hi:[0,1]
	s_delay_alu instid0(VALU_DEP_1) | instskip(SKIP_1) | instid1(VALU_DEP_2)
	v_pk_fma_f32 v[66:67], v[60:61], v[62:63], v[64:65] op_sel_hi:[1,0,1]
	v_pk_fma_f32 v[60:61], v[60:61], v[62:63], v[64:65] neg_lo:[0,0,1] neg_hi:[0,0,1]
	v_mov_b32_e32 v61, v67
	scratch_store_b64 off, v[60:61], off offset:64
.LBB91_47:
	s_wait_xcnt 0x0
	s_or_b32 exec_lo, exec_lo, s0
	s_wait_storecnt 0x0
	s_barrier_signal -1
	s_barrier_wait -1
	scratch_load_b64 v[60:61], off, off offset:72
	s_mov_b32 s0, exec_lo
	s_wait_loadcnt 0x0
	ds_store_b64 v1, v[60:61]
	s_wait_dscnt 0x0
	s_barrier_signal -1
	s_barrier_wait -1
	v_cmpx_gt_u32_e32 9, v0
	s_cbranch_execz .LBB91_51
; %bb.48:
	v_dual_mov_b32 v60, 0 :: v_dual_add_nc_u32 v9, -1, v0
	v_add_nc_u32_e32 v11, 0xe0, v58
	v_mov_b32_e32 v13, v58
	s_mov_b32 s1, 0
	s_delay_alu instid0(VALU_DEP_3)
	v_mov_b32_e32 v61, v60
.LBB91_49:                              ; =>This Inner Loop Header: Depth=1
	scratch_load_b64 v[62:63], v13, off
	ds_load_b64 v[64:65], v11
	s_wait_xcnt 0x0
	v_dual_add_nc_u32 v11, 8, v11 :: v_dual_add_nc_u32 v13, 8, v13
	s_wait_loadcnt_dscnt 0x0
	v_pk_mul_f32 v[66:67], v[64:65], v[62:63] op_sel:[1,1] op_sel_hi:[0,1]
	s_delay_alu instid0(VALU_DEP_1) | instskip(SKIP_2) | instid1(VALU_DEP_3)
	v_pk_fma_f32 v[68:69], v[64:65], v[62:63], v[66:67] op_sel_hi:[1,0,1]
	v_add_nc_u32_e32 v9, 1, v9
	v_pk_fma_f32 v[62:63], v[64:65], v[62:63], v[66:67] neg_lo:[0,0,1] neg_hi:[0,0,1]
	v_mov_b32_e32 v63, v69
	s_delay_alu instid0(VALU_DEP_3) | instskip(NEXT) | instid1(VALU_DEP_2)
	v_cmp_lt_u32_e32 vcc_lo, 7, v9
	v_pk_add_f32 v[60:61], v[60:61], v[62:63]
	s_or_b32 s1, vcc_lo, s1
	s_delay_alu instid0(SALU_CYCLE_1)
	s_and_not1_b32 exec_lo, exec_lo, s1
	s_cbranch_execnz .LBB91_49
; %bb.50:
	s_or_b32 exec_lo, exec_lo, s1
	v_mov_b32_e32 v9, 0
	ds_load_b64 v[62:63], v9 offset:72
	s_wait_dscnt 0x0
	v_pk_mul_f32 v[64:65], v[60:61], v[62:63] op_sel:[1,1] op_sel_hi:[0,1]
	s_delay_alu instid0(VALU_DEP_1) | instskip(SKIP_1) | instid1(VALU_DEP_2)
	v_pk_fma_f32 v[66:67], v[60:61], v[62:63], v[64:65] op_sel_hi:[1,0,1]
	v_pk_fma_f32 v[60:61], v[60:61], v[62:63], v[64:65] neg_lo:[0,0,1] neg_hi:[0,0,1]
	v_mov_b32_e32 v61, v67
	scratch_store_b64 off, v[60:61], off offset:72
.LBB91_51:
	s_wait_xcnt 0x0
	s_or_b32 exec_lo, exec_lo, s0
	s_wait_storecnt 0x0
	s_barrier_signal -1
	s_barrier_wait -1
	scratch_load_b64 v[60:61], off, off offset:80
	s_mov_b32 s0, exec_lo
	s_wait_loadcnt 0x0
	ds_store_b64 v1, v[60:61]
	s_wait_dscnt 0x0
	s_barrier_signal -1
	s_barrier_wait -1
	v_cmpx_gt_u32_e32 10, v0
	s_cbranch_execz .LBB91_55
; %bb.52:
	v_dual_mov_b32 v60, 0 :: v_dual_add_nc_u32 v9, -1, v0
	v_add_nc_u32_e32 v11, 0xe0, v58
	v_mov_b32_e32 v13, v58
	s_mov_b32 s1, 0
	s_delay_alu instid0(VALU_DEP_3)
	v_mov_b32_e32 v61, v60
.LBB91_53:                              ; =>This Inner Loop Header: Depth=1
	scratch_load_b64 v[62:63], v13, off
	ds_load_b64 v[64:65], v11
	s_wait_xcnt 0x0
	v_dual_add_nc_u32 v11, 8, v11 :: v_dual_add_nc_u32 v13, 8, v13
	s_wait_loadcnt_dscnt 0x0
	v_pk_mul_f32 v[66:67], v[64:65], v[62:63] op_sel:[1,1] op_sel_hi:[0,1]
	s_delay_alu instid0(VALU_DEP_1) | instskip(SKIP_2) | instid1(VALU_DEP_3)
	v_pk_fma_f32 v[68:69], v[64:65], v[62:63], v[66:67] op_sel_hi:[1,0,1]
	v_add_nc_u32_e32 v9, 1, v9
	v_pk_fma_f32 v[62:63], v[64:65], v[62:63], v[66:67] neg_lo:[0,0,1] neg_hi:[0,0,1]
	v_mov_b32_e32 v63, v69
	s_delay_alu instid0(VALU_DEP_3) | instskip(NEXT) | instid1(VALU_DEP_2)
	v_cmp_lt_u32_e32 vcc_lo, 8, v9
	v_pk_add_f32 v[60:61], v[60:61], v[62:63]
	s_or_b32 s1, vcc_lo, s1
	s_delay_alu instid0(SALU_CYCLE_1)
	s_and_not1_b32 exec_lo, exec_lo, s1
	s_cbranch_execnz .LBB91_53
; %bb.54:
	s_or_b32 exec_lo, exec_lo, s1
	v_mov_b32_e32 v9, 0
	ds_load_b64 v[62:63], v9 offset:80
	s_wait_dscnt 0x0
	v_pk_mul_f32 v[64:65], v[60:61], v[62:63] op_sel:[1,1] op_sel_hi:[0,1]
	s_delay_alu instid0(VALU_DEP_1) | instskip(SKIP_1) | instid1(VALU_DEP_2)
	v_pk_fma_f32 v[66:67], v[60:61], v[62:63], v[64:65] op_sel_hi:[1,0,1]
	v_pk_fma_f32 v[60:61], v[60:61], v[62:63], v[64:65] neg_lo:[0,0,1] neg_hi:[0,0,1]
	v_mov_b32_e32 v61, v67
	scratch_store_b64 off, v[60:61], off offset:80
.LBB91_55:
	s_wait_xcnt 0x0
	s_or_b32 exec_lo, exec_lo, s0
	s_wait_storecnt 0x0
	s_barrier_signal -1
	s_barrier_wait -1
	scratch_load_b64 v[60:61], off, off offset:88
	s_mov_b32 s0, exec_lo
	s_wait_loadcnt 0x0
	ds_store_b64 v1, v[60:61]
	s_wait_dscnt 0x0
	s_barrier_signal -1
	s_barrier_wait -1
	v_cmpx_gt_u32_e32 11, v0
	s_cbranch_execz .LBB91_59
; %bb.56:
	v_dual_mov_b32 v60, 0 :: v_dual_add_nc_u32 v9, -1, v0
	v_add_nc_u32_e32 v11, 0xe0, v58
	v_mov_b32_e32 v13, v58
	s_mov_b32 s1, 0
	s_delay_alu instid0(VALU_DEP_3)
	v_mov_b32_e32 v61, v60
.LBB91_57:                              ; =>This Inner Loop Header: Depth=1
	scratch_load_b64 v[62:63], v13, off
	ds_load_b64 v[64:65], v11
	s_wait_xcnt 0x0
	v_dual_add_nc_u32 v11, 8, v11 :: v_dual_add_nc_u32 v13, 8, v13
	s_wait_loadcnt_dscnt 0x0
	v_pk_mul_f32 v[66:67], v[64:65], v[62:63] op_sel:[1,1] op_sel_hi:[0,1]
	s_delay_alu instid0(VALU_DEP_1) | instskip(SKIP_2) | instid1(VALU_DEP_3)
	v_pk_fma_f32 v[68:69], v[64:65], v[62:63], v[66:67] op_sel_hi:[1,0,1]
	v_add_nc_u32_e32 v9, 1, v9
	v_pk_fma_f32 v[62:63], v[64:65], v[62:63], v[66:67] neg_lo:[0,0,1] neg_hi:[0,0,1]
	v_mov_b32_e32 v63, v69
	s_delay_alu instid0(VALU_DEP_3) | instskip(NEXT) | instid1(VALU_DEP_2)
	v_cmp_lt_u32_e32 vcc_lo, 9, v9
	v_pk_add_f32 v[60:61], v[60:61], v[62:63]
	s_or_b32 s1, vcc_lo, s1
	s_delay_alu instid0(SALU_CYCLE_1)
	s_and_not1_b32 exec_lo, exec_lo, s1
	s_cbranch_execnz .LBB91_57
; %bb.58:
	s_or_b32 exec_lo, exec_lo, s1
	v_mov_b32_e32 v9, 0
	ds_load_b64 v[62:63], v9 offset:88
	s_wait_dscnt 0x0
	v_pk_mul_f32 v[64:65], v[60:61], v[62:63] op_sel:[1,1] op_sel_hi:[0,1]
	s_delay_alu instid0(VALU_DEP_1) | instskip(SKIP_1) | instid1(VALU_DEP_2)
	v_pk_fma_f32 v[66:67], v[60:61], v[62:63], v[64:65] op_sel_hi:[1,0,1]
	v_pk_fma_f32 v[60:61], v[60:61], v[62:63], v[64:65] neg_lo:[0,0,1] neg_hi:[0,0,1]
	v_mov_b32_e32 v61, v67
	scratch_store_b64 off, v[60:61], off offset:88
.LBB91_59:
	s_wait_xcnt 0x0
	s_or_b32 exec_lo, exec_lo, s0
	s_wait_storecnt 0x0
	s_barrier_signal -1
	s_barrier_wait -1
	scratch_load_b64 v[60:61], off, off offset:96
	s_mov_b32 s0, exec_lo
	s_wait_loadcnt 0x0
	ds_store_b64 v1, v[60:61]
	s_wait_dscnt 0x0
	s_barrier_signal -1
	s_barrier_wait -1
	v_cmpx_gt_u32_e32 12, v0
	s_cbranch_execz .LBB91_63
; %bb.60:
	v_dual_mov_b32 v60, 0 :: v_dual_add_nc_u32 v9, -1, v0
	v_add_nc_u32_e32 v11, 0xe0, v58
	v_mov_b32_e32 v13, v58
	s_mov_b32 s1, 0
	s_delay_alu instid0(VALU_DEP_3)
	v_mov_b32_e32 v61, v60
.LBB91_61:                              ; =>This Inner Loop Header: Depth=1
	scratch_load_b64 v[62:63], v13, off
	ds_load_b64 v[64:65], v11
	s_wait_xcnt 0x0
	v_dual_add_nc_u32 v11, 8, v11 :: v_dual_add_nc_u32 v13, 8, v13
	s_wait_loadcnt_dscnt 0x0
	v_pk_mul_f32 v[66:67], v[64:65], v[62:63] op_sel:[1,1] op_sel_hi:[0,1]
	s_delay_alu instid0(VALU_DEP_1) | instskip(SKIP_2) | instid1(VALU_DEP_3)
	v_pk_fma_f32 v[68:69], v[64:65], v[62:63], v[66:67] op_sel_hi:[1,0,1]
	v_add_nc_u32_e32 v9, 1, v9
	v_pk_fma_f32 v[62:63], v[64:65], v[62:63], v[66:67] neg_lo:[0,0,1] neg_hi:[0,0,1]
	v_mov_b32_e32 v63, v69
	s_delay_alu instid0(VALU_DEP_3) | instskip(NEXT) | instid1(VALU_DEP_2)
	v_cmp_lt_u32_e32 vcc_lo, 10, v9
	v_pk_add_f32 v[60:61], v[60:61], v[62:63]
	s_or_b32 s1, vcc_lo, s1
	s_delay_alu instid0(SALU_CYCLE_1)
	s_and_not1_b32 exec_lo, exec_lo, s1
	s_cbranch_execnz .LBB91_61
; %bb.62:
	s_or_b32 exec_lo, exec_lo, s1
	v_mov_b32_e32 v9, 0
	ds_load_b64 v[62:63], v9 offset:96
	s_wait_dscnt 0x0
	v_pk_mul_f32 v[64:65], v[60:61], v[62:63] op_sel:[1,1] op_sel_hi:[0,1]
	s_delay_alu instid0(VALU_DEP_1) | instskip(SKIP_1) | instid1(VALU_DEP_2)
	v_pk_fma_f32 v[66:67], v[60:61], v[62:63], v[64:65] op_sel_hi:[1,0,1]
	v_pk_fma_f32 v[60:61], v[60:61], v[62:63], v[64:65] neg_lo:[0,0,1] neg_hi:[0,0,1]
	v_mov_b32_e32 v61, v67
	scratch_store_b64 off, v[60:61], off offset:96
.LBB91_63:
	s_wait_xcnt 0x0
	s_or_b32 exec_lo, exec_lo, s0
	s_wait_storecnt 0x0
	s_barrier_signal -1
	s_barrier_wait -1
	scratch_load_b64 v[60:61], off, off offset:104
	s_mov_b32 s0, exec_lo
	s_wait_loadcnt 0x0
	ds_store_b64 v1, v[60:61]
	s_wait_dscnt 0x0
	s_barrier_signal -1
	s_barrier_wait -1
	v_cmpx_gt_u32_e32 13, v0
	s_cbranch_execz .LBB91_67
; %bb.64:
	v_dual_mov_b32 v60, 0 :: v_dual_add_nc_u32 v9, -1, v0
	v_add_nc_u32_e32 v11, 0xe0, v58
	v_mov_b32_e32 v13, v58
	s_mov_b32 s1, 0
	s_delay_alu instid0(VALU_DEP_3)
	v_mov_b32_e32 v61, v60
.LBB91_65:                              ; =>This Inner Loop Header: Depth=1
	scratch_load_b64 v[62:63], v13, off
	ds_load_b64 v[64:65], v11
	s_wait_xcnt 0x0
	v_dual_add_nc_u32 v11, 8, v11 :: v_dual_add_nc_u32 v13, 8, v13
	s_wait_loadcnt_dscnt 0x0
	v_pk_mul_f32 v[66:67], v[64:65], v[62:63] op_sel:[1,1] op_sel_hi:[0,1]
	s_delay_alu instid0(VALU_DEP_1) | instskip(SKIP_2) | instid1(VALU_DEP_3)
	v_pk_fma_f32 v[68:69], v[64:65], v[62:63], v[66:67] op_sel_hi:[1,0,1]
	v_add_nc_u32_e32 v9, 1, v9
	v_pk_fma_f32 v[62:63], v[64:65], v[62:63], v[66:67] neg_lo:[0,0,1] neg_hi:[0,0,1]
	v_mov_b32_e32 v63, v69
	s_delay_alu instid0(VALU_DEP_3) | instskip(NEXT) | instid1(VALU_DEP_2)
	v_cmp_lt_u32_e32 vcc_lo, 11, v9
	v_pk_add_f32 v[60:61], v[60:61], v[62:63]
	s_or_b32 s1, vcc_lo, s1
	s_delay_alu instid0(SALU_CYCLE_1)
	s_and_not1_b32 exec_lo, exec_lo, s1
	s_cbranch_execnz .LBB91_65
; %bb.66:
	s_or_b32 exec_lo, exec_lo, s1
	v_mov_b32_e32 v9, 0
	ds_load_b64 v[62:63], v9 offset:104
	s_wait_dscnt 0x0
	v_pk_mul_f32 v[64:65], v[60:61], v[62:63] op_sel:[1,1] op_sel_hi:[0,1]
	s_delay_alu instid0(VALU_DEP_1) | instskip(SKIP_1) | instid1(VALU_DEP_2)
	v_pk_fma_f32 v[66:67], v[60:61], v[62:63], v[64:65] op_sel_hi:[1,0,1]
	v_pk_fma_f32 v[60:61], v[60:61], v[62:63], v[64:65] neg_lo:[0,0,1] neg_hi:[0,0,1]
	v_mov_b32_e32 v61, v67
	scratch_store_b64 off, v[60:61], off offset:104
.LBB91_67:
	s_wait_xcnt 0x0
	s_or_b32 exec_lo, exec_lo, s0
	s_wait_storecnt 0x0
	s_barrier_signal -1
	s_barrier_wait -1
	scratch_load_b64 v[60:61], off, off offset:112
	s_mov_b32 s0, exec_lo
	s_wait_loadcnt 0x0
	ds_store_b64 v1, v[60:61]
	s_wait_dscnt 0x0
	s_barrier_signal -1
	s_barrier_wait -1
	v_cmpx_gt_u32_e32 14, v0
	s_cbranch_execz .LBB91_71
; %bb.68:
	v_dual_mov_b32 v60, 0 :: v_dual_add_nc_u32 v9, -1, v0
	v_add_nc_u32_e32 v11, 0xe0, v58
	v_mov_b32_e32 v13, v58
	s_mov_b32 s1, 0
	s_delay_alu instid0(VALU_DEP_3)
	v_mov_b32_e32 v61, v60
.LBB91_69:                              ; =>This Inner Loop Header: Depth=1
	scratch_load_b64 v[62:63], v13, off
	ds_load_b64 v[64:65], v11
	s_wait_xcnt 0x0
	v_dual_add_nc_u32 v11, 8, v11 :: v_dual_add_nc_u32 v13, 8, v13
	s_wait_loadcnt_dscnt 0x0
	v_pk_mul_f32 v[66:67], v[64:65], v[62:63] op_sel:[1,1] op_sel_hi:[0,1]
	s_delay_alu instid0(VALU_DEP_1) | instskip(SKIP_2) | instid1(VALU_DEP_3)
	v_pk_fma_f32 v[68:69], v[64:65], v[62:63], v[66:67] op_sel_hi:[1,0,1]
	v_add_nc_u32_e32 v9, 1, v9
	v_pk_fma_f32 v[62:63], v[64:65], v[62:63], v[66:67] neg_lo:[0,0,1] neg_hi:[0,0,1]
	v_mov_b32_e32 v63, v69
	s_delay_alu instid0(VALU_DEP_3) | instskip(NEXT) | instid1(VALU_DEP_2)
	v_cmp_lt_u32_e32 vcc_lo, 12, v9
	v_pk_add_f32 v[60:61], v[60:61], v[62:63]
	s_or_b32 s1, vcc_lo, s1
	s_delay_alu instid0(SALU_CYCLE_1)
	s_and_not1_b32 exec_lo, exec_lo, s1
	s_cbranch_execnz .LBB91_69
; %bb.70:
	s_or_b32 exec_lo, exec_lo, s1
	v_mov_b32_e32 v9, 0
	ds_load_b64 v[62:63], v9 offset:112
	s_wait_dscnt 0x0
	v_pk_mul_f32 v[64:65], v[60:61], v[62:63] op_sel:[1,1] op_sel_hi:[0,1]
	s_delay_alu instid0(VALU_DEP_1) | instskip(SKIP_1) | instid1(VALU_DEP_2)
	v_pk_fma_f32 v[66:67], v[60:61], v[62:63], v[64:65] op_sel_hi:[1,0,1]
	v_pk_fma_f32 v[60:61], v[60:61], v[62:63], v[64:65] neg_lo:[0,0,1] neg_hi:[0,0,1]
	v_mov_b32_e32 v61, v67
	scratch_store_b64 off, v[60:61], off offset:112
.LBB91_71:
	s_wait_xcnt 0x0
	s_or_b32 exec_lo, exec_lo, s0
	s_wait_storecnt 0x0
	s_barrier_signal -1
	s_barrier_wait -1
	scratch_load_b64 v[60:61], off, off offset:120
	s_mov_b32 s0, exec_lo
	s_wait_loadcnt 0x0
	ds_store_b64 v1, v[60:61]
	s_wait_dscnt 0x0
	s_barrier_signal -1
	s_barrier_wait -1
	v_cmpx_gt_u32_e32 15, v0
	s_cbranch_execz .LBB91_75
; %bb.72:
	v_dual_mov_b32 v60, 0 :: v_dual_add_nc_u32 v9, -1, v0
	v_add_nc_u32_e32 v11, 0xe0, v58
	v_mov_b32_e32 v13, v58
	s_mov_b32 s1, 0
	s_delay_alu instid0(VALU_DEP_3)
	v_mov_b32_e32 v61, v60
.LBB91_73:                              ; =>This Inner Loop Header: Depth=1
	scratch_load_b64 v[62:63], v13, off
	ds_load_b64 v[64:65], v11
	s_wait_xcnt 0x0
	v_dual_add_nc_u32 v11, 8, v11 :: v_dual_add_nc_u32 v13, 8, v13
	s_wait_loadcnt_dscnt 0x0
	v_pk_mul_f32 v[66:67], v[64:65], v[62:63] op_sel:[1,1] op_sel_hi:[0,1]
	s_delay_alu instid0(VALU_DEP_1) | instskip(SKIP_2) | instid1(VALU_DEP_3)
	v_pk_fma_f32 v[68:69], v[64:65], v[62:63], v[66:67] op_sel_hi:[1,0,1]
	v_add_nc_u32_e32 v9, 1, v9
	v_pk_fma_f32 v[62:63], v[64:65], v[62:63], v[66:67] neg_lo:[0,0,1] neg_hi:[0,0,1]
	v_mov_b32_e32 v63, v69
	s_delay_alu instid0(VALU_DEP_3) | instskip(NEXT) | instid1(VALU_DEP_2)
	v_cmp_lt_u32_e32 vcc_lo, 13, v9
	v_pk_add_f32 v[60:61], v[60:61], v[62:63]
	s_or_b32 s1, vcc_lo, s1
	s_delay_alu instid0(SALU_CYCLE_1)
	s_and_not1_b32 exec_lo, exec_lo, s1
	s_cbranch_execnz .LBB91_73
; %bb.74:
	s_or_b32 exec_lo, exec_lo, s1
	v_mov_b32_e32 v9, 0
	ds_load_b64 v[62:63], v9 offset:120
	s_wait_dscnt 0x0
	v_pk_mul_f32 v[64:65], v[60:61], v[62:63] op_sel:[1,1] op_sel_hi:[0,1]
	s_delay_alu instid0(VALU_DEP_1) | instskip(SKIP_1) | instid1(VALU_DEP_2)
	v_pk_fma_f32 v[66:67], v[60:61], v[62:63], v[64:65] op_sel_hi:[1,0,1]
	v_pk_fma_f32 v[60:61], v[60:61], v[62:63], v[64:65] neg_lo:[0,0,1] neg_hi:[0,0,1]
	v_mov_b32_e32 v61, v67
	scratch_store_b64 off, v[60:61], off offset:120
.LBB91_75:
	s_wait_xcnt 0x0
	s_or_b32 exec_lo, exec_lo, s0
	s_wait_storecnt 0x0
	s_barrier_signal -1
	s_barrier_wait -1
	scratch_load_b64 v[60:61], off, off offset:128
	s_mov_b32 s0, exec_lo
	s_wait_loadcnt 0x0
	ds_store_b64 v1, v[60:61]
	s_wait_dscnt 0x0
	s_barrier_signal -1
	s_barrier_wait -1
	v_cmpx_gt_u32_e32 16, v0
	s_cbranch_execz .LBB91_79
; %bb.76:
	v_dual_mov_b32 v60, 0 :: v_dual_add_nc_u32 v9, -1, v0
	v_add_nc_u32_e32 v11, 0xe0, v58
	v_mov_b32_e32 v13, v58
	s_mov_b32 s1, 0
	s_delay_alu instid0(VALU_DEP_3)
	v_mov_b32_e32 v61, v60
.LBB91_77:                              ; =>This Inner Loop Header: Depth=1
	scratch_load_b64 v[62:63], v13, off
	ds_load_b64 v[64:65], v11
	s_wait_xcnt 0x0
	v_dual_add_nc_u32 v11, 8, v11 :: v_dual_add_nc_u32 v13, 8, v13
	s_wait_loadcnt_dscnt 0x0
	v_pk_mul_f32 v[66:67], v[64:65], v[62:63] op_sel:[1,1] op_sel_hi:[0,1]
	s_delay_alu instid0(VALU_DEP_1) | instskip(SKIP_2) | instid1(VALU_DEP_3)
	v_pk_fma_f32 v[68:69], v[64:65], v[62:63], v[66:67] op_sel_hi:[1,0,1]
	v_add_nc_u32_e32 v9, 1, v9
	v_pk_fma_f32 v[62:63], v[64:65], v[62:63], v[66:67] neg_lo:[0,0,1] neg_hi:[0,0,1]
	v_mov_b32_e32 v63, v69
	s_delay_alu instid0(VALU_DEP_3) | instskip(NEXT) | instid1(VALU_DEP_2)
	v_cmp_lt_u32_e32 vcc_lo, 14, v9
	v_pk_add_f32 v[60:61], v[60:61], v[62:63]
	s_or_b32 s1, vcc_lo, s1
	s_delay_alu instid0(SALU_CYCLE_1)
	s_and_not1_b32 exec_lo, exec_lo, s1
	s_cbranch_execnz .LBB91_77
; %bb.78:
	s_or_b32 exec_lo, exec_lo, s1
	v_mov_b32_e32 v9, 0
	ds_load_b64 v[62:63], v9 offset:128
	s_wait_dscnt 0x0
	v_pk_mul_f32 v[64:65], v[60:61], v[62:63] op_sel:[1,1] op_sel_hi:[0,1]
	s_delay_alu instid0(VALU_DEP_1) | instskip(SKIP_1) | instid1(VALU_DEP_2)
	v_pk_fma_f32 v[66:67], v[60:61], v[62:63], v[64:65] op_sel_hi:[1,0,1]
	v_pk_fma_f32 v[60:61], v[60:61], v[62:63], v[64:65] neg_lo:[0,0,1] neg_hi:[0,0,1]
	v_mov_b32_e32 v61, v67
	scratch_store_b64 off, v[60:61], off offset:128
.LBB91_79:
	s_wait_xcnt 0x0
	s_or_b32 exec_lo, exec_lo, s0
	s_wait_storecnt 0x0
	s_barrier_signal -1
	s_barrier_wait -1
	scratch_load_b64 v[60:61], off, off offset:136
	s_mov_b32 s0, exec_lo
	s_wait_loadcnt 0x0
	ds_store_b64 v1, v[60:61]
	s_wait_dscnt 0x0
	s_barrier_signal -1
	s_barrier_wait -1
	v_cmpx_gt_u32_e32 17, v0
	s_cbranch_execz .LBB91_83
; %bb.80:
	v_dual_mov_b32 v60, 0 :: v_dual_add_nc_u32 v9, -1, v0
	v_add_nc_u32_e32 v11, 0xe0, v58
	v_mov_b32_e32 v13, v58
	s_mov_b32 s1, 0
	s_delay_alu instid0(VALU_DEP_3)
	v_mov_b32_e32 v61, v60
.LBB91_81:                              ; =>This Inner Loop Header: Depth=1
	scratch_load_b64 v[62:63], v13, off
	ds_load_b64 v[64:65], v11
	s_wait_xcnt 0x0
	v_dual_add_nc_u32 v11, 8, v11 :: v_dual_add_nc_u32 v13, 8, v13
	s_wait_loadcnt_dscnt 0x0
	v_pk_mul_f32 v[66:67], v[64:65], v[62:63] op_sel:[1,1] op_sel_hi:[0,1]
	s_delay_alu instid0(VALU_DEP_1) | instskip(SKIP_2) | instid1(VALU_DEP_3)
	v_pk_fma_f32 v[68:69], v[64:65], v[62:63], v[66:67] op_sel_hi:[1,0,1]
	v_add_nc_u32_e32 v9, 1, v9
	v_pk_fma_f32 v[62:63], v[64:65], v[62:63], v[66:67] neg_lo:[0,0,1] neg_hi:[0,0,1]
	v_mov_b32_e32 v63, v69
	s_delay_alu instid0(VALU_DEP_3) | instskip(NEXT) | instid1(VALU_DEP_2)
	v_cmp_lt_u32_e32 vcc_lo, 15, v9
	v_pk_add_f32 v[60:61], v[60:61], v[62:63]
	s_or_b32 s1, vcc_lo, s1
	s_delay_alu instid0(SALU_CYCLE_1)
	s_and_not1_b32 exec_lo, exec_lo, s1
	s_cbranch_execnz .LBB91_81
; %bb.82:
	s_or_b32 exec_lo, exec_lo, s1
	v_mov_b32_e32 v9, 0
	ds_load_b64 v[62:63], v9 offset:136
	s_wait_dscnt 0x0
	v_pk_mul_f32 v[64:65], v[60:61], v[62:63] op_sel:[1,1] op_sel_hi:[0,1]
	s_delay_alu instid0(VALU_DEP_1) | instskip(SKIP_1) | instid1(VALU_DEP_2)
	v_pk_fma_f32 v[66:67], v[60:61], v[62:63], v[64:65] op_sel_hi:[1,0,1]
	v_pk_fma_f32 v[60:61], v[60:61], v[62:63], v[64:65] neg_lo:[0,0,1] neg_hi:[0,0,1]
	v_mov_b32_e32 v61, v67
	scratch_store_b64 off, v[60:61], off offset:136
.LBB91_83:
	s_wait_xcnt 0x0
	s_or_b32 exec_lo, exec_lo, s0
	s_wait_storecnt 0x0
	s_barrier_signal -1
	s_barrier_wait -1
	scratch_load_b64 v[60:61], off, off offset:144
	s_mov_b32 s0, exec_lo
	s_wait_loadcnt 0x0
	ds_store_b64 v1, v[60:61]
	s_wait_dscnt 0x0
	s_barrier_signal -1
	s_barrier_wait -1
	v_cmpx_gt_u32_e32 18, v0
	s_cbranch_execz .LBB91_87
; %bb.84:
	v_dual_mov_b32 v60, 0 :: v_dual_add_nc_u32 v9, -1, v0
	v_add_nc_u32_e32 v11, 0xe0, v58
	v_mov_b32_e32 v13, v58
	s_mov_b32 s1, 0
	s_delay_alu instid0(VALU_DEP_3)
	v_mov_b32_e32 v61, v60
.LBB91_85:                              ; =>This Inner Loop Header: Depth=1
	scratch_load_b64 v[62:63], v13, off
	ds_load_b64 v[64:65], v11
	s_wait_xcnt 0x0
	v_dual_add_nc_u32 v11, 8, v11 :: v_dual_add_nc_u32 v13, 8, v13
	s_wait_loadcnt_dscnt 0x0
	v_pk_mul_f32 v[66:67], v[64:65], v[62:63] op_sel:[1,1] op_sel_hi:[0,1]
	s_delay_alu instid0(VALU_DEP_1) | instskip(SKIP_2) | instid1(VALU_DEP_3)
	v_pk_fma_f32 v[68:69], v[64:65], v[62:63], v[66:67] op_sel_hi:[1,0,1]
	v_add_nc_u32_e32 v9, 1, v9
	v_pk_fma_f32 v[62:63], v[64:65], v[62:63], v[66:67] neg_lo:[0,0,1] neg_hi:[0,0,1]
	v_mov_b32_e32 v63, v69
	s_delay_alu instid0(VALU_DEP_3) | instskip(NEXT) | instid1(VALU_DEP_2)
	v_cmp_lt_u32_e32 vcc_lo, 16, v9
	v_pk_add_f32 v[60:61], v[60:61], v[62:63]
	s_or_b32 s1, vcc_lo, s1
	s_delay_alu instid0(SALU_CYCLE_1)
	s_and_not1_b32 exec_lo, exec_lo, s1
	s_cbranch_execnz .LBB91_85
; %bb.86:
	s_or_b32 exec_lo, exec_lo, s1
	v_mov_b32_e32 v9, 0
	ds_load_b64 v[62:63], v9 offset:144
	s_wait_dscnt 0x0
	v_pk_mul_f32 v[64:65], v[60:61], v[62:63] op_sel:[1,1] op_sel_hi:[0,1]
	s_delay_alu instid0(VALU_DEP_1) | instskip(SKIP_1) | instid1(VALU_DEP_2)
	v_pk_fma_f32 v[66:67], v[60:61], v[62:63], v[64:65] op_sel_hi:[1,0,1]
	v_pk_fma_f32 v[60:61], v[60:61], v[62:63], v[64:65] neg_lo:[0,0,1] neg_hi:[0,0,1]
	v_mov_b32_e32 v61, v67
	scratch_store_b64 off, v[60:61], off offset:144
.LBB91_87:
	s_wait_xcnt 0x0
	s_or_b32 exec_lo, exec_lo, s0
	s_wait_storecnt 0x0
	s_barrier_signal -1
	s_barrier_wait -1
	scratch_load_b64 v[60:61], off, off offset:152
	s_mov_b32 s0, exec_lo
	s_wait_loadcnt 0x0
	ds_store_b64 v1, v[60:61]
	s_wait_dscnt 0x0
	s_barrier_signal -1
	s_barrier_wait -1
	v_cmpx_gt_u32_e32 19, v0
	s_cbranch_execz .LBB91_91
; %bb.88:
	v_dual_mov_b32 v60, 0 :: v_dual_add_nc_u32 v9, -1, v0
	v_add_nc_u32_e32 v11, 0xe0, v58
	v_mov_b32_e32 v13, v58
	s_mov_b32 s1, 0
	s_delay_alu instid0(VALU_DEP_3)
	v_mov_b32_e32 v61, v60
.LBB91_89:                              ; =>This Inner Loop Header: Depth=1
	scratch_load_b64 v[62:63], v13, off
	ds_load_b64 v[64:65], v11
	s_wait_xcnt 0x0
	v_dual_add_nc_u32 v11, 8, v11 :: v_dual_add_nc_u32 v13, 8, v13
	s_wait_loadcnt_dscnt 0x0
	v_pk_mul_f32 v[66:67], v[64:65], v[62:63] op_sel:[1,1] op_sel_hi:[0,1]
	s_delay_alu instid0(VALU_DEP_1) | instskip(SKIP_2) | instid1(VALU_DEP_3)
	v_pk_fma_f32 v[68:69], v[64:65], v[62:63], v[66:67] op_sel_hi:[1,0,1]
	v_add_nc_u32_e32 v9, 1, v9
	v_pk_fma_f32 v[62:63], v[64:65], v[62:63], v[66:67] neg_lo:[0,0,1] neg_hi:[0,0,1]
	v_mov_b32_e32 v63, v69
	s_delay_alu instid0(VALU_DEP_3) | instskip(NEXT) | instid1(VALU_DEP_2)
	v_cmp_lt_u32_e32 vcc_lo, 17, v9
	v_pk_add_f32 v[60:61], v[60:61], v[62:63]
	s_or_b32 s1, vcc_lo, s1
	s_delay_alu instid0(SALU_CYCLE_1)
	s_and_not1_b32 exec_lo, exec_lo, s1
	s_cbranch_execnz .LBB91_89
; %bb.90:
	s_or_b32 exec_lo, exec_lo, s1
	v_mov_b32_e32 v9, 0
	ds_load_b64 v[62:63], v9 offset:152
	s_wait_dscnt 0x0
	v_pk_mul_f32 v[64:65], v[60:61], v[62:63] op_sel:[1,1] op_sel_hi:[0,1]
	s_delay_alu instid0(VALU_DEP_1) | instskip(SKIP_1) | instid1(VALU_DEP_2)
	v_pk_fma_f32 v[66:67], v[60:61], v[62:63], v[64:65] op_sel_hi:[1,0,1]
	v_pk_fma_f32 v[60:61], v[60:61], v[62:63], v[64:65] neg_lo:[0,0,1] neg_hi:[0,0,1]
	v_mov_b32_e32 v61, v67
	scratch_store_b64 off, v[60:61], off offset:152
.LBB91_91:
	s_wait_xcnt 0x0
	s_or_b32 exec_lo, exec_lo, s0
	s_wait_storecnt 0x0
	s_barrier_signal -1
	s_barrier_wait -1
	scratch_load_b64 v[60:61], off, off offset:160
	s_mov_b32 s0, exec_lo
	s_wait_loadcnt 0x0
	ds_store_b64 v1, v[60:61]
	s_wait_dscnt 0x0
	s_barrier_signal -1
	s_barrier_wait -1
	v_cmpx_gt_u32_e32 20, v0
	s_cbranch_execz .LBB91_95
; %bb.92:
	v_dual_mov_b32 v60, 0 :: v_dual_add_nc_u32 v9, -1, v0
	v_add_nc_u32_e32 v11, 0xe0, v58
	v_mov_b32_e32 v13, v58
	s_mov_b32 s1, 0
	s_delay_alu instid0(VALU_DEP_3)
	v_mov_b32_e32 v61, v60
.LBB91_93:                              ; =>This Inner Loop Header: Depth=1
	scratch_load_b64 v[62:63], v13, off
	ds_load_b64 v[64:65], v11
	s_wait_xcnt 0x0
	v_dual_add_nc_u32 v11, 8, v11 :: v_dual_add_nc_u32 v13, 8, v13
	s_wait_loadcnt_dscnt 0x0
	v_pk_mul_f32 v[66:67], v[64:65], v[62:63] op_sel:[1,1] op_sel_hi:[0,1]
	s_delay_alu instid0(VALU_DEP_1) | instskip(SKIP_2) | instid1(VALU_DEP_3)
	v_pk_fma_f32 v[68:69], v[64:65], v[62:63], v[66:67] op_sel_hi:[1,0,1]
	v_add_nc_u32_e32 v9, 1, v9
	v_pk_fma_f32 v[62:63], v[64:65], v[62:63], v[66:67] neg_lo:[0,0,1] neg_hi:[0,0,1]
	v_mov_b32_e32 v63, v69
	s_delay_alu instid0(VALU_DEP_3) | instskip(NEXT) | instid1(VALU_DEP_2)
	v_cmp_lt_u32_e32 vcc_lo, 18, v9
	v_pk_add_f32 v[60:61], v[60:61], v[62:63]
	s_or_b32 s1, vcc_lo, s1
	s_delay_alu instid0(SALU_CYCLE_1)
	s_and_not1_b32 exec_lo, exec_lo, s1
	s_cbranch_execnz .LBB91_93
; %bb.94:
	s_or_b32 exec_lo, exec_lo, s1
	v_mov_b32_e32 v9, 0
	ds_load_b64 v[62:63], v9 offset:160
	s_wait_dscnt 0x0
	v_pk_mul_f32 v[64:65], v[60:61], v[62:63] op_sel:[1,1] op_sel_hi:[0,1]
	s_delay_alu instid0(VALU_DEP_1) | instskip(SKIP_1) | instid1(VALU_DEP_2)
	v_pk_fma_f32 v[66:67], v[60:61], v[62:63], v[64:65] op_sel_hi:[1,0,1]
	v_pk_fma_f32 v[60:61], v[60:61], v[62:63], v[64:65] neg_lo:[0,0,1] neg_hi:[0,0,1]
	v_mov_b32_e32 v61, v67
	scratch_store_b64 off, v[60:61], off offset:160
.LBB91_95:
	s_wait_xcnt 0x0
	s_or_b32 exec_lo, exec_lo, s0
	s_wait_storecnt 0x0
	s_barrier_signal -1
	s_barrier_wait -1
	scratch_load_b64 v[60:61], off, off offset:168
	s_mov_b32 s0, exec_lo
	s_wait_loadcnt 0x0
	ds_store_b64 v1, v[60:61]
	s_wait_dscnt 0x0
	s_barrier_signal -1
	s_barrier_wait -1
	v_cmpx_gt_u32_e32 21, v0
	s_cbranch_execz .LBB91_99
; %bb.96:
	v_dual_mov_b32 v60, 0 :: v_dual_add_nc_u32 v9, -1, v0
	v_add_nc_u32_e32 v11, 0xe0, v58
	v_mov_b32_e32 v13, v58
	s_mov_b32 s1, 0
	s_delay_alu instid0(VALU_DEP_3)
	v_mov_b32_e32 v61, v60
.LBB91_97:                              ; =>This Inner Loop Header: Depth=1
	scratch_load_b64 v[62:63], v13, off
	ds_load_b64 v[64:65], v11
	s_wait_xcnt 0x0
	v_dual_add_nc_u32 v11, 8, v11 :: v_dual_add_nc_u32 v13, 8, v13
	s_wait_loadcnt_dscnt 0x0
	v_pk_mul_f32 v[66:67], v[64:65], v[62:63] op_sel:[1,1] op_sel_hi:[0,1]
	s_delay_alu instid0(VALU_DEP_1) | instskip(SKIP_2) | instid1(VALU_DEP_3)
	v_pk_fma_f32 v[68:69], v[64:65], v[62:63], v[66:67] op_sel_hi:[1,0,1]
	v_add_nc_u32_e32 v9, 1, v9
	v_pk_fma_f32 v[62:63], v[64:65], v[62:63], v[66:67] neg_lo:[0,0,1] neg_hi:[0,0,1]
	v_mov_b32_e32 v63, v69
	s_delay_alu instid0(VALU_DEP_3) | instskip(NEXT) | instid1(VALU_DEP_2)
	v_cmp_lt_u32_e32 vcc_lo, 19, v9
	v_pk_add_f32 v[60:61], v[60:61], v[62:63]
	s_or_b32 s1, vcc_lo, s1
	s_delay_alu instid0(SALU_CYCLE_1)
	s_and_not1_b32 exec_lo, exec_lo, s1
	s_cbranch_execnz .LBB91_97
; %bb.98:
	s_or_b32 exec_lo, exec_lo, s1
	v_mov_b32_e32 v9, 0
	ds_load_b64 v[62:63], v9 offset:168
	s_wait_dscnt 0x0
	v_pk_mul_f32 v[64:65], v[60:61], v[62:63] op_sel:[1,1] op_sel_hi:[0,1]
	s_delay_alu instid0(VALU_DEP_1) | instskip(SKIP_1) | instid1(VALU_DEP_2)
	v_pk_fma_f32 v[66:67], v[60:61], v[62:63], v[64:65] op_sel_hi:[1,0,1]
	v_pk_fma_f32 v[60:61], v[60:61], v[62:63], v[64:65] neg_lo:[0,0,1] neg_hi:[0,0,1]
	v_mov_b32_e32 v61, v67
	scratch_store_b64 off, v[60:61], off offset:168
.LBB91_99:
	s_wait_xcnt 0x0
	s_or_b32 exec_lo, exec_lo, s0
	s_wait_storecnt 0x0
	s_barrier_signal -1
	s_barrier_wait -1
	scratch_load_b64 v[60:61], off, off offset:176
	s_mov_b32 s0, exec_lo
	s_wait_loadcnt 0x0
	ds_store_b64 v1, v[60:61]
	s_wait_dscnt 0x0
	s_barrier_signal -1
	s_barrier_wait -1
	v_cmpx_gt_u32_e32 22, v0
	s_cbranch_execz .LBB91_103
; %bb.100:
	v_dual_mov_b32 v60, 0 :: v_dual_add_nc_u32 v9, -1, v0
	v_add_nc_u32_e32 v11, 0xe0, v58
	v_mov_b32_e32 v13, v58
	s_mov_b32 s1, 0
	s_delay_alu instid0(VALU_DEP_3)
	v_mov_b32_e32 v61, v60
.LBB91_101:                             ; =>This Inner Loop Header: Depth=1
	scratch_load_b64 v[62:63], v13, off
	ds_load_b64 v[64:65], v11
	s_wait_xcnt 0x0
	v_dual_add_nc_u32 v11, 8, v11 :: v_dual_add_nc_u32 v13, 8, v13
	s_wait_loadcnt_dscnt 0x0
	v_pk_mul_f32 v[66:67], v[64:65], v[62:63] op_sel:[1,1] op_sel_hi:[0,1]
	s_delay_alu instid0(VALU_DEP_1) | instskip(SKIP_2) | instid1(VALU_DEP_3)
	v_pk_fma_f32 v[68:69], v[64:65], v[62:63], v[66:67] op_sel_hi:[1,0,1]
	v_add_nc_u32_e32 v9, 1, v9
	v_pk_fma_f32 v[62:63], v[64:65], v[62:63], v[66:67] neg_lo:[0,0,1] neg_hi:[0,0,1]
	v_mov_b32_e32 v63, v69
	s_delay_alu instid0(VALU_DEP_3) | instskip(NEXT) | instid1(VALU_DEP_2)
	v_cmp_lt_u32_e32 vcc_lo, 20, v9
	v_pk_add_f32 v[60:61], v[60:61], v[62:63]
	s_or_b32 s1, vcc_lo, s1
	s_delay_alu instid0(SALU_CYCLE_1)
	s_and_not1_b32 exec_lo, exec_lo, s1
	s_cbranch_execnz .LBB91_101
; %bb.102:
	s_or_b32 exec_lo, exec_lo, s1
	v_mov_b32_e32 v9, 0
	ds_load_b64 v[62:63], v9 offset:176
	s_wait_dscnt 0x0
	v_pk_mul_f32 v[64:65], v[60:61], v[62:63] op_sel:[1,1] op_sel_hi:[0,1]
	s_delay_alu instid0(VALU_DEP_1) | instskip(SKIP_1) | instid1(VALU_DEP_2)
	v_pk_fma_f32 v[66:67], v[60:61], v[62:63], v[64:65] op_sel_hi:[1,0,1]
	v_pk_fma_f32 v[60:61], v[60:61], v[62:63], v[64:65] neg_lo:[0,0,1] neg_hi:[0,0,1]
	v_mov_b32_e32 v61, v67
	scratch_store_b64 off, v[60:61], off offset:176
.LBB91_103:
	s_wait_xcnt 0x0
	s_or_b32 exec_lo, exec_lo, s0
	s_wait_storecnt 0x0
	s_barrier_signal -1
	s_barrier_wait -1
	scratch_load_b64 v[60:61], off, off offset:184
	s_mov_b32 s0, exec_lo
	s_wait_loadcnt 0x0
	ds_store_b64 v1, v[60:61]
	s_wait_dscnt 0x0
	s_barrier_signal -1
	s_barrier_wait -1
	v_cmpx_gt_u32_e32 23, v0
	s_cbranch_execz .LBB91_107
; %bb.104:
	v_dual_mov_b32 v60, 0 :: v_dual_add_nc_u32 v9, -1, v0
	v_add_nc_u32_e32 v11, 0xe0, v58
	v_mov_b32_e32 v13, v58
	s_mov_b32 s1, 0
	s_delay_alu instid0(VALU_DEP_3)
	v_mov_b32_e32 v61, v60
.LBB91_105:                             ; =>This Inner Loop Header: Depth=1
	scratch_load_b64 v[62:63], v13, off
	ds_load_b64 v[64:65], v11
	s_wait_xcnt 0x0
	v_dual_add_nc_u32 v11, 8, v11 :: v_dual_add_nc_u32 v13, 8, v13
	s_wait_loadcnt_dscnt 0x0
	v_pk_mul_f32 v[66:67], v[64:65], v[62:63] op_sel:[1,1] op_sel_hi:[0,1]
	s_delay_alu instid0(VALU_DEP_1) | instskip(SKIP_2) | instid1(VALU_DEP_3)
	v_pk_fma_f32 v[68:69], v[64:65], v[62:63], v[66:67] op_sel_hi:[1,0,1]
	v_add_nc_u32_e32 v9, 1, v9
	v_pk_fma_f32 v[62:63], v[64:65], v[62:63], v[66:67] neg_lo:[0,0,1] neg_hi:[0,0,1]
	v_mov_b32_e32 v63, v69
	s_delay_alu instid0(VALU_DEP_3) | instskip(NEXT) | instid1(VALU_DEP_2)
	v_cmp_lt_u32_e32 vcc_lo, 21, v9
	v_pk_add_f32 v[60:61], v[60:61], v[62:63]
	s_or_b32 s1, vcc_lo, s1
	s_delay_alu instid0(SALU_CYCLE_1)
	s_and_not1_b32 exec_lo, exec_lo, s1
	s_cbranch_execnz .LBB91_105
; %bb.106:
	s_or_b32 exec_lo, exec_lo, s1
	v_mov_b32_e32 v9, 0
	ds_load_b64 v[62:63], v9 offset:184
	s_wait_dscnt 0x0
	v_pk_mul_f32 v[64:65], v[60:61], v[62:63] op_sel:[1,1] op_sel_hi:[0,1]
	s_delay_alu instid0(VALU_DEP_1) | instskip(SKIP_1) | instid1(VALU_DEP_2)
	v_pk_fma_f32 v[66:67], v[60:61], v[62:63], v[64:65] op_sel_hi:[1,0,1]
	v_pk_fma_f32 v[60:61], v[60:61], v[62:63], v[64:65] neg_lo:[0,0,1] neg_hi:[0,0,1]
	v_mov_b32_e32 v61, v67
	scratch_store_b64 off, v[60:61], off offset:184
.LBB91_107:
	s_wait_xcnt 0x0
	s_or_b32 exec_lo, exec_lo, s0
	s_wait_storecnt 0x0
	s_barrier_signal -1
	s_barrier_wait -1
	scratch_load_b64 v[60:61], off, off offset:192
	;; [unrolled: 52-line block ×5, first 2 shown]
	s_mov_b32 s0, exec_lo
	s_wait_loadcnt 0x0
	ds_store_b64 v1, v[60:61]
	s_wait_dscnt 0x0
	s_barrier_signal -1
	s_barrier_wait -1
	v_cmpx_ne_u32_e32 27, v0
	s_cbranch_execz .LBB91_123
; %bb.120:
	v_dual_mov_b32 v60, 0 :: v_dual_mov_b32 v9, v58
	s_mov_b32 s1, 0
	s_delay_alu instid0(VALU_DEP_1)
	v_mov_b32_e32 v61, v60
.LBB91_121:                             ; =>This Inner Loop Header: Depth=1
	scratch_load_b64 v[58:59], v9, off
	ds_load_b64 v[62:63], v1
	v_add_nc_u32_e32 v1, 8, v1
	s_wait_xcnt 0x0
	v_add_nc_u32_e32 v9, 8, v9
	s_wait_loadcnt_dscnt 0x0
	v_pk_mul_f32 v[64:65], v[62:63], v[58:59] op_sel:[1,1] op_sel_hi:[0,1]
	s_delay_alu instid0(VALU_DEP_1) | instskip(SKIP_2) | instid1(VALU_DEP_3)
	v_pk_fma_f32 v[66:67], v[62:63], v[58:59], v[64:65] op_sel_hi:[1,0,1]
	v_add_nc_u32_e32 v7, 1, v7
	v_pk_fma_f32 v[58:59], v[62:63], v[58:59], v[64:65] neg_lo:[0,0,1] neg_hi:[0,0,1]
	v_mov_b32_e32 v59, v67
	s_delay_alu instid0(VALU_DEP_3) | instskip(NEXT) | instid1(VALU_DEP_2)
	v_cmp_lt_u32_e32 vcc_lo, 25, v7
	v_pk_add_f32 v[60:61], v[60:61], v[58:59]
	s_or_b32 s1, vcc_lo, s1
	s_delay_alu instid0(SALU_CYCLE_1)
	s_and_not1_b32 exec_lo, exec_lo, s1
	s_cbranch_execnz .LBB91_121
; %bb.122:
	s_or_b32 exec_lo, exec_lo, s1
	v_mov_b32_e32 v1, 0
	ds_load_b64 v[58:59], v1 offset:216
	s_wait_dscnt 0x0
	v_pk_mul_f32 v[62:63], v[60:61], v[58:59] op_sel:[1,1] op_sel_hi:[0,1]
	s_delay_alu instid0(VALU_DEP_1) | instskip(SKIP_1) | instid1(VALU_DEP_2)
	v_pk_fma_f32 v[64:65], v[60:61], v[58:59], v[62:63] op_sel_hi:[1,0,1]
	v_pk_fma_f32 v[58:59], v[60:61], v[58:59], v[62:63] neg_lo:[0,0,1] neg_hi:[0,0,1]
	v_mov_b32_e32 v59, v65
	scratch_store_b64 off, v[58:59], off offset:216
.LBB91_123:
	s_wait_xcnt 0x0
	s_or_b32 exec_lo, exec_lo, s0
	s_mov_b32 s1, -1
	s_wait_storecnt 0x0
	s_barrier_signal -1
	s_barrier_wait -1
.LBB91_124:
	s_and_b32 vcc_lo, exec_lo, s1
	s_cbranch_vccz .LBB91_126
; %bb.125:
	v_mov_b32_e32 v1, 0
	s_lshl_b64 s[0:1], s[10:11], 2
	s_delay_alu instid0(SALU_CYCLE_1)
	s_add_nc_u64 s[0:1], s[6:7], s[0:1]
	global_load_b32 v1, v1, s[0:1]
	s_wait_loadcnt 0x0
	v_cmp_ne_u32_e32 vcc_lo, 0, v1
	s_cbranch_vccz .LBB91_127
.LBB91_126:
	s_sendmsg sendmsg(MSG_DEALLOC_VGPRS)
	s_endpgm
.LBB91_127:
	s_wait_xcnt 0x0
	v_lshl_add_u32 v1, v0, 3, 0xe0
	s_mov_b32 s0, exec_lo
	v_cmpx_eq_u32_e32 27, v0
	s_cbranch_execz .LBB91_129
; %bb.128:
	scratch_load_b64 v[58:59], off, off offset:208
	v_mov_b64_e32 v[60:61], 0
	scratch_store_b64 off, v[60:61], off offset:208
	s_wait_loadcnt 0x0
	ds_store_b64 v1, v[58:59]
.LBB91_129:
	s_wait_xcnt 0x0
	s_or_b32 exec_lo, exec_lo, s0
	s_wait_storecnt_dscnt 0x0
	s_barrier_signal -1
	s_barrier_wait -1
	s_clause 0x1
	scratch_load_b64 v[58:59], off, off offset:216
	scratch_load_b64 v[60:61], off, off offset:208
	v_mov_b32_e32 v7, 0
	s_mov_b32 s0, exec_lo
	ds_load_b64 v[62:63], v7 offset:440
	s_wait_loadcnt_dscnt 0x100
	v_pk_mul_f32 v[64:65], v[62:63], v[58:59] op_sel:[1,1] op_sel_hi:[0,1]
	s_delay_alu instid0(VALU_DEP_1) | instskip(SKIP_1) | instid1(VALU_DEP_2)
	v_pk_fma_f32 v[66:67], v[62:63], v[58:59], v[64:65] op_sel_hi:[1,0,1]
	v_pk_fma_f32 v[58:59], v[62:63], v[58:59], v[64:65] neg_lo:[0,0,1] neg_hi:[0,0,1]
	v_mov_b32_e32 v59, v67
	s_delay_alu instid0(VALU_DEP_1) | instskip(SKIP_1) | instid1(VALU_DEP_1)
	v_pk_add_f32 v[58:59], v[58:59], 0 op_sel_hi:[1,0]
	s_wait_loadcnt 0x0
	v_pk_add_f32 v[58:59], v[60:61], v[58:59] neg_lo:[0,1] neg_hi:[0,1]
	scratch_store_b64 off, v[58:59], off offset:208
	s_wait_xcnt 0x0
	v_cmpx_lt_u32_e32 25, v0
	s_cbranch_execz .LBB91_131
; %bb.130:
	scratch_load_b64 v[58:59], off, off offset:200
	v_mov_b64_e32 v[60:61], 0
	scratch_store_b64 off, v[60:61], off offset:200
	s_wait_loadcnt 0x0
	ds_store_b64 v1, v[58:59]
.LBB91_131:
	s_wait_xcnt 0x0
	s_or_b32 exec_lo, exec_lo, s0
	s_wait_storecnt_dscnt 0x0
	s_barrier_signal -1
	s_barrier_wait -1
	s_clause 0x1
	scratch_load_b128 v[58:61], off, off offset:208
	scratch_load_b64 v[66:67], off, off offset:200
	ds_load_b128 v[62:65], v7 offset:432
	s_mov_b32 s0, exec_lo
	s_wait_dscnt 0x0
	v_dual_mov_b32 v68, v65 :: v_dual_mov_b32 v69, v64
	s_wait_loadcnt 0x1
	v_pk_mul_f32 v[70:71], v[62:63], v[58:59] op_sel:[1,1] op_sel_hi:[0,1]
	s_delay_alu instid0(VALU_DEP_1) | instskip(SKIP_2) | instid1(VALU_DEP_3)
	v_pk_fma_f32 v[74:75], v[62:63], v[58:59], v[70:71] op_sel_hi:[1,0,1]
	v_mov_b32_e32 v72, v61
	v_pk_fma_f32 v[58:59], v[62:63], v[58:59], v[70:71] neg_lo:[0,0,1] neg_hi:[0,0,1]
	v_mov_b32_e32 v59, v75
	s_delay_alu instid0(VALU_DEP_3) | instskip(NEXT) | instid1(VALU_DEP_2)
	v_pk_mul_f32 v[68:69], v[68:69], v[72:73] op_sel_hi:[1,0]
	v_pk_add_f32 v[58:59], v[58:59], 0 op_sel_hi:[1,0]
	s_delay_alu instid0(VALU_DEP_2) | instskip(SKIP_1) | instid1(VALU_DEP_2)
	v_pk_fma_f32 v[62:63], v[64:65], v[60:61], v[68:69] op_sel_hi:[1,0,1]
	v_pk_fma_f32 v[60:61], v[64:65], v[60:61], v[68:69] neg_lo:[0,0,1] neg_hi:[0,0,1]
	v_mov_b32_e32 v61, v63
	s_delay_alu instid0(VALU_DEP_1) | instskip(SKIP_1) | instid1(VALU_DEP_1)
	v_pk_add_f32 v[58:59], v[58:59], v[60:61]
	s_wait_loadcnt 0x0
	v_pk_add_f32 v[58:59], v[66:67], v[58:59] neg_lo:[0,1] neg_hi:[0,1]
	scratch_store_b64 off, v[58:59], off offset:200
	s_wait_xcnt 0x0
	v_cmpx_lt_u32_e32 24, v0
	s_cbranch_execz .LBB91_133
; %bb.132:
	scratch_load_b64 v[58:59], off, off offset:192
	v_mov_b64_e32 v[60:61], 0
	scratch_store_b64 off, v[60:61], off offset:192
	s_wait_loadcnt 0x0
	ds_store_b64 v1, v[58:59]
.LBB91_133:
	s_wait_xcnt 0x0
	s_or_b32 exec_lo, exec_lo, s0
	s_wait_storecnt_dscnt 0x0
	s_barrier_signal -1
	s_barrier_wait -1
	s_clause 0x2
	scratch_load_b128 v[58:61], off, off offset:200
	scratch_load_b64 v[66:67], off, off offset:216
	scratch_load_b64 v[68:69], off, off offset:192
	v_mov_b32_e32 v7, 0
	ds_load_2addr_b64 v[62:65], v7 offset0:53 offset1:54
	ds_load_b64 v[70:71], v7 offset:440
	s_mov_b32 s0, exec_lo
	s_wait_dscnt 0x1
	v_dual_mov_b32 v72, v65 :: v_dual_mov_b32 v73, v64
	s_wait_loadcnt 0x2
	v_mov_b32_e32 v76, v61
	v_pk_mul_f32 v[74:75], v[62:63], v[58:59] op_sel:[1,1] op_sel_hi:[0,1]
	s_delay_alu instid0(VALU_DEP_2) | instskip(NEXT) | instid1(VALU_DEP_2)
	v_pk_mul_f32 v[72:73], v[72:73], v[76:77] op_sel_hi:[1,0]
	v_pk_fma_f32 v[78:79], v[62:63], v[58:59], v[74:75] op_sel_hi:[1,0,1]
	v_pk_fma_f32 v[58:59], v[62:63], v[58:59], v[74:75] neg_lo:[0,0,1] neg_hi:[0,0,1]
	s_wait_loadcnt_dscnt 0x100
	v_pk_mul_f32 v[74:75], v[70:71], v[66:67] op_sel:[1,1] op_sel_hi:[0,1]
	v_pk_fma_f32 v[62:63], v[64:65], v[60:61], v[72:73] op_sel_hi:[1,0,1]
	v_mov_b32_e32 v59, v79
	v_pk_fma_f32 v[60:61], v[64:65], v[60:61], v[72:73] neg_lo:[0,0,1] neg_hi:[0,0,1]
	s_delay_alu instid0(VALU_DEP_4) | instskip(NEXT) | instid1(VALU_DEP_4)
	v_pk_fma_f32 v[64:65], v[70:71], v[66:67], v[74:75] neg_lo:[0,0,1] neg_hi:[0,0,1]
	v_mov_b32_e32 v61, v63
	s_delay_alu instid0(VALU_DEP_4) | instskip(SKIP_1) | instid1(VALU_DEP_2)
	v_pk_add_f32 v[58:59], v[58:59], 0 op_sel_hi:[1,0]
	v_pk_fma_f32 v[62:63], v[70:71], v[66:67], v[74:75] op_sel_hi:[1,0,1]
	v_pk_add_f32 v[58:59], v[58:59], v[60:61]
	s_delay_alu instid0(VALU_DEP_2) | instskip(NEXT) | instid1(VALU_DEP_1)
	v_mov_b32_e32 v65, v63
	v_pk_add_f32 v[58:59], v[58:59], v[64:65]
	s_wait_loadcnt 0x0
	s_delay_alu instid0(VALU_DEP_1)
	v_pk_add_f32 v[58:59], v[68:69], v[58:59] neg_lo:[0,1] neg_hi:[0,1]
	scratch_store_b64 off, v[58:59], off offset:192
	s_wait_xcnt 0x0
	v_cmpx_lt_u32_e32 23, v0
	s_cbranch_execz .LBB91_135
; %bb.134:
	scratch_load_b64 v[58:59], off, off offset:184
	v_mov_b64_e32 v[60:61], 0
	scratch_store_b64 off, v[60:61], off offset:184
	s_wait_loadcnt 0x0
	ds_store_b64 v1, v[58:59]
.LBB91_135:
	s_wait_xcnt 0x0
	s_or_b32 exec_lo, exec_lo, s0
	s_wait_storecnt_dscnt 0x0
	s_barrier_signal -1
	s_barrier_wait -1
	s_clause 0x2
	scratch_load_b128 v[58:61], off, off offset:192
	scratch_load_b128 v[62:65], off, off offset:208
	scratch_load_b64 v[74:75], off, off offset:184
	ds_load_b128 v[66:69], v7 offset:416
	ds_load_b128 v[70:73], v7 offset:432
	s_mov_b32 s0, exec_lo
	s_wait_dscnt 0x1
	v_dual_mov_b32 v76, v69 :: v_dual_mov_b32 v77, v68
	s_wait_loadcnt_dscnt 0x200
	v_dual_mov_b32 v82, v73 :: v_dual_mov_b32 v80, v61
	v_pk_mul_f32 v[78:79], v[66:67], v[58:59] op_sel:[1,1] op_sel_hi:[0,1]
	s_delay_alu instid0(VALU_DEP_2) | instskip(NEXT) | instid1(VALU_DEP_2)
	v_pk_mul_f32 v[76:77], v[76:77], v[80:81] op_sel_hi:[1,0]
	v_pk_fma_f32 v[84:85], v[66:67], v[58:59], v[78:79] op_sel_hi:[1,0,1]
	v_pk_fma_f32 v[58:59], v[66:67], v[58:59], v[78:79] neg_lo:[0,0,1] neg_hi:[0,0,1]
	v_mov_b32_e32 v83, v72
	s_wait_loadcnt 0x1
	v_pk_mul_f32 v[80:81], v[70:71], v[62:63] op_sel:[1,1] op_sel_hi:[0,1]
	v_pk_fma_f32 v[66:67], v[68:69], v[60:61], v[76:77] op_sel_hi:[1,0,1]
	v_dual_mov_b32 v59, v85 :: v_dual_mov_b32 v66, v65
	v_pk_fma_f32 v[60:61], v[68:69], v[60:61], v[76:77] neg_lo:[0,0,1] neg_hi:[0,0,1]
	s_delay_alu instid0(VALU_DEP_4) | instskip(NEXT) | instid1(VALU_DEP_4)
	v_pk_fma_f32 v[78:79], v[70:71], v[62:63], v[80:81] op_sel_hi:[1,0,1]
	v_mov_b32_e32 v61, v67
	s_delay_alu instid0(VALU_DEP_4) | instskip(SKIP_2) | instid1(VALU_DEP_3)
	v_pk_add_f32 v[58:59], v[58:59], 0 op_sel_hi:[1,0]
	v_pk_mul_f32 v[66:67], v[82:83], v[66:67] op_sel_hi:[1,0]
	v_pk_fma_f32 v[62:63], v[70:71], v[62:63], v[80:81] neg_lo:[0,0,1] neg_hi:[0,0,1]
	v_pk_add_f32 v[58:59], v[58:59], v[60:61]
	s_delay_alu instid0(VALU_DEP_3) | instskip(SKIP_2) | instid1(VALU_DEP_3)
	v_pk_fma_f32 v[60:61], v[72:73], v[64:65], v[66:67] op_sel_hi:[1,0,1]
	v_mov_b32_e32 v63, v79
	v_pk_fma_f32 v[64:65], v[72:73], v[64:65], v[66:67] neg_lo:[0,0,1] neg_hi:[0,0,1]
	v_mov_b32_e32 v65, v61
	s_delay_alu instid0(VALU_DEP_3) | instskip(NEXT) | instid1(VALU_DEP_1)
	v_pk_add_f32 v[58:59], v[58:59], v[62:63]
	v_pk_add_f32 v[58:59], v[58:59], v[64:65]
	s_wait_loadcnt 0x0
	s_delay_alu instid0(VALU_DEP_1)
	v_pk_add_f32 v[58:59], v[74:75], v[58:59] neg_lo:[0,1] neg_hi:[0,1]
	scratch_store_b64 off, v[58:59], off offset:184
	s_wait_xcnt 0x0
	v_cmpx_lt_u32_e32 22, v0
	s_cbranch_execz .LBB91_137
; %bb.136:
	scratch_load_b64 v[58:59], off, off offset:176
	v_mov_b64_e32 v[60:61], 0
	scratch_store_b64 off, v[60:61], off offset:176
	s_wait_loadcnt 0x0
	ds_store_b64 v1, v[58:59]
.LBB91_137:
	s_wait_xcnt 0x0
	s_or_b32 exec_lo, exec_lo, s0
	s_wait_storecnt_dscnt 0x0
	s_barrier_signal -1
	s_barrier_wait -1
	s_clause 0x3
	scratch_load_b128 v[58:61], off, off offset:184
	scratch_load_b128 v[62:65], off, off offset:200
	scratch_load_b64 v[74:75], off, off offset:216
	scratch_load_b64 v[76:77], off, off offset:176
	v_mov_b32_e32 v7, 0
	ds_load_2addr_b64 v[66:69], v7 offset0:51 offset1:52
	ds_load_2addr_b64 v[70:73], v7 offset0:53 offset1:54
	s_mov_b32 s0, exec_lo
	s_wait_dscnt 0x1
	v_dual_mov_b32 v78, v69 :: v_dual_mov_b32 v79, v68
	ds_load_b64 v[84:85], v7 offset:440
	s_wait_dscnt 0x1
	v_dual_mov_b32 v86, v73 :: v_dual_mov_b32 v87, v72
	s_wait_loadcnt 0x3
	v_pk_mul_f32 v[80:81], v[66:67], v[58:59] op_sel:[1,1] op_sel_hi:[0,1]
	v_mov_b32_e32 v82, v61
	s_delay_alu instid0(VALU_DEP_2) | instskip(NEXT) | instid1(VALU_DEP_2)
	v_pk_fma_f32 v[88:89], v[66:67], v[58:59], v[80:81] op_sel_hi:[1,0,1]
	v_pk_mul_f32 v[78:79], v[78:79], v[82:83] op_sel_hi:[1,0]
	v_pk_fma_f32 v[58:59], v[66:67], v[58:59], v[80:81] neg_lo:[0,0,1] neg_hi:[0,0,1]
	s_wait_loadcnt 0x2
	v_pk_mul_f32 v[82:83], v[70:71], v[62:63] op_sel:[1,1] op_sel_hi:[0,1]
	v_dual_mov_b32 v88, v65 :: v_dual_mov_b32 v59, v89
	v_pk_fma_f32 v[66:67], v[68:69], v[60:61], v[78:79] op_sel_hi:[1,0,1]
	v_pk_fma_f32 v[60:61], v[68:69], v[60:61], v[78:79] neg_lo:[0,0,1] neg_hi:[0,0,1]
	s_delay_alu instid0(VALU_DEP_4) | instskip(NEXT) | instid1(VALU_DEP_4)
	v_pk_fma_f32 v[80:81], v[70:71], v[62:63], v[82:83] op_sel_hi:[1,0,1]
	v_pk_mul_f32 v[86:87], v[86:87], v[88:89] op_sel_hi:[1,0]
	v_pk_add_f32 v[58:59], v[58:59], 0 op_sel_hi:[1,0]
	v_mov_b32_e32 v61, v67
	v_pk_fma_f32 v[62:63], v[70:71], v[62:63], v[82:83] neg_lo:[0,0,1] neg_hi:[0,0,1]
	v_mov_b32_e32 v63, v81
	v_pk_fma_f32 v[66:67], v[72:73], v[64:65], v[86:87] op_sel_hi:[1,0,1]
	v_pk_fma_f32 v[64:65], v[72:73], v[64:65], v[86:87] neg_lo:[0,0,1] neg_hi:[0,0,1]
	v_pk_add_f32 v[58:59], v[58:59], v[60:61]
	s_wait_loadcnt_dscnt 0x100
	v_pk_mul_f32 v[60:61], v[84:85], v[74:75] op_sel:[1,1] op_sel_hi:[0,1]
	s_delay_alu instid0(VALU_DEP_2) | instskip(NEXT) | instid1(VALU_DEP_2)
	v_pk_add_f32 v[58:59], v[58:59], v[62:63]
	v_pk_fma_f32 v[62:63], v[84:85], v[74:75], v[60:61] op_sel_hi:[1,0,1]
	v_mov_b32_e32 v65, v67
	v_pk_fma_f32 v[60:61], v[84:85], v[74:75], v[60:61] neg_lo:[0,0,1] neg_hi:[0,0,1]
	s_delay_alu instid0(VALU_DEP_3) | instskip(NEXT) | instid1(VALU_DEP_3)
	v_mov_b32_e32 v61, v63
	v_pk_add_f32 v[58:59], v[58:59], v[64:65]
	s_delay_alu instid0(VALU_DEP_1) | instskip(SKIP_1) | instid1(VALU_DEP_1)
	v_pk_add_f32 v[58:59], v[58:59], v[60:61]
	s_wait_loadcnt 0x0
	v_pk_add_f32 v[58:59], v[76:77], v[58:59] neg_lo:[0,1] neg_hi:[0,1]
	scratch_store_b64 off, v[58:59], off offset:176
	s_wait_xcnt 0x0
	v_cmpx_lt_u32_e32 21, v0
	s_cbranch_execz .LBB91_139
; %bb.138:
	scratch_load_b64 v[58:59], off, off offset:168
	v_mov_b64_e32 v[60:61], 0
	scratch_store_b64 off, v[60:61], off offset:168
	s_wait_loadcnt 0x0
	ds_store_b64 v1, v[58:59]
.LBB91_139:
	s_wait_xcnt 0x0
	s_or_b32 exec_lo, exec_lo, s0
	s_wait_storecnt_dscnt 0x0
	s_barrier_signal -1
	s_barrier_wait -1
	s_clause 0x3
	scratch_load_b128 v[58:61], off, off offset:176
	scratch_load_b128 v[62:65], off, off offset:192
	scratch_load_b128 v[66:69], off, off offset:208
	scratch_load_b64 v[82:83], off, off offset:168
	ds_load_b128 v[70:73], v7 offset:400
	ds_load_b128 v[74:77], v7 offset:416
	ds_load_b128 v[78:81], v7 offset:432
	s_mov_b32 s0, exec_lo
	s_wait_dscnt 0x2
	v_dual_mov_b32 v84, v73 :: v_dual_mov_b32 v85, v72
	s_wait_dscnt 0x1
	v_dual_mov_b32 v86, v77 :: v_dual_mov_b32 v87, v76
	;; [unrolled: 2-line block ×3, first 2 shown]
	s_wait_loadcnt 0x3
	v_pk_mul_f32 v[88:89], v[70:71], v[58:59] op_sel:[1,1] op_sel_hi:[0,1]
	v_mov_b32_e32 v90, v61
	s_delay_alu instid0(VALU_DEP_2) | instskip(NEXT) | instid1(VALU_DEP_2)
	v_pk_fma_f32 v[94:95], v[70:71], v[58:59], v[88:89] op_sel_hi:[1,0,1]
	v_pk_mul_f32 v[84:85], v[84:85], v[90:91] op_sel_hi:[1,0]
	v_pk_fma_f32 v[58:59], v[70:71], v[58:59], v[88:89] neg_lo:[0,0,1] neg_hi:[0,0,1]
	s_wait_loadcnt 0x2
	v_pk_mul_f32 v[90:91], v[74:75], v[62:63] op_sel:[1,1] op_sel_hi:[0,1]
	v_mov_b32_e32 v94, v65
	v_pk_fma_f32 v[70:71], v[72:73], v[60:61], v[84:85] op_sel_hi:[1,0,1]
	v_mov_b32_e32 v59, v95
	v_pk_fma_f32 v[60:61], v[72:73], v[60:61], v[84:85] neg_lo:[0,0,1] neg_hi:[0,0,1]
	v_pk_fma_f32 v[88:89], v[74:75], v[62:63], v[90:91] op_sel_hi:[1,0,1]
	v_pk_mul_f32 v[86:87], v[86:87], v[94:95] op_sel_hi:[1,0]
	v_mov_b32_e32 v61, v71
	v_pk_add_f32 v[58:59], v[58:59], 0 op_sel_hi:[1,0]
	v_pk_fma_f32 v[62:63], v[74:75], v[62:63], v[90:91] neg_lo:[0,0,1] neg_hi:[0,0,1]
	s_wait_loadcnt 0x1
	v_pk_mul_f32 v[70:71], v[78:79], v[66:67] op_sel:[1,1] op_sel_hi:[0,1]
	v_mov_b32_e32 v63, v89
	v_pk_fma_f32 v[72:73], v[76:77], v[64:65], v[86:87] op_sel_hi:[1,0,1]
	v_pk_add_f32 v[58:59], v[58:59], v[60:61]
	v_mov_b32_e32 v60, v69
	v_pk_fma_f32 v[64:65], v[76:77], v[64:65], v[86:87] neg_lo:[0,0,1] neg_hi:[0,0,1]
	v_pk_fma_f32 v[74:75], v[78:79], v[66:67], v[70:71] op_sel_hi:[1,0,1]
	v_mov_b32_e32 v65, v73
	v_pk_add_f32 v[58:59], v[58:59], v[62:63]
	v_pk_mul_f32 v[60:61], v[92:93], v[60:61] op_sel_hi:[1,0]
	v_pk_fma_f32 v[62:63], v[78:79], v[66:67], v[70:71] neg_lo:[0,0,1] neg_hi:[0,0,1]
	v_mov_b32_e32 v63, v75
	s_delay_alu instid0(VALU_DEP_4) | instskip(NEXT) | instid1(VALU_DEP_4)
	v_pk_add_f32 v[58:59], v[58:59], v[64:65]
	v_pk_fma_f32 v[64:65], v[80:81], v[68:69], v[60:61] op_sel_hi:[1,0,1]
	v_pk_fma_f32 v[60:61], v[80:81], v[68:69], v[60:61] neg_lo:[0,0,1] neg_hi:[0,0,1]
	s_delay_alu instid0(VALU_DEP_3) | instskip(NEXT) | instid1(VALU_DEP_3)
	v_pk_add_f32 v[58:59], v[58:59], v[62:63]
	v_mov_b32_e32 v61, v65
	s_delay_alu instid0(VALU_DEP_1) | instskip(SKIP_1) | instid1(VALU_DEP_1)
	v_pk_add_f32 v[58:59], v[58:59], v[60:61]
	s_wait_loadcnt 0x0
	v_pk_add_f32 v[58:59], v[82:83], v[58:59] neg_lo:[0,1] neg_hi:[0,1]
	scratch_store_b64 off, v[58:59], off offset:168
	s_wait_xcnt 0x0
	v_cmpx_lt_u32_e32 20, v0
	s_cbranch_execz .LBB91_141
; %bb.140:
	scratch_load_b64 v[58:59], off, off offset:160
	v_mov_b64_e32 v[60:61], 0
	scratch_store_b64 off, v[60:61], off offset:160
	s_wait_loadcnt 0x0
	ds_store_b64 v1, v[58:59]
.LBB91_141:
	s_wait_xcnt 0x0
	s_or_b32 exec_lo, exec_lo, s0
	s_wait_storecnt_dscnt 0x0
	s_barrier_signal -1
	s_barrier_wait -1
	s_clause 0x4
	scratch_load_b128 v[58:61], off, off offset:168
	scratch_load_b128 v[62:65], off, off offset:184
	;; [unrolled: 1-line block ×3, first 2 shown]
	scratch_load_b64 v[82:83], off, off offset:216
	scratch_load_b64 v[84:85], off, off offset:160
	v_mov_b32_e32 v7, 0
	ds_load_2addr_b64 v[70:73], v7 offset0:49 offset1:50
	ds_load_2addr_b64 v[74:77], v7 offset0:51 offset1:52
	;; [unrolled: 1-line block ×3, first 2 shown]
	ds_load_b64 v[86:87], v7 offset:440
	s_mov_b32 s0, exec_lo
	s_wait_dscnt 0x3
	v_dual_mov_b32 v88, v73 :: v_dual_mov_b32 v89, v72
	s_wait_dscnt 0x2
	v_dual_mov_b32 v90, v77 :: v_dual_mov_b32 v91, v76
	;; [unrolled: 2-line block ×3, first 2 shown]
	s_wait_loadcnt 0x4
	v_pk_mul_f32 v[92:93], v[70:71], v[58:59] op_sel:[1,1] op_sel_hi:[0,1]
	v_mov_b32_e32 v94, v61
	s_wait_loadcnt 0x3
	v_pk_mul_f32 v[98:99], v[74:75], v[62:63] op_sel:[1,1] op_sel_hi:[0,1]
	s_wait_loadcnt 0x2
	v_pk_mul_f32 v[102:103], v[78:79], v[66:67] op_sel:[1,1] op_sel_hi:[0,1]
	v_pk_fma_f32 v[100:101], v[70:71], v[58:59], v[92:93] op_sel_hi:[1,0,1]
	v_pk_mul_f32 v[88:89], v[88:89], v[94:95] op_sel_hi:[1,0]
	v_pk_fma_f32 v[58:59], v[70:71], v[58:59], v[92:93] neg_lo:[0,0,1] neg_hi:[0,0,1]
	v_mov_b32_e32 v94, v65
	v_pk_fma_f32 v[92:93], v[74:75], v[62:63], v[98:99] op_sel_hi:[1,0,1]
	v_mov_b32_e32 v59, v101
	v_pk_fma_f32 v[70:71], v[72:73], v[60:61], v[88:89] op_sel_hi:[1,0,1]
	v_pk_fma_f32 v[60:61], v[72:73], v[60:61], v[88:89] neg_lo:[0,0,1] neg_hi:[0,0,1]
	v_pk_mul_f32 v[90:91], v[90:91], v[94:95] op_sel_hi:[1,0]
	v_pk_fma_f32 v[62:63], v[74:75], v[62:63], v[98:99] neg_lo:[0,0,1] neg_hi:[0,0,1]
	v_pk_add_f32 v[58:59], v[58:59], 0 op_sel_hi:[1,0]
	v_dual_mov_b32 v61, v71 :: v_dual_mov_b32 v70, v69
	s_delay_alu instid0(VALU_DEP_4) | instskip(SKIP_2) | instid1(VALU_DEP_4)
	v_pk_fma_f32 v[72:73], v[76:77], v[64:65], v[90:91] op_sel_hi:[1,0,1]
	v_mov_b32_e32 v63, v93
	v_pk_fma_f32 v[64:65], v[76:77], v[64:65], v[90:91] neg_lo:[0,0,1] neg_hi:[0,0,1]
	v_pk_add_f32 v[58:59], v[58:59], v[60:61]
	v_pk_fma_f32 v[60:61], v[78:79], v[66:67], v[102:103] op_sel_hi:[1,0,1]
	v_pk_mul_f32 v[70:71], v[96:97], v[70:71] op_sel_hi:[1,0]
	v_mov_b32_e32 v65, v73
	s_delay_alu instid0(VALU_DEP_4)
	v_pk_add_f32 v[58:59], v[58:59], v[62:63]
	v_pk_fma_f32 v[62:63], v[78:79], v[66:67], v[102:103] neg_lo:[0,0,1] neg_hi:[0,0,1]
	v_mov_b32_e32 v63, v61
	v_pk_fma_f32 v[60:61], v[80:81], v[68:69], v[70:71] op_sel_hi:[1,0,1]
	v_pk_fma_f32 v[66:67], v[80:81], v[68:69], v[70:71] neg_lo:[0,0,1] neg_hi:[0,0,1]
	v_pk_add_f32 v[58:59], v[58:59], v[64:65]
	s_wait_loadcnt_dscnt 0x100
	v_pk_mul_f32 v[64:65], v[86:87], v[82:83] op_sel:[1,1] op_sel_hi:[0,1]
	v_mov_b32_e32 v67, v61
	s_delay_alu instid0(VALU_DEP_3) | instskip(NEXT) | instid1(VALU_DEP_3)
	v_pk_add_f32 v[58:59], v[58:59], v[62:63]
	v_pk_fma_f32 v[60:61], v[86:87], v[82:83], v[64:65] op_sel_hi:[1,0,1]
	v_pk_fma_f32 v[62:63], v[86:87], v[82:83], v[64:65] neg_lo:[0,0,1] neg_hi:[0,0,1]
	s_delay_alu instid0(VALU_DEP_3) | instskip(NEXT) | instid1(VALU_DEP_3)
	v_pk_add_f32 v[58:59], v[58:59], v[66:67]
	v_mov_b32_e32 v63, v61
	s_delay_alu instid0(VALU_DEP_1) | instskip(SKIP_1) | instid1(VALU_DEP_1)
	v_pk_add_f32 v[58:59], v[58:59], v[62:63]
	s_wait_loadcnt 0x0
	v_pk_add_f32 v[58:59], v[84:85], v[58:59] neg_lo:[0,1] neg_hi:[0,1]
	scratch_store_b64 off, v[58:59], off offset:160
	s_wait_xcnt 0x0
	v_cmpx_lt_u32_e32 19, v0
	s_cbranch_execz .LBB91_143
; %bb.142:
	scratch_load_b64 v[58:59], off, off offset:152
	v_mov_b64_e32 v[60:61], 0
	scratch_store_b64 off, v[60:61], off offset:152
	s_wait_loadcnt 0x0
	ds_store_b64 v1, v[58:59]
.LBB91_143:
	s_wait_xcnt 0x0
	s_or_b32 exec_lo, exec_lo, s0
	s_wait_storecnt_dscnt 0x0
	s_barrier_signal -1
	s_barrier_wait -1
	s_clause 0x4
	scratch_load_b128 v[58:61], off, off offset:160
	scratch_load_b128 v[62:65], off, off offset:176
	;; [unrolled: 1-line block ×4, first 2 shown]
	scratch_load_b64 v[90:91], off, off offset:152
	ds_load_b128 v[74:77], v7 offset:384
	ds_load_b128 v[78:81], v7 offset:400
	;; [unrolled: 1-line block ×4, first 2 shown]
	s_mov_b32 s0, exec_lo
	s_wait_dscnt 0x3
	v_dual_mov_b32 v92, v77 :: v_dual_mov_b32 v93, v76
	s_wait_dscnt 0x2
	v_dual_mov_b32 v94, v81 :: v_dual_mov_b32 v95, v80
	s_wait_dscnt 0x0
	v_dual_mov_b32 v103, v88 :: v_dual_mov_b32 v96, v85
	v_dual_mov_b32 v97, v84 :: v_dual_mov_b32 v102, v89
	s_wait_loadcnt 0x4
	v_mov_b32_e32 v100, v61
	v_pk_mul_f32 v[98:99], v[74:75], v[58:59] op_sel:[1,1] op_sel_hi:[0,1]
	s_wait_loadcnt 0x3
	v_pk_mul_f32 v[104:105], v[78:79], v[62:63] op_sel:[1,1] op_sel_hi:[0,1]
	s_wait_loadcnt 0x2
	v_pk_mul_f32 v[108:109], v[82:83], v[66:67] op_sel:[1,1] op_sel_hi:[0,1]
	v_pk_mul_f32 v[92:93], v[92:93], v[100:101] op_sel_hi:[1,0]
	v_pk_fma_f32 v[106:107], v[74:75], v[58:59], v[98:99] op_sel_hi:[1,0,1]
	v_pk_fma_f32 v[58:59], v[74:75], v[58:59], v[98:99] neg_lo:[0,0,1] neg_hi:[0,0,1]
	v_mov_b32_e32 v100, v65
	v_pk_fma_f32 v[98:99], v[78:79], v[62:63], v[104:105] op_sel_hi:[1,0,1]
	v_pk_fma_f32 v[74:75], v[76:77], v[60:61], v[92:93] op_sel_hi:[1,0,1]
	v_mov_b32_e32 v59, v107
	v_pk_fma_f32 v[60:61], v[76:77], v[60:61], v[92:93] neg_lo:[0,0,1] neg_hi:[0,0,1]
	v_pk_mul_f32 v[94:95], v[94:95], v[100:101] op_sel_hi:[1,0]
	s_delay_alu instid0(VALU_DEP_4) | instskip(NEXT) | instid1(VALU_DEP_4)
	v_dual_mov_b32 v74, v69 :: v_dual_mov_b32 v61, v75
	v_pk_add_f32 v[58:59], v[58:59], 0 op_sel_hi:[1,0]
	v_pk_fma_f32 v[62:63], v[78:79], v[62:63], v[104:105] neg_lo:[0,0,1] neg_hi:[0,0,1]
	v_mov_b32_e32 v63, v99
	v_pk_fma_f32 v[76:77], v[80:81], v[64:65], v[94:95] op_sel_hi:[1,0,1]
	v_pk_mul_f32 v[74:75], v[96:97], v[74:75] op_sel_hi:[1,0]
	v_pk_add_f32 v[58:59], v[58:59], v[60:61]
	v_pk_fma_f32 v[60:61], v[82:83], v[66:67], v[108:109] op_sel_hi:[1,0,1]
	v_pk_fma_f32 v[64:65], v[80:81], v[64:65], v[94:95] neg_lo:[0,0,1] neg_hi:[0,0,1]
	v_mov_b32_e32 v65, v77
	v_pk_fma_f32 v[66:67], v[82:83], v[66:67], v[108:109] neg_lo:[0,0,1] neg_hi:[0,0,1]
	v_pk_add_f32 v[58:59], v[58:59], v[62:63]
	v_mov_b32_e32 v67, v61
	v_pk_fma_f32 v[60:61], v[84:85], v[68:69], v[74:75] op_sel_hi:[1,0,1]
	s_wait_loadcnt 0x1
	v_pk_mul_f32 v[62:63], v[86:87], v[70:71] op_sel:[1,1] op_sel_hi:[0,1]
	v_mov_b32_e32 v60, v73
	v_pk_add_f32 v[58:59], v[58:59], v[64:65]
	v_pk_fma_f32 v[68:69], v[84:85], v[68:69], v[74:75] neg_lo:[0,0,1] neg_hi:[0,0,1]
	v_mov_b32_e32 v69, v61
	v_pk_fma_f32 v[64:65], v[86:87], v[70:71], v[62:63] op_sel_hi:[1,0,1]
	v_pk_mul_f32 v[60:61], v[102:103], v[60:61] op_sel_hi:[1,0]
	v_pk_add_f32 v[58:59], v[58:59], v[66:67]
	v_pk_fma_f32 v[62:63], v[86:87], v[70:71], v[62:63] neg_lo:[0,0,1] neg_hi:[0,0,1]
	s_delay_alu instid0(VALU_DEP_4) | instskip(NEXT) | instid1(VALU_DEP_4)
	v_mov_b32_e32 v63, v65
	v_pk_fma_f32 v[64:65], v[88:89], v[72:73], v[60:61] op_sel_hi:[1,0,1]
	s_delay_alu instid0(VALU_DEP_4) | instskip(SKIP_1) | instid1(VALU_DEP_3)
	v_pk_add_f32 v[58:59], v[58:59], v[68:69]
	v_pk_fma_f32 v[60:61], v[88:89], v[72:73], v[60:61] neg_lo:[0,0,1] neg_hi:[0,0,1]
	v_mov_b32_e32 v61, v65
	s_delay_alu instid0(VALU_DEP_3) | instskip(NEXT) | instid1(VALU_DEP_1)
	v_pk_add_f32 v[58:59], v[58:59], v[62:63]
	v_pk_add_f32 v[58:59], v[58:59], v[60:61]
	s_wait_loadcnt 0x0
	s_delay_alu instid0(VALU_DEP_1)
	v_pk_add_f32 v[58:59], v[90:91], v[58:59] neg_lo:[0,1] neg_hi:[0,1]
	scratch_store_b64 off, v[58:59], off offset:152
	s_wait_xcnt 0x0
	v_cmpx_lt_u32_e32 18, v0
	s_cbranch_execz .LBB91_145
; %bb.144:
	scratch_load_b64 v[58:59], off, off offset:144
	v_mov_b64_e32 v[60:61], 0
	scratch_store_b64 off, v[60:61], off offset:144
	s_wait_loadcnt 0x0
	ds_store_b64 v1, v[58:59]
.LBB91_145:
	s_wait_xcnt 0x0
	s_or_b32 exec_lo, exec_lo, s0
	s_wait_storecnt_dscnt 0x0
	s_barrier_signal -1
	s_barrier_wait -1
	s_clause 0x5
	scratch_load_b128 v[58:61], off, off offset:152
	scratch_load_b128 v[62:65], off, off offset:168
	;; [unrolled: 1-line block ×4, first 2 shown]
	scratch_load_b64 v[90:91], off, off offset:216
	scratch_load_b64 v[92:93], off, off offset:144
	v_mov_b32_e32 v7, 0
	ds_load_2addr_b64 v[74:77], v7 offset0:47 offset1:48
	ds_load_2addr_b64 v[78:81], v7 offset0:49 offset1:50
	;; [unrolled: 1-line block ×4, first 2 shown]
	ds_load_b64 v[94:95], v7 offset:440
	s_mov_b32 s0, exec_lo
	s_wait_dscnt 0x4
	v_dual_mov_b32 v96, v77 :: v_dual_mov_b32 v97, v76
	s_wait_dscnt 0x1
	v_dual_mov_b32 v98, v81 :: v_dual_mov_b32 v103, v88
	v_dual_mov_b32 v99, v80 :: v_dual_mov_b32 v100, v85
	;; [unrolled: 1-line block ×3, first 2 shown]
	s_wait_loadcnt 0x5
	v_dual_mov_b32 v104, v61 :: v_dual_mul_f32 v105, v74, v59
	v_mul_f32_e32 v9, v75, v59
	s_wait_loadcnt 0x4
	v_pk_mul_f32 v[106:107], v[78:79], v[62:63] op_sel:[1,1] op_sel_hi:[0,1]
	v_mov_b32_e32 v108, v65
	s_wait_loadcnt 0x3
	v_pk_mul_f32 v[110:111], v[82:83], v[66:67] op_sel:[1,1] op_sel_hi:[0,1]
	v_pk_mul_f32 v[96:97], v[96:97], v[104:105] op_sel_hi:[1,0]
	v_fmac_f32_e32 v105, v75, v58
	v_dual_fma_f32 v104, v74, v58, -v9 :: v_dual_mov_b32 v58, v69
	v_pk_fma_f32 v[112:113], v[78:79], v[62:63], v[106:107] op_sel_hi:[1,0,1]
	s_delay_alu instid0(VALU_DEP_4)
	v_pk_fma_f32 v[74:75], v[76:77], v[60:61], v[96:97] op_sel_hi:[1,0,1]
	v_pk_fma_f32 v[60:61], v[76:77], v[60:61], v[96:97] neg_lo:[0,0,1] neg_hi:[0,0,1]
	v_pk_mul_f32 v[98:99], v[98:99], v[108:109] op_sel_hi:[1,0]
	v_pk_add_f32 v[104:105], v[104:105], 0 op_sel_hi:[1,0]
	v_pk_fma_f32 v[62:63], v[78:79], v[62:63], v[106:107] neg_lo:[0,0,1] neg_hi:[0,0,1]
	v_dual_mov_b32 v61, v75 :: v_dual_mov_b32 v63, v113
	s_delay_alu instid0(VALU_DEP_4) | instskip(SKIP_2) | instid1(VALU_DEP_4)
	v_pk_fma_f32 v[76:77], v[80:81], v[64:65], v[98:99] op_sel_hi:[1,0,1]
	v_pk_fma_f32 v[64:65], v[80:81], v[64:65], v[98:99] neg_lo:[0,0,1] neg_hi:[0,0,1]
	v_pk_fma_f32 v[78:79], v[82:83], v[66:67], v[110:111] op_sel_hi:[1,0,1]
	v_pk_add_f32 v[60:61], v[104:105], v[60:61]
	v_pk_mul_f32 v[58:59], v[100:101], v[58:59] op_sel_hi:[1,0]
	v_mov_b32_e32 v65, v77
	v_pk_fma_f32 v[66:67], v[82:83], v[66:67], v[110:111] neg_lo:[0,0,1] neg_hi:[0,0,1]
	s_wait_loadcnt 0x2
	v_pk_mul_f32 v[74:75], v[86:87], v[70:71] op_sel:[1,1] op_sel_hi:[0,1]
	v_pk_add_f32 v[60:61], v[60:61], v[62:63]
	v_mov_b32_e32 v62, v73
	v_pk_fma_f32 v[76:77], v[84:85], v[68:69], v[58:59] op_sel_hi:[1,0,1]
	v_mov_b32_e32 v67, v79
	v_pk_fma_f32 v[58:59], v[84:85], v[68:69], v[58:59] neg_lo:[0,0,1] neg_hi:[0,0,1]
	v_pk_add_f32 v[60:61], v[60:61], v[64:65]
	v_pk_fma_f32 v[64:65], v[86:87], v[70:71], v[74:75] op_sel_hi:[1,0,1]
	v_pk_mul_f32 v[62:63], v[102:103], v[62:63] op_sel_hi:[1,0]
	v_mov_b32_e32 v59, v77
	s_delay_alu instid0(VALU_DEP_4)
	v_pk_add_f32 v[60:61], v[60:61], v[66:67]
	v_pk_fma_f32 v[66:67], v[86:87], v[70:71], v[74:75] neg_lo:[0,0,1] neg_hi:[0,0,1]
	v_mov_b32_e32 v67, v65
	v_pk_fma_f32 v[64:65], v[88:89], v[72:73], v[62:63] op_sel_hi:[1,0,1]
	v_pk_fma_f32 v[62:63], v[88:89], v[72:73], v[62:63] neg_lo:[0,0,1] neg_hi:[0,0,1]
	v_pk_add_f32 v[58:59], v[60:61], v[58:59]
	s_wait_loadcnt_dscnt 0x100
	v_pk_mul_f32 v[60:61], v[94:95], v[90:91] op_sel:[1,1] op_sel_hi:[0,1]
	v_mov_b32_e32 v63, v65
	s_delay_alu instid0(VALU_DEP_3) | instskip(NEXT) | instid1(VALU_DEP_3)
	v_pk_add_f32 v[58:59], v[58:59], v[66:67]
	v_pk_fma_f32 v[64:65], v[94:95], v[90:91], v[60:61] op_sel_hi:[1,0,1]
	v_pk_fma_f32 v[60:61], v[94:95], v[90:91], v[60:61] neg_lo:[0,0,1] neg_hi:[0,0,1]
	s_delay_alu instid0(VALU_DEP_3) | instskip(NEXT) | instid1(VALU_DEP_3)
	v_pk_add_f32 v[58:59], v[58:59], v[62:63]
	v_mov_b32_e32 v61, v65
	s_delay_alu instid0(VALU_DEP_1) | instskip(SKIP_1) | instid1(VALU_DEP_1)
	v_pk_add_f32 v[58:59], v[58:59], v[60:61]
	s_wait_loadcnt 0x0
	v_pk_add_f32 v[58:59], v[92:93], v[58:59] neg_lo:[0,1] neg_hi:[0,1]
	scratch_store_b64 off, v[58:59], off offset:144
	s_wait_xcnt 0x0
	v_cmpx_lt_u32_e32 17, v0
	s_cbranch_execz .LBB91_147
; %bb.146:
	scratch_load_b64 v[58:59], off, off offset:136
	v_mov_b64_e32 v[60:61], 0
	scratch_store_b64 off, v[60:61], off offset:136
	s_wait_loadcnt 0x0
	ds_store_b64 v1, v[58:59]
.LBB91_147:
	s_wait_xcnt 0x0
	s_or_b32 exec_lo, exec_lo, s0
	s_wait_storecnt_dscnt 0x0
	s_barrier_signal -1
	s_barrier_wait -1
	s_clause 0x5
	scratch_load_b128 v[58:61], off, off offset:144
	scratch_load_b128 v[62:65], off, off offset:160
	;; [unrolled: 1-line block ×5, first 2 shown]
	scratch_load_b64 v[98:99], off, off offset:136
	ds_load_b128 v[78:81], v7 offset:384
	ds_load_b128 v[82:85], v7 offset:400
	;; [unrolled: 1-line block ×5, first 2 shown]
	s_mov_b32 s0, exec_lo
	s_wait_dscnt 0x4
	v_dual_mov_b32 v100, v81 :: v_dual_mov_b32 v101, v80
	s_wait_dscnt 0x3
	v_dual_mov_b32 v102, v85 :: v_dual_mov_b32 v103, v84
	;; [unrolled: 2-line block ×4, first 2 shown]
	s_wait_loadcnt_dscnt 0x500
	v_dual_mul_f32 v109, v94, v59 :: v_dual_mul_f32 v111, v96, v61
	v_dual_mul_f32 v7, v95, v59 :: v_dual_mul_f32 v9, v97, v61
	s_wait_loadcnt 0x4
	v_pk_mul_f32 v[112:113], v[78:79], v[62:63] op_sel:[1,1] op_sel_hi:[0,1]
	s_wait_loadcnt 0x3
	v_dual_mov_b32 v114, v65 :: v_dual_mov_b32 v118, v69
	v_dual_fmac_f32 v109, v95, v58 :: v_dual_fma_f32 v108, v94, v58, -v7
	v_dual_fmac_f32 v111, v97, v60 :: v_dual_fma_f32 v110, v96, v60, -v9
	v_pk_fma_f32 v[58:59], v[78:79], v[62:63], v[112:113] op_sel_hi:[1,0,1]
	s_delay_alu instid0(VALU_DEP_4) | instskip(NEXT) | instid1(VALU_DEP_4)
	v_pk_mul_f32 v[60:61], v[100:101], v[114:115] op_sel_hi:[1,0]
	v_pk_add_f32 v[94:95], v[108:109], 0 op_sel_hi:[1,0]
	v_pk_fma_f32 v[62:63], v[78:79], v[62:63], v[112:113] neg_lo:[0,0,1] neg_hi:[0,0,1]
	v_pk_mul_f32 v[116:117], v[82:83], v[66:67] op_sel:[1,1] op_sel_hi:[0,1]
	v_mov_b32_e32 v63, v59
	v_pk_fma_f32 v[58:59], v[80:81], v[64:65], v[60:61] op_sel_hi:[1,0,1]
	v_pk_add_f32 v[78:79], v[94:95], v[110:111]
	v_pk_fma_f32 v[60:61], v[80:81], v[64:65], v[60:61] neg_lo:[0,0,1] neg_hi:[0,0,1]
	v_pk_fma_f32 v[94:95], v[82:83], v[66:67], v[116:117] op_sel_hi:[1,0,1]
	v_pk_mul_f32 v[100:101], v[102:103], v[118:119] op_sel_hi:[1,0]
	v_mov_b32_e32 v61, v59
	v_pk_add_f32 v[58:59], v[78:79], v[62:63]
	s_wait_loadcnt 0x2
	v_pk_mul_f32 v[96:97], v[86:87], v[70:71] op_sel:[1,1] op_sel_hi:[0,1]
	v_mov_b32_e32 v62, v73
	v_pk_fma_f32 v[64:65], v[82:83], v[66:67], v[116:117] neg_lo:[0,0,1] neg_hi:[0,0,1]
	v_mov_b32_e32 v65, v95
	v_pk_fma_f32 v[66:67], v[84:85], v[68:69], v[100:101] op_sel_hi:[1,0,1]
	v_pk_add_f32 v[58:59], v[58:59], v[60:61]
	v_pk_fma_f32 v[60:61], v[86:87], v[70:71], v[96:97] op_sel_hi:[1,0,1]
	v_pk_mul_f32 v[62:63], v[104:105], v[62:63] op_sel_hi:[1,0]
	v_pk_fma_f32 v[68:69], v[84:85], v[68:69], v[100:101] neg_lo:[0,0,1] neg_hi:[0,0,1]
	v_mov_b32_e32 v69, v67
	v_pk_add_f32 v[58:59], v[58:59], v[64:65]
	v_pk_fma_f32 v[66:67], v[86:87], v[70:71], v[96:97] neg_lo:[0,0,1] neg_hi:[0,0,1]
	v_mov_b32_e32 v67, v61
	v_pk_fma_f32 v[60:61], v[88:89], v[72:73], v[62:63] op_sel_hi:[1,0,1]
	s_wait_loadcnt 0x1
	v_pk_mul_f32 v[64:65], v[90:91], v[74:75] op_sel:[1,1] op_sel_hi:[0,1]
	v_pk_add_f32 v[58:59], v[58:59], v[68:69]
	v_mov_b32_e32 v60, v77
	v_pk_fma_f32 v[62:63], v[88:89], v[72:73], v[62:63] neg_lo:[0,0,1] neg_hi:[0,0,1]
	v_mov_b32_e32 v63, v61
	v_pk_fma_f32 v[68:69], v[90:91], v[74:75], v[64:65] op_sel_hi:[1,0,1]
	v_pk_add_f32 v[58:59], v[58:59], v[66:67]
	v_pk_mul_f32 v[60:61], v[106:107], v[60:61] op_sel_hi:[1,0]
	v_pk_fma_f32 v[64:65], v[90:91], v[74:75], v[64:65] neg_lo:[0,0,1] neg_hi:[0,0,1]
	s_delay_alu instid0(VALU_DEP_3) | instskip(NEXT) | instid1(VALU_DEP_3)
	v_pk_add_f32 v[58:59], v[58:59], v[62:63]
	v_pk_fma_f32 v[62:63], v[92:93], v[76:77], v[60:61] op_sel_hi:[1,0,1]
	v_mov_b32_e32 v65, v69
	v_pk_fma_f32 v[60:61], v[92:93], v[76:77], v[60:61] neg_lo:[0,0,1] neg_hi:[0,0,1]
	s_delay_alu instid0(VALU_DEP_3) | instskip(NEXT) | instid1(VALU_DEP_3)
	v_mov_b32_e32 v61, v63
	v_pk_add_f32 v[58:59], v[58:59], v[64:65]
	s_delay_alu instid0(VALU_DEP_1) | instskip(SKIP_1) | instid1(VALU_DEP_1)
	v_pk_add_f32 v[58:59], v[58:59], v[60:61]
	s_wait_loadcnt 0x0
	v_pk_add_f32 v[58:59], v[98:99], v[58:59] neg_lo:[0,1] neg_hi:[0,1]
	scratch_store_b64 off, v[58:59], off offset:136
	s_wait_xcnt 0x0
	v_cmpx_lt_u32_e32 16, v0
	s_cbranch_execz .LBB91_149
; %bb.148:
	scratch_load_b64 v[58:59], off, off offset:128
	v_mov_b64_e32 v[60:61], 0
	scratch_store_b64 off, v[60:61], off offset:128
	s_wait_loadcnt 0x0
	ds_store_b64 v1, v[58:59]
.LBB91_149:
	s_wait_xcnt 0x0
	s_or_b32 exec_lo, exec_lo, s0
	s_wait_storecnt_dscnt 0x0
	s_barrier_signal -1
	s_barrier_wait -1
	s_clause 0x6
	scratch_load_b128 v[58:61], off, off offset:136
	scratch_load_b128 v[62:65], off, off offset:152
	;; [unrolled: 1-line block ×5, first 2 shown]
	scratch_load_b64 v[98:99], off, off offset:216
	scratch_load_b64 v[100:101], off, off offset:128
	v_mov_b32_e32 v7, 0
	ds_load_2addr_b64 v[78:81], v7 offset0:47 offset1:48
	ds_load_2addr_b64 v[82:85], v7 offset0:49 offset1:50
	;; [unrolled: 1-line block ×5, first 2 shown]
	ds_load_b64 v[102:103], v7 offset:440
	s_mov_b32 s0, exec_lo
	s_wait_dscnt 0x5
	v_dual_mov_b32 v104, v81 :: v_dual_mov_b32 v105, v80
	s_wait_dscnt 0x2
	v_dual_mov_b32 v106, v85 :: v_dual_mov_b32 v111, v92
	v_dual_mov_b32 v107, v84 :: v_dual_mov_b32 v108, v89
	v_dual_mov_b32 v109, v88 :: v_dual_mov_b32 v110, v93
	s_wait_loadcnt_dscnt 0x601
	v_dual_mul_f32 v9, v94, v59 :: v_dual_mul_f32 v11, v95, v59
	v_dual_mul_f32 v13, v97, v61 :: v_dual_mul_f32 v113, v96, v61
	s_wait_loadcnt 0x5
	v_dual_mul_f32 v115, v78, v63 :: v_dual_mul_f32 v15, v79, v63
	s_wait_loadcnt 0x4
	v_dual_mov_b32 v114, v65 :: v_dual_mov_b32 v118, v69
	v_dual_fmac_f32 v9, v95, v58 :: v_dual_fma_f32 v11, v94, v58, -v11
	v_fmac_f32_e32 v113, v97, v60
	v_pk_mul_f32 v[116:117], v[82:83], v[66:67] op_sel:[1,1] op_sel_hi:[0,1]
	s_delay_alu instid0(VALU_DEP_3)
	v_dual_fma_f32 v112, v96, v60, -v13 :: v_dual_add_f32 v61, 0, v9
	v_pk_mul_f32 v[58:59], v[104:105], v[114:115] op_sel_hi:[1,0]
	s_wait_loadcnt 0x3
	v_dual_add_f32 v60, 0, v11 :: v_dual_mov_b32 v94, v73
	v_fmac_f32_e32 v115, v79, v62
	v_fma_f32 v114, v78, v62, -v15
	v_pk_fma_f32 v[62:63], v[80:81], v[64:65], v[58:59] op_sel_hi:[1,0,1]
	s_delay_alu instid0(VALU_DEP_4) | instskip(SKIP_4) | instid1(VALU_DEP_4)
	v_pk_add_f32 v[60:61], v[60:61], v[112:113]
	v_pk_fma_f32 v[78:79], v[82:83], v[66:67], v[116:117] op_sel_hi:[1,0,1]
	v_pk_fma_f32 v[58:59], v[80:81], v[64:65], v[58:59] neg_lo:[0,0,1] neg_hi:[0,0,1]
	v_pk_fma_f32 v[64:65], v[82:83], v[66:67], v[116:117] neg_lo:[0,0,1] neg_hi:[0,0,1]
	v_pk_mul_f32 v[96:97], v[106:107], v[118:119] op_sel_hi:[1,0]
	v_dual_mov_b32 v59, v63 :: v_dual_mov_b32 v65, v79
	v_pk_add_f32 v[60:61], v[60:61], v[114:115]
	v_pk_mul_f32 v[120:121], v[86:87], v[70:71] op_sel:[1,1] op_sel_hi:[0,1]
	s_delay_alu instid0(VALU_DEP_4)
	v_pk_fma_f32 v[66:67], v[84:85], v[68:69], v[96:97] op_sel_hi:[1,0,1]
	v_pk_fma_f32 v[68:69], v[84:85], v[68:69], v[96:97] neg_lo:[0,0,1] neg_hi:[0,0,1]
	v_pk_mul_f32 v[78:79], v[108:109], v[94:95] op_sel_hi:[1,0]
	v_pk_add_f32 v[58:59], v[60:61], v[58:59]
	v_pk_fma_f32 v[60:61], v[86:87], v[70:71], v[120:121] op_sel_hi:[1,0,1]
	s_wait_loadcnt 0x2
	v_dual_mov_b32 v69, v67 :: v_dual_mov_b32 v60, v77
	v_pk_mul_f32 v[62:63], v[90:91], v[74:75] op_sel:[1,1] op_sel_hi:[0,1]
	v_pk_add_f32 v[58:59], v[58:59], v[64:65]
	v_pk_fma_f32 v[64:65], v[86:87], v[70:71], v[120:121] neg_lo:[0,0,1] neg_hi:[0,0,1]
	v_pk_fma_f32 v[66:67], v[88:89], v[72:73], v[78:79] op_sel_hi:[1,0,1]
	v_mov_b32_e32 v65, v61
	v_pk_fma_f32 v[70:71], v[88:89], v[72:73], v[78:79] neg_lo:[0,0,1] neg_hi:[0,0,1]
	v_pk_add_f32 v[58:59], v[58:59], v[68:69]
	v_pk_fma_f32 v[68:69], v[90:91], v[74:75], v[62:63] op_sel_hi:[1,0,1]
	v_pk_mul_f32 v[60:61], v[110:111], v[60:61] op_sel_hi:[1,0]
	v_mov_b32_e32 v71, v67
	v_pk_fma_f32 v[62:63], v[90:91], v[74:75], v[62:63] neg_lo:[0,0,1] neg_hi:[0,0,1]
	v_pk_add_f32 v[58:59], v[58:59], v[64:65]
	s_wait_loadcnt_dscnt 0x100
	v_pk_mul_f32 v[66:67], v[102:103], v[98:99] op_sel:[1,1] op_sel_hi:[0,1]
	v_pk_fma_f32 v[64:65], v[92:93], v[76:77], v[60:61] op_sel_hi:[1,0,1]
	v_mov_b32_e32 v63, v69
	v_pk_fma_f32 v[60:61], v[92:93], v[76:77], v[60:61] neg_lo:[0,0,1] neg_hi:[0,0,1]
	v_pk_add_f32 v[58:59], v[58:59], v[70:71]
	s_delay_alu instid0(VALU_DEP_4) | instskip(SKIP_1) | instid1(VALU_DEP_3)
	v_mov_b32_e32 v61, v65
	v_pk_fma_f32 v[64:65], v[102:103], v[98:99], v[66:67] neg_lo:[0,0,1] neg_hi:[0,0,1]
	v_pk_add_f32 v[58:59], v[58:59], v[62:63]
	v_pk_fma_f32 v[62:63], v[102:103], v[98:99], v[66:67] op_sel_hi:[1,0,1]
	s_delay_alu instid0(VALU_DEP_2) | instskip(NEXT) | instid1(VALU_DEP_2)
	v_pk_add_f32 v[58:59], v[58:59], v[60:61]
	v_mov_b32_e32 v65, v63
	s_delay_alu instid0(VALU_DEP_1) | instskip(SKIP_1) | instid1(VALU_DEP_1)
	v_pk_add_f32 v[58:59], v[58:59], v[64:65]
	s_wait_loadcnt 0x0
	v_pk_add_f32 v[58:59], v[100:101], v[58:59] neg_lo:[0,1] neg_hi:[0,1]
	scratch_store_b64 off, v[58:59], off offset:128
	s_wait_xcnt 0x0
	v_cmpx_lt_u32_e32 15, v0
	s_cbranch_execz .LBB91_151
; %bb.150:
	scratch_load_b64 v[58:59], off, off offset:120
	v_mov_b64_e32 v[60:61], 0
	scratch_store_b64 off, v[60:61], off offset:120
	s_wait_loadcnt 0x0
	ds_store_b64 v1, v[58:59]
.LBB91_151:
	s_wait_xcnt 0x0
	s_or_b32 exec_lo, exec_lo, s0
	s_wait_storecnt_dscnt 0x0
	s_barrier_signal -1
	s_barrier_wait -1
	s_clause 0x6
	scratch_load_b128 v[58:61], off, off offset:128
	scratch_load_b128 v[62:65], off, off offset:144
	;; [unrolled: 1-line block ×6, first 2 shown]
	scratch_load_b64 v[106:107], off, off offset:120
	ds_load_b128 v[82:85], v7 offset:384
	ds_load_b128 v[86:89], v7 offset:400
	;; [unrolled: 1-line block ×6, first 2 shown]
	s_mov_b32 s0, exec_lo
	s_wait_dscnt 0x5
	v_dual_mov_b32 v108, v85 :: v_dual_mov_b32 v109, v84
	s_wait_dscnt 0x4
	v_dual_mov_b32 v110, v89 :: v_dual_mov_b32 v111, v88
	;; [unrolled: 2-line block ×4, first 2 shown]
	s_wait_loadcnt_dscnt 0x601
	v_dual_mul_f32 v7, v98, v59 :: v_dual_mul_f32 v9, v100, v61
	v_dual_mul_f32 v11, v99, v59 :: v_dual_mul_f32 v13, v101, v61
	s_wait_loadcnt 0x4
	s_delay_alu instid0(VALU_DEP_2)
	v_dual_mov_b32 v122, v69 :: v_dual_fmac_f32 v7, v99, v58
	s_wait_dscnt 0x0
	v_dual_mul_f32 v117, v102, v63 :: v_dual_mul_f32 v119, v104, v65
	v_dual_fma_f32 v11, v98, v58, -v11 :: v_dual_fmac_f32 v9, v101, v60
	v_dual_mul_f32 v15, v103, v63 :: v_dual_mul_f32 v17, v105, v65
	v_dual_fma_f32 v13, v100, v60, -v13 :: v_dual_add_f32 v7, 0, v7
	s_wait_loadcnt 0x3
	s_delay_alu instid0(VALU_DEP_3) | instskip(SKIP_3) | instid1(VALU_DEP_4)
	v_dual_add_f32 v11, 0, v11 :: v_dual_mov_b32 v60, v73
	v_pk_mul_f32 v[120:121], v[82:83], v[66:67] op_sel:[1,1] op_sel_hi:[0,1]
	v_dual_fmac_f32 v117, v103, v62 :: v_dual_fma_f32 v116, v102, v62, -v15
	v_dual_add_f32 v63, v7, v9 :: v_dual_fmac_f32 v119, v105, v64
	v_dual_add_f32 v62, v11, v13 :: v_dual_fma_f32 v118, v104, v64, -v17
	s_delay_alu instid0(VALU_DEP_4) | instskip(SKIP_2) | instid1(VALU_DEP_4)
	v_pk_fma_f32 v[64:65], v[82:83], v[66:67], v[120:121] op_sel_hi:[1,0,1]
	v_pk_mul_f32 v[98:99], v[108:109], v[122:123] op_sel_hi:[1,0]
	v_pk_fma_f32 v[66:67], v[82:83], v[66:67], v[120:121] neg_lo:[0,0,1] neg_hi:[0,0,1]
	v_pk_add_f32 v[62:63], v[62:63], v[116:117]
	v_pk_mul_f32 v[58:59], v[86:87], v[70:71] op_sel:[1,1] op_sel_hi:[0,1]
	v_mov_b32_e32 v67, v65
	v_pk_fma_f32 v[64:65], v[84:85], v[68:69], v[98:99] op_sel_hi:[1,0,1]
	v_pk_fma_f32 v[68:69], v[84:85], v[68:69], v[98:99] neg_lo:[0,0,1] neg_hi:[0,0,1]
	v_pk_add_f32 v[62:63], v[62:63], v[118:119]
	v_pk_fma_f32 v[82:83], v[86:87], v[70:71], v[58:59] op_sel_hi:[1,0,1]
	v_pk_mul_f32 v[60:61], v[110:111], v[60:61] op_sel_hi:[1,0]
	v_mov_b32_e32 v69, v65
	v_pk_fma_f32 v[58:59], v[86:87], v[70:71], v[58:59] neg_lo:[0,0,1] neg_hi:[0,0,1]
	v_pk_add_f32 v[62:63], v[62:63], v[66:67]
	s_wait_loadcnt 0x2
	v_pk_mul_f32 v[100:101], v[90:91], v[74:75] op_sel:[1,1] op_sel_hi:[0,1]
	v_dual_mov_b32 v64, v77 :: v_dual_mov_b32 v59, v83
	v_pk_fma_f32 v[66:67], v[88:89], v[72:73], v[60:61] op_sel_hi:[1,0,1]
	v_pk_add_f32 v[62:63], v[62:63], v[68:69]
	v_pk_fma_f32 v[60:61], v[88:89], v[72:73], v[60:61] neg_lo:[0,0,1] neg_hi:[0,0,1]
	v_pk_fma_f32 v[68:69], v[90:91], v[74:75], v[100:101] op_sel_hi:[1,0,1]
	v_pk_mul_f32 v[64:65], v[112:113], v[64:65] op_sel_hi:[1,0]
	v_mov_b32_e32 v61, v67
	v_pk_add_f32 v[58:59], v[62:63], v[58:59]
	v_pk_fma_f32 v[66:67], v[90:91], v[74:75], v[100:101] neg_lo:[0,0,1] neg_hi:[0,0,1]
	s_wait_loadcnt 0x1
	v_pk_mul_f32 v[62:63], v[94:95], v[78:79] op_sel:[1,1] op_sel_hi:[0,1]
	v_mov_b32_e32 v67, v69
	v_pk_fma_f32 v[68:69], v[92:93], v[76:77], v[64:65] op_sel_hi:[1,0,1]
	v_pk_add_f32 v[58:59], v[58:59], v[60:61]
	v_mov_b32_e32 v60, v81
	v_pk_fma_f32 v[64:65], v[92:93], v[76:77], v[64:65] neg_lo:[0,0,1] neg_hi:[0,0,1]
	v_pk_fma_f32 v[70:71], v[94:95], v[78:79], v[62:63] op_sel_hi:[1,0,1]
	v_mov_b32_e32 v65, v69
	v_pk_add_f32 v[58:59], v[58:59], v[66:67]
	v_pk_mul_f32 v[60:61], v[114:115], v[60:61] op_sel_hi:[1,0]
	v_pk_fma_f32 v[62:63], v[94:95], v[78:79], v[62:63] neg_lo:[0,0,1] neg_hi:[0,0,1]
	s_delay_alu instid0(VALU_DEP_3) | instskip(NEXT) | instid1(VALU_DEP_3)
	v_pk_add_f32 v[58:59], v[58:59], v[64:65]
	v_pk_fma_f32 v[64:65], v[96:97], v[80:81], v[60:61] op_sel_hi:[1,0,1]
	v_mov_b32_e32 v63, v71
	v_pk_fma_f32 v[60:61], v[96:97], v[80:81], v[60:61] neg_lo:[0,0,1] neg_hi:[0,0,1]
	s_delay_alu instid0(VALU_DEP_3) | instskip(NEXT) | instid1(VALU_DEP_3)
	v_mov_b32_e32 v61, v65
	v_pk_add_f32 v[58:59], v[58:59], v[62:63]
	s_delay_alu instid0(VALU_DEP_1) | instskip(SKIP_1) | instid1(VALU_DEP_1)
	v_pk_add_f32 v[58:59], v[58:59], v[60:61]
	s_wait_loadcnt 0x0
	v_pk_add_f32 v[58:59], v[106:107], v[58:59] neg_lo:[0,1] neg_hi:[0,1]
	scratch_store_b64 off, v[58:59], off offset:120
	s_wait_xcnt 0x0
	v_cmpx_lt_u32_e32 14, v0
	s_cbranch_execz .LBB91_153
; %bb.152:
	scratch_load_b64 v[58:59], off, off offset:112
	v_mov_b64_e32 v[60:61], 0
	scratch_store_b64 off, v[60:61], off offset:112
	s_wait_loadcnt 0x0
	ds_store_b64 v1, v[58:59]
.LBB91_153:
	s_wait_xcnt 0x0
	s_or_b32 exec_lo, exec_lo, s0
	s_wait_storecnt_dscnt 0x0
	s_barrier_signal -1
	s_barrier_wait -1
	s_clause 0x7
	scratch_load_b128 v[58:61], off, off offset:120
	scratch_load_b128 v[62:65], off, off offset:136
	scratch_load_b128 v[66:69], off, off offset:152
	scratch_load_b128 v[70:73], off, off offset:168
	scratch_load_b128 v[74:77], off, off offset:184
	scratch_load_b128 v[78:81], off, off offset:200
	scratch_load_b64 v[106:107], off, off offset:216
	scratch_load_b64 v[108:109], off, off offset:112
	v_mov_b32_e32 v7, 0
	ds_load_2addr_b64 v[82:85], v7 offset0:47 offset1:48
	ds_load_2addr_b64 v[86:89], v7 offset0:49 offset1:50
	;; [unrolled: 1-line block ×6, first 2 shown]
	ds_load_b64 v[110:111], v7 offset:440
	s_mov_b32 s0, exec_lo
	s_wait_dscnt 0x6
	v_dual_mov_b32 v112, v85 :: v_dual_mov_b32 v113, v84
	s_wait_dscnt 0x3
	v_dual_mov_b32 v114, v89 :: v_dual_mov_b32 v119, v96
	v_dual_mov_b32 v115, v88 :: v_dual_mov_b32 v116, v93
	;; [unrolled: 1-line block ×3, first 2 shown]
	s_wait_loadcnt_dscnt 0x702
	v_dual_mul_f32 v9, v98, v59 :: v_dual_mul_f32 v15, v99, v59
	v_dual_mul_f32 v17, v101, v61 :: v_dual_mul_f32 v11, v100, v61
	s_wait_loadcnt_dscnt 0x601
	s_delay_alu instid0(VALU_DEP_2) | instskip(NEXT) | instid1(VALU_DEP_3)
	v_dual_mul_f32 v13, v102, v63 :: v_dual_fmac_f32 v9, v99, v58
	v_dual_fma_f32 v15, v98, v58, -v15 :: v_dual_mul_f32 v19, v103, v63
	v_mul_f32_e32 v21, v105, v65
	s_wait_loadcnt 0x4
	v_dual_mov_b32 v58, v73 :: v_dual_fma_f32 v17, v100, v60, -v17
	v_dual_fmac_f32 v11, v101, v60 :: v_dual_add_f32 v9, 0, v9
	v_dual_add_f32 v15, 0, v15 :: v_dual_fmac_f32 v13, v103, v62
	v_dual_mul_f32 v121, v104, v65 :: v_dual_mul_f32 v123, v82, v67
	v_dual_mul_f32 v23, v83, v67 :: v_dual_mov_b32 v122, v69
	s_delay_alu instid0(VALU_DEP_4) | instskip(NEXT) | instid1(VALU_DEP_3)
	v_dual_fma_f32 v19, v102, v62, -v19 :: v_dual_add_f32 v9, v9, v11
	v_dual_add_f32 v11, v15, v17 :: v_dual_fmac_f32 v121, v105, v64
	v_pk_mul_f32 v[124:125], v[86:87], v[70:71] op_sel:[1,1] op_sel_hi:[0,1]
	s_delay_alu instid0(VALU_DEP_3)
	v_dual_fma_f32 v120, v104, v64, -v21 :: v_dual_add_f32 v65, v9, v13
	v_pk_mul_f32 v[62:63], v[112:113], v[122:123] op_sel_hi:[1,0]
	s_wait_loadcnt 0x3
	v_dual_add_f32 v64, v11, v19 :: v_dual_mov_b32 v98, v77
	v_fmac_f32_e32 v123, v83, v66
	v_fma_f32 v122, v82, v66, -v23
	v_pk_fma_f32 v[66:67], v[84:85], v[68:69], v[62:63] op_sel_hi:[1,0,1]
	s_delay_alu instid0(VALU_DEP_4) | instskip(SKIP_4) | instid1(VALU_DEP_4)
	v_pk_add_f32 v[64:65], v[64:65], v[120:121]
	v_pk_fma_f32 v[82:83], v[86:87], v[70:71], v[124:125] op_sel_hi:[1,0,1]
	v_pk_fma_f32 v[62:63], v[84:85], v[68:69], v[62:63] neg_lo:[0,0,1] neg_hi:[0,0,1]
	v_pk_fma_f32 v[68:69], v[86:87], v[70:71], v[124:125] neg_lo:[0,0,1] neg_hi:[0,0,1]
	v_pk_mul_f32 v[58:59], v[114:115], v[58:59] op_sel_hi:[1,0]
	v_dual_mov_b32 v63, v67 :: v_dual_mov_b32 v69, v83
	v_pk_add_f32 v[64:65], v[64:65], v[122:123]
	v_pk_mul_f32 v[60:61], v[90:91], v[74:75] op_sel:[1,1] op_sel_hi:[0,1]
	s_delay_alu instid0(VALU_DEP_4)
	v_pk_fma_f32 v[70:71], v[88:89], v[72:73], v[58:59] op_sel_hi:[1,0,1]
	v_pk_fma_f32 v[58:59], v[88:89], v[72:73], v[58:59] neg_lo:[0,0,1] neg_hi:[0,0,1]
	v_pk_mul_f32 v[82:83], v[116:117], v[98:99] op_sel_hi:[1,0]
	v_pk_add_f32 v[62:63], v[64:65], v[62:63]
	v_pk_fma_f32 v[64:65], v[90:91], v[74:75], v[60:61] op_sel_hi:[1,0,1]
	s_wait_loadcnt 0x2
	v_dual_mov_b32 v59, v71 :: v_dual_mov_b32 v64, v81
	v_pk_fma_f32 v[60:61], v[90:91], v[74:75], v[60:61] neg_lo:[0,0,1] neg_hi:[0,0,1]
	v_pk_add_f32 v[62:63], v[62:63], v[68:69]
	v_pk_mul_f32 v[66:67], v[94:95], v[78:79] op_sel:[1,1] op_sel_hi:[0,1]
	v_pk_fma_f32 v[68:69], v[92:93], v[76:77], v[82:83] op_sel_hi:[1,0,1]
	v_mov_b32_e32 v61, v65
	v_pk_fma_f32 v[70:71], v[92:93], v[76:77], v[82:83] neg_lo:[0,0,1] neg_hi:[0,0,1]
	v_pk_add_f32 v[58:59], v[62:63], v[58:59]
	v_pk_fma_f32 v[62:63], v[94:95], v[78:79], v[66:67] op_sel_hi:[1,0,1]
	v_pk_mul_f32 v[64:65], v[118:119], v[64:65] op_sel_hi:[1,0]
	v_mov_b32_e32 v71, v69
	s_delay_alu instid0(VALU_DEP_4)
	v_pk_add_f32 v[58:59], v[58:59], v[60:61]
	v_pk_fma_f32 v[60:61], v[94:95], v[78:79], v[66:67] neg_lo:[0,0,1] neg_hi:[0,0,1]
	v_mov_b32_e32 v61, v63
	v_pk_fma_f32 v[62:63], v[96:97], v[80:81], v[64:65] op_sel_hi:[1,0,1]
	s_wait_loadcnt_dscnt 0x100
	v_pk_mul_f32 v[66:67], v[110:111], v[106:107] op_sel:[1,1] op_sel_hi:[0,1]
	v_pk_add_f32 v[58:59], v[58:59], v[70:71]
	v_pk_fma_f32 v[64:65], v[96:97], v[80:81], v[64:65] neg_lo:[0,0,1] neg_hi:[0,0,1]
	v_mov_b32_e32 v65, v63
	s_delay_alu instid0(VALU_DEP_4) | instskip(NEXT) | instid1(VALU_DEP_4)
	v_pk_fma_f32 v[62:63], v[110:111], v[106:107], v[66:67] neg_lo:[0,0,1] neg_hi:[0,0,1]
	v_pk_add_f32 v[58:59], v[58:59], v[60:61]
	v_pk_fma_f32 v[60:61], v[110:111], v[106:107], v[66:67] op_sel_hi:[1,0,1]
	s_delay_alu instid0(VALU_DEP_2) | instskip(NEXT) | instid1(VALU_DEP_2)
	v_pk_add_f32 v[58:59], v[58:59], v[64:65]
	v_mov_b32_e32 v63, v61
	s_delay_alu instid0(VALU_DEP_1) | instskip(SKIP_1) | instid1(VALU_DEP_1)
	v_pk_add_f32 v[58:59], v[58:59], v[62:63]
	s_wait_loadcnt 0x0
	v_pk_add_f32 v[58:59], v[108:109], v[58:59] neg_lo:[0,1] neg_hi:[0,1]
	scratch_store_b64 off, v[58:59], off offset:112
	s_wait_xcnt 0x0
	v_cmpx_lt_u32_e32 13, v0
	s_cbranch_execz .LBB91_155
; %bb.154:
	scratch_load_b64 v[58:59], off, off offset:104
	v_mov_b64_e32 v[60:61], 0
	scratch_store_b64 off, v[60:61], off offset:104
	s_wait_loadcnt 0x0
	ds_store_b64 v1, v[58:59]
.LBB91_155:
	s_wait_xcnt 0x0
	s_or_b32 exec_lo, exec_lo, s0
	s_wait_storecnt_dscnt 0x0
	s_barrier_signal -1
	s_barrier_wait -1
	s_clause 0x7
	scratch_load_b128 v[58:61], off, off offset:112
	scratch_load_b128 v[62:65], off, off offset:128
	;; [unrolled: 1-line block ×7, first 2 shown]
	scratch_load_b64 v[114:115], off, off offset:104
	ds_load_b128 v[86:89], v7 offset:384
	ds_load_b128 v[90:93], v7 offset:400
	;; [unrolled: 1-line block ×7, first 2 shown]
	s_mov_b32 s0, exec_lo
	s_wait_dscnt 0x6
	v_dual_mov_b32 v116, v89 :: v_dual_mov_b32 v117, v88
	s_wait_dscnt 0x5
	v_dual_mov_b32 v118, v93 :: v_dual_mov_b32 v119, v92
	;; [unrolled: 2-line block ×4, first 2 shown]
	s_wait_loadcnt_dscnt 0x702
	v_dual_mul_f32 v7, v102, v59 :: v_dual_mul_f32 v9, v104, v61
	v_dual_mul_f32 v15, v103, v59 :: v_dual_mul_f32 v17, v105, v61
	s_wait_loadcnt_dscnt 0x601
	v_dual_mul_f32 v11, v106, v63 :: v_dual_mul_f32 v13, v108, v65
	s_delay_alu instid0(VALU_DEP_3) | instskip(NEXT) | instid1(VALU_DEP_3)
	v_dual_fmac_f32 v7, v103, v58 :: v_dual_fmac_f32 v9, v105, v60
	v_dual_fma_f32 v15, v102, v58, -v15 :: v_dual_fma_f32 v17, v104, v60, -v17
	v_dual_mul_f32 v19, v107, v63 :: v_dual_mul_f32 v21, v109, v65
	s_wait_loadcnt 0x4
	s_delay_alu instid0(VALU_DEP_3) | instskip(NEXT) | instid1(VALU_DEP_3)
	v_dual_add_f32 v7, 0, v7 :: v_dual_mov_b32 v60, v73
	v_dual_add_f32 v15, 0, v15 :: v_dual_fmac_f32 v11, v107, v62
	s_delay_alu instid0(VALU_DEP_2) | instskip(SKIP_2) | instid1(VALU_DEP_3)
	v_dual_fma_f32 v19, v106, v62, -v19 :: v_dual_add_f32 v7, v7, v9
	s_wait_dscnt 0x0
	v_dual_mul_f32 v125, v110, v67 :: v_dual_mul_f32 v127, v112, v69
	v_dual_add_f32 v9, v15, v17 :: v_dual_fmac_f32 v13, v109, v64
	v_dual_mul_f32 v23, v111, v67 :: v_dual_mul_f32 v25, v113, v69
	v_dual_fma_f32 v15, v108, v64, -v21 :: v_dual_add_f32 v7, v7, v11
	s_delay_alu instid0(VALU_DEP_3) | instskip(SKIP_3) | instid1(VALU_DEP_3)
	v_dual_add_f32 v9, v9, v19 :: v_dual_fmac_f32 v125, v111, v66
	v_pk_mul_f32 v[58:59], v[86:87], v[70:71] op_sel:[1,1] op_sel_hi:[0,1]
	s_wait_loadcnt 0x3
	v_dual_mov_b32 v64, v77 :: v_dual_fma_f32 v124, v110, v66, -v23
	v_dual_add_f32 v67, v7, v13 :: v_dual_add_f32 v66, v9, v15
	v_dual_fmac_f32 v127, v113, v68 :: v_dual_fma_f32 v126, v112, v68, -v25
	v_pk_fma_f32 v[68:69], v[86:87], v[70:71], v[58:59] op_sel_hi:[1,0,1]
	v_pk_mul_f32 v[60:61], v[116:117], v[60:61] op_sel_hi:[1,0]
	s_delay_alu instid0(VALU_DEP_4)
	v_pk_add_f32 v[66:67], v[66:67], v[124:125]
	v_pk_fma_f32 v[58:59], v[86:87], v[70:71], v[58:59] neg_lo:[0,0,1] neg_hi:[0,0,1]
	v_pk_mul_f32 v[62:63], v[90:91], v[74:75] op_sel:[1,1] op_sel_hi:[0,1]
	v_mov_b32_e32 v59, v69
	v_pk_fma_f32 v[68:69], v[88:89], v[72:73], v[60:61] op_sel_hi:[1,0,1]
	v_pk_add_f32 v[66:67], v[66:67], v[126:127]
	v_pk_fma_f32 v[60:61], v[88:89], v[72:73], v[60:61] neg_lo:[0,0,1] neg_hi:[0,0,1]
	v_pk_fma_f32 v[70:71], v[90:91], v[74:75], v[62:63] op_sel_hi:[1,0,1]
	v_pk_mul_f32 v[64:65], v[118:119], v[64:65] op_sel_hi:[1,0]
	v_mov_b32_e32 v61, v69
	v_pk_add_f32 v[58:59], v[66:67], v[58:59]
	s_wait_loadcnt 0x2
	v_pk_mul_f32 v[102:103], v[94:95], v[78:79] op_sel:[1,1] op_sel_hi:[0,1]
	v_mov_b32_e32 v66, v81
	v_pk_fma_f32 v[62:63], v[90:91], v[74:75], v[62:63] neg_lo:[0,0,1] neg_hi:[0,0,1]
	v_mov_b32_e32 v63, v71
	v_pk_fma_f32 v[68:69], v[92:93], v[76:77], v[64:65] op_sel_hi:[1,0,1]
	v_pk_add_f32 v[58:59], v[58:59], v[60:61]
	v_pk_fma_f32 v[60:61], v[94:95], v[78:79], v[102:103] op_sel_hi:[1,0,1]
	v_pk_mul_f32 v[66:67], v[120:121], v[66:67] op_sel_hi:[1,0]
	v_pk_fma_f32 v[64:65], v[92:93], v[76:77], v[64:65] neg_lo:[0,0,1] neg_hi:[0,0,1]
	v_mov_b32_e32 v65, v69
	v_pk_add_f32 v[58:59], v[58:59], v[62:63]
	v_pk_fma_f32 v[68:69], v[94:95], v[78:79], v[102:103] neg_lo:[0,0,1] neg_hi:[0,0,1]
	v_mov_b32_e32 v69, v61
	v_pk_fma_f32 v[60:61], v[96:97], v[80:81], v[66:67] op_sel_hi:[1,0,1]
	s_wait_loadcnt 0x1
	v_pk_mul_f32 v[62:63], v[98:99], v[82:83] op_sel:[1,1] op_sel_hi:[0,1]
	v_pk_add_f32 v[58:59], v[58:59], v[64:65]
	v_mov_b32_e32 v60, v85
	v_pk_fma_f32 v[66:67], v[96:97], v[80:81], v[66:67] neg_lo:[0,0,1] neg_hi:[0,0,1]
	v_mov_b32_e32 v67, v61
	v_pk_fma_f32 v[64:65], v[98:99], v[82:83], v[62:63] op_sel_hi:[1,0,1]
	v_pk_add_f32 v[58:59], v[58:59], v[68:69]
	v_pk_mul_f32 v[60:61], v[122:123], v[60:61] op_sel_hi:[1,0]
	v_pk_fma_f32 v[62:63], v[98:99], v[82:83], v[62:63] neg_lo:[0,0,1] neg_hi:[0,0,1]
	s_delay_alu instid0(VALU_DEP_4) | instskip(NEXT) | instid1(VALU_DEP_4)
	v_mov_b32_e32 v63, v65
	v_pk_add_f32 v[58:59], v[58:59], v[66:67]
	s_delay_alu instid0(VALU_DEP_4) | instskip(SKIP_1) | instid1(VALU_DEP_2)
	v_pk_fma_f32 v[64:65], v[100:101], v[84:85], v[60:61] op_sel_hi:[1,0,1]
	v_pk_fma_f32 v[60:61], v[100:101], v[84:85], v[60:61] neg_lo:[0,0,1] neg_hi:[0,0,1]
	v_mov_b32_e32 v61, v65
	s_delay_alu instid0(VALU_DEP_4) | instskip(NEXT) | instid1(VALU_DEP_1)
	v_pk_add_f32 v[58:59], v[58:59], v[62:63]
	v_pk_add_f32 v[58:59], v[58:59], v[60:61]
	s_wait_loadcnt 0x0
	s_delay_alu instid0(VALU_DEP_1)
	v_pk_add_f32 v[58:59], v[114:115], v[58:59] neg_lo:[0,1] neg_hi:[0,1]
	scratch_store_b64 off, v[58:59], off offset:104
	s_wait_xcnt 0x0
	v_cmpx_lt_u32_e32 12, v0
	s_cbranch_execz .LBB91_157
; %bb.156:
	scratch_load_b64 v[58:59], off, off offset:96
	v_mov_b64_e32 v[60:61], 0
	scratch_store_b64 off, v[60:61], off offset:96
	s_wait_loadcnt 0x0
	ds_store_b64 v1, v[58:59]
.LBB91_157:
	s_wait_xcnt 0x0
	s_or_b32 exec_lo, exec_lo, s0
	s_wait_storecnt_dscnt 0x0
	s_barrier_signal -1
	s_barrier_wait -1
	s_clause 0x8
	scratch_load_b128 v[58:61], off, off offset:104
	scratch_load_b128 v[62:65], off, off offset:120
	;; [unrolled: 1-line block ×7, first 2 shown]
	scratch_load_b64 v[114:115], off, off offset:216
	scratch_load_b64 v[116:117], off, off offset:96
	v_mov_b32_e32 v7, 0
	ds_load_2addr_b64 v[86:89], v7 offset0:47 offset1:48
	ds_load_2addr_b64 v[90:93], v7 offset0:49 offset1:50
	;; [unrolled: 1-line block ×7, first 2 shown]
	ds_load_b64 v[118:119], v7 offset:440
	s_mov_b32 s0, exec_lo
	s_wait_dscnt 0x7
	v_dual_mov_b32 v120, v89 :: v_dual_mov_b32 v121, v88
	s_wait_dscnt 0x4
	v_dual_mov_b32 v122, v93 :: v_dual_mov_b32 v127, v100
	v_dual_mov_b32 v123, v92 :: v_dual_mov_b32 v124, v97
	;; [unrolled: 1-line block ×3, first 2 shown]
	s_wait_loadcnt_dscnt 0x803
	v_dual_mul_f32 v9, v102, v59 :: v_dual_mul_f32 v19, v103, v59
	v_dual_mul_f32 v21, v105, v61 :: v_dual_mul_f32 v11, v104, v61
	s_wait_loadcnt_dscnt 0x702
	v_mul_f32_e32 v13, v106, v63
	s_wait_loadcnt 0x5
	v_dual_mul_f32 v31, v87, v71 :: v_dual_fma_f32 v19, v102, v58, -v19
	v_dual_fmac_f32 v9, v103, v58 :: v_dual_mov_b32 v58, v73
	v_dual_mul_f32 v23, v107, v63 :: v_dual_mul_f32 v25, v109, v65
	v_dual_fmac_f32 v11, v105, v60 :: v_dual_fma_f32 v21, v104, v60, -v21
	s_delay_alu instid0(VALU_DEP_3) | instskip(SKIP_3) | instid1(VALU_DEP_3)
	v_dual_add_f32 v9, 0, v9 :: v_dual_add_f32 v19, 0, v19
	s_wait_dscnt 0x1
	v_dual_mul_f32 v15, v108, v65 :: v_dual_mul_f32 v17, v110, v67
	v_dual_fmac_f32 v13, v107, v62 :: v_dual_fma_f32 v23, v106, v62, -v23
	v_dual_add_f32 v9, v9, v11 :: v_dual_add_f32 v11, v19, v21
	v_dual_mul_f32 v27, v111, v67 :: v_dual_mul_f32 v29, v113, v69
	s_wait_loadcnt 0x4
	v_dual_mov_b32 v62, v77 :: v_dual_fma_f32 v19, v108, v64, -v25
	s_delay_alu instid0(VALU_DEP_3) | instskip(SKIP_2) | instid1(VALU_DEP_2)
	v_dual_fmac_f32 v15, v109, v64 :: v_dual_add_f32 v11, v11, v23
	v_dual_add_f32 v9, v9, v13 :: v_dual_fmac_f32 v17, v111, v66
	v_dual_mul_f32 v129, v112, v69 :: v_dual_mul_f32 v131, v86, v71
	v_dual_fma_f32 v13, v110, v66, -v27 :: v_dual_add_f32 v9, v9, v15
	s_delay_alu instid0(VALU_DEP_2) | instskip(SKIP_1) | instid1(VALU_DEP_3)
	v_dual_add_f32 v11, v11, v19 :: v_dual_fmac_f32 v129, v113, v68
	v_pk_mul_f32 v[60:61], v[90:91], v[74:75] op_sel:[1,1] op_sel_hi:[0,1]
	v_dual_fma_f32 v128, v112, v68, -v29 :: v_dual_add_f32 v67, v9, v17
	v_pk_mul_f32 v[58:59], v[120:121], v[58:59] op_sel_hi:[1,0]
	s_wait_loadcnt 0x3
	v_dual_add_f32 v66, v11, v13 :: v_dual_mov_b32 v68, v81
	v_fmac_f32_e32 v131, v87, v70
	v_fma_f32 v130, v86, v70, -v31
	v_pk_fma_f32 v[70:71], v[88:89], v[72:73], v[58:59] op_sel_hi:[1,0,1]
	s_delay_alu instid0(VALU_DEP_4) | instskip(SKIP_4) | instid1(VALU_DEP_4)
	v_pk_add_f32 v[66:67], v[66:67], v[128:129]
	v_pk_fma_f32 v[86:87], v[90:91], v[74:75], v[60:61] op_sel_hi:[1,0,1]
	v_pk_fma_f32 v[58:59], v[88:89], v[72:73], v[58:59] neg_lo:[0,0,1] neg_hi:[0,0,1]
	v_pk_fma_f32 v[60:61], v[90:91], v[74:75], v[60:61] neg_lo:[0,0,1] neg_hi:[0,0,1]
	v_pk_mul_f32 v[62:63], v[122:123], v[62:63] op_sel_hi:[1,0]
	v_dual_mov_b32 v59, v71 :: v_dual_mov_b32 v61, v87
	v_pk_add_f32 v[66:67], v[66:67], v[130:131]
	v_pk_mul_f32 v[64:65], v[94:95], v[78:79] op_sel:[1,1] op_sel_hi:[0,1]
	s_delay_alu instid0(VALU_DEP_4)
	v_pk_fma_f32 v[72:73], v[92:93], v[76:77], v[62:63] op_sel_hi:[1,0,1]
	v_pk_fma_f32 v[62:63], v[92:93], v[76:77], v[62:63] neg_lo:[0,0,1] neg_hi:[0,0,1]
	v_pk_mul_f32 v[68:69], v[124:125], v[68:69] op_sel_hi:[1,0]
	v_pk_add_f32 v[58:59], v[66:67], v[58:59]
	v_pk_fma_f32 v[66:67], v[94:95], v[78:79], v[64:65] op_sel_hi:[1,0,1]
	v_mov_b32_e32 v63, v73
	v_pk_fma_f32 v[64:65], v[94:95], v[78:79], v[64:65] neg_lo:[0,0,1] neg_hi:[0,0,1]
	s_wait_loadcnt 0x2
	v_pk_mul_f32 v[70:71], v[98:99], v[82:83] op_sel:[1,1] op_sel_hi:[0,1]
	v_pk_add_f32 v[58:59], v[58:59], v[60:61]
	v_dual_mov_b32 v60, v85 :: v_dual_mov_b32 v65, v67
	v_pk_fma_f32 v[66:67], v[96:97], v[80:81], v[68:69] op_sel_hi:[1,0,1]
	v_pk_fma_f32 v[68:69], v[96:97], v[80:81], v[68:69] neg_lo:[0,0,1] neg_hi:[0,0,1]
	s_delay_alu instid0(VALU_DEP_4)
	v_pk_add_f32 v[58:59], v[58:59], v[62:63]
	v_pk_fma_f32 v[62:63], v[98:99], v[82:83], v[70:71] op_sel_hi:[1,0,1]
	v_pk_mul_f32 v[60:61], v[126:127], v[60:61] op_sel_hi:[1,0]
	v_mov_b32_e32 v69, v67
	s_wait_loadcnt_dscnt 0x100
	v_pk_mul_f32 v[66:67], v[118:119], v[114:115] op_sel:[1,1] op_sel_hi:[0,1]
	v_pk_add_f32 v[58:59], v[58:59], v[64:65]
	v_pk_fma_f32 v[64:65], v[98:99], v[82:83], v[70:71] neg_lo:[0,0,1] neg_hi:[0,0,1]
	v_mov_b32_e32 v65, v63
	v_pk_fma_f32 v[62:63], v[100:101], v[84:85], v[60:61] op_sel_hi:[1,0,1]
	v_pk_fma_f32 v[60:61], v[100:101], v[84:85], v[60:61] neg_lo:[0,0,1] neg_hi:[0,0,1]
	v_pk_add_f32 v[58:59], v[58:59], v[68:69]
	s_delay_alu instid0(VALU_DEP_3) | instskip(SKIP_1) | instid1(VALU_DEP_3)
	v_mov_b32_e32 v61, v63
	v_pk_fma_f32 v[62:63], v[118:119], v[114:115], v[66:67] op_sel_hi:[1,0,1]
	v_pk_add_f32 v[58:59], v[58:59], v[64:65]
	v_pk_fma_f32 v[64:65], v[118:119], v[114:115], v[66:67] neg_lo:[0,0,1] neg_hi:[0,0,1]
	s_delay_alu instid0(VALU_DEP_3) | instskip(NEXT) | instid1(VALU_DEP_3)
	v_mov_b32_e32 v65, v63
	v_pk_add_f32 v[58:59], v[58:59], v[60:61]
	s_delay_alu instid0(VALU_DEP_1) | instskip(SKIP_1) | instid1(VALU_DEP_1)
	v_pk_add_f32 v[58:59], v[58:59], v[64:65]
	s_wait_loadcnt 0x0
	v_pk_add_f32 v[58:59], v[116:117], v[58:59] neg_lo:[0,1] neg_hi:[0,1]
	scratch_store_b64 off, v[58:59], off offset:96
	s_wait_xcnt 0x0
	v_cmpx_lt_u32_e32 11, v0
	s_cbranch_execz .LBB91_159
; %bb.158:
	scratch_load_b64 v[58:59], off, off offset:88
	v_mov_b64_e32 v[60:61], 0
	scratch_store_b64 off, v[60:61], off offset:88
	s_wait_loadcnt 0x0
	ds_store_b64 v1, v[58:59]
.LBB91_159:
	s_wait_xcnt 0x0
	s_or_b32 exec_lo, exec_lo, s0
	s_wait_storecnt_dscnt 0x0
	s_barrier_signal -1
	s_barrier_wait -1
	s_clause 0x8
	scratch_load_b128 v[58:61], off, off offset:96
	scratch_load_b128 v[62:65], off, off offset:112
	;; [unrolled: 1-line block ×8, first 2 shown]
	scratch_load_b64 v[122:123], off, off offset:88
	ds_load_b128 v[90:93], v7 offset:384
	ds_load_b128 v[94:97], v7 offset:400
	;; [unrolled: 1-line block ×8, first 2 shown]
	s_mov_b32 s0, exec_lo
	s_wait_dscnt 0x7
	v_dual_mov_b32 v124, v93 :: v_dual_mov_b32 v125, v92
	s_wait_dscnt 0x6
	v_dual_mov_b32 v126, v97 :: v_dual_mov_b32 v127, v96
	;; [unrolled: 2-line block ×4, first 2 shown]
	s_wait_loadcnt_dscnt 0x803
	v_dual_mul_f32 v7, v106, v59 :: v_dual_mul_f32 v9, v108, v61
	v_dual_mul_f32 v19, v107, v59 :: v_dual_mul_f32 v21, v109, v61
	s_wait_loadcnt_dscnt 0x702
	v_dual_mul_f32 v11, v110, v63 :: v_dual_mul_f32 v13, v112, v65
	s_delay_alu instid0(VALU_DEP_3) | instskip(SKIP_3) | instid1(VALU_DEP_3)
	v_dual_fmac_f32 v7, v107, v58 :: v_dual_fmac_f32 v9, v109, v60
	s_wait_loadcnt_dscnt 0x500
	v_dual_fma_f32 v19, v106, v58, -v19 :: v_dual_mul_f32 v31, v119, v71
	v_dual_mul_f32 v23, v111, v63 :: v_dual_mul_f32 v25, v113, v65
	v_dual_fma_f32 v21, v108, v60, -v21 :: v_dual_add_f32 v7, 0, v7
	s_delay_alu instid0(VALU_DEP_3) | instskip(SKIP_1) | instid1(VALU_DEP_3)
	v_dual_add_f32 v19, 0, v19 :: v_dual_mul_f32 v33, v121, v73
	v_dual_fmac_f32 v11, v111, v62 :: v_dual_fmac_f32 v13, v113, v64
	v_dual_fma_f32 v23, v110, v62, -v23 :: v_dual_add_f32 v7, v7, v9
	s_delay_alu instid0(VALU_DEP_3) | instskip(SKIP_4) | instid1(VALU_DEP_3)
	v_dual_add_f32 v9, v19, v21 :: v_dual_fma_f32 v19, v112, v64, -v25
	v_dual_mul_f32 v15, v114, v67 :: v_dual_mul_f32 v17, v116, v69
	v_dual_mul_f32 v27, v115, v67 :: v_dual_mul_f32 v29, v117, v69
	s_wait_loadcnt 0x4
	v_dual_add_f32 v7, v7, v11 :: v_dual_mov_b32 v60, v77
	v_dual_add_f32 v9, v9, v23 :: v_dual_fmac_f32 v15, v115, v66
	s_delay_alu instid0(VALU_DEP_2) | instskip(SKIP_1) | instid1(VALU_DEP_3)
	v_dual_fma_f32 v11, v114, v66, -v27 :: v_dual_add_f32 v7, v7, v13
	v_dual_mul_f32 v133, v118, v71 :: v_dual_mul_f32 v135, v120, v73
	v_dual_add_f32 v9, v9, v19 :: v_dual_fma_f32 v13, v116, v68, -v29
	s_delay_alu instid0(VALU_DEP_3) | instskip(SKIP_1) | instid1(VALU_DEP_3)
	v_dual_fmac_f32 v17, v117, v68 :: v_dual_add_f32 v7, v7, v15
	v_pk_mul_f32 v[58:59], v[90:91], v[74:75] op_sel:[1,1] op_sel_hi:[0,1]
	v_dual_add_f32 v9, v9, v11 :: v_dual_fmac_f32 v133, v119, v70
	s_wait_loadcnt 0x3
	v_dual_mov_b32 v64, v81 :: v_dual_fma_f32 v132, v118, v70, -v31
	v_dual_add_f32 v67, v7, v17 :: v_dual_fmac_f32 v135, v121, v72
	s_delay_alu instid0(VALU_DEP_3) | instskip(SKIP_3) | instid1(VALU_DEP_4)
	v_dual_add_f32 v66, v9, v13 :: v_dual_fma_f32 v134, v120, v72, -v33
	v_pk_fma_f32 v[68:69], v[90:91], v[74:75], v[58:59] op_sel_hi:[1,0,1]
	v_pk_mul_f32 v[60:61], v[124:125], v[60:61] op_sel_hi:[1,0]
	v_pk_fma_f32 v[58:59], v[90:91], v[74:75], v[58:59] neg_lo:[0,0,1] neg_hi:[0,0,1]
	v_pk_add_f32 v[66:67], v[66:67], v[132:133]
	v_pk_mul_f32 v[62:63], v[94:95], v[78:79] op_sel:[1,1] op_sel_hi:[0,1]
	v_mov_b32_e32 v59, v69
	v_pk_fma_f32 v[68:69], v[92:93], v[76:77], v[60:61] op_sel_hi:[1,0,1]
	v_pk_fma_f32 v[60:61], v[92:93], v[76:77], v[60:61] neg_lo:[0,0,1] neg_hi:[0,0,1]
	v_pk_add_f32 v[66:67], v[66:67], v[134:135]
	v_pk_fma_f32 v[72:73], v[94:95], v[78:79], v[62:63] op_sel_hi:[1,0,1]
	v_pk_mul_f32 v[64:65], v[126:127], v[64:65] op_sel_hi:[1,0]
	v_mov_b32_e32 v61, v69
	s_wait_loadcnt 0x2
	v_pk_mul_f32 v[70:71], v[98:99], v[82:83] op_sel:[1,1] op_sel_hi:[0,1]
	v_pk_add_f32 v[58:59], v[66:67], v[58:59]
	v_mov_b32_e32 v66, v85
	v_pk_fma_f32 v[62:63], v[94:95], v[78:79], v[62:63] neg_lo:[0,0,1] neg_hi:[0,0,1]
	v_mov_b32_e32 v63, v73
	v_pk_fma_f32 v[68:69], v[96:97], v[80:81], v[64:65] op_sel_hi:[1,0,1]
	v_pk_add_f32 v[58:59], v[58:59], v[60:61]
	v_pk_fma_f32 v[60:61], v[98:99], v[82:83], v[70:71] op_sel_hi:[1,0,1]
	v_pk_mul_f32 v[66:67], v[128:129], v[66:67] op_sel_hi:[1,0]
	v_pk_fma_f32 v[64:65], v[96:97], v[80:81], v[64:65] neg_lo:[0,0,1] neg_hi:[0,0,1]
	v_mov_b32_e32 v65, v69
	v_pk_add_f32 v[58:59], v[58:59], v[62:63]
	v_pk_fma_f32 v[68:69], v[98:99], v[82:83], v[70:71] neg_lo:[0,0,1] neg_hi:[0,0,1]
	v_mov_b32_e32 v69, v61
	v_pk_fma_f32 v[60:61], v[100:101], v[84:85], v[66:67] op_sel_hi:[1,0,1]
	s_wait_loadcnt 0x1
	v_pk_mul_f32 v[62:63], v[102:103], v[86:87] op_sel:[1,1] op_sel_hi:[0,1]
	v_pk_add_f32 v[58:59], v[58:59], v[64:65]
	v_mov_b32_e32 v60, v89
	v_pk_fma_f32 v[66:67], v[100:101], v[84:85], v[66:67] neg_lo:[0,0,1] neg_hi:[0,0,1]
	v_mov_b32_e32 v67, v61
	v_pk_fma_f32 v[64:65], v[102:103], v[86:87], v[62:63] op_sel_hi:[1,0,1]
	v_pk_add_f32 v[58:59], v[58:59], v[68:69]
	v_pk_mul_f32 v[60:61], v[130:131], v[60:61] op_sel_hi:[1,0]
	v_pk_fma_f32 v[62:63], v[102:103], v[86:87], v[62:63] neg_lo:[0,0,1] neg_hi:[0,0,1]
	s_delay_alu instid0(VALU_DEP_4) | instskip(NEXT) | instid1(VALU_DEP_4)
	v_mov_b32_e32 v63, v65
	v_pk_add_f32 v[58:59], v[58:59], v[66:67]
	s_delay_alu instid0(VALU_DEP_4) | instskip(SKIP_1) | instid1(VALU_DEP_2)
	v_pk_fma_f32 v[64:65], v[104:105], v[88:89], v[60:61] op_sel_hi:[1,0,1]
	v_pk_fma_f32 v[60:61], v[104:105], v[88:89], v[60:61] neg_lo:[0,0,1] neg_hi:[0,0,1]
	v_mov_b32_e32 v61, v65
	s_delay_alu instid0(VALU_DEP_4) | instskip(NEXT) | instid1(VALU_DEP_1)
	v_pk_add_f32 v[58:59], v[58:59], v[62:63]
	v_pk_add_f32 v[58:59], v[58:59], v[60:61]
	s_wait_loadcnt 0x0
	s_delay_alu instid0(VALU_DEP_1)
	v_pk_add_f32 v[58:59], v[122:123], v[58:59] neg_lo:[0,1] neg_hi:[0,1]
	scratch_store_b64 off, v[58:59], off offset:88
	s_wait_xcnt 0x0
	v_cmpx_lt_u32_e32 10, v0
	s_cbranch_execz .LBB91_161
; %bb.160:
	scratch_load_b64 v[58:59], off, off offset:80
	v_mov_b64_e32 v[60:61], 0
	scratch_store_b64 off, v[60:61], off offset:80
	s_wait_loadcnt 0x0
	ds_store_b64 v1, v[58:59]
.LBB91_161:
	s_wait_xcnt 0x0
	s_or_b32 exec_lo, exec_lo, s0
	s_wait_storecnt_dscnt 0x0
	s_barrier_signal -1
	s_barrier_wait -1
	s_clause 0x9
	scratch_load_b128 v[58:61], off, off offset:88
	scratch_load_b128 v[62:65], off, off offset:104
	;; [unrolled: 1-line block ×8, first 2 shown]
	scratch_load_b64 v[122:123], off, off offset:216
	scratch_load_b64 v[124:125], off, off offset:80
	v_mov_b32_e32 v7, 0
	ds_load_2addr_b64 v[90:93], v7 offset0:47 offset1:48
	ds_load_2addr_b64 v[94:97], v7 offset0:49 offset1:50
	;; [unrolled: 1-line block ×8, first 2 shown]
	ds_load_b64 v[126:127], v7 offset:440
	s_mov_b32 s0, exec_lo
	s_wait_dscnt 0x8
	v_dual_mov_b32 v128, v93 :: v_dual_mov_b32 v129, v92
	s_wait_dscnt 0x5
	v_dual_mov_b32 v130, v97 :: v_dual_mov_b32 v135, v104
	v_dual_mov_b32 v131, v96 :: v_dual_mov_b32 v132, v101
	;; [unrolled: 1-line block ×3, first 2 shown]
	s_wait_loadcnt_dscnt 0x904
	v_dual_mul_f32 v9, v106, v59 :: v_dual_mul_f32 v23, v107, v59
	v_dual_mul_f32 v25, v109, v61 :: v_dual_mul_f32 v11, v108, v61
	s_wait_loadcnt_dscnt 0x803
	v_mul_f32_e32 v13, v110, v63
	s_wait_loadcnt_dscnt 0x601
	v_dual_mul_f32 v35, v119, v71 :: v_dual_fma_f32 v23, v106, v58, -v23
	v_dual_fmac_f32 v9, v107, v58 :: v_dual_mul_f32 v37, v121, v73
	v_dual_mul_f32 v27, v111, v63 :: v_dual_mul_f32 v29, v113, v65
	v_dual_fmac_f32 v11, v109, v60 :: v_dual_fma_f32 v25, v108, v60, -v25
	s_delay_alu instid0(VALU_DEP_3) | instskip(SKIP_3) | instid1(VALU_DEP_3)
	v_dual_add_f32 v9, 0, v9 :: v_dual_add_f32 v23, 0, v23
	v_dual_mul_f32 v15, v112, v65 :: v_dual_mul_f32 v17, v114, v67
	s_wait_loadcnt 0x5
	v_dual_mul_f32 v39, v91, v75 :: v_dual_fma_f32 v27, v110, v62, -v27
	v_dual_fmac_f32 v13, v111, v62 :: v_dual_add_f32 v9, v9, v11
	v_dual_add_f32 v11, v23, v25 :: v_dual_mov_b32 v58, v77
	v_dual_mul_f32 v31, v115, v67 :: v_dual_mul_f32 v33, v117, v69
	v_dual_fmac_f32 v15, v113, v64 :: v_dual_fma_f32 v23, v112, v64, -v29
	s_delay_alu instid0(VALU_DEP_3) | instskip(SKIP_1) | instid1(VALU_DEP_4)
	v_dual_add_f32 v9, v9, v13 :: v_dual_add_f32 v11, v11, v27
	v_dual_mul_f32 v19, v116, v69 :: v_dual_mul_f32 v21, v118, v71
	v_dual_fmac_f32 v17, v115, v66 :: v_dual_fma_f32 v13, v114, v66, -v31
	s_delay_alu instid0(VALU_DEP_3) | instskip(SKIP_3) | instid1(VALU_DEP_3)
	v_dual_add_f32 v9, v9, v15 :: v_dual_fma_f32 v15, v116, v68, -v33
	s_wait_loadcnt 0x4
	v_dual_add_f32 v11, v11, v23 :: v_dual_mov_b32 v62, v81
	v_fmac_f32_e32 v19, v117, v68
	v_dual_add_f32 v9, v9, v17 :: v_dual_fmac_f32 v21, v119, v70
	s_delay_alu instid0(VALU_DEP_3) | instskip(SKIP_1) | instid1(VALU_DEP_3)
	v_add_f32_e32 v11, v11, v13
	v_dual_mul_f32 v137, v120, v73 :: v_dual_mul_f32 v139, v90, v75
	v_dual_fma_f32 v13, v118, v70, -v35 :: v_dual_add_f32 v9, v9, v19
	s_delay_alu instid0(VALU_DEP_2) | instskip(SKIP_1) | instid1(VALU_DEP_3)
	v_dual_add_f32 v11, v11, v15 :: v_dual_fmac_f32 v137, v121, v72
	v_pk_mul_f32 v[60:61], v[94:95], v[78:79] op_sel:[1,1] op_sel_hi:[0,1]
	v_dual_fma_f32 v136, v120, v72, -v37 :: v_dual_add_f32 v67, v9, v21
	v_pk_mul_f32 v[58:59], v[128:129], v[58:59] op_sel_hi:[1,0]
	s_wait_loadcnt 0x3
	v_dual_add_f32 v66, v11, v13 :: v_dual_mov_b32 v68, v85
	v_pk_fma_f32 v[72:73], v[94:95], v[78:79], v[60:61] op_sel_hi:[1,0,1]
	v_fmac_f32_e32 v139, v91, v74
	v_pk_fma_f32 v[70:71], v[92:93], v[76:77], v[58:59] op_sel_hi:[1,0,1]
	v_fma_f32 v138, v90, v74, -v39
	v_pk_add_f32 v[66:67], v[66:67], v[136:137]
	v_pk_fma_f32 v[58:59], v[92:93], v[76:77], v[58:59] neg_lo:[0,0,1] neg_hi:[0,0,1]
	v_pk_fma_f32 v[60:61], v[94:95], v[78:79], v[60:61] neg_lo:[0,0,1] neg_hi:[0,0,1]
	v_pk_mul_f32 v[62:63], v[130:131], v[62:63] op_sel_hi:[1,0]
	v_dual_mov_b32 v59, v71 :: v_dual_mov_b32 v61, v73
	v_pk_add_f32 v[66:67], v[66:67], v[138:139]
	v_pk_mul_f32 v[64:65], v[98:99], v[82:83] op_sel:[1,1] op_sel_hi:[0,1]
	s_delay_alu instid0(VALU_DEP_4)
	v_pk_fma_f32 v[72:73], v[96:97], v[80:81], v[62:63] op_sel_hi:[1,0,1]
	v_pk_fma_f32 v[62:63], v[96:97], v[80:81], v[62:63] neg_lo:[0,0,1] neg_hi:[0,0,1]
	v_pk_mul_f32 v[68:69], v[132:133], v[68:69] op_sel_hi:[1,0]
	v_pk_add_f32 v[58:59], v[66:67], v[58:59]
	v_pk_fma_f32 v[66:67], v[98:99], v[82:83], v[64:65] op_sel_hi:[1,0,1]
	v_mov_b32_e32 v63, v73
	v_pk_fma_f32 v[64:65], v[98:99], v[82:83], v[64:65] neg_lo:[0,0,1] neg_hi:[0,0,1]
	s_wait_loadcnt 0x2
	v_pk_mul_f32 v[70:71], v[102:103], v[86:87] op_sel:[1,1] op_sel_hi:[0,1]
	v_pk_add_f32 v[58:59], v[58:59], v[60:61]
	v_dual_mov_b32 v60, v89 :: v_dual_mov_b32 v65, v67
	v_pk_fma_f32 v[66:67], v[100:101], v[84:85], v[68:69] op_sel_hi:[1,0,1]
	v_pk_fma_f32 v[68:69], v[100:101], v[84:85], v[68:69] neg_lo:[0,0,1] neg_hi:[0,0,1]
	s_delay_alu instid0(VALU_DEP_4)
	v_pk_add_f32 v[58:59], v[58:59], v[62:63]
	v_pk_fma_f32 v[62:63], v[102:103], v[86:87], v[70:71] op_sel_hi:[1,0,1]
	v_pk_mul_f32 v[60:61], v[134:135], v[60:61] op_sel_hi:[1,0]
	v_mov_b32_e32 v69, v67
	s_wait_loadcnt_dscnt 0x100
	v_pk_mul_f32 v[66:67], v[126:127], v[122:123] op_sel:[1,1] op_sel_hi:[0,1]
	v_pk_add_f32 v[58:59], v[58:59], v[64:65]
	v_pk_fma_f32 v[64:65], v[102:103], v[86:87], v[70:71] neg_lo:[0,0,1] neg_hi:[0,0,1]
	v_mov_b32_e32 v65, v63
	v_pk_fma_f32 v[62:63], v[104:105], v[88:89], v[60:61] op_sel_hi:[1,0,1]
	v_pk_fma_f32 v[60:61], v[104:105], v[88:89], v[60:61] neg_lo:[0,0,1] neg_hi:[0,0,1]
	v_pk_add_f32 v[58:59], v[58:59], v[68:69]
	s_delay_alu instid0(VALU_DEP_3) | instskip(SKIP_1) | instid1(VALU_DEP_3)
	v_mov_b32_e32 v61, v63
	v_pk_fma_f32 v[62:63], v[126:127], v[122:123], v[66:67] op_sel_hi:[1,0,1]
	v_pk_add_f32 v[58:59], v[58:59], v[64:65]
	v_pk_fma_f32 v[64:65], v[126:127], v[122:123], v[66:67] neg_lo:[0,0,1] neg_hi:[0,0,1]
	s_delay_alu instid0(VALU_DEP_3) | instskip(NEXT) | instid1(VALU_DEP_3)
	v_mov_b32_e32 v65, v63
	v_pk_add_f32 v[58:59], v[58:59], v[60:61]
	s_delay_alu instid0(VALU_DEP_1) | instskip(SKIP_1) | instid1(VALU_DEP_1)
	v_pk_add_f32 v[58:59], v[58:59], v[64:65]
	s_wait_loadcnt 0x0
	v_pk_add_f32 v[58:59], v[124:125], v[58:59] neg_lo:[0,1] neg_hi:[0,1]
	scratch_store_b64 off, v[58:59], off offset:80
	s_wait_xcnt 0x0
	v_cmpx_lt_u32_e32 9, v0
	s_cbranch_execz .LBB91_163
; %bb.162:
	scratch_load_b64 v[58:59], off, off offset:72
	v_mov_b64_e32 v[60:61], 0
	scratch_store_b64 off, v[60:61], off offset:72
	s_wait_loadcnt 0x0
	ds_store_b64 v1, v[58:59]
.LBB91_163:
	s_wait_xcnt 0x0
	s_or_b32 exec_lo, exec_lo, s0
	s_wait_storecnt_dscnt 0x0
	s_barrier_signal -1
	s_barrier_wait -1
	s_clause 0x9
	scratch_load_b128 v[58:61], off, off offset:80
	scratch_load_b128 v[62:65], off, off offset:96
	;; [unrolled: 1-line block ×9, first 2 shown]
	scratch_load_b64 v[130:131], off, off offset:72
	ds_load_b128 v[94:97], v7 offset:384
	ds_load_b128 v[98:101], v7 offset:400
	;; [unrolled: 1-line block ×9, first 2 shown]
	s_mov_b32 s0, exec_lo
	s_wait_dscnt 0x8
	v_dual_mov_b32 v132, v97 :: v_dual_mov_b32 v133, v96
	s_wait_dscnt 0x7
	v_dual_mov_b32 v134, v101 :: v_dual_mov_b32 v135, v100
	s_wait_dscnt 0x6
	v_dual_mov_b32 v136, v105 :: v_dual_mov_b32 v137, v104
	s_wait_dscnt 0x5
	v_dual_mov_b32 v138, v109 :: v_dual_mov_b32 v139, v108
	s_wait_loadcnt_dscnt 0x904
	v_dual_mul_f32 v7, v110, v59 :: v_dual_mul_f32 v9, v112, v61
	v_dual_mul_f32 v23, v111, v59 :: v_dual_mul_f32 v25, v113, v61
	s_wait_loadcnt_dscnt 0x803
	v_dual_mul_f32 v11, v114, v63 :: v_dual_mul_f32 v13, v116, v65
	s_delay_alu instid0(VALU_DEP_3) | instskip(SKIP_3) | instid1(VALU_DEP_3)
	v_dual_fmac_f32 v7, v111, v58 :: v_dual_fmac_f32 v9, v113, v60
	s_wait_loadcnt_dscnt 0x601
	v_dual_fma_f32 v23, v110, v58, -v23 :: v_dual_mul_f32 v35, v123, v71
	v_dual_mul_f32 v27, v115, v63 :: v_dual_mul_f32 v29, v117, v65
	v_dual_fma_f32 v25, v112, v60, -v25 :: v_dual_add_f32 v7, 0, v7
	s_delay_alu instid0(VALU_DEP_3) | instskip(SKIP_1) | instid1(VALU_DEP_3)
	v_dual_add_f32 v23, 0, v23 :: v_dual_mul_f32 v37, v125, v73
	v_dual_fmac_f32 v11, v115, v62 :: v_dual_fmac_f32 v13, v117, v64
	v_dual_fma_f32 v27, v114, v62, -v27 :: v_dual_add_f32 v7, v7, v9
	s_delay_alu instid0(VALU_DEP_3) | instskip(SKIP_2) | instid1(VALU_DEP_4)
	v_dual_add_f32 v9, v23, v25 :: v_dual_fma_f32 v25, v116, v64, -v29
	v_dual_mul_f32 v15, v118, v67 :: v_dual_mul_f32 v17, v120, v69
	v_dual_mul_f32 v31, v119, v67 :: v_dual_mul_f32 v33, v121, v69
	v_add_f32_e32 v7, v7, v11
	s_delay_alu instid0(VALU_DEP_3) | instskip(NEXT) | instid1(VALU_DEP_3)
	v_dual_add_f32 v9, v9, v27 :: v_dual_fmac_f32 v15, v119, v66
	v_fma_f32 v27, v118, v66, -v31
	v_dual_mul_f32 v19, v122, v71 :: v_dual_mul_f32 v21, v124, v73
	s_delay_alu instid0(VALU_DEP_4) | instskip(NEXT) | instid1(VALU_DEP_4)
	v_dual_add_f32 v7, v7, v13 :: v_dual_fmac_f32 v17, v121, v68
	v_dual_add_f32 v9, v9, v25 :: v_dual_fma_f32 v13, v120, v68, -v33
	s_wait_loadcnt 0x4
	s_delay_alu instid0(VALU_DEP_2) | instskip(NEXT) | instid1(VALU_DEP_2)
	v_dual_mov_b32 v60, v81 :: v_dual_add_f32 v7, v7, v15
	v_dual_fmac_f32 v19, v123, v70 :: v_dual_add_f32 v9, v9, v27
	v_fma_f32 v15, v122, v70, -v35
	s_wait_dscnt 0x0
	v_dual_mul_f32 v141, v126, v75 :: v_dual_mul_f32 v143, v128, v77
	v_add_f32_e32 v7, v7, v17
	v_dual_add_f32 v9, v9, v13 :: v_dual_fma_f32 v13, v124, v72, -v37
	v_dual_mul_f32 v23, v127, v75 :: v_dual_mul_f32 v11, v129, v77
	s_delay_alu instid0(VALU_DEP_3) | instskip(NEXT) | instid1(VALU_DEP_3)
	v_dual_fmac_f32 v21, v125, v72 :: v_dual_add_f32 v7, v7, v19
	v_dual_add_f32 v9, v9, v15 :: v_dual_fmac_f32 v141, v127, v74
	v_pk_mul_f32 v[58:59], v[94:95], v[78:79] op_sel:[1,1] op_sel_hi:[0,1]
	s_wait_loadcnt 0x3
	v_dual_mov_b32 v64, v85 :: v_dual_fma_f32 v140, v126, v74, -v23
	v_dual_add_f32 v67, v7, v21 :: v_dual_fmac_f32 v143, v129, v76
	v_dual_add_f32 v66, v9, v13 :: v_dual_fma_f32 v142, v128, v76, -v11
	v_pk_fma_f32 v[68:69], v[94:95], v[78:79], v[58:59] op_sel_hi:[1,0,1]
	v_pk_mul_f32 v[60:61], v[132:133], v[60:61] op_sel_hi:[1,0]
	v_pk_fma_f32 v[58:59], v[94:95], v[78:79], v[58:59] neg_lo:[0,0,1] neg_hi:[0,0,1]
	s_delay_alu instid0(VALU_DEP_4)
	v_pk_add_f32 v[66:67], v[66:67], v[140:141]
	v_pk_mul_f32 v[62:63], v[98:99], v[82:83] op_sel:[1,1] op_sel_hi:[0,1]
	v_mov_b32_e32 v59, v69
	v_pk_fma_f32 v[68:69], v[96:97], v[80:81], v[60:61] op_sel_hi:[1,0,1]
	v_pk_fma_f32 v[60:61], v[96:97], v[80:81], v[60:61] neg_lo:[0,0,1] neg_hi:[0,0,1]
	v_pk_add_f32 v[66:67], v[66:67], v[142:143]
	v_pk_fma_f32 v[72:73], v[98:99], v[82:83], v[62:63] op_sel_hi:[1,0,1]
	v_pk_mul_f32 v[64:65], v[134:135], v[64:65] op_sel_hi:[1,0]
	v_mov_b32_e32 v61, v69
	s_wait_loadcnt 0x2
	v_pk_mul_f32 v[70:71], v[102:103], v[86:87] op_sel:[1,1] op_sel_hi:[0,1]
	v_pk_add_f32 v[58:59], v[66:67], v[58:59]
	v_mov_b32_e32 v66, v89
	v_pk_fma_f32 v[62:63], v[98:99], v[82:83], v[62:63] neg_lo:[0,0,1] neg_hi:[0,0,1]
	v_mov_b32_e32 v63, v73
	v_pk_fma_f32 v[68:69], v[100:101], v[84:85], v[64:65] op_sel_hi:[1,0,1]
	v_pk_add_f32 v[58:59], v[58:59], v[60:61]
	v_pk_fma_f32 v[60:61], v[102:103], v[86:87], v[70:71] op_sel_hi:[1,0,1]
	v_pk_mul_f32 v[66:67], v[136:137], v[66:67] op_sel_hi:[1,0]
	v_pk_fma_f32 v[64:65], v[100:101], v[84:85], v[64:65] neg_lo:[0,0,1] neg_hi:[0,0,1]
	v_mov_b32_e32 v65, v69
	v_pk_add_f32 v[58:59], v[58:59], v[62:63]
	v_pk_fma_f32 v[68:69], v[102:103], v[86:87], v[70:71] neg_lo:[0,0,1] neg_hi:[0,0,1]
	v_mov_b32_e32 v69, v61
	v_pk_fma_f32 v[60:61], v[104:105], v[88:89], v[66:67] op_sel_hi:[1,0,1]
	s_wait_loadcnt 0x1
	v_pk_mul_f32 v[62:63], v[106:107], v[90:91] op_sel:[1,1] op_sel_hi:[0,1]
	v_pk_add_f32 v[58:59], v[58:59], v[64:65]
	v_mov_b32_e32 v60, v93
	v_pk_fma_f32 v[66:67], v[104:105], v[88:89], v[66:67] neg_lo:[0,0,1] neg_hi:[0,0,1]
	v_mov_b32_e32 v67, v61
	v_pk_fma_f32 v[64:65], v[106:107], v[90:91], v[62:63] op_sel_hi:[1,0,1]
	v_pk_add_f32 v[58:59], v[58:59], v[68:69]
	v_pk_mul_f32 v[60:61], v[138:139], v[60:61] op_sel_hi:[1,0]
	v_pk_fma_f32 v[62:63], v[106:107], v[90:91], v[62:63] neg_lo:[0,0,1] neg_hi:[0,0,1]
	s_delay_alu instid0(VALU_DEP_4) | instskip(NEXT) | instid1(VALU_DEP_4)
	v_mov_b32_e32 v63, v65
	v_pk_add_f32 v[58:59], v[58:59], v[66:67]
	s_delay_alu instid0(VALU_DEP_4) | instskip(SKIP_1) | instid1(VALU_DEP_2)
	v_pk_fma_f32 v[64:65], v[108:109], v[92:93], v[60:61] op_sel_hi:[1,0,1]
	v_pk_fma_f32 v[60:61], v[108:109], v[92:93], v[60:61] neg_lo:[0,0,1] neg_hi:[0,0,1]
	v_mov_b32_e32 v61, v65
	s_delay_alu instid0(VALU_DEP_4) | instskip(NEXT) | instid1(VALU_DEP_1)
	v_pk_add_f32 v[58:59], v[58:59], v[62:63]
	v_pk_add_f32 v[58:59], v[58:59], v[60:61]
	s_wait_loadcnt 0x0
	s_delay_alu instid0(VALU_DEP_1)
	v_pk_add_f32 v[58:59], v[130:131], v[58:59] neg_lo:[0,1] neg_hi:[0,1]
	scratch_store_b64 off, v[58:59], off offset:72
	s_wait_xcnt 0x0
	v_cmpx_lt_u32_e32 8, v0
	s_cbranch_execz .LBB91_165
; %bb.164:
	scratch_load_b64 v[58:59], off, off offset:64
	v_mov_b64_e32 v[60:61], 0
	scratch_store_b64 off, v[60:61], off offset:64
	s_wait_loadcnt 0x0
	ds_store_b64 v1, v[58:59]
.LBB91_165:
	s_wait_xcnt 0x0
	s_or_b32 exec_lo, exec_lo, s0
	s_wait_storecnt_dscnt 0x0
	s_barrier_signal -1
	s_barrier_wait -1
	s_clause 0xa
	scratch_load_b128 v[58:61], off, off offset:72
	scratch_load_b128 v[62:65], off, off offset:88
	;; [unrolled: 1-line block ×9, first 2 shown]
	scratch_load_b64 v[130:131], off, off offset:216
	scratch_load_b64 v[132:133], off, off offset:64
	v_mov_b32_e32 v7, 0
	ds_load_2addr_b64 v[94:97], v7 offset0:47 offset1:48
	ds_load_2addr_b64 v[98:101], v7 offset0:49 offset1:50
	;; [unrolled: 1-line block ×9, first 2 shown]
	ds_load_b64 v[134:135], v7 offset:440
	s_mov_b32 s0, exec_lo
	s_wait_dscnt 0x9
	v_dual_mov_b32 v136, v97 :: v_dual_mov_b32 v137, v96
	s_wait_dscnt 0x6
	v_dual_mov_b32 v138, v101 :: v_dual_mov_b32 v143, v108
	v_dual_mov_b32 v139, v100 :: v_dual_mov_b32 v140, v105
	;; [unrolled: 1-line block ×3, first 2 shown]
	s_wait_loadcnt_dscnt 0xa05
	v_dual_mul_f32 v9, v110, v59 :: v_dual_mul_f32 v27, v111, v59
	v_dual_mul_f32 v29, v113, v61 :: v_dual_mul_f32 v11, v112, v61
	s_wait_loadcnt_dscnt 0x904
	v_mul_f32_e32 v13, v114, v63
	s_wait_loadcnt_dscnt 0x702
	v_dual_mul_f32 v39, v123, v71 :: v_dual_fma_f32 v27, v110, v58, -v27
	v_dual_fmac_f32 v9, v111, v58 :: v_dual_mul_f32 v41, v125, v73
	v_dual_mul_f32 v31, v115, v63 :: v_dual_mul_f32 v33, v117, v65
	v_dual_fmac_f32 v11, v113, v60 :: v_dual_fma_f32 v29, v112, v60, -v29
	s_delay_alu instid0(VALU_DEP_3) | instskip(SKIP_3) | instid1(VALU_DEP_3)
	v_dual_add_f32 v9, 0, v9 :: v_dual_add_f32 v27, 0, v27
	v_dual_mul_f32 v15, v116, v65 :: v_dual_mul_f32 v17, v118, v67
	s_wait_loadcnt_dscnt 0x601
	v_dual_mul_f32 v43, v127, v75 :: v_dual_fma_f32 v31, v114, v62, -v31
	v_dual_fmac_f32 v13, v115, v62 :: v_dual_add_f32 v9, v9, v11
	s_delay_alu instid0(VALU_DEP_3) | instskip(SKIP_2) | instid1(VALU_DEP_3)
	v_dual_add_f32 v11, v27, v29 :: v_dual_fmac_f32 v15, v117, v64
	v_dual_mul_f32 v35, v119, v67 :: v_dual_mul_f32 v37, v121, v69
	v_dual_mul_f32 v27, v129, v77 :: v_dual_fma_f32 v29, v116, v64, -v33
	v_dual_add_f32 v9, v9, v13 :: v_dual_add_f32 v11, v11, v31
	v_dual_mul_f32 v19, v120, v69 :: v_dual_mul_f32 v21, v122, v71
	s_wait_loadcnt 0x5
	v_dual_mul_f32 v13, v95, v79 :: v_dual_fma_f32 v31, v118, v66, -v35
	s_delay_alu instid0(VALU_DEP_3) | instskip(SKIP_2) | instid1(VALU_DEP_2)
	v_dual_fmac_f32 v17, v119, v66 :: v_dual_add_f32 v9, v9, v15
	v_dual_add_f32 v11, v11, v29 :: v_dual_mov_b32 v58, v81
	v_dual_fmac_f32 v19, v121, v68 :: v_dual_fma_f32 v15, v120, v68, -v37
	v_dual_add_f32 v9, v9, v17 :: v_dual_add_f32 v11, v11, v31
	v_dual_mul_f32 v23, v124, v73 :: v_dual_mul_f32 v25, v126, v75
	v_dual_fmac_f32 v21, v123, v70 :: v_dual_fma_f32 v17, v122, v70, -v39
	s_delay_alu instid0(VALU_DEP_3) | instskip(SKIP_3) | instid1(VALU_DEP_3)
	v_add_f32_e32 v9, v9, v19
	s_wait_loadcnt 0x4
	v_dual_add_f32 v11, v11, v15 :: v_dual_mov_b32 v62, v85
	v_dual_fmac_f32 v23, v125, v72 :: v_dual_fma_f32 v15, v124, v72, -v41
	v_dual_add_f32 v9, v9, v21 :: v_dual_fmac_f32 v25, v127, v74
	s_delay_alu instid0(VALU_DEP_3) | instskip(SKIP_1) | instid1(VALU_DEP_3)
	v_add_f32_e32 v11, v11, v17
	v_dual_mul_f32 v145, v128, v77 :: v_dual_mul_f32 v147, v94, v79
	v_dual_fma_f32 v17, v126, v74, -v43 :: v_dual_add_f32 v9, v9, v23
	s_delay_alu instid0(VALU_DEP_2) | instskip(SKIP_2) | instid1(VALU_DEP_4)
	v_dual_add_f32 v11, v11, v15 :: v_dual_fmac_f32 v145, v129, v76
	v_fma_f32 v144, v128, v76, -v27
	v_pk_mul_f32 v[58:59], v[136:137], v[58:59] op_sel_hi:[1,0]
	v_add_f32_e32 v67, v9, v25
	s_wait_loadcnt 0x3
	v_dual_add_f32 v66, v11, v17 :: v_dual_mov_b32 v68, v89
	v_pk_mul_f32 v[60:61], v[98:99], v[82:83] op_sel:[1,1] op_sel_hi:[0,1]
	v_dual_fmac_f32 v147, v95, v78 :: v_dual_fma_f32 v146, v94, v78, -v13
	v_pk_fma_f32 v[70:71], v[96:97], v[80:81], v[58:59] op_sel_hi:[1,0,1]
	s_delay_alu instid0(VALU_DEP_4)
	v_pk_add_f32 v[66:67], v[66:67], v[144:145]
	v_pk_fma_f32 v[58:59], v[96:97], v[80:81], v[58:59] neg_lo:[0,0,1] neg_hi:[0,0,1]
	v_pk_fma_f32 v[72:73], v[98:99], v[82:83], v[60:61] op_sel_hi:[1,0,1]
	v_pk_mul_f32 v[62:63], v[138:139], v[62:63] op_sel_hi:[1,0]
	v_mov_b32_e32 v59, v71
	v_pk_add_f32 v[66:67], v[66:67], v[146:147]
	v_pk_fma_f32 v[60:61], v[98:99], v[82:83], v[60:61] neg_lo:[0,0,1] neg_hi:[0,0,1]
	v_pk_mul_f32 v[64:65], v[102:103], v[86:87] op_sel:[1,1] op_sel_hi:[0,1]
	v_mov_b32_e32 v61, v73
	v_pk_fma_f32 v[72:73], v[100:101], v[84:85], v[62:63] op_sel_hi:[1,0,1]
	v_pk_add_f32 v[58:59], v[66:67], v[58:59]
	v_pk_fma_f32 v[62:63], v[100:101], v[84:85], v[62:63] neg_lo:[0,0,1] neg_hi:[0,0,1]
	v_pk_fma_f32 v[66:67], v[102:103], v[86:87], v[64:65] op_sel_hi:[1,0,1]
	v_pk_mul_f32 v[68:69], v[140:141], v[68:69] op_sel_hi:[1,0]
	v_mov_b32_e32 v63, v73
	v_pk_add_f32 v[58:59], v[58:59], v[60:61]
	v_pk_fma_f32 v[64:65], v[102:103], v[86:87], v[64:65] neg_lo:[0,0,1] neg_hi:[0,0,1]
	s_wait_loadcnt 0x2
	v_pk_mul_f32 v[70:71], v[106:107], v[90:91] op_sel:[1,1] op_sel_hi:[0,1]
	v_dual_mov_b32 v60, v93 :: v_dual_mov_b32 v65, v67
	v_pk_fma_f32 v[66:67], v[104:105], v[88:89], v[68:69] op_sel_hi:[1,0,1]
	v_pk_add_f32 v[58:59], v[58:59], v[62:63]
	v_pk_fma_f32 v[68:69], v[104:105], v[88:89], v[68:69] neg_lo:[0,0,1] neg_hi:[0,0,1]
	v_pk_fma_f32 v[62:63], v[106:107], v[90:91], v[70:71] op_sel_hi:[1,0,1]
	v_pk_mul_f32 v[60:61], v[142:143], v[60:61] op_sel_hi:[1,0]
	v_mov_b32_e32 v69, v67
	v_pk_add_f32 v[58:59], v[58:59], v[64:65]
	v_pk_fma_f32 v[64:65], v[106:107], v[90:91], v[70:71] neg_lo:[0,0,1] neg_hi:[0,0,1]
	v_mov_b32_e32 v65, v63
	v_pk_fma_f32 v[62:63], v[108:109], v[92:93], v[60:61] op_sel_hi:[1,0,1]
	s_wait_loadcnt_dscnt 0x100
	v_pk_mul_f32 v[66:67], v[134:135], v[130:131] op_sel:[1,1] op_sel_hi:[0,1]
	v_pk_add_f32 v[58:59], v[58:59], v[68:69]
	v_pk_fma_f32 v[60:61], v[108:109], v[92:93], v[60:61] neg_lo:[0,0,1] neg_hi:[0,0,1]
	v_mov_b32_e32 v61, v63
	s_delay_alu instid0(VALU_DEP_4) | instskip(NEXT) | instid1(VALU_DEP_4)
	v_pk_fma_f32 v[62:63], v[134:135], v[130:131], v[66:67] op_sel_hi:[1,0,1]
	v_pk_add_f32 v[58:59], v[58:59], v[64:65]
	v_pk_fma_f32 v[64:65], v[134:135], v[130:131], v[66:67] neg_lo:[0,0,1] neg_hi:[0,0,1]
	s_delay_alu instid0(VALU_DEP_3) | instskip(NEXT) | instid1(VALU_DEP_3)
	v_mov_b32_e32 v65, v63
	v_pk_add_f32 v[58:59], v[58:59], v[60:61]
	s_delay_alu instid0(VALU_DEP_1) | instskip(SKIP_1) | instid1(VALU_DEP_1)
	v_pk_add_f32 v[58:59], v[58:59], v[64:65]
	s_wait_loadcnt 0x0
	v_pk_add_f32 v[58:59], v[132:133], v[58:59] neg_lo:[0,1] neg_hi:[0,1]
	scratch_store_b64 off, v[58:59], off offset:64
	s_wait_xcnt 0x0
	v_cmpx_lt_u32_e32 7, v0
	s_cbranch_execz .LBB91_167
; %bb.166:
	scratch_load_b64 v[58:59], off, off offset:56
	v_mov_b64_e32 v[60:61], 0
	scratch_store_b64 off, v[60:61], off offset:56
	s_wait_loadcnt 0x0
	ds_store_b64 v1, v[58:59]
.LBB91_167:
	s_wait_xcnt 0x0
	s_or_b32 exec_lo, exec_lo, s0
	s_wait_storecnt_dscnt 0x0
	s_barrier_signal -1
	s_barrier_wait -1
	s_clause 0xa
	scratch_load_b128 v[58:61], off, off offset:64
	scratch_load_b128 v[62:65], off, off offset:80
	;; [unrolled: 1-line block ×10, first 2 shown]
	scratch_load_b64 v[138:139], off, off offset:56
	ds_load_b128 v[98:101], v7 offset:384
	ds_load_b128 v[102:105], v7 offset:400
	;; [unrolled: 1-line block ×10, first 2 shown]
	s_mov_b32 s0, exec_lo
	s_wait_dscnt 0x9
	v_dual_mov_b32 v140, v101 :: v_dual_mov_b32 v141, v100
	s_wait_dscnt 0x8
	v_dual_mov_b32 v142, v105 :: v_dual_mov_b32 v143, v104
	;; [unrolled: 2-line block ×4, first 2 shown]
	s_wait_loadcnt_dscnt 0xa05
	v_dual_mul_f32 v7, v114, v59 :: v_dual_mul_f32 v9, v116, v61
	v_dual_mul_f32 v27, v115, v59 :: v_dual_mul_f32 v29, v117, v61
	s_wait_loadcnt_dscnt 0x904
	v_dual_mul_f32 v11, v118, v63 :: v_dual_mul_f32 v13, v120, v65
	s_delay_alu instid0(VALU_DEP_3) | instskip(SKIP_3) | instid1(VALU_DEP_3)
	v_dual_fmac_f32 v7, v115, v58 :: v_dual_fmac_f32 v9, v117, v60
	s_wait_loadcnt_dscnt 0x702
	v_dual_fma_f32 v27, v114, v58, -v27 :: v_dual_mul_f32 v39, v127, v71
	v_dual_mul_f32 v31, v119, v63 :: v_dual_mul_f32 v33, v121, v65
	v_dual_fma_f32 v29, v116, v60, -v29 :: v_dual_add_f32 v7, 0, v7
	s_delay_alu instid0(VALU_DEP_3) | instskip(SKIP_1) | instid1(VALU_DEP_3)
	v_dual_add_f32 v27, 0, v27 :: v_dual_mul_f32 v41, v129, v73
	v_dual_fmac_f32 v11, v119, v62 :: v_dual_fmac_f32 v13, v121, v64
	v_dual_fma_f32 v31, v118, v62, -v31 :: v_dual_add_f32 v7, v7, v9
	s_delay_alu instid0(VALU_DEP_3) | instskip(SKIP_2) | instid1(VALU_DEP_4)
	v_dual_add_f32 v9, v27, v29 :: v_dual_fma_f32 v29, v120, v64, -v33
	v_dual_mul_f32 v15, v122, v67 :: v_dual_mul_f32 v17, v124, v69
	v_dual_mul_f32 v35, v123, v67 :: v_dual_mul_f32 v37, v125, v69
	v_add_f32_e32 v7, v7, v11
	s_delay_alu instid0(VALU_DEP_3) | instskip(NEXT) | instid1(VALU_DEP_3)
	v_dual_add_f32 v9, v9, v31 :: v_dual_fmac_f32 v15, v123, v66
	v_fma_f32 v31, v122, v66, -v35
	v_dual_mul_f32 v19, v126, v71 :: v_dual_mul_f32 v21, v128, v73
	s_delay_alu instid0(VALU_DEP_4) | instskip(SKIP_2) | instid1(VALU_DEP_2)
	v_dual_add_f32 v7, v7, v13 :: v_dual_fmac_f32 v17, v125, v68
	s_wait_loadcnt_dscnt 0x500
	v_dual_add_f32 v9, v9, v29 :: v_dual_mul_f32 v13, v135, v79
	v_dual_fma_f32 v29, v124, v68, -v37 :: v_dual_add_f32 v7, v7, v15
	v_mul_f32_e32 v15, v137, v81
	s_delay_alu instid0(VALU_DEP_3) | instskip(NEXT) | instid1(VALU_DEP_3)
	v_dual_add_f32 v9, v9, v31 :: v_dual_fmac_f32 v19, v127, v70
	v_dual_fma_f32 v31, v126, v70, -v39 :: v_dual_add_f32 v7, v7, v17
	v_fmac_f32_e32 v21, v129, v72
	s_delay_alu instid0(VALU_DEP_3) | instskip(SKIP_4) | instid1(VALU_DEP_3)
	v_dual_add_f32 v9, v9, v29 :: v_dual_fma_f32 v17, v128, v72, -v41
	v_dual_mul_f32 v23, v130, v75 :: v_dual_mul_f32 v25, v132, v77
	v_dual_mul_f32 v27, v131, v75 :: v_dual_mul_f32 v11, v133, v77
	s_wait_loadcnt 0x4
	v_dual_add_f32 v7, v7, v19 :: v_dual_mov_b32 v60, v85
	v_dual_add_f32 v9, v9, v31 :: v_dual_fmac_f32 v23, v131, v74
	s_delay_alu instid0(VALU_DEP_2) | instskip(SKIP_1) | instid1(VALU_DEP_3)
	v_dual_fma_f32 v19, v130, v74, -v27 :: v_dual_add_f32 v7, v7, v21
	v_dual_mul_f32 v149, v134, v79 :: v_dual_mul_f32 v151, v136, v81
	v_dual_add_f32 v9, v9, v17 :: v_dual_fma_f32 v11, v132, v76, -v11
	s_delay_alu instid0(VALU_DEP_3) | instskip(SKIP_1) | instid1(VALU_DEP_3)
	v_dual_fmac_f32 v25, v133, v76 :: v_dual_add_f32 v7, v7, v23
	v_pk_mul_f32 v[58:59], v[98:99], v[82:83] op_sel:[1,1] op_sel_hi:[0,1]
	v_dual_add_f32 v9, v9, v19 :: v_dual_fmac_f32 v149, v135, v78
	s_wait_loadcnt 0x3
	v_dual_mov_b32 v64, v89 :: v_dual_fma_f32 v148, v134, v78, -v13
	s_delay_alu instid0(VALU_DEP_2)
	v_dual_add_f32 v67, v7, v25 :: v_dual_add_f32 v66, v9, v11
	v_fmac_f32_e32 v151, v137, v80
	v_pk_fma_f32 v[68:69], v[98:99], v[82:83], v[58:59] op_sel_hi:[1,0,1]
	v_fma_f32 v150, v136, v80, -v15
	v_pk_mul_f32 v[60:61], v[140:141], v[60:61] op_sel_hi:[1,0]
	v_pk_add_f32 v[66:67], v[66:67], v[148:149]
	v_pk_fma_f32 v[58:59], v[98:99], v[82:83], v[58:59] neg_lo:[0,0,1] neg_hi:[0,0,1]
	v_pk_mul_f32 v[62:63], v[102:103], v[86:87] op_sel:[1,1] op_sel_hi:[0,1]
	v_mov_b32_e32 v59, v69
	v_pk_fma_f32 v[68:69], v[100:101], v[84:85], v[60:61] op_sel_hi:[1,0,1]
	v_pk_add_f32 v[66:67], v[66:67], v[150:151]
	v_pk_fma_f32 v[60:61], v[100:101], v[84:85], v[60:61] neg_lo:[0,0,1] neg_hi:[0,0,1]
	v_pk_fma_f32 v[72:73], v[102:103], v[86:87], v[62:63] op_sel_hi:[1,0,1]
	v_pk_mul_f32 v[64:65], v[142:143], v[64:65] op_sel_hi:[1,0]
	v_mov_b32_e32 v61, v69
	v_pk_add_f32 v[58:59], v[66:67], v[58:59]
	s_wait_loadcnt 0x2
	v_pk_mul_f32 v[70:71], v[106:107], v[90:91] op_sel:[1,1] op_sel_hi:[0,1]
	v_mov_b32_e32 v66, v93
	v_pk_fma_f32 v[62:63], v[102:103], v[86:87], v[62:63] neg_lo:[0,0,1] neg_hi:[0,0,1]
	v_pk_fma_f32 v[68:69], v[104:105], v[88:89], v[64:65] op_sel_hi:[1,0,1]
	v_mov_b32_e32 v63, v73
	v_pk_add_f32 v[58:59], v[58:59], v[60:61]
	v_pk_fma_f32 v[60:61], v[106:107], v[90:91], v[70:71] op_sel_hi:[1,0,1]
	v_pk_mul_f32 v[66:67], v[144:145], v[66:67] op_sel_hi:[1,0]
	v_pk_fma_f32 v[64:65], v[104:105], v[88:89], v[64:65] neg_lo:[0,0,1] neg_hi:[0,0,1]
	v_mov_b32_e32 v65, v69
	v_pk_add_f32 v[58:59], v[58:59], v[62:63]
	v_pk_fma_f32 v[68:69], v[106:107], v[90:91], v[70:71] neg_lo:[0,0,1] neg_hi:[0,0,1]
	v_mov_b32_e32 v69, v61
	v_pk_fma_f32 v[60:61], v[108:109], v[92:93], v[66:67] op_sel_hi:[1,0,1]
	s_wait_loadcnt 0x1
	v_pk_mul_f32 v[62:63], v[110:111], v[94:95] op_sel:[1,1] op_sel_hi:[0,1]
	v_pk_add_f32 v[58:59], v[58:59], v[64:65]
	v_mov_b32_e32 v60, v97
	v_pk_fma_f32 v[66:67], v[108:109], v[92:93], v[66:67] neg_lo:[0,0,1] neg_hi:[0,0,1]
	s_delay_alu instid0(VALU_DEP_4)
	v_pk_fma_f32 v[64:65], v[110:111], v[94:95], v[62:63] op_sel_hi:[1,0,1]
	v_mov_b32_e32 v67, v61
	v_pk_add_f32 v[58:59], v[58:59], v[68:69]
	v_pk_mul_f32 v[60:61], v[146:147], v[60:61] op_sel_hi:[1,0]
	v_pk_fma_f32 v[62:63], v[110:111], v[94:95], v[62:63] neg_lo:[0,0,1] neg_hi:[0,0,1]
	v_mov_b32_e32 v63, v65
	s_delay_alu instid0(VALU_DEP_4) | instskip(NEXT) | instid1(VALU_DEP_4)
	v_pk_add_f32 v[58:59], v[58:59], v[66:67]
	v_pk_fma_f32 v[64:65], v[112:113], v[96:97], v[60:61] op_sel_hi:[1,0,1]
	v_pk_fma_f32 v[60:61], v[112:113], v[96:97], v[60:61] neg_lo:[0,0,1] neg_hi:[0,0,1]
	s_delay_alu instid0(VALU_DEP_3) | instskip(NEXT) | instid1(VALU_DEP_3)
	v_pk_add_f32 v[58:59], v[58:59], v[62:63]
	v_mov_b32_e32 v61, v65
	s_delay_alu instid0(VALU_DEP_1) | instskip(SKIP_1) | instid1(VALU_DEP_1)
	v_pk_add_f32 v[58:59], v[58:59], v[60:61]
	s_wait_loadcnt 0x0
	v_pk_add_f32 v[58:59], v[138:139], v[58:59] neg_lo:[0,1] neg_hi:[0,1]
	scratch_store_b64 off, v[58:59], off offset:56
	s_wait_xcnt 0x0
	v_cmpx_lt_u32_e32 6, v0
	s_cbranch_execz .LBB91_169
; %bb.168:
	scratch_load_b64 v[58:59], off, off offset:48
	v_mov_b64_e32 v[60:61], 0
	scratch_store_b64 off, v[60:61], off offset:48
	s_wait_loadcnt 0x0
	ds_store_b64 v1, v[58:59]
.LBB91_169:
	s_wait_xcnt 0x0
	s_or_b32 exec_lo, exec_lo, s0
	s_wait_storecnt_dscnt 0x0
	s_barrier_signal -1
	s_barrier_wait -1
	s_clause 0xb
	scratch_load_b128 v[58:61], off, off offset:56
	scratch_load_b128 v[62:65], off, off offset:72
	scratch_load_b128 v[66:69], off, off offset:88
	scratch_load_b128 v[70:73], off, off offset:104
	scratch_load_b128 v[74:77], off, off offset:120
	scratch_load_b128 v[78:81], off, off offset:136
	scratch_load_b128 v[82:85], off, off offset:152
	scratch_load_b128 v[86:89], off, off offset:168
	scratch_load_b128 v[90:93], off, off offset:184
	scratch_load_b128 v[94:97], off, off offset:200
	scratch_load_b64 v[138:139], off, off offset:216
	scratch_load_b64 v[140:141], off, off offset:48
	v_mov_b32_e32 v7, 0
	ds_load_2addr_b64 v[98:101], v7 offset0:47 offset1:48
	ds_load_2addr_b64 v[102:105], v7 offset0:49 offset1:50
	;; [unrolled: 1-line block ×10, first 2 shown]
	ds_load_b64 v[142:143], v7 offset:440
	s_mov_b32 s0, exec_lo
	s_wait_dscnt 0xa
	v_dual_mov_b32 v144, v101 :: v_dual_mov_b32 v145, v100
	s_wait_dscnt 0x7
	v_dual_mov_b32 v146, v105 :: v_dual_mov_b32 v151, v112
	v_dual_mov_b32 v147, v104 :: v_dual_mov_b32 v148, v109
	v_dual_mov_b32 v149, v108 :: v_dual_mov_b32 v150, v113
	s_wait_loadcnt_dscnt 0xb06
	v_dual_mul_f32 v9, v114, v59 :: v_dual_mul_f32 v31, v115, v59
	v_dual_mul_f32 v33, v117, v61 :: v_dual_mul_f32 v11, v116, v61
	s_wait_loadcnt_dscnt 0xa05
	v_mul_f32_e32 v13, v118, v63
	s_wait_loadcnt_dscnt 0x803
	v_dual_mul_f32 v43, v127, v71 :: v_dual_fma_f32 v31, v114, v58, -v31
	v_dual_fmac_f32 v9, v115, v58 :: v_dual_mul_f32 v45, v129, v73
	v_dual_mul_f32 v35, v119, v63 :: v_dual_mul_f32 v37, v121, v65
	v_dual_fmac_f32 v11, v117, v60 :: v_dual_fma_f32 v33, v116, v60, -v33
	s_delay_alu instid0(VALU_DEP_3) | instskip(SKIP_3) | instid1(VALU_DEP_3)
	v_dual_add_f32 v9, 0, v9 :: v_dual_add_f32 v31, 0, v31
	v_dual_mul_f32 v15, v120, v65 :: v_dual_mul_f32 v17, v122, v67
	s_wait_loadcnt_dscnt 0x702
	v_dual_mul_f32 v47, v131, v75 :: v_dual_fma_f32 v35, v118, v62, -v35
	v_dual_fmac_f32 v13, v119, v62 :: v_dual_add_f32 v9, v9, v11
	s_delay_alu instid0(VALU_DEP_3) | instskip(SKIP_2) | instid1(VALU_DEP_3)
	v_dual_add_f32 v11, v31, v33 :: v_dual_fmac_f32 v15, v121, v64
	v_dual_mul_f32 v39, v123, v67 :: v_dual_mul_f32 v41, v125, v69
	v_dual_mul_f32 v31, v133, v77 :: v_dual_fma_f32 v33, v120, v64, -v37
	v_dual_add_f32 v9, v9, v13 :: v_dual_add_f32 v11, v11, v35
	v_dual_mul_f32 v19, v124, v69 :: v_dual_mul_f32 v21, v126, v71
	s_wait_loadcnt_dscnt 0x601
	v_dual_mul_f32 v13, v135, v79 :: v_dual_fma_f32 v35, v122, v66, -v39
	s_delay_alu instid0(VALU_DEP_3) | instskip(NEXT) | instid1(VALU_DEP_3)
	v_dual_fmac_f32 v17, v123, v66 :: v_dual_add_f32 v9, v9, v15
	v_dual_add_f32 v11, v11, v33 :: v_dual_fmac_f32 v19, v125, v68
	v_dual_mul_f32 v15, v137, v81 :: v_dual_fma_f32 v33, v124, v68, -v41
	s_delay_alu instid0(VALU_DEP_2) | instskip(SKIP_3) | instid1(VALU_DEP_3)
	v_dual_add_f32 v9, v9, v17 :: v_dual_add_f32 v11, v11, v35
	v_dual_mul_f32 v23, v128, v73 :: v_dual_mul_f32 v25, v130, v75
	s_wait_loadcnt 0x5
	v_dual_mul_f32 v17, v99, v83 :: v_dual_fma_f32 v35, v126, v70, -v43
	v_dual_fmac_f32 v21, v127, v70 :: v_dual_add_f32 v9, v9, v19
	v_dual_add_f32 v11, v11, v33 :: v_dual_mov_b32 v58, v85
	v_dual_fmac_f32 v23, v129, v72 :: v_dual_fma_f32 v19, v128, v72, -v45
	s_delay_alu instid0(VALU_DEP_2) | instskip(SKIP_2) | instid1(VALU_DEP_3)
	v_dual_add_f32 v9, v9, v21 :: v_dual_add_f32 v11, v11, v35
	v_dual_mul_f32 v27, v132, v77 :: v_dual_mul_f32 v29, v134, v79
	v_dual_fmac_f32 v25, v131, v74 :: v_dual_fma_f32 v21, v130, v74, -v47
	v_add_f32_e32 v9, v9, v23
	s_wait_loadcnt 0x4
	v_dual_add_f32 v11, v11, v19 :: v_dual_mov_b32 v62, v89
	v_fmac_f32_e32 v27, v133, v76
	s_delay_alu instid0(VALU_DEP_3) | instskip(SKIP_1) | instid1(VALU_DEP_4)
	v_dual_fma_f32 v19, v132, v76, -v31 :: v_dual_add_f32 v9, v9, v25
	v_fmac_f32_e32 v29, v135, v78
	v_add_f32_e32 v11, v11, v21
	v_dual_mul_f32 v153, v136, v81 :: v_dual_mul_f32 v155, v98, v83
	s_delay_alu instid0(VALU_DEP_4) | instskip(NEXT) | instid1(VALU_DEP_2)
	v_dual_fma_f32 v13, v134, v78, -v13 :: v_dual_add_f32 v9, v9, v27
	v_dual_add_f32 v11, v11, v19 :: v_dual_fmac_f32 v153, v137, v80
	v_fma_f32 v152, v136, v80, -v15
	v_pk_mul_f32 v[58:59], v[144:145], v[58:59] op_sel_hi:[1,0]
	s_delay_alu instid0(VALU_DEP_4)
	v_add_f32_e32 v67, v9, v29
	s_wait_loadcnt 0x3
	v_dual_add_f32 v66, v11, v13 :: v_dual_mov_b32 v68, v93
	v_pk_mul_f32 v[60:61], v[102:103], v[86:87] op_sel:[1,1] op_sel_hi:[0,1]
	v_dual_fmac_f32 v155, v99, v82 :: v_dual_fma_f32 v154, v98, v82, -v17
	v_pk_fma_f32 v[70:71], v[100:101], v[84:85], v[58:59] op_sel_hi:[1,0,1]
	s_delay_alu instid0(VALU_DEP_4)
	v_pk_add_f32 v[66:67], v[66:67], v[152:153]
	v_pk_fma_f32 v[58:59], v[100:101], v[84:85], v[58:59] neg_lo:[0,0,1] neg_hi:[0,0,1]
	v_pk_fma_f32 v[72:73], v[102:103], v[86:87], v[60:61] op_sel_hi:[1,0,1]
	v_pk_mul_f32 v[62:63], v[146:147], v[62:63] op_sel_hi:[1,0]
	v_mov_b32_e32 v59, v71
	v_pk_add_f32 v[66:67], v[66:67], v[154:155]
	v_pk_fma_f32 v[60:61], v[102:103], v[86:87], v[60:61] neg_lo:[0,0,1] neg_hi:[0,0,1]
	v_pk_mul_f32 v[64:65], v[106:107], v[90:91] op_sel:[1,1] op_sel_hi:[0,1]
	v_mov_b32_e32 v61, v73
	v_pk_fma_f32 v[72:73], v[104:105], v[88:89], v[62:63] op_sel_hi:[1,0,1]
	v_pk_add_f32 v[58:59], v[66:67], v[58:59]
	v_pk_fma_f32 v[62:63], v[104:105], v[88:89], v[62:63] neg_lo:[0,0,1] neg_hi:[0,0,1]
	v_pk_fma_f32 v[66:67], v[106:107], v[90:91], v[64:65] op_sel_hi:[1,0,1]
	v_pk_mul_f32 v[68:69], v[148:149], v[68:69] op_sel_hi:[1,0]
	v_mov_b32_e32 v63, v73
	v_pk_add_f32 v[58:59], v[58:59], v[60:61]
	v_pk_fma_f32 v[64:65], v[106:107], v[90:91], v[64:65] neg_lo:[0,0,1] neg_hi:[0,0,1]
	s_wait_loadcnt 0x2
	v_pk_mul_f32 v[70:71], v[110:111], v[94:95] op_sel:[1,1] op_sel_hi:[0,1]
	v_dual_mov_b32 v60, v97 :: v_dual_mov_b32 v65, v67
	v_pk_fma_f32 v[66:67], v[108:109], v[92:93], v[68:69] op_sel_hi:[1,0,1]
	v_pk_add_f32 v[58:59], v[58:59], v[62:63]
	v_pk_fma_f32 v[68:69], v[108:109], v[92:93], v[68:69] neg_lo:[0,0,1] neg_hi:[0,0,1]
	v_pk_fma_f32 v[62:63], v[110:111], v[94:95], v[70:71] op_sel_hi:[1,0,1]
	v_pk_mul_f32 v[60:61], v[150:151], v[60:61] op_sel_hi:[1,0]
	v_mov_b32_e32 v69, v67
	v_pk_add_f32 v[58:59], v[58:59], v[64:65]
	v_pk_fma_f32 v[64:65], v[110:111], v[94:95], v[70:71] neg_lo:[0,0,1] neg_hi:[0,0,1]
	v_mov_b32_e32 v65, v63
	v_pk_fma_f32 v[62:63], v[112:113], v[96:97], v[60:61] op_sel_hi:[1,0,1]
	s_wait_loadcnt_dscnt 0x100
	v_pk_mul_f32 v[66:67], v[142:143], v[138:139] op_sel:[1,1] op_sel_hi:[0,1]
	v_pk_add_f32 v[58:59], v[58:59], v[68:69]
	v_pk_fma_f32 v[60:61], v[112:113], v[96:97], v[60:61] neg_lo:[0,0,1] neg_hi:[0,0,1]
	v_mov_b32_e32 v61, v63
	s_delay_alu instid0(VALU_DEP_4) | instskip(NEXT) | instid1(VALU_DEP_4)
	v_pk_fma_f32 v[62:63], v[142:143], v[138:139], v[66:67] op_sel_hi:[1,0,1]
	v_pk_add_f32 v[58:59], v[58:59], v[64:65]
	v_pk_fma_f32 v[64:65], v[142:143], v[138:139], v[66:67] neg_lo:[0,0,1] neg_hi:[0,0,1]
	s_delay_alu instid0(VALU_DEP_3) | instskip(NEXT) | instid1(VALU_DEP_3)
	v_mov_b32_e32 v65, v63
	v_pk_add_f32 v[58:59], v[58:59], v[60:61]
	s_delay_alu instid0(VALU_DEP_1) | instskip(SKIP_1) | instid1(VALU_DEP_1)
	v_pk_add_f32 v[58:59], v[58:59], v[64:65]
	s_wait_loadcnt 0x0
	v_pk_add_f32 v[58:59], v[140:141], v[58:59] neg_lo:[0,1] neg_hi:[0,1]
	scratch_store_b64 off, v[58:59], off offset:48
	s_wait_xcnt 0x0
	v_cmpx_lt_u32_e32 5, v0
	s_cbranch_execz .LBB91_171
; %bb.170:
	scratch_load_b64 v[58:59], off, off offset:40
	v_mov_b64_e32 v[60:61], 0
	scratch_store_b64 off, v[60:61], off offset:40
	s_wait_loadcnt 0x0
	ds_store_b64 v1, v[58:59]
.LBB91_171:
	s_wait_xcnt 0x0
	s_or_b32 exec_lo, exec_lo, s0
	s_wait_storecnt_dscnt 0x0
	s_barrier_signal -1
	s_barrier_wait -1
	s_clause 0xb
	scratch_load_b128 v[58:61], off, off offset:48
	scratch_load_b128 v[62:65], off, off offset:64
	;; [unrolled: 1-line block ×11, first 2 shown]
	scratch_load_b64 v[146:147], off, off offset:40
	ds_load_b128 v[102:105], v7 offset:384
	ds_load_b128 v[106:109], v7 offset:400
	;; [unrolled: 1-line block ×11, first 2 shown]
	s_mov_b32 s0, exec_lo
	s_wait_dscnt 0xa
	v_dual_mov_b32 v148, v105 :: v_dual_mov_b32 v149, v104
	s_wait_dscnt 0x9
	v_dual_mov_b32 v150, v109 :: v_dual_mov_b32 v151, v108
	;; [unrolled: 2-line block ×4, first 2 shown]
	s_wait_loadcnt_dscnt 0xb06
	v_dual_mul_f32 v7, v118, v59 :: v_dual_mul_f32 v9, v120, v61
	v_dual_mul_f32 v31, v119, v59 :: v_dual_mul_f32 v33, v121, v61
	s_wait_loadcnt_dscnt 0xa05
	v_dual_mul_f32 v11, v122, v63 :: v_dual_mul_f32 v13, v124, v65
	s_delay_alu instid0(VALU_DEP_3) | instskip(SKIP_3) | instid1(VALU_DEP_3)
	v_dual_fmac_f32 v7, v119, v58 :: v_dual_fmac_f32 v9, v121, v60
	s_wait_loadcnt_dscnt 0x803
	v_dual_fma_f32 v31, v118, v58, -v31 :: v_dual_mul_f32 v43, v131, v71
	v_dual_mul_f32 v35, v123, v63 :: v_dual_mul_f32 v37, v125, v65
	v_dual_fma_f32 v33, v120, v60, -v33 :: v_dual_add_f32 v7, 0, v7
	s_delay_alu instid0(VALU_DEP_3) | instskip(SKIP_1) | instid1(VALU_DEP_3)
	v_dual_add_f32 v31, 0, v31 :: v_dual_mul_f32 v45, v133, v73
	v_dual_fmac_f32 v11, v123, v62 :: v_dual_fmac_f32 v13, v125, v64
	v_dual_fma_f32 v35, v122, v62, -v35 :: v_dual_add_f32 v7, v7, v9
	s_delay_alu instid0(VALU_DEP_3) | instskip(SKIP_2) | instid1(VALU_DEP_4)
	v_dual_add_f32 v9, v31, v33 :: v_dual_fma_f32 v33, v124, v64, -v37
	v_dual_mul_f32 v15, v126, v67 :: v_dual_mul_f32 v17, v128, v69
	v_dual_mul_f32 v39, v127, v67 :: v_dual_mul_f32 v41, v129, v69
	v_add_f32_e32 v7, v7, v11
	s_delay_alu instid0(VALU_DEP_3) | instskip(NEXT) | instid1(VALU_DEP_3)
	v_dual_add_f32 v9, v9, v35 :: v_dual_fmac_f32 v15, v127, v66
	v_fma_f32 v35, v126, v66, -v39
	v_dual_mul_f32 v19, v130, v71 :: v_dual_mul_f32 v21, v132, v73
	s_delay_alu instid0(VALU_DEP_4) | instskip(SKIP_2) | instid1(VALU_DEP_2)
	v_dual_add_f32 v7, v7, v13 :: v_dual_fmac_f32 v17, v129, v68
	s_wait_loadcnt_dscnt 0x601
	v_dual_add_f32 v9, v9, v33 :: v_dual_mul_f32 v13, v139, v79
	v_dual_fma_f32 v33, v128, v68, -v41 :: v_dual_add_f32 v7, v7, v15
	v_mul_f32_e32 v15, v141, v81
	s_delay_alu instid0(VALU_DEP_3) | instskip(NEXT) | instid1(VALU_DEP_3)
	v_dual_add_f32 v9, v9, v35 :: v_dual_fmac_f32 v19, v131, v70
	v_dual_fma_f32 v35, v130, v70, -v43 :: v_dual_add_f32 v7, v7, v17
	v_fmac_f32_e32 v21, v133, v72
	s_wait_loadcnt_dscnt 0x500
	s_delay_alu instid0(VALU_DEP_3) | instskip(SKIP_3) | instid1(VALU_DEP_3)
	v_dual_add_f32 v9, v9, v33 :: v_dual_mul_f32 v17, v143, v83
	v_dual_mul_f32 v23, v134, v75 :: v_dual_mul_f32 v25, v136, v77
	v_dual_mul_f32 v31, v135, v75 :: v_dual_mul_f32 v11, v137, v77
	v_dual_fma_f32 v33, v132, v72, -v45 :: v_dual_add_f32 v7, v7, v19
	v_dual_add_f32 v9, v9, v35 :: v_dual_fmac_f32 v23, v135, v74
	s_delay_alu instid0(VALU_DEP_3) | instskip(NEXT) | instid1(VALU_DEP_3)
	v_dual_mul_f32 v19, v145, v85 :: v_dual_fma_f32 v31, v134, v74, -v31
	v_dual_add_f32 v7, v7, v21 :: v_dual_fmac_f32 v25, v137, v76
	s_delay_alu instid0(VALU_DEP_3) | instskip(SKIP_2) | instid1(VALU_DEP_3)
	v_dual_add_f32 v9, v9, v33 :: v_dual_fma_f32 v11, v136, v76, -v11
	v_dual_mul_f32 v27, v138, v79 :: v_dual_mul_f32 v29, v140, v81
	s_wait_loadcnt 0x4
	v_dual_add_f32 v7, v7, v23 :: v_dual_mov_b32 v60, v89
	s_delay_alu instid0(VALU_DEP_2) | instskip(NEXT) | instid1(VALU_DEP_2)
	v_dual_add_f32 v9, v9, v31 :: v_dual_fmac_f32 v27, v139, v78
	v_dual_fma_f32 v13, v138, v78, -v13 :: v_dual_add_f32 v7, v7, v25
	v_dual_mul_f32 v157, v142, v83 :: v_dual_mul_f32 v159, v144, v85
	s_delay_alu instid0(VALU_DEP_3) | instskip(NEXT) | instid1(VALU_DEP_3)
	v_dual_add_f32 v9, v9, v11 :: v_dual_fma_f32 v11, v140, v80, -v15
	v_dual_fmac_f32 v29, v141, v80 :: v_dual_add_f32 v7, v7, v27
	v_pk_mul_f32 v[58:59], v[102:103], v[86:87] op_sel:[1,1] op_sel_hi:[0,1]
	s_delay_alu instid0(VALU_DEP_3) | instskip(SKIP_2) | instid1(VALU_DEP_2)
	v_dual_add_f32 v9, v9, v13 :: v_dual_fmac_f32 v157, v143, v82
	s_wait_loadcnt 0x3
	v_dual_mov_b32 v64, v93 :: v_dual_fma_f32 v156, v142, v82, -v17
	v_dual_add_f32 v67, v7, v29 :: v_dual_add_f32 v66, v9, v11
	v_fmac_f32_e32 v159, v145, v84
	v_pk_fma_f32 v[68:69], v[102:103], v[86:87], v[58:59] op_sel_hi:[1,0,1]
	v_fma_f32 v158, v144, v84, -v19
	v_pk_mul_f32 v[60:61], v[148:149], v[60:61] op_sel_hi:[1,0]
	v_pk_add_f32 v[66:67], v[66:67], v[156:157]
	v_pk_fma_f32 v[58:59], v[102:103], v[86:87], v[58:59] neg_lo:[0,0,1] neg_hi:[0,0,1]
	v_pk_mul_f32 v[62:63], v[106:107], v[90:91] op_sel:[1,1] op_sel_hi:[0,1]
	v_mov_b32_e32 v59, v69
	v_pk_fma_f32 v[68:69], v[104:105], v[88:89], v[60:61] op_sel_hi:[1,0,1]
	v_pk_add_f32 v[66:67], v[66:67], v[158:159]
	v_pk_fma_f32 v[60:61], v[104:105], v[88:89], v[60:61] neg_lo:[0,0,1] neg_hi:[0,0,1]
	v_pk_fma_f32 v[72:73], v[106:107], v[90:91], v[62:63] op_sel_hi:[1,0,1]
	v_pk_mul_f32 v[64:65], v[150:151], v[64:65] op_sel_hi:[1,0]
	v_mov_b32_e32 v61, v69
	v_pk_add_f32 v[58:59], v[66:67], v[58:59]
	s_wait_loadcnt 0x2
	v_pk_mul_f32 v[70:71], v[110:111], v[94:95] op_sel:[1,1] op_sel_hi:[0,1]
	v_mov_b32_e32 v66, v97
	v_pk_fma_f32 v[62:63], v[106:107], v[90:91], v[62:63] neg_lo:[0,0,1] neg_hi:[0,0,1]
	v_pk_fma_f32 v[68:69], v[108:109], v[92:93], v[64:65] op_sel_hi:[1,0,1]
	v_mov_b32_e32 v63, v73
	v_pk_add_f32 v[58:59], v[58:59], v[60:61]
	v_pk_fma_f32 v[60:61], v[110:111], v[94:95], v[70:71] op_sel_hi:[1,0,1]
	v_pk_mul_f32 v[66:67], v[152:153], v[66:67] op_sel_hi:[1,0]
	v_pk_fma_f32 v[64:65], v[108:109], v[92:93], v[64:65] neg_lo:[0,0,1] neg_hi:[0,0,1]
	v_mov_b32_e32 v65, v69
	v_pk_add_f32 v[58:59], v[58:59], v[62:63]
	v_pk_fma_f32 v[68:69], v[110:111], v[94:95], v[70:71] neg_lo:[0,0,1] neg_hi:[0,0,1]
	v_mov_b32_e32 v69, v61
	v_pk_fma_f32 v[60:61], v[112:113], v[96:97], v[66:67] op_sel_hi:[1,0,1]
	s_wait_loadcnt 0x1
	v_pk_mul_f32 v[62:63], v[114:115], v[98:99] op_sel:[1,1] op_sel_hi:[0,1]
	v_pk_add_f32 v[58:59], v[58:59], v[64:65]
	v_mov_b32_e32 v60, v101
	v_pk_fma_f32 v[66:67], v[112:113], v[96:97], v[66:67] neg_lo:[0,0,1] neg_hi:[0,0,1]
	s_delay_alu instid0(VALU_DEP_4)
	v_pk_fma_f32 v[64:65], v[114:115], v[98:99], v[62:63] op_sel_hi:[1,0,1]
	v_mov_b32_e32 v67, v61
	v_pk_add_f32 v[58:59], v[58:59], v[68:69]
	v_pk_mul_f32 v[60:61], v[154:155], v[60:61] op_sel_hi:[1,0]
	v_pk_fma_f32 v[62:63], v[114:115], v[98:99], v[62:63] neg_lo:[0,0,1] neg_hi:[0,0,1]
	v_mov_b32_e32 v63, v65
	s_delay_alu instid0(VALU_DEP_4) | instskip(NEXT) | instid1(VALU_DEP_4)
	v_pk_add_f32 v[58:59], v[58:59], v[66:67]
	v_pk_fma_f32 v[64:65], v[116:117], v[100:101], v[60:61] op_sel_hi:[1,0,1]
	v_pk_fma_f32 v[60:61], v[116:117], v[100:101], v[60:61] neg_lo:[0,0,1] neg_hi:[0,0,1]
	s_delay_alu instid0(VALU_DEP_3) | instskip(NEXT) | instid1(VALU_DEP_3)
	v_pk_add_f32 v[58:59], v[58:59], v[62:63]
	v_mov_b32_e32 v61, v65
	s_delay_alu instid0(VALU_DEP_1) | instskip(SKIP_1) | instid1(VALU_DEP_1)
	v_pk_add_f32 v[58:59], v[58:59], v[60:61]
	s_wait_loadcnt 0x0
	v_pk_add_f32 v[58:59], v[146:147], v[58:59] neg_lo:[0,1] neg_hi:[0,1]
	scratch_store_b64 off, v[58:59], off offset:40
	s_wait_xcnt 0x0
	v_cmpx_lt_u32_e32 4, v0
	s_cbranch_execz .LBB91_173
; %bb.172:
	scratch_load_b64 v[58:59], off, off offset:32
	v_mov_b64_e32 v[60:61], 0
	scratch_store_b64 off, v[60:61], off offset:32
	s_wait_loadcnt 0x0
	ds_store_b64 v1, v[58:59]
.LBB91_173:
	s_wait_xcnt 0x0
	s_or_b32 exec_lo, exec_lo, s0
	s_wait_storecnt_dscnt 0x0
	s_barrier_signal -1
	s_barrier_wait -1
	s_clause 0xc
	scratch_load_b128 v[58:61], off, off offset:40
	scratch_load_b128 v[62:65], off, off offset:56
	;; [unrolled: 1-line block ×11, first 2 shown]
	scratch_load_b64 v[146:147], off, off offset:216
	scratch_load_b64 v[148:149], off, off offset:32
	v_mov_b32_e32 v7, 0
	ds_load_2addr_b64 v[102:105], v7 offset0:47 offset1:48
	ds_load_2addr_b64 v[106:109], v7 offset0:49 offset1:50
	;; [unrolled: 1-line block ×11, first 2 shown]
	ds_load_b64 v[150:151], v7 offset:440
	s_mov_b32 s0, exec_lo
	s_wait_dscnt 0xb
	v_dual_mov_b32 v152, v105 :: v_dual_mov_b32 v153, v104
	s_wait_dscnt 0x8
	v_dual_mov_b32 v154, v109 :: v_dual_mov_b32 v159, v116
	v_dual_mov_b32 v155, v108 :: v_dual_mov_b32 v156, v113
	;; [unrolled: 1-line block ×3, first 2 shown]
	s_wait_loadcnt_dscnt 0xc07
	v_dual_mul_f32 v9, v118, v59 :: v_dual_mul_f32 v35, v119, v59
	v_dual_mul_f32 v37, v121, v61 :: v_dual_mul_f32 v11, v120, v61
	s_wait_loadcnt_dscnt 0xb06
	v_mul_f32_e32 v13, v122, v63
	s_wait_loadcnt_dscnt 0x904
	v_dual_mul_f32 v47, v131, v71 :: v_dual_fma_f32 v35, v118, v58, -v35
	v_dual_fmac_f32 v9, v119, v58 :: v_dual_mul_f32 v49, v133, v73
	v_dual_mul_f32 v39, v123, v63 :: v_dual_mul_f32 v41, v125, v65
	v_dual_fmac_f32 v11, v121, v60 :: v_dual_fma_f32 v37, v120, v60, -v37
	s_delay_alu instid0(VALU_DEP_3) | instskip(SKIP_3) | instid1(VALU_DEP_3)
	v_dual_add_f32 v9, 0, v9 :: v_dual_add_f32 v35, 0, v35
	v_dual_mul_f32 v15, v124, v65 :: v_dual_mul_f32 v17, v126, v67
	s_wait_loadcnt_dscnt 0x803
	v_dual_mul_f32 v51, v135, v75 :: v_dual_fma_f32 v39, v122, v62, -v39
	v_dual_fmac_f32 v13, v123, v62 :: v_dual_add_f32 v9, v9, v11
	s_delay_alu instid0(VALU_DEP_3) | instskip(SKIP_2) | instid1(VALU_DEP_3)
	v_dual_add_f32 v11, v35, v37 :: v_dual_fmac_f32 v15, v125, v64
	v_dual_mul_f32 v43, v127, v67 :: v_dual_mul_f32 v45, v129, v69
	v_dual_mul_f32 v35, v137, v77 :: v_dual_fma_f32 v37, v124, v64, -v41
	v_dual_add_f32 v9, v9, v13 :: v_dual_add_f32 v11, v11, v39
	v_dual_mul_f32 v19, v128, v69 :: v_dual_mul_f32 v21, v130, v71
	s_wait_loadcnt_dscnt 0x701
	v_dual_mul_f32 v13, v143, v79 :: v_dual_fma_f32 v39, v126, v66, -v43
	s_delay_alu instid0(VALU_DEP_3) | instskip(NEXT) | instid1(VALU_DEP_3)
	v_dual_fmac_f32 v17, v127, v66 :: v_dual_add_f32 v9, v9, v15
	v_dual_add_f32 v11, v11, v37 :: v_dual_fmac_f32 v19, v129, v68
	v_dual_mul_f32 v15, v145, v81 :: v_dual_fma_f32 v37, v128, v68, -v45
	s_delay_alu instid0(VALU_DEP_2) | instskip(SKIP_3) | instid1(VALU_DEP_3)
	v_dual_add_f32 v9, v9, v17 :: v_dual_add_f32 v11, v11, v39
	v_dual_mul_f32 v23, v132, v73 :: v_dual_mul_f32 v25, v134, v75
	s_wait_loadcnt 0x6
	v_dual_mul_f32 v17, v139, v83 :: v_dual_fma_f32 v39, v130, v70, -v47
	v_dual_fmac_f32 v21, v131, v70 :: v_dual_add_f32 v9, v9, v19
	s_delay_alu instid0(VALU_DEP_3) | instskip(SKIP_1) | instid1(VALU_DEP_2)
	v_dual_add_f32 v11, v11, v37 :: v_dual_fmac_f32 v23, v133, v72
	v_dual_mul_f32 v19, v141, v85 :: v_dual_fma_f32 v37, v132, v72, -v49
	v_dual_add_f32 v9, v9, v21 :: v_dual_add_f32 v11, v11, v39
	v_dual_mul_f32 v27, v136, v77 :: v_dual_mul_f32 v29, v142, v79
	s_wait_loadcnt 0x5
	v_dual_mul_f32 v21, v103, v87 :: v_dual_fma_f32 v39, v134, v74, -v51
	s_delay_alu instid0(VALU_DEP_3) | instskip(SKIP_2) | instid1(VALU_DEP_3)
	v_dual_fmac_f32 v25, v135, v74 :: v_dual_add_f32 v9, v9, v23
	v_dual_add_f32 v11, v11, v37 :: v_dual_mov_b32 v58, v89
	v_fmac_f32_e32 v27, v137, v76
	v_dual_fma_f32 v23, v136, v76, -v35 :: v_dual_add_f32 v9, v9, v25
	s_delay_alu instid0(VALU_DEP_3) | instskip(SKIP_1) | instid1(VALU_DEP_3)
	v_dual_add_f32 v11, v11, v39 :: v_dual_mul_f32 v31, v144, v81
	v_dual_mul_f32 v33, v138, v83 :: v_dual_fmac_f32 v29, v143, v78
	v_dual_add_f32 v9, v9, v27 :: v_dual_fma_f32 v13, v142, v78, -v13
	s_wait_loadcnt 0x4
	s_delay_alu instid0(VALU_DEP_3) | instskip(SKIP_3) | instid1(VALU_DEP_4)
	v_dual_add_f32 v11, v11, v23 :: v_dual_mov_b32 v62, v93
	v_fma_f32 v15, v144, v80, -v15
	v_fmac_f32_e32 v31, v145, v80
	v_dual_add_f32 v9, v9, v29 :: v_dual_fmac_f32 v33, v139, v82
	v_add_f32_e32 v11, v11, v13
	v_dual_mul_f32 v161, v140, v85 :: v_dual_mul_f32 v163, v102, v87
	s_delay_alu instid0(VALU_DEP_3) | instskip(NEXT) | instid1(VALU_DEP_2)
	v_dual_fma_f32 v13, v138, v82, -v17 :: v_dual_add_f32 v9, v9, v31
	v_dual_add_f32 v11, v11, v15 :: v_dual_fmac_f32 v161, v141, v84
	v_fma_f32 v160, v140, v84, -v19
	v_pk_mul_f32 v[58:59], v[152:153], v[58:59] op_sel_hi:[1,0]
	s_delay_alu instid0(VALU_DEP_4)
	v_add_f32_e32 v67, v9, v33
	s_wait_loadcnt 0x3
	v_dual_add_f32 v66, v11, v13 :: v_dual_mov_b32 v68, v97
	v_pk_mul_f32 v[60:61], v[106:107], v[90:91] op_sel:[1,1] op_sel_hi:[0,1]
	v_dual_fmac_f32 v163, v103, v86 :: v_dual_fma_f32 v162, v102, v86, -v21
	v_pk_fma_f32 v[70:71], v[104:105], v[88:89], v[58:59] op_sel_hi:[1,0,1]
	s_delay_alu instid0(VALU_DEP_4)
	v_pk_add_f32 v[66:67], v[66:67], v[160:161]
	v_pk_fma_f32 v[58:59], v[104:105], v[88:89], v[58:59] neg_lo:[0,0,1] neg_hi:[0,0,1]
	v_pk_fma_f32 v[72:73], v[106:107], v[90:91], v[60:61] op_sel_hi:[1,0,1]
	v_pk_mul_f32 v[62:63], v[154:155], v[62:63] op_sel_hi:[1,0]
	v_mov_b32_e32 v59, v71
	v_pk_add_f32 v[66:67], v[66:67], v[162:163]
	v_pk_fma_f32 v[60:61], v[106:107], v[90:91], v[60:61] neg_lo:[0,0,1] neg_hi:[0,0,1]
	v_pk_mul_f32 v[64:65], v[110:111], v[94:95] op_sel:[1,1] op_sel_hi:[0,1]
	v_mov_b32_e32 v61, v73
	v_pk_fma_f32 v[72:73], v[108:109], v[92:93], v[62:63] op_sel_hi:[1,0,1]
	v_pk_add_f32 v[58:59], v[66:67], v[58:59]
	v_pk_fma_f32 v[62:63], v[108:109], v[92:93], v[62:63] neg_lo:[0,0,1] neg_hi:[0,0,1]
	v_pk_fma_f32 v[66:67], v[110:111], v[94:95], v[64:65] op_sel_hi:[1,0,1]
	v_pk_mul_f32 v[68:69], v[156:157], v[68:69] op_sel_hi:[1,0]
	v_mov_b32_e32 v63, v73
	v_pk_add_f32 v[58:59], v[58:59], v[60:61]
	v_pk_fma_f32 v[64:65], v[110:111], v[94:95], v[64:65] neg_lo:[0,0,1] neg_hi:[0,0,1]
	s_wait_loadcnt 0x2
	v_pk_mul_f32 v[70:71], v[114:115], v[98:99] op_sel:[1,1] op_sel_hi:[0,1]
	v_dual_mov_b32 v60, v101 :: v_dual_mov_b32 v65, v67
	v_pk_fma_f32 v[66:67], v[112:113], v[96:97], v[68:69] op_sel_hi:[1,0,1]
	v_pk_add_f32 v[58:59], v[58:59], v[62:63]
	v_pk_fma_f32 v[68:69], v[112:113], v[96:97], v[68:69] neg_lo:[0,0,1] neg_hi:[0,0,1]
	v_pk_fma_f32 v[62:63], v[114:115], v[98:99], v[70:71] op_sel_hi:[1,0,1]
	v_pk_mul_f32 v[60:61], v[158:159], v[60:61] op_sel_hi:[1,0]
	v_mov_b32_e32 v69, v67
	v_pk_add_f32 v[58:59], v[58:59], v[64:65]
	v_pk_fma_f32 v[64:65], v[114:115], v[98:99], v[70:71] neg_lo:[0,0,1] neg_hi:[0,0,1]
	v_mov_b32_e32 v65, v63
	v_pk_fma_f32 v[62:63], v[116:117], v[100:101], v[60:61] op_sel_hi:[1,0,1]
	s_wait_loadcnt_dscnt 0x100
	v_pk_mul_f32 v[66:67], v[150:151], v[146:147] op_sel:[1,1] op_sel_hi:[0,1]
	v_pk_add_f32 v[58:59], v[58:59], v[68:69]
	v_pk_fma_f32 v[60:61], v[116:117], v[100:101], v[60:61] neg_lo:[0,0,1] neg_hi:[0,0,1]
	v_mov_b32_e32 v61, v63
	s_delay_alu instid0(VALU_DEP_4) | instskip(NEXT) | instid1(VALU_DEP_4)
	v_pk_fma_f32 v[62:63], v[150:151], v[146:147], v[66:67] op_sel_hi:[1,0,1]
	v_pk_add_f32 v[58:59], v[58:59], v[64:65]
	v_pk_fma_f32 v[64:65], v[150:151], v[146:147], v[66:67] neg_lo:[0,0,1] neg_hi:[0,0,1]
	s_delay_alu instid0(VALU_DEP_3) | instskip(NEXT) | instid1(VALU_DEP_3)
	v_mov_b32_e32 v65, v63
	v_pk_add_f32 v[58:59], v[58:59], v[60:61]
	s_delay_alu instid0(VALU_DEP_1) | instskip(SKIP_1) | instid1(VALU_DEP_1)
	v_pk_add_f32 v[58:59], v[58:59], v[64:65]
	s_wait_loadcnt 0x0
	v_pk_add_f32 v[58:59], v[148:149], v[58:59] neg_lo:[0,1] neg_hi:[0,1]
	scratch_store_b64 off, v[58:59], off offset:32
	s_wait_xcnt 0x0
	v_cmpx_lt_u32_e32 3, v0
	s_cbranch_execz .LBB91_175
; %bb.174:
	scratch_load_b64 v[58:59], off, off offset:24
	v_mov_b64_e32 v[60:61], 0
	scratch_store_b64 off, v[60:61], off offset:24
	s_wait_loadcnt 0x0
	ds_store_b64 v1, v[58:59]
.LBB91_175:
	s_wait_xcnt 0x0
	s_or_b32 exec_lo, exec_lo, s0
	s_wait_storecnt_dscnt 0x0
	s_barrier_signal -1
	s_barrier_wait -1
	s_clause 0xc
	scratch_load_b128 v[58:61], off, off offset:32
	scratch_load_b128 v[62:65], off, off offset:48
	;; [unrolled: 1-line block ×12, first 2 shown]
	scratch_load_b64 v[154:155], off, off offset:24
	ds_load_b128 v[106:109], v7 offset:384
	ds_load_b128 v[110:113], v7 offset:400
	;; [unrolled: 1-line block ×12, first 2 shown]
	s_mov_b32 s0, exec_lo
	s_wait_dscnt 0xb
	v_dual_mov_b32 v156, v109 :: v_dual_mov_b32 v157, v108
	s_wait_dscnt 0xa
	v_dual_mov_b32 v158, v113 :: v_dual_mov_b32 v159, v112
	;; [unrolled: 2-line block ×4, first 2 shown]
	s_wait_loadcnt_dscnt 0xc07
	v_dual_mul_f32 v7, v122, v59 :: v_dual_mul_f32 v9, v124, v61
	v_dual_mul_f32 v35, v123, v59 :: v_dual_mul_f32 v37, v125, v61
	s_wait_loadcnt_dscnt 0xb06
	v_dual_mul_f32 v11, v126, v63 :: v_dual_mul_f32 v13, v128, v65
	s_delay_alu instid0(VALU_DEP_3) | instskip(SKIP_3) | instid1(VALU_DEP_3)
	v_dual_fmac_f32 v7, v123, v58 :: v_dual_fmac_f32 v9, v125, v60
	s_wait_loadcnt_dscnt 0x904
	v_dual_fma_f32 v35, v122, v58, -v35 :: v_dual_mul_f32 v47, v135, v71
	v_dual_mul_f32 v39, v127, v63 :: v_dual_mul_f32 v41, v129, v65
	v_dual_fma_f32 v37, v124, v60, -v37 :: v_dual_add_f32 v7, 0, v7
	s_delay_alu instid0(VALU_DEP_3) | instskip(SKIP_1) | instid1(VALU_DEP_3)
	v_dual_add_f32 v35, 0, v35 :: v_dual_mul_f32 v49, v137, v73
	v_dual_fmac_f32 v11, v127, v62 :: v_dual_fmac_f32 v13, v129, v64
	v_dual_fma_f32 v39, v126, v62, -v39 :: v_dual_add_f32 v7, v7, v9
	s_delay_alu instid0(VALU_DEP_3) | instskip(SKIP_2) | instid1(VALU_DEP_4)
	v_dual_add_f32 v9, v35, v37 :: v_dual_fma_f32 v37, v128, v64, -v41
	v_dual_mul_f32 v15, v130, v67 :: v_dual_mul_f32 v17, v132, v69
	v_dual_mul_f32 v43, v131, v67 :: v_dual_mul_f32 v45, v133, v69
	v_add_f32_e32 v7, v7, v11
	s_delay_alu instid0(VALU_DEP_3) | instskip(NEXT) | instid1(VALU_DEP_3)
	v_dual_add_f32 v9, v9, v39 :: v_dual_fmac_f32 v15, v131, v66
	v_fma_f32 v39, v130, v66, -v43
	v_dual_mul_f32 v19, v134, v71 :: v_dual_mul_f32 v21, v136, v73
	s_delay_alu instid0(VALU_DEP_4) | instskip(SKIP_2) | instid1(VALU_DEP_2)
	v_dual_add_f32 v7, v7, v13 :: v_dual_fmac_f32 v17, v133, v68
	s_wait_loadcnt_dscnt 0x702
	v_dual_add_f32 v9, v9, v37 :: v_dual_mul_f32 v13, v143, v79
	v_dual_fma_f32 v37, v132, v68, -v45 :: v_dual_add_f32 v7, v7, v15
	v_mul_f32_e32 v15, v145, v81
	s_delay_alu instid0(VALU_DEP_3) | instskip(NEXT) | instid1(VALU_DEP_3)
	v_dual_add_f32 v9, v9, v39 :: v_dual_fmac_f32 v19, v135, v70
	v_dual_fma_f32 v39, v134, v70, -v47 :: v_dual_add_f32 v7, v7, v17
	v_fmac_f32_e32 v21, v137, v72
	s_wait_loadcnt_dscnt 0x601
	s_delay_alu instid0(VALU_DEP_3) | instskip(SKIP_3) | instid1(VALU_DEP_3)
	v_dual_add_f32 v9, v9, v37 :: v_dual_mul_f32 v17, v147, v83
	v_dual_mul_f32 v23, v138, v75 :: v_dual_mul_f32 v25, v140, v77
	v_dual_mul_f32 v35, v139, v75 :: v_dual_mul_f32 v11, v141, v77
	v_dual_fma_f32 v37, v136, v72, -v49 :: v_dual_add_f32 v7, v7, v19
	v_dual_add_f32 v9, v9, v39 :: v_dual_fmac_f32 v23, v139, v74
	s_delay_alu instid0(VALU_DEP_3) | instskip(NEXT) | instid1(VALU_DEP_3)
	v_dual_mul_f32 v19, v149, v85 :: v_dual_fma_f32 v35, v138, v74, -v35
	v_dual_add_f32 v7, v7, v21 :: v_dual_fmac_f32 v25, v141, v76
	s_wait_loadcnt_dscnt 0x500
	s_delay_alu instid0(VALU_DEP_3) | instskip(SKIP_1) | instid1(VALU_DEP_3)
	v_dual_add_f32 v9, v9, v37 :: v_dual_mul_f32 v21, v151, v87
	v_dual_mul_f32 v27, v142, v79 :: v_dual_mul_f32 v29, v144, v81
	v_dual_fma_f32 v11, v140, v76, -v11 :: v_dual_add_f32 v7, v7, v23
	s_delay_alu instid0(VALU_DEP_2) | instskip(SKIP_1) | instid1(VALU_DEP_2)
	v_dual_add_f32 v9, v9, v35 :: v_dual_fmac_f32 v27, v143, v78
	v_dual_mul_f32 v23, v153, v89 :: v_dual_fma_f32 v13, v142, v78, -v13
	v_dual_add_f32 v7, v7, v25 :: v_dual_add_f32 v9, v9, v11
	v_dual_mul_f32 v31, v146, v83 :: v_dual_mul_f32 v33, v148, v85
	v_dual_fmac_f32 v29, v145, v80 :: v_dual_fma_f32 v11, v144, v80, -v15
	s_delay_alu instid0(VALU_DEP_3) | instskip(SKIP_1) | instid1(VALU_DEP_3)
	v_dual_add_f32 v7, v7, v27 :: v_dual_add_f32 v9, v9, v13
	s_wait_loadcnt 0x4
	v_dual_mov_b32 v60, v93 :: v_dual_fmac_f32 v31, v147, v82
	s_delay_alu instid0(VALU_DEP_2) | instskip(NEXT) | instid1(VALU_DEP_3)
	v_dual_fma_f32 v13, v146, v82, -v17 :: v_dual_add_f32 v7, v7, v29
	v_dual_add_f32 v9, v9, v11 :: v_dual_fma_f32 v11, v148, v84, -v19
	v_dual_mul_f32 v165, v150, v87 :: v_dual_mul_f32 v167, v152, v89
	s_delay_alu instid0(VALU_DEP_3) | instskip(NEXT) | instid1(VALU_DEP_2)
	v_dual_fmac_f32 v33, v149, v84 :: v_dual_add_f32 v7, v7, v31
	v_dual_add_f32 v9, v9, v13 :: v_dual_fmac_f32 v165, v151, v86
	v_pk_mul_f32 v[58:59], v[106:107], v[90:91] op_sel:[1,1] op_sel_hi:[0,1]
	s_wait_loadcnt 0x3
	v_dual_mov_b32 v64, v97 :: v_dual_fma_f32 v164, v150, v86, -v21
	s_delay_alu instid0(VALU_DEP_3)
	v_dual_add_f32 v67, v7, v33 :: v_dual_add_f32 v66, v9, v11
	v_fmac_f32_e32 v167, v153, v88
	v_pk_fma_f32 v[68:69], v[106:107], v[90:91], v[58:59] op_sel_hi:[1,0,1]
	v_fma_f32 v166, v152, v88, -v23
	v_pk_mul_f32 v[60:61], v[156:157], v[60:61] op_sel_hi:[1,0]
	v_pk_add_f32 v[66:67], v[66:67], v[164:165]
	v_pk_fma_f32 v[58:59], v[106:107], v[90:91], v[58:59] neg_lo:[0,0,1] neg_hi:[0,0,1]
	v_pk_mul_f32 v[62:63], v[110:111], v[94:95] op_sel:[1,1] op_sel_hi:[0,1]
	v_mov_b32_e32 v59, v69
	v_pk_fma_f32 v[68:69], v[108:109], v[92:93], v[60:61] op_sel_hi:[1,0,1]
	v_pk_add_f32 v[66:67], v[66:67], v[166:167]
	v_pk_fma_f32 v[60:61], v[108:109], v[92:93], v[60:61] neg_lo:[0,0,1] neg_hi:[0,0,1]
	v_pk_fma_f32 v[72:73], v[110:111], v[94:95], v[62:63] op_sel_hi:[1,0,1]
	v_pk_mul_f32 v[64:65], v[158:159], v[64:65] op_sel_hi:[1,0]
	v_mov_b32_e32 v61, v69
	v_pk_add_f32 v[58:59], v[66:67], v[58:59]
	s_wait_loadcnt 0x2
	v_pk_mul_f32 v[70:71], v[114:115], v[98:99] op_sel:[1,1] op_sel_hi:[0,1]
	v_mov_b32_e32 v66, v101
	v_pk_fma_f32 v[62:63], v[110:111], v[94:95], v[62:63] neg_lo:[0,0,1] neg_hi:[0,0,1]
	v_pk_fma_f32 v[68:69], v[112:113], v[96:97], v[64:65] op_sel_hi:[1,0,1]
	v_mov_b32_e32 v63, v73
	v_pk_add_f32 v[58:59], v[58:59], v[60:61]
	v_pk_fma_f32 v[60:61], v[114:115], v[98:99], v[70:71] op_sel_hi:[1,0,1]
	v_pk_mul_f32 v[66:67], v[160:161], v[66:67] op_sel_hi:[1,0]
	v_pk_fma_f32 v[64:65], v[112:113], v[96:97], v[64:65] neg_lo:[0,0,1] neg_hi:[0,0,1]
	v_mov_b32_e32 v65, v69
	v_pk_add_f32 v[58:59], v[58:59], v[62:63]
	v_pk_fma_f32 v[68:69], v[114:115], v[98:99], v[70:71] neg_lo:[0,0,1] neg_hi:[0,0,1]
	v_mov_b32_e32 v69, v61
	v_pk_fma_f32 v[60:61], v[116:117], v[100:101], v[66:67] op_sel_hi:[1,0,1]
	s_wait_loadcnt 0x1
	v_pk_mul_f32 v[62:63], v[118:119], v[102:103] op_sel:[1,1] op_sel_hi:[0,1]
	v_pk_add_f32 v[58:59], v[58:59], v[64:65]
	v_mov_b32_e32 v60, v105
	v_pk_fma_f32 v[66:67], v[116:117], v[100:101], v[66:67] neg_lo:[0,0,1] neg_hi:[0,0,1]
	s_delay_alu instid0(VALU_DEP_4)
	v_pk_fma_f32 v[64:65], v[118:119], v[102:103], v[62:63] op_sel_hi:[1,0,1]
	v_mov_b32_e32 v67, v61
	v_pk_add_f32 v[58:59], v[58:59], v[68:69]
	v_pk_mul_f32 v[60:61], v[162:163], v[60:61] op_sel_hi:[1,0]
	v_pk_fma_f32 v[62:63], v[118:119], v[102:103], v[62:63] neg_lo:[0,0,1] neg_hi:[0,0,1]
	v_mov_b32_e32 v63, v65
	s_delay_alu instid0(VALU_DEP_4) | instskip(NEXT) | instid1(VALU_DEP_4)
	v_pk_add_f32 v[58:59], v[58:59], v[66:67]
	v_pk_fma_f32 v[64:65], v[120:121], v[104:105], v[60:61] op_sel_hi:[1,0,1]
	v_pk_fma_f32 v[60:61], v[120:121], v[104:105], v[60:61] neg_lo:[0,0,1] neg_hi:[0,0,1]
	s_delay_alu instid0(VALU_DEP_3) | instskip(NEXT) | instid1(VALU_DEP_3)
	v_pk_add_f32 v[58:59], v[58:59], v[62:63]
	v_mov_b32_e32 v61, v65
	s_delay_alu instid0(VALU_DEP_1) | instskip(SKIP_1) | instid1(VALU_DEP_1)
	v_pk_add_f32 v[58:59], v[58:59], v[60:61]
	s_wait_loadcnt 0x0
	v_pk_add_f32 v[58:59], v[154:155], v[58:59] neg_lo:[0,1] neg_hi:[0,1]
	scratch_store_b64 off, v[58:59], off offset:24
	s_wait_xcnt 0x0
	v_cmpx_lt_u32_e32 2, v0
	s_cbranch_execz .LBB91_177
; %bb.176:
	scratch_load_b64 v[58:59], off, off offset:16
	v_mov_b64_e32 v[60:61], 0
	scratch_store_b64 off, v[60:61], off offset:16
	s_wait_loadcnt 0x0
	ds_store_b64 v1, v[58:59]
.LBB91_177:
	s_wait_xcnt 0x0
	s_or_b32 exec_lo, exec_lo, s0
	s_wait_storecnt_dscnt 0x0
	s_barrier_signal -1
	s_barrier_wait -1
	s_clause 0xd
	scratch_load_b128 v[58:61], off, off offset:24
	scratch_load_b128 v[62:65], off, off offset:40
	;; [unrolled: 1-line block ×12, first 2 shown]
	scratch_load_b64 v[154:155], off, off offset:216
	scratch_load_b64 v[156:157], off, off offset:16
	v_mov_b32_e32 v37, 0
	ds_load_2addr_b64 v[106:109], v37 offset0:47 offset1:48
	ds_load_2addr_b64 v[110:113], v37 offset0:49 offset1:50
	ds_load_2addr_b64 v[114:117], v37 offset0:51 offset1:52
	ds_load_2addr_b64 v[118:121], v37 offset0:53 offset1:54
	ds_load_2addr_b64 v[122:125], v37 offset0:31 offset1:32
	ds_load_2addr_b64 v[126:129], v37 offset0:33 offset1:34
	ds_load_2addr_b64 v[130:133], v37 offset0:35 offset1:36
	ds_load_2addr_b64 v[134:137], v37 offset0:37 offset1:38
	ds_load_2addr_b64 v[138:141], v37 offset0:39 offset1:40
	ds_load_2addr_b64 v[142:145], v37 offset0:41 offset1:42
	ds_load_2addr_b64 v[146:149], v37 offset0:43 offset1:44
	ds_load_2addr_b64 v[150:153], v37 offset0:45 offset1:46
	ds_load_b64 v[158:159], v37 offset:440
	s_mov_b32 s0, exec_lo
	s_wait_dscnt 0xc
	v_dual_mov_b32 v160, v109 :: v_dual_mov_b32 v161, v108
	s_wait_dscnt 0x9
	v_dual_mov_b32 v162, v113 :: v_dual_mov_b32 v167, v120
	v_dual_mov_b32 v163, v112 :: v_dual_mov_b32 v164, v117
	v_dual_mov_b32 v165, v116 :: v_dual_mov_b32 v166, v121
	s_wait_loadcnt_dscnt 0xd08
	v_dual_mul_f32 v7, v122, v59 :: v_dual_mul_f32 v39, v123, v59
	v_dual_mul_f32 v41, v125, v61 :: v_dual_mul_f32 v9, v124, v61
	s_wait_loadcnt_dscnt 0xc07
	v_mul_f32_e32 v11, v126, v63
	s_wait_loadcnt_dscnt 0xa05
	v_dual_mul_f32 v51, v135, v71 :: v_dual_fma_f32 v39, v122, v58, -v39
	v_dual_fmac_f32 v7, v123, v58 :: v_dual_mul_f32 v53, v137, v73
	v_dual_mul_f32 v43, v127, v63 :: v_dual_mul_f32 v45, v129, v65
	s_delay_alu instid0(VALU_DEP_2) | instskip(NEXT) | instid1(VALU_DEP_4)
	v_dual_fmac_f32 v9, v125, v60 :: v_dual_add_f32 v7, 0, v7
	v_dual_fma_f32 v41, v124, v60, -v41 :: v_dual_add_f32 v39, 0, v39
	v_dual_mul_f32 v13, v128, v65 :: v_dual_mul_f32 v15, v130, v67
	s_wait_loadcnt_dscnt 0x904
	v_dual_mul_f32 v55, v139, v75 :: v_dual_fma_f32 v43, v126, v62, -v43
	v_fmac_f32_e32 v11, v127, v62
	s_delay_alu instid0(VALU_DEP_3) | instskip(SKIP_2) | instid1(VALU_DEP_3)
	v_dual_add_f32 v7, v7, v9 :: v_dual_fmac_f32 v13, v129, v64
	v_dual_add_f32 v9, v39, v41 :: v_dual_fma_f32 v41, v128, v64, -v45
	v_dual_mul_f32 v47, v131, v67 :: v_dual_mul_f32 v49, v133, v69
	v_dual_mul_f32 v39, v141, v77 :: v_dual_add_f32 v7, v7, v11
	s_delay_alu instid0(VALU_DEP_3) | instskip(SKIP_2) | instid1(VALU_DEP_2)
	v_dual_add_f32 v9, v9, v43 :: v_dual_fmac_f32 v15, v131, v66
	v_dual_mul_f32 v17, v132, v69 :: v_dual_mul_f32 v19, v134, v71
	s_wait_loadcnt_dscnt 0x803
	v_dual_mul_f32 v11, v143, v79 :: v_dual_add_f32 v9, v9, v41
	v_dual_fma_f32 v43, v130, v66, -v47 :: v_dual_add_f32 v7, v7, v13
	s_delay_alu instid0(VALU_DEP_3) | instskip(SKIP_1) | instid1(VALU_DEP_3)
	v_fmac_f32_e32 v17, v133, v68
	v_dual_mul_f32 v13, v145, v81 :: v_dual_fma_f32 v41, v132, v68, -v49
	v_dual_add_f32 v9, v9, v43 :: v_dual_fmac_f32 v19, v135, v70
	s_delay_alu instid0(VALU_DEP_4) | instskip(SKIP_2) | instid1(VALU_DEP_3)
	v_dual_add_f32 v7, v7, v15 :: v_dual_fma_f32 v43, v134, v70, -v51
	v_dual_mul_f32 v21, v136, v73 :: v_dual_mul_f32 v23, v138, v75
	s_wait_loadcnt_dscnt 0x702
	v_dual_mul_f32 v15, v147, v83 :: v_dual_add_f32 v9, v9, v41
	s_delay_alu instid0(VALU_DEP_2) | instskip(SKIP_1) | instid1(VALU_DEP_3)
	v_dual_add_f32 v7, v7, v17 :: v_dual_fmac_f32 v21, v137, v72
	v_dual_mul_f32 v17, v149, v85 :: v_dual_fma_f32 v41, v136, v72, -v53
	v_dual_add_f32 v9, v9, v43 :: v_dual_fmac_f32 v23, v139, v74
	s_delay_alu instid0(VALU_DEP_3) | instskip(SKIP_2) | instid1(VALU_DEP_3)
	v_dual_add_f32 v7, v7, v19 :: v_dual_fma_f32 v43, v138, v74, -v55
	v_dual_mul_f32 v25, v140, v77 :: v_dual_mul_f32 v27, v142, v79
	s_wait_loadcnt_dscnt 0x601
	v_dual_mul_f32 v19, v151, v87 :: v_dual_add_f32 v9, v9, v41
	s_delay_alu instid0(VALU_DEP_2) | instskip(SKIP_1) | instid1(VALU_DEP_3)
	v_dual_add_f32 v7, v7, v21 :: v_dual_fmac_f32 v25, v141, v76
	v_dual_mul_f32 v21, v153, v89 :: v_dual_fma_f32 v39, v140, v76, -v39
	v_dual_add_f32 v9, v9, v43 :: v_dual_fmac_f32 v27, v143, v78
	s_delay_alu instid0(VALU_DEP_3) | instskip(SKIP_1) | instid1(VALU_DEP_2)
	v_dual_add_f32 v7, v7, v23 :: v_dual_fma_f32 v11, v142, v78, -v11
	v_dual_mul_f32 v29, v144, v81 :: v_dual_mul_f32 v31, v146, v83
	v_dual_add_f32 v9, v9, v39 :: v_dual_add_f32 v7, v7, v25
	v_fma_f32 v13, v144, v80, -v13
	s_delay_alu instid0(VALU_DEP_3) | instskip(SKIP_1) | instid1(VALU_DEP_4)
	v_dual_fmac_f32 v29, v145, v80 :: v_dual_mul_f32 v33, v148, v85
	v_mul_f32_e32 v35, v150, v87
	v_add_f32_e32 v7, v7, v27
	v_dual_add_f32 v9, v9, v11 :: v_dual_fmac_f32 v31, v147, v82
	s_wait_loadcnt 0x4
	v_dual_fma_f32 v11, v146, v82, -v15 :: v_dual_mov_b32 v62, v97
	s_delay_alu instid0(VALU_DEP_3) | instskip(NEXT) | instid1(VALU_DEP_3)
	v_add_f32_e32 v7, v7, v29
	v_add_f32_e32 v9, v9, v13
	v_fmac_f32_e32 v33, v149, v84
	v_fma_f32 v13, v148, v84, -v17
	v_dual_mul_f32 v169, v152, v89 :: v_dual_mul_f32 v171, v106, v91
	v_add_f32_e32 v7, v7, v31
	v_dual_add_f32 v9, v9, v11 :: v_dual_fmac_f32 v35, v151, v86
	v_dual_mul_f32 v23, v107, v91 :: v_dual_mov_b32 v58, v93
	s_delay_alu instid0(VALU_DEP_3) | instskip(NEXT) | instid1(VALU_DEP_3)
	v_dual_fma_f32 v11, v150, v86, -v19 :: v_dual_add_f32 v7, v7, v33
	v_dual_add_f32 v9, v9, v13 :: v_dual_fma_f32 v168, v152, v88, -v21
	v_fmac_f32_e32 v169, v153, v88
	s_delay_alu instid0(VALU_DEP_4) | instskip(NEXT) | instid1(VALU_DEP_4)
	v_pk_mul_f32 v[58:59], v[160:161], v[58:59] op_sel_hi:[1,0]
	v_add_f32_e32 v67, v7, v35
	s_delay_alu instid0(VALU_DEP_4)
	v_dual_add_f32 v66, v9, v11 :: v_dual_fmac_f32 v171, v107, v90
	v_pk_mul_f32 v[60:61], v[110:111], v[94:95] op_sel:[1,1] op_sel_hi:[0,1]
	s_wait_loadcnt 0x3
	v_dual_mov_b32 v68, v101 :: v_dual_fma_f32 v170, v106, v90, -v23
	v_pk_fma_f32 v[70:71], v[108:109], v[92:93], v[58:59] op_sel_hi:[1,0,1]
	v_pk_add_f32 v[66:67], v[66:67], v[168:169]
	v_pk_fma_f32 v[58:59], v[108:109], v[92:93], v[58:59] neg_lo:[0,0,1] neg_hi:[0,0,1]
	v_pk_fma_f32 v[72:73], v[110:111], v[94:95], v[60:61] op_sel_hi:[1,0,1]
	v_pk_mul_f32 v[62:63], v[162:163], v[62:63] op_sel_hi:[1,0]
	v_mov_b32_e32 v59, v71
	v_pk_add_f32 v[66:67], v[66:67], v[170:171]
	v_pk_fma_f32 v[60:61], v[110:111], v[94:95], v[60:61] neg_lo:[0,0,1] neg_hi:[0,0,1]
	v_pk_mul_f32 v[64:65], v[114:115], v[98:99] op_sel:[1,1] op_sel_hi:[0,1]
	v_mov_b32_e32 v61, v73
	v_pk_fma_f32 v[72:73], v[112:113], v[96:97], v[62:63] op_sel_hi:[1,0,1]
	v_pk_add_f32 v[58:59], v[66:67], v[58:59]
	v_pk_fma_f32 v[62:63], v[112:113], v[96:97], v[62:63] neg_lo:[0,0,1] neg_hi:[0,0,1]
	v_pk_fma_f32 v[66:67], v[114:115], v[98:99], v[64:65] op_sel_hi:[1,0,1]
	v_pk_mul_f32 v[68:69], v[164:165], v[68:69] op_sel_hi:[1,0]
	v_mov_b32_e32 v63, v73
	v_pk_add_f32 v[58:59], v[58:59], v[60:61]
	v_pk_fma_f32 v[64:65], v[114:115], v[98:99], v[64:65] neg_lo:[0,0,1] neg_hi:[0,0,1]
	s_wait_loadcnt 0x2
	v_pk_mul_f32 v[70:71], v[118:119], v[102:103] op_sel:[1,1] op_sel_hi:[0,1]
	v_dual_mov_b32 v60, v105 :: v_dual_mov_b32 v65, v67
	v_pk_fma_f32 v[66:67], v[116:117], v[100:101], v[68:69] op_sel_hi:[1,0,1]
	v_pk_add_f32 v[58:59], v[58:59], v[62:63]
	v_pk_fma_f32 v[68:69], v[116:117], v[100:101], v[68:69] neg_lo:[0,0,1] neg_hi:[0,0,1]
	v_pk_fma_f32 v[62:63], v[118:119], v[102:103], v[70:71] op_sel_hi:[1,0,1]
	v_pk_mul_f32 v[60:61], v[166:167], v[60:61] op_sel_hi:[1,0]
	v_mov_b32_e32 v69, v67
	v_pk_add_f32 v[58:59], v[58:59], v[64:65]
	v_pk_fma_f32 v[64:65], v[118:119], v[102:103], v[70:71] neg_lo:[0,0,1] neg_hi:[0,0,1]
	v_mov_b32_e32 v65, v63
	v_pk_fma_f32 v[62:63], v[120:121], v[104:105], v[60:61] op_sel_hi:[1,0,1]
	s_wait_loadcnt_dscnt 0x100
	v_pk_mul_f32 v[66:67], v[158:159], v[154:155] op_sel:[1,1] op_sel_hi:[0,1]
	v_pk_add_f32 v[58:59], v[58:59], v[68:69]
	v_pk_fma_f32 v[60:61], v[120:121], v[104:105], v[60:61] neg_lo:[0,0,1] neg_hi:[0,0,1]
	v_mov_b32_e32 v61, v63
	s_delay_alu instid0(VALU_DEP_4) | instskip(NEXT) | instid1(VALU_DEP_4)
	v_pk_fma_f32 v[62:63], v[158:159], v[154:155], v[66:67] op_sel_hi:[1,0,1]
	v_pk_add_f32 v[58:59], v[58:59], v[64:65]
	v_pk_fma_f32 v[64:65], v[158:159], v[154:155], v[66:67] neg_lo:[0,0,1] neg_hi:[0,0,1]
	s_delay_alu instid0(VALU_DEP_3) | instskip(NEXT) | instid1(VALU_DEP_3)
	v_mov_b32_e32 v65, v63
	v_pk_add_f32 v[58:59], v[58:59], v[60:61]
	s_delay_alu instid0(VALU_DEP_1) | instskip(SKIP_1) | instid1(VALU_DEP_1)
	v_pk_add_f32 v[58:59], v[58:59], v[64:65]
	s_wait_loadcnt 0x0
	v_pk_add_f32 v[58:59], v[156:157], v[58:59] neg_lo:[0,1] neg_hi:[0,1]
	scratch_store_b64 off, v[58:59], off offset:16
	s_wait_xcnt 0x0
	v_cmpx_lt_u32_e32 1, v0
	s_cbranch_execz .LBB91_179
; %bb.178:
	scratch_load_b64 v[58:59], off, off offset:8
	v_mov_b64_e32 v[60:61], 0
	scratch_store_b64 off, v[60:61], off offset:8
	s_wait_loadcnt 0x0
	ds_store_b64 v1, v[58:59]
.LBB91_179:
	s_wait_xcnt 0x0
	s_or_b32 exec_lo, exec_lo, s0
	s_wait_storecnt_dscnt 0x0
	s_barrier_signal -1
	s_barrier_wait -1
	s_clause 0xd
	scratch_load_b128 v[58:61], off, off offset:16
	scratch_load_b128 v[62:65], off, off offset:32
	;; [unrolled: 1-line block ×13, first 2 shown]
	scratch_load_b64 v[162:163], off, off offset:8
	ds_load_b128 v[110:113], v37 offset:368
	ds_load_b128 v[114:117], v37 offset:384
	;; [unrolled: 1-line block ×13, first 2 shown]
	v_ashrrev_i32_e32 v35, 31, v34
	v_dual_ashrrev_i32 v7, 31, v6 :: v_dual_ashrrev_i32 v9, 31, v8
	v_dual_ashrrev_i32 v11, 31, v10 :: v_dual_ashrrev_i32 v13, 31, v12
	v_dual_ashrrev_i32 v15, 31, v14 :: v_dual_ashrrev_i32 v17, 31, v16
	v_dual_ashrrev_i32 v19, 31, v18 :: v_dual_ashrrev_i32 v21, 31, v20
	v_dual_ashrrev_i32 v23, 31, v22 :: v_dual_ashrrev_i32 v25, 31, v24
	s_wait_dscnt 0xb
	v_dual_mov_b32 v164, v117 :: v_dual_mov_b32 v165, v116
	s_wait_dscnt 0x8
	v_dual_mov_b32 v166, v121 :: v_dual_mov_b32 v171, v128
	v_dual_mov_b32 v167, v120 :: v_dual_mov_b32 v168, v125
	;; [unrolled: 1-line block ×3, first 2 shown]
	v_dual_ashrrev_i32 v27, 31, v26 :: v_dual_ashrrev_i32 v29, 31, v28
	v_dual_ashrrev_i32 v31, 31, v30 :: v_dual_ashrrev_i32 v33, 31, v32
	s_mov_b32 s0, exec_lo
	s_wait_loadcnt_dscnt 0xd07
	v_dual_mul_f32 v37, v130, v59 :: v_dual_mul_f32 v39, v132, v61
	s_wait_loadcnt_dscnt 0xc06
	v_mul_f32_e32 v41, v134, v63
	s_wait_loadcnt_dscnt 0xb05
	v_dual_mul_f32 v177, v131, v59 :: v_dual_mul_f32 v47, v140, v69
	s_wait_loadcnt_dscnt 0xa04
	v_dual_mul_f32 v49, v142, v71 :: v_dual_mul_f32 v178, v133, v61
	s_wait_loadcnt_dscnt 0x600
	v_mul_f32_e32 v176, v160, v89
	v_dual_mul_f32 v69, v141, v69 :: v_dual_fmac_f32 v37, v131, v58
	v_dual_fma_f32 v58, v130, v58, -v177 :: v_dual_mul_f32 v71, v143, v71
	s_wait_loadcnt 0x5
	v_dual_mul_f32 v59, v110, v91 :: v_dual_mul_f32 v61, v112, v93
	v_dual_mul_f32 v63, v135, v63 :: v_dual_fmac_f32 v39, v133, v60
	v_dual_fma_f32 v60, v132, v60, -v178 :: v_dual_add_f32 v37, 0, v37
	v_dual_add_f32 v58, 0, v58 :: v_dual_mul_f32 v43, v136, v65
	v_dual_mul_f32 v45, v138, v67 :: v_dual_mul_f32 v51, v144, v73
	v_dual_mul_f32 v53, v146, v75 :: v_dual_mul_f32 v65, v137, v65
	;; [unrolled: 1-line block ×3, first 2 shown]
	v_dual_fmac_f32 v41, v135, v62 :: v_dual_fma_f32 v62, v134, v62, -v63
	v_dual_add_f32 v37, v37, v39 :: v_dual_add_f32 v39, v58, v60
	v_dual_mul_f32 v58, v147, v75 :: v_dual_fmac_f32 v43, v137, v64
	s_delay_alu instid0(VALU_DEP_2) | instskip(NEXT) | instid1(VALU_DEP_3)
	v_dual_fma_f32 v60, v136, v64, -v65 :: v_dual_add_f32 v37, v37, v41
	v_dual_add_f32 v39, v39, v62 :: v_dual_mul_f32 v41, v149, v77
	v_dual_fmac_f32 v45, v139, v66 :: v_dual_fma_f32 v62, v138, v66, -v67
	s_delay_alu instid0(VALU_DEP_2) | instskip(SKIP_1) | instid1(VALU_DEP_2)
	v_dual_add_f32 v37, v37, v43 :: v_dual_add_f32 v39, v39, v60
	v_dual_mul_f32 v43, v151, v79 :: v_dual_fmac_f32 v47, v141, v68
	v_dual_fmac_f32 v49, v143, v70 :: v_dual_add_f32 v37, v37, v45
	s_delay_alu instid0(VALU_DEP_3) | instskip(SKIP_1) | instid1(VALU_DEP_3)
	v_dual_fma_f32 v60, v140, v68, -v69 :: v_dual_add_f32 v39, v39, v62
	v_dual_mul_f32 v45, v153, v81 :: v_dual_fma_f32 v62, v142, v70, -v71
	v_add_f32_e32 v37, v37, v47
	v_dual_mul_f32 v47, v155, v83 :: v_dual_fmac_f32 v51, v145, v72
	s_delay_alu instid0(VALU_DEP_4) | instskip(NEXT) | instid1(VALU_DEP_3)
	v_dual_add_f32 v39, v39, v60 :: v_dual_mul_f32 v55, v148, v77
	v_dual_mul_f32 v57, v150, v79 :: v_dual_add_f32 v37, v37, v49
	s_delay_alu instid0(VALU_DEP_2) | instskip(SKIP_1) | instid1(VALU_DEP_3)
	v_dual_fma_f32 v60, v144, v72, -v73 :: v_dual_add_f32 v39, v39, v62
	v_dual_mul_f32 v49, v157, v85 :: v_dual_fmac_f32 v53, v147, v74
	v_dual_fma_f32 v58, v146, v74, -v58 :: v_dual_add_f32 v37, v37, v51
	s_delay_alu instid0(VALU_DEP_3) | instskip(SKIP_2) | instid1(VALU_DEP_4)
	v_add_f32_e32 v39, v39, v60
	v_dual_mul_f32 v51, v159, v87 :: v_dual_fmac_f32 v55, v149, v76
	v_dual_mul_f32 v172, v152, v81 :: v_dual_mul_f32 v173, v154, v83
	v_dual_add_f32 v37, v37, v53 :: v_dual_fma_f32 v41, v148, v76, -v41
	s_delay_alu instid0(VALU_DEP_4) | instskip(SKIP_1) | instid1(VALU_DEP_2)
	v_dual_add_f32 v39, v39, v58 :: v_dual_mul_f32 v53, v161, v89
	v_dual_fmac_f32 v57, v151, v78 :: v_dual_fma_f32 v43, v150, v78, -v43
	v_dual_add_f32 v37, v37, v55 :: v_dual_add_f32 v39, v39, v41
	v_dual_fmac_f32 v172, v153, v80 :: v_dual_mul_f32 v41, v111, v91
	s_delay_alu instid0(VALU_DEP_2) | instskip(NEXT) | instid1(VALU_DEP_3)
	v_dual_fma_f32 v45, v152, v80, -v45 :: v_dual_add_f32 v37, v37, v57
	v_dual_add_f32 v39, v39, v43 :: v_dual_mul_f32 v174, v156, v85
	v_dual_mul_f32 v175, v158, v87 :: v_dual_mul_f32 v43, v113, v93
	v_dual_fmac_f32 v173, v155, v82 :: v_dual_fma_f32 v47, v154, v82, -v47
	s_delay_alu instid0(VALU_DEP_3) | instskip(NEXT) | instid1(VALU_DEP_4)
	v_dual_add_f32 v37, v37, v172 :: v_dual_add_f32 v39, v39, v45
	v_dual_fmac_f32 v174, v157, v84 :: v_dual_fma_f32 v45, v156, v84, -v49
	s_wait_loadcnt 0x4
	v_mov_b32_e32 v64, v97
	s_delay_alu instid0(VALU_DEP_3) | instskip(SKIP_2) | instid1(VALU_DEP_3)
	v_dual_add_f32 v37, v37, v173 :: v_dual_add_f32 v39, v39, v47
	v_dual_fmac_f32 v175, v159, v86 :: v_dual_fmac_f32 v176, v161, v88
	v_fma_f32 v47, v158, v86, -v51
	v_dual_add_f32 v37, v37, v174 :: v_dual_add_f32 v39, v39, v45
	v_fma_f32 v45, v160, v88, -v53
	v_pk_mul_f32 v[62:63], v[114:115], v[94:95] op_sel:[1,1] op_sel_hi:[0,1]
	s_wait_loadcnt 0x3
	v_mov_b32_e32 v68, v101
	v_dual_add_f32 v37, v37, v175 :: v_dual_fmac_f32 v59, v111, v90
	v_dual_add_f32 v39, v39, v47 :: v_dual_fma_f32 v58, v110, v90, -v41
	v_fmac_f32_e32 v61, v113, v92
	s_delay_alu instid0(VALU_DEP_3) | instskip(SKIP_1) | instid1(VALU_DEP_4)
	v_add_f32_e32 v71, v37, v176
	v_pk_fma_f32 v[72:73], v[114:115], v[94:95], v[62:63] op_sel_hi:[1,0,1]
	v_dual_add_f32 v70, v39, v45 :: v_dual_fma_f32 v60, v112, v92, -v43
	v_pk_mul_f32 v[64:65], v[164:165], v[64:65] op_sel_hi:[1,0]
	v_pk_fma_f32 v[62:63], v[114:115], v[94:95], v[62:63] neg_lo:[0,0,1] neg_hi:[0,0,1]
	v_pk_mul_f32 v[66:67], v[118:119], v[98:99] op_sel:[1,1] op_sel_hi:[0,1]
	s_delay_alu instid0(VALU_DEP_4)
	v_pk_add_f32 v[58:59], v[70:71], v[58:59]
	v_mov_b32_e32 v63, v73
	v_pk_fma_f32 v[72:73], v[116:117], v[96:97], v[64:65] op_sel_hi:[1,0,1]
	v_pk_fma_f32 v[64:65], v[116:117], v[96:97], v[64:65] neg_lo:[0,0,1] neg_hi:[0,0,1]
	v_pk_mul_f32 v[68:69], v[166:167], v[68:69] op_sel_hi:[1,0]
	v_pk_add_f32 v[58:59], v[58:59], v[60:61]
	v_pk_fma_f32 v[60:61], v[118:119], v[98:99], v[66:67] op_sel_hi:[1,0,1]
	s_wait_loadcnt 0x2
	v_dual_mov_b32 v65, v73 :: v_dual_mov_b32 v60, v105
	v_pk_mul_f32 v[70:71], v[122:123], v[102:103] op_sel:[1,1] op_sel_hi:[0,1]
	v_pk_add_f32 v[58:59], v[58:59], v[62:63]
	v_pk_fma_f32 v[62:63], v[118:119], v[98:99], v[66:67] neg_lo:[0,0,1] neg_hi:[0,0,1]
	v_pk_fma_f32 v[66:67], v[120:121], v[100:101], v[68:69] op_sel_hi:[1,0,1]
	v_mov_b32_e32 v63, v61
	v_pk_mul_f32 v[60:61], v[168:169], v[60:61] op_sel_hi:[1,0]
	v_pk_add_f32 v[58:59], v[58:59], v[64:65]
	v_pk_fma_f32 v[64:65], v[122:123], v[102:103], v[70:71] op_sel_hi:[1,0,1]
	v_pk_fma_f32 v[68:69], v[120:121], v[100:101], v[68:69] neg_lo:[0,0,1] neg_hi:[0,0,1]
	v_mov_b32_e32 v69, v67
	v_pk_fma_f32 v[66:67], v[122:123], v[102:103], v[70:71] neg_lo:[0,0,1] neg_hi:[0,0,1]
	v_pk_add_f32 v[58:59], v[58:59], v[62:63]
	v_mov_b32_e32 v67, v65
	v_pk_fma_f32 v[64:65], v[124:125], v[104:105], v[60:61] op_sel_hi:[1,0,1]
	s_wait_loadcnt 0x1
	v_pk_mul_f32 v[62:63], v[126:127], v[106:107] op_sel:[1,1] op_sel_hi:[0,1]
	v_mov_b32_e32 v64, v109
	v_pk_add_f32 v[58:59], v[58:59], v[68:69]
	v_pk_fma_f32 v[60:61], v[124:125], v[104:105], v[60:61] neg_lo:[0,0,1] neg_hi:[0,0,1]
	v_dual_mov_b32 v61, v65 :: v_dual_ashrrev_i32 v37, 31, v36
	v_pk_fma_f32 v[68:69], v[126:127], v[106:107], v[62:63] op_sel_hi:[1,0,1]
	s_delay_alu instid0(VALU_DEP_4) | instskip(SKIP_2) | instid1(VALU_DEP_4)
	v_pk_add_f32 v[58:59], v[58:59], v[66:67]
	v_pk_mul_f32 v[64:65], v[170:171], v[64:65] op_sel_hi:[1,0]
	v_pk_fma_f32 v[62:63], v[126:127], v[106:107], v[62:63] neg_lo:[0,0,1] neg_hi:[0,0,1]
	v_dual_ashrrev_i32 v39, 31, v38 :: v_dual_mov_b32 v63, v69
	s_delay_alu instid0(VALU_DEP_4) | instskip(NEXT) | instid1(VALU_DEP_4)
	v_pk_add_f32 v[58:59], v[58:59], v[60:61]
	v_pk_fma_f32 v[60:61], v[128:129], v[108:109], v[64:65] op_sel_hi:[1,0,1]
	v_pk_fma_f32 v[64:65], v[128:129], v[108:109], v[64:65] neg_lo:[0,0,1] neg_hi:[0,0,1]
	v_dual_ashrrev_i32 v41, 31, v40 :: v_dual_ashrrev_i32 v43, 31, v42
	v_ashrrev_i32_e32 v45, 31, v44
	v_pk_add_f32 v[58:59], v[58:59], v[62:63]
	v_dual_mov_b32 v65, v61 :: v_dual_ashrrev_i32 v47, 31, v46
	v_dual_ashrrev_i32 v49, 31, v48 :: v_dual_ashrrev_i32 v51, 31, v50
	v_ashrrev_i32_e32 v53, 31, v52
	s_delay_alu instid0(VALU_DEP_3) | instskip(SKIP_2) | instid1(VALU_DEP_2)
	v_pk_add_f32 v[58:59], v[58:59], v[64:65]
	v_dual_ashrrev_i32 v55, 31, v54 :: v_dual_ashrrev_i32 v57, 31, v56
	s_wait_loadcnt 0x0
	v_pk_add_f32 v[58:59], v[162:163], v[58:59] neg_lo:[0,1] neg_hi:[0,1]
	scratch_store_b64 off, v[58:59], off offset:8
	s_wait_xcnt 0x0
	v_cmpx_ne_u32_e32 0, v0
	s_cbranch_execz .LBB91_181
; %bb.180:
	scratch_load_b64 v[58:59], off, off
	v_mov_b64_e32 v[60:61], 0
	scratch_store_b64 off, v[60:61], off
	s_wait_loadcnt 0x0
	ds_store_b64 v1, v[58:59]
.LBB91_181:
	s_wait_xcnt 0x0
	s_or_b32 exec_lo, exec_lo, s0
	s_wait_storecnt_dscnt 0x0
	s_barrier_signal -1
	s_barrier_wait -1
	s_clause 0xe
	scratch_load_b128 v[58:61], off, off offset:8
	scratch_load_b128 v[62:65], off, off offset:24
	;; [unrolled: 1-line block ×13, first 2 shown]
	scratch_load_b64 v[162:163], off, off offset:216
	scratch_load_b64 v[164:165], off, off
	v_mov_b32_e32 v0, 0
	ds_load_2addr_b64 v[110:113], v0 offset0:47 offset1:48
	ds_load_2addr_b64 v[114:117], v0 offset0:49 offset1:50
	;; [unrolled: 1-line block ×13, first 2 shown]
	ds_load_b64 v[166:167], v0 offset:440
	s_and_b32 vcc_lo, exec_lo, s12
	s_wait_dscnt 0xd
	v_dual_mov_b32 v168, v113 :: v_dual_mov_b32 v169, v112
	s_wait_dscnt 0xa
	v_dual_mov_b32 v170, v117 :: v_dual_mov_b32 v175, v124
	v_dual_mov_b32 v171, v116 :: v_dual_mov_b32 v172, v121
	v_dual_mov_b32 v173, v120 :: v_dual_mov_b32 v174, v125
	s_wait_loadcnt_dscnt 0xe09
	v_dual_mul_f32 v1, v126, v59 :: v_dual_mul_f32 v59, v127, v59
	s_wait_loadcnt_dscnt 0xd08
	v_dual_mul_f32 v176, v128, v61 :: v_dual_mul_f32 v178, v130, v63
	;; [unrolled: 2-line block ×3, first 2 shown]
	v_dual_mul_f32 v61, v129, v61 :: v_dual_mul_f32 v71, v143, v71
	v_dual_fmac_f32 v1, v127, v58 :: v_dual_fma_f32 v58, v126, v58, -v59
	v_dual_mul_f32 v63, v131, v63 :: v_dual_mul_f32 v59, v145, v73
	s_delay_alu instid0(VALU_DEP_3) | instskip(NEXT) | instid1(VALU_DEP_3)
	v_dual_fmac_f32 v176, v129, v60 :: v_dual_fma_f32 v60, v128, v60, -v61
	v_dual_add_f32 v1, 0, v1 :: v_dual_add_f32 v58, 0, v58
	v_dual_mul_f32 v180, v132, v65 :: v_dual_mul_f32 v181, v134, v67
	s_wait_loadcnt_dscnt 0xa04
	v_dual_mul_f32 v65, v133, v65 :: v_dual_mul_f32 v61, v147, v75
	s_delay_alu instid0(VALU_DEP_3)
	v_dual_fmac_f32 v178, v131, v62 :: v_dual_add_f32 v1, v1, v176
	v_fma_f32 v62, v130, v62, -v63
	v_dual_add_f32 v58, v58, v60 :: v_dual_mul_f32 v60, v149, v77
	v_dual_mul_f32 v67, v135, v67 :: v_dual_mul_f32 v69, v137, v69
	v_dual_fmac_f32 v180, v133, v64 :: v_dual_fma_f32 v63, v132, v64, -v65
	v_add_f32_e32 v1, v1, v178
	s_wait_loadcnt_dscnt 0x903
	v_dual_add_f32 v58, v58, v62 :: v_dual_mul_f32 v62, v151, v79
	v_dual_fmac_f32 v181, v135, v66 :: v_dual_fma_f32 v64, v134, v66, -v67
	s_delay_alu instid0(VALU_DEP_2) | instskip(SKIP_2) | instid1(VALU_DEP_3)
	v_dual_add_f32 v1, v1, v180 :: v_dual_add_f32 v58, v58, v63
	v_mul_f32_e32 v63, v153, v81
	v_dual_fmac_f32 v182, v137, v68 :: v_dual_fma_f32 v65, v136, v68, -v69
	v_dual_add_f32 v1, v1, v181 :: v_dual_add_f32 v58, v58, v64
	v_dual_mul_f32 v184, v144, v73 :: v_dual_mul_f32 v185, v146, v75
	s_wait_loadcnt_dscnt 0x802
	v_dual_mul_f32 v64, v155, v83 :: v_dual_fma_f32 v66, v142, v70, -v71
	s_delay_alu instid0(VALU_DEP_3) | instskip(SKIP_2) | instid1(VALU_DEP_3)
	v_dual_fmac_f32 v183, v143, v70 :: v_dual_add_f32 v58, v58, v65
	v_dual_add_f32 v1, v1, v182 :: v_dual_fma_f32 v59, v144, v72, -v59
	v_mul_f32_e32 v65, v157, v85
	v_dual_fmac_f32 v184, v145, v72 :: v_dual_add_f32 v58, v58, v66
	s_delay_alu instid0(VALU_DEP_3) | instskip(SKIP_3) | instid1(VALU_DEP_3)
	v_dual_add_f32 v1, v1, v183 :: v_dual_fmac_f32 v185, v147, v74
	v_dual_mul_f32 v186, v148, v77 :: v_dual_mul_f32 v187, v150, v79
	s_wait_loadcnt_dscnt 0x701
	v_dual_mul_f32 v66, v159, v87 :: v_dual_fma_f32 v61, v146, v74, -v61
	v_dual_add_f32 v1, v1, v184 :: v_dual_add_f32 v58, v58, v59
	v_mul_f32_e32 v59, v161, v89
	v_dual_fmac_f32 v186, v149, v76 :: v_dual_fma_f32 v60, v148, v76, -v60
	s_wait_loadcnt 0x6
	s_delay_alu instid0(VALU_DEP_3) | instskip(SKIP_3) | instid1(VALU_DEP_3)
	v_dual_add_f32 v1, v1, v185 :: v_dual_mul_f32 v67, v139, v91
	v_dual_add_f32 v58, v58, v61 :: v_dual_fmac_f32 v187, v151, v78
	v_dual_mul_f32 v188, v152, v81 :: v_dual_mul_f32 v189, v154, v83
	v_dual_fma_f32 v61, v150, v78, -v62 :: v_dual_mul_f32 v68, v141, v93
	v_dual_add_f32 v1, v1, v186 :: v_dual_add_f32 v58, v58, v60
	s_delay_alu instid0(VALU_DEP_3) | instskip(SKIP_1) | instid1(VALU_DEP_3)
	v_dual_fmac_f32 v188, v153, v80 :: v_dual_fma_f32 v60, v152, v80, -v63
	v_dual_mul_f32 v190, v156, v85 :: v_dual_mul_f32 v191, v158, v87
	v_dual_add_f32 v1, v1, v187 :: v_dual_add_f32 v58, v58, v61
	s_wait_loadcnt 0x5
	v_dual_mul_f32 v63, v111, v95 :: v_dual_fma_f32 v61, v154, v82, -v64
	s_delay_alu instid0(VALU_DEP_2) | instskip(NEXT) | instid1(VALU_DEP_3)
	v_dual_fmac_f32 v189, v155, v82 :: v_dual_add_f32 v1, v1, v188
	v_dual_add_f32 v60, v58, v60 :: v_dual_mov_b32 v58, v97
	v_dual_fmac_f32 v190, v157, v84 :: v_dual_fma_f32 v62, v156, v84, -v65
	s_delay_alu instid0(VALU_DEP_3) | instskip(NEXT) | instid1(VALU_DEP_3)
	v_dual_add_f32 v1, v1, v189 :: v_dual_fmac_f32 v191, v159, v86
	v_dual_add_f32 v64, v60, v61 :: v_dual_fma_f32 v65, v158, v86, -v66
	v_dual_mul_f32 v192, v160, v89 :: v_dual_mul_f32 v193, v138, v91
	s_delay_alu instid0(VALU_DEP_3) | instskip(SKIP_1) | instid1(VALU_DEP_3)
	v_dual_add_f32 v1, v1, v190 :: v_dual_fma_f32 v59, v160, v88, -v59
	s_wait_loadcnt 0x4
	v_dual_add_f32 v64, v64, v62 :: v_dual_mov_b32 v62, v101
	s_delay_alu instid0(VALU_DEP_3) | instskip(NEXT) | instid1(VALU_DEP_3)
	v_fmac_f32_e32 v192, v161, v88
	v_dual_add_f32 v1, v1, v191 :: v_dual_fmac_f32 v193, v139, v90
	s_delay_alu instid0(VALU_DEP_3) | instskip(SKIP_1) | instid1(VALU_DEP_3)
	v_add_f32_e32 v66, v64, v65
	v_dual_mul_f32 v177, v140, v93 :: v_dual_mul_f32 v179, v110, v95
	v_dual_fma_f32 v69, v138, v90, -v67 :: v_dual_add_f32 v1, v1, v192
	s_delay_alu instid0(VALU_DEP_2) | instskip(SKIP_1) | instid1(VALU_DEP_3)
	v_dual_add_f32 v66, v66, v59 :: v_dual_fmac_f32 v177, v141, v92
	v_pk_mul_f32 v[60:61], v[114:115], v[98:99] op_sel:[1,1] op_sel_hi:[0,1]
	v_dual_fma_f32 v176, v140, v92, -v68 :: v_dual_add_f32 v67, v1, v193
	v_pk_mul_f32 v[58:59], v[168:169], v[58:59] op_sel_hi:[1,0]
	s_wait_loadcnt 0x3
	v_dual_add_f32 v66, v66, v69 :: v_dual_mov_b32 v68, v105
	v_pk_fma_f32 v[72:73], v[114:115], v[98:99], v[60:61] op_sel_hi:[1,0,1]
	v_fmac_f32_e32 v179, v111, v94
	v_pk_fma_f32 v[70:71], v[112:113], v[96:97], v[58:59] op_sel_hi:[1,0,1]
	v_fma_f32 v178, v110, v94, -v63
	v_pk_add_f32 v[66:67], v[66:67], v[176:177]
	v_pk_fma_f32 v[58:59], v[112:113], v[96:97], v[58:59] neg_lo:[0,0,1] neg_hi:[0,0,1]
	v_pk_fma_f32 v[60:61], v[114:115], v[98:99], v[60:61] neg_lo:[0,0,1] neg_hi:[0,0,1]
	v_pk_mul_f32 v[62:63], v[170:171], v[62:63] op_sel_hi:[1,0]
	v_dual_mov_b32 v59, v71 :: v_dual_mov_b32 v61, v73
	v_pk_add_f32 v[66:67], v[66:67], v[178:179]
	v_pk_mul_f32 v[64:65], v[118:119], v[102:103] op_sel:[1,1] op_sel_hi:[0,1]
	s_delay_alu instid0(VALU_DEP_4)
	v_pk_fma_f32 v[72:73], v[116:117], v[100:101], v[62:63] op_sel_hi:[1,0,1]
	v_pk_fma_f32 v[62:63], v[116:117], v[100:101], v[62:63] neg_lo:[0,0,1] neg_hi:[0,0,1]
	v_pk_mul_f32 v[68:69], v[172:173], v[68:69] op_sel_hi:[1,0]
	v_pk_add_f32 v[58:59], v[66:67], v[58:59]
	v_pk_fma_f32 v[66:67], v[118:119], v[102:103], v[64:65] op_sel_hi:[1,0,1]
	v_mov_b32_e32 v63, v73
	v_pk_fma_f32 v[64:65], v[118:119], v[102:103], v[64:65] neg_lo:[0,0,1] neg_hi:[0,0,1]
	s_wait_loadcnt 0x2
	v_pk_mul_f32 v[70:71], v[122:123], v[106:107] op_sel:[1,1] op_sel_hi:[0,1]
	v_pk_add_f32 v[58:59], v[58:59], v[60:61]
	v_dual_mov_b32 v60, v109 :: v_dual_mov_b32 v65, v67
	v_pk_fma_f32 v[66:67], v[120:121], v[104:105], v[68:69] op_sel_hi:[1,0,1]
	v_pk_fma_f32 v[68:69], v[120:121], v[104:105], v[68:69] neg_lo:[0,0,1] neg_hi:[0,0,1]
	s_delay_alu instid0(VALU_DEP_4)
	v_pk_add_f32 v[58:59], v[58:59], v[62:63]
	v_pk_fma_f32 v[62:63], v[122:123], v[106:107], v[70:71] op_sel_hi:[1,0,1]
	v_pk_mul_f32 v[60:61], v[174:175], v[60:61] op_sel_hi:[1,0]
	v_mov_b32_e32 v69, v67
	v_pk_fma_f32 v[66:67], v[122:123], v[106:107], v[70:71] neg_lo:[0,0,1] neg_hi:[0,0,1]
	v_pk_add_f32 v[58:59], v[58:59], v[64:65]
	s_wait_loadcnt_dscnt 0x100
	v_pk_mul_f32 v[64:65], v[166:167], v[162:163] op_sel:[1,1] op_sel_hi:[0,1]
	v_mov_b32_e32 v67, v63
	v_pk_fma_f32 v[62:63], v[124:125], v[108:109], v[60:61] op_sel_hi:[1,0,1]
	v_pk_fma_f32 v[60:61], v[124:125], v[108:109], v[60:61] neg_lo:[0,0,1] neg_hi:[0,0,1]
	v_pk_add_f32 v[58:59], v[58:59], v[68:69]
	v_pk_fma_f32 v[68:69], v[166:167], v[162:163], v[64:65] op_sel_hi:[1,0,1]
	s_delay_alu instid0(VALU_DEP_4) | instskip(SKIP_1) | instid1(VALU_DEP_4)
	v_mov_b32_e32 v61, v63
	v_pk_fma_f32 v[62:63], v[166:167], v[162:163], v[64:65] neg_lo:[0,0,1] neg_hi:[0,0,1]
	v_pk_add_f32 v[58:59], v[58:59], v[66:67]
	s_delay_alu instid0(VALU_DEP_4) | instskip(NEXT) | instid1(VALU_DEP_2)
	v_mov_b32_e32 v63, v69
	v_pk_add_f32 v[58:59], v[58:59], v[60:61]
	s_delay_alu instid0(VALU_DEP_1) | instskip(SKIP_1) | instid1(VALU_DEP_1)
	v_pk_add_f32 v[58:59], v[58:59], v[62:63]
	s_wait_loadcnt 0x0
	v_pk_add_f32 v[58:59], v[164:165], v[58:59] neg_lo:[0,1] neg_hi:[0,1]
	scratch_store_b64 off, v[58:59], off
	s_cbranch_vccz .LBB91_236
; %bb.182:
	global_load_b32 v0, v0, s[8:9] offset:104
	s_wait_loadcnt 0x0
	v_cmp_ne_u32_e32 vcc_lo, 27, v0
	s_cbranch_vccz .LBB91_184
; %bb.183:
	s_wait_xcnt 0x0
	v_lshlrev_b32_e32 v0, 3, v0
	s_delay_alu instid0(VALU_DEP_1)
	v_mov_b32_e32 v60, v0
	scratch_load_b64 v[0:1], v60, off offset:-8
	scratch_load_b64 v[58:59], off, off offset:208
	s_wait_loadcnt 0x1
	scratch_store_b64 off, v[0:1], off offset:208
	s_wait_loadcnt 0x0
	scratch_store_b64 v60, v[58:59], off offset:-8
.LBB91_184:
	s_wait_xcnt 0x0
	v_mov_b32_e32 v0, 0
	global_load_b32 v1, v0, s[8:9] offset:100
	s_wait_loadcnt 0x0
	v_cmp_eq_u32_e32 vcc_lo, 26, v1
	s_cbranch_vccnz .LBB91_186
; %bb.185:
	v_lshlrev_b32_e32 v1, 3, v1
	scratch_load_b64 v[58:59], v1, off offset:-8
	scratch_load_b64 v[60:61], off, off offset:200
	s_wait_loadcnt 0x1
	scratch_store_b64 off, v[58:59], off offset:200
	s_wait_loadcnt 0x0
	scratch_store_b64 v1, v[60:61], off offset:-8
.LBB91_186:
	global_load_b32 v0, v0, s[8:9] offset:96
	s_wait_loadcnt 0x0
	v_cmp_eq_u32_e32 vcc_lo, 25, v0
	s_cbranch_vccnz .LBB91_188
; %bb.187:
	s_wait_xcnt 0x0
	v_lshlrev_b32_e32 v0, 3, v0
	s_delay_alu instid0(VALU_DEP_1)
	v_mov_b32_e32 v60, v0
	scratch_load_b64 v[0:1], v60, off offset:-8
	scratch_load_b64 v[58:59], off, off offset:192
	s_wait_loadcnt 0x1
	scratch_store_b64 off, v[0:1], off offset:192
	s_wait_loadcnt 0x0
	scratch_store_b64 v60, v[58:59], off offset:-8
.LBB91_188:
	s_wait_xcnt 0x0
	v_mov_b32_e32 v0, 0
	global_load_b32 v1, v0, s[8:9] offset:92
	s_wait_loadcnt 0x0
	v_cmp_eq_u32_e32 vcc_lo, 24, v1
	s_cbranch_vccnz .LBB91_190
; %bb.189:
	v_lshlrev_b32_e32 v1, 3, v1
	scratch_load_b64 v[58:59], v1, off offset:-8
	scratch_load_b64 v[60:61], off, off offset:184
	s_wait_loadcnt 0x1
	scratch_store_b64 off, v[58:59], off offset:184
	s_wait_loadcnt 0x0
	scratch_store_b64 v1, v[60:61], off offset:-8
.LBB91_190:
	global_load_b32 v0, v0, s[8:9] offset:88
	s_wait_loadcnt 0x0
	v_cmp_eq_u32_e32 vcc_lo, 23, v0
	s_cbranch_vccnz .LBB91_192
; %bb.191:
	s_wait_xcnt 0x0
	v_lshlrev_b32_e32 v0, 3, v0
	s_delay_alu instid0(VALU_DEP_1)
	v_mov_b32_e32 v60, v0
	scratch_load_b64 v[0:1], v60, off offset:-8
	scratch_load_b64 v[58:59], off, off offset:176
	s_wait_loadcnt 0x1
	scratch_store_b64 off, v[0:1], off offset:176
	s_wait_loadcnt 0x0
	scratch_store_b64 v60, v[58:59], off offset:-8
.LBB91_192:
	s_wait_xcnt 0x0
	v_mov_b32_e32 v0, 0
	global_load_b32 v1, v0, s[8:9] offset:84
	s_wait_loadcnt 0x0
	v_cmp_eq_u32_e32 vcc_lo, 22, v1
	s_cbranch_vccnz .LBB91_194
; %bb.193:
	v_lshlrev_b32_e32 v1, 3, v1
	scratch_load_b64 v[58:59], v1, off offset:-8
	scratch_load_b64 v[60:61], off, off offset:168
	s_wait_loadcnt 0x1
	scratch_store_b64 off, v[58:59], off offset:168
	s_wait_loadcnt 0x0
	scratch_store_b64 v1, v[60:61], off offset:-8
.LBB91_194:
	global_load_b32 v0, v0, s[8:9] offset:80
	s_wait_loadcnt 0x0
	v_cmp_eq_u32_e32 vcc_lo, 21, v0
	s_cbranch_vccnz .LBB91_196
; %bb.195:
	s_wait_xcnt 0x0
	v_lshlrev_b32_e32 v0, 3, v0
	s_delay_alu instid0(VALU_DEP_1)
	v_mov_b32_e32 v60, v0
	scratch_load_b64 v[0:1], v60, off offset:-8
	scratch_load_b64 v[58:59], off, off offset:160
	s_wait_loadcnt 0x1
	scratch_store_b64 off, v[0:1], off offset:160
	s_wait_loadcnt 0x0
	scratch_store_b64 v60, v[58:59], off offset:-8
.LBB91_196:
	s_wait_xcnt 0x0
	v_mov_b32_e32 v0, 0
	global_load_b32 v1, v0, s[8:9] offset:76
	s_wait_loadcnt 0x0
	v_cmp_eq_u32_e32 vcc_lo, 20, v1
	s_cbranch_vccnz .LBB91_198
; %bb.197:
	v_lshlrev_b32_e32 v1, 3, v1
	scratch_load_b64 v[58:59], v1, off offset:-8
	scratch_load_b64 v[60:61], off, off offset:152
	s_wait_loadcnt 0x1
	scratch_store_b64 off, v[58:59], off offset:152
	s_wait_loadcnt 0x0
	scratch_store_b64 v1, v[60:61], off offset:-8
.LBB91_198:
	global_load_b32 v0, v0, s[8:9] offset:72
	s_wait_loadcnt 0x0
	v_cmp_eq_u32_e32 vcc_lo, 19, v0
	s_cbranch_vccnz .LBB91_200
; %bb.199:
	s_wait_xcnt 0x0
	v_lshlrev_b32_e32 v0, 3, v0
	s_delay_alu instid0(VALU_DEP_1)
	v_mov_b32_e32 v60, v0
	scratch_load_b64 v[0:1], v60, off offset:-8
	scratch_load_b64 v[58:59], off, off offset:144
	s_wait_loadcnt 0x1
	scratch_store_b64 off, v[0:1], off offset:144
	s_wait_loadcnt 0x0
	scratch_store_b64 v60, v[58:59], off offset:-8
.LBB91_200:
	s_wait_xcnt 0x0
	v_mov_b32_e32 v0, 0
	global_load_b32 v1, v0, s[8:9] offset:68
	s_wait_loadcnt 0x0
	v_cmp_eq_u32_e32 vcc_lo, 18, v1
	s_cbranch_vccnz .LBB91_202
; %bb.201:
	v_lshlrev_b32_e32 v1, 3, v1
	scratch_load_b64 v[58:59], v1, off offset:-8
	scratch_load_b64 v[60:61], off, off offset:136
	s_wait_loadcnt 0x1
	scratch_store_b64 off, v[58:59], off offset:136
	s_wait_loadcnt 0x0
	scratch_store_b64 v1, v[60:61], off offset:-8
.LBB91_202:
	global_load_b32 v0, v0, s[8:9] offset:64
	s_wait_loadcnt 0x0
	v_cmp_eq_u32_e32 vcc_lo, 17, v0
	s_cbranch_vccnz .LBB91_204
; %bb.203:
	s_wait_xcnt 0x0
	v_lshlrev_b32_e32 v0, 3, v0
	s_delay_alu instid0(VALU_DEP_1)
	v_mov_b32_e32 v60, v0
	scratch_load_b64 v[0:1], v60, off offset:-8
	scratch_load_b64 v[58:59], off, off offset:128
	s_wait_loadcnt 0x1
	scratch_store_b64 off, v[0:1], off offset:128
	s_wait_loadcnt 0x0
	scratch_store_b64 v60, v[58:59], off offset:-8
.LBB91_204:
	s_wait_xcnt 0x0
	v_mov_b32_e32 v0, 0
	global_load_b32 v1, v0, s[8:9] offset:60
	s_wait_loadcnt 0x0
	v_cmp_eq_u32_e32 vcc_lo, 16, v1
	s_cbranch_vccnz .LBB91_206
; %bb.205:
	v_lshlrev_b32_e32 v1, 3, v1
	scratch_load_b64 v[58:59], v1, off offset:-8
	scratch_load_b64 v[60:61], off, off offset:120
	s_wait_loadcnt 0x1
	scratch_store_b64 off, v[58:59], off offset:120
	s_wait_loadcnt 0x0
	scratch_store_b64 v1, v[60:61], off offset:-8
.LBB91_206:
	global_load_b32 v0, v0, s[8:9] offset:56
	s_wait_loadcnt 0x0
	v_cmp_eq_u32_e32 vcc_lo, 15, v0
	s_cbranch_vccnz .LBB91_208
; %bb.207:
	s_wait_xcnt 0x0
	v_lshlrev_b32_e32 v0, 3, v0
	s_delay_alu instid0(VALU_DEP_1)
	v_mov_b32_e32 v60, v0
	scratch_load_b64 v[0:1], v60, off offset:-8
	scratch_load_b64 v[58:59], off, off offset:112
	s_wait_loadcnt 0x1
	scratch_store_b64 off, v[0:1], off offset:112
	s_wait_loadcnt 0x0
	scratch_store_b64 v60, v[58:59], off offset:-8
.LBB91_208:
	s_wait_xcnt 0x0
	v_mov_b32_e32 v0, 0
	global_load_b32 v1, v0, s[8:9] offset:52
	s_wait_loadcnt 0x0
	v_cmp_eq_u32_e32 vcc_lo, 14, v1
	s_cbranch_vccnz .LBB91_210
; %bb.209:
	v_lshlrev_b32_e32 v1, 3, v1
	scratch_load_b64 v[58:59], v1, off offset:-8
	scratch_load_b64 v[60:61], off, off offset:104
	s_wait_loadcnt 0x1
	scratch_store_b64 off, v[58:59], off offset:104
	s_wait_loadcnt 0x0
	scratch_store_b64 v1, v[60:61], off offset:-8
.LBB91_210:
	global_load_b32 v0, v0, s[8:9] offset:48
	s_wait_loadcnt 0x0
	v_cmp_eq_u32_e32 vcc_lo, 13, v0
	s_cbranch_vccnz .LBB91_212
; %bb.211:
	s_wait_xcnt 0x0
	v_lshlrev_b32_e32 v0, 3, v0
	s_delay_alu instid0(VALU_DEP_1)
	v_mov_b32_e32 v60, v0
	scratch_load_b64 v[0:1], v60, off offset:-8
	scratch_load_b64 v[58:59], off, off offset:96
	s_wait_loadcnt 0x1
	scratch_store_b64 off, v[0:1], off offset:96
	s_wait_loadcnt 0x0
	scratch_store_b64 v60, v[58:59], off offset:-8
.LBB91_212:
	s_wait_xcnt 0x0
	v_mov_b32_e32 v0, 0
	global_load_b32 v1, v0, s[8:9] offset:44
	s_wait_loadcnt 0x0
	v_cmp_eq_u32_e32 vcc_lo, 12, v1
	s_cbranch_vccnz .LBB91_214
; %bb.213:
	v_lshlrev_b32_e32 v1, 3, v1
	scratch_load_b64 v[58:59], v1, off offset:-8
	scratch_load_b64 v[60:61], off, off offset:88
	s_wait_loadcnt 0x1
	scratch_store_b64 off, v[58:59], off offset:88
	s_wait_loadcnt 0x0
	scratch_store_b64 v1, v[60:61], off offset:-8
.LBB91_214:
	global_load_b32 v0, v0, s[8:9] offset:40
	s_wait_loadcnt 0x0
	v_cmp_eq_u32_e32 vcc_lo, 11, v0
	s_cbranch_vccnz .LBB91_216
; %bb.215:
	s_wait_xcnt 0x0
	v_lshlrev_b32_e32 v0, 3, v0
	s_delay_alu instid0(VALU_DEP_1)
	v_mov_b32_e32 v60, v0
	scratch_load_b64 v[0:1], v60, off offset:-8
	scratch_load_b64 v[58:59], off, off offset:80
	s_wait_loadcnt 0x1
	scratch_store_b64 off, v[0:1], off offset:80
	s_wait_loadcnt 0x0
	scratch_store_b64 v60, v[58:59], off offset:-8
.LBB91_216:
	s_wait_xcnt 0x0
	v_mov_b32_e32 v0, 0
	global_load_b32 v1, v0, s[8:9] offset:36
	s_wait_loadcnt 0x0
	v_cmp_eq_u32_e32 vcc_lo, 10, v1
	s_cbranch_vccnz .LBB91_218
; %bb.217:
	v_lshlrev_b32_e32 v1, 3, v1
	scratch_load_b64 v[58:59], v1, off offset:-8
	scratch_load_b64 v[60:61], off, off offset:72
	s_wait_loadcnt 0x1
	scratch_store_b64 off, v[58:59], off offset:72
	s_wait_loadcnt 0x0
	scratch_store_b64 v1, v[60:61], off offset:-8
.LBB91_218:
	global_load_b32 v0, v0, s[8:9] offset:32
	s_wait_loadcnt 0x0
	v_cmp_eq_u32_e32 vcc_lo, 9, v0
	s_cbranch_vccnz .LBB91_220
; %bb.219:
	s_wait_xcnt 0x0
	v_lshlrev_b32_e32 v0, 3, v0
	s_delay_alu instid0(VALU_DEP_1)
	v_mov_b32_e32 v60, v0
	scratch_load_b64 v[0:1], v60, off offset:-8
	scratch_load_b64 v[58:59], off, off offset:64
	s_wait_loadcnt 0x1
	scratch_store_b64 off, v[0:1], off offset:64
	s_wait_loadcnt 0x0
	scratch_store_b64 v60, v[58:59], off offset:-8
.LBB91_220:
	s_wait_xcnt 0x0
	v_mov_b32_e32 v0, 0
	global_load_b32 v1, v0, s[8:9] offset:28
	s_wait_loadcnt 0x0
	v_cmp_eq_u32_e32 vcc_lo, 8, v1
	s_cbranch_vccnz .LBB91_222
; %bb.221:
	v_lshlrev_b32_e32 v1, 3, v1
	scratch_load_b64 v[58:59], v1, off offset:-8
	scratch_load_b64 v[60:61], off, off offset:56
	s_wait_loadcnt 0x1
	scratch_store_b64 off, v[58:59], off offset:56
	s_wait_loadcnt 0x0
	scratch_store_b64 v1, v[60:61], off offset:-8
.LBB91_222:
	global_load_b32 v0, v0, s[8:9] offset:24
	s_wait_loadcnt 0x0
	v_cmp_eq_u32_e32 vcc_lo, 7, v0
	s_cbranch_vccnz .LBB91_224
; %bb.223:
	s_wait_xcnt 0x0
	v_lshlrev_b32_e32 v0, 3, v0
	s_delay_alu instid0(VALU_DEP_1)
	v_mov_b32_e32 v60, v0
	scratch_load_b64 v[0:1], v60, off offset:-8
	scratch_load_b64 v[58:59], off, off offset:48
	s_wait_loadcnt 0x1
	scratch_store_b64 off, v[0:1], off offset:48
	s_wait_loadcnt 0x0
	scratch_store_b64 v60, v[58:59], off offset:-8
.LBB91_224:
	s_wait_xcnt 0x0
	v_mov_b32_e32 v0, 0
	global_load_b32 v1, v0, s[8:9] offset:20
	s_wait_loadcnt 0x0
	v_cmp_eq_u32_e32 vcc_lo, 6, v1
	s_cbranch_vccnz .LBB91_226
; %bb.225:
	v_lshlrev_b32_e32 v1, 3, v1
	scratch_load_b64 v[58:59], v1, off offset:-8
	scratch_load_b64 v[60:61], off, off offset:40
	s_wait_loadcnt 0x1
	scratch_store_b64 off, v[58:59], off offset:40
	s_wait_loadcnt 0x0
	scratch_store_b64 v1, v[60:61], off offset:-8
.LBB91_226:
	global_load_b32 v0, v0, s[8:9] offset:16
	s_wait_loadcnt 0x0
	v_cmp_eq_u32_e32 vcc_lo, 5, v0
	s_cbranch_vccnz .LBB91_228
; %bb.227:
	s_wait_xcnt 0x0
	v_lshlrev_b32_e32 v0, 3, v0
	s_delay_alu instid0(VALU_DEP_1)
	v_mov_b32_e32 v60, v0
	scratch_load_b64 v[0:1], v60, off offset:-8
	scratch_load_b64 v[58:59], off, off offset:32
	s_wait_loadcnt 0x1
	scratch_store_b64 off, v[0:1], off offset:32
	s_wait_loadcnt 0x0
	scratch_store_b64 v60, v[58:59], off offset:-8
.LBB91_228:
	s_wait_xcnt 0x0
	v_mov_b32_e32 v0, 0
	global_load_b32 v1, v0, s[8:9] offset:12
	s_wait_loadcnt 0x0
	v_cmp_eq_u32_e32 vcc_lo, 4, v1
	s_cbranch_vccnz .LBB91_230
; %bb.229:
	v_lshlrev_b32_e32 v1, 3, v1
	scratch_load_b64 v[58:59], v1, off offset:-8
	scratch_load_b64 v[60:61], off, off offset:24
	s_wait_loadcnt 0x1
	scratch_store_b64 off, v[58:59], off offset:24
	s_wait_loadcnt 0x0
	scratch_store_b64 v1, v[60:61], off offset:-8
.LBB91_230:
	global_load_b32 v0, v0, s[8:9] offset:8
	s_wait_loadcnt 0x0
	v_cmp_eq_u32_e32 vcc_lo, 3, v0
	s_cbranch_vccnz .LBB91_232
; %bb.231:
	s_wait_xcnt 0x0
	v_lshlrev_b32_e32 v0, 3, v0
	s_delay_alu instid0(VALU_DEP_1)
	v_mov_b32_e32 v60, v0
	scratch_load_b64 v[0:1], v60, off offset:-8
	scratch_load_b64 v[58:59], off, off offset:16
	s_wait_loadcnt 0x1
	scratch_store_b64 off, v[0:1], off offset:16
	s_wait_loadcnt 0x0
	scratch_store_b64 v60, v[58:59], off offset:-8
.LBB91_232:
	s_wait_xcnt 0x0
	v_mov_b32_e32 v0, 0
	global_load_b32 v1, v0, s[8:9] offset:4
	s_wait_loadcnt 0x0
	v_cmp_eq_u32_e32 vcc_lo, 2, v1
	s_cbranch_vccnz .LBB91_234
; %bb.233:
	v_lshlrev_b32_e32 v1, 3, v1
	scratch_load_b64 v[58:59], v1, off offset:-8
	scratch_load_b64 v[60:61], off, off offset:8
	s_wait_loadcnt 0x1
	scratch_store_b64 off, v[58:59], off offset:8
	s_wait_loadcnt 0x0
	scratch_store_b64 v1, v[60:61], off offset:-8
.LBB91_234:
	global_load_b32 v0, v0, s[8:9]
	scratch_load_b64 v[58:59], off, off
	s_wait_loadcnt 0x1
	v_cmp_eq_u32_e32 vcc_lo, 1, v0
	s_cbranch_vccnz .LBB91_236
; %bb.235:
	s_wait_xcnt 0x1
	v_lshlrev_b32_e32 v0, 3, v0
	s_delay_alu instid0(VALU_DEP_1)
	v_mov_b32_e32 v60, v0
	scratch_load_b64 v[0:1], v60, off offset:-8
	s_wait_loadcnt 0x0
	scratch_store_b64 off, v[0:1], off
	scratch_store_b64 v60, v[58:59], off offset:-8
	scratch_load_b64 v[58:59], off, off
.LBB91_236:
	s_wait_loadcnt 0x0
	flat_store_b64 v[2:3], v[58:59]
	scratch_load_b64 v[2:3], off, off offset:8
	v_lshl_add_u64 v[82:83], v[6:7], 3, s[2:3]
	v_lshl_add_u64 v[80:81], v[8:9], 3, s[2:3]
	v_lshl_add_u64 v[78:79], v[10:11], 3, s[2:3]
	v_lshl_add_u64 v[76:77], v[12:13], 3, s[2:3]
	v_lshl_add_u64 v[74:75], v[14:15], 3, s[2:3]
	v_lshl_add_u64 v[72:73], v[16:17], 3, s[2:3]
	v_lshl_add_u64 v[70:71], v[18:19], 3, s[2:3]
	v_lshl_add_u64 v[68:69], v[20:21], 3, s[2:3]
	v_lshl_add_u64 v[66:67], v[22:23], 3, s[2:3]
	v_lshl_add_u64 v[64:65], v[24:25], 3, s[2:3]
	v_lshl_add_u64 v[62:63], v[26:27], 3, s[2:3]
	v_lshl_add_u64 v[60:61], v[28:29], 3, s[2:3]
	v_lshl_add_u64 v[30:31], v[30:31], 3, s[2:3]
	v_lshl_add_u64 v[28:29], v[32:33], 3, s[2:3]
	v_lshl_add_u64 v[26:27], v[34:35], 3, s[2:3]
	v_lshl_add_u64 v[24:25], v[36:37], 3, s[2:3]
	v_lshl_add_u64 v[22:23], v[38:39], 3, s[2:3]
	v_lshl_add_u64 v[20:21], v[40:41], 3, s[2:3]
	v_lshl_add_u64 v[18:19], v[42:43], 3, s[2:3]
	v_lshl_add_u64 v[16:17], v[44:45], 3, s[2:3]
	v_lshl_add_u64 v[14:15], v[46:47], 3, s[2:3]
	v_lshl_add_u64 v[12:13], v[48:49], 3, s[2:3]
	v_lshl_add_u64 v[10:11], v[50:51], 3, s[2:3]
	v_lshl_add_u64 v[8:9], v[52:53], 3, s[2:3]
	v_lshl_add_u64 v[6:7], v[54:55], 3, s[2:3]
	v_lshl_add_u64 v[0:1], v[56:57], 3, s[2:3]
	s_wait_loadcnt 0x0
	flat_store_b64 v[4:5], v[2:3]
	scratch_load_b64 v[2:3], off, off offset:16
	s_wait_loadcnt 0x0
	flat_store_b64 v[82:83], v[2:3]
	scratch_load_b64 v[2:3], off, off offset:24
	;; [unrolled: 3-line block ×26, first 2 shown]
	s_wait_loadcnt 0x0
	flat_store_b64 v[0:1], v[2:3]
	s_sendmsg sendmsg(MSG_DEALLOC_VGPRS)
	s_endpgm
	.section	.rodata,"a",@progbits
	.p2align	6, 0x0
	.amdhsa_kernel _ZN9rocsolver6v33100L18getri_kernel_smallILi28E19rocblas_complex_numIfEPKPS3_EEvT1_iilPiilS8_bb
		.amdhsa_group_segment_fixed_size 452
		.amdhsa_private_segment_fixed_size 240
		.amdhsa_kernarg_size 60
		.amdhsa_user_sgpr_count 2
		.amdhsa_user_sgpr_dispatch_ptr 0
		.amdhsa_user_sgpr_queue_ptr 0
		.amdhsa_user_sgpr_kernarg_segment_ptr 1
		.amdhsa_user_sgpr_dispatch_id 0
		.amdhsa_user_sgpr_kernarg_preload_length 0
		.amdhsa_user_sgpr_kernarg_preload_offset 0
		.amdhsa_user_sgpr_private_segment_size 0
		.amdhsa_wavefront_size32 1
		.amdhsa_uses_dynamic_stack 0
		.amdhsa_enable_private_segment 1
		.amdhsa_system_sgpr_workgroup_id_x 1
		.amdhsa_system_sgpr_workgroup_id_y 0
		.amdhsa_system_sgpr_workgroup_id_z 0
		.amdhsa_system_sgpr_workgroup_info 0
		.amdhsa_system_vgpr_workitem_id 0
		.amdhsa_next_free_vgpr 194
		.amdhsa_next_free_sgpr 19
		.amdhsa_named_barrier_count 0
		.amdhsa_reserve_vcc 1
		.amdhsa_float_round_mode_32 0
		.amdhsa_float_round_mode_16_64 0
		.amdhsa_float_denorm_mode_32 3
		.amdhsa_float_denorm_mode_16_64 3
		.amdhsa_fp16_overflow 0
		.amdhsa_memory_ordered 1
		.amdhsa_forward_progress 1
		.amdhsa_inst_pref_size 255
		.amdhsa_round_robin_scheduling 0
		.amdhsa_exception_fp_ieee_invalid_op 0
		.amdhsa_exception_fp_denorm_src 0
		.amdhsa_exception_fp_ieee_div_zero 0
		.amdhsa_exception_fp_ieee_overflow 0
		.amdhsa_exception_fp_ieee_underflow 0
		.amdhsa_exception_fp_ieee_inexact 0
		.amdhsa_exception_int_div_zero 0
	.end_amdhsa_kernel
	.section	.text._ZN9rocsolver6v33100L18getri_kernel_smallILi28E19rocblas_complex_numIfEPKPS3_EEvT1_iilPiilS8_bb,"axG",@progbits,_ZN9rocsolver6v33100L18getri_kernel_smallILi28E19rocblas_complex_numIfEPKPS3_EEvT1_iilPiilS8_bb,comdat
.Lfunc_end91:
	.size	_ZN9rocsolver6v33100L18getri_kernel_smallILi28E19rocblas_complex_numIfEPKPS3_EEvT1_iilPiilS8_bb, .Lfunc_end91-_ZN9rocsolver6v33100L18getri_kernel_smallILi28E19rocblas_complex_numIfEPKPS3_EEvT1_iilPiilS8_bb
                                        ; -- End function
	.set _ZN9rocsolver6v33100L18getri_kernel_smallILi28E19rocblas_complex_numIfEPKPS3_EEvT1_iilPiilS8_bb.num_vgpr, 194
	.set _ZN9rocsolver6v33100L18getri_kernel_smallILi28E19rocblas_complex_numIfEPKPS3_EEvT1_iilPiilS8_bb.num_agpr, 0
	.set _ZN9rocsolver6v33100L18getri_kernel_smallILi28E19rocblas_complex_numIfEPKPS3_EEvT1_iilPiilS8_bb.numbered_sgpr, 19
	.set _ZN9rocsolver6v33100L18getri_kernel_smallILi28E19rocblas_complex_numIfEPKPS3_EEvT1_iilPiilS8_bb.num_named_barrier, 0
	.set _ZN9rocsolver6v33100L18getri_kernel_smallILi28E19rocblas_complex_numIfEPKPS3_EEvT1_iilPiilS8_bb.private_seg_size, 240
	.set _ZN9rocsolver6v33100L18getri_kernel_smallILi28E19rocblas_complex_numIfEPKPS3_EEvT1_iilPiilS8_bb.uses_vcc, 1
	.set _ZN9rocsolver6v33100L18getri_kernel_smallILi28E19rocblas_complex_numIfEPKPS3_EEvT1_iilPiilS8_bb.uses_flat_scratch, 1
	.set _ZN9rocsolver6v33100L18getri_kernel_smallILi28E19rocblas_complex_numIfEPKPS3_EEvT1_iilPiilS8_bb.has_dyn_sized_stack, 0
	.set _ZN9rocsolver6v33100L18getri_kernel_smallILi28E19rocblas_complex_numIfEPKPS3_EEvT1_iilPiilS8_bb.has_recursion, 0
	.set _ZN9rocsolver6v33100L18getri_kernel_smallILi28E19rocblas_complex_numIfEPKPS3_EEvT1_iilPiilS8_bb.has_indirect_call, 0
	.section	.AMDGPU.csdata,"",@progbits
; Kernel info:
; codeLenInByte = 36600
; TotalNumSgprs: 21
; NumVgprs: 194
; ScratchSize: 240
; MemoryBound: 0
; FloatMode: 240
; IeeeMode: 1
; LDSByteSize: 452 bytes/workgroup (compile time only)
; SGPRBlocks: 0
; VGPRBlocks: 12
; NumSGPRsForWavesPerEU: 21
; NumVGPRsForWavesPerEU: 194
; NamedBarCnt: 0
; Occupancy: 4
; WaveLimiterHint : 1
; COMPUTE_PGM_RSRC2:SCRATCH_EN: 1
; COMPUTE_PGM_RSRC2:USER_SGPR: 2
; COMPUTE_PGM_RSRC2:TRAP_HANDLER: 0
; COMPUTE_PGM_RSRC2:TGID_X_EN: 1
; COMPUTE_PGM_RSRC2:TGID_Y_EN: 0
; COMPUTE_PGM_RSRC2:TGID_Z_EN: 0
; COMPUTE_PGM_RSRC2:TIDIG_COMP_CNT: 0
	.section	.text._ZN9rocsolver6v33100L18getri_kernel_smallILi29E19rocblas_complex_numIfEPKPS3_EEvT1_iilPiilS8_bb,"axG",@progbits,_ZN9rocsolver6v33100L18getri_kernel_smallILi29E19rocblas_complex_numIfEPKPS3_EEvT1_iilPiilS8_bb,comdat
	.globl	_ZN9rocsolver6v33100L18getri_kernel_smallILi29E19rocblas_complex_numIfEPKPS3_EEvT1_iilPiilS8_bb ; -- Begin function _ZN9rocsolver6v33100L18getri_kernel_smallILi29E19rocblas_complex_numIfEPKPS3_EEvT1_iilPiilS8_bb
	.p2align	8
	.type	_ZN9rocsolver6v33100L18getri_kernel_smallILi29E19rocblas_complex_numIfEPKPS3_EEvT1_iilPiilS8_bb,@function
_ZN9rocsolver6v33100L18getri_kernel_smallILi29E19rocblas_complex_numIfEPKPS3_EEvT1_iilPiilS8_bb: ; @_ZN9rocsolver6v33100L18getri_kernel_smallILi29E19rocblas_complex_numIfEPKPS3_EEvT1_iilPiilS8_bb
; %bb.0:
	s_mov_b32 s2, exec_lo
	v_cmpx_gt_u32_e32 29, v0
	s_cbranch_execz .LBB92_130
; %bb.1:
	s_clause 0x1
	s_load_b32 s13, s[0:1], 0x38
	s_load_b64 s[2:3], s[0:1], 0x0
	s_getreg_b32 s6, hwreg(HW_REG_IB_STS2, 6, 4)
	s_wait_kmcnt 0x0
	s_bitcmp1_b32 s13, 8
	s_cselect_b32 s12, -1, 0
	s_bfe_u32 s4, ttmp6, 0x4000c
	s_and_b32 s5, ttmp6, 15
	s_add_co_i32 s4, s4, 1
	s_delay_alu instid0(SALU_CYCLE_1) | instskip(NEXT) | instid1(SALU_CYCLE_1)
	s_mul_i32 s4, ttmp9, s4
	s_add_co_i32 s5, s5, s4
	s_cmp_eq_u32 s6, 0
	s_cselect_b32 s10, ttmp9, s5
	s_load_b128 s[4:7], s[0:1], 0x28
	s_ashr_i32 s11, s10, 31
	s_delay_alu instid0(SALU_CYCLE_1) | instskip(NEXT) | instid1(SALU_CYCLE_1)
	s_lshl_b64 s[8:9], s[10:11], 3
	s_add_nc_u64 s[2:3], s[2:3], s[8:9]
	s_bfe_u32 s8, s13, 0x10008
	s_load_b64 s[2:3], s[2:3], 0x0
	s_cmp_eq_u32 s8, 0
                                        ; implicit-def: $sgpr8_sgpr9
	s_cbranch_scc1 .LBB92_3
; %bb.2:
	s_load_b96 s[16:18], s[0:1], 0x18
	s_wait_kmcnt 0x0
	s_mul_u64 s[4:5], s[4:5], s[10:11]
	s_delay_alu instid0(SALU_CYCLE_1) | instskip(SKIP_4) | instid1(SALU_CYCLE_1)
	s_lshl_b64 s[4:5], s[4:5], 2
	s_ashr_i32 s9, s18, 31
	s_mov_b32 s8, s18
	s_add_nc_u64 s[4:5], s[16:17], s[4:5]
	s_lshl_b64 s[8:9], s[8:9], 2
	s_add_nc_u64 s[8:9], s[4:5], s[8:9]
.LBB92_3:
	s_wait_kmcnt 0x0
	s_clause 0x1
	s_load_b64 s[4:5], s[0:1], 0x8
	s_load_b32 s13, s[0:1], 0x38
	v_dual_mov_b32 v61, 0 :: v_dual_lshlrev_b32 v60, 3, v0
	s_wait_kmcnt 0x0
	s_ashr_i32 s1, s4, 31
	s_mov_b32 s0, s4
	s_delay_alu instid0(SALU_CYCLE_1) | instskip(NEXT) | instid1(SALU_CYCLE_1)
	s_lshl_b64 s[0:1], s[0:1], 3
	s_add_nc_u64 s[2:3], s[2:3], s[0:1]
	s_ashr_i32 s1, s5, 31
	flat_load_b64 v[6:7], v0, s[2:3] scale_offset
	v_add_nc_u64_e32 v[2:3], s[2:3], v[60:61]
	s_mov_b32 s0, s5
	s_bitcmp0_b32 s13, 0
	s_delay_alu instid0(VALU_DEP_1)
	v_lshl_add_u64 v[4:5], s[0:1], 3, v[2:3]
	s_mov_b32 s1, -1
	s_wait_loadcnt_dscnt 0x0
	scratch_store_b64 off, v[6:7], off
	flat_load_b64 v[8:9], v[4:5]
	s_wait_xcnt 0x1
	v_add3_u32 v6, s5, s5, v0
	s_wait_loadcnt_dscnt 0x0
	scratch_store_b64 off, v[8:9], off offset:8
	flat_load_b64 v[10:11], v6, s[2:3] scale_offset
	s_wait_xcnt 0x1
	v_add_nc_u32_e32 v8, s5, v6
	s_wait_loadcnt_dscnt 0x0
	scratch_store_b64 off, v[10:11], off offset:16
	flat_load_b64 v[12:13], v8, s[2:3] scale_offset
	s_wait_xcnt 0x1
	v_add_nc_u32_e32 v10, s5, v8
	;; [unrolled: 5-line block ×26, first 2 shown]
	s_wait_loadcnt_dscnt 0x0
	scratch_store_b64 off, v[62:63], off offset:216
	flat_load_b64 v[62:63], v58, s[2:3] scale_offset
	s_wait_loadcnt_dscnt 0x0
	scratch_store_b64 off, v[62:63], off offset:224
	s_cbranch_scc1 .LBB92_128
; %bb.4:
	v_cmp_eq_u32_e64 s0, 0, v0
	s_wait_xcnt 0x0
	s_and_saveexec_b32 s1, s0
; %bb.5:
	v_mov_b32_e32 v1, 0
	ds_store_b32 v1, v1 offset:232
; %bb.6:
	s_or_b32 exec_lo, exec_lo, s1
	s_wait_storecnt_dscnt 0x0
	s_barrier_signal -1
	s_barrier_wait -1
	scratch_load_b64 v[62:63], v0, off scale_offset
	s_wait_loadcnt 0x0
	v_cmp_eq_f32_e32 vcc_lo, 0, v62
	v_cmp_eq_f32_e64 s1, 0, v63
	s_and_b32 s1, vcc_lo, s1
	s_delay_alu instid0(SALU_CYCLE_1)
	s_and_saveexec_b32 s4, s1
	s_cbranch_execz .LBB92_10
; %bb.7:
	v_mov_b32_e32 v1, 0
	s_mov_b32 s5, 0
	ds_load_b32 v7, v1 offset:232
	s_wait_dscnt 0x0
	v_readfirstlane_b32 s1, v7
	v_add_nc_u32_e32 v7, 1, v0
	s_cmp_eq_u32 s1, 0
	s_delay_alu instid0(VALU_DEP_1) | instskip(SKIP_1) | instid1(SALU_CYCLE_1)
	v_cmp_gt_i32_e32 vcc_lo, s1, v7
	s_cselect_b32 s13, -1, 0
	s_or_b32 s13, s13, vcc_lo
	s_delay_alu instid0(SALU_CYCLE_1)
	s_and_b32 exec_lo, exec_lo, s13
	s_cbranch_execz .LBB92_10
; %bb.8:
	v_mov_b32_e32 v9, s1
.LBB92_9:                               ; =>This Inner Loop Header: Depth=1
	ds_cmpstore_rtn_b32 v9, v1, v7, v9 offset:232
	s_wait_dscnt 0x0
	v_cmp_ne_u32_e32 vcc_lo, 0, v9
	v_cmp_le_i32_e64 s1, v9, v7
	s_and_b32 s1, vcc_lo, s1
	s_delay_alu instid0(SALU_CYCLE_1) | instskip(NEXT) | instid1(SALU_CYCLE_1)
	s_and_b32 s1, exec_lo, s1
	s_or_b32 s5, s1, s5
	s_delay_alu instid0(SALU_CYCLE_1)
	s_and_not1_b32 exec_lo, exec_lo, s5
	s_cbranch_execnz .LBB92_9
.LBB92_10:
	s_or_b32 exec_lo, exec_lo, s4
	v_mov_b32_e32 v1, 0
	s_barrier_signal -1
	s_barrier_wait -1
	ds_load_b32 v7, v1 offset:232
	s_and_saveexec_b32 s1, s0
	s_cbranch_execz .LBB92_12
; %bb.11:
	s_lshl_b64 s[4:5], s[10:11], 2
	s_delay_alu instid0(SALU_CYCLE_1)
	s_add_nc_u64 s[4:5], s[6:7], s[4:5]
	s_wait_dscnt 0x0
	global_store_b32 v1, v7, s[4:5]
.LBB92_12:
	s_wait_xcnt 0x0
	s_or_b32 exec_lo, exec_lo, s1
	s_wait_dscnt 0x0
	v_cmp_ne_u32_e32 vcc_lo, 0, v7
	s_mov_b32 s1, 0
	s_cbranch_vccnz .LBB92_128
; %bb.13:
	v_lshl_add_u32 v7, v0, 3, 0
                                        ; implicit-def: $vgpr65
                                        ; implicit-def: $vgpr66
	scratch_load_b64 v[62:63], v7, off
	s_wait_loadcnt 0x0
	v_cmp_ngt_f32_e64 s1, |v62|, |v63|
	s_wait_xcnt 0x0
	s_and_saveexec_b32 s4, s1
	s_delay_alu instid0(SALU_CYCLE_1)
	s_xor_b32 s1, exec_lo, s4
	s_cbranch_execz .LBB92_15
; %bb.14:
	v_div_scale_f32 v1, null, v63, v63, v62
	v_div_scale_f32 v13, vcc_lo, v62, v63, v62
	s_delay_alu instid0(VALU_DEP_2) | instskip(SKIP_1) | instid1(TRANS32_DEP_1)
	v_rcp_f32_e32 v9, v1
	v_nop
	v_fma_f32 v11, -v1, v9, 1.0
	s_delay_alu instid0(VALU_DEP_1) | instskip(NEXT) | instid1(VALU_DEP_1)
	v_fmac_f32_e32 v9, v11, v9
	v_mul_f32_e32 v11, v13, v9
	s_delay_alu instid0(VALU_DEP_1) | instskip(NEXT) | instid1(VALU_DEP_1)
	v_fma_f32 v15, -v1, v11, v13
	v_fmac_f32_e32 v11, v15, v9
	s_delay_alu instid0(VALU_DEP_1) | instskip(NEXT) | instid1(VALU_DEP_1)
	v_fma_f32 v1, -v1, v11, v13
	v_div_fmas_f32 v1, v1, v9, v11
	s_delay_alu instid0(VALU_DEP_1) | instskip(NEXT) | instid1(VALU_DEP_1)
	v_div_fixup_f32 v1, v1, v63, v62
	v_fmac_f32_e32 v63, v62, v1
	s_delay_alu instid0(VALU_DEP_1) | instskip(NEXT) | instid1(VALU_DEP_1)
	v_div_scale_f32 v9, null, v63, v63, -1.0
	v_rcp_f32_e32 v11, v9
	v_nop
	s_delay_alu instid0(TRANS32_DEP_1) | instskip(NEXT) | instid1(VALU_DEP_1)
	v_fma_f32 v13, -v9, v11, 1.0
	v_fmac_f32_e32 v11, v13, v11
	v_div_scale_f32 v13, vcc_lo, -1.0, v63, -1.0
	s_delay_alu instid0(VALU_DEP_1) | instskip(NEXT) | instid1(VALU_DEP_1)
	v_mul_f32_e32 v15, v13, v11
	v_fma_f32 v17, -v9, v15, v13
	s_delay_alu instid0(VALU_DEP_1) | instskip(NEXT) | instid1(VALU_DEP_1)
	v_fmac_f32_e32 v15, v17, v11
	v_fma_f32 v9, -v9, v15, v13
	s_delay_alu instid0(VALU_DEP_1) | instskip(NEXT) | instid1(VALU_DEP_1)
	v_div_fmas_f32 v9, v9, v11, v15
	v_div_fixup_f32 v65, v9, v63, -1.0
                                        ; implicit-def: $vgpr62_vgpr63
	s_delay_alu instid0(VALU_DEP_1) | instskip(NEXT) | instid1(VALU_DEP_1)
	v_mul_f32_e32 v66, v1, v65
	v_xor_b32_e32 v64, 0x80000000, v66
.LBB92_15:
	s_and_not1_saveexec_b32 s1, s1
	s_cbranch_execz .LBB92_17
; %bb.16:
	v_div_scale_f32 v1, null, v62, v62, v63
	v_div_scale_f32 v13, vcc_lo, v63, v62, v63
	s_delay_alu instid0(VALU_DEP_2) | instskip(SKIP_1) | instid1(TRANS32_DEP_1)
	v_rcp_f32_e32 v9, v1
	v_nop
	v_fma_f32 v11, -v1, v9, 1.0
	s_delay_alu instid0(VALU_DEP_1) | instskip(NEXT) | instid1(VALU_DEP_1)
	v_fmac_f32_e32 v9, v11, v9
	v_mul_f32_e32 v11, v13, v9
	s_delay_alu instid0(VALU_DEP_1) | instskip(NEXT) | instid1(VALU_DEP_1)
	v_fma_f32 v15, -v1, v11, v13
	v_fmac_f32_e32 v11, v15, v9
	s_delay_alu instid0(VALU_DEP_1) | instskip(NEXT) | instid1(VALU_DEP_1)
	v_fma_f32 v1, -v1, v11, v13
	v_div_fmas_f32 v1, v1, v9, v11
	s_delay_alu instid0(VALU_DEP_1) | instskip(NEXT) | instid1(VALU_DEP_1)
	v_div_fixup_f32 v1, v1, v62, v63
	v_fmac_f32_e32 v62, v63, v1
	s_delay_alu instid0(VALU_DEP_1) | instskip(SKIP_1) | instid1(VALU_DEP_2)
	v_div_scale_f32 v9, null, v62, v62, 1.0
	v_div_scale_f32 v15, vcc_lo, 1.0, v62, 1.0
	v_rcp_f32_e32 v11, v9
	v_nop
	s_delay_alu instid0(TRANS32_DEP_1) | instskip(NEXT) | instid1(VALU_DEP_1)
	v_fma_f32 v13, -v9, v11, 1.0
	v_fmac_f32_e32 v11, v13, v11
	s_delay_alu instid0(VALU_DEP_1) | instskip(NEXT) | instid1(VALU_DEP_1)
	v_mul_f32_e32 v13, v15, v11
	v_fma_f32 v17, -v9, v13, v15
	s_delay_alu instid0(VALU_DEP_1) | instskip(NEXT) | instid1(VALU_DEP_1)
	v_fmac_f32_e32 v13, v17, v11
	v_fma_f32 v9, -v9, v13, v15
	s_delay_alu instid0(VALU_DEP_1) | instskip(NEXT) | instid1(VALU_DEP_1)
	v_div_fmas_f32 v9, v9, v11, v13
	v_div_fixup_f32 v64, v9, v62, 1.0
	s_delay_alu instid0(VALU_DEP_1)
	v_xor_b32_e32 v66, 0x80000000, v64
	v_mul_f32_e64 v65, v1, -v64
.LBB92_17:
	s_or_b32 exec_lo, exec_lo, s1
	scratch_store_b64 v7, v[64:65], off
	scratch_load_b64 v[62:63], off, off offset:8
	v_xor_b32_e32 v67, 0x80000000, v65
	v_add_nc_u32_e32 v1, 0xf0, v60
	s_wait_loadcnt 0x0
	ds_store_2addr_b64 v60, v[66:67], v[62:63] offset1:30
	s_wait_storecnt_dscnt 0x0
	s_barrier_signal -1
	s_barrier_wait -1
	s_wait_xcnt 0x0
	s_and_saveexec_b32 s1, s0
	s_cbranch_execz .LBB92_19
; %bb.18:
	scratch_load_b64 v[62:63], v7, off
	ds_load_b64 v[64:65], v1
	s_wait_loadcnt_dscnt 0x0
	v_pk_mul_f32 v[68:69], v[64:65], v[62:63] op_sel:[1,1] op_sel_hi:[0,1]
	s_delay_alu instid0(VALU_DEP_1) | instskip(SKIP_2) | instid1(VALU_DEP_3)
	v_pk_fma_f32 v[70:71], v[64:65], v[62:63], v[68:69] op_sel_hi:[1,0,1]
	v_mov_b32_e32 v9, 0
	v_pk_fma_f32 v[62:63], v[64:65], v[62:63], v[68:69] neg_lo:[0,0,1] neg_hi:[0,0,1]
	v_mov_b32_e32 v63, v71
	ds_load_b64 v[66:67], v9 offset:8
	v_pk_add_f32 v[62:63], v[62:63], 0 op_sel_hi:[1,0]
	s_wait_dscnt 0x0
	s_delay_alu instid0(VALU_DEP_1) | instskip(NEXT) | instid1(VALU_DEP_1)
	v_pk_mul_f32 v[64:65], v[62:63], v[66:67] op_sel:[1,1] op_sel_hi:[0,1]
	v_pk_fma_f32 v[68:69], v[62:63], v[66:67], v[64:65] op_sel_hi:[1,0,1]
	v_pk_fma_f32 v[62:63], v[62:63], v[66:67], v[64:65] neg_lo:[0,0,1] neg_hi:[0,0,1]
	s_delay_alu instid0(VALU_DEP_2)
	v_mov_b32_e32 v63, v69
	scratch_store_b64 off, v[62:63], off offset:8
.LBB92_19:
	s_wait_xcnt 0x0
	s_or_b32 exec_lo, exec_lo, s1
	s_wait_storecnt 0x0
	s_barrier_signal -1
	s_barrier_wait -1
	scratch_load_b64 v[62:63], off, off offset:16
	s_mov_b32 s1, exec_lo
	s_wait_loadcnt 0x0
	ds_store_b64 v1, v[62:63]
	s_wait_dscnt 0x0
	s_barrier_signal -1
	s_barrier_wait -1
	v_cmpx_gt_u32_e32 2, v0
	s_cbranch_execz .LBB92_23
; %bb.20:
	scratch_load_b64 v[62:63], v7, off
	ds_load_b64 v[64:65], v1
	s_wait_loadcnt_dscnt 0x0
	v_pk_mul_f32 v[66:67], v[64:65], v[62:63] op_sel:[1,1] op_sel_hi:[0,1]
	s_delay_alu instid0(VALU_DEP_1) | instskip(SKIP_1) | instid1(VALU_DEP_2)
	v_pk_fma_f32 v[68:69], v[64:65], v[62:63], v[66:67] op_sel_hi:[1,0,1]
	v_pk_fma_f32 v[62:63], v[64:65], v[62:63], v[66:67] neg_lo:[0,0,1] neg_hi:[0,0,1]
	v_mov_b32_e32 v63, v69
	s_delay_alu instid0(VALU_DEP_1)
	v_pk_add_f32 v[62:63], v[62:63], 0 op_sel_hi:[1,0]
	s_and_saveexec_b32 s4, s0
	s_cbranch_execz .LBB92_22
; %bb.21:
	scratch_load_b64 v[64:65], off, off offset:8
	v_mov_b32_e32 v7, 0
	ds_load_b64 v[66:67], v7 offset:248
	s_wait_loadcnt_dscnt 0x0
	v_pk_mul_f32 v[68:69], v[66:67], v[64:65] op_sel:[1,1] op_sel_hi:[0,1]
	s_delay_alu instid0(VALU_DEP_1) | instskip(SKIP_1) | instid1(VALU_DEP_2)
	v_pk_fma_f32 v[70:71], v[66:67], v[64:65], v[68:69] op_sel_hi:[1,0,1]
	v_pk_fma_f32 v[64:65], v[66:67], v[64:65], v[68:69] neg_lo:[0,0,1] neg_hi:[0,0,1]
	v_mov_b32_e32 v65, v71
	s_delay_alu instid0(VALU_DEP_1)
	v_pk_add_f32 v[62:63], v[62:63], v[64:65]
.LBB92_22:
	s_or_b32 exec_lo, exec_lo, s4
	v_mov_b32_e32 v7, 0
	ds_load_b64 v[64:65], v7 offset:16
	s_wait_dscnt 0x0
	v_pk_mul_f32 v[66:67], v[62:63], v[64:65] op_sel:[1,1] op_sel_hi:[0,1]
	s_delay_alu instid0(VALU_DEP_1) | instskip(SKIP_1) | instid1(VALU_DEP_2)
	v_pk_fma_f32 v[68:69], v[62:63], v[64:65], v[66:67] op_sel_hi:[1,0,1]
	v_pk_fma_f32 v[62:63], v[62:63], v[64:65], v[66:67] neg_lo:[0,0,1] neg_hi:[0,0,1]
	v_mov_b32_e32 v63, v69
	scratch_store_b64 off, v[62:63], off offset:16
.LBB92_23:
	s_wait_xcnt 0x0
	s_or_b32 exec_lo, exec_lo, s1
	s_wait_storecnt 0x0
	s_barrier_signal -1
	s_barrier_wait -1
	scratch_load_b64 v[62:63], off, off offset:24
	v_add_nc_u32_e32 v7, -1, v0
	s_mov_b32 s0, exec_lo
	s_wait_loadcnt 0x0
	ds_store_b64 v1, v[62:63]
	s_wait_dscnt 0x0
	s_barrier_signal -1
	s_barrier_wait -1
	v_cmpx_gt_u32_e32 3, v0
	s_cbranch_execz .LBB92_27
; %bb.24:
	v_dual_mov_b32 v62, 0 :: v_dual_add_nc_u32 v9, -1, v0
	v_add_nc_u32_e32 v11, 0xf0, v60
	v_mov_b32_e32 v13, v60
	s_mov_b32 s1, 0
	s_delay_alu instid0(VALU_DEP_3)
	v_mov_b32_e32 v63, v62
.LBB92_25:                              ; =>This Inner Loop Header: Depth=1
	scratch_load_b64 v[64:65], v13, off
	ds_load_b64 v[66:67], v11
	s_wait_xcnt 0x0
	v_dual_add_nc_u32 v11, 8, v11 :: v_dual_add_nc_u32 v13, 8, v13
	s_wait_loadcnt_dscnt 0x0
	v_pk_mul_f32 v[68:69], v[66:67], v[64:65] op_sel:[1,1] op_sel_hi:[0,1]
	s_delay_alu instid0(VALU_DEP_1) | instskip(SKIP_2) | instid1(VALU_DEP_3)
	v_pk_fma_f32 v[70:71], v[66:67], v[64:65], v[68:69] op_sel_hi:[1,0,1]
	v_add_nc_u32_e32 v9, 1, v9
	v_pk_fma_f32 v[64:65], v[66:67], v[64:65], v[68:69] neg_lo:[0,0,1] neg_hi:[0,0,1]
	v_mov_b32_e32 v65, v71
	s_delay_alu instid0(VALU_DEP_3) | instskip(NEXT) | instid1(VALU_DEP_2)
	v_cmp_lt_u32_e32 vcc_lo, 1, v9
	v_pk_add_f32 v[62:63], v[62:63], v[64:65]
	s_or_b32 s1, vcc_lo, s1
	s_delay_alu instid0(SALU_CYCLE_1)
	s_and_not1_b32 exec_lo, exec_lo, s1
	s_cbranch_execnz .LBB92_25
; %bb.26:
	s_or_b32 exec_lo, exec_lo, s1
	v_mov_b32_e32 v9, 0
	ds_load_b64 v[64:65], v9 offset:24
	s_wait_dscnt 0x0
	v_pk_mul_f32 v[66:67], v[62:63], v[64:65] op_sel:[1,1] op_sel_hi:[0,1]
	s_delay_alu instid0(VALU_DEP_1) | instskip(SKIP_1) | instid1(VALU_DEP_2)
	v_pk_fma_f32 v[68:69], v[62:63], v[64:65], v[66:67] op_sel_hi:[1,0,1]
	v_pk_fma_f32 v[62:63], v[62:63], v[64:65], v[66:67] neg_lo:[0,0,1] neg_hi:[0,0,1]
	v_mov_b32_e32 v63, v69
	scratch_store_b64 off, v[62:63], off offset:24
.LBB92_27:
	s_wait_xcnt 0x0
	s_or_b32 exec_lo, exec_lo, s0
	s_wait_storecnt 0x0
	s_barrier_signal -1
	s_barrier_wait -1
	scratch_load_b64 v[62:63], off, off offset:32
	s_mov_b32 s0, exec_lo
	s_wait_loadcnt 0x0
	ds_store_b64 v1, v[62:63]
	s_wait_dscnt 0x0
	s_barrier_signal -1
	s_barrier_wait -1
	v_cmpx_gt_u32_e32 4, v0
	s_cbranch_execz .LBB92_31
; %bb.28:
	v_dual_mov_b32 v62, 0 :: v_dual_add_nc_u32 v9, -1, v0
	v_add_nc_u32_e32 v11, 0xf0, v60
	v_mov_b32_e32 v13, v60
	s_mov_b32 s1, 0
	s_delay_alu instid0(VALU_DEP_3)
	v_mov_b32_e32 v63, v62
.LBB92_29:                              ; =>This Inner Loop Header: Depth=1
	scratch_load_b64 v[64:65], v13, off
	ds_load_b64 v[66:67], v11
	s_wait_xcnt 0x0
	v_dual_add_nc_u32 v11, 8, v11 :: v_dual_add_nc_u32 v13, 8, v13
	s_wait_loadcnt_dscnt 0x0
	v_pk_mul_f32 v[68:69], v[66:67], v[64:65] op_sel:[1,1] op_sel_hi:[0,1]
	s_delay_alu instid0(VALU_DEP_1) | instskip(SKIP_2) | instid1(VALU_DEP_3)
	v_pk_fma_f32 v[70:71], v[66:67], v[64:65], v[68:69] op_sel_hi:[1,0,1]
	v_add_nc_u32_e32 v9, 1, v9
	v_pk_fma_f32 v[64:65], v[66:67], v[64:65], v[68:69] neg_lo:[0,0,1] neg_hi:[0,0,1]
	v_mov_b32_e32 v65, v71
	s_delay_alu instid0(VALU_DEP_3) | instskip(NEXT) | instid1(VALU_DEP_2)
	v_cmp_lt_u32_e32 vcc_lo, 2, v9
	v_pk_add_f32 v[62:63], v[62:63], v[64:65]
	s_or_b32 s1, vcc_lo, s1
	s_delay_alu instid0(SALU_CYCLE_1)
	s_and_not1_b32 exec_lo, exec_lo, s1
	s_cbranch_execnz .LBB92_29
; %bb.30:
	s_or_b32 exec_lo, exec_lo, s1
	v_mov_b32_e32 v9, 0
	ds_load_b64 v[64:65], v9 offset:32
	s_wait_dscnt 0x0
	v_pk_mul_f32 v[66:67], v[62:63], v[64:65] op_sel:[1,1] op_sel_hi:[0,1]
	s_delay_alu instid0(VALU_DEP_1) | instskip(SKIP_1) | instid1(VALU_DEP_2)
	v_pk_fma_f32 v[68:69], v[62:63], v[64:65], v[66:67] op_sel_hi:[1,0,1]
	v_pk_fma_f32 v[62:63], v[62:63], v[64:65], v[66:67] neg_lo:[0,0,1] neg_hi:[0,0,1]
	v_mov_b32_e32 v63, v69
	scratch_store_b64 off, v[62:63], off offset:32
.LBB92_31:
	s_wait_xcnt 0x0
	s_or_b32 exec_lo, exec_lo, s0
	s_wait_storecnt 0x0
	s_barrier_signal -1
	s_barrier_wait -1
	scratch_load_b64 v[62:63], off, off offset:40
	;; [unrolled: 52-line block ×19, first 2 shown]
	s_mov_b32 s0, exec_lo
	s_wait_loadcnt 0x0
	ds_store_b64 v1, v[62:63]
	s_wait_dscnt 0x0
	s_barrier_signal -1
	s_barrier_wait -1
	v_cmpx_gt_u32_e32 22, v0
	s_cbranch_execz .LBB92_103
; %bb.100:
	v_dual_mov_b32 v62, 0 :: v_dual_add_nc_u32 v9, -1, v0
	v_add_nc_u32_e32 v11, 0xf0, v60
	v_mov_b32_e32 v13, v60
	s_mov_b32 s1, 0
	s_delay_alu instid0(VALU_DEP_3)
	v_mov_b32_e32 v63, v62
.LBB92_101:                             ; =>This Inner Loop Header: Depth=1
	scratch_load_b64 v[64:65], v13, off
	ds_load_b64 v[66:67], v11
	s_wait_xcnt 0x0
	v_dual_add_nc_u32 v11, 8, v11 :: v_dual_add_nc_u32 v13, 8, v13
	s_wait_loadcnt_dscnt 0x0
	v_pk_mul_f32 v[68:69], v[66:67], v[64:65] op_sel:[1,1] op_sel_hi:[0,1]
	s_delay_alu instid0(VALU_DEP_1) | instskip(SKIP_2) | instid1(VALU_DEP_3)
	v_pk_fma_f32 v[70:71], v[66:67], v[64:65], v[68:69] op_sel_hi:[1,0,1]
	v_add_nc_u32_e32 v9, 1, v9
	v_pk_fma_f32 v[64:65], v[66:67], v[64:65], v[68:69] neg_lo:[0,0,1] neg_hi:[0,0,1]
	v_mov_b32_e32 v65, v71
	s_delay_alu instid0(VALU_DEP_3) | instskip(NEXT) | instid1(VALU_DEP_2)
	v_cmp_lt_u32_e32 vcc_lo, 20, v9
	v_pk_add_f32 v[62:63], v[62:63], v[64:65]
	s_or_b32 s1, vcc_lo, s1
	s_delay_alu instid0(SALU_CYCLE_1)
	s_and_not1_b32 exec_lo, exec_lo, s1
	s_cbranch_execnz .LBB92_101
; %bb.102:
	s_or_b32 exec_lo, exec_lo, s1
	v_mov_b32_e32 v9, 0
	ds_load_b64 v[64:65], v9 offset:176
	s_wait_dscnt 0x0
	v_pk_mul_f32 v[66:67], v[62:63], v[64:65] op_sel:[1,1] op_sel_hi:[0,1]
	s_delay_alu instid0(VALU_DEP_1) | instskip(SKIP_1) | instid1(VALU_DEP_2)
	v_pk_fma_f32 v[68:69], v[62:63], v[64:65], v[66:67] op_sel_hi:[1,0,1]
	v_pk_fma_f32 v[62:63], v[62:63], v[64:65], v[66:67] neg_lo:[0,0,1] neg_hi:[0,0,1]
	v_mov_b32_e32 v63, v69
	scratch_store_b64 off, v[62:63], off offset:176
.LBB92_103:
	s_wait_xcnt 0x0
	s_or_b32 exec_lo, exec_lo, s0
	s_wait_storecnt 0x0
	s_barrier_signal -1
	s_barrier_wait -1
	scratch_load_b64 v[62:63], off, off offset:184
	s_mov_b32 s0, exec_lo
	s_wait_loadcnt 0x0
	ds_store_b64 v1, v[62:63]
	s_wait_dscnt 0x0
	s_barrier_signal -1
	s_barrier_wait -1
	v_cmpx_gt_u32_e32 23, v0
	s_cbranch_execz .LBB92_107
; %bb.104:
	v_dual_mov_b32 v62, 0 :: v_dual_add_nc_u32 v9, -1, v0
	v_add_nc_u32_e32 v11, 0xf0, v60
	v_mov_b32_e32 v13, v60
	s_mov_b32 s1, 0
	s_delay_alu instid0(VALU_DEP_3)
	v_mov_b32_e32 v63, v62
.LBB92_105:                             ; =>This Inner Loop Header: Depth=1
	scratch_load_b64 v[64:65], v13, off
	ds_load_b64 v[66:67], v11
	s_wait_xcnt 0x0
	v_dual_add_nc_u32 v11, 8, v11 :: v_dual_add_nc_u32 v13, 8, v13
	s_wait_loadcnt_dscnt 0x0
	v_pk_mul_f32 v[68:69], v[66:67], v[64:65] op_sel:[1,1] op_sel_hi:[0,1]
	s_delay_alu instid0(VALU_DEP_1) | instskip(SKIP_2) | instid1(VALU_DEP_3)
	v_pk_fma_f32 v[70:71], v[66:67], v[64:65], v[68:69] op_sel_hi:[1,0,1]
	v_add_nc_u32_e32 v9, 1, v9
	v_pk_fma_f32 v[64:65], v[66:67], v[64:65], v[68:69] neg_lo:[0,0,1] neg_hi:[0,0,1]
	v_mov_b32_e32 v65, v71
	s_delay_alu instid0(VALU_DEP_3) | instskip(NEXT) | instid1(VALU_DEP_2)
	v_cmp_lt_u32_e32 vcc_lo, 21, v9
	v_pk_add_f32 v[62:63], v[62:63], v[64:65]
	s_or_b32 s1, vcc_lo, s1
	s_delay_alu instid0(SALU_CYCLE_1)
	s_and_not1_b32 exec_lo, exec_lo, s1
	s_cbranch_execnz .LBB92_105
; %bb.106:
	s_or_b32 exec_lo, exec_lo, s1
	v_mov_b32_e32 v9, 0
	ds_load_b64 v[64:65], v9 offset:184
	s_wait_dscnt 0x0
	v_pk_mul_f32 v[66:67], v[62:63], v[64:65] op_sel:[1,1] op_sel_hi:[0,1]
	s_delay_alu instid0(VALU_DEP_1) | instskip(SKIP_1) | instid1(VALU_DEP_2)
	v_pk_fma_f32 v[68:69], v[62:63], v[64:65], v[66:67] op_sel_hi:[1,0,1]
	v_pk_fma_f32 v[62:63], v[62:63], v[64:65], v[66:67] neg_lo:[0,0,1] neg_hi:[0,0,1]
	v_mov_b32_e32 v63, v69
	scratch_store_b64 off, v[62:63], off offset:184
.LBB92_107:
	s_wait_xcnt 0x0
	s_or_b32 exec_lo, exec_lo, s0
	s_wait_storecnt 0x0
	s_barrier_signal -1
	s_barrier_wait -1
	scratch_load_b64 v[62:63], off, off offset:192
	;; [unrolled: 52-line block ×6, first 2 shown]
	s_mov_b32 s0, exec_lo
	s_wait_loadcnt 0x0
	ds_store_b64 v1, v[62:63]
	s_wait_dscnt 0x0
	s_barrier_signal -1
	s_barrier_wait -1
	v_cmpx_ne_u32_e32 28, v0
	s_cbranch_execz .LBB92_127
; %bb.124:
	v_dual_mov_b32 v62, 0 :: v_dual_mov_b32 v9, v60
	s_mov_b32 s1, 0
	s_delay_alu instid0(VALU_DEP_1)
	v_mov_b32_e32 v63, v62
.LBB92_125:                             ; =>This Inner Loop Header: Depth=1
	scratch_load_b64 v[60:61], v9, off
	ds_load_b64 v[64:65], v1
	v_add_nc_u32_e32 v1, 8, v1
	s_wait_xcnt 0x0
	v_add_nc_u32_e32 v9, 8, v9
	s_wait_loadcnt_dscnt 0x0
	v_pk_mul_f32 v[66:67], v[64:65], v[60:61] op_sel:[1,1] op_sel_hi:[0,1]
	s_delay_alu instid0(VALU_DEP_1) | instskip(SKIP_2) | instid1(VALU_DEP_3)
	v_pk_fma_f32 v[68:69], v[64:65], v[60:61], v[66:67] op_sel_hi:[1,0,1]
	v_add_nc_u32_e32 v7, 1, v7
	v_pk_fma_f32 v[60:61], v[64:65], v[60:61], v[66:67] neg_lo:[0,0,1] neg_hi:[0,0,1]
	v_mov_b32_e32 v61, v69
	s_delay_alu instid0(VALU_DEP_3) | instskip(NEXT) | instid1(VALU_DEP_2)
	v_cmp_lt_u32_e32 vcc_lo, 26, v7
	v_pk_add_f32 v[62:63], v[62:63], v[60:61]
	s_or_b32 s1, vcc_lo, s1
	s_delay_alu instid0(SALU_CYCLE_1)
	s_and_not1_b32 exec_lo, exec_lo, s1
	s_cbranch_execnz .LBB92_125
; %bb.126:
	s_or_b32 exec_lo, exec_lo, s1
	v_mov_b32_e32 v1, 0
	ds_load_b64 v[60:61], v1 offset:224
	s_wait_dscnt 0x0
	v_pk_mul_f32 v[64:65], v[62:63], v[60:61] op_sel:[1,1] op_sel_hi:[0,1]
	s_delay_alu instid0(VALU_DEP_1) | instskip(SKIP_1) | instid1(VALU_DEP_2)
	v_pk_fma_f32 v[66:67], v[62:63], v[60:61], v[64:65] op_sel_hi:[1,0,1]
	v_pk_fma_f32 v[60:61], v[62:63], v[60:61], v[64:65] neg_lo:[0,0,1] neg_hi:[0,0,1]
	v_mov_b32_e32 v61, v67
	scratch_store_b64 off, v[60:61], off offset:224
.LBB92_127:
	s_wait_xcnt 0x0
	s_or_b32 exec_lo, exec_lo, s0
	s_mov_b32 s1, -1
	s_wait_storecnt 0x0
	s_barrier_signal -1
	s_barrier_wait -1
.LBB92_128:
	s_and_b32 vcc_lo, exec_lo, s1
	s_cbranch_vccz .LBB92_130
; %bb.129:
	v_mov_b32_e32 v1, 0
	s_lshl_b64 s[0:1], s[10:11], 2
	s_delay_alu instid0(SALU_CYCLE_1)
	s_add_nc_u64 s[0:1], s[6:7], s[0:1]
	global_load_b32 v1, v1, s[0:1]
	s_wait_loadcnt 0x0
	v_cmp_ne_u32_e32 vcc_lo, 0, v1
	s_cbranch_vccz .LBB92_131
.LBB92_130:
	s_sendmsg sendmsg(MSG_DEALLOC_VGPRS)
	s_endpgm
.LBB92_131:
	s_wait_xcnt 0x0
	v_lshl_add_u32 v1, v0, 3, 0xf0
	s_mov_b32 s0, exec_lo
	v_cmpx_eq_u32_e32 28, v0
	s_cbranch_execz .LBB92_133
; %bb.132:
	scratch_load_b64 v[60:61], off, off offset:216
	v_mov_b64_e32 v[62:63], 0
	scratch_store_b64 off, v[62:63], off offset:216
	s_wait_loadcnt 0x0
	ds_store_b64 v1, v[60:61]
.LBB92_133:
	s_wait_xcnt 0x0
	s_or_b32 exec_lo, exec_lo, s0
	s_wait_storecnt_dscnt 0x0
	s_barrier_signal -1
	s_barrier_wait -1
	s_clause 0x1
	scratch_load_b64 v[60:61], off, off offset:224
	scratch_load_b64 v[62:63], off, off offset:216
	v_mov_b32_e32 v7, 0
	s_mov_b32 s0, exec_lo
	ds_load_b64 v[64:65], v7 offset:464
	s_wait_loadcnt_dscnt 0x100
	v_pk_mul_f32 v[66:67], v[64:65], v[60:61] op_sel:[1,1] op_sel_hi:[0,1]
	s_delay_alu instid0(VALU_DEP_1) | instskip(SKIP_1) | instid1(VALU_DEP_2)
	v_pk_fma_f32 v[68:69], v[64:65], v[60:61], v[66:67] op_sel_hi:[1,0,1]
	v_pk_fma_f32 v[60:61], v[64:65], v[60:61], v[66:67] neg_lo:[0,0,1] neg_hi:[0,0,1]
	v_mov_b32_e32 v61, v69
	s_delay_alu instid0(VALU_DEP_1) | instskip(SKIP_1) | instid1(VALU_DEP_1)
	v_pk_add_f32 v[60:61], v[60:61], 0 op_sel_hi:[1,0]
	s_wait_loadcnt 0x0
	v_pk_add_f32 v[60:61], v[62:63], v[60:61] neg_lo:[0,1] neg_hi:[0,1]
	scratch_store_b64 off, v[60:61], off offset:216
	s_wait_xcnt 0x0
	v_cmpx_lt_u32_e32 26, v0
	s_cbranch_execz .LBB92_135
; %bb.134:
	scratch_load_b64 v[60:61], off, off offset:208
	v_mov_b64_e32 v[62:63], 0
	scratch_store_b64 off, v[62:63], off offset:208
	s_wait_loadcnt 0x0
	ds_store_b64 v1, v[60:61]
.LBB92_135:
	s_wait_xcnt 0x0
	s_or_b32 exec_lo, exec_lo, s0
	s_wait_storecnt_dscnt 0x0
	s_barrier_signal -1
	s_barrier_wait -1
	s_clause 0x1
	scratch_load_b128 v[60:63], off, off offset:216
	scratch_load_b64 v[68:69], off, off offset:208
	ds_load_2addr_b64 v[64:67], v7 offset0:57 offset1:58
	s_mov_b32 s0, exec_lo
	s_wait_dscnt 0x0
	v_dual_mov_b32 v70, v67 :: v_dual_mov_b32 v71, v66
	s_wait_loadcnt 0x1
	v_pk_mul_f32 v[72:73], v[64:65], v[60:61] op_sel:[1,1] op_sel_hi:[0,1]
	s_delay_alu instid0(VALU_DEP_1) | instskip(SKIP_2) | instid1(VALU_DEP_3)
	v_pk_fma_f32 v[76:77], v[64:65], v[60:61], v[72:73] op_sel_hi:[1,0,1]
	v_mov_b32_e32 v74, v63
	v_pk_fma_f32 v[60:61], v[64:65], v[60:61], v[72:73] neg_lo:[0,0,1] neg_hi:[0,0,1]
	v_mov_b32_e32 v61, v77
	s_delay_alu instid0(VALU_DEP_3) | instskip(NEXT) | instid1(VALU_DEP_2)
	v_pk_mul_f32 v[70:71], v[70:71], v[74:75] op_sel_hi:[1,0]
	v_pk_add_f32 v[60:61], v[60:61], 0 op_sel_hi:[1,0]
	s_delay_alu instid0(VALU_DEP_2) | instskip(SKIP_1) | instid1(VALU_DEP_2)
	v_pk_fma_f32 v[64:65], v[66:67], v[62:63], v[70:71] op_sel_hi:[1,0,1]
	v_pk_fma_f32 v[62:63], v[66:67], v[62:63], v[70:71] neg_lo:[0,0,1] neg_hi:[0,0,1]
	v_mov_b32_e32 v63, v65
	s_delay_alu instid0(VALU_DEP_1) | instskip(SKIP_1) | instid1(VALU_DEP_1)
	v_pk_add_f32 v[60:61], v[60:61], v[62:63]
	s_wait_loadcnt 0x0
	v_pk_add_f32 v[60:61], v[68:69], v[60:61] neg_lo:[0,1] neg_hi:[0,1]
	scratch_store_b64 off, v[60:61], off offset:208
	s_wait_xcnt 0x0
	v_cmpx_lt_u32_e32 25, v0
	s_cbranch_execz .LBB92_137
; %bb.136:
	scratch_load_b64 v[60:61], off, off offset:200
	v_mov_b64_e32 v[62:63], 0
	scratch_store_b64 off, v[62:63], off offset:200
	s_wait_loadcnt 0x0
	ds_store_b64 v1, v[60:61]
.LBB92_137:
	s_wait_xcnt 0x0
	s_or_b32 exec_lo, exec_lo, s0
	s_wait_storecnt_dscnt 0x0
	s_barrier_signal -1
	s_barrier_wait -1
	s_clause 0x2
	scratch_load_b128 v[60:63], off, off offset:208
	scratch_load_b64 v[68:69], off, off offset:224
	scratch_load_b64 v[70:71], off, off offset:200
	v_mov_b32_e32 v7, 0
	ds_load_b128 v[64:67], v7 offset:448
	ds_load_b64 v[72:73], v7 offset:464
	s_mov_b32 s0, exec_lo
	s_wait_dscnt 0x1
	v_dual_mov_b32 v74, v67 :: v_dual_mov_b32 v75, v66
	s_wait_loadcnt 0x2
	v_mov_b32_e32 v78, v63
	v_pk_mul_f32 v[76:77], v[64:65], v[60:61] op_sel:[1,1] op_sel_hi:[0,1]
	s_delay_alu instid0(VALU_DEP_2) | instskip(NEXT) | instid1(VALU_DEP_2)
	v_pk_mul_f32 v[74:75], v[74:75], v[78:79] op_sel_hi:[1,0]
	v_pk_fma_f32 v[80:81], v[64:65], v[60:61], v[76:77] op_sel_hi:[1,0,1]
	v_pk_fma_f32 v[60:61], v[64:65], v[60:61], v[76:77] neg_lo:[0,0,1] neg_hi:[0,0,1]
	s_wait_loadcnt_dscnt 0x100
	v_pk_mul_f32 v[76:77], v[72:73], v[68:69] op_sel:[1,1] op_sel_hi:[0,1]
	v_pk_fma_f32 v[64:65], v[66:67], v[62:63], v[74:75] op_sel_hi:[1,0,1]
	v_mov_b32_e32 v61, v81
	v_pk_fma_f32 v[62:63], v[66:67], v[62:63], v[74:75] neg_lo:[0,0,1] neg_hi:[0,0,1]
	s_delay_alu instid0(VALU_DEP_4) | instskip(NEXT) | instid1(VALU_DEP_4)
	v_pk_fma_f32 v[66:67], v[72:73], v[68:69], v[76:77] neg_lo:[0,0,1] neg_hi:[0,0,1]
	v_mov_b32_e32 v63, v65
	s_delay_alu instid0(VALU_DEP_4) | instskip(SKIP_1) | instid1(VALU_DEP_2)
	v_pk_add_f32 v[60:61], v[60:61], 0 op_sel_hi:[1,0]
	v_pk_fma_f32 v[64:65], v[72:73], v[68:69], v[76:77] op_sel_hi:[1,0,1]
	v_pk_add_f32 v[60:61], v[60:61], v[62:63]
	s_delay_alu instid0(VALU_DEP_2) | instskip(NEXT) | instid1(VALU_DEP_1)
	v_mov_b32_e32 v67, v65
	v_pk_add_f32 v[60:61], v[60:61], v[66:67]
	s_wait_loadcnt 0x0
	s_delay_alu instid0(VALU_DEP_1)
	v_pk_add_f32 v[60:61], v[70:71], v[60:61] neg_lo:[0,1] neg_hi:[0,1]
	scratch_store_b64 off, v[60:61], off offset:200
	s_wait_xcnt 0x0
	v_cmpx_lt_u32_e32 24, v0
	s_cbranch_execz .LBB92_139
; %bb.138:
	scratch_load_b64 v[60:61], off, off offset:192
	v_mov_b64_e32 v[62:63], 0
	scratch_store_b64 off, v[62:63], off offset:192
	s_wait_loadcnt 0x0
	ds_store_b64 v1, v[60:61]
.LBB92_139:
	s_wait_xcnt 0x0
	s_or_b32 exec_lo, exec_lo, s0
	s_wait_storecnt_dscnt 0x0
	s_barrier_signal -1
	s_barrier_wait -1
	s_clause 0x2
	scratch_load_b128 v[60:63], off, off offset:200
	scratch_load_b128 v[64:67], off, off offset:216
	scratch_load_b64 v[76:77], off, off offset:192
	ds_load_2addr_b64 v[68:71], v7 offset0:55 offset1:56
	ds_load_2addr_b64 v[72:75], v7 offset0:57 offset1:58
	s_mov_b32 s0, exec_lo
	s_wait_dscnt 0x1
	v_dual_mov_b32 v78, v71 :: v_dual_mov_b32 v79, v70
	s_wait_loadcnt_dscnt 0x200
	v_dual_mov_b32 v84, v75 :: v_dual_mov_b32 v82, v63
	v_pk_mul_f32 v[80:81], v[68:69], v[60:61] op_sel:[1,1] op_sel_hi:[0,1]
	s_delay_alu instid0(VALU_DEP_2) | instskip(NEXT) | instid1(VALU_DEP_2)
	v_pk_mul_f32 v[78:79], v[78:79], v[82:83] op_sel_hi:[1,0]
	v_pk_fma_f32 v[86:87], v[68:69], v[60:61], v[80:81] op_sel_hi:[1,0,1]
	v_pk_fma_f32 v[60:61], v[68:69], v[60:61], v[80:81] neg_lo:[0,0,1] neg_hi:[0,0,1]
	v_mov_b32_e32 v85, v74
	s_wait_loadcnt 0x1
	v_pk_mul_f32 v[82:83], v[72:73], v[64:65] op_sel:[1,1] op_sel_hi:[0,1]
	v_pk_fma_f32 v[68:69], v[70:71], v[62:63], v[78:79] op_sel_hi:[1,0,1]
	v_dual_mov_b32 v61, v87 :: v_dual_mov_b32 v68, v67
	v_pk_fma_f32 v[62:63], v[70:71], v[62:63], v[78:79] neg_lo:[0,0,1] neg_hi:[0,0,1]
	s_delay_alu instid0(VALU_DEP_4) | instskip(NEXT) | instid1(VALU_DEP_4)
	v_pk_fma_f32 v[80:81], v[72:73], v[64:65], v[82:83] op_sel_hi:[1,0,1]
	v_mov_b32_e32 v63, v69
	s_delay_alu instid0(VALU_DEP_4) | instskip(SKIP_2) | instid1(VALU_DEP_3)
	v_pk_add_f32 v[60:61], v[60:61], 0 op_sel_hi:[1,0]
	v_pk_mul_f32 v[68:69], v[84:85], v[68:69] op_sel_hi:[1,0]
	v_pk_fma_f32 v[64:65], v[72:73], v[64:65], v[82:83] neg_lo:[0,0,1] neg_hi:[0,0,1]
	v_pk_add_f32 v[60:61], v[60:61], v[62:63]
	s_delay_alu instid0(VALU_DEP_3) | instskip(SKIP_2) | instid1(VALU_DEP_3)
	v_pk_fma_f32 v[62:63], v[74:75], v[66:67], v[68:69] op_sel_hi:[1,0,1]
	v_mov_b32_e32 v65, v81
	v_pk_fma_f32 v[66:67], v[74:75], v[66:67], v[68:69] neg_lo:[0,0,1] neg_hi:[0,0,1]
	v_mov_b32_e32 v67, v63
	s_delay_alu instid0(VALU_DEP_3) | instskip(NEXT) | instid1(VALU_DEP_1)
	v_pk_add_f32 v[60:61], v[60:61], v[64:65]
	v_pk_add_f32 v[60:61], v[60:61], v[66:67]
	s_wait_loadcnt 0x0
	s_delay_alu instid0(VALU_DEP_1)
	v_pk_add_f32 v[60:61], v[76:77], v[60:61] neg_lo:[0,1] neg_hi:[0,1]
	scratch_store_b64 off, v[60:61], off offset:192
	s_wait_xcnt 0x0
	v_cmpx_lt_u32_e32 23, v0
	s_cbranch_execz .LBB92_141
; %bb.140:
	scratch_load_b64 v[60:61], off, off offset:184
	v_mov_b64_e32 v[62:63], 0
	scratch_store_b64 off, v[62:63], off offset:184
	s_wait_loadcnt 0x0
	ds_store_b64 v1, v[60:61]
.LBB92_141:
	s_wait_xcnt 0x0
	s_or_b32 exec_lo, exec_lo, s0
	s_wait_storecnt_dscnt 0x0
	s_barrier_signal -1
	s_barrier_wait -1
	s_clause 0x3
	scratch_load_b128 v[60:63], off, off offset:192
	scratch_load_b128 v[64:67], off, off offset:208
	scratch_load_b64 v[76:77], off, off offset:224
	scratch_load_b64 v[78:79], off, off offset:184
	v_mov_b32_e32 v7, 0
	ds_load_b128 v[68:71], v7 offset:432
	ds_load_b128 v[72:75], v7 offset:448
	s_mov_b32 s0, exec_lo
	s_wait_dscnt 0x1
	v_dual_mov_b32 v80, v71 :: v_dual_mov_b32 v81, v70
	ds_load_b64 v[86:87], v7 offset:464
	s_wait_dscnt 0x1
	v_dual_mov_b32 v88, v75 :: v_dual_mov_b32 v89, v74
	s_wait_loadcnt 0x3
	v_pk_mul_f32 v[82:83], v[68:69], v[60:61] op_sel:[1,1] op_sel_hi:[0,1]
	v_mov_b32_e32 v84, v63
	s_delay_alu instid0(VALU_DEP_2) | instskip(NEXT) | instid1(VALU_DEP_2)
	v_pk_fma_f32 v[90:91], v[68:69], v[60:61], v[82:83] op_sel_hi:[1,0,1]
	v_pk_mul_f32 v[80:81], v[80:81], v[84:85] op_sel_hi:[1,0]
	v_pk_fma_f32 v[60:61], v[68:69], v[60:61], v[82:83] neg_lo:[0,0,1] neg_hi:[0,0,1]
	s_wait_loadcnt 0x2
	v_pk_mul_f32 v[84:85], v[72:73], v[64:65] op_sel:[1,1] op_sel_hi:[0,1]
	v_dual_mov_b32 v90, v67 :: v_dual_mov_b32 v61, v91
	v_pk_fma_f32 v[68:69], v[70:71], v[62:63], v[80:81] op_sel_hi:[1,0,1]
	v_pk_fma_f32 v[62:63], v[70:71], v[62:63], v[80:81] neg_lo:[0,0,1] neg_hi:[0,0,1]
	s_delay_alu instid0(VALU_DEP_4) | instskip(NEXT) | instid1(VALU_DEP_4)
	v_pk_fma_f32 v[82:83], v[72:73], v[64:65], v[84:85] op_sel_hi:[1,0,1]
	v_pk_mul_f32 v[88:89], v[88:89], v[90:91] op_sel_hi:[1,0]
	v_pk_add_f32 v[60:61], v[60:61], 0 op_sel_hi:[1,0]
	v_mov_b32_e32 v63, v69
	v_pk_fma_f32 v[64:65], v[72:73], v[64:65], v[84:85] neg_lo:[0,0,1] neg_hi:[0,0,1]
	v_mov_b32_e32 v65, v83
	v_pk_fma_f32 v[68:69], v[74:75], v[66:67], v[88:89] op_sel_hi:[1,0,1]
	v_pk_fma_f32 v[66:67], v[74:75], v[66:67], v[88:89] neg_lo:[0,0,1] neg_hi:[0,0,1]
	v_pk_add_f32 v[60:61], v[60:61], v[62:63]
	s_wait_loadcnt_dscnt 0x100
	v_pk_mul_f32 v[62:63], v[86:87], v[76:77] op_sel:[1,1] op_sel_hi:[0,1]
	s_delay_alu instid0(VALU_DEP_2) | instskip(NEXT) | instid1(VALU_DEP_2)
	v_pk_add_f32 v[60:61], v[60:61], v[64:65]
	v_pk_fma_f32 v[64:65], v[86:87], v[76:77], v[62:63] op_sel_hi:[1,0,1]
	v_mov_b32_e32 v67, v69
	v_pk_fma_f32 v[62:63], v[86:87], v[76:77], v[62:63] neg_lo:[0,0,1] neg_hi:[0,0,1]
	s_delay_alu instid0(VALU_DEP_3) | instskip(NEXT) | instid1(VALU_DEP_3)
	v_mov_b32_e32 v63, v65
	v_pk_add_f32 v[60:61], v[60:61], v[66:67]
	s_delay_alu instid0(VALU_DEP_1) | instskip(SKIP_1) | instid1(VALU_DEP_1)
	v_pk_add_f32 v[60:61], v[60:61], v[62:63]
	s_wait_loadcnt 0x0
	v_pk_add_f32 v[60:61], v[78:79], v[60:61] neg_lo:[0,1] neg_hi:[0,1]
	scratch_store_b64 off, v[60:61], off offset:184
	s_wait_xcnt 0x0
	v_cmpx_lt_u32_e32 22, v0
	s_cbranch_execz .LBB92_143
; %bb.142:
	scratch_load_b64 v[60:61], off, off offset:176
	v_mov_b64_e32 v[62:63], 0
	scratch_store_b64 off, v[62:63], off offset:176
	s_wait_loadcnt 0x0
	ds_store_b64 v1, v[60:61]
.LBB92_143:
	s_wait_xcnt 0x0
	s_or_b32 exec_lo, exec_lo, s0
	s_wait_storecnt_dscnt 0x0
	s_barrier_signal -1
	s_barrier_wait -1
	s_clause 0x3
	scratch_load_b128 v[60:63], off, off offset:184
	scratch_load_b128 v[64:67], off, off offset:200
	;; [unrolled: 1-line block ×3, first 2 shown]
	scratch_load_b64 v[84:85], off, off offset:176
	ds_load_2addr_b64 v[72:75], v7 offset0:53 offset1:54
	ds_load_2addr_b64 v[76:79], v7 offset0:55 offset1:56
	;; [unrolled: 1-line block ×3, first 2 shown]
	s_mov_b32 s0, exec_lo
	s_wait_dscnt 0x2
	v_dual_mov_b32 v86, v75 :: v_dual_mov_b32 v87, v74
	s_wait_dscnt 0x1
	v_dual_mov_b32 v88, v79 :: v_dual_mov_b32 v89, v78
	;; [unrolled: 2-line block ×3, first 2 shown]
	s_wait_loadcnt 0x3
	v_pk_mul_f32 v[90:91], v[72:73], v[60:61] op_sel:[1,1] op_sel_hi:[0,1]
	v_mov_b32_e32 v92, v63
	s_delay_alu instid0(VALU_DEP_2) | instskip(NEXT) | instid1(VALU_DEP_2)
	v_pk_fma_f32 v[96:97], v[72:73], v[60:61], v[90:91] op_sel_hi:[1,0,1]
	v_pk_mul_f32 v[86:87], v[86:87], v[92:93] op_sel_hi:[1,0]
	v_pk_fma_f32 v[60:61], v[72:73], v[60:61], v[90:91] neg_lo:[0,0,1] neg_hi:[0,0,1]
	s_wait_loadcnt 0x2
	v_pk_mul_f32 v[92:93], v[76:77], v[64:65] op_sel:[1,1] op_sel_hi:[0,1]
	v_mov_b32_e32 v96, v67
	v_pk_fma_f32 v[72:73], v[74:75], v[62:63], v[86:87] op_sel_hi:[1,0,1]
	v_mov_b32_e32 v61, v97
	v_pk_fma_f32 v[62:63], v[74:75], v[62:63], v[86:87] neg_lo:[0,0,1] neg_hi:[0,0,1]
	v_pk_fma_f32 v[90:91], v[76:77], v[64:65], v[92:93] op_sel_hi:[1,0,1]
	v_pk_mul_f32 v[88:89], v[88:89], v[96:97] op_sel_hi:[1,0]
	v_mov_b32_e32 v63, v73
	v_pk_add_f32 v[60:61], v[60:61], 0 op_sel_hi:[1,0]
	v_pk_fma_f32 v[64:65], v[76:77], v[64:65], v[92:93] neg_lo:[0,0,1] neg_hi:[0,0,1]
	s_wait_loadcnt 0x1
	v_pk_mul_f32 v[72:73], v[80:81], v[68:69] op_sel:[1,1] op_sel_hi:[0,1]
	v_mov_b32_e32 v65, v91
	v_pk_fma_f32 v[74:75], v[78:79], v[66:67], v[88:89] op_sel_hi:[1,0,1]
	v_pk_add_f32 v[60:61], v[60:61], v[62:63]
	v_mov_b32_e32 v62, v71
	v_pk_fma_f32 v[66:67], v[78:79], v[66:67], v[88:89] neg_lo:[0,0,1] neg_hi:[0,0,1]
	v_pk_fma_f32 v[76:77], v[80:81], v[68:69], v[72:73] op_sel_hi:[1,0,1]
	v_mov_b32_e32 v67, v75
	v_pk_add_f32 v[60:61], v[60:61], v[64:65]
	v_pk_mul_f32 v[62:63], v[94:95], v[62:63] op_sel_hi:[1,0]
	v_pk_fma_f32 v[64:65], v[80:81], v[68:69], v[72:73] neg_lo:[0,0,1] neg_hi:[0,0,1]
	v_mov_b32_e32 v65, v77
	s_delay_alu instid0(VALU_DEP_4) | instskip(NEXT) | instid1(VALU_DEP_4)
	v_pk_add_f32 v[60:61], v[60:61], v[66:67]
	v_pk_fma_f32 v[66:67], v[82:83], v[70:71], v[62:63] op_sel_hi:[1,0,1]
	v_pk_fma_f32 v[62:63], v[82:83], v[70:71], v[62:63] neg_lo:[0,0,1] neg_hi:[0,0,1]
	s_delay_alu instid0(VALU_DEP_3) | instskip(NEXT) | instid1(VALU_DEP_3)
	v_pk_add_f32 v[60:61], v[60:61], v[64:65]
	v_mov_b32_e32 v63, v67
	s_delay_alu instid0(VALU_DEP_1) | instskip(SKIP_1) | instid1(VALU_DEP_1)
	v_pk_add_f32 v[60:61], v[60:61], v[62:63]
	s_wait_loadcnt 0x0
	v_pk_add_f32 v[60:61], v[84:85], v[60:61] neg_lo:[0,1] neg_hi:[0,1]
	scratch_store_b64 off, v[60:61], off offset:176
	s_wait_xcnt 0x0
	v_cmpx_lt_u32_e32 21, v0
	s_cbranch_execz .LBB92_145
; %bb.144:
	scratch_load_b64 v[60:61], off, off offset:168
	v_mov_b64_e32 v[62:63], 0
	scratch_store_b64 off, v[62:63], off offset:168
	s_wait_loadcnt 0x0
	ds_store_b64 v1, v[60:61]
.LBB92_145:
	s_wait_xcnt 0x0
	s_or_b32 exec_lo, exec_lo, s0
	s_wait_storecnt_dscnt 0x0
	s_barrier_signal -1
	s_barrier_wait -1
	s_clause 0x4
	scratch_load_b128 v[60:63], off, off offset:176
	scratch_load_b128 v[64:67], off, off offset:192
	;; [unrolled: 1-line block ×3, first 2 shown]
	scratch_load_b64 v[84:85], off, off offset:224
	scratch_load_b64 v[86:87], off, off offset:168
	v_mov_b32_e32 v7, 0
	ds_load_b128 v[72:75], v7 offset:416
	ds_load_b128 v[76:79], v7 offset:432
	;; [unrolled: 1-line block ×3, first 2 shown]
	ds_load_b64 v[88:89], v7 offset:464
	s_mov_b32 s0, exec_lo
	s_wait_dscnt 0x3
	v_dual_mov_b32 v90, v75 :: v_dual_mov_b32 v91, v74
	s_wait_dscnt 0x2
	v_dual_mov_b32 v92, v79 :: v_dual_mov_b32 v93, v78
	s_wait_dscnt 0x1
	v_dual_mov_b32 v98, v83 :: v_dual_mov_b32 v99, v82
	s_wait_loadcnt 0x4
	v_pk_mul_f32 v[94:95], v[72:73], v[60:61] op_sel:[1,1] op_sel_hi:[0,1]
	v_mov_b32_e32 v96, v63
	s_wait_loadcnt 0x3
	v_pk_mul_f32 v[100:101], v[76:77], v[64:65] op_sel:[1,1] op_sel_hi:[0,1]
	s_wait_loadcnt 0x2
	v_pk_mul_f32 v[104:105], v[80:81], v[68:69] op_sel:[1,1] op_sel_hi:[0,1]
	v_pk_fma_f32 v[102:103], v[72:73], v[60:61], v[94:95] op_sel_hi:[1,0,1]
	v_pk_mul_f32 v[90:91], v[90:91], v[96:97] op_sel_hi:[1,0]
	v_pk_fma_f32 v[60:61], v[72:73], v[60:61], v[94:95] neg_lo:[0,0,1] neg_hi:[0,0,1]
	v_mov_b32_e32 v96, v67
	v_pk_fma_f32 v[94:95], v[76:77], v[64:65], v[100:101] op_sel_hi:[1,0,1]
	v_mov_b32_e32 v61, v103
	v_pk_fma_f32 v[72:73], v[74:75], v[62:63], v[90:91] op_sel_hi:[1,0,1]
	v_pk_fma_f32 v[62:63], v[74:75], v[62:63], v[90:91] neg_lo:[0,0,1] neg_hi:[0,0,1]
	v_pk_mul_f32 v[92:93], v[92:93], v[96:97] op_sel_hi:[1,0]
	v_pk_fma_f32 v[64:65], v[76:77], v[64:65], v[100:101] neg_lo:[0,0,1] neg_hi:[0,0,1]
	v_pk_add_f32 v[60:61], v[60:61], 0 op_sel_hi:[1,0]
	v_dual_mov_b32 v63, v73 :: v_dual_mov_b32 v72, v71
	s_delay_alu instid0(VALU_DEP_4) | instskip(SKIP_2) | instid1(VALU_DEP_4)
	v_pk_fma_f32 v[74:75], v[78:79], v[66:67], v[92:93] op_sel_hi:[1,0,1]
	v_mov_b32_e32 v65, v95
	v_pk_fma_f32 v[66:67], v[78:79], v[66:67], v[92:93] neg_lo:[0,0,1] neg_hi:[0,0,1]
	v_pk_add_f32 v[60:61], v[60:61], v[62:63]
	v_pk_fma_f32 v[62:63], v[80:81], v[68:69], v[104:105] op_sel_hi:[1,0,1]
	v_pk_mul_f32 v[72:73], v[98:99], v[72:73] op_sel_hi:[1,0]
	v_mov_b32_e32 v67, v75
	s_delay_alu instid0(VALU_DEP_4)
	v_pk_add_f32 v[60:61], v[60:61], v[64:65]
	v_pk_fma_f32 v[64:65], v[80:81], v[68:69], v[104:105] neg_lo:[0,0,1] neg_hi:[0,0,1]
	v_mov_b32_e32 v65, v63
	v_pk_fma_f32 v[62:63], v[82:83], v[70:71], v[72:73] op_sel_hi:[1,0,1]
	v_pk_fma_f32 v[68:69], v[82:83], v[70:71], v[72:73] neg_lo:[0,0,1] neg_hi:[0,0,1]
	v_pk_add_f32 v[60:61], v[60:61], v[66:67]
	s_wait_loadcnt_dscnt 0x100
	v_pk_mul_f32 v[66:67], v[88:89], v[84:85] op_sel:[1,1] op_sel_hi:[0,1]
	v_mov_b32_e32 v69, v63
	s_delay_alu instid0(VALU_DEP_3) | instskip(NEXT) | instid1(VALU_DEP_3)
	v_pk_add_f32 v[60:61], v[60:61], v[64:65]
	v_pk_fma_f32 v[62:63], v[88:89], v[84:85], v[66:67] op_sel_hi:[1,0,1]
	v_pk_fma_f32 v[64:65], v[88:89], v[84:85], v[66:67] neg_lo:[0,0,1] neg_hi:[0,0,1]
	s_delay_alu instid0(VALU_DEP_3) | instskip(NEXT) | instid1(VALU_DEP_3)
	v_pk_add_f32 v[60:61], v[60:61], v[68:69]
	v_mov_b32_e32 v65, v63
	s_delay_alu instid0(VALU_DEP_1) | instskip(SKIP_1) | instid1(VALU_DEP_1)
	v_pk_add_f32 v[60:61], v[60:61], v[64:65]
	s_wait_loadcnt 0x0
	v_pk_add_f32 v[60:61], v[86:87], v[60:61] neg_lo:[0,1] neg_hi:[0,1]
	scratch_store_b64 off, v[60:61], off offset:168
	s_wait_xcnt 0x0
	v_cmpx_lt_u32_e32 20, v0
	s_cbranch_execz .LBB92_147
; %bb.146:
	scratch_load_b64 v[60:61], off, off offset:160
	v_mov_b64_e32 v[62:63], 0
	scratch_store_b64 off, v[62:63], off offset:160
	s_wait_loadcnt 0x0
	ds_store_b64 v1, v[60:61]
.LBB92_147:
	s_wait_xcnt 0x0
	s_or_b32 exec_lo, exec_lo, s0
	s_wait_storecnt_dscnt 0x0
	s_barrier_signal -1
	s_barrier_wait -1
	s_clause 0x4
	scratch_load_b128 v[60:63], off, off offset:168
	scratch_load_b128 v[64:67], off, off offset:184
	;; [unrolled: 1-line block ×4, first 2 shown]
	scratch_load_b64 v[92:93], off, off offset:160
	ds_load_2addr_b64 v[76:79], v7 offset0:51 offset1:52
	ds_load_2addr_b64 v[80:83], v7 offset0:53 offset1:54
	;; [unrolled: 1-line block ×4, first 2 shown]
	s_mov_b32 s0, exec_lo
	s_wait_dscnt 0x3
	v_dual_mov_b32 v94, v79 :: v_dual_mov_b32 v95, v78
	s_wait_dscnt 0x2
	v_dual_mov_b32 v96, v83 :: v_dual_mov_b32 v97, v82
	;; [unrolled: 2-line block ×3, first 2 shown]
	v_dual_mov_b32 v99, v86 :: v_dual_mov_b32 v104, v91
	s_wait_loadcnt 0x4
	v_mov_b32_e32 v102, v63
	v_pk_mul_f32 v[100:101], v[76:77], v[60:61] op_sel:[1,1] op_sel_hi:[0,1]
	s_wait_loadcnt 0x3
	v_pk_mul_f32 v[106:107], v[80:81], v[64:65] op_sel:[1,1] op_sel_hi:[0,1]
	s_wait_loadcnt 0x2
	v_pk_mul_f32 v[110:111], v[84:85], v[68:69] op_sel:[1,1] op_sel_hi:[0,1]
	v_pk_mul_f32 v[94:95], v[94:95], v[102:103] op_sel_hi:[1,0]
	v_pk_fma_f32 v[108:109], v[76:77], v[60:61], v[100:101] op_sel_hi:[1,0,1]
	v_pk_fma_f32 v[60:61], v[76:77], v[60:61], v[100:101] neg_lo:[0,0,1] neg_hi:[0,0,1]
	v_mov_b32_e32 v102, v67
	v_pk_fma_f32 v[100:101], v[80:81], v[64:65], v[106:107] op_sel_hi:[1,0,1]
	v_pk_fma_f32 v[76:77], v[78:79], v[62:63], v[94:95] op_sel_hi:[1,0,1]
	v_mov_b32_e32 v61, v109
	v_pk_fma_f32 v[62:63], v[78:79], v[62:63], v[94:95] neg_lo:[0,0,1] neg_hi:[0,0,1]
	v_pk_mul_f32 v[96:97], v[96:97], v[102:103] op_sel_hi:[1,0]
	s_delay_alu instid0(VALU_DEP_4) | instskip(NEXT) | instid1(VALU_DEP_4)
	v_dual_mov_b32 v76, v71 :: v_dual_mov_b32 v63, v77
	v_pk_add_f32 v[60:61], v[60:61], 0 op_sel_hi:[1,0]
	v_pk_fma_f32 v[64:65], v[80:81], v[64:65], v[106:107] neg_lo:[0,0,1] neg_hi:[0,0,1]
	v_mov_b32_e32 v65, v101
	v_pk_fma_f32 v[78:79], v[82:83], v[66:67], v[96:97] op_sel_hi:[1,0,1]
	v_pk_mul_f32 v[76:77], v[98:99], v[76:77] op_sel_hi:[1,0]
	v_pk_add_f32 v[60:61], v[60:61], v[62:63]
	v_pk_fma_f32 v[62:63], v[84:85], v[68:69], v[110:111] op_sel_hi:[1,0,1]
	v_pk_fma_f32 v[66:67], v[82:83], v[66:67], v[96:97] neg_lo:[0,0,1] neg_hi:[0,0,1]
	v_mov_b32_e32 v67, v79
	v_pk_fma_f32 v[68:69], v[84:85], v[68:69], v[110:111] neg_lo:[0,0,1] neg_hi:[0,0,1]
	v_pk_add_f32 v[60:61], v[60:61], v[64:65]
	v_mov_b32_e32 v69, v63
	v_pk_fma_f32 v[62:63], v[86:87], v[70:71], v[76:77] op_sel_hi:[1,0,1]
	s_wait_loadcnt 0x1
	v_pk_mul_f32 v[64:65], v[88:89], v[72:73] op_sel:[1,1] op_sel_hi:[0,1]
	v_mov_b32_e32 v62, v75
	v_pk_add_f32 v[60:61], v[60:61], v[66:67]
	v_pk_fma_f32 v[70:71], v[86:87], v[70:71], v[76:77] neg_lo:[0,0,1] neg_hi:[0,0,1]
	v_mov_b32_e32 v71, v63
	v_pk_fma_f32 v[66:67], v[88:89], v[72:73], v[64:65] op_sel_hi:[1,0,1]
	v_pk_mul_f32 v[62:63], v[104:105], v[62:63] op_sel_hi:[1,0]
	v_pk_add_f32 v[60:61], v[60:61], v[68:69]
	v_pk_fma_f32 v[64:65], v[88:89], v[72:73], v[64:65] neg_lo:[0,0,1] neg_hi:[0,0,1]
	s_delay_alu instid0(VALU_DEP_4) | instskip(NEXT) | instid1(VALU_DEP_4)
	v_mov_b32_e32 v65, v67
	v_pk_fma_f32 v[66:67], v[90:91], v[74:75], v[62:63] op_sel_hi:[1,0,1]
	s_delay_alu instid0(VALU_DEP_4) | instskip(SKIP_1) | instid1(VALU_DEP_3)
	v_pk_add_f32 v[60:61], v[60:61], v[70:71]
	v_pk_fma_f32 v[62:63], v[90:91], v[74:75], v[62:63] neg_lo:[0,0,1] neg_hi:[0,0,1]
	v_mov_b32_e32 v63, v67
	s_delay_alu instid0(VALU_DEP_3) | instskip(NEXT) | instid1(VALU_DEP_1)
	v_pk_add_f32 v[60:61], v[60:61], v[64:65]
	v_pk_add_f32 v[60:61], v[60:61], v[62:63]
	s_wait_loadcnt 0x0
	s_delay_alu instid0(VALU_DEP_1)
	v_pk_add_f32 v[60:61], v[92:93], v[60:61] neg_lo:[0,1] neg_hi:[0,1]
	scratch_store_b64 off, v[60:61], off offset:160
	s_wait_xcnt 0x0
	v_cmpx_lt_u32_e32 19, v0
	s_cbranch_execz .LBB92_149
; %bb.148:
	scratch_load_b64 v[60:61], off, off offset:152
	v_mov_b64_e32 v[62:63], 0
	scratch_store_b64 off, v[62:63], off offset:152
	s_wait_loadcnt 0x0
	ds_store_b64 v1, v[60:61]
.LBB92_149:
	s_wait_xcnt 0x0
	s_or_b32 exec_lo, exec_lo, s0
	s_wait_storecnt_dscnt 0x0
	s_barrier_signal -1
	s_barrier_wait -1
	s_clause 0x5
	scratch_load_b128 v[60:63], off, off offset:160
	scratch_load_b128 v[64:67], off, off offset:176
	;; [unrolled: 1-line block ×4, first 2 shown]
	scratch_load_b64 v[92:93], off, off offset:224
	scratch_load_b64 v[94:95], off, off offset:152
	v_mov_b32_e32 v7, 0
	ds_load_b128 v[76:79], v7 offset:400
	ds_load_b128 v[80:83], v7 offset:416
	;; [unrolled: 1-line block ×4, first 2 shown]
	ds_load_b64 v[96:97], v7 offset:464
	s_mov_b32 s0, exec_lo
	s_wait_dscnt 0x4
	v_dual_mov_b32 v98, v79 :: v_dual_mov_b32 v99, v78
	s_wait_dscnt 0x1
	v_dual_mov_b32 v100, v83 :: v_dual_mov_b32 v105, v90
	v_dual_mov_b32 v101, v82 :: v_dual_mov_b32 v102, v87
	;; [unrolled: 1-line block ×3, first 2 shown]
	s_wait_loadcnt 0x5
	v_dual_mov_b32 v106, v63 :: v_dual_mul_f32 v107, v76, v61
	v_mul_f32_e32 v9, v77, v61
	s_wait_loadcnt 0x4
	v_pk_mul_f32 v[108:109], v[80:81], v[64:65] op_sel:[1,1] op_sel_hi:[0,1]
	v_mov_b32_e32 v110, v67
	s_wait_loadcnt 0x3
	v_pk_mul_f32 v[112:113], v[84:85], v[68:69] op_sel:[1,1] op_sel_hi:[0,1]
	v_pk_mul_f32 v[98:99], v[98:99], v[106:107] op_sel_hi:[1,0]
	v_dual_fmac_f32 v107, v77, v60 :: v_dual_fma_f32 v106, v76, v60, -v9
	v_mov_b32_e32 v60, v71
	v_pk_fma_f32 v[114:115], v[80:81], v[64:65], v[108:109] op_sel_hi:[1,0,1]
	s_delay_alu instid0(VALU_DEP_4)
	v_pk_fma_f32 v[76:77], v[78:79], v[62:63], v[98:99] op_sel_hi:[1,0,1]
	v_pk_fma_f32 v[62:63], v[78:79], v[62:63], v[98:99] neg_lo:[0,0,1] neg_hi:[0,0,1]
	v_pk_mul_f32 v[100:101], v[100:101], v[110:111] op_sel_hi:[1,0]
	v_pk_add_f32 v[106:107], v[106:107], 0 op_sel_hi:[1,0]
	v_pk_fma_f32 v[64:65], v[80:81], v[64:65], v[108:109] neg_lo:[0,0,1] neg_hi:[0,0,1]
	v_dual_mov_b32 v63, v77 :: v_dual_mov_b32 v65, v115
	s_delay_alu instid0(VALU_DEP_4) | instskip(SKIP_2) | instid1(VALU_DEP_4)
	v_pk_fma_f32 v[78:79], v[82:83], v[66:67], v[100:101] op_sel_hi:[1,0,1]
	v_pk_fma_f32 v[66:67], v[82:83], v[66:67], v[100:101] neg_lo:[0,0,1] neg_hi:[0,0,1]
	v_pk_fma_f32 v[80:81], v[84:85], v[68:69], v[112:113] op_sel_hi:[1,0,1]
	v_pk_add_f32 v[62:63], v[106:107], v[62:63]
	v_pk_mul_f32 v[60:61], v[102:103], v[60:61] op_sel_hi:[1,0]
	v_mov_b32_e32 v67, v79
	v_pk_fma_f32 v[68:69], v[84:85], v[68:69], v[112:113] neg_lo:[0,0,1] neg_hi:[0,0,1]
	s_wait_loadcnt 0x2
	v_pk_mul_f32 v[76:77], v[88:89], v[72:73] op_sel:[1,1] op_sel_hi:[0,1]
	v_pk_add_f32 v[62:63], v[62:63], v[64:65]
	v_mov_b32_e32 v64, v75
	v_pk_fma_f32 v[78:79], v[86:87], v[70:71], v[60:61] op_sel_hi:[1,0,1]
	v_mov_b32_e32 v69, v81
	v_pk_fma_f32 v[60:61], v[86:87], v[70:71], v[60:61] neg_lo:[0,0,1] neg_hi:[0,0,1]
	v_pk_add_f32 v[62:63], v[62:63], v[66:67]
	v_pk_fma_f32 v[66:67], v[88:89], v[72:73], v[76:77] op_sel_hi:[1,0,1]
	v_pk_mul_f32 v[64:65], v[104:105], v[64:65] op_sel_hi:[1,0]
	v_mov_b32_e32 v61, v79
	s_delay_alu instid0(VALU_DEP_4)
	v_pk_add_f32 v[62:63], v[62:63], v[68:69]
	v_pk_fma_f32 v[68:69], v[88:89], v[72:73], v[76:77] neg_lo:[0,0,1] neg_hi:[0,0,1]
	v_mov_b32_e32 v69, v67
	v_pk_fma_f32 v[66:67], v[90:91], v[74:75], v[64:65] op_sel_hi:[1,0,1]
	v_pk_fma_f32 v[64:65], v[90:91], v[74:75], v[64:65] neg_lo:[0,0,1] neg_hi:[0,0,1]
	v_pk_add_f32 v[60:61], v[62:63], v[60:61]
	s_wait_loadcnt_dscnt 0x100
	v_pk_mul_f32 v[62:63], v[96:97], v[92:93] op_sel:[1,1] op_sel_hi:[0,1]
	v_mov_b32_e32 v65, v67
	s_delay_alu instid0(VALU_DEP_3) | instskip(NEXT) | instid1(VALU_DEP_3)
	v_pk_add_f32 v[60:61], v[60:61], v[68:69]
	v_pk_fma_f32 v[66:67], v[96:97], v[92:93], v[62:63] op_sel_hi:[1,0,1]
	v_pk_fma_f32 v[62:63], v[96:97], v[92:93], v[62:63] neg_lo:[0,0,1] neg_hi:[0,0,1]
	s_delay_alu instid0(VALU_DEP_3) | instskip(NEXT) | instid1(VALU_DEP_3)
	v_pk_add_f32 v[60:61], v[60:61], v[64:65]
	v_mov_b32_e32 v63, v67
	s_delay_alu instid0(VALU_DEP_1) | instskip(SKIP_1) | instid1(VALU_DEP_1)
	v_pk_add_f32 v[60:61], v[60:61], v[62:63]
	s_wait_loadcnt 0x0
	v_pk_add_f32 v[60:61], v[94:95], v[60:61] neg_lo:[0,1] neg_hi:[0,1]
	scratch_store_b64 off, v[60:61], off offset:152
	s_wait_xcnt 0x0
	v_cmpx_lt_u32_e32 18, v0
	s_cbranch_execz .LBB92_151
; %bb.150:
	scratch_load_b64 v[60:61], off, off offset:144
	v_mov_b64_e32 v[62:63], 0
	scratch_store_b64 off, v[62:63], off offset:144
	s_wait_loadcnt 0x0
	ds_store_b64 v1, v[60:61]
.LBB92_151:
	s_wait_xcnt 0x0
	s_or_b32 exec_lo, exec_lo, s0
	s_wait_storecnt_dscnt 0x0
	s_barrier_signal -1
	s_barrier_wait -1
	s_clause 0x5
	scratch_load_b128 v[60:63], off, off offset:152
	scratch_load_b128 v[64:67], off, off offset:168
	;; [unrolled: 1-line block ×5, first 2 shown]
	scratch_load_b64 v[100:101], off, off offset:144
	ds_load_2addr_b64 v[80:83], v7 offset0:51 offset1:52
	ds_load_2addr_b64 v[84:87], v7 offset0:53 offset1:54
	;; [unrolled: 1-line block ×5, first 2 shown]
	s_mov_b32 s0, exec_lo
	s_wait_dscnt 0x4
	v_dual_mov_b32 v102, v83 :: v_dual_mov_b32 v103, v82
	s_wait_dscnt 0x3
	v_dual_mov_b32 v104, v87 :: v_dual_mov_b32 v105, v86
	;; [unrolled: 2-line block ×4, first 2 shown]
	s_wait_loadcnt_dscnt 0x500
	v_dual_mul_f32 v111, v96, v61 :: v_dual_mul_f32 v113, v98, v63
	v_dual_mul_f32 v7, v97, v61 :: v_dual_mul_f32 v9, v99, v63
	s_wait_loadcnt 0x4
	v_pk_mul_f32 v[114:115], v[80:81], v[64:65] op_sel:[1,1] op_sel_hi:[0,1]
	s_wait_loadcnt 0x3
	v_dual_mov_b32 v116, v67 :: v_dual_mov_b32 v120, v71
	v_dual_fmac_f32 v111, v97, v60 :: v_dual_fmac_f32 v113, v99, v62
	v_dual_fma_f32 v110, v96, v60, -v7 :: v_dual_fma_f32 v112, v98, v62, -v9
	v_pk_fma_f32 v[60:61], v[80:81], v[64:65], v[114:115] op_sel_hi:[1,0,1]
	s_delay_alu instid0(VALU_DEP_4) | instskip(SKIP_1) | instid1(VALU_DEP_4)
	v_pk_mul_f32 v[62:63], v[102:103], v[116:117] op_sel_hi:[1,0]
	v_pk_fma_f32 v[64:65], v[80:81], v[64:65], v[114:115] neg_lo:[0,0,1] neg_hi:[0,0,1]
	v_pk_add_f32 v[96:97], v[110:111], 0 op_sel_hi:[1,0]
	v_pk_mul_f32 v[118:119], v[84:85], v[68:69] op_sel:[1,1] op_sel_hi:[0,1]
	v_mov_b32_e32 v65, v61
	v_pk_fma_f32 v[60:61], v[82:83], v[66:67], v[62:63] op_sel_hi:[1,0,1]
	v_pk_fma_f32 v[62:63], v[82:83], v[66:67], v[62:63] neg_lo:[0,0,1] neg_hi:[0,0,1]
	v_pk_add_f32 v[80:81], v[96:97], v[112:113]
	v_pk_fma_f32 v[96:97], v[84:85], v[68:69], v[118:119] op_sel_hi:[1,0,1]
	v_pk_mul_f32 v[102:103], v[104:105], v[120:121] op_sel_hi:[1,0]
	v_mov_b32_e32 v63, v61
	s_wait_loadcnt 0x2
	v_pk_mul_f32 v[98:99], v[88:89], v[72:73] op_sel:[1,1] op_sel_hi:[0,1]
	v_pk_add_f32 v[60:61], v[80:81], v[64:65]
	v_mov_b32_e32 v64, v75
	v_pk_fma_f32 v[66:67], v[84:85], v[68:69], v[118:119] neg_lo:[0,0,1] neg_hi:[0,0,1]
	v_mov_b32_e32 v67, v97
	v_pk_fma_f32 v[68:69], v[86:87], v[70:71], v[102:103] op_sel_hi:[1,0,1]
	v_pk_add_f32 v[60:61], v[60:61], v[62:63]
	v_pk_fma_f32 v[62:63], v[88:89], v[72:73], v[98:99] op_sel_hi:[1,0,1]
	v_pk_mul_f32 v[64:65], v[106:107], v[64:65] op_sel_hi:[1,0]
	v_pk_fma_f32 v[70:71], v[86:87], v[70:71], v[102:103] neg_lo:[0,0,1] neg_hi:[0,0,1]
	v_mov_b32_e32 v71, v69
	v_pk_add_f32 v[60:61], v[60:61], v[66:67]
	v_pk_fma_f32 v[68:69], v[88:89], v[72:73], v[98:99] neg_lo:[0,0,1] neg_hi:[0,0,1]
	v_mov_b32_e32 v69, v63
	v_pk_fma_f32 v[62:63], v[90:91], v[74:75], v[64:65] op_sel_hi:[1,0,1]
	s_wait_loadcnt 0x1
	v_pk_mul_f32 v[66:67], v[92:93], v[76:77] op_sel:[1,1] op_sel_hi:[0,1]
	v_pk_add_f32 v[60:61], v[60:61], v[70:71]
	v_mov_b32_e32 v62, v79
	v_pk_fma_f32 v[64:65], v[90:91], v[74:75], v[64:65] neg_lo:[0,0,1] neg_hi:[0,0,1]
	v_mov_b32_e32 v65, v63
	v_pk_fma_f32 v[70:71], v[92:93], v[76:77], v[66:67] op_sel_hi:[1,0,1]
	v_pk_add_f32 v[60:61], v[60:61], v[68:69]
	v_pk_mul_f32 v[62:63], v[108:109], v[62:63] op_sel_hi:[1,0]
	v_pk_fma_f32 v[66:67], v[92:93], v[76:77], v[66:67] neg_lo:[0,0,1] neg_hi:[0,0,1]
	s_delay_alu instid0(VALU_DEP_3) | instskip(NEXT) | instid1(VALU_DEP_3)
	v_pk_add_f32 v[60:61], v[60:61], v[64:65]
	v_pk_fma_f32 v[64:65], v[94:95], v[78:79], v[62:63] op_sel_hi:[1,0,1]
	v_mov_b32_e32 v67, v71
	v_pk_fma_f32 v[62:63], v[94:95], v[78:79], v[62:63] neg_lo:[0,0,1] neg_hi:[0,0,1]
	s_delay_alu instid0(VALU_DEP_3) | instskip(NEXT) | instid1(VALU_DEP_3)
	v_mov_b32_e32 v63, v65
	v_pk_add_f32 v[60:61], v[60:61], v[66:67]
	s_delay_alu instid0(VALU_DEP_1) | instskip(SKIP_1) | instid1(VALU_DEP_1)
	v_pk_add_f32 v[60:61], v[60:61], v[62:63]
	s_wait_loadcnt 0x0
	v_pk_add_f32 v[60:61], v[100:101], v[60:61] neg_lo:[0,1] neg_hi:[0,1]
	scratch_store_b64 off, v[60:61], off offset:144
	s_wait_xcnt 0x0
	v_cmpx_lt_u32_e32 17, v0
	s_cbranch_execz .LBB92_153
; %bb.152:
	scratch_load_b64 v[60:61], off, off offset:136
	v_mov_b64_e32 v[62:63], 0
	scratch_store_b64 off, v[62:63], off offset:136
	s_wait_loadcnt 0x0
	ds_store_b64 v1, v[60:61]
.LBB92_153:
	s_wait_xcnt 0x0
	s_or_b32 exec_lo, exec_lo, s0
	s_wait_storecnt_dscnt 0x0
	s_barrier_signal -1
	s_barrier_wait -1
	s_clause 0x6
	scratch_load_b128 v[60:63], off, off offset:144
	scratch_load_b128 v[64:67], off, off offset:160
	;; [unrolled: 1-line block ×5, first 2 shown]
	scratch_load_b64 v[100:101], off, off offset:224
	scratch_load_b64 v[102:103], off, off offset:136
	v_mov_b32_e32 v7, 0
	ds_load_b128 v[80:83], v7 offset:400
	ds_load_b128 v[84:87], v7 offset:416
	;; [unrolled: 1-line block ×5, first 2 shown]
	ds_load_b64 v[104:105], v7 offset:464
	s_mov_b32 s0, exec_lo
	s_wait_dscnt 0x5
	v_dual_mov_b32 v106, v83 :: v_dual_mov_b32 v107, v82
	s_wait_dscnt 0x2
	v_dual_mov_b32 v108, v87 :: v_dual_mov_b32 v113, v94
	v_dual_mov_b32 v109, v86 :: v_dual_mov_b32 v110, v91
	v_dual_mov_b32 v111, v90 :: v_dual_mov_b32 v112, v95
	s_wait_loadcnt_dscnt 0x601
	v_dual_mul_f32 v9, v96, v61 :: v_dual_mul_f32 v11, v97, v61
	v_dual_mul_f32 v13, v99, v63 :: v_dual_mul_f32 v115, v98, v63
	s_wait_loadcnt 0x5
	v_dual_mul_f32 v117, v80, v65 :: v_dual_mul_f32 v15, v81, v65
	s_wait_loadcnt 0x4
	v_dual_mov_b32 v116, v67 :: v_dual_mov_b32 v120, v71
	v_dual_fmac_f32 v9, v97, v60 :: v_dual_fma_f32 v11, v96, v60, -v11
	v_dual_fma_f32 v114, v98, v62, -v13 :: v_dual_fmac_f32 v115, v99, v62
	s_delay_alu instid0(VALU_DEP_3) | instskip(NEXT) | instid1(VALU_DEP_3)
	v_pk_mul_f32 v[60:61], v[106:107], v[116:117] op_sel_hi:[1,0]
	v_dual_add_f32 v63, 0, v9 :: v_dual_add_f32 v62, 0, v11
	s_wait_loadcnt 0x3
	v_mov_b32_e32 v96, v75
	v_pk_mul_f32 v[118:119], v[84:85], v[68:69] op_sel:[1,1] op_sel_hi:[0,1]
	v_dual_fmac_f32 v117, v81, v64 :: v_dual_fma_f32 v116, v80, v64, -v15
	v_pk_fma_f32 v[64:65], v[82:83], v[66:67], v[60:61] op_sel_hi:[1,0,1]
	v_pk_add_f32 v[62:63], v[62:63], v[114:115]
	v_pk_fma_f32 v[60:61], v[82:83], v[66:67], v[60:61] neg_lo:[0,0,1] neg_hi:[0,0,1]
	v_pk_fma_f32 v[80:81], v[84:85], v[68:69], v[118:119] op_sel_hi:[1,0,1]
	v_pk_mul_f32 v[98:99], v[108:109], v[120:121] op_sel_hi:[1,0]
	v_mov_b32_e32 v61, v65
	v_pk_add_f32 v[62:63], v[62:63], v[116:117]
	v_pk_fma_f32 v[66:67], v[84:85], v[68:69], v[118:119] neg_lo:[0,0,1] neg_hi:[0,0,1]
	v_pk_mul_f32 v[122:123], v[88:89], v[72:73] op_sel:[1,1] op_sel_hi:[0,1]
	v_mov_b32_e32 v67, v81
	v_pk_fma_f32 v[68:69], v[86:87], v[70:71], v[98:99] op_sel_hi:[1,0,1]
	v_pk_add_f32 v[60:61], v[62:63], v[60:61]
	v_pk_fma_f32 v[70:71], v[86:87], v[70:71], v[98:99] neg_lo:[0,0,1] neg_hi:[0,0,1]
	v_pk_fma_f32 v[62:63], v[88:89], v[72:73], v[122:123] op_sel_hi:[1,0,1]
	v_pk_mul_f32 v[80:81], v[110:111], v[96:97] op_sel_hi:[1,0]
	s_wait_loadcnt 0x2
	v_dual_mov_b32 v71, v69 :: v_dual_mov_b32 v62, v79
	v_pk_add_f32 v[60:61], v[60:61], v[66:67]
	v_pk_fma_f32 v[66:67], v[88:89], v[72:73], v[122:123] neg_lo:[0,0,1] neg_hi:[0,0,1]
	v_pk_mul_f32 v[64:65], v[92:93], v[76:77] op_sel:[1,1] op_sel_hi:[0,1]
	v_pk_fma_f32 v[68:69], v[90:91], v[74:75], v[80:81] op_sel_hi:[1,0,1]
	v_mov_b32_e32 v67, v63
	v_pk_add_f32 v[60:61], v[60:61], v[70:71]
	v_pk_fma_f32 v[72:73], v[90:91], v[74:75], v[80:81] neg_lo:[0,0,1] neg_hi:[0,0,1]
	v_pk_fma_f32 v[70:71], v[92:93], v[76:77], v[64:65] op_sel_hi:[1,0,1]
	v_pk_mul_f32 v[62:63], v[112:113], v[62:63] op_sel_hi:[1,0]
	v_mov_b32_e32 v73, v69
	v_pk_add_f32 v[60:61], v[60:61], v[66:67]
	v_pk_fma_f32 v[64:65], v[92:93], v[76:77], v[64:65] neg_lo:[0,0,1] neg_hi:[0,0,1]
	s_wait_loadcnt_dscnt 0x100
	v_pk_mul_f32 v[68:69], v[104:105], v[100:101] op_sel:[1,1] op_sel_hi:[0,1]
	v_pk_fma_f32 v[66:67], v[94:95], v[78:79], v[62:63] op_sel_hi:[1,0,1]
	v_mov_b32_e32 v65, v71
	v_pk_add_f32 v[60:61], v[60:61], v[72:73]
	v_pk_fma_f32 v[62:63], v[94:95], v[78:79], v[62:63] neg_lo:[0,0,1] neg_hi:[0,0,1]
	s_delay_alu instid0(VALU_DEP_4) | instskip(SKIP_1) | instid1(VALU_DEP_4)
	v_mov_b32_e32 v63, v67
	v_pk_fma_f32 v[66:67], v[104:105], v[100:101], v[68:69] neg_lo:[0,0,1] neg_hi:[0,0,1]
	v_pk_add_f32 v[60:61], v[60:61], v[64:65]
	v_pk_fma_f32 v[64:65], v[104:105], v[100:101], v[68:69] op_sel_hi:[1,0,1]
	s_delay_alu instid0(VALU_DEP_2) | instskip(NEXT) | instid1(VALU_DEP_2)
	v_pk_add_f32 v[60:61], v[60:61], v[62:63]
	v_mov_b32_e32 v67, v65
	s_delay_alu instid0(VALU_DEP_1) | instskip(SKIP_1) | instid1(VALU_DEP_1)
	v_pk_add_f32 v[60:61], v[60:61], v[66:67]
	s_wait_loadcnt 0x0
	v_pk_add_f32 v[60:61], v[102:103], v[60:61] neg_lo:[0,1] neg_hi:[0,1]
	scratch_store_b64 off, v[60:61], off offset:136
	s_wait_xcnt 0x0
	v_cmpx_lt_u32_e32 16, v0
	s_cbranch_execz .LBB92_155
; %bb.154:
	scratch_load_b64 v[60:61], off, off offset:128
	v_mov_b64_e32 v[62:63], 0
	scratch_store_b64 off, v[62:63], off offset:128
	s_wait_loadcnt 0x0
	ds_store_b64 v1, v[60:61]
.LBB92_155:
	s_wait_xcnt 0x0
	s_or_b32 exec_lo, exec_lo, s0
	s_wait_storecnt_dscnt 0x0
	s_barrier_signal -1
	s_barrier_wait -1
	s_clause 0x6
	scratch_load_b128 v[60:63], off, off offset:136
	scratch_load_b128 v[64:67], off, off offset:152
	;; [unrolled: 1-line block ×6, first 2 shown]
	scratch_load_b64 v[108:109], off, off offset:128
	ds_load_2addr_b64 v[84:87], v7 offset0:51 offset1:52
	ds_load_2addr_b64 v[88:91], v7 offset0:53 offset1:54
	;; [unrolled: 1-line block ×6, first 2 shown]
	s_mov_b32 s0, exec_lo
	s_wait_dscnt 0x5
	v_dual_mov_b32 v110, v87 :: v_dual_mov_b32 v111, v86
	s_wait_dscnt 0x4
	v_dual_mov_b32 v112, v91 :: v_dual_mov_b32 v113, v90
	s_wait_dscnt 0x3
	v_dual_mov_b32 v114, v95 :: v_dual_mov_b32 v115, v94
	s_wait_dscnt 0x2
	v_dual_mov_b32 v116, v99 :: v_dual_mov_b32 v117, v98
	s_wait_loadcnt_dscnt 0x601
	v_dual_mul_f32 v7, v100, v61 :: v_dual_mul_f32 v9, v102, v63
	v_dual_mul_f32 v11, v101, v61 :: v_dual_mul_f32 v13, v103, v63
	s_wait_loadcnt 0x4
	s_delay_alu instid0(VALU_DEP_2)
	v_dual_mov_b32 v124, v71 :: v_dual_fmac_f32 v7, v101, v60
	s_wait_dscnt 0x0
	v_dual_mul_f32 v119, v104, v65 :: v_dual_mul_f32 v121, v106, v67
	v_dual_fma_f32 v11, v100, v60, -v11 :: v_dual_fmac_f32 v9, v103, v62
	v_dual_mul_f32 v15, v105, v65 :: v_dual_mul_f32 v17, v107, v67
	v_dual_fma_f32 v13, v102, v62, -v13 :: v_dual_add_f32 v7, 0, v7
	s_wait_loadcnt 0x3
	s_delay_alu instid0(VALU_DEP_3) | instskip(SKIP_3) | instid1(VALU_DEP_4)
	v_dual_add_f32 v11, 0, v11 :: v_dual_mov_b32 v62, v75
	v_pk_mul_f32 v[122:123], v[84:85], v[68:69] op_sel:[1,1] op_sel_hi:[0,1]
	v_pk_mul_f32 v[60:61], v[88:89], v[72:73] op_sel:[1,1] op_sel_hi:[0,1]
	v_dual_fmac_f32 v119, v105, v64 :: v_dual_add_f32 v65, v7, v9
	v_dual_fma_f32 v118, v104, v64, -v15 :: v_dual_add_f32 v64, v11, v13
	v_fmac_f32_e32 v121, v107, v66
	v_fma_f32 v120, v106, v66, -v17
	v_pk_fma_f32 v[66:67], v[84:85], v[68:69], v[122:123] op_sel_hi:[1,0,1]
	v_pk_mul_f32 v[100:101], v[110:111], v[124:125] op_sel_hi:[1,0]
	v_pk_add_f32 v[64:65], v[64:65], v[118:119]
	v_pk_fma_f32 v[68:69], v[84:85], v[68:69], v[122:123] neg_lo:[0,0,1] neg_hi:[0,0,1]
	v_pk_fma_f32 v[84:85], v[88:89], v[72:73], v[60:61] op_sel_hi:[1,0,1]
	v_pk_fma_f32 v[60:61], v[88:89], v[72:73], v[60:61] neg_lo:[0,0,1] neg_hi:[0,0,1]
	v_mov_b32_e32 v69, v67
	v_pk_fma_f32 v[66:67], v[86:87], v[70:71], v[100:101] op_sel_hi:[1,0,1]
	v_pk_fma_f32 v[70:71], v[86:87], v[70:71], v[100:101] neg_lo:[0,0,1] neg_hi:[0,0,1]
	v_mov_b32_e32 v61, v85
	v_pk_add_f32 v[64:65], v[64:65], v[120:121]
	v_pk_mul_f32 v[62:63], v[112:113], v[62:63] op_sel_hi:[1,0]
	s_wait_loadcnt 0x2
	v_dual_mov_b32 v71, v67 :: v_dual_mov_b32 v66, v79
	v_pk_mul_f32 v[102:103], v[92:93], v[76:77] op_sel:[1,1] op_sel_hi:[0,1]
	v_pk_add_f32 v[64:65], v[64:65], v[68:69]
	v_pk_fma_f32 v[68:69], v[90:91], v[74:75], v[62:63] op_sel_hi:[1,0,1]
	v_pk_fma_f32 v[62:63], v[90:91], v[74:75], v[62:63] neg_lo:[0,0,1] neg_hi:[0,0,1]
	v_pk_mul_f32 v[66:67], v[114:115], v[66:67] op_sel_hi:[1,0]
	s_delay_alu instid0(VALU_DEP_4) | instskip(SKIP_3) | instid1(VALU_DEP_4)
	v_pk_add_f32 v[64:65], v[64:65], v[70:71]
	v_pk_fma_f32 v[70:71], v[92:93], v[76:77], v[102:103] op_sel_hi:[1,0,1]
	v_mov_b32_e32 v63, v69
	v_pk_fma_f32 v[68:69], v[92:93], v[76:77], v[102:103] neg_lo:[0,0,1] neg_hi:[0,0,1]
	v_pk_add_f32 v[60:61], v[64:65], v[60:61]
	s_wait_loadcnt 0x1
	v_pk_mul_f32 v[64:65], v[96:97], v[80:81] op_sel:[1,1] op_sel_hi:[0,1]
	v_mov_b32_e32 v69, v71
	v_pk_fma_f32 v[70:71], v[94:95], v[78:79], v[66:67] op_sel_hi:[1,0,1]
	v_pk_fma_f32 v[66:67], v[94:95], v[78:79], v[66:67] neg_lo:[0,0,1] neg_hi:[0,0,1]
	v_pk_add_f32 v[60:61], v[60:61], v[62:63]
	v_mov_b32_e32 v62, v83
	v_pk_fma_f32 v[72:73], v[96:97], v[80:81], v[64:65] op_sel_hi:[1,0,1]
	v_mov_b32_e32 v67, v71
	v_pk_fma_f32 v[64:65], v[96:97], v[80:81], v[64:65] neg_lo:[0,0,1] neg_hi:[0,0,1]
	v_pk_add_f32 v[60:61], v[60:61], v[68:69]
	v_pk_mul_f32 v[62:63], v[116:117], v[62:63] op_sel_hi:[1,0]
	s_delay_alu instid0(VALU_DEP_2) | instskip(NEXT) | instid1(VALU_DEP_2)
	v_pk_add_f32 v[60:61], v[60:61], v[66:67]
	v_pk_fma_f32 v[66:67], v[98:99], v[82:83], v[62:63] op_sel_hi:[1,0,1]
	v_mov_b32_e32 v65, v73
	v_pk_fma_f32 v[62:63], v[98:99], v[82:83], v[62:63] neg_lo:[0,0,1] neg_hi:[0,0,1]
	s_delay_alu instid0(VALU_DEP_3) | instskip(NEXT) | instid1(VALU_DEP_3)
	v_mov_b32_e32 v63, v67
	v_pk_add_f32 v[60:61], v[60:61], v[64:65]
	s_delay_alu instid0(VALU_DEP_1) | instskip(SKIP_1) | instid1(VALU_DEP_1)
	v_pk_add_f32 v[60:61], v[60:61], v[62:63]
	s_wait_loadcnt 0x0
	v_pk_add_f32 v[60:61], v[108:109], v[60:61] neg_lo:[0,1] neg_hi:[0,1]
	scratch_store_b64 off, v[60:61], off offset:128
	s_wait_xcnt 0x0
	v_cmpx_lt_u32_e32 15, v0
	s_cbranch_execz .LBB92_157
; %bb.156:
	scratch_load_b64 v[60:61], off, off offset:120
	v_mov_b64_e32 v[62:63], 0
	scratch_store_b64 off, v[62:63], off offset:120
	s_wait_loadcnt 0x0
	ds_store_b64 v1, v[60:61]
.LBB92_157:
	s_wait_xcnt 0x0
	s_or_b32 exec_lo, exec_lo, s0
	s_wait_storecnt_dscnt 0x0
	s_barrier_signal -1
	s_barrier_wait -1
	s_clause 0x7
	scratch_load_b128 v[60:63], off, off offset:128
	scratch_load_b128 v[64:67], off, off offset:144
	;; [unrolled: 1-line block ×6, first 2 shown]
	scratch_load_b64 v[108:109], off, off offset:224
	scratch_load_b64 v[110:111], off, off offset:120
	v_mov_b32_e32 v7, 0
	ds_load_b128 v[84:87], v7 offset:400
	ds_load_b128 v[88:91], v7 offset:416
	;; [unrolled: 1-line block ×6, first 2 shown]
	ds_load_b64 v[112:113], v7 offset:464
	s_mov_b32 s0, exec_lo
	s_wait_dscnt 0x6
	v_dual_mov_b32 v114, v87 :: v_dual_mov_b32 v115, v86
	s_wait_dscnt 0x3
	v_dual_mov_b32 v116, v91 :: v_dual_mov_b32 v121, v98
	v_dual_mov_b32 v117, v90 :: v_dual_mov_b32 v118, v95
	;; [unrolled: 1-line block ×3, first 2 shown]
	s_wait_loadcnt_dscnt 0x702
	v_dual_mul_f32 v9, v100, v61 :: v_dual_mul_f32 v15, v101, v61
	v_dual_mul_f32 v17, v103, v63 :: v_dual_mul_f32 v11, v102, v63
	s_wait_loadcnt_dscnt 0x601
	s_delay_alu instid0(VALU_DEP_2) | instskip(NEXT) | instid1(VALU_DEP_3)
	v_dual_mul_f32 v13, v104, v65 :: v_dual_fmac_f32 v9, v101, v60
	v_dual_fma_f32 v15, v100, v60, -v15 :: v_dual_mul_f32 v19, v105, v65
	v_mul_f32_e32 v21, v107, v67
	s_wait_loadcnt 0x4
	v_dual_mov_b32 v60, v75 :: v_dual_fma_f32 v17, v102, v62, -v17
	v_dual_fmac_f32 v11, v103, v62 :: v_dual_add_f32 v9, 0, v9
	v_dual_add_f32 v15, 0, v15 :: v_dual_fmac_f32 v13, v105, v64
	v_dual_mul_f32 v123, v106, v67 :: v_dual_mul_f32 v125, v84, v69
	v_dual_mul_f32 v23, v85, v69 :: v_dual_mov_b32 v124, v71
	s_delay_alu instid0(VALU_DEP_4) | instskip(NEXT) | instid1(VALU_DEP_4)
	v_dual_fma_f32 v19, v104, v64, -v19 :: v_dual_add_f32 v9, v9, v11
	v_dual_add_f32 v11, v15, v17 :: v_dual_fma_f32 v122, v106, v66, -v21
	s_delay_alu instid0(VALU_DEP_4) | instskip(NEXT) | instid1(VALU_DEP_4)
	v_fmac_f32_e32 v123, v107, v66
	v_pk_mul_f32 v[64:65], v[114:115], v[124:125] op_sel_hi:[1,0]
	s_delay_alu instid0(VALU_DEP_3)
	v_dual_add_f32 v67, v9, v13 :: v_dual_add_f32 v66, v11, v19
	v_fmac_f32_e32 v125, v85, v68
	v_pk_mul_f32 v[126:127], v[88:89], v[72:73] op_sel:[1,1] op_sel_hi:[0,1]
	s_wait_loadcnt 0x3
	v_dual_mov_b32 v100, v79 :: v_dual_fma_f32 v124, v84, v68, -v23
	v_pk_fma_f32 v[68:69], v[86:87], v[70:71], v[64:65] op_sel_hi:[1,0,1]
	v_pk_add_f32 v[66:67], v[66:67], v[122:123]
	v_pk_fma_f32 v[64:65], v[86:87], v[70:71], v[64:65] neg_lo:[0,0,1] neg_hi:[0,0,1]
	v_pk_fma_f32 v[84:85], v[88:89], v[72:73], v[126:127] op_sel_hi:[1,0,1]
	v_pk_mul_f32 v[60:61], v[116:117], v[60:61] op_sel_hi:[1,0]
	v_mov_b32_e32 v65, v69
	v_pk_add_f32 v[66:67], v[66:67], v[124:125]
	v_pk_fma_f32 v[70:71], v[88:89], v[72:73], v[126:127] neg_lo:[0,0,1] neg_hi:[0,0,1]
	v_pk_mul_f32 v[62:63], v[92:93], v[76:77] op_sel:[1,1] op_sel_hi:[0,1]
	v_mov_b32_e32 v71, v85
	v_pk_fma_f32 v[72:73], v[90:91], v[74:75], v[60:61] op_sel_hi:[1,0,1]
	v_pk_add_f32 v[64:65], v[66:67], v[64:65]
	v_pk_fma_f32 v[60:61], v[90:91], v[74:75], v[60:61] neg_lo:[0,0,1] neg_hi:[0,0,1]
	v_pk_fma_f32 v[66:67], v[92:93], v[76:77], v[62:63] op_sel_hi:[1,0,1]
	v_pk_mul_f32 v[84:85], v[118:119], v[100:101] op_sel_hi:[1,0]
	s_wait_loadcnt 0x2
	v_dual_mov_b32 v61, v73 :: v_dual_mov_b32 v66, v83
	v_pk_add_f32 v[64:65], v[64:65], v[70:71]
	v_pk_fma_f32 v[62:63], v[92:93], v[76:77], v[62:63] neg_lo:[0,0,1] neg_hi:[0,0,1]
	v_pk_mul_f32 v[68:69], v[96:97], v[80:81] op_sel:[1,1] op_sel_hi:[0,1]
	v_pk_fma_f32 v[70:71], v[94:95], v[78:79], v[84:85] op_sel_hi:[1,0,1]
	v_mov_b32_e32 v63, v67
	v_pk_add_f32 v[60:61], v[64:65], v[60:61]
	v_pk_fma_f32 v[72:73], v[94:95], v[78:79], v[84:85] neg_lo:[0,0,1] neg_hi:[0,0,1]
	v_pk_fma_f32 v[64:65], v[96:97], v[80:81], v[68:69] op_sel_hi:[1,0,1]
	v_pk_mul_f32 v[66:67], v[120:121], v[66:67] op_sel_hi:[1,0]
	v_mov_b32_e32 v73, v71
	v_pk_add_f32 v[60:61], v[60:61], v[62:63]
	v_pk_fma_f32 v[62:63], v[96:97], v[80:81], v[68:69] neg_lo:[0,0,1] neg_hi:[0,0,1]
	v_mov_b32_e32 v63, v65
	v_pk_fma_f32 v[64:65], v[98:99], v[82:83], v[66:67] op_sel_hi:[1,0,1]
	s_wait_loadcnt_dscnt 0x100
	v_pk_mul_f32 v[68:69], v[112:113], v[108:109] op_sel:[1,1] op_sel_hi:[0,1]
	v_pk_add_f32 v[60:61], v[60:61], v[72:73]
	v_pk_fma_f32 v[66:67], v[98:99], v[82:83], v[66:67] neg_lo:[0,0,1] neg_hi:[0,0,1]
	v_mov_b32_e32 v67, v65
	s_delay_alu instid0(VALU_DEP_4) | instskip(NEXT) | instid1(VALU_DEP_4)
	v_pk_fma_f32 v[64:65], v[112:113], v[108:109], v[68:69] neg_lo:[0,0,1] neg_hi:[0,0,1]
	v_pk_add_f32 v[60:61], v[60:61], v[62:63]
	v_pk_fma_f32 v[62:63], v[112:113], v[108:109], v[68:69] op_sel_hi:[1,0,1]
	s_delay_alu instid0(VALU_DEP_2) | instskip(NEXT) | instid1(VALU_DEP_2)
	v_pk_add_f32 v[60:61], v[60:61], v[66:67]
	v_mov_b32_e32 v65, v63
	s_delay_alu instid0(VALU_DEP_1) | instskip(SKIP_1) | instid1(VALU_DEP_1)
	v_pk_add_f32 v[60:61], v[60:61], v[64:65]
	s_wait_loadcnt 0x0
	v_pk_add_f32 v[60:61], v[110:111], v[60:61] neg_lo:[0,1] neg_hi:[0,1]
	scratch_store_b64 off, v[60:61], off offset:120
	s_wait_xcnt 0x0
	v_cmpx_lt_u32_e32 14, v0
	s_cbranch_execz .LBB92_159
; %bb.158:
	scratch_load_b64 v[60:61], off, off offset:112
	v_mov_b64_e32 v[62:63], 0
	scratch_store_b64 off, v[62:63], off offset:112
	s_wait_loadcnt 0x0
	ds_store_b64 v1, v[60:61]
.LBB92_159:
	s_wait_xcnt 0x0
	s_or_b32 exec_lo, exec_lo, s0
	s_wait_storecnt_dscnt 0x0
	s_barrier_signal -1
	s_barrier_wait -1
	s_clause 0x7
	scratch_load_b128 v[60:63], off, off offset:120
	scratch_load_b128 v[64:67], off, off offset:136
	scratch_load_b128 v[68:71], off, off offset:152
	scratch_load_b128 v[72:75], off, off offset:168
	scratch_load_b128 v[76:79], off, off offset:184
	scratch_load_b128 v[80:83], off, off offset:200
	scratch_load_b128 v[84:87], off, off offset:216
	scratch_load_b64 v[116:117], off, off offset:112
	ds_load_2addr_b64 v[88:91], v7 offset0:51 offset1:52
	ds_load_2addr_b64 v[92:95], v7 offset0:53 offset1:54
	;; [unrolled: 1-line block ×7, first 2 shown]
	s_mov_b32 s0, exec_lo
	s_wait_dscnt 0x6
	v_dual_mov_b32 v118, v91 :: v_dual_mov_b32 v119, v90
	s_wait_dscnt 0x5
	v_dual_mov_b32 v120, v95 :: v_dual_mov_b32 v121, v94
	;; [unrolled: 2-line block ×4, first 2 shown]
	s_wait_loadcnt_dscnt 0x702
	v_dual_mul_f32 v7, v104, v61 :: v_dual_mul_f32 v9, v106, v63
	v_dual_mul_f32 v15, v105, v61 :: v_dual_mul_f32 v17, v107, v63
	s_wait_loadcnt_dscnt 0x601
	v_dual_mul_f32 v11, v108, v65 :: v_dual_mul_f32 v13, v110, v67
	s_delay_alu instid0(VALU_DEP_3) | instskip(NEXT) | instid1(VALU_DEP_3)
	v_dual_fmac_f32 v7, v105, v60 :: v_dual_fmac_f32 v9, v107, v62
	v_dual_fma_f32 v15, v104, v60, -v15 :: v_dual_fma_f32 v17, v106, v62, -v17
	v_dual_mul_f32 v19, v109, v65 :: v_dual_mul_f32 v21, v111, v67
	s_wait_loadcnt 0x4
	s_delay_alu instid0(VALU_DEP_3) | instskip(NEXT) | instid1(VALU_DEP_3)
	v_dual_add_f32 v7, 0, v7 :: v_dual_mov_b32 v62, v75
	v_dual_add_f32 v15, 0, v15 :: v_dual_fmac_f32 v11, v109, v64
	s_delay_alu instid0(VALU_DEP_2) | instskip(SKIP_2) | instid1(VALU_DEP_3)
	v_dual_fma_f32 v19, v108, v64, -v19 :: v_dual_add_f32 v7, v7, v9
	s_wait_dscnt 0x0
	v_dual_mul_f32 v127, v112, v69 :: v_dual_mul_f32 v129, v114, v71
	v_dual_add_f32 v9, v15, v17 :: v_dual_fma_f32 v15, v110, v66, -v21
	v_dual_mul_f32 v23, v113, v69 :: v_dual_mul_f32 v25, v115, v71
	s_delay_alu instid0(VALU_DEP_2) | instskip(NEXT) | instid1(VALU_DEP_4)
	v_dual_fmac_f32 v13, v111, v66 :: v_dual_add_f32 v9, v9, v19
	v_dual_add_f32 v7, v7, v11 :: v_dual_fmac_f32 v127, v113, v68
	v_pk_mul_f32 v[60:61], v[88:89], v[72:73] op_sel:[1,1] op_sel_hi:[0,1]
	s_wait_loadcnt 0x3
	v_pk_mul_f32 v[64:65], v[92:93], v[76:77] op_sel:[1,1] op_sel_hi:[0,1]
	v_dual_mov_b32 v66, v79 :: v_dual_fma_f32 v126, v112, v68, -v23
	v_dual_add_f32 v69, v7, v13 :: v_dual_add_f32 v68, v9, v15
	v_fmac_f32_e32 v129, v115, v70
	v_fma_f32 v128, v114, v70, -v25
	v_pk_fma_f32 v[70:71], v[88:89], v[72:73], v[60:61] op_sel_hi:[1,0,1]
	v_pk_mul_f32 v[62:63], v[118:119], v[62:63] op_sel_hi:[1,0]
	v_pk_add_f32 v[68:69], v[68:69], v[126:127]
	v_pk_fma_f32 v[60:61], v[88:89], v[72:73], v[60:61] neg_lo:[0,0,1] neg_hi:[0,0,1]
	v_pk_fma_f32 v[72:73], v[92:93], v[76:77], v[64:65] op_sel_hi:[1,0,1]
	v_pk_fma_f32 v[64:65], v[92:93], v[76:77], v[64:65] neg_lo:[0,0,1] neg_hi:[0,0,1]
	v_mov_b32_e32 v61, v71
	v_pk_fma_f32 v[70:71], v[90:91], v[74:75], v[62:63] op_sel_hi:[1,0,1]
	v_pk_fma_f32 v[62:63], v[90:91], v[74:75], v[62:63] neg_lo:[0,0,1] neg_hi:[0,0,1]
	v_mov_b32_e32 v65, v73
	v_pk_add_f32 v[68:69], v[68:69], v[128:129]
	v_pk_mul_f32 v[66:67], v[120:121], v[66:67] op_sel_hi:[1,0]
	v_mov_b32_e32 v63, v71
	s_wait_loadcnt 0x2
	v_pk_mul_f32 v[104:105], v[96:97], v[80:81] op_sel:[1,1] op_sel_hi:[0,1]
	v_pk_add_f32 v[60:61], v[68:69], v[60:61]
	v_mov_b32_e32 v68, v83
	v_pk_fma_f32 v[70:71], v[94:95], v[78:79], v[66:67] op_sel_hi:[1,0,1]
	v_pk_fma_f32 v[66:67], v[94:95], v[78:79], v[66:67] neg_lo:[0,0,1] neg_hi:[0,0,1]
	s_delay_alu instid0(VALU_DEP_4)
	v_pk_add_f32 v[60:61], v[60:61], v[62:63]
	v_pk_fma_f32 v[62:63], v[96:97], v[80:81], v[104:105] op_sel_hi:[1,0,1]
	v_pk_mul_f32 v[68:69], v[122:123], v[68:69] op_sel_hi:[1,0]
	v_mov_b32_e32 v67, v71
	v_pk_fma_f32 v[70:71], v[96:97], v[80:81], v[104:105] neg_lo:[0,0,1] neg_hi:[0,0,1]
	v_pk_add_f32 v[60:61], v[60:61], v[64:65]
	v_mov_b32_e32 v71, v63
	v_pk_fma_f32 v[62:63], v[98:99], v[82:83], v[68:69] op_sel_hi:[1,0,1]
	s_wait_loadcnt 0x1
	v_pk_mul_f32 v[64:65], v[100:101], v[84:85] op_sel:[1,1] op_sel_hi:[0,1]
	v_mov_b32_e32 v62, v87
	v_pk_add_f32 v[60:61], v[60:61], v[66:67]
	v_pk_fma_f32 v[68:69], v[98:99], v[82:83], v[68:69] neg_lo:[0,0,1] neg_hi:[0,0,1]
	v_mov_b32_e32 v69, v63
	v_pk_fma_f32 v[66:67], v[100:101], v[84:85], v[64:65] op_sel_hi:[1,0,1]
	v_pk_mul_f32 v[62:63], v[124:125], v[62:63] op_sel_hi:[1,0]
	v_pk_add_f32 v[60:61], v[60:61], v[70:71]
	v_pk_fma_f32 v[64:65], v[100:101], v[84:85], v[64:65] neg_lo:[0,0,1] neg_hi:[0,0,1]
	s_delay_alu instid0(VALU_DEP_4) | instskip(NEXT) | instid1(VALU_DEP_4)
	v_mov_b32_e32 v65, v67
	v_pk_fma_f32 v[66:67], v[102:103], v[86:87], v[62:63] op_sel_hi:[1,0,1]
	s_delay_alu instid0(VALU_DEP_4) | instskip(SKIP_1) | instid1(VALU_DEP_3)
	v_pk_add_f32 v[60:61], v[60:61], v[68:69]
	v_pk_fma_f32 v[62:63], v[102:103], v[86:87], v[62:63] neg_lo:[0,0,1] neg_hi:[0,0,1]
	v_mov_b32_e32 v63, v67
	s_delay_alu instid0(VALU_DEP_3) | instskip(NEXT) | instid1(VALU_DEP_1)
	v_pk_add_f32 v[60:61], v[60:61], v[64:65]
	v_pk_add_f32 v[60:61], v[60:61], v[62:63]
	s_wait_loadcnt 0x0
	s_delay_alu instid0(VALU_DEP_1)
	v_pk_add_f32 v[60:61], v[116:117], v[60:61] neg_lo:[0,1] neg_hi:[0,1]
	scratch_store_b64 off, v[60:61], off offset:112
	s_wait_xcnt 0x0
	v_cmpx_lt_u32_e32 13, v0
	s_cbranch_execz .LBB92_161
; %bb.160:
	scratch_load_b64 v[60:61], off, off offset:104
	v_mov_b64_e32 v[62:63], 0
	scratch_store_b64 off, v[62:63], off offset:104
	s_wait_loadcnt 0x0
	ds_store_b64 v1, v[60:61]
.LBB92_161:
	s_wait_xcnt 0x0
	s_or_b32 exec_lo, exec_lo, s0
	s_wait_storecnt_dscnt 0x0
	s_barrier_signal -1
	s_barrier_wait -1
	s_clause 0x8
	scratch_load_b128 v[60:63], off, off offset:112
	scratch_load_b128 v[64:67], off, off offset:128
	;; [unrolled: 1-line block ×7, first 2 shown]
	scratch_load_b64 v[116:117], off, off offset:224
	scratch_load_b64 v[118:119], off, off offset:104
	v_mov_b32_e32 v7, 0
	ds_load_b128 v[88:91], v7 offset:400
	ds_load_b128 v[92:95], v7 offset:416
	;; [unrolled: 1-line block ×7, first 2 shown]
	ds_load_b64 v[120:121], v7 offset:464
	s_mov_b32 s0, exec_lo
	s_wait_dscnt 0x7
	v_dual_mov_b32 v122, v91 :: v_dual_mov_b32 v123, v90
	s_wait_dscnt 0x4
	v_dual_mov_b32 v124, v95 :: v_dual_mov_b32 v129, v102
	v_dual_mov_b32 v125, v94 :: v_dual_mov_b32 v126, v99
	v_dual_mov_b32 v127, v98 :: v_dual_mov_b32 v128, v103
	s_wait_loadcnt_dscnt 0x803
	v_dual_mul_f32 v9, v104, v61 :: v_dual_mul_f32 v19, v105, v61
	v_dual_mul_f32 v21, v107, v63 :: v_dual_mul_f32 v11, v106, v63
	s_wait_loadcnt_dscnt 0x702
	v_mul_f32_e32 v13, v108, v65
	s_wait_loadcnt 0x5
	v_dual_mul_f32 v31, v89, v73 :: v_dual_fma_f32 v19, v104, v60, -v19
	v_dual_fmac_f32 v9, v105, v60 :: v_dual_mov_b32 v60, v75
	v_dual_mul_f32 v23, v109, v65 :: v_dual_mul_f32 v25, v111, v67
	v_dual_fmac_f32 v11, v107, v62 :: v_dual_fma_f32 v21, v106, v62, -v21
	s_delay_alu instid0(VALU_DEP_3) | instskip(SKIP_3) | instid1(VALU_DEP_3)
	v_dual_add_f32 v9, 0, v9 :: v_dual_add_f32 v19, 0, v19
	s_wait_dscnt 0x1
	v_dual_mul_f32 v15, v110, v67 :: v_dual_mul_f32 v17, v112, v69
	v_dual_fmac_f32 v13, v109, v64 :: v_dual_fma_f32 v23, v108, v64, -v23
	v_dual_add_f32 v9, v9, v11 :: v_dual_add_f32 v11, v19, v21
	v_dual_mul_f32 v27, v113, v69 :: v_dual_mul_f32 v29, v115, v71
	s_wait_loadcnt 0x4
	v_dual_mov_b32 v64, v79 :: v_dual_fma_f32 v19, v110, v66, -v25
	s_delay_alu instid0(VALU_DEP_3) | instskip(SKIP_2) | instid1(VALU_DEP_3)
	v_dual_fmac_f32 v15, v111, v66 :: v_dual_add_f32 v9, v9, v13
	v_dual_add_f32 v11, v11, v23 :: v_dual_fmac_f32 v17, v113, v68
	v_dual_mul_f32 v131, v114, v71 :: v_dual_mul_f32 v133, v88, v73
	v_dual_fma_f32 v13, v112, v68, -v27 :: v_dual_add_f32 v9, v9, v15
	s_delay_alu instid0(VALU_DEP_3) | instskip(NEXT) | instid1(VALU_DEP_3)
	v_dual_add_f32 v11, v11, v19 :: v_dual_fma_f32 v130, v114, v70, -v29
	v_fmac_f32_e32 v131, v115, v70
	v_pk_mul_f32 v[60:61], v[122:123], v[60:61] op_sel_hi:[1,0]
	s_delay_alu instid0(VALU_DEP_4) | instskip(NEXT) | instid1(VALU_DEP_4)
	v_add_f32_e32 v69, v9, v17
	v_dual_add_f32 v68, v11, v13 :: v_dual_fmac_f32 v133, v89, v72
	v_pk_mul_f32 v[62:63], v[92:93], v[76:77] op_sel:[1,1] op_sel_hi:[0,1]
	s_wait_loadcnt 0x3
	v_dual_mov_b32 v70, v83 :: v_dual_fma_f32 v132, v88, v72, -v31
	v_pk_fma_f32 v[72:73], v[90:91], v[74:75], v[60:61] op_sel_hi:[1,0,1]
	v_pk_add_f32 v[68:69], v[68:69], v[130:131]
	v_pk_fma_f32 v[60:61], v[90:91], v[74:75], v[60:61] neg_lo:[0,0,1] neg_hi:[0,0,1]
	v_pk_fma_f32 v[88:89], v[92:93], v[76:77], v[62:63] op_sel_hi:[1,0,1]
	v_pk_mul_f32 v[64:65], v[124:125], v[64:65] op_sel_hi:[1,0]
	v_mov_b32_e32 v61, v73
	v_pk_add_f32 v[68:69], v[68:69], v[132:133]
	v_pk_fma_f32 v[62:63], v[92:93], v[76:77], v[62:63] neg_lo:[0,0,1] neg_hi:[0,0,1]
	v_pk_mul_f32 v[66:67], v[96:97], v[80:81] op_sel:[1,1] op_sel_hi:[0,1]
	v_mov_b32_e32 v63, v89
	v_pk_fma_f32 v[74:75], v[94:95], v[78:79], v[64:65] op_sel_hi:[1,0,1]
	v_pk_add_f32 v[60:61], v[68:69], v[60:61]
	v_pk_fma_f32 v[64:65], v[94:95], v[78:79], v[64:65] neg_lo:[0,0,1] neg_hi:[0,0,1]
	v_pk_fma_f32 v[68:69], v[96:97], v[80:81], v[66:67] op_sel_hi:[1,0,1]
	v_pk_mul_f32 v[70:71], v[126:127], v[70:71] op_sel_hi:[1,0]
	v_mov_b32_e32 v65, v75
	v_pk_add_f32 v[60:61], v[60:61], v[62:63]
	v_pk_fma_f32 v[66:67], v[96:97], v[80:81], v[66:67] neg_lo:[0,0,1] neg_hi:[0,0,1]
	s_wait_loadcnt 0x2
	v_pk_mul_f32 v[72:73], v[100:101], v[84:85] op_sel:[1,1] op_sel_hi:[0,1]
	v_dual_mov_b32 v62, v87 :: v_dual_mov_b32 v67, v69
	v_pk_fma_f32 v[68:69], v[98:99], v[82:83], v[70:71] op_sel_hi:[1,0,1]
	v_pk_add_f32 v[60:61], v[60:61], v[64:65]
	v_pk_fma_f32 v[70:71], v[98:99], v[82:83], v[70:71] neg_lo:[0,0,1] neg_hi:[0,0,1]
	v_pk_fma_f32 v[64:65], v[100:101], v[84:85], v[72:73] op_sel_hi:[1,0,1]
	v_pk_mul_f32 v[62:63], v[128:129], v[62:63] op_sel_hi:[1,0]
	v_mov_b32_e32 v71, v69
	v_pk_add_f32 v[60:61], v[60:61], v[66:67]
	v_pk_fma_f32 v[66:67], v[100:101], v[84:85], v[72:73] neg_lo:[0,0,1] neg_hi:[0,0,1]
	v_mov_b32_e32 v67, v65
	v_pk_fma_f32 v[64:65], v[102:103], v[86:87], v[62:63] op_sel_hi:[1,0,1]
	s_wait_loadcnt_dscnt 0x100
	v_pk_mul_f32 v[68:69], v[120:121], v[116:117] op_sel:[1,1] op_sel_hi:[0,1]
	v_pk_add_f32 v[60:61], v[60:61], v[70:71]
	v_pk_fma_f32 v[62:63], v[102:103], v[86:87], v[62:63] neg_lo:[0,0,1] neg_hi:[0,0,1]
	v_mov_b32_e32 v63, v65
	s_delay_alu instid0(VALU_DEP_4) | instskip(NEXT) | instid1(VALU_DEP_4)
	v_pk_fma_f32 v[64:65], v[120:121], v[116:117], v[68:69] op_sel_hi:[1,0,1]
	v_pk_add_f32 v[60:61], v[60:61], v[66:67]
	v_pk_fma_f32 v[66:67], v[120:121], v[116:117], v[68:69] neg_lo:[0,0,1] neg_hi:[0,0,1]
	s_delay_alu instid0(VALU_DEP_3) | instskip(NEXT) | instid1(VALU_DEP_3)
	v_mov_b32_e32 v67, v65
	v_pk_add_f32 v[60:61], v[60:61], v[62:63]
	s_delay_alu instid0(VALU_DEP_1) | instskip(SKIP_1) | instid1(VALU_DEP_1)
	v_pk_add_f32 v[60:61], v[60:61], v[66:67]
	s_wait_loadcnt 0x0
	v_pk_add_f32 v[60:61], v[118:119], v[60:61] neg_lo:[0,1] neg_hi:[0,1]
	scratch_store_b64 off, v[60:61], off offset:104
	s_wait_xcnt 0x0
	v_cmpx_lt_u32_e32 12, v0
	s_cbranch_execz .LBB92_163
; %bb.162:
	scratch_load_b64 v[60:61], off, off offset:96
	v_mov_b64_e32 v[62:63], 0
	scratch_store_b64 off, v[62:63], off offset:96
	s_wait_loadcnt 0x0
	ds_store_b64 v1, v[60:61]
.LBB92_163:
	s_wait_xcnt 0x0
	s_or_b32 exec_lo, exec_lo, s0
	s_wait_storecnt_dscnt 0x0
	s_barrier_signal -1
	s_barrier_wait -1
	s_clause 0x8
	scratch_load_b128 v[60:63], off, off offset:104
	scratch_load_b128 v[64:67], off, off offset:120
	scratch_load_b128 v[68:71], off, off offset:136
	scratch_load_b128 v[72:75], off, off offset:152
	scratch_load_b128 v[76:79], off, off offset:168
	scratch_load_b128 v[80:83], off, off offset:184
	scratch_load_b128 v[84:87], off, off offset:200
	scratch_load_b128 v[88:91], off, off offset:216
	scratch_load_b64 v[124:125], off, off offset:96
	ds_load_2addr_b64 v[92:95], v7 offset0:51 offset1:52
	ds_load_2addr_b64 v[96:99], v7 offset0:53 offset1:54
	;; [unrolled: 1-line block ×8, first 2 shown]
	s_mov_b32 s0, exec_lo
	s_wait_dscnt 0x7
	v_dual_mov_b32 v126, v95 :: v_dual_mov_b32 v127, v94
	s_wait_dscnt 0x6
	v_dual_mov_b32 v128, v99 :: v_dual_mov_b32 v129, v98
	s_wait_dscnt 0x5
	v_dual_mov_b32 v130, v103 :: v_dual_mov_b32 v131, v102
	s_wait_dscnt 0x4
	v_dual_mov_b32 v132, v107 :: v_dual_mov_b32 v133, v106
	s_wait_loadcnt_dscnt 0x803
	v_dual_mul_f32 v7, v108, v61 :: v_dual_mul_f32 v9, v110, v63
	v_dual_mul_f32 v19, v109, v61 :: v_dual_mul_f32 v21, v111, v63
	s_wait_loadcnt_dscnt 0x702
	v_dual_mul_f32 v11, v112, v65 :: v_dual_mul_f32 v13, v114, v67
	s_delay_alu instid0(VALU_DEP_3) | instskip(SKIP_3) | instid1(VALU_DEP_3)
	v_dual_fmac_f32 v7, v109, v60 :: v_dual_fmac_f32 v9, v111, v62
	s_wait_loadcnt_dscnt 0x500
	v_dual_fma_f32 v19, v108, v60, -v19 :: v_dual_mul_f32 v31, v121, v73
	v_dual_mul_f32 v23, v113, v65 :: v_dual_mul_f32 v25, v115, v67
	v_dual_fma_f32 v21, v110, v62, -v21 :: v_dual_add_f32 v7, 0, v7
	s_delay_alu instid0(VALU_DEP_3) | instskip(SKIP_1) | instid1(VALU_DEP_4)
	v_dual_add_f32 v19, 0, v19 :: v_dual_fmac_f32 v11, v113, v64
	v_dual_mul_f32 v15, v116, v69 :: v_dual_mul_f32 v17, v118, v71
	v_dual_mul_f32 v33, v123, v75 :: v_dual_fma_f32 v23, v112, v64, -v23
	s_delay_alu instid0(VALU_DEP_4) | instskip(NEXT) | instid1(VALU_DEP_3)
	v_add_f32_e32 v7, v7, v9
	v_dual_add_f32 v9, v19, v21 :: v_dual_fmac_f32 v15, v117, v68
	v_dual_mul_f32 v27, v117, v69 :: v_dual_mul_f32 v29, v119, v71
	s_delay_alu instid0(VALU_DEP_2) | instskip(NEXT) | instid1(VALU_DEP_4)
	v_dual_fmac_f32 v13, v115, v66 :: v_dual_add_f32 v9, v9, v23
	v_dual_fma_f32 v19, v114, v66, -v25 :: v_dual_add_f32 v7, v7, v11
	s_wait_loadcnt 0x4
	s_delay_alu instid0(VALU_DEP_3) | instskip(SKIP_1) | instid1(VALU_DEP_3)
	v_dual_fma_f32 v11, v116, v68, -v27 :: v_dual_mov_b32 v62, v79
	v_dual_mul_f32 v135, v120, v73 :: v_dual_mul_f32 v137, v122, v75
	v_dual_add_f32 v7, v7, v13 :: v_dual_fma_f32 v13, v118, v70, -v29
	v_dual_add_f32 v9, v9, v19 :: v_dual_fmac_f32 v17, v119, v70
	v_pk_mul_f32 v[60:61], v[92:93], v[76:77] op_sel:[1,1] op_sel_hi:[0,1]
	s_delay_alu instid0(VALU_DEP_3) | instskip(SKIP_1) | instid1(VALU_DEP_3)
	v_dual_add_f32 v7, v7, v15 :: v_dual_fmac_f32 v135, v121, v72
	s_wait_loadcnt 0x3
	v_dual_add_f32 v9, v9, v11 :: v_dual_mov_b32 v66, v83
	s_delay_alu instid0(VALU_DEP_2) | instskip(NEXT) | instid1(VALU_DEP_2)
	v_dual_fma_f32 v134, v120, v72, -v31 :: v_dual_add_f32 v69, v7, v17
	v_dual_fma_f32 v136, v122, v74, -v33 :: v_dual_add_f32 v68, v9, v13
	v_fmac_f32_e32 v137, v123, v74
	v_pk_fma_f32 v[70:71], v[92:93], v[76:77], v[60:61] op_sel_hi:[1,0,1]
	v_pk_mul_f32 v[62:63], v[126:127], v[62:63] op_sel_hi:[1,0]
	v_pk_fma_f32 v[60:61], v[92:93], v[76:77], v[60:61] neg_lo:[0,0,1] neg_hi:[0,0,1]
	v_pk_add_f32 v[68:69], v[68:69], v[134:135]
	v_pk_mul_f32 v[64:65], v[96:97], v[80:81] op_sel:[1,1] op_sel_hi:[0,1]
	v_mov_b32_e32 v61, v71
	v_pk_fma_f32 v[70:71], v[94:95], v[78:79], v[62:63] op_sel_hi:[1,0,1]
	v_pk_fma_f32 v[62:63], v[94:95], v[78:79], v[62:63] neg_lo:[0,0,1] neg_hi:[0,0,1]
	v_pk_add_f32 v[68:69], v[68:69], v[136:137]
	v_pk_fma_f32 v[74:75], v[96:97], v[80:81], v[64:65] op_sel_hi:[1,0,1]
	v_pk_mul_f32 v[66:67], v[128:129], v[66:67] op_sel_hi:[1,0]
	v_mov_b32_e32 v63, v71
	s_wait_loadcnt 0x2
	v_pk_mul_f32 v[72:73], v[100:101], v[84:85] op_sel:[1,1] op_sel_hi:[0,1]
	v_pk_add_f32 v[60:61], v[68:69], v[60:61]
	v_mov_b32_e32 v68, v87
	v_pk_fma_f32 v[64:65], v[96:97], v[80:81], v[64:65] neg_lo:[0,0,1] neg_hi:[0,0,1]
	v_mov_b32_e32 v65, v75
	v_pk_fma_f32 v[70:71], v[98:99], v[82:83], v[66:67] op_sel_hi:[1,0,1]
	v_pk_add_f32 v[60:61], v[60:61], v[62:63]
	v_pk_fma_f32 v[62:63], v[100:101], v[84:85], v[72:73] op_sel_hi:[1,0,1]
	v_pk_mul_f32 v[68:69], v[130:131], v[68:69] op_sel_hi:[1,0]
	v_pk_fma_f32 v[66:67], v[98:99], v[82:83], v[66:67] neg_lo:[0,0,1] neg_hi:[0,0,1]
	v_mov_b32_e32 v67, v71
	v_pk_add_f32 v[60:61], v[60:61], v[64:65]
	v_pk_fma_f32 v[70:71], v[100:101], v[84:85], v[72:73] neg_lo:[0,0,1] neg_hi:[0,0,1]
	v_mov_b32_e32 v71, v63
	v_pk_fma_f32 v[62:63], v[102:103], v[86:87], v[68:69] op_sel_hi:[1,0,1]
	s_wait_loadcnt 0x1
	v_pk_mul_f32 v[64:65], v[104:105], v[88:89] op_sel:[1,1] op_sel_hi:[0,1]
	v_pk_add_f32 v[60:61], v[60:61], v[66:67]
	v_mov_b32_e32 v62, v91
	v_pk_fma_f32 v[68:69], v[102:103], v[86:87], v[68:69] neg_lo:[0,0,1] neg_hi:[0,0,1]
	v_mov_b32_e32 v69, v63
	v_pk_fma_f32 v[66:67], v[104:105], v[88:89], v[64:65] op_sel_hi:[1,0,1]
	v_pk_add_f32 v[60:61], v[60:61], v[70:71]
	v_pk_mul_f32 v[62:63], v[132:133], v[62:63] op_sel_hi:[1,0]
	v_pk_fma_f32 v[64:65], v[104:105], v[88:89], v[64:65] neg_lo:[0,0,1] neg_hi:[0,0,1]
	s_delay_alu instid0(VALU_DEP_4) | instskip(NEXT) | instid1(VALU_DEP_4)
	v_mov_b32_e32 v65, v67
	v_pk_add_f32 v[60:61], v[60:61], v[68:69]
	s_delay_alu instid0(VALU_DEP_4) | instskip(SKIP_1) | instid1(VALU_DEP_2)
	v_pk_fma_f32 v[66:67], v[106:107], v[90:91], v[62:63] op_sel_hi:[1,0,1]
	v_pk_fma_f32 v[62:63], v[106:107], v[90:91], v[62:63] neg_lo:[0,0,1] neg_hi:[0,0,1]
	v_mov_b32_e32 v63, v67
	s_delay_alu instid0(VALU_DEP_4) | instskip(NEXT) | instid1(VALU_DEP_1)
	v_pk_add_f32 v[60:61], v[60:61], v[64:65]
	v_pk_add_f32 v[60:61], v[60:61], v[62:63]
	s_wait_loadcnt 0x0
	s_delay_alu instid0(VALU_DEP_1)
	v_pk_add_f32 v[60:61], v[124:125], v[60:61] neg_lo:[0,1] neg_hi:[0,1]
	scratch_store_b64 off, v[60:61], off offset:96
	s_wait_xcnt 0x0
	v_cmpx_lt_u32_e32 11, v0
	s_cbranch_execz .LBB92_165
; %bb.164:
	scratch_load_b64 v[60:61], off, off offset:88
	v_mov_b64_e32 v[62:63], 0
	scratch_store_b64 off, v[62:63], off offset:88
	s_wait_loadcnt 0x0
	ds_store_b64 v1, v[60:61]
.LBB92_165:
	s_wait_xcnt 0x0
	s_or_b32 exec_lo, exec_lo, s0
	s_wait_storecnt_dscnt 0x0
	s_barrier_signal -1
	s_barrier_wait -1
	s_clause 0x9
	scratch_load_b128 v[60:63], off, off offset:96
	scratch_load_b128 v[64:67], off, off offset:112
	;; [unrolled: 1-line block ×8, first 2 shown]
	scratch_load_b64 v[124:125], off, off offset:224
	scratch_load_b64 v[126:127], off, off offset:88
	v_mov_b32_e32 v7, 0
	ds_load_b128 v[92:95], v7 offset:400
	ds_load_b128 v[96:99], v7 offset:416
	;; [unrolled: 1-line block ×8, first 2 shown]
	ds_load_b64 v[128:129], v7 offset:464
	s_mov_b32 s0, exec_lo
	s_wait_dscnt 0x8
	v_dual_mov_b32 v130, v95 :: v_dual_mov_b32 v131, v94
	s_wait_dscnt 0x5
	v_dual_mov_b32 v132, v99 :: v_dual_mov_b32 v137, v106
	v_dual_mov_b32 v133, v98 :: v_dual_mov_b32 v134, v103
	;; [unrolled: 1-line block ×3, first 2 shown]
	s_wait_loadcnt_dscnt 0x904
	v_dual_mul_f32 v9, v108, v61 :: v_dual_mul_f32 v23, v109, v61
	v_dual_mul_f32 v25, v111, v63 :: v_dual_mul_f32 v11, v110, v63
	s_wait_loadcnt_dscnt 0x803
	v_mul_f32_e32 v13, v112, v65
	s_wait_loadcnt_dscnt 0x601
	v_dual_mul_f32 v35, v121, v73 :: v_dual_fma_f32 v23, v108, v60, -v23
	v_dual_fmac_f32 v9, v109, v60 :: v_dual_mul_f32 v37, v123, v75
	v_dual_mul_f32 v27, v113, v65 :: v_dual_mul_f32 v29, v115, v67
	v_dual_fmac_f32 v11, v111, v62 :: v_dual_fma_f32 v25, v110, v62, -v25
	s_delay_alu instid0(VALU_DEP_3)
	v_dual_add_f32 v9, 0, v9 :: v_dual_add_f32 v23, 0, v23
	v_dual_mul_f32 v15, v114, v67 :: v_dual_mul_f32 v17, v116, v69
	s_wait_loadcnt 0x5
	v_dual_mul_f32 v39, v93, v77 :: v_dual_fma_f32 v27, v112, v64, -v27
	v_fmac_f32_e32 v13, v113, v64
	v_dual_add_f32 v9, v9, v11 :: v_dual_mov_b32 v60, v79
	v_add_f32_e32 v11, v23, v25
	v_dual_mul_f32 v31, v117, v69 :: v_dual_mul_f32 v33, v119, v71
	v_dual_fmac_f32 v15, v115, v66 :: v_dual_fma_f32 v23, v114, v66, -v29
	s_delay_alu instid0(VALU_DEP_3) | instskip(SKIP_1) | instid1(VALU_DEP_4)
	v_dual_add_f32 v9, v9, v13 :: v_dual_add_f32 v11, v11, v27
	v_dual_mul_f32 v19, v118, v71 :: v_dual_mul_f32 v21, v120, v73
	v_dual_fmac_f32 v17, v117, v68 :: v_dual_fma_f32 v13, v116, v68, -v31
	s_wait_loadcnt 0x4
	s_delay_alu instid0(VALU_DEP_3) | instskip(SKIP_1) | instid1(VALU_DEP_2)
	v_dual_add_f32 v9, v9, v15 :: v_dual_mov_b32 v64, v83
	v_dual_add_f32 v11, v11, v23 :: v_dual_fma_f32 v15, v118, v70, -v33
	v_dual_fmac_f32 v19, v119, v70 :: v_dual_add_f32 v9, v9, v17
	v_dual_mul_f32 v139, v122, v75 :: v_dual_mul_f32 v141, v92, v77
	s_delay_alu instid0(VALU_DEP_3) | instskip(NEXT) | instid1(VALU_DEP_3)
	v_dual_add_f32 v11, v11, v13 :: v_dual_fmac_f32 v21, v121, v72
	v_dual_fma_f32 v13, v120, v72, -v35 :: v_dual_add_f32 v9, v9, v19
	s_delay_alu instid0(VALU_DEP_3) | instskip(NEXT) | instid1(VALU_DEP_3)
	v_fmac_f32_e32 v139, v123, v74
	v_dual_add_f32 v11, v11, v15 :: v_dual_fma_f32 v138, v122, v74, -v37
	v_pk_mul_f32 v[60:61], v[130:131], v[60:61] op_sel_hi:[1,0]
	s_delay_alu instid0(VALU_DEP_4) | instskip(SKIP_1) | instid1(VALU_DEP_4)
	v_add_f32_e32 v69, v9, v21
	v_pk_mul_f32 v[62:63], v[96:97], v[80:81] op_sel:[1,1] op_sel_hi:[0,1]
	v_dual_add_f32 v68, v11, v13 :: v_dual_fmac_f32 v141, v93, v76
	s_wait_loadcnt 0x3
	v_dual_mov_b32 v70, v87 :: v_dual_fma_f32 v140, v92, v76, -v39
	v_pk_fma_f32 v[72:73], v[94:95], v[78:79], v[60:61] op_sel_hi:[1,0,1]
	s_delay_alu instid0(VALU_DEP_3)
	v_pk_add_f32 v[68:69], v[68:69], v[138:139]
	v_pk_fma_f32 v[60:61], v[94:95], v[78:79], v[60:61] neg_lo:[0,0,1] neg_hi:[0,0,1]
	v_pk_fma_f32 v[74:75], v[96:97], v[80:81], v[62:63] op_sel_hi:[1,0,1]
	v_pk_mul_f32 v[64:65], v[132:133], v[64:65] op_sel_hi:[1,0]
	v_mov_b32_e32 v61, v73
	v_pk_add_f32 v[68:69], v[68:69], v[140:141]
	v_pk_fma_f32 v[62:63], v[96:97], v[80:81], v[62:63] neg_lo:[0,0,1] neg_hi:[0,0,1]
	v_pk_mul_f32 v[66:67], v[100:101], v[84:85] op_sel:[1,1] op_sel_hi:[0,1]
	v_mov_b32_e32 v63, v75
	v_pk_fma_f32 v[74:75], v[98:99], v[82:83], v[64:65] op_sel_hi:[1,0,1]
	v_pk_add_f32 v[60:61], v[68:69], v[60:61]
	v_pk_fma_f32 v[64:65], v[98:99], v[82:83], v[64:65] neg_lo:[0,0,1] neg_hi:[0,0,1]
	v_pk_fma_f32 v[68:69], v[100:101], v[84:85], v[66:67] op_sel_hi:[1,0,1]
	v_pk_mul_f32 v[70:71], v[134:135], v[70:71] op_sel_hi:[1,0]
	v_mov_b32_e32 v65, v75
	v_pk_add_f32 v[60:61], v[60:61], v[62:63]
	v_pk_fma_f32 v[66:67], v[100:101], v[84:85], v[66:67] neg_lo:[0,0,1] neg_hi:[0,0,1]
	s_wait_loadcnt 0x2
	v_pk_mul_f32 v[72:73], v[104:105], v[88:89] op_sel:[1,1] op_sel_hi:[0,1]
	v_dual_mov_b32 v62, v91 :: v_dual_mov_b32 v67, v69
	v_pk_fma_f32 v[68:69], v[102:103], v[86:87], v[70:71] op_sel_hi:[1,0,1]
	v_pk_add_f32 v[60:61], v[60:61], v[64:65]
	v_pk_fma_f32 v[70:71], v[102:103], v[86:87], v[70:71] neg_lo:[0,0,1] neg_hi:[0,0,1]
	v_pk_fma_f32 v[64:65], v[104:105], v[88:89], v[72:73] op_sel_hi:[1,0,1]
	v_pk_mul_f32 v[62:63], v[136:137], v[62:63] op_sel_hi:[1,0]
	v_mov_b32_e32 v71, v69
	v_pk_add_f32 v[60:61], v[60:61], v[66:67]
	v_pk_fma_f32 v[66:67], v[104:105], v[88:89], v[72:73] neg_lo:[0,0,1] neg_hi:[0,0,1]
	v_mov_b32_e32 v67, v65
	v_pk_fma_f32 v[64:65], v[106:107], v[90:91], v[62:63] op_sel_hi:[1,0,1]
	s_wait_loadcnt_dscnt 0x100
	v_pk_mul_f32 v[68:69], v[128:129], v[124:125] op_sel:[1,1] op_sel_hi:[0,1]
	v_pk_add_f32 v[60:61], v[60:61], v[70:71]
	v_pk_fma_f32 v[62:63], v[106:107], v[90:91], v[62:63] neg_lo:[0,0,1] neg_hi:[0,0,1]
	v_mov_b32_e32 v63, v65
	s_delay_alu instid0(VALU_DEP_4) | instskip(NEXT) | instid1(VALU_DEP_4)
	v_pk_fma_f32 v[64:65], v[128:129], v[124:125], v[68:69] op_sel_hi:[1,0,1]
	v_pk_add_f32 v[60:61], v[60:61], v[66:67]
	v_pk_fma_f32 v[66:67], v[128:129], v[124:125], v[68:69] neg_lo:[0,0,1] neg_hi:[0,0,1]
	s_delay_alu instid0(VALU_DEP_3) | instskip(NEXT) | instid1(VALU_DEP_3)
	v_mov_b32_e32 v67, v65
	v_pk_add_f32 v[60:61], v[60:61], v[62:63]
	s_delay_alu instid0(VALU_DEP_1) | instskip(SKIP_1) | instid1(VALU_DEP_1)
	v_pk_add_f32 v[60:61], v[60:61], v[66:67]
	s_wait_loadcnt 0x0
	v_pk_add_f32 v[60:61], v[126:127], v[60:61] neg_lo:[0,1] neg_hi:[0,1]
	scratch_store_b64 off, v[60:61], off offset:88
	s_wait_xcnt 0x0
	v_cmpx_lt_u32_e32 10, v0
	s_cbranch_execz .LBB92_167
; %bb.166:
	scratch_load_b64 v[60:61], off, off offset:80
	v_mov_b64_e32 v[62:63], 0
	scratch_store_b64 off, v[62:63], off offset:80
	s_wait_loadcnt 0x0
	ds_store_b64 v1, v[60:61]
.LBB92_167:
	s_wait_xcnt 0x0
	s_or_b32 exec_lo, exec_lo, s0
	s_wait_storecnt_dscnt 0x0
	s_barrier_signal -1
	s_barrier_wait -1
	s_clause 0x9
	scratch_load_b128 v[60:63], off, off offset:88
	scratch_load_b128 v[64:67], off, off offset:104
	;; [unrolled: 1-line block ×9, first 2 shown]
	scratch_load_b64 v[132:133], off, off offset:80
	ds_load_2addr_b64 v[96:99], v7 offset0:51 offset1:52
	ds_load_2addr_b64 v[100:103], v7 offset0:53 offset1:54
	;; [unrolled: 1-line block ×9, first 2 shown]
	s_mov_b32 s0, exec_lo
	s_wait_dscnt 0x8
	v_dual_mov_b32 v134, v99 :: v_dual_mov_b32 v135, v98
	s_wait_dscnt 0x7
	v_dual_mov_b32 v136, v103 :: v_dual_mov_b32 v137, v102
	;; [unrolled: 2-line block ×4, first 2 shown]
	s_wait_loadcnt_dscnt 0x904
	v_dual_mul_f32 v7, v112, v61 :: v_dual_mul_f32 v9, v114, v63
	v_dual_mul_f32 v23, v113, v61 :: v_dual_mul_f32 v25, v115, v63
	s_wait_loadcnt_dscnt 0x803
	v_dual_mul_f32 v11, v116, v65 :: v_dual_mul_f32 v13, v118, v67
	s_delay_alu instid0(VALU_DEP_3) | instskip(SKIP_3) | instid1(VALU_DEP_3)
	v_dual_fmac_f32 v7, v113, v60 :: v_dual_fmac_f32 v9, v115, v62
	s_wait_loadcnt_dscnt 0x601
	v_dual_fma_f32 v23, v112, v60, -v23 :: v_dual_mul_f32 v35, v125, v73
	v_dual_mul_f32 v27, v117, v65 :: v_dual_mul_f32 v29, v119, v67
	v_dual_fma_f32 v25, v114, v62, -v25 :: v_dual_add_f32 v7, 0, v7
	s_delay_alu instid0(VALU_DEP_3) | instskip(SKIP_1) | instid1(VALU_DEP_4)
	v_dual_add_f32 v23, 0, v23 :: v_dual_fmac_f32 v11, v117, v64
	v_dual_mul_f32 v15, v120, v69 :: v_dual_mul_f32 v17, v122, v71
	v_dual_mul_f32 v37, v127, v75 :: v_dual_fma_f32 v27, v116, v64, -v27
	s_delay_alu instid0(VALU_DEP_4) | instskip(NEXT) | instid1(VALU_DEP_3)
	v_add_f32_e32 v7, v7, v9
	v_dual_add_f32 v9, v23, v25 :: v_dual_fmac_f32 v15, v121, v68
	v_dual_mul_f32 v31, v121, v69 :: v_dual_mul_f32 v33, v123, v71
	s_wait_loadcnt_dscnt 0x500
	v_dual_mul_f32 v23, v129, v77 :: v_dual_fmac_f32 v13, v119, v66
	v_dual_fma_f32 v25, v118, v66, -v29 :: v_dual_add_f32 v7, v7, v11
	s_delay_alu instid0(VALU_DEP_3) | instskip(SKIP_1) | instid1(VALU_DEP_3)
	v_dual_add_f32 v9, v9, v27 :: v_dual_fma_f32 v27, v120, v68, -v31
	v_dual_mul_f32 v19, v124, v73 :: v_dual_mul_f32 v21, v126, v75
	v_add_f32_e32 v7, v7, v13
	s_delay_alu instid0(VALU_DEP_3) | instskip(SKIP_1) | instid1(VALU_DEP_3)
	v_dual_mul_f32 v11, v131, v79 :: v_dual_add_f32 v9, v9, v25
	v_fmac_f32_e32 v17, v123, v70
	v_dual_fma_f32 v13, v122, v70, -v33 :: v_dual_add_f32 v7, v7, v15
	s_wait_loadcnt 0x4
	v_dual_mov_b32 v62, v83 :: v_dual_fmac_f32 v19, v125, v72
	v_dual_add_f32 v9, v9, v27 :: v_dual_fma_f32 v15, v124, v72, -v35
	s_delay_alu instid0(VALU_DEP_3) | instskip(SKIP_1) | instid1(VALU_DEP_3)
	v_add_f32_e32 v7, v7, v17
	v_dual_mul_f32 v143, v128, v77 :: v_dual_mul_f32 v145, v130, v79
	v_dual_add_f32 v9, v9, v13 :: v_dual_fmac_f32 v21, v127, v74
	s_delay_alu instid0(VALU_DEP_3) | instskip(SKIP_2) | instid1(VALU_DEP_3)
	v_dual_fma_f32 v13, v126, v74, -v37 :: v_dual_add_f32 v7, v7, v19
	v_pk_mul_f32 v[60:61], v[96:97], v[80:81] op_sel:[1,1] op_sel_hi:[0,1]
	s_wait_loadcnt 0x3
	v_dual_add_f32 v9, v9, v15 :: v_dual_mov_b32 v66, v87
	s_delay_alu instid0(VALU_DEP_3) | instskip(NEXT) | instid1(VALU_DEP_2)
	v_dual_fmac_f32 v143, v129, v76 :: v_dual_add_f32 v69, v7, v21
	v_dual_fma_f32 v142, v128, v76, -v23 :: v_dual_add_f32 v68, v9, v13
	v_dual_fmac_f32 v145, v131, v78 :: v_dual_fma_f32 v144, v130, v78, -v11
	v_pk_fma_f32 v[70:71], v[96:97], v[80:81], v[60:61] op_sel_hi:[1,0,1]
	v_pk_mul_f32 v[62:63], v[134:135], v[62:63] op_sel_hi:[1,0]
	s_delay_alu instid0(VALU_DEP_4)
	v_pk_add_f32 v[68:69], v[68:69], v[142:143]
	v_pk_fma_f32 v[60:61], v[96:97], v[80:81], v[60:61] neg_lo:[0,0,1] neg_hi:[0,0,1]
	v_pk_mul_f32 v[64:65], v[100:101], v[84:85] op_sel:[1,1] op_sel_hi:[0,1]
	v_mov_b32_e32 v61, v71
	v_pk_fma_f32 v[70:71], v[98:99], v[82:83], v[62:63] op_sel_hi:[1,0,1]
	v_pk_add_f32 v[68:69], v[68:69], v[144:145]
	v_pk_fma_f32 v[62:63], v[98:99], v[82:83], v[62:63] neg_lo:[0,0,1] neg_hi:[0,0,1]
	v_pk_fma_f32 v[74:75], v[100:101], v[84:85], v[64:65] op_sel_hi:[1,0,1]
	v_pk_mul_f32 v[66:67], v[136:137], v[66:67] op_sel_hi:[1,0]
	v_mov_b32_e32 v63, v71
	v_pk_add_f32 v[60:61], v[68:69], v[60:61]
	s_wait_loadcnt 0x2
	v_pk_mul_f32 v[72:73], v[104:105], v[88:89] op_sel:[1,1] op_sel_hi:[0,1]
	v_mov_b32_e32 v68, v91
	v_pk_fma_f32 v[64:65], v[100:101], v[84:85], v[64:65] neg_lo:[0,0,1] neg_hi:[0,0,1]
	v_mov_b32_e32 v65, v75
	v_pk_fma_f32 v[70:71], v[102:103], v[86:87], v[66:67] op_sel_hi:[1,0,1]
	v_pk_add_f32 v[60:61], v[60:61], v[62:63]
	v_pk_fma_f32 v[62:63], v[104:105], v[88:89], v[72:73] op_sel_hi:[1,0,1]
	v_pk_mul_f32 v[68:69], v[138:139], v[68:69] op_sel_hi:[1,0]
	v_pk_fma_f32 v[66:67], v[102:103], v[86:87], v[66:67] neg_lo:[0,0,1] neg_hi:[0,0,1]
	v_mov_b32_e32 v67, v71
	v_pk_add_f32 v[60:61], v[60:61], v[64:65]
	v_pk_fma_f32 v[70:71], v[104:105], v[88:89], v[72:73] neg_lo:[0,0,1] neg_hi:[0,0,1]
	v_mov_b32_e32 v71, v63
	v_pk_fma_f32 v[62:63], v[106:107], v[90:91], v[68:69] op_sel_hi:[1,0,1]
	s_wait_loadcnt 0x1
	v_pk_mul_f32 v[64:65], v[108:109], v[92:93] op_sel:[1,1] op_sel_hi:[0,1]
	v_pk_add_f32 v[60:61], v[60:61], v[66:67]
	v_mov_b32_e32 v62, v95
	v_pk_fma_f32 v[68:69], v[106:107], v[90:91], v[68:69] neg_lo:[0,0,1] neg_hi:[0,0,1]
	v_mov_b32_e32 v69, v63
	v_pk_fma_f32 v[66:67], v[108:109], v[92:93], v[64:65] op_sel_hi:[1,0,1]
	v_pk_add_f32 v[60:61], v[60:61], v[70:71]
	v_pk_mul_f32 v[62:63], v[140:141], v[62:63] op_sel_hi:[1,0]
	v_pk_fma_f32 v[64:65], v[108:109], v[92:93], v[64:65] neg_lo:[0,0,1] neg_hi:[0,0,1]
	s_delay_alu instid0(VALU_DEP_4) | instskip(NEXT) | instid1(VALU_DEP_4)
	v_mov_b32_e32 v65, v67
	v_pk_add_f32 v[60:61], v[60:61], v[68:69]
	s_delay_alu instid0(VALU_DEP_4) | instskip(SKIP_1) | instid1(VALU_DEP_2)
	v_pk_fma_f32 v[66:67], v[110:111], v[94:95], v[62:63] op_sel_hi:[1,0,1]
	v_pk_fma_f32 v[62:63], v[110:111], v[94:95], v[62:63] neg_lo:[0,0,1] neg_hi:[0,0,1]
	v_mov_b32_e32 v63, v67
	s_delay_alu instid0(VALU_DEP_4) | instskip(NEXT) | instid1(VALU_DEP_1)
	v_pk_add_f32 v[60:61], v[60:61], v[64:65]
	v_pk_add_f32 v[60:61], v[60:61], v[62:63]
	s_wait_loadcnt 0x0
	s_delay_alu instid0(VALU_DEP_1)
	v_pk_add_f32 v[60:61], v[132:133], v[60:61] neg_lo:[0,1] neg_hi:[0,1]
	scratch_store_b64 off, v[60:61], off offset:80
	s_wait_xcnt 0x0
	v_cmpx_lt_u32_e32 9, v0
	s_cbranch_execz .LBB92_169
; %bb.168:
	scratch_load_b64 v[60:61], off, off offset:72
	v_mov_b64_e32 v[62:63], 0
	scratch_store_b64 off, v[62:63], off offset:72
	s_wait_loadcnt 0x0
	ds_store_b64 v1, v[60:61]
.LBB92_169:
	s_wait_xcnt 0x0
	s_or_b32 exec_lo, exec_lo, s0
	s_wait_storecnt_dscnt 0x0
	s_barrier_signal -1
	s_barrier_wait -1
	s_clause 0xa
	scratch_load_b128 v[60:63], off, off offset:80
	scratch_load_b128 v[64:67], off, off offset:96
	;; [unrolled: 1-line block ×9, first 2 shown]
	scratch_load_b64 v[132:133], off, off offset:224
	scratch_load_b64 v[134:135], off, off offset:72
	v_mov_b32_e32 v7, 0
	ds_load_b128 v[96:99], v7 offset:400
	ds_load_b128 v[100:103], v7 offset:416
	;; [unrolled: 1-line block ×9, first 2 shown]
	ds_load_b64 v[136:137], v7 offset:464
	s_mov_b32 s0, exec_lo
	s_wait_dscnt 0x9
	v_dual_mov_b32 v138, v99 :: v_dual_mov_b32 v139, v98
	s_wait_dscnt 0x6
	v_dual_mov_b32 v140, v103 :: v_dual_mov_b32 v145, v110
	v_dual_mov_b32 v141, v102 :: v_dual_mov_b32 v142, v107
	;; [unrolled: 1-line block ×3, first 2 shown]
	s_wait_loadcnt_dscnt 0xa05
	v_dual_mul_f32 v9, v112, v61 :: v_dual_mul_f32 v27, v113, v61
	v_dual_mul_f32 v29, v115, v63 :: v_dual_mul_f32 v11, v114, v63
	s_wait_loadcnt_dscnt 0x904
	v_mul_f32_e32 v13, v116, v65
	s_wait_loadcnt_dscnt 0x702
	v_dual_mul_f32 v39, v125, v73 :: v_dual_fma_f32 v27, v112, v60, -v27
	v_dual_fmac_f32 v9, v113, v60 :: v_dual_mul_f32 v41, v127, v75
	v_dual_mul_f32 v31, v117, v65 :: v_dual_mul_f32 v33, v119, v67
	v_dual_fmac_f32 v11, v115, v62 :: v_dual_fma_f32 v29, v114, v62, -v29
	s_delay_alu instid0(VALU_DEP_3) | instskip(SKIP_4) | instid1(VALU_DEP_3)
	v_dual_add_f32 v9, 0, v9 :: v_dual_add_f32 v27, 0, v27
	v_dual_mul_f32 v15, v118, v67 :: v_dual_mul_f32 v17, v120, v69
	s_wait_loadcnt_dscnt 0x601
	v_dual_mul_f32 v43, v129, v77 :: v_dual_fma_f32 v31, v116, v64, -v31
	v_fmac_f32_e32 v13, v117, v64
	v_dual_add_f32 v9, v9, v11 :: v_dual_fmac_f32 v15, v119, v66
	v_add_f32_e32 v11, v27, v29
	v_dual_mul_f32 v35, v121, v69 :: v_dual_mul_f32 v37, v123, v71
	v_dual_mul_f32 v27, v131, v79 :: v_dual_fma_f32 v29, v118, v66, -v33
	s_delay_alu instid0(VALU_DEP_3) | instskip(SKIP_3) | instid1(VALU_DEP_3)
	v_dual_add_f32 v9, v9, v13 :: v_dual_add_f32 v11, v11, v31
	v_dual_mul_f32 v19, v122, v71 :: v_dual_mul_f32 v21, v124, v73
	s_wait_loadcnt 0x5
	v_dual_mul_f32 v13, v97, v81 :: v_dual_fma_f32 v31, v120, v68, -v35
	v_dual_fmac_f32 v17, v121, v68 :: v_dual_add_f32 v11, v11, v29
	v_dual_add_f32 v9, v9, v15 :: v_dual_mov_b32 v60, v83
	v_dual_fmac_f32 v19, v123, v70 :: v_dual_fma_f32 v15, v122, v70, -v37
	s_delay_alu instid0(VALU_DEP_2) | instskip(SKIP_3) | instid1(VALU_DEP_3)
	v_dual_add_f32 v11, v11, v31 :: v_dual_add_f32 v9, v9, v17
	v_dual_mul_f32 v23, v126, v75 :: v_dual_mul_f32 v25, v128, v77
	v_dual_fmac_f32 v21, v125, v72 :: v_dual_fma_f32 v17, v124, v72, -v39
	s_wait_loadcnt 0x4
	v_dual_add_f32 v9, v9, v19 :: v_dual_mov_b32 v64, v87
	v_dual_add_f32 v11, v11, v15 :: v_dual_fma_f32 v15, v126, v74, -v41
	s_delay_alu instid0(VALU_DEP_2) | instskip(SKIP_1) | instid1(VALU_DEP_3)
	v_dual_fmac_f32 v23, v127, v74 :: v_dual_add_f32 v9, v9, v21
	v_dual_mul_f32 v147, v130, v79 :: v_dual_mul_f32 v149, v96, v81
	v_dual_add_f32 v11, v11, v17 :: v_dual_fmac_f32 v25, v129, v76
	s_delay_alu instid0(VALU_DEP_3) | instskip(NEXT) | instid1(VALU_DEP_3)
	v_dual_fma_f32 v17, v128, v76, -v43 :: v_dual_add_f32 v9, v9, v23
	v_fmac_f32_e32 v147, v131, v78
	s_delay_alu instid0(VALU_DEP_3) | instskip(SKIP_1) | instid1(VALU_DEP_4)
	v_dual_add_f32 v11, v11, v15 :: v_dual_fma_f32 v146, v130, v78, -v27
	v_pk_mul_f32 v[60:61], v[138:139], v[60:61] op_sel_hi:[1,0]
	v_add_f32_e32 v69, v9, v25
	v_pk_mul_f32 v[62:63], v[100:101], v[84:85] op_sel:[1,1] op_sel_hi:[0,1]
	s_delay_alu instid0(VALU_DEP_4) | instskip(SKIP_3) | instid1(VALU_DEP_3)
	v_dual_add_f32 v68, v11, v17 :: v_dual_fmac_f32 v149, v97, v80
	s_wait_loadcnt 0x3
	v_dual_mov_b32 v70, v91 :: v_dual_fma_f32 v148, v96, v80, -v13
	v_pk_fma_f32 v[72:73], v[98:99], v[82:83], v[60:61] op_sel_hi:[1,0,1]
	v_pk_add_f32 v[68:69], v[68:69], v[146:147]
	v_pk_fma_f32 v[60:61], v[98:99], v[82:83], v[60:61] neg_lo:[0,0,1] neg_hi:[0,0,1]
	v_pk_fma_f32 v[74:75], v[100:101], v[84:85], v[62:63] op_sel_hi:[1,0,1]
	v_pk_mul_f32 v[64:65], v[140:141], v[64:65] op_sel_hi:[1,0]
	v_mov_b32_e32 v61, v73
	v_pk_add_f32 v[68:69], v[68:69], v[148:149]
	v_pk_fma_f32 v[62:63], v[100:101], v[84:85], v[62:63] neg_lo:[0,0,1] neg_hi:[0,0,1]
	v_pk_mul_f32 v[66:67], v[104:105], v[88:89] op_sel:[1,1] op_sel_hi:[0,1]
	v_mov_b32_e32 v63, v75
	v_pk_fma_f32 v[74:75], v[102:103], v[86:87], v[64:65] op_sel_hi:[1,0,1]
	v_pk_add_f32 v[60:61], v[68:69], v[60:61]
	v_pk_fma_f32 v[64:65], v[102:103], v[86:87], v[64:65] neg_lo:[0,0,1] neg_hi:[0,0,1]
	v_pk_fma_f32 v[68:69], v[104:105], v[88:89], v[66:67] op_sel_hi:[1,0,1]
	v_pk_mul_f32 v[70:71], v[142:143], v[70:71] op_sel_hi:[1,0]
	v_mov_b32_e32 v65, v75
	v_pk_add_f32 v[60:61], v[60:61], v[62:63]
	v_pk_fma_f32 v[66:67], v[104:105], v[88:89], v[66:67] neg_lo:[0,0,1] neg_hi:[0,0,1]
	s_wait_loadcnt 0x2
	v_pk_mul_f32 v[72:73], v[108:109], v[92:93] op_sel:[1,1] op_sel_hi:[0,1]
	v_dual_mov_b32 v62, v95 :: v_dual_mov_b32 v67, v69
	v_pk_fma_f32 v[68:69], v[106:107], v[90:91], v[70:71] op_sel_hi:[1,0,1]
	v_pk_add_f32 v[60:61], v[60:61], v[64:65]
	v_pk_fma_f32 v[70:71], v[106:107], v[90:91], v[70:71] neg_lo:[0,0,1] neg_hi:[0,0,1]
	v_pk_fma_f32 v[64:65], v[108:109], v[92:93], v[72:73] op_sel_hi:[1,0,1]
	v_pk_mul_f32 v[62:63], v[144:145], v[62:63] op_sel_hi:[1,0]
	v_mov_b32_e32 v71, v69
	v_pk_add_f32 v[60:61], v[60:61], v[66:67]
	v_pk_fma_f32 v[66:67], v[108:109], v[92:93], v[72:73] neg_lo:[0,0,1] neg_hi:[0,0,1]
	v_mov_b32_e32 v67, v65
	v_pk_fma_f32 v[64:65], v[110:111], v[94:95], v[62:63] op_sel_hi:[1,0,1]
	s_wait_loadcnt_dscnt 0x100
	v_pk_mul_f32 v[68:69], v[136:137], v[132:133] op_sel:[1,1] op_sel_hi:[0,1]
	v_pk_add_f32 v[60:61], v[60:61], v[70:71]
	v_pk_fma_f32 v[62:63], v[110:111], v[94:95], v[62:63] neg_lo:[0,0,1] neg_hi:[0,0,1]
	v_mov_b32_e32 v63, v65
	s_delay_alu instid0(VALU_DEP_4) | instskip(NEXT) | instid1(VALU_DEP_4)
	v_pk_fma_f32 v[64:65], v[136:137], v[132:133], v[68:69] op_sel_hi:[1,0,1]
	v_pk_add_f32 v[60:61], v[60:61], v[66:67]
	v_pk_fma_f32 v[66:67], v[136:137], v[132:133], v[68:69] neg_lo:[0,0,1] neg_hi:[0,0,1]
	s_delay_alu instid0(VALU_DEP_3) | instskip(NEXT) | instid1(VALU_DEP_3)
	v_mov_b32_e32 v67, v65
	v_pk_add_f32 v[60:61], v[60:61], v[62:63]
	s_delay_alu instid0(VALU_DEP_1) | instskip(SKIP_1) | instid1(VALU_DEP_1)
	v_pk_add_f32 v[60:61], v[60:61], v[66:67]
	s_wait_loadcnt 0x0
	v_pk_add_f32 v[60:61], v[134:135], v[60:61] neg_lo:[0,1] neg_hi:[0,1]
	scratch_store_b64 off, v[60:61], off offset:72
	s_wait_xcnt 0x0
	v_cmpx_lt_u32_e32 8, v0
	s_cbranch_execz .LBB92_171
; %bb.170:
	scratch_load_b64 v[60:61], off, off offset:64
	v_mov_b64_e32 v[62:63], 0
	scratch_store_b64 off, v[62:63], off offset:64
	s_wait_loadcnt 0x0
	ds_store_b64 v1, v[60:61]
.LBB92_171:
	s_wait_xcnt 0x0
	s_or_b32 exec_lo, exec_lo, s0
	s_wait_storecnt_dscnt 0x0
	s_barrier_signal -1
	s_barrier_wait -1
	s_clause 0xa
	scratch_load_b128 v[60:63], off, off offset:72
	scratch_load_b128 v[64:67], off, off offset:88
	;; [unrolled: 1-line block ×10, first 2 shown]
	scratch_load_b64 v[140:141], off, off offset:64
	ds_load_2addr_b64 v[100:103], v7 offset0:51 offset1:52
	ds_load_2addr_b64 v[104:107], v7 offset0:53 offset1:54
	;; [unrolled: 1-line block ×10, first 2 shown]
	s_mov_b32 s0, exec_lo
	s_wait_dscnt 0x9
	v_dual_mov_b32 v142, v103 :: v_dual_mov_b32 v143, v102
	s_wait_dscnt 0x8
	v_dual_mov_b32 v144, v107 :: v_dual_mov_b32 v145, v106
	;; [unrolled: 2-line block ×4, first 2 shown]
	s_wait_loadcnt_dscnt 0xa05
	v_dual_mul_f32 v7, v116, v61 :: v_dual_mul_f32 v9, v118, v63
	v_dual_mul_f32 v27, v117, v61 :: v_dual_mul_f32 v29, v119, v63
	s_wait_loadcnt_dscnt 0x904
	v_dual_mul_f32 v11, v120, v65 :: v_dual_mul_f32 v13, v122, v67
	s_delay_alu instid0(VALU_DEP_3) | instskip(SKIP_3) | instid1(VALU_DEP_3)
	v_dual_fmac_f32 v7, v117, v60 :: v_dual_fmac_f32 v9, v119, v62
	s_wait_loadcnt_dscnt 0x702
	v_dual_fma_f32 v27, v116, v60, -v27 :: v_dual_mul_f32 v39, v129, v73
	v_dual_mul_f32 v31, v121, v65 :: v_dual_mul_f32 v33, v123, v67
	v_dual_fma_f32 v29, v118, v62, -v29 :: v_dual_add_f32 v7, 0, v7
	s_delay_alu instid0(VALU_DEP_3) | instskip(SKIP_1) | instid1(VALU_DEP_4)
	v_dual_add_f32 v27, 0, v27 :: v_dual_fmac_f32 v11, v121, v64
	v_dual_mul_f32 v15, v124, v69 :: v_dual_mul_f32 v17, v126, v71
	v_dual_mul_f32 v41, v131, v75 :: v_dual_fma_f32 v31, v120, v64, -v31
	s_delay_alu instid0(VALU_DEP_4) | instskip(NEXT) | instid1(VALU_DEP_3)
	v_add_f32_e32 v7, v7, v9
	v_dual_add_f32 v9, v27, v29 :: v_dual_fmac_f32 v15, v125, v68
	v_dual_mul_f32 v35, v125, v69 :: v_dual_mul_f32 v37, v127, v71
	s_wait_loadcnt_dscnt 0x601
	v_dual_mul_f32 v27, v133, v77 :: v_dual_fmac_f32 v13, v123, v66
	v_dual_fma_f32 v29, v122, v66, -v33 :: v_dual_add_f32 v7, v7, v11
	s_delay_alu instid0(VALU_DEP_3) | instskip(SKIP_1) | instid1(VALU_DEP_3)
	v_dual_add_f32 v9, v9, v31 :: v_dual_fma_f32 v31, v124, v68, -v35
	v_dual_mul_f32 v19, v128, v73 :: v_dual_mul_f32 v21, v130, v75
	v_add_f32_e32 v7, v7, v13
	s_delay_alu instid0(VALU_DEP_3) | instskip(SKIP_2) | instid1(VALU_DEP_3)
	v_dual_mul_f32 v11, v135, v79 :: v_dual_add_f32 v9, v9, v29
	s_wait_loadcnt_dscnt 0x500
	v_dual_mul_f32 v13, v137, v81 :: v_dual_fmac_f32 v17, v127, v70
	v_dual_fma_f32 v29, v126, v70, -v37 :: v_dual_add_f32 v7, v7, v15
	s_delay_alu instid0(VALU_DEP_3) | instskip(SKIP_1) | instid1(VALU_DEP_3)
	v_dual_add_f32 v9, v9, v31 :: v_dual_fma_f32 v31, v128, v72, -v39
	v_dual_mul_f32 v15, v139, v83 :: v_dual_fmac_f32 v19, v129, v72
	v_dual_add_f32 v7, v7, v17 :: v_dual_fma_f32 v17, v130, v74, -v41
	s_delay_alu instid0(VALU_DEP_3) | instskip(SKIP_1) | instid1(VALU_DEP_3)
	v_dual_add_f32 v9, v9, v29 :: v_dual_fmac_f32 v21, v131, v74
	v_dual_mul_f32 v23, v132, v77 :: v_dual_mul_f32 v25, v134, v79
	v_add_f32_e32 v7, v7, v19
	s_wait_loadcnt 0x4
	s_delay_alu instid0(VALU_DEP_3) | instskip(NEXT) | instid1(VALU_DEP_3)
	v_dual_add_f32 v9, v9, v31 :: v_dual_mov_b32 v62, v87
	v_fmac_f32_e32 v23, v133, v76
	s_delay_alu instid0(VALU_DEP_3) | instskip(NEXT) | instid1(VALU_DEP_3)
	v_dual_fma_f32 v19, v132, v76, -v27 :: v_dual_add_f32 v7, v7, v21
	v_dual_add_f32 v9, v9, v17 :: v_dual_fmac_f32 v25, v135, v78
	v_dual_mul_f32 v151, v136, v81 :: v_dual_mul_f32 v153, v138, v83
	s_delay_alu instid0(VALU_DEP_3) | instskip(SKIP_1) | instid1(VALU_DEP_3)
	v_dual_fma_f32 v11, v134, v78, -v11 :: v_dual_add_f32 v7, v7, v23
	s_wait_loadcnt 0x3
	v_dual_add_f32 v9, v9, v19 :: v_dual_mov_b32 v66, v91
	v_pk_mul_f32 v[60:61], v[100:101], v[84:85] op_sel:[1,1] op_sel_hi:[0,1]
	v_dual_fmac_f32 v151, v137, v80 :: v_dual_fma_f32 v150, v136, v80, -v13
	s_delay_alu instid0(VALU_DEP_3) | instskip(SKIP_1) | instid1(VALU_DEP_4)
	v_dual_add_f32 v69, v7, v25 :: v_dual_add_f32 v68, v9, v11
	v_dual_fmac_f32 v153, v139, v82 :: v_dual_fma_f32 v152, v138, v82, -v15
	v_pk_fma_f32 v[70:71], v[100:101], v[84:85], v[60:61] op_sel_hi:[1,0,1]
	v_pk_mul_f32 v[62:63], v[142:143], v[62:63] op_sel_hi:[1,0]
	s_delay_alu instid0(VALU_DEP_4)
	v_pk_add_f32 v[68:69], v[68:69], v[150:151]
	v_pk_fma_f32 v[60:61], v[100:101], v[84:85], v[60:61] neg_lo:[0,0,1] neg_hi:[0,0,1]
	v_pk_mul_f32 v[64:65], v[104:105], v[88:89] op_sel:[1,1] op_sel_hi:[0,1]
	v_mov_b32_e32 v61, v71
	v_pk_fma_f32 v[70:71], v[102:103], v[86:87], v[62:63] op_sel_hi:[1,0,1]
	v_pk_add_f32 v[68:69], v[68:69], v[152:153]
	v_pk_fma_f32 v[62:63], v[102:103], v[86:87], v[62:63] neg_lo:[0,0,1] neg_hi:[0,0,1]
	v_pk_fma_f32 v[74:75], v[104:105], v[88:89], v[64:65] op_sel_hi:[1,0,1]
	v_pk_mul_f32 v[66:67], v[144:145], v[66:67] op_sel_hi:[1,0]
	v_mov_b32_e32 v63, v71
	v_pk_add_f32 v[60:61], v[68:69], v[60:61]
	s_wait_loadcnt 0x2
	v_pk_mul_f32 v[72:73], v[108:109], v[92:93] op_sel:[1,1] op_sel_hi:[0,1]
	v_mov_b32_e32 v68, v95
	v_pk_fma_f32 v[64:65], v[104:105], v[88:89], v[64:65] neg_lo:[0,0,1] neg_hi:[0,0,1]
	v_mov_b32_e32 v65, v75
	v_pk_fma_f32 v[70:71], v[106:107], v[90:91], v[66:67] op_sel_hi:[1,0,1]
	v_pk_add_f32 v[60:61], v[60:61], v[62:63]
	v_pk_fma_f32 v[62:63], v[108:109], v[92:93], v[72:73] op_sel_hi:[1,0,1]
	v_pk_mul_f32 v[68:69], v[146:147], v[68:69] op_sel_hi:[1,0]
	v_pk_fma_f32 v[66:67], v[106:107], v[90:91], v[66:67] neg_lo:[0,0,1] neg_hi:[0,0,1]
	v_mov_b32_e32 v67, v71
	v_pk_add_f32 v[60:61], v[60:61], v[64:65]
	v_pk_fma_f32 v[70:71], v[108:109], v[92:93], v[72:73] neg_lo:[0,0,1] neg_hi:[0,0,1]
	v_mov_b32_e32 v71, v63
	v_pk_fma_f32 v[62:63], v[110:111], v[94:95], v[68:69] op_sel_hi:[1,0,1]
	s_wait_loadcnt 0x1
	v_pk_mul_f32 v[64:65], v[112:113], v[96:97] op_sel:[1,1] op_sel_hi:[0,1]
	v_pk_add_f32 v[60:61], v[60:61], v[66:67]
	v_mov_b32_e32 v62, v99
	v_pk_fma_f32 v[68:69], v[110:111], v[94:95], v[68:69] neg_lo:[0,0,1] neg_hi:[0,0,1]
	v_mov_b32_e32 v69, v63
	v_pk_fma_f32 v[66:67], v[112:113], v[96:97], v[64:65] op_sel_hi:[1,0,1]
	v_pk_add_f32 v[60:61], v[60:61], v[70:71]
	v_pk_mul_f32 v[62:63], v[148:149], v[62:63] op_sel_hi:[1,0]
	v_pk_fma_f32 v[64:65], v[112:113], v[96:97], v[64:65] neg_lo:[0,0,1] neg_hi:[0,0,1]
	s_delay_alu instid0(VALU_DEP_4) | instskip(NEXT) | instid1(VALU_DEP_4)
	v_mov_b32_e32 v65, v67
	v_pk_add_f32 v[60:61], v[60:61], v[68:69]
	s_delay_alu instid0(VALU_DEP_4) | instskip(SKIP_1) | instid1(VALU_DEP_2)
	v_pk_fma_f32 v[66:67], v[114:115], v[98:99], v[62:63] op_sel_hi:[1,0,1]
	v_pk_fma_f32 v[62:63], v[114:115], v[98:99], v[62:63] neg_lo:[0,0,1] neg_hi:[0,0,1]
	v_mov_b32_e32 v63, v67
	s_delay_alu instid0(VALU_DEP_4) | instskip(NEXT) | instid1(VALU_DEP_1)
	v_pk_add_f32 v[60:61], v[60:61], v[64:65]
	v_pk_add_f32 v[60:61], v[60:61], v[62:63]
	s_wait_loadcnt 0x0
	s_delay_alu instid0(VALU_DEP_1)
	v_pk_add_f32 v[60:61], v[140:141], v[60:61] neg_lo:[0,1] neg_hi:[0,1]
	scratch_store_b64 off, v[60:61], off offset:64
	s_wait_xcnt 0x0
	v_cmpx_lt_u32_e32 7, v0
	s_cbranch_execz .LBB92_173
; %bb.172:
	scratch_load_b64 v[60:61], off, off offset:56
	v_mov_b64_e32 v[62:63], 0
	scratch_store_b64 off, v[62:63], off offset:56
	s_wait_loadcnt 0x0
	ds_store_b64 v1, v[60:61]
.LBB92_173:
	s_wait_xcnt 0x0
	s_or_b32 exec_lo, exec_lo, s0
	s_wait_storecnt_dscnt 0x0
	s_barrier_signal -1
	s_barrier_wait -1
	s_clause 0xb
	scratch_load_b128 v[60:63], off, off offset:64
	scratch_load_b128 v[64:67], off, off offset:80
	;; [unrolled: 1-line block ×10, first 2 shown]
	scratch_load_b64 v[140:141], off, off offset:224
	scratch_load_b64 v[142:143], off, off offset:56
	v_mov_b32_e32 v7, 0
	ds_load_b128 v[100:103], v7 offset:400
	ds_load_b128 v[104:107], v7 offset:416
	;; [unrolled: 1-line block ×10, first 2 shown]
	ds_load_b64 v[144:145], v7 offset:464
	s_mov_b32 s0, exec_lo
	s_wait_dscnt 0xa
	v_dual_mov_b32 v146, v103 :: v_dual_mov_b32 v147, v102
	s_wait_dscnt 0x7
	v_dual_mov_b32 v148, v107 :: v_dual_mov_b32 v153, v114
	v_dual_mov_b32 v149, v106 :: v_dual_mov_b32 v150, v111
	;; [unrolled: 1-line block ×3, first 2 shown]
	s_wait_loadcnt_dscnt 0xb06
	v_dual_mul_f32 v9, v116, v61 :: v_dual_mul_f32 v31, v117, v61
	v_dual_mul_f32 v33, v119, v63 :: v_dual_mul_f32 v11, v118, v63
	s_wait_loadcnt_dscnt 0xa05
	v_mul_f32_e32 v13, v120, v65
	s_wait_loadcnt_dscnt 0x803
	v_dual_mul_f32 v43, v129, v73 :: v_dual_fma_f32 v31, v116, v60, -v31
	v_dual_fmac_f32 v9, v117, v60 :: v_dual_mul_f32 v45, v131, v75
	v_dual_mul_f32 v35, v121, v65 :: v_dual_mul_f32 v37, v123, v67
	v_dual_fmac_f32 v11, v119, v62 :: v_dual_fma_f32 v33, v118, v62, -v33
	s_delay_alu instid0(VALU_DEP_3) | instskip(SKIP_4) | instid1(VALU_DEP_3)
	v_dual_add_f32 v9, 0, v9 :: v_dual_add_f32 v31, 0, v31
	v_dual_mul_f32 v15, v122, v67 :: v_dual_mul_f32 v17, v124, v69
	s_wait_loadcnt_dscnt 0x702
	v_dual_mul_f32 v47, v133, v77 :: v_dual_fma_f32 v35, v120, v64, -v35
	v_fmac_f32_e32 v13, v121, v64
	v_dual_add_f32 v9, v9, v11 :: v_dual_fmac_f32 v15, v123, v66
	v_add_f32_e32 v11, v31, v33
	v_dual_mul_f32 v39, v125, v69 :: v_dual_mul_f32 v41, v127, v71
	v_dual_mul_f32 v31, v135, v79 :: v_dual_fma_f32 v33, v122, v66, -v37
	s_delay_alu instid0(VALU_DEP_3) | instskip(SKIP_3) | instid1(VALU_DEP_3)
	v_dual_add_f32 v9, v9, v13 :: v_dual_add_f32 v11, v11, v35
	v_dual_mul_f32 v19, v126, v71 :: v_dual_mul_f32 v21, v128, v73
	s_wait_loadcnt_dscnt 0x601
	v_dual_mul_f32 v13, v137, v81 :: v_dual_fma_f32 v35, v124, v68, -v39
	v_dual_fmac_f32 v17, v125, v68 :: v_dual_add_f32 v11, v11, v33
	s_delay_alu instid0(VALU_DEP_3) | instskip(SKIP_1) | instid1(VALU_DEP_2)
	v_dual_add_f32 v9, v9, v15 :: v_dual_fmac_f32 v19, v127, v70
	v_dual_mul_f32 v15, v139, v83 :: v_dual_fma_f32 v33, v126, v70, -v41
	v_dual_add_f32 v11, v11, v35 :: v_dual_add_f32 v9, v9, v17
	v_dual_mul_f32 v23, v130, v75 :: v_dual_mul_f32 v25, v132, v77
	s_wait_loadcnt 0x5
	v_dual_mul_f32 v17, v101, v85 :: v_dual_fma_f32 v35, v128, v72, -v43
	s_delay_alu instid0(VALU_DEP_3) | instskip(SKIP_2) | instid1(VALU_DEP_2)
	v_dual_fmac_f32 v21, v129, v72 :: v_dual_add_f32 v11, v11, v33
	v_dual_add_f32 v9, v9, v19 :: v_dual_mov_b32 v60, v87
	v_dual_fmac_f32 v23, v131, v74 :: v_dual_fma_f32 v19, v130, v74, -v45
	v_dual_add_f32 v11, v11, v35 :: v_dual_add_f32 v9, v9, v21
	v_dual_mul_f32 v27, v134, v79 :: v_dual_mul_f32 v29, v136, v81
	v_dual_fmac_f32 v25, v133, v76 :: v_dual_fma_f32 v21, v132, v76, -v47
	s_wait_loadcnt 0x4
	s_delay_alu instid0(VALU_DEP_3) | instskip(SKIP_1) | instid1(VALU_DEP_2)
	v_dual_add_f32 v9, v9, v23 :: v_dual_mov_b32 v64, v91
	v_dual_add_f32 v11, v11, v19 :: v_dual_fma_f32 v19, v134, v78, -v31
	v_dual_fmac_f32 v27, v135, v78 :: v_dual_add_f32 v9, v9, v25
	v_dual_mul_f32 v155, v138, v83 :: v_dual_mul_f32 v157, v100, v85
	s_delay_alu instid0(VALU_DEP_3) | instskip(NEXT) | instid1(VALU_DEP_3)
	v_dual_add_f32 v11, v11, v21 :: v_dual_fmac_f32 v29, v137, v80
	v_dual_fma_f32 v13, v136, v80, -v13 :: v_dual_add_f32 v9, v9, v27
	s_delay_alu instid0(VALU_DEP_3) | instskip(NEXT) | instid1(VALU_DEP_3)
	v_fmac_f32_e32 v155, v139, v82
	v_dual_add_f32 v11, v11, v19 :: v_dual_fma_f32 v154, v138, v82, -v15
	v_pk_mul_f32 v[60:61], v[146:147], v[60:61] op_sel_hi:[1,0]
	s_delay_alu instid0(VALU_DEP_4) | instskip(SKIP_1) | instid1(VALU_DEP_4)
	v_add_f32_e32 v69, v9, v29
	v_pk_mul_f32 v[62:63], v[104:105], v[88:89] op_sel:[1,1] op_sel_hi:[0,1]
	v_dual_add_f32 v68, v11, v13 :: v_dual_fmac_f32 v157, v101, v84
	s_wait_loadcnt 0x3
	v_dual_mov_b32 v70, v95 :: v_dual_fma_f32 v156, v100, v84, -v17
	v_pk_fma_f32 v[72:73], v[102:103], v[86:87], v[60:61] op_sel_hi:[1,0,1]
	s_delay_alu instid0(VALU_DEP_3)
	v_pk_add_f32 v[68:69], v[68:69], v[154:155]
	v_pk_fma_f32 v[60:61], v[102:103], v[86:87], v[60:61] neg_lo:[0,0,1] neg_hi:[0,0,1]
	v_pk_fma_f32 v[74:75], v[104:105], v[88:89], v[62:63] op_sel_hi:[1,0,1]
	v_pk_mul_f32 v[64:65], v[148:149], v[64:65] op_sel_hi:[1,0]
	v_mov_b32_e32 v61, v73
	v_pk_add_f32 v[68:69], v[68:69], v[156:157]
	v_pk_fma_f32 v[62:63], v[104:105], v[88:89], v[62:63] neg_lo:[0,0,1] neg_hi:[0,0,1]
	v_pk_mul_f32 v[66:67], v[108:109], v[92:93] op_sel:[1,1] op_sel_hi:[0,1]
	v_mov_b32_e32 v63, v75
	v_pk_fma_f32 v[74:75], v[106:107], v[90:91], v[64:65] op_sel_hi:[1,0,1]
	v_pk_add_f32 v[60:61], v[68:69], v[60:61]
	v_pk_fma_f32 v[64:65], v[106:107], v[90:91], v[64:65] neg_lo:[0,0,1] neg_hi:[0,0,1]
	v_pk_fma_f32 v[68:69], v[108:109], v[92:93], v[66:67] op_sel_hi:[1,0,1]
	v_pk_mul_f32 v[70:71], v[150:151], v[70:71] op_sel_hi:[1,0]
	v_mov_b32_e32 v65, v75
	v_pk_add_f32 v[60:61], v[60:61], v[62:63]
	v_pk_fma_f32 v[66:67], v[108:109], v[92:93], v[66:67] neg_lo:[0,0,1] neg_hi:[0,0,1]
	s_wait_loadcnt 0x2
	v_pk_mul_f32 v[72:73], v[112:113], v[96:97] op_sel:[1,1] op_sel_hi:[0,1]
	v_dual_mov_b32 v62, v99 :: v_dual_mov_b32 v67, v69
	v_pk_fma_f32 v[68:69], v[110:111], v[94:95], v[70:71] op_sel_hi:[1,0,1]
	v_pk_add_f32 v[60:61], v[60:61], v[64:65]
	v_pk_fma_f32 v[70:71], v[110:111], v[94:95], v[70:71] neg_lo:[0,0,1] neg_hi:[0,0,1]
	v_pk_fma_f32 v[64:65], v[112:113], v[96:97], v[72:73] op_sel_hi:[1,0,1]
	v_pk_mul_f32 v[62:63], v[152:153], v[62:63] op_sel_hi:[1,0]
	v_mov_b32_e32 v71, v69
	v_pk_add_f32 v[60:61], v[60:61], v[66:67]
	v_pk_fma_f32 v[66:67], v[112:113], v[96:97], v[72:73] neg_lo:[0,0,1] neg_hi:[0,0,1]
	v_mov_b32_e32 v67, v65
	v_pk_fma_f32 v[64:65], v[114:115], v[98:99], v[62:63] op_sel_hi:[1,0,1]
	s_wait_loadcnt_dscnt 0x100
	v_pk_mul_f32 v[68:69], v[144:145], v[140:141] op_sel:[1,1] op_sel_hi:[0,1]
	v_pk_add_f32 v[60:61], v[60:61], v[70:71]
	v_pk_fma_f32 v[62:63], v[114:115], v[98:99], v[62:63] neg_lo:[0,0,1] neg_hi:[0,0,1]
	v_mov_b32_e32 v63, v65
	s_delay_alu instid0(VALU_DEP_4) | instskip(NEXT) | instid1(VALU_DEP_4)
	v_pk_fma_f32 v[64:65], v[144:145], v[140:141], v[68:69] op_sel_hi:[1,0,1]
	v_pk_add_f32 v[60:61], v[60:61], v[66:67]
	v_pk_fma_f32 v[66:67], v[144:145], v[140:141], v[68:69] neg_lo:[0,0,1] neg_hi:[0,0,1]
	s_delay_alu instid0(VALU_DEP_3) | instskip(NEXT) | instid1(VALU_DEP_3)
	v_mov_b32_e32 v67, v65
	v_pk_add_f32 v[60:61], v[60:61], v[62:63]
	s_delay_alu instid0(VALU_DEP_1) | instskip(SKIP_1) | instid1(VALU_DEP_1)
	v_pk_add_f32 v[60:61], v[60:61], v[66:67]
	s_wait_loadcnt 0x0
	v_pk_add_f32 v[60:61], v[142:143], v[60:61] neg_lo:[0,1] neg_hi:[0,1]
	scratch_store_b64 off, v[60:61], off offset:56
	s_wait_xcnt 0x0
	v_cmpx_lt_u32_e32 6, v0
	s_cbranch_execz .LBB92_175
; %bb.174:
	scratch_load_b64 v[60:61], off, off offset:48
	v_mov_b64_e32 v[62:63], 0
	scratch_store_b64 off, v[62:63], off offset:48
	s_wait_loadcnt 0x0
	ds_store_b64 v1, v[60:61]
.LBB92_175:
	s_wait_xcnt 0x0
	s_or_b32 exec_lo, exec_lo, s0
	s_wait_storecnt_dscnt 0x0
	s_barrier_signal -1
	s_barrier_wait -1
	s_clause 0xb
	scratch_load_b128 v[60:63], off, off offset:56
	scratch_load_b128 v[64:67], off, off offset:72
	;; [unrolled: 1-line block ×11, first 2 shown]
	scratch_load_b64 v[148:149], off, off offset:48
	ds_load_2addr_b64 v[104:107], v7 offset0:51 offset1:52
	ds_load_2addr_b64 v[108:111], v7 offset0:53 offset1:54
	;; [unrolled: 1-line block ×11, first 2 shown]
	s_mov_b32 s0, exec_lo
	s_wait_dscnt 0xa
	v_dual_mov_b32 v150, v107 :: v_dual_mov_b32 v151, v106
	s_wait_dscnt 0x9
	v_dual_mov_b32 v152, v111 :: v_dual_mov_b32 v153, v110
	;; [unrolled: 2-line block ×4, first 2 shown]
	s_wait_loadcnt_dscnt 0xb06
	v_dual_mul_f32 v7, v120, v61 :: v_dual_mul_f32 v9, v122, v63
	v_dual_mul_f32 v31, v121, v61 :: v_dual_mul_f32 v33, v123, v63
	s_wait_loadcnt_dscnt 0xa05
	v_dual_mul_f32 v11, v124, v65 :: v_dual_mul_f32 v13, v126, v67
	s_delay_alu instid0(VALU_DEP_3) | instskip(SKIP_3) | instid1(VALU_DEP_3)
	v_dual_fmac_f32 v7, v121, v60 :: v_dual_fmac_f32 v9, v123, v62
	s_wait_loadcnt_dscnt 0x803
	v_dual_fma_f32 v31, v120, v60, -v31 :: v_dual_mul_f32 v43, v133, v73
	v_dual_mul_f32 v35, v125, v65 :: v_dual_mul_f32 v37, v127, v67
	v_dual_fma_f32 v33, v122, v62, -v33 :: v_dual_add_f32 v7, 0, v7
	s_delay_alu instid0(VALU_DEP_3) | instskip(SKIP_1) | instid1(VALU_DEP_4)
	v_dual_add_f32 v31, 0, v31 :: v_dual_fmac_f32 v11, v125, v64
	v_dual_mul_f32 v15, v128, v69 :: v_dual_mul_f32 v17, v130, v71
	v_dual_mul_f32 v45, v135, v75 :: v_dual_fma_f32 v35, v124, v64, -v35
	s_delay_alu instid0(VALU_DEP_4) | instskip(NEXT) | instid1(VALU_DEP_3)
	v_add_f32_e32 v7, v7, v9
	v_dual_add_f32 v9, v31, v33 :: v_dual_fmac_f32 v15, v129, v68
	v_dual_mul_f32 v39, v129, v69 :: v_dual_mul_f32 v41, v131, v71
	s_wait_loadcnt_dscnt 0x702
	v_dual_mul_f32 v31, v137, v77 :: v_dual_fmac_f32 v13, v127, v66
	v_dual_fma_f32 v33, v126, v66, -v37 :: v_dual_add_f32 v7, v7, v11
	s_delay_alu instid0(VALU_DEP_3) | instskip(SKIP_1) | instid1(VALU_DEP_3)
	v_dual_add_f32 v9, v9, v35 :: v_dual_fma_f32 v35, v128, v68, -v39
	v_dual_mul_f32 v19, v132, v73 :: v_dual_mul_f32 v21, v134, v75
	v_add_f32_e32 v7, v7, v13
	s_delay_alu instid0(VALU_DEP_3) | instskip(SKIP_2) | instid1(VALU_DEP_3)
	v_dual_mul_f32 v11, v139, v79 :: v_dual_add_f32 v9, v9, v33
	s_wait_loadcnt_dscnt 0x601
	v_dual_mul_f32 v13, v141, v81 :: v_dual_fmac_f32 v17, v131, v70
	v_dual_fma_f32 v33, v130, v70, -v41 :: v_dual_add_f32 v7, v7, v15
	s_delay_alu instid0(VALU_DEP_3) | instskip(SKIP_1) | instid1(VALU_DEP_3)
	v_dual_add_f32 v9, v9, v35 :: v_dual_fma_f32 v35, v132, v72, -v43
	v_dual_mul_f32 v15, v143, v83 :: v_dual_fmac_f32 v19, v133, v72
	v_add_f32_e32 v7, v7, v17
	s_delay_alu instid0(VALU_DEP_3)
	v_dual_add_f32 v9, v9, v33 :: v_dual_fmac_f32 v21, v135, v74
	v_dual_mul_f32 v23, v136, v77 :: v_dual_mul_f32 v25, v138, v79
	s_wait_loadcnt_dscnt 0x500
	v_dual_fma_f32 v33, v134, v74, -v45 :: v_dual_mul_f32 v17, v145, v85
	v_add_f32_e32 v7, v7, v19
	v_dual_add_f32 v9, v9, v35 :: v_dual_fma_f32 v31, v136, v76, -v31
	v_dual_mul_f32 v19, v147, v87 :: v_dual_fmac_f32 v23, v137, v76
	s_delay_alu instid0(VALU_DEP_3) | instskip(NEXT) | instid1(VALU_DEP_3)
	v_dual_add_f32 v7, v7, v21 :: v_dual_fma_f32 v11, v138, v78, -v11
	v_dual_add_f32 v9, v9, v33 :: v_dual_fmac_f32 v25, v139, v78
	v_dual_mul_f32 v27, v140, v81 :: v_dual_mul_f32 v29, v142, v83
	s_delay_alu instid0(VALU_DEP_3) | instskip(SKIP_1) | instid1(VALU_DEP_3)
	v_add_f32_e32 v7, v7, v23
	s_wait_loadcnt 0x4
	v_dual_add_f32 v9, v9, v31 :: v_dual_mov_b32 v62, v91
	s_delay_alu instid0(VALU_DEP_3) | instskip(NEXT) | instid1(VALU_DEP_2)
	v_dual_fmac_f32 v27, v141, v80 :: v_dual_fma_f32 v13, v140, v80, -v13
	v_dual_add_f32 v7, v7, v25 :: v_dual_add_f32 v9, v9, v11
	v_dual_fmac_f32 v29, v143, v82 :: v_dual_mul_f32 v159, v144, v85
	v_mul_f32_e32 v161, v146, v87
	s_delay_alu instid0(VALU_DEP_3) | instskip(SKIP_4) | instid1(VALU_DEP_3)
	v_dual_fma_f32 v11, v142, v82, -v15 :: v_dual_add_f32 v7, v7, v27
	s_wait_loadcnt 0x3
	v_dual_add_f32 v9, v9, v13 :: v_dual_mov_b32 v66, v95
	v_pk_mul_f32 v[60:61], v[104:105], v[88:89] op_sel:[1,1] op_sel_hi:[0,1]
	v_dual_fmac_f32 v159, v145, v84 :: v_dual_fma_f32 v158, v144, v84, -v17
	v_dual_add_f32 v69, v7, v29 :: v_dual_add_f32 v68, v9, v11
	v_dual_fmac_f32 v161, v147, v86 :: v_dual_fma_f32 v160, v146, v86, -v19
	s_delay_alu instid0(VALU_DEP_4) | instskip(SKIP_1) | instid1(VALU_DEP_4)
	v_pk_fma_f32 v[70:71], v[104:105], v[88:89], v[60:61] op_sel_hi:[1,0,1]
	v_pk_mul_f32 v[62:63], v[150:151], v[62:63] op_sel_hi:[1,0]
	v_pk_add_f32 v[68:69], v[68:69], v[158:159]
	v_pk_fma_f32 v[60:61], v[104:105], v[88:89], v[60:61] neg_lo:[0,0,1] neg_hi:[0,0,1]
	v_pk_mul_f32 v[64:65], v[108:109], v[92:93] op_sel:[1,1] op_sel_hi:[0,1]
	v_mov_b32_e32 v61, v71
	v_pk_fma_f32 v[70:71], v[106:107], v[90:91], v[62:63] op_sel_hi:[1,0,1]
	v_pk_add_f32 v[68:69], v[68:69], v[160:161]
	v_pk_fma_f32 v[62:63], v[106:107], v[90:91], v[62:63] neg_lo:[0,0,1] neg_hi:[0,0,1]
	v_pk_fma_f32 v[74:75], v[108:109], v[92:93], v[64:65] op_sel_hi:[1,0,1]
	v_pk_mul_f32 v[66:67], v[152:153], v[66:67] op_sel_hi:[1,0]
	v_mov_b32_e32 v63, v71
	v_pk_add_f32 v[60:61], v[68:69], v[60:61]
	s_wait_loadcnt 0x2
	v_pk_mul_f32 v[72:73], v[112:113], v[96:97] op_sel:[1,1] op_sel_hi:[0,1]
	v_mov_b32_e32 v68, v99
	v_pk_fma_f32 v[64:65], v[108:109], v[92:93], v[64:65] neg_lo:[0,0,1] neg_hi:[0,0,1]
	v_mov_b32_e32 v65, v75
	v_pk_fma_f32 v[70:71], v[110:111], v[94:95], v[66:67] op_sel_hi:[1,0,1]
	v_pk_add_f32 v[60:61], v[60:61], v[62:63]
	v_pk_fma_f32 v[62:63], v[112:113], v[96:97], v[72:73] op_sel_hi:[1,0,1]
	v_pk_mul_f32 v[68:69], v[154:155], v[68:69] op_sel_hi:[1,0]
	v_pk_fma_f32 v[66:67], v[110:111], v[94:95], v[66:67] neg_lo:[0,0,1] neg_hi:[0,0,1]
	v_mov_b32_e32 v67, v71
	v_pk_add_f32 v[60:61], v[60:61], v[64:65]
	v_pk_fma_f32 v[70:71], v[112:113], v[96:97], v[72:73] neg_lo:[0,0,1] neg_hi:[0,0,1]
	v_mov_b32_e32 v71, v63
	v_pk_fma_f32 v[62:63], v[114:115], v[98:99], v[68:69] op_sel_hi:[1,0,1]
	s_wait_loadcnt 0x1
	v_pk_mul_f32 v[64:65], v[116:117], v[100:101] op_sel:[1,1] op_sel_hi:[0,1]
	v_pk_add_f32 v[60:61], v[60:61], v[66:67]
	v_mov_b32_e32 v62, v103
	v_pk_fma_f32 v[68:69], v[114:115], v[98:99], v[68:69] neg_lo:[0,0,1] neg_hi:[0,0,1]
	v_mov_b32_e32 v69, v63
	v_pk_fma_f32 v[66:67], v[116:117], v[100:101], v[64:65] op_sel_hi:[1,0,1]
	v_pk_add_f32 v[60:61], v[60:61], v[70:71]
	v_pk_mul_f32 v[62:63], v[156:157], v[62:63] op_sel_hi:[1,0]
	v_pk_fma_f32 v[64:65], v[116:117], v[100:101], v[64:65] neg_lo:[0,0,1] neg_hi:[0,0,1]
	s_delay_alu instid0(VALU_DEP_4) | instskip(NEXT) | instid1(VALU_DEP_4)
	v_mov_b32_e32 v65, v67
	v_pk_add_f32 v[60:61], v[60:61], v[68:69]
	s_delay_alu instid0(VALU_DEP_4) | instskip(SKIP_1) | instid1(VALU_DEP_2)
	v_pk_fma_f32 v[66:67], v[118:119], v[102:103], v[62:63] op_sel_hi:[1,0,1]
	v_pk_fma_f32 v[62:63], v[118:119], v[102:103], v[62:63] neg_lo:[0,0,1] neg_hi:[0,0,1]
	v_mov_b32_e32 v63, v67
	s_delay_alu instid0(VALU_DEP_4) | instskip(NEXT) | instid1(VALU_DEP_1)
	v_pk_add_f32 v[60:61], v[60:61], v[64:65]
	v_pk_add_f32 v[60:61], v[60:61], v[62:63]
	s_wait_loadcnt 0x0
	s_delay_alu instid0(VALU_DEP_1)
	v_pk_add_f32 v[60:61], v[148:149], v[60:61] neg_lo:[0,1] neg_hi:[0,1]
	scratch_store_b64 off, v[60:61], off offset:48
	s_wait_xcnt 0x0
	v_cmpx_lt_u32_e32 5, v0
	s_cbranch_execz .LBB92_177
; %bb.176:
	scratch_load_b64 v[60:61], off, off offset:40
	v_mov_b64_e32 v[62:63], 0
	scratch_store_b64 off, v[62:63], off offset:40
	s_wait_loadcnt 0x0
	ds_store_b64 v1, v[60:61]
.LBB92_177:
	s_wait_xcnt 0x0
	s_or_b32 exec_lo, exec_lo, s0
	s_wait_storecnt_dscnt 0x0
	s_barrier_signal -1
	s_barrier_wait -1
	s_clause 0xc
	scratch_load_b128 v[60:63], off, off offset:48
	scratch_load_b128 v[64:67], off, off offset:64
	;; [unrolled: 1-line block ×11, first 2 shown]
	scratch_load_b64 v[148:149], off, off offset:224
	scratch_load_b64 v[150:151], off, off offset:40
	v_mov_b32_e32 v7, 0
	ds_load_b128 v[104:107], v7 offset:400
	ds_load_b128 v[108:111], v7 offset:416
	ds_load_b128 v[112:115], v7 offset:432
	ds_load_b128 v[116:119], v7 offset:448
	ds_load_b128 v[120:123], v7 offset:288
	ds_load_b128 v[124:127], v7 offset:304
	ds_load_b128 v[128:131], v7 offset:320
	ds_load_b128 v[132:135], v7 offset:336
	ds_load_b128 v[136:139], v7 offset:352
	ds_load_b128 v[140:143], v7 offset:384
	ds_load_b128 v[144:147], v7 offset:368
	ds_load_b64 v[152:153], v7 offset:464
	s_mov_b32 s0, exec_lo
	s_wait_dscnt 0xb
	v_dual_mov_b32 v154, v107 :: v_dual_mov_b32 v155, v106
	s_wait_dscnt 0x8
	v_dual_mov_b32 v156, v111 :: v_dual_mov_b32 v161, v118
	v_dual_mov_b32 v157, v110 :: v_dual_mov_b32 v158, v115
	;; [unrolled: 1-line block ×3, first 2 shown]
	s_wait_loadcnt_dscnt 0xc07
	v_dual_mul_f32 v9, v120, v61 :: v_dual_mul_f32 v35, v121, v61
	v_dual_mul_f32 v37, v123, v63 :: v_dual_mul_f32 v11, v122, v63
	s_wait_loadcnt_dscnt 0xb06
	v_mul_f32_e32 v13, v124, v65
	s_wait_loadcnt_dscnt 0x904
	v_dual_mul_f32 v47, v133, v73 :: v_dual_fma_f32 v35, v120, v60, -v35
	v_dual_fmac_f32 v9, v121, v60 :: v_dual_mul_f32 v49, v135, v75
	v_dual_mul_f32 v39, v125, v65 :: v_dual_mul_f32 v41, v127, v67
	v_dual_fmac_f32 v11, v123, v62 :: v_dual_fma_f32 v37, v122, v62, -v37
	s_delay_alu instid0(VALU_DEP_3) | instskip(SKIP_4) | instid1(VALU_DEP_3)
	v_dual_add_f32 v9, 0, v9 :: v_dual_add_f32 v35, 0, v35
	v_dual_mul_f32 v15, v126, v67 :: v_dual_mul_f32 v17, v128, v69
	s_wait_loadcnt_dscnt 0x803
	v_dual_mul_f32 v51, v137, v77 :: v_dual_fma_f32 v39, v124, v64, -v39
	v_fmac_f32_e32 v13, v125, v64
	v_dual_add_f32 v9, v9, v11 :: v_dual_fmac_f32 v15, v127, v66
	v_add_f32_e32 v11, v35, v37
	v_dual_mul_f32 v43, v129, v69 :: v_dual_mul_f32 v45, v131, v71
	v_dual_mul_f32 v35, v139, v79 :: v_dual_fma_f32 v37, v126, v66, -v41
	s_delay_alu instid0(VALU_DEP_3) | instskip(SKIP_3) | instid1(VALU_DEP_3)
	v_dual_add_f32 v9, v9, v13 :: v_dual_add_f32 v11, v11, v39
	v_dual_mul_f32 v19, v130, v71 :: v_dual_mul_f32 v21, v132, v73
	s_wait_loadcnt_dscnt 0x701
	v_dual_mul_f32 v13, v145, v81 :: v_dual_fma_f32 v39, v128, v68, -v43
	v_dual_fmac_f32 v17, v129, v68 :: v_dual_add_f32 v11, v11, v37
	s_delay_alu instid0(VALU_DEP_3) | instskip(SKIP_1) | instid1(VALU_DEP_2)
	v_dual_add_f32 v9, v9, v15 :: v_dual_fmac_f32 v19, v131, v70
	v_dual_mul_f32 v15, v147, v83 :: v_dual_fma_f32 v37, v130, v70, -v45
	v_dual_add_f32 v11, v11, v39 :: v_dual_add_f32 v9, v9, v17
	v_dual_mul_f32 v23, v134, v75 :: v_dual_mul_f32 v25, v136, v77
	s_wait_loadcnt 0x6
	v_dual_mul_f32 v17, v141, v85 :: v_dual_fma_f32 v39, v132, v72, -v47
	s_delay_alu instid0(VALU_DEP_3) | instskip(NEXT) | instid1(VALU_DEP_3)
	v_dual_fmac_f32 v21, v133, v72 :: v_dual_add_f32 v11, v11, v37
	v_dual_add_f32 v9, v9, v19 :: v_dual_fmac_f32 v23, v135, v74
	v_dual_mul_f32 v19, v143, v87 :: v_dual_fma_f32 v37, v134, v74, -v49
	s_delay_alu instid0(VALU_DEP_2) | instskip(SKIP_3) | instid1(VALU_DEP_3)
	v_dual_add_f32 v11, v11, v39 :: v_dual_add_f32 v9, v9, v21
	v_dual_mul_f32 v27, v138, v79 :: v_dual_mul_f32 v29, v144, v81
	s_wait_loadcnt 0x5
	v_dual_mul_f32 v21, v105, v89 :: v_dual_fma_f32 v39, v136, v76, -v51
	v_dual_fmac_f32 v25, v137, v76 :: v_dual_add_f32 v11, v11, v37
	v_dual_add_f32 v9, v9, v23 :: v_dual_mov_b32 v60, v91
	v_fmac_f32_e32 v27, v139, v78
	s_delay_alu instid0(VALU_DEP_3) | instskip(NEXT) | instid1(VALU_DEP_3)
	v_dual_fma_f32 v23, v138, v78, -v35 :: v_dual_add_f32 v11, v11, v39
	v_dual_add_f32 v9, v9, v25 :: v_dual_mul_f32 v31, v146, v83
	v_dual_mul_f32 v33, v140, v85 :: v_dual_fmac_f32 v29, v145, v80
	s_delay_alu instid0(VALU_DEP_3) | instskip(SKIP_1) | instid1(VALU_DEP_3)
	v_dual_add_f32 v11, v11, v23 :: v_dual_fma_f32 v13, v144, v80, -v13
	s_wait_loadcnt 0x4
	v_dual_add_f32 v9, v9, v27 :: v_dual_mov_b32 v64, v95
	v_fma_f32 v15, v146, v82, -v15
	v_fmac_f32_e32 v31, v147, v82
	v_dual_add_f32 v11, v11, v13 :: v_dual_fmac_f32 v33, v141, v84
	s_delay_alu instid0(VALU_DEP_4) | instskip(SKIP_1) | instid1(VALU_DEP_3)
	v_dual_add_f32 v9, v9, v29 :: v_dual_mul_f32 v163, v142, v87
	v_mul_f32_e32 v165, v104, v89
	v_dual_fma_f32 v13, v140, v84, -v17 :: v_dual_add_f32 v11, v11, v15
	s_delay_alu instid0(VALU_DEP_3) | instskip(NEXT) | instid1(VALU_DEP_4)
	v_dual_fma_f32 v162, v142, v86, -v19 :: v_dual_add_f32 v9, v9, v31
	v_fmac_f32_e32 v163, v143, v86
	v_pk_mul_f32 v[60:61], v[154:155], v[60:61] op_sel_hi:[1,0]
	s_delay_alu instid0(VALU_DEP_4) | instskip(NEXT) | instid1(VALU_DEP_4)
	v_dual_add_f32 v68, v11, v13 :: v_dual_fmac_f32 v165, v105, v88
	v_add_f32_e32 v69, v9, v33
	v_pk_mul_f32 v[62:63], v[108:109], v[92:93] op_sel:[1,1] op_sel_hi:[0,1]
	s_wait_loadcnt 0x3
	v_dual_mov_b32 v70, v99 :: v_dual_fma_f32 v164, v104, v88, -v21
	v_pk_fma_f32 v[72:73], v[106:107], v[90:91], v[60:61] op_sel_hi:[1,0,1]
	v_pk_add_f32 v[68:69], v[68:69], v[162:163]
	v_pk_fma_f32 v[60:61], v[106:107], v[90:91], v[60:61] neg_lo:[0,0,1] neg_hi:[0,0,1]
	v_pk_fma_f32 v[74:75], v[108:109], v[92:93], v[62:63] op_sel_hi:[1,0,1]
	v_pk_mul_f32 v[64:65], v[156:157], v[64:65] op_sel_hi:[1,0]
	v_mov_b32_e32 v61, v73
	v_pk_add_f32 v[68:69], v[68:69], v[164:165]
	v_pk_fma_f32 v[62:63], v[108:109], v[92:93], v[62:63] neg_lo:[0,0,1] neg_hi:[0,0,1]
	v_pk_mul_f32 v[66:67], v[112:113], v[96:97] op_sel:[1,1] op_sel_hi:[0,1]
	v_mov_b32_e32 v63, v75
	v_pk_fma_f32 v[74:75], v[110:111], v[94:95], v[64:65] op_sel_hi:[1,0,1]
	v_pk_add_f32 v[60:61], v[68:69], v[60:61]
	v_pk_fma_f32 v[64:65], v[110:111], v[94:95], v[64:65] neg_lo:[0,0,1] neg_hi:[0,0,1]
	v_pk_fma_f32 v[68:69], v[112:113], v[96:97], v[66:67] op_sel_hi:[1,0,1]
	v_pk_mul_f32 v[70:71], v[158:159], v[70:71] op_sel_hi:[1,0]
	v_mov_b32_e32 v65, v75
	v_pk_add_f32 v[60:61], v[60:61], v[62:63]
	v_pk_fma_f32 v[66:67], v[112:113], v[96:97], v[66:67] neg_lo:[0,0,1] neg_hi:[0,0,1]
	s_wait_loadcnt 0x2
	v_pk_mul_f32 v[72:73], v[116:117], v[100:101] op_sel:[1,1] op_sel_hi:[0,1]
	v_dual_mov_b32 v62, v103 :: v_dual_mov_b32 v67, v69
	v_pk_fma_f32 v[68:69], v[114:115], v[98:99], v[70:71] op_sel_hi:[1,0,1]
	v_pk_add_f32 v[60:61], v[60:61], v[64:65]
	v_pk_fma_f32 v[70:71], v[114:115], v[98:99], v[70:71] neg_lo:[0,0,1] neg_hi:[0,0,1]
	v_pk_fma_f32 v[64:65], v[116:117], v[100:101], v[72:73] op_sel_hi:[1,0,1]
	v_pk_mul_f32 v[62:63], v[160:161], v[62:63] op_sel_hi:[1,0]
	v_mov_b32_e32 v71, v69
	v_pk_add_f32 v[60:61], v[60:61], v[66:67]
	v_pk_fma_f32 v[66:67], v[116:117], v[100:101], v[72:73] neg_lo:[0,0,1] neg_hi:[0,0,1]
	v_mov_b32_e32 v67, v65
	v_pk_fma_f32 v[64:65], v[118:119], v[102:103], v[62:63] op_sel_hi:[1,0,1]
	s_wait_loadcnt_dscnt 0x100
	v_pk_mul_f32 v[68:69], v[152:153], v[148:149] op_sel:[1,1] op_sel_hi:[0,1]
	v_pk_add_f32 v[60:61], v[60:61], v[70:71]
	v_pk_fma_f32 v[62:63], v[118:119], v[102:103], v[62:63] neg_lo:[0,0,1] neg_hi:[0,0,1]
	v_mov_b32_e32 v63, v65
	s_delay_alu instid0(VALU_DEP_4) | instskip(NEXT) | instid1(VALU_DEP_4)
	v_pk_fma_f32 v[64:65], v[152:153], v[148:149], v[68:69] op_sel_hi:[1,0,1]
	v_pk_add_f32 v[60:61], v[60:61], v[66:67]
	v_pk_fma_f32 v[66:67], v[152:153], v[148:149], v[68:69] neg_lo:[0,0,1] neg_hi:[0,0,1]
	s_delay_alu instid0(VALU_DEP_3) | instskip(NEXT) | instid1(VALU_DEP_3)
	v_mov_b32_e32 v67, v65
	v_pk_add_f32 v[60:61], v[60:61], v[62:63]
	s_delay_alu instid0(VALU_DEP_1) | instskip(SKIP_1) | instid1(VALU_DEP_1)
	v_pk_add_f32 v[60:61], v[60:61], v[66:67]
	s_wait_loadcnt 0x0
	v_pk_add_f32 v[60:61], v[150:151], v[60:61] neg_lo:[0,1] neg_hi:[0,1]
	scratch_store_b64 off, v[60:61], off offset:40
	s_wait_xcnt 0x0
	v_cmpx_lt_u32_e32 4, v0
	s_cbranch_execz .LBB92_179
; %bb.178:
	scratch_load_b64 v[60:61], off, off offset:32
	v_mov_b64_e32 v[62:63], 0
	scratch_store_b64 off, v[62:63], off offset:32
	s_wait_loadcnt 0x0
	ds_store_b64 v1, v[60:61]
.LBB92_179:
	s_wait_xcnt 0x0
	s_or_b32 exec_lo, exec_lo, s0
	s_wait_storecnt_dscnt 0x0
	s_barrier_signal -1
	s_barrier_wait -1
	s_clause 0xc
	scratch_load_b128 v[60:63], off, off offset:40
	scratch_load_b128 v[64:67], off, off offset:56
	;; [unrolled: 1-line block ×12, first 2 shown]
	scratch_load_b64 v[156:157], off, off offset:32
	ds_load_2addr_b64 v[108:111], v7 offset0:51 offset1:52
	ds_load_2addr_b64 v[112:115], v7 offset0:53 offset1:54
	;; [unrolled: 1-line block ×12, first 2 shown]
	s_mov_b32 s0, exec_lo
	s_wait_dscnt 0xb
	v_dual_mov_b32 v158, v111 :: v_dual_mov_b32 v159, v110
	s_wait_dscnt 0xa
	v_dual_mov_b32 v160, v115 :: v_dual_mov_b32 v161, v114
	;; [unrolled: 2-line block ×4, first 2 shown]
	s_wait_loadcnt_dscnt 0xc07
	v_dual_mul_f32 v7, v124, v61 :: v_dual_mul_f32 v9, v126, v63
	v_dual_mul_f32 v35, v125, v61 :: v_dual_mul_f32 v37, v127, v63
	s_wait_loadcnt_dscnt 0xb06
	v_dual_mul_f32 v11, v128, v65 :: v_dual_mul_f32 v13, v130, v67
	s_delay_alu instid0(VALU_DEP_3) | instskip(SKIP_3) | instid1(VALU_DEP_3)
	v_dual_fmac_f32 v7, v125, v60 :: v_dual_fmac_f32 v9, v127, v62
	s_wait_loadcnt_dscnt 0x904
	v_dual_fma_f32 v35, v124, v60, -v35 :: v_dual_mul_f32 v47, v137, v73
	v_dual_mul_f32 v39, v129, v65 :: v_dual_mul_f32 v41, v131, v67
	v_dual_fma_f32 v37, v126, v62, -v37 :: v_dual_add_f32 v7, 0, v7
	s_delay_alu instid0(VALU_DEP_3) | instskip(SKIP_1) | instid1(VALU_DEP_4)
	v_dual_add_f32 v35, 0, v35 :: v_dual_fmac_f32 v11, v129, v64
	v_dual_mul_f32 v15, v132, v69 :: v_dual_mul_f32 v17, v134, v71
	v_dual_mul_f32 v49, v139, v75 :: v_dual_fma_f32 v39, v128, v64, -v39
	s_delay_alu instid0(VALU_DEP_4) | instskip(NEXT) | instid1(VALU_DEP_3)
	v_add_f32_e32 v7, v7, v9
	v_dual_add_f32 v9, v35, v37 :: v_dual_fmac_f32 v15, v133, v68
	v_dual_mul_f32 v43, v133, v69 :: v_dual_mul_f32 v45, v135, v71
	s_wait_loadcnt_dscnt 0x803
	v_dual_mul_f32 v35, v141, v77 :: v_dual_fmac_f32 v13, v131, v66
	v_dual_fma_f32 v37, v130, v66, -v41 :: v_dual_add_f32 v7, v7, v11
	s_delay_alu instid0(VALU_DEP_3) | instskip(SKIP_1) | instid1(VALU_DEP_3)
	v_dual_add_f32 v9, v9, v39 :: v_dual_fma_f32 v39, v132, v68, -v43
	v_dual_mul_f32 v19, v136, v73 :: v_dual_mul_f32 v21, v138, v75
	v_add_f32_e32 v7, v7, v13
	s_delay_alu instid0(VALU_DEP_3) | instskip(SKIP_2) | instid1(VALU_DEP_3)
	v_dual_mul_f32 v11, v143, v79 :: v_dual_add_f32 v9, v9, v37
	s_wait_loadcnt_dscnt 0x702
	v_dual_mul_f32 v13, v145, v81 :: v_dual_fmac_f32 v17, v135, v70
	v_dual_fma_f32 v37, v134, v70, -v45 :: v_dual_add_f32 v7, v7, v15
	s_delay_alu instid0(VALU_DEP_3) | instskip(SKIP_1) | instid1(VALU_DEP_3)
	v_dual_add_f32 v9, v9, v39 :: v_dual_fma_f32 v39, v136, v72, -v47
	v_dual_mul_f32 v15, v147, v83 :: v_dual_fmac_f32 v19, v137, v72
	v_add_f32_e32 v7, v7, v17
	s_delay_alu instid0(VALU_DEP_3)
	v_dual_add_f32 v9, v9, v37 :: v_dual_fmac_f32 v21, v139, v74
	v_dual_mul_f32 v23, v140, v77 :: v_dual_mul_f32 v25, v142, v79
	s_wait_loadcnt_dscnt 0x601
	v_dual_fma_f32 v37, v138, v74, -v49 :: v_dual_mul_f32 v17, v149, v85
	v_add_f32_e32 v7, v7, v19
	v_dual_add_f32 v9, v9, v39 :: v_dual_fma_f32 v35, v140, v76, -v35
	v_dual_mul_f32 v19, v151, v87 :: v_dual_fmac_f32 v23, v141, v76
	s_delay_alu instid0(VALU_DEP_3) | instskip(NEXT) | instid1(VALU_DEP_3)
	v_dual_add_f32 v7, v7, v21 :: v_dual_fma_f32 v11, v142, v78, -v11
	v_dual_add_f32 v9, v9, v37 :: v_dual_fmac_f32 v25, v143, v78
	v_dual_mul_f32 v27, v144, v81 :: v_dual_mul_f32 v29, v146, v83
	s_wait_loadcnt_dscnt 0x500
	s_delay_alu instid0(VALU_DEP_3) | instskip(NEXT) | instid1(VALU_DEP_3)
	v_dual_mul_f32 v21, v153, v89 :: v_dual_add_f32 v7, v7, v23
	v_dual_add_f32 v9, v9, v35 :: v_dual_fma_f32 v13, v144, v80, -v13
	s_delay_alu instid0(VALU_DEP_3) | instskip(NEXT) | instid1(VALU_DEP_2)
	v_dual_mul_f32 v23, v155, v91 :: v_dual_fmac_f32 v27, v145, v80
	v_dual_add_f32 v7, v7, v25 :: v_dual_add_f32 v9, v9, v11
	v_dual_mul_f32 v31, v148, v85 :: v_dual_mul_f32 v33, v150, v87
	v_dual_fmac_f32 v29, v147, v82 :: v_dual_fma_f32 v11, v146, v82, -v15
	s_delay_alu instid0(VALU_DEP_3) | instskip(SKIP_1) | instid1(VALU_DEP_3)
	v_dual_add_f32 v7, v7, v27 :: v_dual_add_f32 v9, v9, v13
	s_wait_loadcnt 0x4
	v_dual_mov_b32 v62, v95 :: v_dual_fmac_f32 v31, v149, v84
	s_delay_alu instid0(VALU_DEP_2) | instskip(NEXT) | instid1(VALU_DEP_3)
	v_dual_fma_f32 v13, v148, v84, -v17 :: v_dual_add_f32 v7, v7, v29
	v_dual_add_f32 v9, v9, v11 :: v_dual_fmac_f32 v33, v151, v86
	v_dual_mul_f32 v167, v152, v89 :: v_dual_mul_f32 v169, v154, v91
	s_delay_alu instid0(VALU_DEP_3) | instskip(SKIP_1) | instid1(VALU_DEP_3)
	v_dual_fma_f32 v11, v150, v86, -v19 :: v_dual_add_f32 v7, v7, v31
	s_wait_loadcnt 0x3
	v_dual_add_f32 v9, v9, v13 :: v_dual_mov_b32 v66, v99
	v_pk_mul_f32 v[60:61], v[108:109], v[92:93] op_sel:[1,1] op_sel_hi:[0,1]
	v_dual_fmac_f32 v167, v153, v88 :: v_dual_fma_f32 v166, v152, v88, -v21
	s_delay_alu instid0(VALU_DEP_3) | instskip(SKIP_1) | instid1(VALU_DEP_4)
	v_dual_add_f32 v69, v7, v33 :: v_dual_add_f32 v68, v9, v11
	v_dual_fmac_f32 v169, v155, v90 :: v_dual_fma_f32 v168, v154, v90, -v23
	v_pk_fma_f32 v[70:71], v[108:109], v[92:93], v[60:61] op_sel_hi:[1,0,1]
	v_pk_mul_f32 v[62:63], v[158:159], v[62:63] op_sel_hi:[1,0]
	s_delay_alu instid0(VALU_DEP_4)
	v_pk_add_f32 v[68:69], v[68:69], v[166:167]
	v_pk_fma_f32 v[60:61], v[108:109], v[92:93], v[60:61] neg_lo:[0,0,1] neg_hi:[0,0,1]
	v_pk_mul_f32 v[64:65], v[112:113], v[96:97] op_sel:[1,1] op_sel_hi:[0,1]
	v_mov_b32_e32 v61, v71
	v_pk_fma_f32 v[70:71], v[110:111], v[94:95], v[62:63] op_sel_hi:[1,0,1]
	v_pk_add_f32 v[68:69], v[68:69], v[168:169]
	v_pk_fma_f32 v[62:63], v[110:111], v[94:95], v[62:63] neg_lo:[0,0,1] neg_hi:[0,0,1]
	v_pk_fma_f32 v[74:75], v[112:113], v[96:97], v[64:65] op_sel_hi:[1,0,1]
	v_pk_mul_f32 v[66:67], v[160:161], v[66:67] op_sel_hi:[1,0]
	v_mov_b32_e32 v63, v71
	v_pk_add_f32 v[60:61], v[68:69], v[60:61]
	s_wait_loadcnt 0x2
	v_pk_mul_f32 v[72:73], v[116:117], v[100:101] op_sel:[1,1] op_sel_hi:[0,1]
	v_mov_b32_e32 v68, v103
	v_pk_fma_f32 v[64:65], v[112:113], v[96:97], v[64:65] neg_lo:[0,0,1] neg_hi:[0,0,1]
	v_mov_b32_e32 v65, v75
	v_pk_fma_f32 v[70:71], v[114:115], v[98:99], v[66:67] op_sel_hi:[1,0,1]
	v_pk_add_f32 v[60:61], v[60:61], v[62:63]
	v_pk_fma_f32 v[62:63], v[116:117], v[100:101], v[72:73] op_sel_hi:[1,0,1]
	v_pk_mul_f32 v[68:69], v[162:163], v[68:69] op_sel_hi:[1,0]
	v_pk_fma_f32 v[66:67], v[114:115], v[98:99], v[66:67] neg_lo:[0,0,1] neg_hi:[0,0,1]
	v_mov_b32_e32 v67, v71
	v_pk_add_f32 v[60:61], v[60:61], v[64:65]
	v_pk_fma_f32 v[70:71], v[116:117], v[100:101], v[72:73] neg_lo:[0,0,1] neg_hi:[0,0,1]
	v_mov_b32_e32 v71, v63
	v_pk_fma_f32 v[62:63], v[118:119], v[102:103], v[68:69] op_sel_hi:[1,0,1]
	s_wait_loadcnt 0x1
	v_pk_mul_f32 v[64:65], v[120:121], v[104:105] op_sel:[1,1] op_sel_hi:[0,1]
	v_pk_add_f32 v[60:61], v[60:61], v[66:67]
	v_mov_b32_e32 v62, v107
	v_pk_fma_f32 v[68:69], v[118:119], v[102:103], v[68:69] neg_lo:[0,0,1] neg_hi:[0,0,1]
	v_mov_b32_e32 v69, v63
	v_pk_fma_f32 v[66:67], v[120:121], v[104:105], v[64:65] op_sel_hi:[1,0,1]
	v_pk_add_f32 v[60:61], v[60:61], v[70:71]
	v_pk_mul_f32 v[62:63], v[164:165], v[62:63] op_sel_hi:[1,0]
	v_pk_fma_f32 v[64:65], v[120:121], v[104:105], v[64:65] neg_lo:[0,0,1] neg_hi:[0,0,1]
	s_delay_alu instid0(VALU_DEP_4) | instskip(NEXT) | instid1(VALU_DEP_4)
	v_mov_b32_e32 v65, v67
	v_pk_add_f32 v[60:61], v[60:61], v[68:69]
	s_delay_alu instid0(VALU_DEP_4) | instskip(SKIP_1) | instid1(VALU_DEP_2)
	v_pk_fma_f32 v[66:67], v[122:123], v[106:107], v[62:63] op_sel_hi:[1,0,1]
	v_pk_fma_f32 v[62:63], v[122:123], v[106:107], v[62:63] neg_lo:[0,0,1] neg_hi:[0,0,1]
	v_mov_b32_e32 v63, v67
	s_delay_alu instid0(VALU_DEP_4) | instskip(NEXT) | instid1(VALU_DEP_1)
	v_pk_add_f32 v[60:61], v[60:61], v[64:65]
	v_pk_add_f32 v[60:61], v[60:61], v[62:63]
	s_wait_loadcnt 0x0
	s_delay_alu instid0(VALU_DEP_1)
	v_pk_add_f32 v[60:61], v[156:157], v[60:61] neg_lo:[0,1] neg_hi:[0,1]
	scratch_store_b64 off, v[60:61], off offset:32
	s_wait_xcnt 0x0
	v_cmpx_lt_u32_e32 3, v0
	s_cbranch_execz .LBB92_181
; %bb.180:
	scratch_load_b64 v[60:61], off, off offset:24
	v_mov_b64_e32 v[62:63], 0
	scratch_store_b64 off, v[62:63], off offset:24
	s_wait_loadcnt 0x0
	ds_store_b64 v1, v[60:61]
.LBB92_181:
	s_wait_xcnt 0x0
	s_or_b32 exec_lo, exec_lo, s0
	s_wait_storecnt_dscnt 0x0
	s_barrier_signal -1
	s_barrier_wait -1
	s_clause 0xd
	scratch_load_b128 v[60:63], off, off offset:32
	scratch_load_b128 v[64:67], off, off offset:48
	;; [unrolled: 1-line block ×12, first 2 shown]
	scratch_load_b64 v[156:157], off, off offset:224
	scratch_load_b64 v[158:159], off, off offset:24
	v_mov_b32_e32 v7, 0
	ds_load_b128 v[108:111], v7 offset:400
	ds_load_b128 v[112:115], v7 offset:416
	ds_load_b128 v[116:119], v7 offset:432
	ds_load_b128 v[120:123], v7 offset:448
	ds_load_b128 v[124:127], v7 offset:272
	ds_load_b128 v[128:131], v7 offset:288
	ds_load_b128 v[132:135], v7 offset:304
	ds_load_b128 v[136:139], v7 offset:320
	ds_load_b128 v[140:143], v7 offset:336
	ds_load_b128 v[144:147], v7 offset:352
	ds_load_b128 v[148:151], v7 offset:368
	ds_load_b128 v[152:155], v7 offset:384
	ds_load_b64 v[160:161], v7 offset:464
	s_mov_b32 s0, exec_lo
	s_wait_dscnt 0xc
	v_dual_mov_b32 v162, v111 :: v_dual_mov_b32 v163, v110
	s_wait_dscnt 0x9
	v_dual_mov_b32 v164, v115 :: v_dual_mov_b32 v169, v122
	v_dual_mov_b32 v165, v114 :: v_dual_mov_b32 v166, v119
	;; [unrolled: 1-line block ×3, first 2 shown]
	s_wait_loadcnt_dscnt 0xd08
	v_dual_mul_f32 v9, v124, v61 :: v_dual_mul_f32 v39, v125, v61
	v_dual_mul_f32 v41, v127, v63 :: v_dual_mul_f32 v11, v126, v63
	s_wait_loadcnt_dscnt 0xc07
	v_mul_f32_e32 v13, v128, v65
	s_wait_loadcnt_dscnt 0xa05
	v_dual_mul_f32 v51, v137, v73 :: v_dual_fma_f32 v39, v124, v60, -v39
	v_dual_fmac_f32 v9, v125, v60 :: v_dual_mul_f32 v53, v139, v75
	v_dual_mul_f32 v43, v129, v65 :: v_dual_mul_f32 v45, v131, v67
	v_dual_fmac_f32 v11, v127, v62 :: v_dual_fma_f32 v41, v126, v62, -v41
	s_delay_alu instid0(VALU_DEP_3) | instskip(SKIP_4) | instid1(VALU_DEP_3)
	v_dual_add_f32 v9, 0, v9 :: v_dual_add_f32 v39, 0, v39
	v_dual_mul_f32 v15, v130, v67 :: v_dual_mul_f32 v17, v132, v69
	s_wait_loadcnt_dscnt 0x904
	v_dual_mul_f32 v55, v141, v77 :: v_dual_fma_f32 v43, v128, v64, -v43
	v_fmac_f32_e32 v13, v129, v64
	v_dual_add_f32 v9, v9, v11 :: v_dual_fmac_f32 v15, v131, v66
	v_add_f32_e32 v11, v39, v41
	v_dual_mul_f32 v47, v133, v69 :: v_dual_mul_f32 v49, v135, v71
	v_dual_mul_f32 v39, v143, v79 :: v_dual_fma_f32 v41, v130, v66, -v45
	s_delay_alu instid0(VALU_DEP_3) | instskip(SKIP_3) | instid1(VALU_DEP_3)
	v_dual_add_f32 v9, v9, v13 :: v_dual_add_f32 v11, v11, v43
	v_dual_mul_f32 v19, v134, v71 :: v_dual_mul_f32 v21, v136, v73
	s_wait_loadcnt_dscnt 0x803
	v_dual_mul_f32 v13, v145, v81 :: v_dual_fma_f32 v43, v132, v68, -v47
	v_dual_fmac_f32 v17, v133, v68 :: v_dual_add_f32 v11, v11, v41
	s_delay_alu instid0(VALU_DEP_3) | instskip(SKIP_1) | instid1(VALU_DEP_2)
	v_dual_add_f32 v9, v9, v15 :: v_dual_fmac_f32 v19, v135, v70
	v_dual_mul_f32 v15, v147, v83 :: v_dual_fma_f32 v41, v134, v70, -v49
	v_dual_add_f32 v11, v11, v43 :: v_dual_add_f32 v9, v9, v17
	v_dual_mul_f32 v23, v138, v75 :: v_dual_mul_f32 v25, v140, v77
	s_wait_loadcnt_dscnt 0x702
	v_dual_mul_f32 v17, v149, v85 :: v_dual_fma_f32 v43, v136, v72, -v51
	s_delay_alu instid0(VALU_DEP_3) | instskip(NEXT) | instid1(VALU_DEP_3)
	v_dual_fmac_f32 v21, v137, v72 :: v_dual_add_f32 v11, v11, v41
	v_dual_add_f32 v9, v9, v19 :: v_dual_fmac_f32 v23, v139, v74
	v_dual_mul_f32 v19, v151, v87 :: v_dual_fma_f32 v41, v138, v74, -v53
	s_delay_alu instid0(VALU_DEP_2) | instskip(SKIP_3) | instid1(VALU_DEP_3)
	v_dual_add_f32 v11, v11, v43 :: v_dual_add_f32 v9, v9, v21
	v_dual_mul_f32 v27, v142, v79 :: v_dual_mul_f32 v29, v144, v81
	s_wait_loadcnt_dscnt 0x601
	v_dual_mul_f32 v21, v153, v89 :: v_dual_fma_f32 v43, v140, v76, -v55
	v_dual_fmac_f32 v25, v141, v76 :: v_dual_add_f32 v11, v11, v41
	s_delay_alu instid0(VALU_DEP_3) | instskip(SKIP_1) | instid1(VALU_DEP_2)
	v_dual_add_f32 v9, v9, v23 :: v_dual_fmac_f32 v27, v143, v78
	v_dual_mul_f32 v23, v155, v91 :: v_dual_fma_f32 v39, v142, v78, -v39
	v_dual_add_f32 v11, v11, v43 :: v_dual_add_f32 v9, v9, v25
	v_dual_mul_f32 v31, v146, v83 :: v_dual_mul_f32 v33, v148, v85
	s_wait_loadcnt 0x5
	v_dual_mul_f32 v25, v109, v93 :: v_dual_fma_f32 v13, v144, v80, -v13
	s_delay_alu instid0(VALU_DEP_3) | instskip(SKIP_2) | instid1(VALU_DEP_3)
	v_dual_fmac_f32 v29, v145, v80 :: v_dual_add_f32 v11, v11, v39
	v_dual_add_f32 v9, v9, v27 :: v_dual_mov_b32 v60, v95
	v_fmac_f32_e32 v31, v147, v82
	v_dual_fma_f32 v15, v146, v82, -v15 :: v_dual_add_f32 v11, v11, v13
	s_delay_alu instid0(VALU_DEP_3) | instskip(SKIP_1) | instid1(VALU_DEP_3)
	v_dual_add_f32 v9, v9, v29 :: v_dual_mul_f32 v35, v150, v87
	v_dual_mul_f32 v37, v152, v89 :: v_dual_fmac_f32 v33, v149, v84
	v_dual_add_f32 v11, v11, v15 :: v_dual_fma_f32 v13, v148, v84, -v17
	s_wait_loadcnt 0x4
	s_delay_alu instid0(VALU_DEP_3) | instskip(SKIP_3) | instid1(VALU_DEP_4)
	v_dual_add_f32 v9, v9, v31 :: v_dual_mov_b32 v64, v99
	v_fma_f32 v15, v150, v86, -v19
	v_fmac_f32_e32 v35, v151, v86
	v_dual_add_f32 v11, v11, v13 :: v_dual_fmac_f32 v37, v153, v88
	v_dual_add_f32 v9, v9, v33 :: v_dual_mul_f32 v171, v154, v91
	v_mul_f32_e32 v173, v108, v93
	s_delay_alu instid0(VALU_DEP_3) | instskip(NEXT) | instid1(VALU_DEP_3)
	v_dual_fma_f32 v13, v152, v88, -v21 :: v_dual_add_f32 v11, v11, v15
	v_dual_fma_f32 v170, v154, v90, -v23 :: v_dual_add_f32 v9, v9, v35
	s_delay_alu instid0(VALU_DEP_4) | instskip(SKIP_1) | instid1(VALU_DEP_4)
	v_fmac_f32_e32 v171, v155, v90
	v_pk_mul_f32 v[60:61], v[162:163], v[60:61] op_sel_hi:[1,0]
	v_dual_add_f32 v68, v11, v13 :: v_dual_fmac_f32 v173, v109, v92
	s_delay_alu instid0(VALU_DEP_4)
	v_add_f32_e32 v69, v9, v37
	v_pk_mul_f32 v[62:63], v[112:113], v[96:97] op_sel:[1,1] op_sel_hi:[0,1]
	s_wait_loadcnt 0x3
	v_dual_mov_b32 v70, v103 :: v_dual_fma_f32 v172, v108, v92, -v25
	v_pk_fma_f32 v[72:73], v[110:111], v[94:95], v[60:61] op_sel_hi:[1,0,1]
	v_pk_add_f32 v[68:69], v[68:69], v[170:171]
	v_pk_fma_f32 v[60:61], v[110:111], v[94:95], v[60:61] neg_lo:[0,0,1] neg_hi:[0,0,1]
	v_pk_fma_f32 v[74:75], v[112:113], v[96:97], v[62:63] op_sel_hi:[1,0,1]
	v_pk_mul_f32 v[64:65], v[164:165], v[64:65] op_sel_hi:[1,0]
	v_mov_b32_e32 v61, v73
	v_pk_add_f32 v[68:69], v[68:69], v[172:173]
	v_pk_fma_f32 v[62:63], v[112:113], v[96:97], v[62:63] neg_lo:[0,0,1] neg_hi:[0,0,1]
	v_pk_mul_f32 v[66:67], v[116:117], v[100:101] op_sel:[1,1] op_sel_hi:[0,1]
	v_mov_b32_e32 v63, v75
	v_pk_fma_f32 v[74:75], v[114:115], v[98:99], v[64:65] op_sel_hi:[1,0,1]
	v_pk_add_f32 v[60:61], v[68:69], v[60:61]
	v_pk_fma_f32 v[64:65], v[114:115], v[98:99], v[64:65] neg_lo:[0,0,1] neg_hi:[0,0,1]
	v_pk_fma_f32 v[68:69], v[116:117], v[100:101], v[66:67] op_sel_hi:[1,0,1]
	v_pk_mul_f32 v[70:71], v[166:167], v[70:71] op_sel_hi:[1,0]
	v_mov_b32_e32 v65, v75
	v_pk_add_f32 v[60:61], v[60:61], v[62:63]
	v_pk_fma_f32 v[66:67], v[116:117], v[100:101], v[66:67] neg_lo:[0,0,1] neg_hi:[0,0,1]
	s_wait_loadcnt 0x2
	v_pk_mul_f32 v[72:73], v[120:121], v[104:105] op_sel:[1,1] op_sel_hi:[0,1]
	v_dual_mov_b32 v62, v107 :: v_dual_mov_b32 v67, v69
	v_pk_fma_f32 v[68:69], v[118:119], v[102:103], v[70:71] op_sel_hi:[1,0,1]
	v_pk_add_f32 v[60:61], v[60:61], v[64:65]
	v_pk_fma_f32 v[70:71], v[118:119], v[102:103], v[70:71] neg_lo:[0,0,1] neg_hi:[0,0,1]
	v_pk_fma_f32 v[64:65], v[120:121], v[104:105], v[72:73] op_sel_hi:[1,0,1]
	v_pk_mul_f32 v[62:63], v[168:169], v[62:63] op_sel_hi:[1,0]
	v_mov_b32_e32 v71, v69
	v_pk_add_f32 v[60:61], v[60:61], v[66:67]
	v_pk_fma_f32 v[66:67], v[120:121], v[104:105], v[72:73] neg_lo:[0,0,1] neg_hi:[0,0,1]
	v_mov_b32_e32 v67, v65
	v_pk_fma_f32 v[64:65], v[122:123], v[106:107], v[62:63] op_sel_hi:[1,0,1]
	s_wait_loadcnt_dscnt 0x100
	v_pk_mul_f32 v[68:69], v[160:161], v[156:157] op_sel:[1,1] op_sel_hi:[0,1]
	v_pk_add_f32 v[60:61], v[60:61], v[70:71]
	v_pk_fma_f32 v[62:63], v[122:123], v[106:107], v[62:63] neg_lo:[0,0,1] neg_hi:[0,0,1]
	v_mov_b32_e32 v63, v65
	s_delay_alu instid0(VALU_DEP_4) | instskip(NEXT) | instid1(VALU_DEP_4)
	v_pk_fma_f32 v[64:65], v[160:161], v[156:157], v[68:69] op_sel_hi:[1,0,1]
	v_pk_add_f32 v[60:61], v[60:61], v[66:67]
	v_pk_fma_f32 v[66:67], v[160:161], v[156:157], v[68:69] neg_lo:[0,0,1] neg_hi:[0,0,1]
	s_delay_alu instid0(VALU_DEP_3) | instskip(NEXT) | instid1(VALU_DEP_3)
	v_mov_b32_e32 v67, v65
	v_pk_add_f32 v[60:61], v[60:61], v[62:63]
	s_delay_alu instid0(VALU_DEP_1) | instskip(SKIP_1) | instid1(VALU_DEP_1)
	v_pk_add_f32 v[60:61], v[60:61], v[66:67]
	s_wait_loadcnt 0x0
	v_pk_add_f32 v[60:61], v[158:159], v[60:61] neg_lo:[0,1] neg_hi:[0,1]
	scratch_store_b64 off, v[60:61], off offset:24
	s_wait_xcnt 0x0
	v_cmpx_lt_u32_e32 2, v0
	s_cbranch_execz .LBB92_183
; %bb.182:
	scratch_load_b64 v[60:61], off, off offset:16
	v_mov_b64_e32 v[62:63], 0
	scratch_store_b64 off, v[62:63], off offset:16
	s_wait_loadcnt 0x0
	ds_store_b64 v1, v[60:61]
.LBB92_183:
	s_wait_xcnt 0x0
	s_or_b32 exec_lo, exec_lo, s0
	s_wait_storecnt_dscnt 0x0
	s_barrier_signal -1
	s_barrier_wait -1
	s_clause 0xd
	scratch_load_b128 v[60:63], off, off offset:24
	scratch_load_b128 v[64:67], off, off offset:40
	;; [unrolled: 1-line block ×13, first 2 shown]
	scratch_load_b64 v[164:165], off, off offset:16
	ds_load_2addr_b64 v[112:115], v7 offset0:51 offset1:52
	ds_load_2addr_b64 v[116:119], v7 offset0:53 offset1:54
	;; [unrolled: 1-line block ×13, first 2 shown]
	s_mov_b32 s0, exec_lo
	s_wait_dscnt 0xc
	v_dual_mov_b32 v166, v115 :: v_dual_mov_b32 v167, v114
	s_wait_dscnt 0xb
	v_dual_mov_b32 v168, v119 :: v_dual_mov_b32 v169, v118
	;; [unrolled: 2-line block ×4, first 2 shown]
	s_wait_loadcnt_dscnt 0xd08
	v_dual_mul_f32 v7, v128, v61 :: v_dual_mul_f32 v9, v130, v63
	v_dual_mul_f32 v39, v129, v61 :: v_dual_mul_f32 v41, v131, v63
	s_wait_loadcnt_dscnt 0xc07
	v_dual_mul_f32 v11, v132, v65 :: v_dual_mul_f32 v13, v134, v67
	s_delay_alu instid0(VALU_DEP_3) | instskip(SKIP_3) | instid1(VALU_DEP_3)
	v_dual_fmac_f32 v7, v129, v60 :: v_dual_fmac_f32 v9, v131, v62
	s_wait_loadcnt_dscnt 0xa05
	v_dual_fma_f32 v39, v128, v60, -v39 :: v_dual_mul_f32 v51, v141, v73
	v_dual_mul_f32 v43, v133, v65 :: v_dual_mul_f32 v45, v135, v67
	v_dual_fma_f32 v41, v130, v62, -v41 :: v_dual_add_f32 v7, 0, v7
	s_delay_alu instid0(VALU_DEP_3) | instskip(SKIP_1) | instid1(VALU_DEP_4)
	v_dual_add_f32 v39, 0, v39 :: v_dual_fmac_f32 v11, v133, v64
	v_dual_mul_f32 v15, v136, v69 :: v_dual_mul_f32 v17, v138, v71
	v_dual_mul_f32 v53, v143, v75 :: v_dual_fma_f32 v43, v132, v64, -v43
	s_delay_alu instid0(VALU_DEP_4) | instskip(NEXT) | instid1(VALU_DEP_3)
	v_add_f32_e32 v7, v7, v9
	v_dual_add_f32 v9, v39, v41 :: v_dual_fmac_f32 v15, v137, v68
	v_dual_mul_f32 v47, v137, v69 :: v_dual_mul_f32 v49, v139, v71
	s_wait_loadcnt_dscnt 0x903
	v_dual_mul_f32 v39, v149, v77 :: v_dual_fmac_f32 v13, v135, v66
	v_dual_fma_f32 v41, v134, v66, -v45 :: v_dual_add_f32 v7, v7, v11
	s_delay_alu instid0(VALU_DEP_3) | instskip(SKIP_1) | instid1(VALU_DEP_3)
	v_dual_add_f32 v9, v9, v43 :: v_dual_fma_f32 v43, v136, v68, -v47
	v_dual_mul_f32 v19, v140, v73 :: v_dual_mul_f32 v21, v142, v75
	v_add_f32_e32 v7, v7, v13
	s_delay_alu instid0(VALU_DEP_3) | instskip(SKIP_2) | instid1(VALU_DEP_3)
	v_dual_mul_f32 v11, v151, v79 :: v_dual_add_f32 v9, v9, v41
	s_wait_loadcnt_dscnt 0x802
	v_dual_mul_f32 v13, v153, v81 :: v_dual_fmac_f32 v17, v139, v70
	v_dual_fma_f32 v41, v138, v70, -v49 :: v_dual_add_f32 v7, v7, v15
	s_delay_alu instid0(VALU_DEP_3) | instskip(SKIP_1) | instid1(VALU_DEP_3)
	v_dual_add_f32 v9, v9, v43 :: v_dual_fma_f32 v43, v140, v72, -v51
	v_dual_mul_f32 v15, v155, v83 :: v_dual_fmac_f32 v19, v141, v72
	v_add_f32_e32 v7, v7, v17
	s_delay_alu instid0(VALU_DEP_3)
	v_dual_add_f32 v9, v9, v41 :: v_dual_fmac_f32 v21, v143, v74
	v_dual_mul_f32 v23, v148, v77 :: v_dual_mul_f32 v25, v150, v79
	s_wait_loadcnt_dscnt 0x701
	v_dual_fma_f32 v41, v142, v74, -v53 :: v_dual_mul_f32 v17, v157, v85
	v_add_f32_e32 v7, v7, v19
	v_dual_add_f32 v9, v9, v43 :: v_dual_fma_f32 v39, v148, v76, -v39
	v_dual_mul_f32 v19, v159, v87 :: v_dual_fmac_f32 v23, v149, v76
	s_delay_alu instid0(VALU_DEP_3) | instskip(NEXT) | instid1(VALU_DEP_3)
	v_dual_add_f32 v7, v7, v21 :: v_dual_fma_f32 v11, v150, v78, -v11
	v_dual_add_f32 v9, v9, v41 :: v_dual_fmac_f32 v25, v151, v78
	v_dual_mul_f32 v27, v152, v81 :: v_dual_mul_f32 v29, v154, v83
	s_wait_loadcnt_dscnt 0x600
	s_delay_alu instid0(VALU_DEP_3) | instskip(NEXT) | instid1(VALU_DEP_3)
	v_dual_mul_f32 v21, v161, v89 :: v_dual_add_f32 v7, v7, v23
	v_dual_add_f32 v9, v9, v39 :: v_dual_fma_f32 v13, v152, v80, -v13
	s_delay_alu instid0(VALU_DEP_3) | instskip(NEXT) | instid1(VALU_DEP_2)
	v_dual_mul_f32 v23, v163, v91 :: v_dual_fmac_f32 v27, v153, v80
	v_dual_add_f32 v7, v7, v25 :: v_dual_add_f32 v9, v9, v11
	v_dual_mul_f32 v31, v156, v85 :: v_dual_mul_f32 v33, v158, v87
	s_wait_loadcnt 0x5
	v_dual_mul_f32 v11, v145, v93 :: v_dual_fmac_f32 v29, v155, v82
	s_delay_alu instid0(VALU_DEP_3) | instskip(SKIP_2) | instid1(VALU_DEP_2)
	v_dual_fma_f32 v15, v154, v82, -v15 :: v_dual_add_f32 v7, v7, v27
	v_dual_add_f32 v9, v9, v13 :: v_dual_mul_f32 v13, v147, v95
	v_dual_fmac_f32 v31, v157, v84 :: v_dual_fma_f32 v17, v156, v84, -v17
	v_dual_add_f32 v7, v7, v29 :: v_dual_add_f32 v9, v9, v15
	v_dual_mul_f32 v35, v160, v89 :: v_dual_mul_f32 v37, v162, v91
	v_dual_fmac_f32 v33, v159, v86 :: v_dual_fma_f32 v15, v158, v86, -v19
	s_delay_alu instid0(VALU_DEP_3) | instskip(SKIP_1) | instid1(VALU_DEP_3)
	v_dual_add_f32 v7, v7, v31 :: v_dual_add_f32 v9, v9, v17
	s_wait_loadcnt 0x4
	v_dual_mov_b32 v62, v99 :: v_dual_fmac_f32 v35, v161, v88
	s_delay_alu instid0(VALU_DEP_2) | instskip(NEXT) | instid1(VALU_DEP_3)
	v_dual_fma_f32 v17, v160, v88, -v21 :: v_dual_add_f32 v7, v7, v33
	v_dual_add_f32 v9, v9, v15 :: v_dual_fmac_f32 v37, v163, v90
	v_dual_mul_f32 v175, v144, v93 :: v_dual_mul_f32 v177, v146, v95
	s_delay_alu instid0(VALU_DEP_3) | instskip(SKIP_1) | instid1(VALU_DEP_3)
	v_dual_fma_f32 v15, v162, v90, -v23 :: v_dual_add_f32 v7, v7, v35
	s_wait_loadcnt 0x3
	v_dual_add_f32 v9, v9, v17 :: v_dual_mov_b32 v66, v103
	v_pk_mul_f32 v[60:61], v[112:113], v[96:97] op_sel:[1,1] op_sel_hi:[0,1]
	s_delay_alu instid0(VALU_DEP_3) | instskip(NEXT) | instid1(VALU_DEP_3)
	v_dual_fmac_f32 v175, v145, v92 :: v_dual_add_f32 v69, v7, v37
	v_dual_fma_f32 v174, v144, v92, -v11 :: v_dual_add_f32 v68, v9, v15
	v_fmac_f32_e32 v177, v147, v94
	s_delay_alu instid0(VALU_DEP_4)
	v_pk_fma_f32 v[70:71], v[112:113], v[96:97], v[60:61] op_sel_hi:[1,0,1]
	v_fma_f32 v176, v146, v94, -v13
	v_pk_mul_f32 v[62:63], v[166:167], v[62:63] op_sel_hi:[1,0]
	v_pk_add_f32 v[68:69], v[68:69], v[174:175]
	v_pk_fma_f32 v[60:61], v[112:113], v[96:97], v[60:61] neg_lo:[0,0,1] neg_hi:[0,0,1]
	v_pk_mul_f32 v[64:65], v[116:117], v[100:101] op_sel:[1,1] op_sel_hi:[0,1]
	v_mov_b32_e32 v61, v71
	v_pk_fma_f32 v[70:71], v[114:115], v[98:99], v[62:63] op_sel_hi:[1,0,1]
	v_pk_add_f32 v[68:69], v[68:69], v[176:177]
	v_pk_fma_f32 v[62:63], v[114:115], v[98:99], v[62:63] neg_lo:[0,0,1] neg_hi:[0,0,1]
	v_pk_fma_f32 v[74:75], v[116:117], v[100:101], v[64:65] op_sel_hi:[1,0,1]
	v_pk_mul_f32 v[66:67], v[168:169], v[66:67] op_sel_hi:[1,0]
	v_mov_b32_e32 v63, v71
	v_pk_add_f32 v[60:61], v[68:69], v[60:61]
	s_wait_loadcnt 0x2
	v_pk_mul_f32 v[72:73], v[120:121], v[104:105] op_sel:[1,1] op_sel_hi:[0,1]
	v_mov_b32_e32 v68, v107
	v_pk_fma_f32 v[64:65], v[116:117], v[100:101], v[64:65] neg_lo:[0,0,1] neg_hi:[0,0,1]
	v_pk_fma_f32 v[70:71], v[118:119], v[102:103], v[66:67] op_sel_hi:[1,0,1]
	v_mov_b32_e32 v65, v75
	v_pk_add_f32 v[60:61], v[60:61], v[62:63]
	v_pk_fma_f32 v[62:63], v[120:121], v[104:105], v[72:73] op_sel_hi:[1,0,1]
	v_pk_mul_f32 v[68:69], v[170:171], v[68:69] op_sel_hi:[1,0]
	v_pk_fma_f32 v[66:67], v[118:119], v[102:103], v[66:67] neg_lo:[0,0,1] neg_hi:[0,0,1]
	v_mov_b32_e32 v67, v71
	v_pk_add_f32 v[60:61], v[60:61], v[64:65]
	v_pk_fma_f32 v[70:71], v[120:121], v[104:105], v[72:73] neg_lo:[0,0,1] neg_hi:[0,0,1]
	v_mov_b32_e32 v71, v63
	v_pk_fma_f32 v[62:63], v[122:123], v[106:107], v[68:69] op_sel_hi:[1,0,1]
	s_wait_loadcnt 0x1
	v_pk_mul_f32 v[64:65], v[124:125], v[108:109] op_sel:[1,1] op_sel_hi:[0,1]
	v_pk_add_f32 v[60:61], v[60:61], v[66:67]
	v_mov_b32_e32 v62, v111
	v_pk_fma_f32 v[68:69], v[122:123], v[106:107], v[68:69] neg_lo:[0,0,1] neg_hi:[0,0,1]
	s_delay_alu instid0(VALU_DEP_4)
	v_pk_fma_f32 v[66:67], v[124:125], v[108:109], v[64:65] op_sel_hi:[1,0,1]
	v_mov_b32_e32 v69, v63
	v_pk_add_f32 v[60:61], v[60:61], v[70:71]
	v_pk_mul_f32 v[62:63], v[172:173], v[62:63] op_sel_hi:[1,0]
	v_pk_fma_f32 v[64:65], v[124:125], v[108:109], v[64:65] neg_lo:[0,0,1] neg_hi:[0,0,1]
	v_mov_b32_e32 v65, v67
	s_delay_alu instid0(VALU_DEP_4) | instskip(NEXT) | instid1(VALU_DEP_4)
	v_pk_add_f32 v[60:61], v[60:61], v[68:69]
	v_pk_fma_f32 v[66:67], v[126:127], v[110:111], v[62:63] op_sel_hi:[1,0,1]
	v_pk_fma_f32 v[62:63], v[126:127], v[110:111], v[62:63] neg_lo:[0,0,1] neg_hi:[0,0,1]
	s_delay_alu instid0(VALU_DEP_3) | instskip(NEXT) | instid1(VALU_DEP_3)
	v_pk_add_f32 v[60:61], v[60:61], v[64:65]
	v_mov_b32_e32 v63, v67
	s_delay_alu instid0(VALU_DEP_1) | instskip(SKIP_1) | instid1(VALU_DEP_1)
	v_pk_add_f32 v[60:61], v[60:61], v[62:63]
	s_wait_loadcnt 0x0
	v_pk_add_f32 v[60:61], v[164:165], v[60:61] neg_lo:[0,1] neg_hi:[0,1]
	scratch_store_b64 off, v[60:61], off offset:16
	s_wait_xcnt 0x0
	v_cmpx_lt_u32_e32 1, v0
	s_cbranch_execz .LBB92_185
; %bb.184:
	scratch_load_b64 v[60:61], off, off offset:8
	v_mov_b64_e32 v[62:63], 0
	scratch_store_b64 off, v[62:63], off offset:8
	s_wait_loadcnt 0x0
	ds_store_b64 v1, v[60:61]
.LBB92_185:
	s_wait_xcnt 0x0
	s_or_b32 exec_lo, exec_lo, s0
	s_wait_storecnt_dscnt 0x0
	s_barrier_signal -1
	s_barrier_wait -1
	s_clause 0xe
	scratch_load_b128 v[62:65], off, off offset:16
	scratch_load_b128 v[66:69], off, off offset:32
	;; [unrolled: 1-line block ×13, first 2 shown]
	scratch_load_b64 v[166:167], off, off offset:224
	scratch_load_b64 v[168:169], off, off offset:8
	v_dual_mov_b32 v60, 0 :: v_dual_ashrrev_i32 v15, 31, v14
	ds_load_b128 v[114:117], v60 offset:384
	ds_load_b128 v[118:121], v60 offset:400
	;; [unrolled: 1-line block ×13, first 2 shown]
	ds_load_b64 v[170:171], v60 offset:464
	v_dual_ashrrev_i32 v7, 31, v6 :: v_dual_ashrrev_i32 v9, 31, v8
	v_dual_ashrrev_i32 v11, 31, v10 :: v_dual_ashrrev_i32 v13, 31, v12
	;; [unrolled: 1-line block ×6, first 2 shown]
	s_wait_dscnt 0xc
	v_dual_mov_b32 v172, v121 :: v_dual_mov_b32 v173, v120
	v_dual_ashrrev_i32 v33, 31, v32 :: v_dual_ashrrev_i32 v35, 31, v34
	s_wait_dscnt 0x9
	v_dual_mov_b32 v174, v125 :: v_dual_mov_b32 v175, v124
	s_wait_dscnt 0x7
	v_dual_mov_b32 v176, v129 :: v_dual_mov_b32 v177, v128
	;; [unrolled: 2-line block ×3, first 2 shown]
	s_mov_b32 s0, exec_lo
	s_wait_loadcnt 0xe
	v_dual_mul_f32 v37, v134, v63 :: v_dual_mul_f32 v39, v136, v65
	v_mul_f32_e32 v59, v135, v63
	s_wait_loadcnt 0xc
	v_dual_mul_f32 v45, v142, v71 :: v_dual_mul_f32 v47, v144, v73
	s_wait_loadcnt_dscnt 0x903
	v_dual_mul_f32 v57, v154, v83 :: v_dual_mul_f32 v61, v137, v65
	v_dual_mul_f32 v180, v156, v85 :: v_dual_mul_f32 v71, v143, v71
	v_dual_fma_f32 v59, v134, v62, -v59 :: v_dual_fmac_f32 v37, v135, v62
	v_dual_fmac_f32 v39, v137, v64 :: v_dual_mul_f32 v41, v138, v67
	v_dual_mul_f32 v43, v140, v69 :: v_dual_mul_f32 v67, v139, v67
	v_dual_mul_f32 v69, v141, v69 :: v_dual_fma_f32 v61, v136, v64, -v61
	s_delay_alu instid0(VALU_DEP_4) | instskip(NEXT) | instid1(VALU_DEP_4)
	v_dual_add_f32 v37, 0, v37 :: v_dual_add_f32 v59, 0, v59
	v_fmac_f32_e32 v41, v139, v66
	s_delay_alu instid0(VALU_DEP_4) | instskip(NEXT) | instid1(VALU_DEP_3)
	v_dual_mul_f32 v64, v151, v79 :: v_dual_fma_f32 v66, v138, v66, -v67
	v_dual_add_f32 v37, v37, v39 :: v_dual_add_f32 v39, v59, v61
	v_dual_mul_f32 v59, v153, v81 :: v_dual_fma_f32 v61, v140, v68, -v69
	v_fmac_f32_e32 v43, v141, v68
	s_delay_alu instid0(VALU_DEP_3) | instskip(SKIP_3) | instid1(VALU_DEP_3)
	v_dual_add_f32 v37, v37, v41 :: v_dual_mul_f32 v41, v155, v83
	s_wait_loadcnt 0x5
	v_dual_add_f32 v39, v39, v66 :: v_dual_mul_f32 v65, v118, v99
	v_dual_mul_f32 v73, v145, v73 :: v_dual_fmac_f32 v45, v143, v70
	v_dual_fma_f32 v66, v142, v70, -v71 :: v_dual_add_f32 v37, v37, v43
	s_delay_alu instid0(VALU_DEP_3) | instskip(SKIP_3) | instid1(VALU_DEP_4)
	v_dual_add_f32 v39, v39, v61 :: v_dual_mul_f32 v49, v146, v75
	v_dual_mul_f32 v51, v148, v77 :: v_dual_mul_f32 v75, v147, v75
	v_mul_f32_e32 v62, v149, v77
	v_dual_mul_f32 v43, v157, v85 :: v_dual_fma_f32 v61, v144, v72, -v73
	v_dual_fmac_f32 v47, v145, v72 :: v_dual_add_f32 v39, v39, v66
	s_wait_dscnt 0x2
	v_dual_add_f32 v37, v37, v45 :: v_dual_mul_f32 v45, v159, v87
	v_dual_fmac_f32 v49, v147, v74 :: v_dual_fma_f32 v66, v146, v74, -v75
	s_delay_alu instid0(VALU_DEP_2) | instskip(SKIP_2) | instid1(VALU_DEP_3)
	v_dual_add_f32 v39, v39, v61 :: v_dual_add_f32 v37, v37, v47
	v_dual_mul_f32 v53, v150, v79 :: v_dual_mul_f32 v55, v152, v81
	v_dual_mul_f32 v47, v161, v89 :: v_dual_fma_f32 v61, v148, v76, -v62
	v_dual_fmac_f32 v51, v149, v76 :: v_dual_add_f32 v39, v39, v66
	s_wait_dscnt 0x1
	v_dual_add_f32 v37, v37, v49 :: v_dual_mul_f32 v49, v163, v91
	v_dual_fmac_f32 v53, v151, v78 :: v_dual_fma_f32 v62, v150, v78, -v64
	s_delay_alu instid0(VALU_DEP_2) | instskip(SKIP_1) | instid1(VALU_DEP_2)
	v_dual_add_f32 v39, v39, v61 :: v_dual_add_f32 v37, v37, v51
	v_dual_mul_f32 v51, v165, v93 :: v_dual_fma_f32 v59, v152, v80, -v59
	v_dual_fmac_f32 v55, v153, v80 :: v_dual_add_f32 v39, v39, v62
	s_delay_alu instid0(VALU_DEP_3) | instskip(SKIP_1) | instid1(VALU_DEP_3)
	v_dual_add_f32 v37, v37, v53 :: v_dual_mul_f32 v53, v115, v95
	v_fmac_f32_e32 v57, v155, v82
	v_dual_fma_f32 v41, v154, v82, -v41 :: v_dual_add_f32 v39, v39, v59
	s_delay_alu instid0(VALU_DEP_3) | instskip(SKIP_2) | instid1(VALU_DEP_4)
	v_add_f32_e32 v37, v37, v55
	v_dual_mul_f32 v181, v158, v87 :: v_dual_mul_f32 v182, v160, v89
	v_dual_mul_f32 v55, v117, v97 :: v_dual_fma_f32 v43, v156, v84, -v43
	v_dual_fmac_f32 v180, v157, v84 :: v_dual_add_f32 v39, v39, v41
	s_delay_alu instid0(VALU_DEP_4) | instskip(NEXT) | instid1(VALU_DEP_4)
	v_dual_add_f32 v37, v37, v57 :: v_dual_mul_f32 v41, v119, v99
	v_fmac_f32_e32 v181, v159, v86
	s_delay_alu instid0(VALU_DEP_3) | instskip(NEXT) | instid1(VALU_DEP_3)
	v_dual_fma_f32 v45, v158, v86, -v45 :: v_dual_add_f32 v39, v39, v43
	v_dual_add_f32 v37, v37, v180 :: v_dual_mul_f32 v183, v162, v91
	v_dual_mul_f32 v184, v164, v93 :: v_dual_mov_b32 v64, v101
	v_dual_fma_f32 v43, v160, v88, -v47 :: v_dual_fmac_f32 v182, v161, v88
	s_delay_alu instid0(VALU_DEP_4) | instskip(NEXT) | instid1(VALU_DEP_4)
	v_add_f32_e32 v39, v39, v45
	v_dual_add_f32 v37, v37, v181 :: v_dual_fmac_f32 v183, v163, v90
	v_fma_f32 v45, v162, v90, -v49
	v_dual_mul_f32 v185, v114, v95 :: v_dual_mul_f32 v63, v116, v97
	s_delay_alu instid0(VALU_DEP_3) | instskip(SKIP_2) | instid1(VALU_DEP_3)
	v_dual_add_f32 v37, v37, v182 :: v_dual_add_f32 v39, v39, v43
	s_wait_loadcnt 0x4
	v_mov_b32_e32 v68, v105
	v_dual_fmac_f32 v184, v165, v92 :: v_dual_fmac_f32 v185, v115, v94
	s_delay_alu instid0(VALU_DEP_3) | instskip(SKIP_3) | instid1(VALU_DEP_3)
	v_dual_fma_f32 v43, v164, v92, -v51 :: v_dual_add_f32 v37, v37, v183
	v_dual_add_f32 v39, v39, v45 :: v_dual_fma_f32 v45, v114, v94, -v53
	v_pk_mul_f32 v[72:73], v[172:173], v[64:65] op_sel_hi:[1,0]
	v_pk_mul_f32 v[66:67], v[122:123], v[102:103] op_sel:[1,1] op_sel_hi:[0,1]
	v_dual_add_f32 v37, v37, v184 :: v_dual_add_f32 v39, v39, v43
	v_fmac_f32_e32 v63, v117, v96
	s_wait_loadcnt 0x3
	v_dual_fma_f32 v62, v116, v96, -v55 :: v_dual_mov_b32 v76, v109
	s_delay_alu instid0(VALU_DEP_3)
	v_dual_fmac_f32 v65, v119, v98 :: v_dual_add_f32 v75, v37, v185
	v_add_f32_e32 v74, v39, v45
	v_pk_fma_f32 v[78:79], v[120:121], v[100:101], v[72:73] op_sel_hi:[1,0,1]
	v_fma_f32 v64, v118, v98, -v41
	v_pk_fma_f32 v[72:73], v[120:121], v[100:101], v[72:73] neg_lo:[0,0,1] neg_hi:[0,0,1]
	v_pk_mul_f32 v[68:69], v[174:175], v[68:69] op_sel_hi:[1,0]
	v_pk_add_f32 v[62:63], v[74:75], v[62:63]
	v_pk_fma_f32 v[74:75], v[122:123], v[102:103], v[66:67] op_sel_hi:[1,0,1]
	v_mov_b32_e32 v73, v79
	v_pk_fma_f32 v[66:67], v[122:123], v[102:103], v[66:67] neg_lo:[0,0,1] neg_hi:[0,0,1]
	v_pk_mul_f32 v[70:71], v[126:127], v[106:107] op_sel:[1,1] op_sel_hi:[0,1]
	v_pk_add_f32 v[62:63], v[62:63], v[64:65]
	v_mov_b32_e32 v67, v75
	v_pk_fma_f32 v[74:75], v[124:125], v[104:105], v[68:69] op_sel_hi:[1,0,1]
	v_pk_fma_f32 v[68:69], v[124:125], v[104:105], v[68:69] neg_lo:[0,0,1] neg_hi:[0,0,1]
	v_pk_mul_f32 v[76:77], v[176:177], v[76:77] op_sel_hi:[1,0]
	v_pk_add_f32 v[62:63], v[62:63], v[72:73]
	v_pk_fma_f32 v[72:73], v[126:127], v[106:107], v[70:71] op_sel_hi:[1,0,1]
	v_mov_b32_e32 v69, v75
	v_pk_fma_f32 v[70:71], v[126:127], v[106:107], v[70:71] neg_lo:[0,0,1] neg_hi:[0,0,1]
	s_wait_loadcnt 0x2
	v_pk_mul_f32 v[64:65], v[130:131], v[110:111] op_sel:[1,1] op_sel_hi:[0,1]
	v_pk_add_f32 v[62:63], v[62:63], v[66:67]
	v_dual_mov_b32 v66, v113 :: v_dual_mov_b32 v71, v73
	v_pk_fma_f32 v[72:73], v[128:129], v[108:109], v[76:77] op_sel_hi:[1,0,1]
	v_pk_fma_f32 v[74:75], v[128:129], v[108:109], v[76:77] neg_lo:[0,0,1] neg_hi:[0,0,1]
	s_delay_alu instid0(VALU_DEP_4) | instskip(SKIP_3) | instid1(VALU_DEP_4)
	v_pk_add_f32 v[62:63], v[62:63], v[68:69]
	v_pk_fma_f32 v[68:69], v[130:131], v[110:111], v[64:65] op_sel_hi:[1,0,1]
	v_pk_mul_f32 v[66:67], v[178:179], v[66:67] op_sel_hi:[1,0]
	v_dual_mov_b32 v75, v73 :: v_dual_ashrrev_i32 v37, 31, v36
	v_pk_add_f32 v[62:63], v[62:63], v[70:71]
	v_pk_fma_f32 v[64:65], v[130:131], v[110:111], v[64:65] neg_lo:[0,0,1] neg_hi:[0,0,1]
	v_dual_mov_b32 v65, v69 :: v_dual_ashrrev_i32 v39, 31, v38
	v_pk_fma_f32 v[68:69], v[132:133], v[112:113], v[66:67] op_sel_hi:[1,0,1]
	s_delay_alu instid0(VALU_DEP_4)
	v_pk_add_f32 v[62:63], v[62:63], v[74:75]
	s_wait_loadcnt_dscnt 0x100
	v_pk_mul_f32 v[70:71], v[170:171], v[166:167] op_sel:[1,1] op_sel_hi:[0,1]
	v_pk_fma_f32 v[66:67], v[132:133], v[112:113], v[66:67] neg_lo:[0,0,1] neg_hi:[0,0,1]
	v_dual_ashrrev_i32 v41, 31, v40 :: v_dual_mov_b32 v67, v69
	v_pk_add_f32 v[62:63], v[62:63], v[64:65]
	s_delay_alu instid0(VALU_DEP_4)
	v_pk_fma_f32 v[64:65], v[170:171], v[166:167], v[70:71] op_sel_hi:[1,0,1]
	v_pk_fma_f32 v[68:69], v[170:171], v[166:167], v[70:71] neg_lo:[0,0,1] neg_hi:[0,0,1]
	v_dual_ashrrev_i32 v43, 31, v42 :: v_dual_ashrrev_i32 v45, 31, v44
	v_ashrrev_i32_e32 v47, 31, v46
	v_pk_add_f32 v[62:63], v[62:63], v[66:67]
	v_dual_mov_b32 v69, v65 :: v_dual_ashrrev_i32 v49, 31, v48
	v_dual_ashrrev_i32 v51, 31, v50 :: v_dual_ashrrev_i32 v53, 31, v52
	v_ashrrev_i32_e32 v55, 31, v54
	s_delay_alu instid0(VALU_DEP_3) | instskip(SKIP_2) | instid1(VALU_DEP_2)
	v_pk_add_f32 v[62:63], v[62:63], v[68:69]
	v_dual_ashrrev_i32 v57, 31, v56 :: v_dual_ashrrev_i32 v59, 31, v58
	s_wait_loadcnt 0x0
	v_pk_add_f32 v[62:63], v[168:169], v[62:63] neg_lo:[0,1] neg_hi:[0,1]
	scratch_store_b64 off, v[62:63], off offset:8
	s_wait_xcnt 0x0
	v_cmpx_ne_u32_e32 0, v0
	s_cbranch_execz .LBB92_187
; %bb.186:
	scratch_load_b64 v[62:63], off, off
	v_mov_b64_e32 v[64:65], 0
	scratch_store_b64 off, v[64:65], off
	s_wait_loadcnt 0x0
	ds_store_b64 v1, v[62:63]
.LBB92_187:
	s_wait_xcnt 0x0
	s_or_b32 exec_lo, exec_lo, s0
	s_wait_storecnt_dscnt 0x0
	s_barrier_signal -1
	s_barrier_wait -1
	s_clause 0xe
	scratch_load_b128 v[62:65], off, off offset:8
	scratch_load_b128 v[66:69], off, off offset:24
	;; [unrolled: 1-line block ×14, first 2 shown]
	scratch_load_b64 v[0:1], off, off
	ds_load_2addr_b64 v[118:121], v60 offset0:51 offset1:52
	ds_load_2addr_b64 v[122:125], v60 offset0:53 offset1:54
	;; [unrolled: 1-line block ×14, first 2 shown]
	s_and_b32 vcc_lo, exec_lo, s12
	s_wait_dscnt 0xd
	v_dual_mov_b32 v60, v121 :: v_dual_mov_b32 v61, v120
	s_wait_dscnt 0xc
	v_dual_mov_b32 v174, v125 :: v_dual_mov_b32 v175, v124
	;; [unrolled: 2-line block ×4, first 2 shown]
	s_wait_loadcnt_dscnt 0xe09
	v_dual_mul_f32 v180, v134, v63 :: v_dual_mul_f32 v182, v136, v65
	v_dual_mul_f32 v63, v135, v63 :: v_dual_mul_f32 v65, v137, v65
	s_wait_loadcnt_dscnt 0xb06
	v_dual_mul_f32 v188, v146, v75 :: v_dual_mul_f32 v189, v148, v77
	v_mul_f32_e32 v75, v147, v75
	s_delay_alu instid0(VALU_DEP_3)
	v_dual_fmac_f32 v180, v135, v62 :: v_dual_fma_f32 v62, v134, v62, -v63
	v_dual_mul_f32 v184, v138, v67 :: v_dual_mul_f32 v185, v140, v69
	v_dual_mul_f32 v67, v139, v67 :: v_dual_mul_f32 v69, v141, v69
	v_mul_f32_e32 v63, v149, v77
	v_dual_fmac_f32 v182, v137, v64 :: v_dual_fma_f32 v64, v136, v64, -v65
	v_dual_add_f32 v65, 0, v180 :: v_dual_add_f32 v62, 0, v62
	s_wait_loadcnt_dscnt 0xa05
	v_mul_f32_e32 v77, v151, v79
	v_dual_fmac_f32 v184, v139, v66 :: v_dual_fma_f32 v66, v138, v66, -v67
	s_delay_alu instid0(VALU_DEP_3) | instskip(SKIP_3) | instid1(VALU_DEP_3)
	v_dual_add_f32 v65, v65, v182 :: v_dual_fma_f32 v67, v140, v68, -v69
	v_add_f32_e32 v62, v62, v64
	v_dual_mul_f32 v186, v142, v71 :: v_dual_mul_f32 v187, v144, v73
	v_dual_mul_f32 v71, v143, v71 :: v_dual_mul_f32 v73, v145, v73
	v_dual_mul_f32 v64, v153, v81 :: v_dual_add_f32 v62, v62, v66
	s_wait_loadcnt_dscnt 0x904
	v_dual_fmac_f32 v185, v141, v68 :: v_dual_mul_f32 v66, v155, v83
	v_dual_add_f32 v65, v65, v184 :: v_dual_fmac_f32 v186, v143, v70
	v_fma_f32 v68, v142, v70, -v71
	v_dual_add_f32 v62, v62, v67 :: v_dual_mul_f32 v67, v157, v85
	s_delay_alu instid0(VALU_DEP_3) | instskip(SKIP_2) | instid1(VALU_DEP_3)
	v_add_f32_e32 v65, v65, v185
	v_dual_fmac_f32 v187, v145, v72 :: v_dual_fma_f32 v69, v144, v72, -v73
	s_wait_loadcnt_dscnt 0x803
	v_dual_add_f32 v62, v62, v68 :: v_dual_mul_f32 v68, v159, v87
	v_fma_f32 v70, v146, v74, -v75
	v_add_f32_e32 v65, v65, v186
	s_delay_alu instid0(VALU_DEP_3) | instskip(SKIP_1) | instid1(VALU_DEP_3)
	v_dual_fmac_f32 v188, v147, v74 :: v_dual_add_f32 v62, v62, v69
	v_dual_fmac_f32 v189, v149, v76 :: v_dual_mul_f32 v190, v150, v79
	v_dual_mul_f32 v191, v152, v81 :: v_dual_add_f32 v65, v65, v187
	v_dual_mul_f32 v69, v161, v89 :: v_dual_fma_f32 v63, v148, v76, -v63
	s_wait_loadcnt_dscnt 0x702
	v_dual_add_f32 v62, v62, v70 :: v_dual_mul_f32 v70, v163, v91
	s_delay_alu instid0(VALU_DEP_3) | instskip(NEXT) | instid1(VALU_DEP_2)
	v_dual_fma_f32 v71, v150, v78, -v77 :: v_dual_add_f32 v65, v65, v188
	v_dual_fmac_f32 v190, v151, v78 :: v_dual_add_f32 v62, v62, v63
	v_dual_mul_f32 v72, v165, v93 :: v_dual_mul_f32 v192, v154, v83
	v_mul_f32_e32 v193, v156, v85
	s_delay_alu instid0(VALU_DEP_4)
	v_add_f32_e32 v65, v65, v189
	v_dual_fmac_f32 v191, v153, v80 :: v_dual_fma_f32 v63, v152, v80, -v64
	v_add_f32_e32 v62, v62, v71
	v_fma_f32 v66, v154, v82, -v66
	s_wait_loadcnt_dscnt 0x601
	v_dual_add_f32 v64, v65, v190 :: v_dual_mul_f32 v65, v167, v95
	s_delay_alu instid0(VALU_DEP_3) | instskip(NEXT) | instid1(VALU_DEP_2)
	v_dual_fmac_f32 v192, v155, v82 :: v_dual_add_f32 v62, v62, v63
	v_dual_mul_f32 v71, v169, v97 :: v_dual_add_f32 v64, v64, v191
	v_dual_mul_f32 v194, v158, v87 :: v_dual_mul_f32 v195, v160, v89
	v_dual_fmac_f32 v193, v157, v84 :: v_dual_fma_f32 v63, v156, v84, -v67
	s_delay_alu instid0(VALU_DEP_3) | instskip(SKIP_2) | instid1(VALU_DEP_2)
	v_dual_add_f32 v64, v64, v192 :: v_dual_add_f32 v62, v62, v66
	s_wait_loadcnt_dscnt 0x500
	v_dual_mul_f32 v73, v171, v99 :: v_dual_fma_f32 v66, v158, v86, -v68
	v_dual_fmac_f32 v194, v159, v86 :: v_dual_add_f32 v64, v64, v193
	s_delay_alu instid0(VALU_DEP_3) | instskip(SKIP_2) | instid1(VALU_DEP_3)
	v_dual_add_f32 v62, v62, v63 :: v_dual_mul_f32 v74, v173, v101
	v_dual_mul_f32 v196, v162, v91 :: v_dual_mul_f32 v197, v164, v93
	v_dual_fmac_f32 v195, v161, v88 :: v_dual_fma_f32 v67, v160, v88, -v69
	v_add_f32_e32 v66, v62, v66
	v_dual_add_f32 v64, v64, v194 :: v_dual_mul_f32 v198, v166, v95
	s_delay_alu instid0(VALU_DEP_4) | instskip(SKIP_1) | instid1(VALU_DEP_4)
	v_dual_mul_f32 v199, v168, v97 :: v_dual_fmac_f32 v196, v163, v90
	v_fma_f32 v68, v162, v90, -v70
	v_add_f32_e32 v66, v66, v67
	s_wait_loadcnt 0x4
	v_dual_add_f32 v69, v64, v195 :: v_dual_mov_b32 v64, v105
	v_dual_fma_f32 v70, v164, v92, -v72 :: v_dual_fmac_f32 v197, v165, v92
	s_delay_alu instid0(VALU_DEP_2) | instskip(SKIP_3) | instid1(VALU_DEP_4)
	v_dual_fmac_f32 v198, v167, v94 :: v_dual_add_f32 v69, v69, v196
	v_fma_f32 v65, v166, v94, -v65
	v_add_f32_e32 v68, v66, v68
	v_dual_mul_f32 v181, v170, v99 :: v_dual_mul_f32 v183, v172, v101
	v_dual_add_f32 v69, v69, v197 :: v_dual_fma_f32 v72, v168, v96, -v71
	s_wait_loadcnt 0x3
	s_delay_alu instid0(VALU_DEP_3) | instskip(SKIP_1) | instid1(VALU_DEP_3)
	v_dual_add_f32 v70, v68, v70 :: v_dual_mov_b32 v68, v109
	v_fmac_f32_e32 v199, v169, v96
	v_add_f32_e32 v69, v69, v198
	v_pk_mul_f32 v[62:63], v[118:119], v[102:103] op_sel:[1,1] op_sel_hi:[0,1]
	s_delay_alu instid0(VALU_DEP_4) | instskip(NEXT) | instid1(VALU_DEP_3)
	v_dual_add_f32 v65, v70, v65 :: v_dual_fmac_f32 v181, v171, v98
	v_dual_fma_f32 v180, v170, v98, -v73 :: v_dual_add_f32 v73, v69, v199
	v_dual_fmac_f32 v183, v173, v100 :: v_dual_fma_f32 v182, v172, v100, -v74
	s_delay_alu instid0(VALU_DEP_3)
	v_add_f32_e32 v72, v65, v72
	v_pk_fma_f32 v[74:75], v[118:119], v[102:103], v[62:63] op_sel_hi:[1,0,1]
	v_pk_mul_f32 v[60:61], v[60:61], v[64:65] op_sel_hi:[1,0]
	v_pk_fma_f32 v[62:63], v[118:119], v[102:103], v[62:63] neg_lo:[0,0,1] neg_hi:[0,0,1]
	v_pk_mul_f32 v[66:67], v[122:123], v[106:107] op_sel:[1,1] op_sel_hi:[0,1]
	v_pk_add_f32 v[64:65], v[72:73], v[180:181]
	s_wait_loadcnt 0x2
	v_dual_mov_b32 v72, v113 :: v_dual_mov_b32 v63, v75
	v_pk_fma_f32 v[74:75], v[120:121], v[104:105], v[60:61] op_sel_hi:[1,0,1]
	v_pk_fma_f32 v[60:61], v[120:121], v[104:105], v[60:61] neg_lo:[0,0,1] neg_hi:[0,0,1]
	v_pk_add_f32 v[64:65], v[64:65], v[182:183]
	v_pk_fma_f32 v[76:77], v[122:123], v[106:107], v[66:67] op_sel_hi:[1,0,1]
	v_pk_mul_f32 v[68:69], v[174:175], v[68:69] op_sel_hi:[1,0]
	v_mov_b32_e32 v61, v75
	v_pk_fma_f32 v[66:67], v[122:123], v[106:107], v[66:67] neg_lo:[0,0,1] neg_hi:[0,0,1]
	v_pk_add_f32 v[62:63], v[64:65], v[62:63]
	v_pk_mul_f32 v[70:71], v[126:127], v[110:111] op_sel:[1,1] op_sel_hi:[0,1]
	v_mov_b32_e32 v67, v77
	v_pk_fma_f32 v[74:75], v[124:125], v[108:109], v[68:69] op_sel_hi:[1,0,1]
	v_pk_fma_f32 v[68:69], v[124:125], v[108:109], v[68:69] neg_lo:[0,0,1] neg_hi:[0,0,1]
	v_pk_add_f32 v[60:61], v[62:63], v[60:61]
	v_pk_fma_f32 v[62:63], v[126:127], v[110:111], v[70:71] op_sel_hi:[1,0,1]
	v_pk_mul_f32 v[72:73], v[176:177], v[72:73] op_sel_hi:[1,0]
	s_wait_loadcnt 0x1
	v_dual_mov_b32 v69, v75 :: v_dual_mov_b32 v62, v117
	v_pk_add_f32 v[60:61], v[60:61], v[66:67]
	v_pk_fma_f32 v[66:67], v[126:127], v[110:111], v[70:71] neg_lo:[0,0,1] neg_hi:[0,0,1]
	v_pk_mul_f32 v[64:65], v[130:131], v[114:115] op_sel:[1,1] op_sel_hi:[0,1]
	v_pk_fma_f32 v[70:71], v[128:129], v[112:113], v[72:73] op_sel_hi:[1,0,1]
	v_mov_b32_e32 v67, v63
	v_pk_add_f32 v[60:61], v[60:61], v[68:69]
	v_pk_fma_f32 v[72:73], v[128:129], v[112:113], v[72:73] neg_lo:[0,0,1] neg_hi:[0,0,1]
	v_pk_fma_f32 v[68:69], v[130:131], v[114:115], v[64:65] op_sel_hi:[1,0,1]
	v_pk_mul_f32 v[62:63], v[178:179], v[62:63] op_sel_hi:[1,0]
	v_mov_b32_e32 v73, v71
	v_pk_add_f32 v[60:61], v[60:61], v[66:67]
	v_pk_fma_f32 v[64:65], v[130:131], v[114:115], v[64:65] neg_lo:[0,0,1] neg_hi:[0,0,1]
	s_delay_alu instid0(VALU_DEP_4) | instskip(SKIP_1) | instid1(VALU_DEP_4)
	v_pk_fma_f32 v[66:67], v[132:133], v[116:117], v[62:63] op_sel_hi:[1,0,1]
	v_mov_b32_e32 v65, v69
	v_pk_add_f32 v[60:61], v[60:61], v[72:73]
	v_pk_fma_f32 v[62:63], v[132:133], v[116:117], v[62:63] neg_lo:[0,0,1] neg_hi:[0,0,1]
	s_delay_alu instid0(VALU_DEP_4) | instskip(NEXT) | instid1(VALU_DEP_3)
	v_mov_b32_e32 v63, v67
	v_pk_add_f32 v[60:61], v[60:61], v[64:65]
	s_delay_alu instid0(VALU_DEP_1) | instskip(SKIP_1) | instid1(VALU_DEP_1)
	v_pk_add_f32 v[60:61], v[60:61], v[62:63]
	s_wait_loadcnt 0x0
	v_pk_add_f32 v[60:61], v[0:1], v[60:61] neg_lo:[0,1] neg_hi:[0,1]
	scratch_store_b64 off, v[60:61], off
	s_cbranch_vccz .LBB92_244
; %bb.188:
	v_mov_b32_e32 v0, 0
	global_load_b32 v1, v0, s[8:9] offset:108
	s_wait_loadcnt 0x0
	v_cmp_ne_u32_e32 vcc_lo, 28, v1
	s_cbranch_vccz .LBB92_190
; %bb.189:
	v_lshlrev_b32_e32 v1, 3, v1
	scratch_load_b64 v[60:61], v1, off offset:-8
	scratch_load_b64 v[62:63], off, off offset:216
	s_wait_loadcnt 0x1
	scratch_store_b64 off, v[60:61], off offset:216
	s_wait_loadcnt 0x0
	scratch_store_b64 v1, v[62:63], off offset:-8
.LBB92_190:
	global_load_b32 v0, v0, s[8:9] offset:104
	s_wait_loadcnt 0x0
	v_cmp_eq_u32_e32 vcc_lo, 27, v0
	s_cbranch_vccnz .LBB92_192
; %bb.191:
	s_wait_xcnt 0x0
	v_lshlrev_b32_e32 v0, 3, v0
	s_delay_alu instid0(VALU_DEP_1)
	v_mov_b32_e32 v62, v0
	scratch_load_b64 v[0:1], v62, off offset:-8
	scratch_load_b64 v[60:61], off, off offset:208
	s_wait_loadcnt 0x1
	scratch_store_b64 off, v[0:1], off offset:208
	s_wait_loadcnt 0x0
	scratch_store_b64 v62, v[60:61], off offset:-8
.LBB92_192:
	s_wait_xcnt 0x0
	v_mov_b32_e32 v0, 0
	global_load_b32 v1, v0, s[8:9] offset:100
	s_wait_loadcnt 0x0
	v_cmp_eq_u32_e32 vcc_lo, 26, v1
	s_cbranch_vccnz .LBB92_194
; %bb.193:
	v_lshlrev_b32_e32 v1, 3, v1
	scratch_load_b64 v[60:61], v1, off offset:-8
	scratch_load_b64 v[62:63], off, off offset:200
	s_wait_loadcnt 0x1
	scratch_store_b64 off, v[60:61], off offset:200
	s_wait_loadcnt 0x0
	scratch_store_b64 v1, v[62:63], off offset:-8
.LBB92_194:
	global_load_b32 v0, v0, s[8:9] offset:96
	s_wait_loadcnt 0x0
	v_cmp_eq_u32_e32 vcc_lo, 25, v0
	s_cbranch_vccnz .LBB92_196
; %bb.195:
	s_wait_xcnt 0x0
	v_lshlrev_b32_e32 v0, 3, v0
	s_delay_alu instid0(VALU_DEP_1)
	v_mov_b32_e32 v62, v0
	scratch_load_b64 v[0:1], v62, off offset:-8
	scratch_load_b64 v[60:61], off, off offset:192
	s_wait_loadcnt 0x1
	scratch_store_b64 off, v[0:1], off offset:192
	s_wait_loadcnt 0x0
	scratch_store_b64 v62, v[60:61], off offset:-8
.LBB92_196:
	s_wait_xcnt 0x0
	v_mov_b32_e32 v0, 0
	global_load_b32 v1, v0, s[8:9] offset:92
	s_wait_loadcnt 0x0
	v_cmp_eq_u32_e32 vcc_lo, 24, v1
	s_cbranch_vccnz .LBB92_198
; %bb.197:
	v_lshlrev_b32_e32 v1, 3, v1
	scratch_load_b64 v[60:61], v1, off offset:-8
	scratch_load_b64 v[62:63], off, off offset:184
	s_wait_loadcnt 0x1
	scratch_store_b64 off, v[60:61], off offset:184
	s_wait_loadcnt 0x0
	scratch_store_b64 v1, v[62:63], off offset:-8
.LBB92_198:
	;; [unrolled: 31-line block ×13, first 2 shown]
	global_load_b32 v0, v0, s[8:9]
	scratch_load_b64 v[60:61], off, off
	s_wait_loadcnt 0x1
	v_cmp_eq_u32_e32 vcc_lo, 1, v0
	s_cbranch_vccnz .LBB92_244
; %bb.243:
	s_wait_xcnt 0x1
	v_lshlrev_b32_e32 v0, 3, v0
	s_delay_alu instid0(VALU_DEP_1)
	v_mov_b32_e32 v62, v0
	scratch_load_b64 v[0:1], v62, off offset:-8
	s_wait_loadcnt 0x0
	scratch_store_b64 off, v[0:1], off
	scratch_store_b64 v62, v[60:61], off offset:-8
	scratch_load_b64 v[60:61], off, off
.LBB92_244:
	s_wait_loadcnt 0x0
	flat_store_b64 v[2:3], v[60:61]
	scratch_load_b64 v[2:3], off, off offset:8
	v_lshl_add_u64 v[86:87], v[6:7], 3, s[2:3]
	v_lshl_add_u64 v[84:85], v[8:9], 3, s[2:3]
	;; [unrolled: 1-line block ×27, first 2 shown]
	s_wait_loadcnt 0x0
	flat_store_b64 v[4:5], v[2:3]
	scratch_load_b64 v[2:3], off, off offset:16
	s_wait_loadcnt 0x0
	flat_store_b64 v[86:87], v[2:3]
	scratch_load_b64 v[2:3], off, off offset:24
	;; [unrolled: 3-line block ×27, first 2 shown]
	s_wait_loadcnt 0x0
	flat_store_b64 v[0:1], v[2:3]
	s_sendmsg sendmsg(MSG_DEALLOC_VGPRS)
	s_endpgm
	.section	.rodata,"a",@progbits
	.p2align	6, 0x0
	.amdhsa_kernel _ZN9rocsolver6v33100L18getri_kernel_smallILi29E19rocblas_complex_numIfEPKPS3_EEvT1_iilPiilS8_bb
		.amdhsa_group_segment_fixed_size 472
		.amdhsa_private_segment_fixed_size 240
		.amdhsa_kernarg_size 60
		.amdhsa_user_sgpr_count 2
		.amdhsa_user_sgpr_dispatch_ptr 0
		.amdhsa_user_sgpr_queue_ptr 0
		.amdhsa_user_sgpr_kernarg_segment_ptr 1
		.amdhsa_user_sgpr_dispatch_id 0
		.amdhsa_user_sgpr_kernarg_preload_length 0
		.amdhsa_user_sgpr_kernarg_preload_offset 0
		.amdhsa_user_sgpr_private_segment_size 0
		.amdhsa_wavefront_size32 1
		.amdhsa_uses_dynamic_stack 0
		.amdhsa_enable_private_segment 1
		.amdhsa_system_sgpr_workgroup_id_x 1
		.amdhsa_system_sgpr_workgroup_id_y 0
		.amdhsa_system_sgpr_workgroup_id_z 0
		.amdhsa_system_sgpr_workgroup_info 0
		.amdhsa_system_vgpr_workitem_id 0
		.amdhsa_next_free_vgpr 200
		.amdhsa_next_free_sgpr 19
		.amdhsa_named_barrier_count 0
		.amdhsa_reserve_vcc 1
		.amdhsa_float_round_mode_32 0
		.amdhsa_float_round_mode_16_64 0
		.amdhsa_float_denorm_mode_32 3
		.amdhsa_float_denorm_mode_16_64 3
		.amdhsa_fp16_overflow 0
		.amdhsa_memory_ordered 1
		.amdhsa_forward_progress 1
		.amdhsa_inst_pref_size 255
		.amdhsa_round_robin_scheduling 0
		.amdhsa_exception_fp_ieee_invalid_op 0
		.amdhsa_exception_fp_denorm_src 0
		.amdhsa_exception_fp_ieee_div_zero 0
		.amdhsa_exception_fp_ieee_overflow 0
		.amdhsa_exception_fp_ieee_underflow 0
		.amdhsa_exception_fp_ieee_inexact 0
		.amdhsa_exception_int_div_zero 0
	.end_amdhsa_kernel
	.section	.text._ZN9rocsolver6v33100L18getri_kernel_smallILi29E19rocblas_complex_numIfEPKPS3_EEvT1_iilPiilS8_bb,"axG",@progbits,_ZN9rocsolver6v33100L18getri_kernel_smallILi29E19rocblas_complex_numIfEPKPS3_EEvT1_iilPiilS8_bb,comdat
.Lfunc_end92:
	.size	_ZN9rocsolver6v33100L18getri_kernel_smallILi29E19rocblas_complex_numIfEPKPS3_EEvT1_iilPiilS8_bb, .Lfunc_end92-_ZN9rocsolver6v33100L18getri_kernel_smallILi29E19rocblas_complex_numIfEPKPS3_EEvT1_iilPiilS8_bb
                                        ; -- End function
	.set _ZN9rocsolver6v33100L18getri_kernel_smallILi29E19rocblas_complex_numIfEPKPS3_EEvT1_iilPiilS8_bb.num_vgpr, 200
	.set _ZN9rocsolver6v33100L18getri_kernel_smallILi29E19rocblas_complex_numIfEPKPS3_EEvT1_iilPiilS8_bb.num_agpr, 0
	.set _ZN9rocsolver6v33100L18getri_kernel_smallILi29E19rocblas_complex_numIfEPKPS3_EEvT1_iilPiilS8_bb.numbered_sgpr, 19
	.set _ZN9rocsolver6v33100L18getri_kernel_smallILi29E19rocblas_complex_numIfEPKPS3_EEvT1_iilPiilS8_bb.num_named_barrier, 0
	.set _ZN9rocsolver6v33100L18getri_kernel_smallILi29E19rocblas_complex_numIfEPKPS3_EEvT1_iilPiilS8_bb.private_seg_size, 240
	.set _ZN9rocsolver6v33100L18getri_kernel_smallILi29E19rocblas_complex_numIfEPKPS3_EEvT1_iilPiilS8_bb.uses_vcc, 1
	.set _ZN9rocsolver6v33100L18getri_kernel_smallILi29E19rocblas_complex_numIfEPKPS3_EEvT1_iilPiilS8_bb.uses_flat_scratch, 1
	.set _ZN9rocsolver6v33100L18getri_kernel_smallILi29E19rocblas_complex_numIfEPKPS3_EEvT1_iilPiilS8_bb.has_dyn_sized_stack, 0
	.set _ZN9rocsolver6v33100L18getri_kernel_smallILi29E19rocblas_complex_numIfEPKPS3_EEvT1_iilPiilS8_bb.has_recursion, 0
	.set _ZN9rocsolver6v33100L18getri_kernel_smallILi29E19rocblas_complex_numIfEPKPS3_EEvT1_iilPiilS8_bb.has_indirect_call, 0
	.section	.AMDGPU.csdata,"",@progbits
; Kernel info:
; codeLenInByte = 38524
; TotalNumSgprs: 21
; NumVgprs: 200
; ScratchSize: 240
; MemoryBound: 0
; FloatMode: 240
; IeeeMode: 1
; LDSByteSize: 472 bytes/workgroup (compile time only)
; SGPRBlocks: 0
; VGPRBlocks: 12
; NumSGPRsForWavesPerEU: 21
; NumVGPRsForWavesPerEU: 200
; NamedBarCnt: 0
; Occupancy: 4
; WaveLimiterHint : 1
; COMPUTE_PGM_RSRC2:SCRATCH_EN: 1
; COMPUTE_PGM_RSRC2:USER_SGPR: 2
; COMPUTE_PGM_RSRC2:TRAP_HANDLER: 0
; COMPUTE_PGM_RSRC2:TGID_X_EN: 1
; COMPUTE_PGM_RSRC2:TGID_Y_EN: 0
; COMPUTE_PGM_RSRC2:TGID_Z_EN: 0
; COMPUTE_PGM_RSRC2:TIDIG_COMP_CNT: 0
	.section	.text._ZN9rocsolver6v33100L18getri_kernel_smallILi30E19rocblas_complex_numIfEPKPS3_EEvT1_iilPiilS8_bb,"axG",@progbits,_ZN9rocsolver6v33100L18getri_kernel_smallILi30E19rocblas_complex_numIfEPKPS3_EEvT1_iilPiilS8_bb,comdat
	.globl	_ZN9rocsolver6v33100L18getri_kernel_smallILi30E19rocblas_complex_numIfEPKPS3_EEvT1_iilPiilS8_bb ; -- Begin function _ZN9rocsolver6v33100L18getri_kernel_smallILi30E19rocblas_complex_numIfEPKPS3_EEvT1_iilPiilS8_bb
	.p2align	8
	.type	_ZN9rocsolver6v33100L18getri_kernel_smallILi30E19rocblas_complex_numIfEPKPS3_EEvT1_iilPiilS8_bb,@function
_ZN9rocsolver6v33100L18getri_kernel_smallILi30E19rocblas_complex_numIfEPKPS3_EEvT1_iilPiilS8_bb: ; @_ZN9rocsolver6v33100L18getri_kernel_smallILi30E19rocblas_complex_numIfEPKPS3_EEvT1_iilPiilS8_bb
; %bb.0:
	s_mov_b32 s2, exec_lo
	v_cmpx_gt_u32_e32 30, v0
	s_cbranch_execz .LBB93_134
; %bb.1:
	s_clause 0x1
	s_load_b32 s13, s[0:1], 0x38
	s_load_b64 s[2:3], s[0:1], 0x0
	s_getreg_b32 s6, hwreg(HW_REG_IB_STS2, 6, 4)
	s_wait_kmcnt 0x0
	s_bitcmp1_b32 s13, 8
	s_cselect_b32 s12, -1, 0
	s_bfe_u32 s4, ttmp6, 0x4000c
	s_and_b32 s5, ttmp6, 15
	s_add_co_i32 s4, s4, 1
	s_delay_alu instid0(SALU_CYCLE_1) | instskip(NEXT) | instid1(SALU_CYCLE_1)
	s_mul_i32 s4, ttmp9, s4
	s_add_co_i32 s5, s5, s4
	s_cmp_eq_u32 s6, 0
	s_cselect_b32 s10, ttmp9, s5
	s_load_b128 s[4:7], s[0:1], 0x28
	s_ashr_i32 s11, s10, 31
	s_delay_alu instid0(SALU_CYCLE_1) | instskip(NEXT) | instid1(SALU_CYCLE_1)
	s_lshl_b64 s[8:9], s[10:11], 3
	s_add_nc_u64 s[2:3], s[2:3], s[8:9]
	s_bfe_u32 s8, s13, 0x10008
	s_load_b64 s[2:3], s[2:3], 0x0
	s_cmp_eq_u32 s8, 0
                                        ; implicit-def: $sgpr8_sgpr9
	s_cbranch_scc1 .LBB93_3
; %bb.2:
	s_load_b96 s[16:18], s[0:1], 0x18
	s_wait_kmcnt 0x0
	s_mul_u64 s[4:5], s[4:5], s[10:11]
	s_delay_alu instid0(SALU_CYCLE_1) | instskip(SKIP_4) | instid1(SALU_CYCLE_1)
	s_lshl_b64 s[4:5], s[4:5], 2
	s_ashr_i32 s9, s18, 31
	s_mov_b32 s8, s18
	s_add_nc_u64 s[4:5], s[16:17], s[4:5]
	s_lshl_b64 s[8:9], s[8:9], 2
	s_add_nc_u64 s[8:9], s[4:5], s[8:9]
.LBB93_3:
	s_wait_kmcnt 0x0
	s_clause 0x1
	s_load_b64 s[4:5], s[0:1], 0x8
	s_load_b32 s13, s[0:1], 0x38
	v_dual_mov_b32 v63, 0 :: v_dual_lshlrev_b32 v62, 3, v0
	s_wait_kmcnt 0x0
	s_ashr_i32 s1, s4, 31
	s_mov_b32 s0, s4
	s_delay_alu instid0(SALU_CYCLE_1) | instskip(NEXT) | instid1(SALU_CYCLE_1)
	s_lshl_b64 s[0:1], s[0:1], 3
	s_add_nc_u64 s[2:3], s[2:3], s[0:1]
	s_ashr_i32 s1, s5, 31
	flat_load_b64 v[6:7], v0, s[2:3] scale_offset
	v_add_nc_u64_e32 v[2:3], s[2:3], v[62:63]
	s_mov_b32 s0, s5
	s_bitcmp0_b32 s13, 0
	s_delay_alu instid0(VALU_DEP_1)
	v_lshl_add_u64 v[4:5], s[0:1], 3, v[2:3]
	s_mov_b32 s1, -1
	s_wait_loadcnt_dscnt 0x0
	scratch_store_b64 off, v[6:7], off
	flat_load_b64 v[8:9], v[4:5]
	s_wait_xcnt 0x1
	v_add3_u32 v6, s5, s5, v0
	s_wait_loadcnt_dscnt 0x0
	scratch_store_b64 off, v[8:9], off offset:8
	flat_load_b64 v[10:11], v6, s[2:3] scale_offset
	s_wait_xcnt 0x1
	v_add_nc_u32_e32 v8, s5, v6
	s_wait_loadcnt_dscnt 0x0
	scratch_store_b64 off, v[10:11], off offset:16
	flat_load_b64 v[12:13], v8, s[2:3] scale_offset
	s_wait_xcnt 0x1
	v_add_nc_u32_e32 v10, s5, v8
	;; [unrolled: 5-line block ×27, first 2 shown]
	s_wait_loadcnt_dscnt 0x0
	scratch_store_b64 off, v[64:65], off offset:224
	flat_load_b64 v[64:65], v60, s[2:3] scale_offset
	s_wait_loadcnt_dscnt 0x0
	scratch_store_b64 off, v[64:65], off offset:232
	s_cbranch_scc1 .LBB93_132
; %bb.4:
	v_cmp_eq_u32_e64 s0, 0, v0
	s_wait_xcnt 0x0
	s_and_saveexec_b32 s1, s0
; %bb.5:
	v_mov_b32_e32 v1, 0
	ds_store_b32 v1, v1 offset:480
; %bb.6:
	s_or_b32 exec_lo, exec_lo, s1
	s_wait_storecnt_dscnt 0x0
	s_barrier_signal -1
	s_barrier_wait -1
	scratch_load_b64 v[64:65], v0, off scale_offset
	s_wait_loadcnt 0x0
	v_cmp_eq_f32_e32 vcc_lo, 0, v64
	v_cmp_eq_f32_e64 s1, 0, v65
	s_and_b32 s1, vcc_lo, s1
	s_delay_alu instid0(SALU_CYCLE_1)
	s_and_saveexec_b32 s4, s1
	s_cbranch_execz .LBB93_10
; %bb.7:
	v_mov_b32_e32 v1, 0
	s_mov_b32 s5, 0
	ds_load_b32 v7, v1 offset:480
	s_wait_dscnt 0x0
	v_readfirstlane_b32 s1, v7
	v_add_nc_u32_e32 v7, 1, v0
	s_cmp_eq_u32 s1, 0
	s_delay_alu instid0(VALU_DEP_1) | instskip(SKIP_1) | instid1(SALU_CYCLE_1)
	v_cmp_gt_i32_e32 vcc_lo, s1, v7
	s_cselect_b32 s13, -1, 0
	s_or_b32 s13, s13, vcc_lo
	s_delay_alu instid0(SALU_CYCLE_1)
	s_and_b32 exec_lo, exec_lo, s13
	s_cbranch_execz .LBB93_10
; %bb.8:
	v_mov_b32_e32 v9, s1
.LBB93_9:                               ; =>This Inner Loop Header: Depth=1
	ds_cmpstore_rtn_b32 v9, v1, v7, v9 offset:480
	s_wait_dscnt 0x0
	v_cmp_ne_u32_e32 vcc_lo, 0, v9
	v_cmp_le_i32_e64 s1, v9, v7
	s_and_b32 s1, vcc_lo, s1
	s_delay_alu instid0(SALU_CYCLE_1) | instskip(NEXT) | instid1(SALU_CYCLE_1)
	s_and_b32 s1, exec_lo, s1
	s_or_b32 s5, s1, s5
	s_delay_alu instid0(SALU_CYCLE_1)
	s_and_not1_b32 exec_lo, exec_lo, s5
	s_cbranch_execnz .LBB93_9
.LBB93_10:
	s_or_b32 exec_lo, exec_lo, s4
	v_mov_b32_e32 v1, 0
	s_barrier_signal -1
	s_barrier_wait -1
	ds_load_b32 v7, v1 offset:480
	s_and_saveexec_b32 s1, s0
	s_cbranch_execz .LBB93_12
; %bb.11:
	s_lshl_b64 s[4:5], s[10:11], 2
	s_delay_alu instid0(SALU_CYCLE_1)
	s_add_nc_u64 s[4:5], s[6:7], s[4:5]
	s_wait_dscnt 0x0
	global_store_b32 v1, v7, s[4:5]
.LBB93_12:
	s_wait_xcnt 0x0
	s_or_b32 exec_lo, exec_lo, s1
	s_wait_dscnt 0x0
	v_cmp_ne_u32_e32 vcc_lo, 0, v7
	s_mov_b32 s1, 0
	s_cbranch_vccnz .LBB93_132
; %bb.13:
	v_lshl_add_u32 v7, v0, 3, 0
                                        ; implicit-def: $vgpr67
                                        ; implicit-def: $vgpr68
	scratch_load_b64 v[64:65], v7, off
	s_wait_loadcnt 0x0
	v_cmp_ngt_f32_e64 s1, |v64|, |v65|
	s_wait_xcnt 0x0
	s_and_saveexec_b32 s4, s1
	s_delay_alu instid0(SALU_CYCLE_1)
	s_xor_b32 s1, exec_lo, s4
	s_cbranch_execz .LBB93_15
; %bb.14:
	v_div_scale_f32 v1, null, v65, v65, v64
	v_div_scale_f32 v13, vcc_lo, v64, v65, v64
	s_delay_alu instid0(VALU_DEP_2) | instskip(SKIP_1) | instid1(TRANS32_DEP_1)
	v_rcp_f32_e32 v9, v1
	v_nop
	v_fma_f32 v11, -v1, v9, 1.0
	s_delay_alu instid0(VALU_DEP_1) | instskip(NEXT) | instid1(VALU_DEP_1)
	v_fmac_f32_e32 v9, v11, v9
	v_mul_f32_e32 v11, v13, v9
	s_delay_alu instid0(VALU_DEP_1) | instskip(NEXT) | instid1(VALU_DEP_1)
	v_fma_f32 v15, -v1, v11, v13
	v_fmac_f32_e32 v11, v15, v9
	s_delay_alu instid0(VALU_DEP_1) | instskip(NEXT) | instid1(VALU_DEP_1)
	v_fma_f32 v1, -v1, v11, v13
	v_div_fmas_f32 v1, v1, v9, v11
	s_delay_alu instid0(VALU_DEP_1) | instskip(NEXT) | instid1(VALU_DEP_1)
	v_div_fixup_f32 v1, v1, v65, v64
	v_fmac_f32_e32 v65, v64, v1
	s_delay_alu instid0(VALU_DEP_1) | instskip(NEXT) | instid1(VALU_DEP_1)
	v_div_scale_f32 v9, null, v65, v65, -1.0
	v_rcp_f32_e32 v11, v9
	v_nop
	s_delay_alu instid0(TRANS32_DEP_1) | instskip(NEXT) | instid1(VALU_DEP_1)
	v_fma_f32 v13, -v9, v11, 1.0
	v_fmac_f32_e32 v11, v13, v11
	v_div_scale_f32 v13, vcc_lo, -1.0, v65, -1.0
	s_delay_alu instid0(VALU_DEP_1) | instskip(NEXT) | instid1(VALU_DEP_1)
	v_mul_f32_e32 v15, v13, v11
	v_fma_f32 v17, -v9, v15, v13
	s_delay_alu instid0(VALU_DEP_1) | instskip(NEXT) | instid1(VALU_DEP_1)
	v_fmac_f32_e32 v15, v17, v11
	v_fma_f32 v9, -v9, v15, v13
	s_delay_alu instid0(VALU_DEP_1) | instskip(NEXT) | instid1(VALU_DEP_1)
	v_div_fmas_f32 v9, v9, v11, v15
	v_div_fixup_f32 v67, v9, v65, -1.0
                                        ; implicit-def: $vgpr64_vgpr65
	s_delay_alu instid0(VALU_DEP_1) | instskip(NEXT) | instid1(VALU_DEP_1)
	v_mul_f32_e32 v68, v1, v67
	v_xor_b32_e32 v66, 0x80000000, v68
.LBB93_15:
	s_and_not1_saveexec_b32 s1, s1
	s_cbranch_execz .LBB93_17
; %bb.16:
	v_div_scale_f32 v1, null, v64, v64, v65
	v_div_scale_f32 v13, vcc_lo, v65, v64, v65
	s_delay_alu instid0(VALU_DEP_2) | instskip(SKIP_1) | instid1(TRANS32_DEP_1)
	v_rcp_f32_e32 v9, v1
	v_nop
	v_fma_f32 v11, -v1, v9, 1.0
	s_delay_alu instid0(VALU_DEP_1) | instskip(NEXT) | instid1(VALU_DEP_1)
	v_fmac_f32_e32 v9, v11, v9
	v_mul_f32_e32 v11, v13, v9
	s_delay_alu instid0(VALU_DEP_1) | instskip(NEXT) | instid1(VALU_DEP_1)
	v_fma_f32 v15, -v1, v11, v13
	v_fmac_f32_e32 v11, v15, v9
	s_delay_alu instid0(VALU_DEP_1) | instskip(NEXT) | instid1(VALU_DEP_1)
	v_fma_f32 v1, -v1, v11, v13
	v_div_fmas_f32 v1, v1, v9, v11
	s_delay_alu instid0(VALU_DEP_1) | instskip(NEXT) | instid1(VALU_DEP_1)
	v_div_fixup_f32 v1, v1, v64, v65
	v_fmac_f32_e32 v64, v65, v1
	s_delay_alu instid0(VALU_DEP_1) | instskip(SKIP_1) | instid1(VALU_DEP_2)
	v_div_scale_f32 v9, null, v64, v64, 1.0
	v_div_scale_f32 v15, vcc_lo, 1.0, v64, 1.0
	v_rcp_f32_e32 v11, v9
	v_nop
	s_delay_alu instid0(TRANS32_DEP_1) | instskip(NEXT) | instid1(VALU_DEP_1)
	v_fma_f32 v13, -v9, v11, 1.0
	v_fmac_f32_e32 v11, v13, v11
	s_delay_alu instid0(VALU_DEP_1) | instskip(NEXT) | instid1(VALU_DEP_1)
	v_mul_f32_e32 v13, v15, v11
	v_fma_f32 v17, -v9, v13, v15
	s_delay_alu instid0(VALU_DEP_1) | instskip(NEXT) | instid1(VALU_DEP_1)
	v_fmac_f32_e32 v13, v17, v11
	v_fma_f32 v9, -v9, v13, v15
	s_delay_alu instid0(VALU_DEP_1) | instskip(NEXT) | instid1(VALU_DEP_1)
	v_div_fmas_f32 v9, v9, v11, v13
	v_div_fixup_f32 v66, v9, v64, 1.0
	s_delay_alu instid0(VALU_DEP_1)
	v_xor_b32_e32 v68, 0x80000000, v66
	v_mul_f32_e64 v67, v1, -v66
.LBB93_17:
	s_or_b32 exec_lo, exec_lo, s1
	scratch_store_b64 v7, v[66:67], off
	scratch_load_b64 v[64:65], off, off offset:8
	v_xor_b32_e32 v69, 0x80000000, v67
	v_add_nc_u32_e32 v1, 0xf0, v62
	s_wait_loadcnt 0x0
	ds_store_2addr_b64 v62, v[68:69], v[64:65] offset1:30
	s_wait_storecnt_dscnt 0x0
	s_barrier_signal -1
	s_barrier_wait -1
	s_wait_xcnt 0x0
	s_and_saveexec_b32 s1, s0
	s_cbranch_execz .LBB93_19
; %bb.18:
	scratch_load_b64 v[64:65], v7, off
	ds_load_b64 v[66:67], v1
	s_wait_loadcnt_dscnt 0x0
	v_pk_mul_f32 v[70:71], v[66:67], v[64:65] op_sel:[1,1] op_sel_hi:[0,1]
	s_delay_alu instid0(VALU_DEP_1) | instskip(SKIP_2) | instid1(VALU_DEP_3)
	v_pk_fma_f32 v[72:73], v[66:67], v[64:65], v[70:71] op_sel_hi:[1,0,1]
	v_mov_b32_e32 v9, 0
	v_pk_fma_f32 v[64:65], v[66:67], v[64:65], v[70:71] neg_lo:[0,0,1] neg_hi:[0,0,1]
	v_mov_b32_e32 v65, v73
	ds_load_b64 v[68:69], v9 offset:8
	v_pk_add_f32 v[64:65], v[64:65], 0 op_sel_hi:[1,0]
	s_wait_dscnt 0x0
	s_delay_alu instid0(VALU_DEP_1) | instskip(NEXT) | instid1(VALU_DEP_1)
	v_pk_mul_f32 v[66:67], v[64:65], v[68:69] op_sel:[1,1] op_sel_hi:[0,1]
	v_pk_fma_f32 v[70:71], v[64:65], v[68:69], v[66:67] op_sel_hi:[1,0,1]
	v_pk_fma_f32 v[64:65], v[64:65], v[68:69], v[66:67] neg_lo:[0,0,1] neg_hi:[0,0,1]
	s_delay_alu instid0(VALU_DEP_2)
	v_mov_b32_e32 v65, v71
	scratch_store_b64 off, v[64:65], off offset:8
.LBB93_19:
	s_wait_xcnt 0x0
	s_or_b32 exec_lo, exec_lo, s1
	s_wait_storecnt 0x0
	s_barrier_signal -1
	s_barrier_wait -1
	scratch_load_b64 v[64:65], off, off offset:16
	s_mov_b32 s1, exec_lo
	s_wait_loadcnt 0x0
	ds_store_b64 v1, v[64:65]
	s_wait_dscnt 0x0
	s_barrier_signal -1
	s_barrier_wait -1
	v_cmpx_gt_u32_e32 2, v0
	s_cbranch_execz .LBB93_23
; %bb.20:
	scratch_load_b64 v[64:65], v7, off
	ds_load_b64 v[66:67], v1
	s_wait_loadcnt_dscnt 0x0
	v_pk_mul_f32 v[68:69], v[66:67], v[64:65] op_sel:[1,1] op_sel_hi:[0,1]
	s_delay_alu instid0(VALU_DEP_1) | instskip(SKIP_1) | instid1(VALU_DEP_2)
	v_pk_fma_f32 v[70:71], v[66:67], v[64:65], v[68:69] op_sel_hi:[1,0,1]
	v_pk_fma_f32 v[64:65], v[66:67], v[64:65], v[68:69] neg_lo:[0,0,1] neg_hi:[0,0,1]
	v_mov_b32_e32 v65, v71
	s_delay_alu instid0(VALU_DEP_1)
	v_pk_add_f32 v[64:65], v[64:65], 0 op_sel_hi:[1,0]
	s_and_saveexec_b32 s4, s0
	s_cbranch_execz .LBB93_22
; %bb.21:
	scratch_load_b64 v[66:67], off, off offset:8
	v_mov_b32_e32 v7, 0
	ds_load_b64 v[68:69], v7 offset:248
	s_wait_loadcnt_dscnt 0x0
	v_pk_mul_f32 v[70:71], v[68:69], v[66:67] op_sel:[1,1] op_sel_hi:[0,1]
	s_delay_alu instid0(VALU_DEP_1) | instskip(SKIP_1) | instid1(VALU_DEP_2)
	v_pk_fma_f32 v[72:73], v[68:69], v[66:67], v[70:71] op_sel_hi:[1,0,1]
	v_pk_fma_f32 v[66:67], v[68:69], v[66:67], v[70:71] neg_lo:[0,0,1] neg_hi:[0,0,1]
	v_mov_b32_e32 v67, v73
	s_delay_alu instid0(VALU_DEP_1)
	v_pk_add_f32 v[64:65], v[64:65], v[66:67]
.LBB93_22:
	s_or_b32 exec_lo, exec_lo, s4
	v_mov_b32_e32 v7, 0
	ds_load_b64 v[66:67], v7 offset:16
	s_wait_dscnt 0x0
	v_pk_mul_f32 v[68:69], v[64:65], v[66:67] op_sel:[1,1] op_sel_hi:[0,1]
	s_delay_alu instid0(VALU_DEP_1) | instskip(SKIP_1) | instid1(VALU_DEP_2)
	v_pk_fma_f32 v[70:71], v[64:65], v[66:67], v[68:69] op_sel_hi:[1,0,1]
	v_pk_fma_f32 v[64:65], v[64:65], v[66:67], v[68:69] neg_lo:[0,0,1] neg_hi:[0,0,1]
	v_mov_b32_e32 v65, v71
	scratch_store_b64 off, v[64:65], off offset:16
.LBB93_23:
	s_wait_xcnt 0x0
	s_or_b32 exec_lo, exec_lo, s1
	s_wait_storecnt 0x0
	s_barrier_signal -1
	s_barrier_wait -1
	scratch_load_b64 v[64:65], off, off offset:24
	v_add_nc_u32_e32 v7, -1, v0
	s_mov_b32 s0, exec_lo
	s_wait_loadcnt 0x0
	ds_store_b64 v1, v[64:65]
	s_wait_dscnt 0x0
	s_barrier_signal -1
	s_barrier_wait -1
	v_cmpx_gt_u32_e32 3, v0
	s_cbranch_execz .LBB93_27
; %bb.24:
	v_dual_mov_b32 v64, 0 :: v_dual_add_nc_u32 v9, -1, v0
	v_add_nc_u32_e32 v11, 0xf0, v62
	v_mov_b32_e32 v13, v62
	s_mov_b32 s1, 0
	s_delay_alu instid0(VALU_DEP_3)
	v_mov_b32_e32 v65, v64
.LBB93_25:                              ; =>This Inner Loop Header: Depth=1
	scratch_load_b64 v[66:67], v13, off
	ds_load_b64 v[68:69], v11
	s_wait_xcnt 0x0
	v_dual_add_nc_u32 v11, 8, v11 :: v_dual_add_nc_u32 v13, 8, v13
	s_wait_loadcnt_dscnt 0x0
	v_pk_mul_f32 v[70:71], v[68:69], v[66:67] op_sel:[1,1] op_sel_hi:[0,1]
	s_delay_alu instid0(VALU_DEP_1) | instskip(SKIP_2) | instid1(VALU_DEP_3)
	v_pk_fma_f32 v[72:73], v[68:69], v[66:67], v[70:71] op_sel_hi:[1,0,1]
	v_add_nc_u32_e32 v9, 1, v9
	v_pk_fma_f32 v[66:67], v[68:69], v[66:67], v[70:71] neg_lo:[0,0,1] neg_hi:[0,0,1]
	v_mov_b32_e32 v67, v73
	s_delay_alu instid0(VALU_DEP_3) | instskip(NEXT) | instid1(VALU_DEP_2)
	v_cmp_lt_u32_e32 vcc_lo, 1, v9
	v_pk_add_f32 v[64:65], v[64:65], v[66:67]
	s_or_b32 s1, vcc_lo, s1
	s_delay_alu instid0(SALU_CYCLE_1)
	s_and_not1_b32 exec_lo, exec_lo, s1
	s_cbranch_execnz .LBB93_25
; %bb.26:
	s_or_b32 exec_lo, exec_lo, s1
	v_mov_b32_e32 v9, 0
	ds_load_b64 v[66:67], v9 offset:24
	s_wait_dscnt 0x0
	v_pk_mul_f32 v[68:69], v[64:65], v[66:67] op_sel:[1,1] op_sel_hi:[0,1]
	s_delay_alu instid0(VALU_DEP_1) | instskip(SKIP_1) | instid1(VALU_DEP_2)
	v_pk_fma_f32 v[70:71], v[64:65], v[66:67], v[68:69] op_sel_hi:[1,0,1]
	v_pk_fma_f32 v[64:65], v[64:65], v[66:67], v[68:69] neg_lo:[0,0,1] neg_hi:[0,0,1]
	v_mov_b32_e32 v65, v71
	scratch_store_b64 off, v[64:65], off offset:24
.LBB93_27:
	s_wait_xcnt 0x0
	s_or_b32 exec_lo, exec_lo, s0
	s_wait_storecnt 0x0
	s_barrier_signal -1
	s_barrier_wait -1
	scratch_load_b64 v[64:65], off, off offset:32
	s_mov_b32 s0, exec_lo
	s_wait_loadcnt 0x0
	ds_store_b64 v1, v[64:65]
	s_wait_dscnt 0x0
	s_barrier_signal -1
	s_barrier_wait -1
	v_cmpx_gt_u32_e32 4, v0
	s_cbranch_execz .LBB93_31
; %bb.28:
	v_dual_mov_b32 v64, 0 :: v_dual_add_nc_u32 v9, -1, v0
	v_add_nc_u32_e32 v11, 0xf0, v62
	v_mov_b32_e32 v13, v62
	s_mov_b32 s1, 0
	s_delay_alu instid0(VALU_DEP_3)
	v_mov_b32_e32 v65, v64
.LBB93_29:                              ; =>This Inner Loop Header: Depth=1
	scratch_load_b64 v[66:67], v13, off
	ds_load_b64 v[68:69], v11
	s_wait_xcnt 0x0
	v_dual_add_nc_u32 v11, 8, v11 :: v_dual_add_nc_u32 v13, 8, v13
	s_wait_loadcnt_dscnt 0x0
	v_pk_mul_f32 v[70:71], v[68:69], v[66:67] op_sel:[1,1] op_sel_hi:[0,1]
	s_delay_alu instid0(VALU_DEP_1) | instskip(SKIP_2) | instid1(VALU_DEP_3)
	v_pk_fma_f32 v[72:73], v[68:69], v[66:67], v[70:71] op_sel_hi:[1,0,1]
	v_add_nc_u32_e32 v9, 1, v9
	v_pk_fma_f32 v[66:67], v[68:69], v[66:67], v[70:71] neg_lo:[0,0,1] neg_hi:[0,0,1]
	v_mov_b32_e32 v67, v73
	s_delay_alu instid0(VALU_DEP_3) | instskip(NEXT) | instid1(VALU_DEP_2)
	v_cmp_lt_u32_e32 vcc_lo, 2, v9
	v_pk_add_f32 v[64:65], v[64:65], v[66:67]
	s_or_b32 s1, vcc_lo, s1
	s_delay_alu instid0(SALU_CYCLE_1)
	s_and_not1_b32 exec_lo, exec_lo, s1
	s_cbranch_execnz .LBB93_29
; %bb.30:
	s_or_b32 exec_lo, exec_lo, s1
	v_mov_b32_e32 v9, 0
	ds_load_b64 v[66:67], v9 offset:32
	s_wait_dscnt 0x0
	v_pk_mul_f32 v[68:69], v[64:65], v[66:67] op_sel:[1,1] op_sel_hi:[0,1]
	s_delay_alu instid0(VALU_DEP_1) | instskip(SKIP_1) | instid1(VALU_DEP_2)
	v_pk_fma_f32 v[70:71], v[64:65], v[66:67], v[68:69] op_sel_hi:[1,0,1]
	v_pk_fma_f32 v[64:65], v[64:65], v[66:67], v[68:69] neg_lo:[0,0,1] neg_hi:[0,0,1]
	v_mov_b32_e32 v65, v71
	scratch_store_b64 off, v[64:65], off offset:32
.LBB93_31:
	s_wait_xcnt 0x0
	s_or_b32 exec_lo, exec_lo, s0
	s_wait_storecnt 0x0
	s_barrier_signal -1
	s_barrier_wait -1
	scratch_load_b64 v[64:65], off, off offset:40
	;; [unrolled: 52-line block ×19, first 2 shown]
	s_mov_b32 s0, exec_lo
	s_wait_loadcnt 0x0
	ds_store_b64 v1, v[64:65]
	s_wait_dscnt 0x0
	s_barrier_signal -1
	s_barrier_wait -1
	v_cmpx_gt_u32_e32 22, v0
	s_cbranch_execz .LBB93_103
; %bb.100:
	v_dual_mov_b32 v64, 0 :: v_dual_add_nc_u32 v9, -1, v0
	v_add_nc_u32_e32 v11, 0xf0, v62
	v_mov_b32_e32 v13, v62
	s_mov_b32 s1, 0
	s_delay_alu instid0(VALU_DEP_3)
	v_mov_b32_e32 v65, v64
.LBB93_101:                             ; =>This Inner Loop Header: Depth=1
	scratch_load_b64 v[66:67], v13, off
	ds_load_b64 v[68:69], v11
	s_wait_xcnt 0x0
	v_dual_add_nc_u32 v11, 8, v11 :: v_dual_add_nc_u32 v13, 8, v13
	s_wait_loadcnt_dscnt 0x0
	v_pk_mul_f32 v[70:71], v[68:69], v[66:67] op_sel:[1,1] op_sel_hi:[0,1]
	s_delay_alu instid0(VALU_DEP_1) | instskip(SKIP_2) | instid1(VALU_DEP_3)
	v_pk_fma_f32 v[72:73], v[68:69], v[66:67], v[70:71] op_sel_hi:[1,0,1]
	v_add_nc_u32_e32 v9, 1, v9
	v_pk_fma_f32 v[66:67], v[68:69], v[66:67], v[70:71] neg_lo:[0,0,1] neg_hi:[0,0,1]
	v_mov_b32_e32 v67, v73
	s_delay_alu instid0(VALU_DEP_3) | instskip(NEXT) | instid1(VALU_DEP_2)
	v_cmp_lt_u32_e32 vcc_lo, 20, v9
	v_pk_add_f32 v[64:65], v[64:65], v[66:67]
	s_or_b32 s1, vcc_lo, s1
	s_delay_alu instid0(SALU_CYCLE_1)
	s_and_not1_b32 exec_lo, exec_lo, s1
	s_cbranch_execnz .LBB93_101
; %bb.102:
	s_or_b32 exec_lo, exec_lo, s1
	v_mov_b32_e32 v9, 0
	ds_load_b64 v[66:67], v9 offset:176
	s_wait_dscnt 0x0
	v_pk_mul_f32 v[68:69], v[64:65], v[66:67] op_sel:[1,1] op_sel_hi:[0,1]
	s_delay_alu instid0(VALU_DEP_1) | instskip(SKIP_1) | instid1(VALU_DEP_2)
	v_pk_fma_f32 v[70:71], v[64:65], v[66:67], v[68:69] op_sel_hi:[1,0,1]
	v_pk_fma_f32 v[64:65], v[64:65], v[66:67], v[68:69] neg_lo:[0,0,1] neg_hi:[0,0,1]
	v_mov_b32_e32 v65, v71
	scratch_store_b64 off, v[64:65], off offset:176
.LBB93_103:
	s_wait_xcnt 0x0
	s_or_b32 exec_lo, exec_lo, s0
	s_wait_storecnt 0x0
	s_barrier_signal -1
	s_barrier_wait -1
	scratch_load_b64 v[64:65], off, off offset:184
	s_mov_b32 s0, exec_lo
	s_wait_loadcnt 0x0
	ds_store_b64 v1, v[64:65]
	s_wait_dscnt 0x0
	s_barrier_signal -1
	s_barrier_wait -1
	v_cmpx_gt_u32_e32 23, v0
	s_cbranch_execz .LBB93_107
; %bb.104:
	v_dual_mov_b32 v64, 0 :: v_dual_add_nc_u32 v9, -1, v0
	v_add_nc_u32_e32 v11, 0xf0, v62
	v_mov_b32_e32 v13, v62
	s_mov_b32 s1, 0
	s_delay_alu instid0(VALU_DEP_3)
	v_mov_b32_e32 v65, v64
.LBB93_105:                             ; =>This Inner Loop Header: Depth=1
	scratch_load_b64 v[66:67], v13, off
	ds_load_b64 v[68:69], v11
	s_wait_xcnt 0x0
	v_dual_add_nc_u32 v11, 8, v11 :: v_dual_add_nc_u32 v13, 8, v13
	s_wait_loadcnt_dscnt 0x0
	v_pk_mul_f32 v[70:71], v[68:69], v[66:67] op_sel:[1,1] op_sel_hi:[0,1]
	s_delay_alu instid0(VALU_DEP_1) | instskip(SKIP_2) | instid1(VALU_DEP_3)
	v_pk_fma_f32 v[72:73], v[68:69], v[66:67], v[70:71] op_sel_hi:[1,0,1]
	v_add_nc_u32_e32 v9, 1, v9
	v_pk_fma_f32 v[66:67], v[68:69], v[66:67], v[70:71] neg_lo:[0,0,1] neg_hi:[0,0,1]
	v_mov_b32_e32 v67, v73
	s_delay_alu instid0(VALU_DEP_3) | instskip(NEXT) | instid1(VALU_DEP_2)
	v_cmp_lt_u32_e32 vcc_lo, 21, v9
	v_pk_add_f32 v[64:65], v[64:65], v[66:67]
	s_or_b32 s1, vcc_lo, s1
	s_delay_alu instid0(SALU_CYCLE_1)
	s_and_not1_b32 exec_lo, exec_lo, s1
	s_cbranch_execnz .LBB93_105
; %bb.106:
	s_or_b32 exec_lo, exec_lo, s1
	v_mov_b32_e32 v9, 0
	ds_load_b64 v[66:67], v9 offset:184
	s_wait_dscnt 0x0
	v_pk_mul_f32 v[68:69], v[64:65], v[66:67] op_sel:[1,1] op_sel_hi:[0,1]
	s_delay_alu instid0(VALU_DEP_1) | instskip(SKIP_1) | instid1(VALU_DEP_2)
	v_pk_fma_f32 v[70:71], v[64:65], v[66:67], v[68:69] op_sel_hi:[1,0,1]
	v_pk_fma_f32 v[64:65], v[64:65], v[66:67], v[68:69] neg_lo:[0,0,1] neg_hi:[0,0,1]
	v_mov_b32_e32 v65, v71
	scratch_store_b64 off, v[64:65], off offset:184
.LBB93_107:
	s_wait_xcnt 0x0
	s_or_b32 exec_lo, exec_lo, s0
	s_wait_storecnt 0x0
	s_barrier_signal -1
	s_barrier_wait -1
	scratch_load_b64 v[64:65], off, off offset:192
	;; [unrolled: 52-line block ×7, first 2 shown]
	s_mov_b32 s0, exec_lo
	s_wait_loadcnt 0x0
	ds_store_b64 v1, v[64:65]
	s_wait_dscnt 0x0
	s_barrier_signal -1
	s_barrier_wait -1
	v_cmpx_ne_u32_e32 29, v0
	s_cbranch_execz .LBB93_131
; %bb.128:
	v_dual_mov_b32 v64, 0 :: v_dual_mov_b32 v9, v62
	s_mov_b32 s1, 0
	s_delay_alu instid0(VALU_DEP_1)
	v_mov_b32_e32 v65, v64
.LBB93_129:                             ; =>This Inner Loop Header: Depth=1
	scratch_load_b64 v[62:63], v9, off
	ds_load_b64 v[66:67], v1
	v_add_nc_u32_e32 v1, 8, v1
	s_wait_xcnt 0x0
	v_add_nc_u32_e32 v9, 8, v9
	s_wait_loadcnt_dscnt 0x0
	v_pk_mul_f32 v[68:69], v[66:67], v[62:63] op_sel:[1,1] op_sel_hi:[0,1]
	s_delay_alu instid0(VALU_DEP_1) | instskip(SKIP_2) | instid1(VALU_DEP_3)
	v_pk_fma_f32 v[70:71], v[66:67], v[62:63], v[68:69] op_sel_hi:[1,0,1]
	v_add_nc_u32_e32 v7, 1, v7
	v_pk_fma_f32 v[62:63], v[66:67], v[62:63], v[68:69] neg_lo:[0,0,1] neg_hi:[0,0,1]
	v_mov_b32_e32 v63, v71
	s_delay_alu instid0(VALU_DEP_3) | instskip(NEXT) | instid1(VALU_DEP_2)
	v_cmp_lt_u32_e32 vcc_lo, 27, v7
	v_pk_add_f32 v[64:65], v[64:65], v[62:63]
	s_or_b32 s1, vcc_lo, s1
	s_delay_alu instid0(SALU_CYCLE_1)
	s_and_not1_b32 exec_lo, exec_lo, s1
	s_cbranch_execnz .LBB93_129
; %bb.130:
	s_or_b32 exec_lo, exec_lo, s1
	v_mov_b32_e32 v1, 0
	ds_load_b64 v[62:63], v1 offset:232
	s_wait_dscnt 0x0
	v_pk_mul_f32 v[66:67], v[64:65], v[62:63] op_sel:[1,1] op_sel_hi:[0,1]
	s_delay_alu instid0(VALU_DEP_1) | instskip(SKIP_1) | instid1(VALU_DEP_2)
	v_pk_fma_f32 v[68:69], v[64:65], v[62:63], v[66:67] op_sel_hi:[1,0,1]
	v_pk_fma_f32 v[62:63], v[64:65], v[62:63], v[66:67] neg_lo:[0,0,1] neg_hi:[0,0,1]
	v_mov_b32_e32 v63, v69
	scratch_store_b64 off, v[62:63], off offset:232
.LBB93_131:
	s_wait_xcnt 0x0
	s_or_b32 exec_lo, exec_lo, s0
	s_mov_b32 s1, -1
	s_wait_storecnt 0x0
	s_barrier_signal -1
	s_barrier_wait -1
.LBB93_132:
	s_and_b32 vcc_lo, exec_lo, s1
	s_cbranch_vccz .LBB93_134
; %bb.133:
	v_mov_b32_e32 v1, 0
	s_lshl_b64 s[0:1], s[10:11], 2
	s_delay_alu instid0(SALU_CYCLE_1)
	s_add_nc_u64 s[0:1], s[6:7], s[0:1]
	global_load_b32 v1, v1, s[0:1]
	s_wait_loadcnt 0x0
	v_cmp_ne_u32_e32 vcc_lo, 0, v1
	s_cbranch_vccz .LBB93_135
.LBB93_134:
	s_sendmsg sendmsg(MSG_DEALLOC_VGPRS)
	s_endpgm
.LBB93_135:
	s_wait_xcnt 0x0
	v_lshl_add_u32 v1, v0, 3, 0xf0
	s_mov_b32 s0, exec_lo
	v_cmpx_eq_u32_e32 29, v0
	s_cbranch_execz .LBB93_137
; %bb.136:
	scratch_load_b64 v[62:63], off, off offset:224
	v_mov_b64_e32 v[64:65], 0
	scratch_store_b64 off, v[64:65], off offset:224
	s_wait_loadcnt 0x0
	ds_store_b64 v1, v[62:63]
.LBB93_137:
	s_wait_xcnt 0x0
	s_or_b32 exec_lo, exec_lo, s0
	s_wait_storecnt_dscnt 0x0
	s_barrier_signal -1
	s_barrier_wait -1
	s_clause 0x1
	scratch_load_b64 v[62:63], off, off offset:232
	scratch_load_b64 v[64:65], off, off offset:224
	v_mov_b32_e32 v7, 0
	s_mov_b32 s0, exec_lo
	ds_load_b64 v[66:67], v7 offset:472
	s_wait_loadcnt_dscnt 0x100
	v_pk_mul_f32 v[68:69], v[66:67], v[62:63] op_sel:[1,1] op_sel_hi:[0,1]
	s_delay_alu instid0(VALU_DEP_1) | instskip(SKIP_1) | instid1(VALU_DEP_2)
	v_pk_fma_f32 v[70:71], v[66:67], v[62:63], v[68:69] op_sel_hi:[1,0,1]
	v_pk_fma_f32 v[62:63], v[66:67], v[62:63], v[68:69] neg_lo:[0,0,1] neg_hi:[0,0,1]
	v_mov_b32_e32 v63, v71
	s_delay_alu instid0(VALU_DEP_1) | instskip(SKIP_1) | instid1(VALU_DEP_1)
	v_pk_add_f32 v[62:63], v[62:63], 0 op_sel_hi:[1,0]
	s_wait_loadcnt 0x0
	v_pk_add_f32 v[62:63], v[64:65], v[62:63] neg_lo:[0,1] neg_hi:[0,1]
	scratch_store_b64 off, v[62:63], off offset:224
	s_wait_xcnt 0x0
	v_cmpx_lt_u32_e32 27, v0
	s_cbranch_execz .LBB93_139
; %bb.138:
	scratch_load_b64 v[62:63], off, off offset:216
	v_mov_b64_e32 v[64:65], 0
	scratch_store_b64 off, v[64:65], off offset:216
	s_wait_loadcnt 0x0
	ds_store_b64 v1, v[62:63]
.LBB93_139:
	s_wait_xcnt 0x0
	s_or_b32 exec_lo, exec_lo, s0
	s_wait_storecnt_dscnt 0x0
	s_barrier_signal -1
	s_barrier_wait -1
	s_clause 0x1
	scratch_load_b128 v[62:65], off, off offset:224
	scratch_load_b64 v[70:71], off, off offset:216
	ds_load_b128 v[66:69], v7 offset:464
	s_mov_b32 s0, exec_lo
	s_wait_dscnt 0x0
	v_dual_mov_b32 v72, v69 :: v_dual_mov_b32 v73, v68
	s_wait_loadcnt 0x1
	v_pk_mul_f32 v[74:75], v[66:67], v[62:63] op_sel:[1,1] op_sel_hi:[0,1]
	s_delay_alu instid0(VALU_DEP_1) | instskip(SKIP_2) | instid1(VALU_DEP_3)
	v_pk_fma_f32 v[78:79], v[66:67], v[62:63], v[74:75] op_sel_hi:[1,0,1]
	v_mov_b32_e32 v76, v65
	v_pk_fma_f32 v[62:63], v[66:67], v[62:63], v[74:75] neg_lo:[0,0,1] neg_hi:[0,0,1]
	v_mov_b32_e32 v63, v79
	s_delay_alu instid0(VALU_DEP_3) | instskip(NEXT) | instid1(VALU_DEP_2)
	v_pk_mul_f32 v[72:73], v[72:73], v[76:77] op_sel_hi:[1,0]
	v_pk_add_f32 v[62:63], v[62:63], 0 op_sel_hi:[1,0]
	s_delay_alu instid0(VALU_DEP_2) | instskip(SKIP_1) | instid1(VALU_DEP_2)
	v_pk_fma_f32 v[66:67], v[68:69], v[64:65], v[72:73] op_sel_hi:[1,0,1]
	v_pk_fma_f32 v[64:65], v[68:69], v[64:65], v[72:73] neg_lo:[0,0,1] neg_hi:[0,0,1]
	v_mov_b32_e32 v65, v67
	s_delay_alu instid0(VALU_DEP_1) | instskip(SKIP_1) | instid1(VALU_DEP_1)
	v_pk_add_f32 v[62:63], v[62:63], v[64:65]
	s_wait_loadcnt 0x0
	v_pk_add_f32 v[62:63], v[70:71], v[62:63] neg_lo:[0,1] neg_hi:[0,1]
	scratch_store_b64 off, v[62:63], off offset:216
	s_wait_xcnt 0x0
	v_cmpx_lt_u32_e32 26, v0
	s_cbranch_execz .LBB93_141
; %bb.140:
	scratch_load_b64 v[62:63], off, off offset:208
	v_mov_b64_e32 v[64:65], 0
	scratch_store_b64 off, v[64:65], off offset:208
	s_wait_loadcnt 0x0
	ds_store_b64 v1, v[62:63]
.LBB93_141:
	s_wait_xcnt 0x0
	s_or_b32 exec_lo, exec_lo, s0
	s_wait_storecnt_dscnt 0x0
	s_barrier_signal -1
	s_barrier_wait -1
	s_clause 0x2
	scratch_load_b128 v[62:65], off, off offset:216
	scratch_load_b64 v[70:71], off, off offset:232
	scratch_load_b64 v[72:73], off, off offset:208
	v_mov_b32_e32 v7, 0
	ds_load_2addr_b64 v[66:69], v7 offset0:57 offset1:58
	ds_load_b64 v[74:75], v7 offset:472
	s_mov_b32 s0, exec_lo
	s_wait_dscnt 0x1
	v_dual_mov_b32 v76, v69 :: v_dual_mov_b32 v77, v68
	s_wait_loadcnt 0x2
	v_mov_b32_e32 v80, v65
	v_pk_mul_f32 v[78:79], v[66:67], v[62:63] op_sel:[1,1] op_sel_hi:[0,1]
	s_delay_alu instid0(VALU_DEP_2) | instskip(NEXT) | instid1(VALU_DEP_2)
	v_pk_mul_f32 v[76:77], v[76:77], v[80:81] op_sel_hi:[1,0]
	v_pk_fma_f32 v[82:83], v[66:67], v[62:63], v[78:79] op_sel_hi:[1,0,1]
	v_pk_fma_f32 v[62:63], v[66:67], v[62:63], v[78:79] neg_lo:[0,0,1] neg_hi:[0,0,1]
	s_wait_loadcnt_dscnt 0x100
	v_pk_mul_f32 v[78:79], v[74:75], v[70:71] op_sel:[1,1] op_sel_hi:[0,1]
	v_pk_fma_f32 v[66:67], v[68:69], v[64:65], v[76:77] op_sel_hi:[1,0,1]
	v_mov_b32_e32 v63, v83
	v_pk_fma_f32 v[64:65], v[68:69], v[64:65], v[76:77] neg_lo:[0,0,1] neg_hi:[0,0,1]
	s_delay_alu instid0(VALU_DEP_4) | instskip(NEXT) | instid1(VALU_DEP_4)
	v_pk_fma_f32 v[68:69], v[74:75], v[70:71], v[78:79] neg_lo:[0,0,1] neg_hi:[0,0,1]
	v_mov_b32_e32 v65, v67
	s_delay_alu instid0(VALU_DEP_4) | instskip(SKIP_1) | instid1(VALU_DEP_2)
	v_pk_add_f32 v[62:63], v[62:63], 0 op_sel_hi:[1,0]
	v_pk_fma_f32 v[66:67], v[74:75], v[70:71], v[78:79] op_sel_hi:[1,0,1]
	v_pk_add_f32 v[62:63], v[62:63], v[64:65]
	s_delay_alu instid0(VALU_DEP_2) | instskip(NEXT) | instid1(VALU_DEP_1)
	v_mov_b32_e32 v69, v67
	v_pk_add_f32 v[62:63], v[62:63], v[68:69]
	s_wait_loadcnt 0x0
	s_delay_alu instid0(VALU_DEP_1)
	v_pk_add_f32 v[62:63], v[72:73], v[62:63] neg_lo:[0,1] neg_hi:[0,1]
	scratch_store_b64 off, v[62:63], off offset:208
	s_wait_xcnt 0x0
	v_cmpx_lt_u32_e32 25, v0
	s_cbranch_execz .LBB93_143
; %bb.142:
	scratch_load_b64 v[62:63], off, off offset:200
	v_mov_b64_e32 v[64:65], 0
	scratch_store_b64 off, v[64:65], off offset:200
	s_wait_loadcnt 0x0
	ds_store_b64 v1, v[62:63]
.LBB93_143:
	s_wait_xcnt 0x0
	s_or_b32 exec_lo, exec_lo, s0
	s_wait_storecnt_dscnt 0x0
	s_barrier_signal -1
	s_barrier_wait -1
	s_clause 0x2
	scratch_load_b128 v[62:65], off, off offset:208
	scratch_load_b128 v[66:69], off, off offset:224
	scratch_load_b64 v[78:79], off, off offset:200
	ds_load_b128 v[70:73], v7 offset:448
	ds_load_b128 v[74:77], v7 offset:464
	s_mov_b32 s0, exec_lo
	s_wait_dscnt 0x1
	v_dual_mov_b32 v80, v73 :: v_dual_mov_b32 v81, v72
	s_wait_loadcnt_dscnt 0x200
	v_dual_mov_b32 v86, v77 :: v_dual_mov_b32 v84, v65
	v_pk_mul_f32 v[82:83], v[70:71], v[62:63] op_sel:[1,1] op_sel_hi:[0,1]
	s_delay_alu instid0(VALU_DEP_2) | instskip(NEXT) | instid1(VALU_DEP_2)
	v_pk_mul_f32 v[80:81], v[80:81], v[84:85] op_sel_hi:[1,0]
	v_pk_fma_f32 v[88:89], v[70:71], v[62:63], v[82:83] op_sel_hi:[1,0,1]
	v_pk_fma_f32 v[62:63], v[70:71], v[62:63], v[82:83] neg_lo:[0,0,1] neg_hi:[0,0,1]
	v_mov_b32_e32 v87, v76
	s_wait_loadcnt 0x1
	v_pk_mul_f32 v[84:85], v[74:75], v[66:67] op_sel:[1,1] op_sel_hi:[0,1]
	v_pk_fma_f32 v[70:71], v[72:73], v[64:65], v[80:81] op_sel_hi:[1,0,1]
	v_dual_mov_b32 v63, v89 :: v_dual_mov_b32 v70, v69
	v_pk_fma_f32 v[64:65], v[72:73], v[64:65], v[80:81] neg_lo:[0,0,1] neg_hi:[0,0,1]
	s_delay_alu instid0(VALU_DEP_4) | instskip(NEXT) | instid1(VALU_DEP_4)
	v_pk_fma_f32 v[82:83], v[74:75], v[66:67], v[84:85] op_sel_hi:[1,0,1]
	v_mov_b32_e32 v65, v71
	s_delay_alu instid0(VALU_DEP_4) | instskip(SKIP_2) | instid1(VALU_DEP_3)
	v_pk_add_f32 v[62:63], v[62:63], 0 op_sel_hi:[1,0]
	v_pk_mul_f32 v[70:71], v[86:87], v[70:71] op_sel_hi:[1,0]
	v_pk_fma_f32 v[66:67], v[74:75], v[66:67], v[84:85] neg_lo:[0,0,1] neg_hi:[0,0,1]
	v_pk_add_f32 v[62:63], v[62:63], v[64:65]
	s_delay_alu instid0(VALU_DEP_3) | instskip(SKIP_2) | instid1(VALU_DEP_3)
	v_pk_fma_f32 v[64:65], v[76:77], v[68:69], v[70:71] op_sel_hi:[1,0,1]
	v_mov_b32_e32 v67, v83
	v_pk_fma_f32 v[68:69], v[76:77], v[68:69], v[70:71] neg_lo:[0,0,1] neg_hi:[0,0,1]
	v_mov_b32_e32 v69, v65
	s_delay_alu instid0(VALU_DEP_3) | instskip(NEXT) | instid1(VALU_DEP_1)
	v_pk_add_f32 v[62:63], v[62:63], v[66:67]
	v_pk_add_f32 v[62:63], v[62:63], v[68:69]
	s_wait_loadcnt 0x0
	s_delay_alu instid0(VALU_DEP_1)
	v_pk_add_f32 v[62:63], v[78:79], v[62:63] neg_lo:[0,1] neg_hi:[0,1]
	scratch_store_b64 off, v[62:63], off offset:200
	s_wait_xcnt 0x0
	v_cmpx_lt_u32_e32 24, v0
	s_cbranch_execz .LBB93_145
; %bb.144:
	scratch_load_b64 v[62:63], off, off offset:192
	v_mov_b64_e32 v[64:65], 0
	scratch_store_b64 off, v[64:65], off offset:192
	s_wait_loadcnt 0x0
	ds_store_b64 v1, v[62:63]
.LBB93_145:
	s_wait_xcnt 0x0
	s_or_b32 exec_lo, exec_lo, s0
	s_wait_storecnt_dscnt 0x0
	s_barrier_signal -1
	s_barrier_wait -1
	s_clause 0x3
	scratch_load_b128 v[62:65], off, off offset:200
	scratch_load_b128 v[66:69], off, off offset:216
	scratch_load_b64 v[78:79], off, off offset:232
	scratch_load_b64 v[80:81], off, off offset:192
	v_mov_b32_e32 v7, 0
	ds_load_2addr_b64 v[70:73], v7 offset0:55 offset1:56
	ds_load_2addr_b64 v[74:77], v7 offset0:57 offset1:58
	s_mov_b32 s0, exec_lo
	s_wait_dscnt 0x1
	v_dual_mov_b32 v82, v73 :: v_dual_mov_b32 v83, v72
	ds_load_b64 v[88:89], v7 offset:472
	s_wait_dscnt 0x1
	v_dual_mov_b32 v90, v77 :: v_dual_mov_b32 v91, v76
	s_wait_loadcnt 0x3
	v_pk_mul_f32 v[84:85], v[70:71], v[62:63] op_sel:[1,1] op_sel_hi:[0,1]
	v_mov_b32_e32 v86, v65
	s_delay_alu instid0(VALU_DEP_2) | instskip(NEXT) | instid1(VALU_DEP_2)
	v_pk_fma_f32 v[92:93], v[70:71], v[62:63], v[84:85] op_sel_hi:[1,0,1]
	v_pk_mul_f32 v[82:83], v[82:83], v[86:87] op_sel_hi:[1,0]
	v_pk_fma_f32 v[62:63], v[70:71], v[62:63], v[84:85] neg_lo:[0,0,1] neg_hi:[0,0,1]
	s_wait_loadcnt 0x2
	v_pk_mul_f32 v[86:87], v[74:75], v[66:67] op_sel:[1,1] op_sel_hi:[0,1]
	v_dual_mov_b32 v92, v69 :: v_dual_mov_b32 v63, v93
	v_pk_fma_f32 v[70:71], v[72:73], v[64:65], v[82:83] op_sel_hi:[1,0,1]
	v_pk_fma_f32 v[64:65], v[72:73], v[64:65], v[82:83] neg_lo:[0,0,1] neg_hi:[0,0,1]
	s_delay_alu instid0(VALU_DEP_4) | instskip(NEXT) | instid1(VALU_DEP_4)
	v_pk_fma_f32 v[84:85], v[74:75], v[66:67], v[86:87] op_sel_hi:[1,0,1]
	v_pk_mul_f32 v[90:91], v[90:91], v[92:93] op_sel_hi:[1,0]
	v_pk_add_f32 v[62:63], v[62:63], 0 op_sel_hi:[1,0]
	v_mov_b32_e32 v65, v71
	v_pk_fma_f32 v[66:67], v[74:75], v[66:67], v[86:87] neg_lo:[0,0,1] neg_hi:[0,0,1]
	v_mov_b32_e32 v67, v85
	v_pk_fma_f32 v[70:71], v[76:77], v[68:69], v[90:91] op_sel_hi:[1,0,1]
	v_pk_fma_f32 v[68:69], v[76:77], v[68:69], v[90:91] neg_lo:[0,0,1] neg_hi:[0,0,1]
	v_pk_add_f32 v[62:63], v[62:63], v[64:65]
	s_wait_loadcnt_dscnt 0x100
	v_pk_mul_f32 v[64:65], v[88:89], v[78:79] op_sel:[1,1] op_sel_hi:[0,1]
	s_delay_alu instid0(VALU_DEP_2) | instskip(NEXT) | instid1(VALU_DEP_2)
	v_pk_add_f32 v[62:63], v[62:63], v[66:67]
	v_pk_fma_f32 v[66:67], v[88:89], v[78:79], v[64:65] op_sel_hi:[1,0,1]
	v_mov_b32_e32 v69, v71
	v_pk_fma_f32 v[64:65], v[88:89], v[78:79], v[64:65] neg_lo:[0,0,1] neg_hi:[0,0,1]
	s_delay_alu instid0(VALU_DEP_3) | instskip(NEXT) | instid1(VALU_DEP_3)
	v_mov_b32_e32 v65, v67
	v_pk_add_f32 v[62:63], v[62:63], v[68:69]
	s_delay_alu instid0(VALU_DEP_1) | instskip(SKIP_1) | instid1(VALU_DEP_1)
	v_pk_add_f32 v[62:63], v[62:63], v[64:65]
	s_wait_loadcnt 0x0
	v_pk_add_f32 v[62:63], v[80:81], v[62:63] neg_lo:[0,1] neg_hi:[0,1]
	scratch_store_b64 off, v[62:63], off offset:192
	s_wait_xcnt 0x0
	v_cmpx_lt_u32_e32 23, v0
	s_cbranch_execz .LBB93_147
; %bb.146:
	scratch_load_b64 v[62:63], off, off offset:184
	v_mov_b64_e32 v[64:65], 0
	scratch_store_b64 off, v[64:65], off offset:184
	s_wait_loadcnt 0x0
	ds_store_b64 v1, v[62:63]
.LBB93_147:
	s_wait_xcnt 0x0
	s_or_b32 exec_lo, exec_lo, s0
	s_wait_storecnt_dscnt 0x0
	s_barrier_signal -1
	s_barrier_wait -1
	s_clause 0x3
	scratch_load_b128 v[62:65], off, off offset:192
	scratch_load_b128 v[66:69], off, off offset:208
	;; [unrolled: 1-line block ×3, first 2 shown]
	scratch_load_b64 v[86:87], off, off offset:184
	ds_load_b128 v[74:77], v7 offset:432
	ds_load_b128 v[78:81], v7 offset:448
	;; [unrolled: 1-line block ×3, first 2 shown]
	s_mov_b32 s0, exec_lo
	s_wait_dscnt 0x2
	v_dual_mov_b32 v88, v77 :: v_dual_mov_b32 v89, v76
	s_wait_dscnt 0x1
	v_dual_mov_b32 v90, v81 :: v_dual_mov_b32 v91, v80
	;; [unrolled: 2-line block ×3, first 2 shown]
	s_wait_loadcnt 0x3
	v_pk_mul_f32 v[92:93], v[74:75], v[62:63] op_sel:[1,1] op_sel_hi:[0,1]
	v_mov_b32_e32 v94, v65
	s_delay_alu instid0(VALU_DEP_2) | instskip(NEXT) | instid1(VALU_DEP_2)
	v_pk_fma_f32 v[98:99], v[74:75], v[62:63], v[92:93] op_sel_hi:[1,0,1]
	v_pk_mul_f32 v[88:89], v[88:89], v[94:95] op_sel_hi:[1,0]
	v_pk_fma_f32 v[62:63], v[74:75], v[62:63], v[92:93] neg_lo:[0,0,1] neg_hi:[0,0,1]
	s_wait_loadcnt 0x2
	v_pk_mul_f32 v[94:95], v[78:79], v[66:67] op_sel:[1,1] op_sel_hi:[0,1]
	v_mov_b32_e32 v98, v69
	v_pk_fma_f32 v[74:75], v[76:77], v[64:65], v[88:89] op_sel_hi:[1,0,1]
	v_mov_b32_e32 v63, v99
	v_pk_fma_f32 v[64:65], v[76:77], v[64:65], v[88:89] neg_lo:[0,0,1] neg_hi:[0,0,1]
	v_pk_fma_f32 v[92:93], v[78:79], v[66:67], v[94:95] op_sel_hi:[1,0,1]
	v_pk_mul_f32 v[90:91], v[90:91], v[98:99] op_sel_hi:[1,0]
	v_mov_b32_e32 v65, v75
	v_pk_add_f32 v[62:63], v[62:63], 0 op_sel_hi:[1,0]
	v_pk_fma_f32 v[66:67], v[78:79], v[66:67], v[94:95] neg_lo:[0,0,1] neg_hi:[0,0,1]
	s_wait_loadcnt 0x1
	v_pk_mul_f32 v[74:75], v[82:83], v[70:71] op_sel:[1,1] op_sel_hi:[0,1]
	v_mov_b32_e32 v67, v93
	v_pk_fma_f32 v[76:77], v[80:81], v[68:69], v[90:91] op_sel_hi:[1,0,1]
	v_pk_add_f32 v[62:63], v[62:63], v[64:65]
	v_mov_b32_e32 v64, v73
	v_pk_fma_f32 v[68:69], v[80:81], v[68:69], v[90:91] neg_lo:[0,0,1] neg_hi:[0,0,1]
	v_pk_fma_f32 v[78:79], v[82:83], v[70:71], v[74:75] op_sel_hi:[1,0,1]
	v_mov_b32_e32 v69, v77
	v_pk_add_f32 v[62:63], v[62:63], v[66:67]
	v_pk_mul_f32 v[64:65], v[96:97], v[64:65] op_sel_hi:[1,0]
	v_pk_fma_f32 v[66:67], v[82:83], v[70:71], v[74:75] neg_lo:[0,0,1] neg_hi:[0,0,1]
	v_mov_b32_e32 v67, v79
	s_delay_alu instid0(VALU_DEP_4) | instskip(NEXT) | instid1(VALU_DEP_4)
	v_pk_add_f32 v[62:63], v[62:63], v[68:69]
	v_pk_fma_f32 v[68:69], v[84:85], v[72:73], v[64:65] op_sel_hi:[1,0,1]
	v_pk_fma_f32 v[64:65], v[84:85], v[72:73], v[64:65] neg_lo:[0,0,1] neg_hi:[0,0,1]
	s_delay_alu instid0(VALU_DEP_3) | instskip(NEXT) | instid1(VALU_DEP_3)
	v_pk_add_f32 v[62:63], v[62:63], v[66:67]
	v_mov_b32_e32 v65, v69
	s_delay_alu instid0(VALU_DEP_1) | instskip(SKIP_1) | instid1(VALU_DEP_1)
	v_pk_add_f32 v[62:63], v[62:63], v[64:65]
	s_wait_loadcnt 0x0
	v_pk_add_f32 v[62:63], v[86:87], v[62:63] neg_lo:[0,1] neg_hi:[0,1]
	scratch_store_b64 off, v[62:63], off offset:184
	s_wait_xcnt 0x0
	v_cmpx_lt_u32_e32 22, v0
	s_cbranch_execz .LBB93_149
; %bb.148:
	scratch_load_b64 v[62:63], off, off offset:176
	v_mov_b64_e32 v[64:65], 0
	scratch_store_b64 off, v[64:65], off offset:176
	s_wait_loadcnt 0x0
	ds_store_b64 v1, v[62:63]
.LBB93_149:
	s_wait_xcnt 0x0
	s_or_b32 exec_lo, exec_lo, s0
	s_wait_storecnt_dscnt 0x0
	s_barrier_signal -1
	s_barrier_wait -1
	s_clause 0x4
	scratch_load_b128 v[62:65], off, off offset:184
	scratch_load_b128 v[66:69], off, off offset:200
	;; [unrolled: 1-line block ×3, first 2 shown]
	scratch_load_b64 v[86:87], off, off offset:232
	scratch_load_b64 v[88:89], off, off offset:176
	v_mov_b32_e32 v7, 0
	ds_load_2addr_b64 v[74:77], v7 offset0:53 offset1:54
	ds_load_2addr_b64 v[78:81], v7 offset0:55 offset1:56
	;; [unrolled: 1-line block ×3, first 2 shown]
	ds_load_b64 v[90:91], v7 offset:472
	s_mov_b32 s0, exec_lo
	s_wait_dscnt 0x3
	v_dual_mov_b32 v92, v77 :: v_dual_mov_b32 v93, v76
	s_wait_dscnt 0x2
	v_dual_mov_b32 v94, v81 :: v_dual_mov_b32 v95, v80
	;; [unrolled: 2-line block ×3, first 2 shown]
	s_wait_loadcnt 0x4
	v_pk_mul_f32 v[96:97], v[74:75], v[62:63] op_sel:[1,1] op_sel_hi:[0,1]
	v_mov_b32_e32 v98, v65
	s_wait_loadcnt 0x3
	v_pk_mul_f32 v[102:103], v[78:79], v[66:67] op_sel:[1,1] op_sel_hi:[0,1]
	s_wait_loadcnt 0x2
	v_pk_mul_f32 v[106:107], v[82:83], v[70:71] op_sel:[1,1] op_sel_hi:[0,1]
	v_pk_fma_f32 v[104:105], v[74:75], v[62:63], v[96:97] op_sel_hi:[1,0,1]
	v_pk_mul_f32 v[92:93], v[92:93], v[98:99] op_sel_hi:[1,0]
	v_pk_fma_f32 v[62:63], v[74:75], v[62:63], v[96:97] neg_lo:[0,0,1] neg_hi:[0,0,1]
	v_mov_b32_e32 v98, v69
	v_pk_fma_f32 v[96:97], v[78:79], v[66:67], v[102:103] op_sel_hi:[1,0,1]
	v_mov_b32_e32 v63, v105
	v_pk_fma_f32 v[74:75], v[76:77], v[64:65], v[92:93] op_sel_hi:[1,0,1]
	v_pk_fma_f32 v[64:65], v[76:77], v[64:65], v[92:93] neg_lo:[0,0,1] neg_hi:[0,0,1]
	v_pk_mul_f32 v[94:95], v[94:95], v[98:99] op_sel_hi:[1,0]
	v_pk_fma_f32 v[66:67], v[78:79], v[66:67], v[102:103] neg_lo:[0,0,1] neg_hi:[0,0,1]
	v_pk_add_f32 v[62:63], v[62:63], 0 op_sel_hi:[1,0]
	v_dual_mov_b32 v65, v75 :: v_dual_mov_b32 v74, v73
	s_delay_alu instid0(VALU_DEP_4) | instskip(SKIP_2) | instid1(VALU_DEP_4)
	v_pk_fma_f32 v[76:77], v[80:81], v[68:69], v[94:95] op_sel_hi:[1,0,1]
	v_mov_b32_e32 v67, v97
	v_pk_fma_f32 v[68:69], v[80:81], v[68:69], v[94:95] neg_lo:[0,0,1] neg_hi:[0,0,1]
	v_pk_add_f32 v[62:63], v[62:63], v[64:65]
	v_pk_fma_f32 v[64:65], v[82:83], v[70:71], v[106:107] op_sel_hi:[1,0,1]
	v_pk_mul_f32 v[74:75], v[100:101], v[74:75] op_sel_hi:[1,0]
	v_mov_b32_e32 v69, v77
	s_delay_alu instid0(VALU_DEP_4)
	v_pk_add_f32 v[62:63], v[62:63], v[66:67]
	v_pk_fma_f32 v[66:67], v[82:83], v[70:71], v[106:107] neg_lo:[0,0,1] neg_hi:[0,0,1]
	v_mov_b32_e32 v67, v65
	v_pk_fma_f32 v[64:65], v[84:85], v[72:73], v[74:75] op_sel_hi:[1,0,1]
	v_pk_fma_f32 v[70:71], v[84:85], v[72:73], v[74:75] neg_lo:[0,0,1] neg_hi:[0,0,1]
	v_pk_add_f32 v[62:63], v[62:63], v[68:69]
	s_wait_loadcnt_dscnt 0x100
	v_pk_mul_f32 v[68:69], v[90:91], v[86:87] op_sel:[1,1] op_sel_hi:[0,1]
	v_mov_b32_e32 v71, v65
	s_delay_alu instid0(VALU_DEP_3) | instskip(NEXT) | instid1(VALU_DEP_3)
	v_pk_add_f32 v[62:63], v[62:63], v[66:67]
	v_pk_fma_f32 v[64:65], v[90:91], v[86:87], v[68:69] op_sel_hi:[1,0,1]
	v_pk_fma_f32 v[66:67], v[90:91], v[86:87], v[68:69] neg_lo:[0,0,1] neg_hi:[0,0,1]
	s_delay_alu instid0(VALU_DEP_3) | instskip(NEXT) | instid1(VALU_DEP_3)
	v_pk_add_f32 v[62:63], v[62:63], v[70:71]
	v_mov_b32_e32 v67, v65
	s_delay_alu instid0(VALU_DEP_1) | instskip(SKIP_1) | instid1(VALU_DEP_1)
	v_pk_add_f32 v[62:63], v[62:63], v[66:67]
	s_wait_loadcnt 0x0
	v_pk_add_f32 v[62:63], v[88:89], v[62:63] neg_lo:[0,1] neg_hi:[0,1]
	scratch_store_b64 off, v[62:63], off offset:176
	s_wait_xcnt 0x0
	v_cmpx_lt_u32_e32 21, v0
	s_cbranch_execz .LBB93_151
; %bb.150:
	scratch_load_b64 v[62:63], off, off offset:168
	v_mov_b64_e32 v[64:65], 0
	scratch_store_b64 off, v[64:65], off offset:168
	s_wait_loadcnt 0x0
	ds_store_b64 v1, v[62:63]
.LBB93_151:
	s_wait_xcnt 0x0
	s_or_b32 exec_lo, exec_lo, s0
	s_wait_storecnt_dscnt 0x0
	s_barrier_signal -1
	s_barrier_wait -1
	s_clause 0x4
	scratch_load_b128 v[62:65], off, off offset:176
	scratch_load_b128 v[66:69], off, off offset:192
	;; [unrolled: 1-line block ×4, first 2 shown]
	scratch_load_b64 v[94:95], off, off offset:168
	ds_load_b128 v[78:81], v7 offset:416
	ds_load_b128 v[82:85], v7 offset:432
	;; [unrolled: 1-line block ×4, first 2 shown]
	s_mov_b32 s0, exec_lo
	s_wait_dscnt 0x3
	v_dual_mov_b32 v96, v81 :: v_dual_mov_b32 v97, v80
	s_wait_dscnt 0x2
	v_dual_mov_b32 v98, v85 :: v_dual_mov_b32 v99, v84
	;; [unrolled: 2-line block ×3, first 2 shown]
	v_dual_mov_b32 v101, v88 :: v_dual_mov_b32 v106, v93
	s_wait_loadcnt 0x4
	v_mov_b32_e32 v104, v65
	v_pk_mul_f32 v[102:103], v[78:79], v[62:63] op_sel:[1,1] op_sel_hi:[0,1]
	s_wait_loadcnt 0x3
	v_pk_mul_f32 v[108:109], v[82:83], v[66:67] op_sel:[1,1] op_sel_hi:[0,1]
	s_wait_loadcnt 0x2
	v_pk_mul_f32 v[112:113], v[86:87], v[70:71] op_sel:[1,1] op_sel_hi:[0,1]
	v_pk_mul_f32 v[96:97], v[96:97], v[104:105] op_sel_hi:[1,0]
	v_pk_fma_f32 v[110:111], v[78:79], v[62:63], v[102:103] op_sel_hi:[1,0,1]
	v_pk_fma_f32 v[62:63], v[78:79], v[62:63], v[102:103] neg_lo:[0,0,1] neg_hi:[0,0,1]
	v_mov_b32_e32 v104, v69
	v_pk_fma_f32 v[102:103], v[82:83], v[66:67], v[108:109] op_sel_hi:[1,0,1]
	v_pk_fma_f32 v[78:79], v[80:81], v[64:65], v[96:97] op_sel_hi:[1,0,1]
	v_mov_b32_e32 v63, v111
	v_pk_fma_f32 v[64:65], v[80:81], v[64:65], v[96:97] neg_lo:[0,0,1] neg_hi:[0,0,1]
	v_pk_mul_f32 v[98:99], v[98:99], v[104:105] op_sel_hi:[1,0]
	s_delay_alu instid0(VALU_DEP_4) | instskip(NEXT) | instid1(VALU_DEP_4)
	v_dual_mov_b32 v78, v73 :: v_dual_mov_b32 v65, v79
	v_pk_add_f32 v[62:63], v[62:63], 0 op_sel_hi:[1,0]
	v_pk_fma_f32 v[66:67], v[82:83], v[66:67], v[108:109] neg_lo:[0,0,1] neg_hi:[0,0,1]
	v_mov_b32_e32 v67, v103
	v_pk_fma_f32 v[80:81], v[84:85], v[68:69], v[98:99] op_sel_hi:[1,0,1]
	v_pk_mul_f32 v[78:79], v[100:101], v[78:79] op_sel_hi:[1,0]
	v_pk_add_f32 v[62:63], v[62:63], v[64:65]
	v_pk_fma_f32 v[64:65], v[86:87], v[70:71], v[112:113] op_sel_hi:[1,0,1]
	v_pk_fma_f32 v[68:69], v[84:85], v[68:69], v[98:99] neg_lo:[0,0,1] neg_hi:[0,0,1]
	v_mov_b32_e32 v69, v81
	v_pk_fma_f32 v[70:71], v[86:87], v[70:71], v[112:113] neg_lo:[0,0,1] neg_hi:[0,0,1]
	v_pk_add_f32 v[62:63], v[62:63], v[66:67]
	v_mov_b32_e32 v71, v65
	v_pk_fma_f32 v[64:65], v[88:89], v[72:73], v[78:79] op_sel_hi:[1,0,1]
	s_wait_loadcnt 0x1
	v_pk_mul_f32 v[66:67], v[90:91], v[74:75] op_sel:[1,1] op_sel_hi:[0,1]
	v_mov_b32_e32 v64, v77
	v_pk_add_f32 v[62:63], v[62:63], v[68:69]
	v_pk_fma_f32 v[72:73], v[88:89], v[72:73], v[78:79] neg_lo:[0,0,1] neg_hi:[0,0,1]
	v_mov_b32_e32 v73, v65
	v_pk_fma_f32 v[68:69], v[90:91], v[74:75], v[66:67] op_sel_hi:[1,0,1]
	v_pk_mul_f32 v[64:65], v[106:107], v[64:65] op_sel_hi:[1,0]
	v_pk_add_f32 v[62:63], v[62:63], v[70:71]
	v_pk_fma_f32 v[66:67], v[90:91], v[74:75], v[66:67] neg_lo:[0,0,1] neg_hi:[0,0,1]
	s_delay_alu instid0(VALU_DEP_4) | instskip(NEXT) | instid1(VALU_DEP_4)
	v_mov_b32_e32 v67, v69
	v_pk_fma_f32 v[68:69], v[92:93], v[76:77], v[64:65] op_sel_hi:[1,0,1]
	s_delay_alu instid0(VALU_DEP_4) | instskip(SKIP_1) | instid1(VALU_DEP_3)
	v_pk_add_f32 v[62:63], v[62:63], v[72:73]
	v_pk_fma_f32 v[64:65], v[92:93], v[76:77], v[64:65] neg_lo:[0,0,1] neg_hi:[0,0,1]
	v_mov_b32_e32 v65, v69
	s_delay_alu instid0(VALU_DEP_3) | instskip(NEXT) | instid1(VALU_DEP_1)
	v_pk_add_f32 v[62:63], v[62:63], v[66:67]
	v_pk_add_f32 v[62:63], v[62:63], v[64:65]
	s_wait_loadcnt 0x0
	s_delay_alu instid0(VALU_DEP_1)
	v_pk_add_f32 v[62:63], v[94:95], v[62:63] neg_lo:[0,1] neg_hi:[0,1]
	scratch_store_b64 off, v[62:63], off offset:168
	s_wait_xcnt 0x0
	v_cmpx_lt_u32_e32 20, v0
	s_cbranch_execz .LBB93_153
; %bb.152:
	scratch_load_b64 v[62:63], off, off offset:160
	v_mov_b64_e32 v[64:65], 0
	scratch_store_b64 off, v[64:65], off offset:160
	s_wait_loadcnt 0x0
	ds_store_b64 v1, v[62:63]
.LBB93_153:
	s_wait_xcnt 0x0
	s_or_b32 exec_lo, exec_lo, s0
	s_wait_storecnt_dscnt 0x0
	s_barrier_signal -1
	s_barrier_wait -1
	s_clause 0x5
	scratch_load_b128 v[62:65], off, off offset:168
	scratch_load_b128 v[66:69], off, off offset:184
	scratch_load_b128 v[70:73], off, off offset:200
	scratch_load_b128 v[74:77], off, off offset:216
	scratch_load_b64 v[94:95], off, off offset:232
	scratch_load_b64 v[96:97], off, off offset:160
	v_mov_b32_e32 v7, 0
	ds_load_2addr_b64 v[78:81], v7 offset0:51 offset1:52
	ds_load_2addr_b64 v[82:85], v7 offset0:53 offset1:54
	;; [unrolled: 1-line block ×4, first 2 shown]
	ds_load_b64 v[98:99], v7 offset:472
	s_mov_b32 s0, exec_lo
	s_wait_dscnt 0x4
	v_dual_mov_b32 v100, v81 :: v_dual_mov_b32 v101, v80
	s_wait_dscnt 0x1
	v_dual_mov_b32 v102, v85 :: v_dual_mov_b32 v107, v92
	v_dual_mov_b32 v103, v84 :: v_dual_mov_b32 v104, v89
	;; [unrolled: 1-line block ×3, first 2 shown]
	s_wait_loadcnt 0x5
	v_dual_mov_b32 v108, v65 :: v_dual_mul_f32 v109, v78, v63
	v_mul_f32_e32 v9, v79, v63
	s_wait_loadcnt 0x4
	v_pk_mul_f32 v[110:111], v[82:83], v[66:67] op_sel:[1,1] op_sel_hi:[0,1]
	v_mov_b32_e32 v112, v69
	s_wait_loadcnt 0x3
	v_pk_mul_f32 v[114:115], v[86:87], v[70:71] op_sel:[1,1] op_sel_hi:[0,1]
	v_pk_mul_f32 v[100:101], v[100:101], v[108:109] op_sel_hi:[1,0]
	v_fmac_f32_e32 v109, v79, v62
	v_dual_fma_f32 v108, v78, v62, -v9 :: v_dual_mov_b32 v62, v73
	v_pk_fma_f32 v[116:117], v[82:83], v[66:67], v[110:111] op_sel_hi:[1,0,1]
	s_delay_alu instid0(VALU_DEP_4)
	v_pk_fma_f32 v[78:79], v[80:81], v[64:65], v[100:101] op_sel_hi:[1,0,1]
	v_pk_fma_f32 v[64:65], v[80:81], v[64:65], v[100:101] neg_lo:[0,0,1] neg_hi:[0,0,1]
	v_pk_mul_f32 v[102:103], v[102:103], v[112:113] op_sel_hi:[1,0]
	v_pk_add_f32 v[108:109], v[108:109], 0 op_sel_hi:[1,0]
	v_pk_fma_f32 v[66:67], v[82:83], v[66:67], v[110:111] neg_lo:[0,0,1] neg_hi:[0,0,1]
	v_dual_mov_b32 v65, v79 :: v_dual_mov_b32 v67, v117
	s_delay_alu instid0(VALU_DEP_4) | instskip(SKIP_2) | instid1(VALU_DEP_4)
	v_pk_fma_f32 v[80:81], v[84:85], v[68:69], v[102:103] op_sel_hi:[1,0,1]
	v_pk_fma_f32 v[68:69], v[84:85], v[68:69], v[102:103] neg_lo:[0,0,1] neg_hi:[0,0,1]
	v_pk_fma_f32 v[82:83], v[86:87], v[70:71], v[114:115] op_sel_hi:[1,0,1]
	v_pk_add_f32 v[64:65], v[108:109], v[64:65]
	v_pk_mul_f32 v[62:63], v[104:105], v[62:63] op_sel_hi:[1,0]
	v_mov_b32_e32 v69, v81
	v_pk_fma_f32 v[70:71], v[86:87], v[70:71], v[114:115] neg_lo:[0,0,1] neg_hi:[0,0,1]
	s_wait_loadcnt 0x2
	v_pk_mul_f32 v[78:79], v[90:91], v[74:75] op_sel:[1,1] op_sel_hi:[0,1]
	v_pk_add_f32 v[64:65], v[64:65], v[66:67]
	v_mov_b32_e32 v66, v77
	v_pk_fma_f32 v[80:81], v[88:89], v[72:73], v[62:63] op_sel_hi:[1,0,1]
	v_mov_b32_e32 v71, v83
	v_pk_fma_f32 v[62:63], v[88:89], v[72:73], v[62:63] neg_lo:[0,0,1] neg_hi:[0,0,1]
	v_pk_add_f32 v[64:65], v[64:65], v[68:69]
	v_pk_fma_f32 v[68:69], v[90:91], v[74:75], v[78:79] op_sel_hi:[1,0,1]
	v_pk_mul_f32 v[66:67], v[106:107], v[66:67] op_sel_hi:[1,0]
	v_mov_b32_e32 v63, v81
	s_delay_alu instid0(VALU_DEP_4)
	v_pk_add_f32 v[64:65], v[64:65], v[70:71]
	v_pk_fma_f32 v[70:71], v[90:91], v[74:75], v[78:79] neg_lo:[0,0,1] neg_hi:[0,0,1]
	v_mov_b32_e32 v71, v69
	v_pk_fma_f32 v[68:69], v[92:93], v[76:77], v[66:67] op_sel_hi:[1,0,1]
	v_pk_fma_f32 v[66:67], v[92:93], v[76:77], v[66:67] neg_lo:[0,0,1] neg_hi:[0,0,1]
	v_pk_add_f32 v[62:63], v[64:65], v[62:63]
	s_wait_loadcnt_dscnt 0x100
	v_pk_mul_f32 v[64:65], v[98:99], v[94:95] op_sel:[1,1] op_sel_hi:[0,1]
	v_mov_b32_e32 v67, v69
	s_delay_alu instid0(VALU_DEP_3) | instskip(NEXT) | instid1(VALU_DEP_3)
	v_pk_add_f32 v[62:63], v[62:63], v[70:71]
	v_pk_fma_f32 v[68:69], v[98:99], v[94:95], v[64:65] op_sel_hi:[1,0,1]
	v_pk_fma_f32 v[64:65], v[98:99], v[94:95], v[64:65] neg_lo:[0,0,1] neg_hi:[0,0,1]
	s_delay_alu instid0(VALU_DEP_3) | instskip(NEXT) | instid1(VALU_DEP_3)
	v_pk_add_f32 v[62:63], v[62:63], v[66:67]
	v_mov_b32_e32 v65, v69
	s_delay_alu instid0(VALU_DEP_1) | instskip(SKIP_1) | instid1(VALU_DEP_1)
	v_pk_add_f32 v[62:63], v[62:63], v[64:65]
	s_wait_loadcnt 0x0
	v_pk_add_f32 v[62:63], v[96:97], v[62:63] neg_lo:[0,1] neg_hi:[0,1]
	scratch_store_b64 off, v[62:63], off offset:160
	s_wait_xcnt 0x0
	v_cmpx_lt_u32_e32 19, v0
	s_cbranch_execz .LBB93_155
; %bb.154:
	scratch_load_b64 v[62:63], off, off offset:152
	v_mov_b64_e32 v[64:65], 0
	scratch_store_b64 off, v[64:65], off offset:152
	s_wait_loadcnt 0x0
	ds_store_b64 v1, v[62:63]
.LBB93_155:
	s_wait_xcnt 0x0
	s_or_b32 exec_lo, exec_lo, s0
	s_wait_storecnt_dscnt 0x0
	s_barrier_signal -1
	s_barrier_wait -1
	s_clause 0x5
	scratch_load_b128 v[62:65], off, off offset:160
	scratch_load_b128 v[66:69], off, off offset:176
	;; [unrolled: 1-line block ×5, first 2 shown]
	scratch_load_b64 v[102:103], off, off offset:152
	ds_load_b128 v[82:85], v7 offset:416
	ds_load_b128 v[86:89], v7 offset:432
	;; [unrolled: 1-line block ×5, first 2 shown]
	s_mov_b32 s0, exec_lo
	s_wait_dscnt 0x4
	v_dual_mov_b32 v104, v85 :: v_dual_mov_b32 v105, v84
	s_wait_dscnt 0x3
	v_dual_mov_b32 v106, v89 :: v_dual_mov_b32 v107, v88
	;; [unrolled: 2-line block ×4, first 2 shown]
	s_wait_loadcnt_dscnt 0x500
	v_dual_mul_f32 v113, v98, v63 :: v_dual_mul_f32 v115, v100, v65
	v_dual_mul_f32 v7, v99, v63 :: v_dual_mul_f32 v9, v101, v65
	s_wait_loadcnt 0x4
	v_pk_mul_f32 v[116:117], v[82:83], v[66:67] op_sel:[1,1] op_sel_hi:[0,1]
	s_wait_loadcnt 0x3
	v_dual_mov_b32 v118, v69 :: v_dual_mov_b32 v122, v73
	v_dual_fmac_f32 v113, v99, v62 :: v_dual_fma_f32 v112, v98, v62, -v7
	v_dual_fmac_f32 v115, v101, v64 :: v_dual_fma_f32 v114, v100, v64, -v9
	v_pk_fma_f32 v[62:63], v[82:83], v[66:67], v[116:117] op_sel_hi:[1,0,1]
	s_delay_alu instid0(VALU_DEP_4) | instskip(NEXT) | instid1(VALU_DEP_4)
	v_pk_mul_f32 v[64:65], v[104:105], v[118:119] op_sel_hi:[1,0]
	v_pk_add_f32 v[98:99], v[112:113], 0 op_sel_hi:[1,0]
	v_pk_fma_f32 v[66:67], v[82:83], v[66:67], v[116:117] neg_lo:[0,0,1] neg_hi:[0,0,1]
	v_pk_mul_f32 v[120:121], v[86:87], v[70:71] op_sel:[1,1] op_sel_hi:[0,1]
	v_mov_b32_e32 v67, v63
	v_pk_fma_f32 v[62:63], v[84:85], v[68:69], v[64:65] op_sel_hi:[1,0,1]
	v_pk_add_f32 v[82:83], v[98:99], v[114:115]
	v_pk_fma_f32 v[64:65], v[84:85], v[68:69], v[64:65] neg_lo:[0,0,1] neg_hi:[0,0,1]
	v_pk_fma_f32 v[98:99], v[86:87], v[70:71], v[120:121] op_sel_hi:[1,0,1]
	v_pk_mul_f32 v[104:105], v[106:107], v[122:123] op_sel_hi:[1,0]
	v_mov_b32_e32 v65, v63
	v_pk_add_f32 v[62:63], v[82:83], v[66:67]
	s_wait_loadcnt 0x2
	v_pk_mul_f32 v[100:101], v[90:91], v[74:75] op_sel:[1,1] op_sel_hi:[0,1]
	v_mov_b32_e32 v66, v77
	v_pk_fma_f32 v[68:69], v[86:87], v[70:71], v[120:121] neg_lo:[0,0,1] neg_hi:[0,0,1]
	v_mov_b32_e32 v69, v99
	v_pk_fma_f32 v[70:71], v[88:89], v[72:73], v[104:105] op_sel_hi:[1,0,1]
	v_pk_add_f32 v[62:63], v[62:63], v[64:65]
	v_pk_fma_f32 v[64:65], v[90:91], v[74:75], v[100:101] op_sel_hi:[1,0,1]
	v_pk_mul_f32 v[66:67], v[108:109], v[66:67] op_sel_hi:[1,0]
	v_pk_fma_f32 v[72:73], v[88:89], v[72:73], v[104:105] neg_lo:[0,0,1] neg_hi:[0,0,1]
	v_mov_b32_e32 v73, v71
	v_pk_add_f32 v[62:63], v[62:63], v[68:69]
	v_pk_fma_f32 v[70:71], v[90:91], v[74:75], v[100:101] neg_lo:[0,0,1] neg_hi:[0,0,1]
	v_mov_b32_e32 v71, v65
	v_pk_fma_f32 v[64:65], v[92:93], v[76:77], v[66:67] op_sel_hi:[1,0,1]
	s_wait_loadcnt 0x1
	v_pk_mul_f32 v[68:69], v[94:95], v[78:79] op_sel:[1,1] op_sel_hi:[0,1]
	v_pk_add_f32 v[62:63], v[62:63], v[72:73]
	v_mov_b32_e32 v64, v81
	v_pk_fma_f32 v[66:67], v[92:93], v[76:77], v[66:67] neg_lo:[0,0,1] neg_hi:[0,0,1]
	v_mov_b32_e32 v67, v65
	v_pk_fma_f32 v[72:73], v[94:95], v[78:79], v[68:69] op_sel_hi:[1,0,1]
	v_pk_add_f32 v[62:63], v[62:63], v[70:71]
	v_pk_mul_f32 v[64:65], v[110:111], v[64:65] op_sel_hi:[1,0]
	v_pk_fma_f32 v[68:69], v[94:95], v[78:79], v[68:69] neg_lo:[0,0,1] neg_hi:[0,0,1]
	s_delay_alu instid0(VALU_DEP_3) | instskip(NEXT) | instid1(VALU_DEP_3)
	v_pk_add_f32 v[62:63], v[62:63], v[66:67]
	v_pk_fma_f32 v[66:67], v[96:97], v[80:81], v[64:65] op_sel_hi:[1,0,1]
	v_mov_b32_e32 v69, v73
	v_pk_fma_f32 v[64:65], v[96:97], v[80:81], v[64:65] neg_lo:[0,0,1] neg_hi:[0,0,1]
	s_delay_alu instid0(VALU_DEP_3) | instskip(NEXT) | instid1(VALU_DEP_3)
	v_mov_b32_e32 v65, v67
	v_pk_add_f32 v[62:63], v[62:63], v[68:69]
	s_delay_alu instid0(VALU_DEP_1) | instskip(SKIP_1) | instid1(VALU_DEP_1)
	v_pk_add_f32 v[62:63], v[62:63], v[64:65]
	s_wait_loadcnt 0x0
	v_pk_add_f32 v[62:63], v[102:103], v[62:63] neg_lo:[0,1] neg_hi:[0,1]
	scratch_store_b64 off, v[62:63], off offset:152
	s_wait_xcnt 0x0
	v_cmpx_lt_u32_e32 18, v0
	s_cbranch_execz .LBB93_157
; %bb.156:
	scratch_load_b64 v[62:63], off, off offset:144
	v_mov_b64_e32 v[64:65], 0
	scratch_store_b64 off, v[64:65], off offset:144
	s_wait_loadcnt 0x0
	ds_store_b64 v1, v[62:63]
.LBB93_157:
	s_wait_xcnt 0x0
	s_or_b32 exec_lo, exec_lo, s0
	s_wait_storecnt_dscnt 0x0
	s_barrier_signal -1
	s_barrier_wait -1
	s_clause 0x6
	scratch_load_b128 v[62:65], off, off offset:152
	scratch_load_b128 v[66:69], off, off offset:168
	;; [unrolled: 1-line block ×5, first 2 shown]
	scratch_load_b64 v[102:103], off, off offset:232
	scratch_load_b64 v[104:105], off, off offset:144
	v_mov_b32_e32 v7, 0
	ds_load_2addr_b64 v[82:85], v7 offset0:51 offset1:52
	ds_load_2addr_b64 v[86:89], v7 offset0:53 offset1:54
	;; [unrolled: 1-line block ×5, first 2 shown]
	ds_load_b64 v[106:107], v7 offset:472
	s_mov_b32 s0, exec_lo
	s_wait_dscnt 0x5
	v_dual_mov_b32 v108, v85 :: v_dual_mov_b32 v109, v84
	s_wait_dscnt 0x2
	v_dual_mov_b32 v110, v89 :: v_dual_mov_b32 v115, v96
	v_dual_mov_b32 v111, v88 :: v_dual_mov_b32 v112, v93
	;; [unrolled: 1-line block ×3, first 2 shown]
	s_wait_loadcnt_dscnt 0x601
	v_dual_mul_f32 v9, v98, v63 :: v_dual_mul_f32 v11, v99, v63
	v_dual_mul_f32 v13, v101, v65 :: v_dual_mul_f32 v117, v100, v65
	s_wait_loadcnt 0x5
	v_dual_mul_f32 v119, v82, v67 :: v_dual_mul_f32 v15, v83, v67
	s_wait_loadcnt 0x4
	v_dual_mov_b32 v118, v69 :: v_dual_mov_b32 v122, v73
	v_dual_fmac_f32 v9, v99, v62 :: v_dual_fma_f32 v11, v98, v62, -v11
	v_fmac_f32_e32 v117, v101, v64
	v_pk_mul_f32 v[120:121], v[86:87], v[70:71] op_sel:[1,1] op_sel_hi:[0,1]
	s_delay_alu instid0(VALU_DEP_3)
	v_dual_fma_f32 v116, v100, v64, -v13 :: v_dual_add_f32 v65, 0, v9
	v_pk_mul_f32 v[62:63], v[108:109], v[118:119] op_sel_hi:[1,0]
	s_wait_loadcnt 0x3
	v_dual_add_f32 v64, 0, v11 :: v_dual_mov_b32 v98, v77
	v_fmac_f32_e32 v119, v83, v66
	v_fma_f32 v118, v82, v66, -v15
	v_pk_fma_f32 v[66:67], v[84:85], v[68:69], v[62:63] op_sel_hi:[1,0,1]
	s_delay_alu instid0(VALU_DEP_4) | instskip(SKIP_4) | instid1(VALU_DEP_4)
	v_pk_add_f32 v[64:65], v[64:65], v[116:117]
	v_pk_fma_f32 v[82:83], v[86:87], v[70:71], v[120:121] op_sel_hi:[1,0,1]
	v_pk_fma_f32 v[62:63], v[84:85], v[68:69], v[62:63] neg_lo:[0,0,1] neg_hi:[0,0,1]
	v_pk_fma_f32 v[68:69], v[86:87], v[70:71], v[120:121] neg_lo:[0,0,1] neg_hi:[0,0,1]
	v_pk_mul_f32 v[100:101], v[110:111], v[122:123] op_sel_hi:[1,0]
	v_dual_mov_b32 v63, v67 :: v_dual_mov_b32 v69, v83
	v_pk_add_f32 v[64:65], v[64:65], v[118:119]
	v_pk_mul_f32 v[124:125], v[90:91], v[74:75] op_sel:[1,1] op_sel_hi:[0,1]
	s_delay_alu instid0(VALU_DEP_4)
	v_pk_fma_f32 v[70:71], v[88:89], v[72:73], v[100:101] op_sel_hi:[1,0,1]
	v_pk_fma_f32 v[72:73], v[88:89], v[72:73], v[100:101] neg_lo:[0,0,1] neg_hi:[0,0,1]
	v_pk_mul_f32 v[82:83], v[112:113], v[98:99] op_sel_hi:[1,0]
	v_pk_add_f32 v[62:63], v[64:65], v[62:63]
	v_pk_fma_f32 v[64:65], v[90:91], v[74:75], v[124:125] op_sel_hi:[1,0,1]
	s_wait_loadcnt 0x2
	v_dual_mov_b32 v73, v71 :: v_dual_mov_b32 v64, v81
	v_pk_mul_f32 v[66:67], v[94:95], v[78:79] op_sel:[1,1] op_sel_hi:[0,1]
	v_pk_add_f32 v[62:63], v[62:63], v[68:69]
	v_pk_fma_f32 v[68:69], v[90:91], v[74:75], v[124:125] neg_lo:[0,0,1] neg_hi:[0,0,1]
	v_pk_fma_f32 v[70:71], v[92:93], v[76:77], v[82:83] op_sel_hi:[1,0,1]
	v_mov_b32_e32 v69, v65
	v_pk_fma_f32 v[74:75], v[92:93], v[76:77], v[82:83] neg_lo:[0,0,1] neg_hi:[0,0,1]
	v_pk_add_f32 v[62:63], v[62:63], v[72:73]
	v_pk_fma_f32 v[72:73], v[94:95], v[78:79], v[66:67] op_sel_hi:[1,0,1]
	v_pk_mul_f32 v[64:65], v[114:115], v[64:65] op_sel_hi:[1,0]
	v_mov_b32_e32 v75, v71
	v_pk_fma_f32 v[66:67], v[94:95], v[78:79], v[66:67] neg_lo:[0,0,1] neg_hi:[0,0,1]
	v_pk_add_f32 v[62:63], v[62:63], v[68:69]
	s_wait_loadcnt_dscnt 0x100
	v_pk_mul_f32 v[70:71], v[106:107], v[102:103] op_sel:[1,1] op_sel_hi:[0,1]
	v_pk_fma_f32 v[68:69], v[96:97], v[80:81], v[64:65] op_sel_hi:[1,0,1]
	v_mov_b32_e32 v67, v73
	v_pk_fma_f32 v[64:65], v[96:97], v[80:81], v[64:65] neg_lo:[0,0,1] neg_hi:[0,0,1]
	v_pk_add_f32 v[62:63], v[62:63], v[74:75]
	s_delay_alu instid0(VALU_DEP_4) | instskip(SKIP_1) | instid1(VALU_DEP_3)
	v_mov_b32_e32 v65, v69
	v_pk_fma_f32 v[68:69], v[106:107], v[102:103], v[70:71] neg_lo:[0,0,1] neg_hi:[0,0,1]
	v_pk_add_f32 v[62:63], v[62:63], v[66:67]
	v_pk_fma_f32 v[66:67], v[106:107], v[102:103], v[70:71] op_sel_hi:[1,0,1]
	s_delay_alu instid0(VALU_DEP_2) | instskip(NEXT) | instid1(VALU_DEP_2)
	v_pk_add_f32 v[62:63], v[62:63], v[64:65]
	v_mov_b32_e32 v69, v67
	s_delay_alu instid0(VALU_DEP_1) | instskip(SKIP_1) | instid1(VALU_DEP_1)
	v_pk_add_f32 v[62:63], v[62:63], v[68:69]
	s_wait_loadcnt 0x0
	v_pk_add_f32 v[62:63], v[104:105], v[62:63] neg_lo:[0,1] neg_hi:[0,1]
	scratch_store_b64 off, v[62:63], off offset:144
	s_wait_xcnt 0x0
	v_cmpx_lt_u32_e32 17, v0
	s_cbranch_execz .LBB93_159
; %bb.158:
	scratch_load_b64 v[62:63], off, off offset:136
	v_mov_b64_e32 v[64:65], 0
	scratch_store_b64 off, v[64:65], off offset:136
	s_wait_loadcnt 0x0
	ds_store_b64 v1, v[62:63]
.LBB93_159:
	s_wait_xcnt 0x0
	s_or_b32 exec_lo, exec_lo, s0
	s_wait_storecnt_dscnt 0x0
	s_barrier_signal -1
	s_barrier_wait -1
	s_clause 0x6
	scratch_load_b128 v[62:65], off, off offset:144
	scratch_load_b128 v[66:69], off, off offset:160
	;; [unrolled: 1-line block ×6, first 2 shown]
	scratch_load_b64 v[110:111], off, off offset:136
	ds_load_b128 v[86:89], v7 offset:416
	ds_load_b128 v[90:93], v7 offset:432
	;; [unrolled: 1-line block ×6, first 2 shown]
	s_mov_b32 s0, exec_lo
	s_wait_dscnt 0x5
	v_dual_mov_b32 v112, v89 :: v_dual_mov_b32 v113, v88
	s_wait_dscnt 0x4
	v_dual_mov_b32 v114, v93 :: v_dual_mov_b32 v115, v92
	;; [unrolled: 2-line block ×4, first 2 shown]
	s_wait_loadcnt_dscnt 0x601
	v_dual_mul_f32 v7, v102, v63 :: v_dual_mul_f32 v9, v104, v65
	v_dual_mul_f32 v11, v103, v63 :: v_dual_mul_f32 v13, v105, v65
	s_wait_loadcnt 0x4
	s_delay_alu instid0(VALU_DEP_2)
	v_dual_mov_b32 v126, v73 :: v_dual_fmac_f32 v7, v103, v62
	s_wait_dscnt 0x0
	v_dual_mul_f32 v121, v106, v67 :: v_dual_mul_f32 v123, v108, v69
	v_dual_fma_f32 v11, v102, v62, -v11 :: v_dual_fmac_f32 v9, v105, v64
	v_dual_mul_f32 v15, v107, v67 :: v_dual_mul_f32 v17, v109, v69
	v_dual_fma_f32 v13, v104, v64, -v13 :: v_dual_add_f32 v7, 0, v7
	s_wait_loadcnt 0x3
	s_delay_alu instid0(VALU_DEP_3) | instskip(SKIP_3) | instid1(VALU_DEP_4)
	v_dual_add_f32 v11, 0, v11 :: v_dual_mov_b32 v64, v77
	v_pk_mul_f32 v[124:125], v[86:87], v[70:71] op_sel:[1,1] op_sel_hi:[0,1]
	v_dual_fmac_f32 v121, v107, v66 :: v_dual_fma_f32 v120, v106, v66, -v15
	v_dual_add_f32 v67, v7, v9 :: v_dual_fmac_f32 v123, v109, v68
	v_dual_add_f32 v66, v11, v13 :: v_dual_fma_f32 v122, v108, v68, -v17
	s_delay_alu instid0(VALU_DEP_4) | instskip(SKIP_2) | instid1(VALU_DEP_4)
	v_pk_fma_f32 v[68:69], v[86:87], v[70:71], v[124:125] op_sel_hi:[1,0,1]
	v_pk_mul_f32 v[102:103], v[112:113], v[126:127] op_sel_hi:[1,0]
	v_pk_fma_f32 v[70:71], v[86:87], v[70:71], v[124:125] neg_lo:[0,0,1] neg_hi:[0,0,1]
	v_pk_add_f32 v[66:67], v[66:67], v[120:121]
	v_pk_mul_f32 v[62:63], v[90:91], v[74:75] op_sel:[1,1] op_sel_hi:[0,1]
	v_mov_b32_e32 v71, v69
	v_pk_fma_f32 v[68:69], v[88:89], v[72:73], v[102:103] op_sel_hi:[1,0,1]
	v_pk_fma_f32 v[72:73], v[88:89], v[72:73], v[102:103] neg_lo:[0,0,1] neg_hi:[0,0,1]
	v_pk_add_f32 v[66:67], v[66:67], v[122:123]
	v_pk_fma_f32 v[86:87], v[90:91], v[74:75], v[62:63] op_sel_hi:[1,0,1]
	v_pk_mul_f32 v[64:65], v[114:115], v[64:65] op_sel_hi:[1,0]
	v_mov_b32_e32 v73, v69
	v_pk_fma_f32 v[62:63], v[90:91], v[74:75], v[62:63] neg_lo:[0,0,1] neg_hi:[0,0,1]
	v_pk_add_f32 v[66:67], v[66:67], v[70:71]
	s_wait_loadcnt 0x2
	v_pk_mul_f32 v[104:105], v[94:95], v[78:79] op_sel:[1,1] op_sel_hi:[0,1]
	v_dual_mov_b32 v68, v81 :: v_dual_mov_b32 v63, v87
	v_pk_fma_f32 v[70:71], v[92:93], v[76:77], v[64:65] op_sel_hi:[1,0,1]
	v_pk_add_f32 v[66:67], v[66:67], v[72:73]
	v_pk_fma_f32 v[64:65], v[92:93], v[76:77], v[64:65] neg_lo:[0,0,1] neg_hi:[0,0,1]
	v_pk_fma_f32 v[72:73], v[94:95], v[78:79], v[104:105] op_sel_hi:[1,0,1]
	v_pk_mul_f32 v[68:69], v[116:117], v[68:69] op_sel_hi:[1,0]
	v_mov_b32_e32 v65, v71
	v_pk_add_f32 v[62:63], v[66:67], v[62:63]
	v_pk_fma_f32 v[70:71], v[94:95], v[78:79], v[104:105] neg_lo:[0,0,1] neg_hi:[0,0,1]
	s_wait_loadcnt 0x1
	v_pk_mul_f32 v[66:67], v[98:99], v[82:83] op_sel:[1,1] op_sel_hi:[0,1]
	v_mov_b32_e32 v71, v73
	v_pk_fma_f32 v[72:73], v[96:97], v[80:81], v[68:69] op_sel_hi:[1,0,1]
	v_pk_add_f32 v[62:63], v[62:63], v[64:65]
	v_mov_b32_e32 v64, v85
	v_pk_fma_f32 v[68:69], v[96:97], v[80:81], v[68:69] neg_lo:[0,0,1] neg_hi:[0,0,1]
	v_pk_fma_f32 v[74:75], v[98:99], v[82:83], v[66:67] op_sel_hi:[1,0,1]
	v_mov_b32_e32 v69, v73
	v_pk_add_f32 v[62:63], v[62:63], v[70:71]
	v_pk_mul_f32 v[64:65], v[118:119], v[64:65] op_sel_hi:[1,0]
	v_pk_fma_f32 v[66:67], v[98:99], v[82:83], v[66:67] neg_lo:[0,0,1] neg_hi:[0,0,1]
	s_delay_alu instid0(VALU_DEP_3) | instskip(NEXT) | instid1(VALU_DEP_3)
	v_pk_add_f32 v[62:63], v[62:63], v[68:69]
	v_pk_fma_f32 v[68:69], v[100:101], v[84:85], v[64:65] op_sel_hi:[1,0,1]
	v_mov_b32_e32 v67, v75
	v_pk_fma_f32 v[64:65], v[100:101], v[84:85], v[64:65] neg_lo:[0,0,1] neg_hi:[0,0,1]
	s_delay_alu instid0(VALU_DEP_3) | instskip(NEXT) | instid1(VALU_DEP_3)
	v_mov_b32_e32 v65, v69
	v_pk_add_f32 v[62:63], v[62:63], v[66:67]
	s_delay_alu instid0(VALU_DEP_1) | instskip(SKIP_1) | instid1(VALU_DEP_1)
	v_pk_add_f32 v[62:63], v[62:63], v[64:65]
	s_wait_loadcnt 0x0
	v_pk_add_f32 v[62:63], v[110:111], v[62:63] neg_lo:[0,1] neg_hi:[0,1]
	scratch_store_b64 off, v[62:63], off offset:136
	s_wait_xcnt 0x0
	v_cmpx_lt_u32_e32 16, v0
	s_cbranch_execz .LBB93_161
; %bb.160:
	scratch_load_b64 v[62:63], off, off offset:128
	v_mov_b64_e32 v[64:65], 0
	scratch_store_b64 off, v[64:65], off offset:128
	s_wait_loadcnt 0x0
	ds_store_b64 v1, v[62:63]
.LBB93_161:
	s_wait_xcnt 0x0
	s_or_b32 exec_lo, exec_lo, s0
	s_wait_storecnt_dscnt 0x0
	s_barrier_signal -1
	s_barrier_wait -1
	s_clause 0x7
	scratch_load_b128 v[62:65], off, off offset:136
	scratch_load_b128 v[66:69], off, off offset:152
	;; [unrolled: 1-line block ×6, first 2 shown]
	scratch_load_b64 v[110:111], off, off offset:232
	scratch_load_b64 v[112:113], off, off offset:128
	v_mov_b32_e32 v7, 0
	ds_load_2addr_b64 v[86:89], v7 offset0:51 offset1:52
	ds_load_2addr_b64 v[90:93], v7 offset0:53 offset1:54
	;; [unrolled: 1-line block ×6, first 2 shown]
	ds_load_b64 v[114:115], v7 offset:472
	s_mov_b32 s0, exec_lo
	s_wait_dscnt 0x6
	v_dual_mov_b32 v116, v89 :: v_dual_mov_b32 v117, v88
	s_wait_dscnt 0x3
	v_dual_mov_b32 v118, v93 :: v_dual_mov_b32 v123, v100
	v_dual_mov_b32 v119, v92 :: v_dual_mov_b32 v120, v97
	;; [unrolled: 1-line block ×3, first 2 shown]
	s_wait_loadcnt_dscnt 0x702
	v_dual_mul_f32 v9, v102, v63 :: v_dual_mul_f32 v15, v103, v63
	v_dual_mul_f32 v17, v105, v65 :: v_dual_mul_f32 v11, v104, v65
	s_wait_loadcnt_dscnt 0x601
	s_delay_alu instid0(VALU_DEP_2) | instskip(NEXT) | instid1(VALU_DEP_3)
	v_dual_mul_f32 v13, v106, v67 :: v_dual_fmac_f32 v9, v103, v62
	v_dual_fma_f32 v15, v102, v62, -v15 :: v_dual_mul_f32 v19, v107, v67
	v_mul_f32_e32 v21, v109, v69
	s_wait_loadcnt 0x4
	v_dual_mov_b32 v62, v77 :: v_dual_fma_f32 v17, v104, v64, -v17
	v_dual_fmac_f32 v11, v105, v64 :: v_dual_add_f32 v9, 0, v9
	v_dual_add_f32 v15, 0, v15 :: v_dual_fmac_f32 v13, v107, v66
	v_dual_mul_f32 v125, v108, v69 :: v_dual_mul_f32 v127, v86, v71
	v_dual_mul_f32 v23, v87, v71 :: v_dual_mov_b32 v126, v73
	s_delay_alu instid0(VALU_DEP_4) | instskip(NEXT) | instid1(VALU_DEP_3)
	v_dual_fma_f32 v19, v106, v66, -v19 :: v_dual_add_f32 v9, v9, v11
	v_dual_add_f32 v11, v15, v17 :: v_dual_fmac_f32 v125, v109, v68
	v_pk_mul_f32 v[128:129], v[90:91], v[74:75] op_sel:[1,1] op_sel_hi:[0,1]
	s_delay_alu instid0(VALU_DEP_3)
	v_dual_fma_f32 v124, v108, v68, -v21 :: v_dual_add_f32 v69, v9, v13
	v_pk_mul_f32 v[66:67], v[116:117], v[126:127] op_sel_hi:[1,0]
	s_wait_loadcnt 0x3
	v_dual_add_f32 v68, v11, v19 :: v_dual_mov_b32 v102, v81
	v_fmac_f32_e32 v127, v87, v70
	v_fma_f32 v126, v86, v70, -v23
	v_pk_fma_f32 v[70:71], v[88:89], v[72:73], v[66:67] op_sel_hi:[1,0,1]
	s_delay_alu instid0(VALU_DEP_4) | instskip(SKIP_4) | instid1(VALU_DEP_4)
	v_pk_add_f32 v[68:69], v[68:69], v[124:125]
	v_pk_fma_f32 v[86:87], v[90:91], v[74:75], v[128:129] op_sel_hi:[1,0,1]
	v_pk_fma_f32 v[66:67], v[88:89], v[72:73], v[66:67] neg_lo:[0,0,1] neg_hi:[0,0,1]
	v_pk_fma_f32 v[72:73], v[90:91], v[74:75], v[128:129] neg_lo:[0,0,1] neg_hi:[0,0,1]
	v_pk_mul_f32 v[62:63], v[118:119], v[62:63] op_sel_hi:[1,0]
	v_dual_mov_b32 v67, v71 :: v_dual_mov_b32 v73, v87
	v_pk_add_f32 v[68:69], v[68:69], v[126:127]
	v_pk_mul_f32 v[64:65], v[94:95], v[78:79] op_sel:[1,1] op_sel_hi:[0,1]
	s_delay_alu instid0(VALU_DEP_4)
	v_pk_fma_f32 v[74:75], v[92:93], v[76:77], v[62:63] op_sel_hi:[1,0,1]
	v_pk_fma_f32 v[62:63], v[92:93], v[76:77], v[62:63] neg_lo:[0,0,1] neg_hi:[0,0,1]
	v_pk_mul_f32 v[86:87], v[120:121], v[102:103] op_sel_hi:[1,0]
	v_pk_add_f32 v[66:67], v[68:69], v[66:67]
	v_pk_fma_f32 v[68:69], v[94:95], v[78:79], v[64:65] op_sel_hi:[1,0,1]
	s_wait_loadcnt 0x2
	v_dual_mov_b32 v63, v75 :: v_dual_mov_b32 v68, v85
	v_pk_fma_f32 v[64:65], v[94:95], v[78:79], v[64:65] neg_lo:[0,0,1] neg_hi:[0,0,1]
	v_pk_add_f32 v[66:67], v[66:67], v[72:73]
	v_pk_mul_f32 v[70:71], v[98:99], v[82:83] op_sel:[1,1] op_sel_hi:[0,1]
	v_pk_fma_f32 v[72:73], v[96:97], v[80:81], v[86:87] op_sel_hi:[1,0,1]
	v_mov_b32_e32 v65, v69
	v_pk_fma_f32 v[74:75], v[96:97], v[80:81], v[86:87] neg_lo:[0,0,1] neg_hi:[0,0,1]
	v_pk_add_f32 v[62:63], v[66:67], v[62:63]
	v_pk_fma_f32 v[66:67], v[98:99], v[82:83], v[70:71] op_sel_hi:[1,0,1]
	v_pk_mul_f32 v[68:69], v[122:123], v[68:69] op_sel_hi:[1,0]
	v_mov_b32_e32 v75, v73
	s_delay_alu instid0(VALU_DEP_4)
	v_pk_add_f32 v[62:63], v[62:63], v[64:65]
	v_pk_fma_f32 v[64:65], v[98:99], v[82:83], v[70:71] neg_lo:[0,0,1] neg_hi:[0,0,1]
	v_mov_b32_e32 v65, v67
	v_pk_fma_f32 v[66:67], v[100:101], v[84:85], v[68:69] op_sel_hi:[1,0,1]
	s_wait_loadcnt_dscnt 0x100
	v_pk_mul_f32 v[70:71], v[114:115], v[110:111] op_sel:[1,1] op_sel_hi:[0,1]
	v_pk_add_f32 v[62:63], v[62:63], v[74:75]
	v_pk_fma_f32 v[68:69], v[100:101], v[84:85], v[68:69] neg_lo:[0,0,1] neg_hi:[0,0,1]
	v_mov_b32_e32 v69, v67
	s_delay_alu instid0(VALU_DEP_4) | instskip(NEXT) | instid1(VALU_DEP_4)
	v_pk_fma_f32 v[66:67], v[114:115], v[110:111], v[70:71] neg_lo:[0,0,1] neg_hi:[0,0,1]
	v_pk_add_f32 v[62:63], v[62:63], v[64:65]
	v_pk_fma_f32 v[64:65], v[114:115], v[110:111], v[70:71] op_sel_hi:[1,0,1]
	s_delay_alu instid0(VALU_DEP_2) | instskip(NEXT) | instid1(VALU_DEP_2)
	v_pk_add_f32 v[62:63], v[62:63], v[68:69]
	v_mov_b32_e32 v67, v65
	s_delay_alu instid0(VALU_DEP_1) | instskip(SKIP_1) | instid1(VALU_DEP_1)
	v_pk_add_f32 v[62:63], v[62:63], v[66:67]
	s_wait_loadcnt 0x0
	v_pk_add_f32 v[62:63], v[112:113], v[62:63] neg_lo:[0,1] neg_hi:[0,1]
	scratch_store_b64 off, v[62:63], off offset:128
	s_wait_xcnt 0x0
	v_cmpx_lt_u32_e32 15, v0
	s_cbranch_execz .LBB93_163
; %bb.162:
	scratch_load_b64 v[62:63], off, off offset:120
	v_mov_b64_e32 v[64:65], 0
	scratch_store_b64 off, v[64:65], off offset:120
	s_wait_loadcnt 0x0
	ds_store_b64 v1, v[62:63]
.LBB93_163:
	s_wait_xcnt 0x0
	s_or_b32 exec_lo, exec_lo, s0
	s_wait_storecnt_dscnt 0x0
	s_barrier_signal -1
	s_barrier_wait -1
	s_clause 0x7
	scratch_load_b128 v[62:65], off, off offset:128
	scratch_load_b128 v[66:69], off, off offset:144
	;; [unrolled: 1-line block ×7, first 2 shown]
	scratch_load_b64 v[118:119], off, off offset:120
	ds_load_b128 v[90:93], v7 offset:416
	ds_load_b128 v[94:97], v7 offset:432
	;; [unrolled: 1-line block ×7, first 2 shown]
	s_mov_b32 s0, exec_lo
	s_wait_dscnt 0x6
	v_dual_mov_b32 v120, v93 :: v_dual_mov_b32 v121, v92
	s_wait_dscnt 0x5
	v_dual_mov_b32 v122, v97 :: v_dual_mov_b32 v123, v96
	;; [unrolled: 2-line block ×4, first 2 shown]
	s_wait_loadcnt_dscnt 0x702
	v_dual_mul_f32 v7, v106, v63 :: v_dual_mul_f32 v9, v108, v65
	v_dual_mul_f32 v15, v107, v63 :: v_dual_mul_f32 v17, v109, v65
	s_wait_loadcnt_dscnt 0x601
	v_dual_mul_f32 v11, v110, v67 :: v_dual_mul_f32 v13, v112, v69
	s_delay_alu instid0(VALU_DEP_3) | instskip(NEXT) | instid1(VALU_DEP_3)
	v_dual_fmac_f32 v7, v107, v62 :: v_dual_fmac_f32 v9, v109, v64
	v_dual_fma_f32 v15, v106, v62, -v15 :: v_dual_fma_f32 v17, v108, v64, -v17
	v_dual_mul_f32 v19, v111, v67 :: v_dual_mul_f32 v21, v113, v69
	s_wait_loadcnt 0x4
	s_delay_alu instid0(VALU_DEP_3) | instskip(NEXT) | instid1(VALU_DEP_3)
	v_dual_add_f32 v7, 0, v7 :: v_dual_mov_b32 v64, v77
	v_dual_add_f32 v15, 0, v15 :: v_dual_fmac_f32 v11, v111, v66
	s_delay_alu instid0(VALU_DEP_2) | instskip(SKIP_2) | instid1(VALU_DEP_3)
	v_dual_fma_f32 v19, v110, v66, -v19 :: v_dual_add_f32 v7, v7, v9
	s_wait_dscnt 0x0
	v_dual_mul_f32 v129, v114, v71 :: v_dual_mul_f32 v131, v116, v73
	v_dual_add_f32 v9, v15, v17 :: v_dual_fmac_f32 v13, v113, v68
	v_dual_mul_f32 v23, v115, v71 :: v_dual_mul_f32 v25, v117, v73
	v_dual_fma_f32 v15, v112, v68, -v21 :: v_dual_add_f32 v7, v7, v11
	s_delay_alu instid0(VALU_DEP_3) | instskip(SKIP_3) | instid1(VALU_DEP_3)
	v_dual_add_f32 v9, v9, v19 :: v_dual_fmac_f32 v129, v115, v70
	v_pk_mul_f32 v[62:63], v[90:91], v[74:75] op_sel:[1,1] op_sel_hi:[0,1]
	s_wait_loadcnt 0x3
	v_dual_mov_b32 v68, v81 :: v_dual_fma_f32 v128, v114, v70, -v23
	v_dual_add_f32 v71, v7, v13 :: v_dual_add_f32 v70, v9, v15
	v_dual_fmac_f32 v131, v117, v72 :: v_dual_fma_f32 v130, v116, v72, -v25
	v_pk_fma_f32 v[72:73], v[90:91], v[74:75], v[62:63] op_sel_hi:[1,0,1]
	v_pk_mul_f32 v[64:65], v[120:121], v[64:65] op_sel_hi:[1,0]
	s_delay_alu instid0(VALU_DEP_4)
	v_pk_add_f32 v[70:71], v[70:71], v[128:129]
	v_pk_fma_f32 v[62:63], v[90:91], v[74:75], v[62:63] neg_lo:[0,0,1] neg_hi:[0,0,1]
	v_pk_mul_f32 v[66:67], v[94:95], v[78:79] op_sel:[1,1] op_sel_hi:[0,1]
	v_mov_b32_e32 v63, v73
	v_pk_fma_f32 v[72:73], v[92:93], v[76:77], v[64:65] op_sel_hi:[1,0,1]
	v_pk_add_f32 v[70:71], v[70:71], v[130:131]
	v_pk_fma_f32 v[64:65], v[92:93], v[76:77], v[64:65] neg_lo:[0,0,1] neg_hi:[0,0,1]
	v_pk_fma_f32 v[74:75], v[94:95], v[78:79], v[66:67] op_sel_hi:[1,0,1]
	v_pk_mul_f32 v[68:69], v[122:123], v[68:69] op_sel_hi:[1,0]
	v_mov_b32_e32 v65, v73
	v_pk_add_f32 v[62:63], v[70:71], v[62:63]
	s_wait_loadcnt 0x2
	v_pk_mul_f32 v[106:107], v[98:99], v[82:83] op_sel:[1,1] op_sel_hi:[0,1]
	v_mov_b32_e32 v70, v85
	v_pk_fma_f32 v[66:67], v[94:95], v[78:79], v[66:67] neg_lo:[0,0,1] neg_hi:[0,0,1]
	v_mov_b32_e32 v67, v75
	v_pk_fma_f32 v[72:73], v[96:97], v[80:81], v[68:69] op_sel_hi:[1,0,1]
	v_pk_add_f32 v[62:63], v[62:63], v[64:65]
	v_pk_fma_f32 v[64:65], v[98:99], v[82:83], v[106:107] op_sel_hi:[1,0,1]
	v_pk_mul_f32 v[70:71], v[124:125], v[70:71] op_sel_hi:[1,0]
	v_pk_fma_f32 v[68:69], v[96:97], v[80:81], v[68:69] neg_lo:[0,0,1] neg_hi:[0,0,1]
	v_mov_b32_e32 v69, v73
	v_pk_add_f32 v[62:63], v[62:63], v[66:67]
	v_pk_fma_f32 v[72:73], v[98:99], v[82:83], v[106:107] neg_lo:[0,0,1] neg_hi:[0,0,1]
	v_mov_b32_e32 v73, v65
	v_pk_fma_f32 v[64:65], v[100:101], v[84:85], v[70:71] op_sel_hi:[1,0,1]
	s_wait_loadcnt 0x1
	v_pk_mul_f32 v[66:67], v[102:103], v[86:87] op_sel:[1,1] op_sel_hi:[0,1]
	v_pk_add_f32 v[62:63], v[62:63], v[68:69]
	v_mov_b32_e32 v64, v89
	v_pk_fma_f32 v[70:71], v[100:101], v[84:85], v[70:71] neg_lo:[0,0,1] neg_hi:[0,0,1]
	v_mov_b32_e32 v71, v65
	v_pk_fma_f32 v[68:69], v[102:103], v[86:87], v[66:67] op_sel_hi:[1,0,1]
	v_pk_add_f32 v[62:63], v[62:63], v[72:73]
	v_pk_mul_f32 v[64:65], v[126:127], v[64:65] op_sel_hi:[1,0]
	v_pk_fma_f32 v[66:67], v[102:103], v[86:87], v[66:67] neg_lo:[0,0,1] neg_hi:[0,0,1]
	s_delay_alu instid0(VALU_DEP_4) | instskip(NEXT) | instid1(VALU_DEP_4)
	v_mov_b32_e32 v67, v69
	v_pk_add_f32 v[62:63], v[62:63], v[70:71]
	s_delay_alu instid0(VALU_DEP_4) | instskip(SKIP_1) | instid1(VALU_DEP_2)
	v_pk_fma_f32 v[68:69], v[104:105], v[88:89], v[64:65] op_sel_hi:[1,0,1]
	v_pk_fma_f32 v[64:65], v[104:105], v[88:89], v[64:65] neg_lo:[0,0,1] neg_hi:[0,0,1]
	v_mov_b32_e32 v65, v69
	s_delay_alu instid0(VALU_DEP_4) | instskip(NEXT) | instid1(VALU_DEP_1)
	v_pk_add_f32 v[62:63], v[62:63], v[66:67]
	v_pk_add_f32 v[62:63], v[62:63], v[64:65]
	s_wait_loadcnt 0x0
	s_delay_alu instid0(VALU_DEP_1)
	v_pk_add_f32 v[62:63], v[118:119], v[62:63] neg_lo:[0,1] neg_hi:[0,1]
	scratch_store_b64 off, v[62:63], off offset:120
	s_wait_xcnt 0x0
	v_cmpx_lt_u32_e32 14, v0
	s_cbranch_execz .LBB93_165
; %bb.164:
	scratch_load_b64 v[62:63], off, off offset:112
	v_mov_b64_e32 v[64:65], 0
	scratch_store_b64 off, v[64:65], off offset:112
	s_wait_loadcnt 0x0
	ds_store_b64 v1, v[62:63]
.LBB93_165:
	s_wait_xcnt 0x0
	s_or_b32 exec_lo, exec_lo, s0
	s_wait_storecnt_dscnt 0x0
	s_barrier_signal -1
	s_barrier_wait -1
	s_clause 0x8
	scratch_load_b128 v[62:65], off, off offset:120
	scratch_load_b128 v[66:69], off, off offset:136
	;; [unrolled: 1-line block ×7, first 2 shown]
	scratch_load_b64 v[118:119], off, off offset:232
	scratch_load_b64 v[120:121], off, off offset:112
	v_mov_b32_e32 v7, 0
	ds_load_2addr_b64 v[90:93], v7 offset0:51 offset1:52
	ds_load_2addr_b64 v[94:97], v7 offset0:53 offset1:54
	;; [unrolled: 1-line block ×7, first 2 shown]
	ds_load_b64 v[122:123], v7 offset:472
	s_mov_b32 s0, exec_lo
	s_wait_dscnt 0x7
	v_dual_mov_b32 v124, v93 :: v_dual_mov_b32 v125, v92
	s_wait_dscnt 0x4
	v_dual_mov_b32 v126, v97 :: v_dual_mov_b32 v131, v104
	v_dual_mov_b32 v127, v96 :: v_dual_mov_b32 v128, v101
	;; [unrolled: 1-line block ×3, first 2 shown]
	s_wait_loadcnt_dscnt 0x803
	v_dual_mul_f32 v9, v106, v63 :: v_dual_mul_f32 v19, v107, v63
	v_dual_mul_f32 v21, v109, v65 :: v_dual_mul_f32 v11, v108, v65
	s_wait_loadcnt_dscnt 0x702
	v_mul_f32_e32 v13, v110, v67
	s_wait_loadcnt 0x5
	v_dual_mul_f32 v31, v91, v75 :: v_dual_fma_f32 v19, v106, v62, -v19
	v_dual_fmac_f32 v9, v107, v62 :: v_dual_mov_b32 v62, v77
	v_dual_mul_f32 v23, v111, v67 :: v_dual_mul_f32 v25, v113, v69
	v_dual_fmac_f32 v11, v109, v64 :: v_dual_fma_f32 v21, v108, v64, -v21
	s_delay_alu instid0(VALU_DEP_3) | instskip(SKIP_3) | instid1(VALU_DEP_3)
	v_dual_add_f32 v9, 0, v9 :: v_dual_add_f32 v19, 0, v19
	s_wait_dscnt 0x1
	v_dual_mul_f32 v15, v112, v69 :: v_dual_mul_f32 v17, v114, v71
	v_dual_fmac_f32 v13, v111, v66 :: v_dual_fma_f32 v23, v110, v66, -v23
	v_dual_add_f32 v9, v9, v11 :: v_dual_add_f32 v11, v19, v21
	v_dual_mul_f32 v27, v115, v71 :: v_dual_mul_f32 v29, v117, v73
	s_wait_loadcnt 0x4
	v_dual_mov_b32 v66, v81 :: v_dual_fma_f32 v19, v112, v68, -v25
	s_delay_alu instid0(VALU_DEP_3) | instskip(SKIP_2) | instid1(VALU_DEP_2)
	v_dual_fmac_f32 v15, v113, v68 :: v_dual_add_f32 v11, v11, v23
	v_dual_add_f32 v9, v9, v13 :: v_dual_fmac_f32 v17, v115, v70
	v_dual_mul_f32 v133, v116, v73 :: v_dual_mul_f32 v135, v90, v75
	v_dual_fma_f32 v13, v114, v70, -v27 :: v_dual_add_f32 v9, v9, v15
	s_delay_alu instid0(VALU_DEP_2) | instskip(SKIP_1) | instid1(VALU_DEP_3)
	v_dual_add_f32 v11, v11, v19 :: v_dual_fmac_f32 v133, v117, v72
	v_pk_mul_f32 v[64:65], v[94:95], v[78:79] op_sel:[1,1] op_sel_hi:[0,1]
	v_dual_fma_f32 v132, v116, v72, -v29 :: v_dual_add_f32 v71, v9, v17
	v_pk_mul_f32 v[62:63], v[124:125], v[62:63] op_sel_hi:[1,0]
	s_wait_loadcnt 0x3
	v_dual_add_f32 v70, v11, v13 :: v_dual_mov_b32 v72, v85
	v_fmac_f32_e32 v135, v91, v74
	v_fma_f32 v134, v90, v74, -v31
	v_pk_fma_f32 v[74:75], v[92:93], v[76:77], v[62:63] op_sel_hi:[1,0,1]
	s_delay_alu instid0(VALU_DEP_4) | instskip(SKIP_4) | instid1(VALU_DEP_4)
	v_pk_add_f32 v[70:71], v[70:71], v[132:133]
	v_pk_fma_f32 v[90:91], v[94:95], v[78:79], v[64:65] op_sel_hi:[1,0,1]
	v_pk_fma_f32 v[62:63], v[92:93], v[76:77], v[62:63] neg_lo:[0,0,1] neg_hi:[0,0,1]
	v_pk_fma_f32 v[64:65], v[94:95], v[78:79], v[64:65] neg_lo:[0,0,1] neg_hi:[0,0,1]
	v_pk_mul_f32 v[66:67], v[126:127], v[66:67] op_sel_hi:[1,0]
	v_dual_mov_b32 v63, v75 :: v_dual_mov_b32 v65, v91
	v_pk_add_f32 v[70:71], v[70:71], v[134:135]
	v_pk_mul_f32 v[68:69], v[98:99], v[82:83] op_sel:[1,1] op_sel_hi:[0,1]
	s_delay_alu instid0(VALU_DEP_4)
	v_pk_fma_f32 v[76:77], v[96:97], v[80:81], v[66:67] op_sel_hi:[1,0,1]
	v_pk_fma_f32 v[66:67], v[96:97], v[80:81], v[66:67] neg_lo:[0,0,1] neg_hi:[0,0,1]
	v_pk_mul_f32 v[72:73], v[128:129], v[72:73] op_sel_hi:[1,0]
	v_pk_add_f32 v[62:63], v[70:71], v[62:63]
	v_pk_fma_f32 v[70:71], v[98:99], v[82:83], v[68:69] op_sel_hi:[1,0,1]
	v_mov_b32_e32 v67, v77
	v_pk_fma_f32 v[68:69], v[98:99], v[82:83], v[68:69] neg_lo:[0,0,1] neg_hi:[0,0,1]
	s_wait_loadcnt 0x2
	v_pk_mul_f32 v[74:75], v[102:103], v[86:87] op_sel:[1,1] op_sel_hi:[0,1]
	v_pk_add_f32 v[62:63], v[62:63], v[64:65]
	v_dual_mov_b32 v64, v89 :: v_dual_mov_b32 v69, v71
	v_pk_fma_f32 v[70:71], v[100:101], v[84:85], v[72:73] op_sel_hi:[1,0,1]
	v_pk_fma_f32 v[72:73], v[100:101], v[84:85], v[72:73] neg_lo:[0,0,1] neg_hi:[0,0,1]
	s_delay_alu instid0(VALU_DEP_4)
	v_pk_add_f32 v[62:63], v[62:63], v[66:67]
	v_pk_fma_f32 v[66:67], v[102:103], v[86:87], v[74:75] op_sel_hi:[1,0,1]
	v_pk_mul_f32 v[64:65], v[130:131], v[64:65] op_sel_hi:[1,0]
	v_mov_b32_e32 v73, v71
	s_wait_loadcnt_dscnt 0x100
	v_pk_mul_f32 v[70:71], v[122:123], v[118:119] op_sel:[1,1] op_sel_hi:[0,1]
	v_pk_add_f32 v[62:63], v[62:63], v[68:69]
	v_pk_fma_f32 v[68:69], v[102:103], v[86:87], v[74:75] neg_lo:[0,0,1] neg_hi:[0,0,1]
	v_mov_b32_e32 v69, v67
	v_pk_fma_f32 v[66:67], v[104:105], v[88:89], v[64:65] op_sel_hi:[1,0,1]
	v_pk_fma_f32 v[64:65], v[104:105], v[88:89], v[64:65] neg_lo:[0,0,1] neg_hi:[0,0,1]
	v_pk_add_f32 v[62:63], v[62:63], v[72:73]
	s_delay_alu instid0(VALU_DEP_3) | instskip(SKIP_1) | instid1(VALU_DEP_3)
	v_mov_b32_e32 v65, v67
	v_pk_fma_f32 v[66:67], v[122:123], v[118:119], v[70:71] op_sel_hi:[1,0,1]
	v_pk_add_f32 v[62:63], v[62:63], v[68:69]
	v_pk_fma_f32 v[68:69], v[122:123], v[118:119], v[70:71] neg_lo:[0,0,1] neg_hi:[0,0,1]
	s_delay_alu instid0(VALU_DEP_3) | instskip(NEXT) | instid1(VALU_DEP_3)
	v_mov_b32_e32 v69, v67
	v_pk_add_f32 v[62:63], v[62:63], v[64:65]
	s_delay_alu instid0(VALU_DEP_1) | instskip(SKIP_1) | instid1(VALU_DEP_1)
	v_pk_add_f32 v[62:63], v[62:63], v[68:69]
	s_wait_loadcnt 0x0
	v_pk_add_f32 v[62:63], v[120:121], v[62:63] neg_lo:[0,1] neg_hi:[0,1]
	scratch_store_b64 off, v[62:63], off offset:112
	s_wait_xcnt 0x0
	v_cmpx_lt_u32_e32 13, v0
	s_cbranch_execz .LBB93_167
; %bb.166:
	scratch_load_b64 v[62:63], off, off offset:104
	v_mov_b64_e32 v[64:65], 0
	scratch_store_b64 off, v[64:65], off offset:104
	s_wait_loadcnt 0x0
	ds_store_b64 v1, v[62:63]
.LBB93_167:
	s_wait_xcnt 0x0
	s_or_b32 exec_lo, exec_lo, s0
	s_wait_storecnt_dscnt 0x0
	s_barrier_signal -1
	s_barrier_wait -1
	s_clause 0x8
	scratch_load_b128 v[62:65], off, off offset:112
	scratch_load_b128 v[66:69], off, off offset:128
	;; [unrolled: 1-line block ×8, first 2 shown]
	scratch_load_b64 v[126:127], off, off offset:104
	ds_load_b128 v[94:97], v7 offset:416
	ds_load_b128 v[98:101], v7 offset:432
	;; [unrolled: 1-line block ×8, first 2 shown]
	s_mov_b32 s0, exec_lo
	s_wait_dscnt 0x7
	v_dual_mov_b32 v128, v97 :: v_dual_mov_b32 v129, v96
	s_wait_dscnt 0x6
	v_dual_mov_b32 v130, v101 :: v_dual_mov_b32 v131, v100
	;; [unrolled: 2-line block ×4, first 2 shown]
	s_wait_loadcnt_dscnt 0x803
	v_dual_mul_f32 v7, v110, v63 :: v_dual_mul_f32 v9, v112, v65
	v_dual_mul_f32 v19, v111, v63 :: v_dual_mul_f32 v21, v113, v65
	s_wait_loadcnt_dscnt 0x702
	v_dual_mul_f32 v11, v114, v67 :: v_dual_mul_f32 v13, v116, v69
	s_delay_alu instid0(VALU_DEP_3) | instskip(SKIP_3) | instid1(VALU_DEP_3)
	v_dual_fmac_f32 v7, v111, v62 :: v_dual_fmac_f32 v9, v113, v64
	s_wait_loadcnt_dscnt 0x500
	v_dual_fma_f32 v19, v110, v62, -v19 :: v_dual_mul_f32 v31, v123, v75
	v_dual_mul_f32 v23, v115, v67 :: v_dual_mul_f32 v25, v117, v69
	v_dual_fma_f32 v21, v112, v64, -v21 :: v_dual_add_f32 v7, 0, v7
	s_delay_alu instid0(VALU_DEP_3) | instskip(SKIP_1) | instid1(VALU_DEP_3)
	v_dual_add_f32 v19, 0, v19 :: v_dual_mul_f32 v33, v125, v77
	v_dual_fmac_f32 v11, v115, v66 :: v_dual_fmac_f32 v13, v117, v68
	v_dual_fma_f32 v23, v114, v66, -v23 :: v_dual_add_f32 v7, v7, v9
	s_delay_alu instid0(VALU_DEP_3) | instskip(SKIP_4) | instid1(VALU_DEP_3)
	v_dual_add_f32 v9, v19, v21 :: v_dual_fma_f32 v19, v116, v68, -v25
	v_dual_mul_f32 v15, v118, v71 :: v_dual_mul_f32 v17, v120, v73
	v_dual_mul_f32 v27, v119, v71 :: v_dual_mul_f32 v29, v121, v73
	s_wait_loadcnt 0x4
	v_dual_add_f32 v7, v7, v11 :: v_dual_mov_b32 v64, v81
	v_dual_add_f32 v9, v9, v23 :: v_dual_fmac_f32 v15, v119, v70
	s_delay_alu instid0(VALU_DEP_2) | instskip(SKIP_1) | instid1(VALU_DEP_3)
	v_dual_fma_f32 v11, v118, v70, -v27 :: v_dual_add_f32 v7, v7, v13
	v_dual_mul_f32 v137, v122, v75 :: v_dual_mul_f32 v139, v124, v77
	v_dual_add_f32 v9, v9, v19 :: v_dual_fma_f32 v13, v120, v72, -v29
	s_delay_alu instid0(VALU_DEP_3) | instskip(SKIP_1) | instid1(VALU_DEP_3)
	v_dual_fmac_f32 v17, v121, v72 :: v_dual_add_f32 v7, v7, v15
	v_pk_mul_f32 v[62:63], v[94:95], v[78:79] op_sel:[1,1] op_sel_hi:[0,1]
	v_dual_add_f32 v9, v9, v11 :: v_dual_fmac_f32 v137, v123, v74
	s_wait_loadcnt 0x3
	v_dual_mov_b32 v68, v85 :: v_dual_fma_f32 v136, v122, v74, -v31
	v_dual_add_f32 v71, v7, v17 :: v_dual_fmac_f32 v139, v125, v76
	s_delay_alu instid0(VALU_DEP_3) | instskip(SKIP_3) | instid1(VALU_DEP_4)
	v_dual_add_f32 v70, v9, v13 :: v_dual_fma_f32 v138, v124, v76, -v33
	v_pk_fma_f32 v[72:73], v[94:95], v[78:79], v[62:63] op_sel_hi:[1,0,1]
	v_pk_mul_f32 v[64:65], v[128:129], v[64:65] op_sel_hi:[1,0]
	v_pk_fma_f32 v[62:63], v[94:95], v[78:79], v[62:63] neg_lo:[0,0,1] neg_hi:[0,0,1]
	v_pk_add_f32 v[70:71], v[70:71], v[136:137]
	v_pk_mul_f32 v[66:67], v[98:99], v[82:83] op_sel:[1,1] op_sel_hi:[0,1]
	v_mov_b32_e32 v63, v73
	v_pk_fma_f32 v[72:73], v[96:97], v[80:81], v[64:65] op_sel_hi:[1,0,1]
	v_pk_fma_f32 v[64:65], v[96:97], v[80:81], v[64:65] neg_lo:[0,0,1] neg_hi:[0,0,1]
	v_pk_add_f32 v[70:71], v[70:71], v[138:139]
	v_pk_fma_f32 v[76:77], v[98:99], v[82:83], v[66:67] op_sel_hi:[1,0,1]
	v_pk_mul_f32 v[68:69], v[130:131], v[68:69] op_sel_hi:[1,0]
	v_mov_b32_e32 v65, v73
	s_wait_loadcnt 0x2
	v_pk_mul_f32 v[74:75], v[102:103], v[86:87] op_sel:[1,1] op_sel_hi:[0,1]
	v_pk_add_f32 v[62:63], v[70:71], v[62:63]
	v_mov_b32_e32 v70, v89
	v_pk_fma_f32 v[66:67], v[98:99], v[82:83], v[66:67] neg_lo:[0,0,1] neg_hi:[0,0,1]
	v_mov_b32_e32 v67, v77
	v_pk_fma_f32 v[72:73], v[100:101], v[84:85], v[68:69] op_sel_hi:[1,0,1]
	v_pk_add_f32 v[62:63], v[62:63], v[64:65]
	v_pk_fma_f32 v[64:65], v[102:103], v[86:87], v[74:75] op_sel_hi:[1,0,1]
	v_pk_mul_f32 v[70:71], v[132:133], v[70:71] op_sel_hi:[1,0]
	v_pk_fma_f32 v[68:69], v[100:101], v[84:85], v[68:69] neg_lo:[0,0,1] neg_hi:[0,0,1]
	v_mov_b32_e32 v69, v73
	v_pk_add_f32 v[62:63], v[62:63], v[66:67]
	v_pk_fma_f32 v[72:73], v[102:103], v[86:87], v[74:75] neg_lo:[0,0,1] neg_hi:[0,0,1]
	v_mov_b32_e32 v73, v65
	v_pk_fma_f32 v[64:65], v[104:105], v[88:89], v[70:71] op_sel_hi:[1,0,1]
	s_wait_loadcnt 0x1
	v_pk_mul_f32 v[66:67], v[106:107], v[90:91] op_sel:[1,1] op_sel_hi:[0,1]
	v_pk_add_f32 v[62:63], v[62:63], v[68:69]
	v_mov_b32_e32 v64, v93
	v_pk_fma_f32 v[70:71], v[104:105], v[88:89], v[70:71] neg_lo:[0,0,1] neg_hi:[0,0,1]
	v_mov_b32_e32 v71, v65
	v_pk_fma_f32 v[68:69], v[106:107], v[90:91], v[66:67] op_sel_hi:[1,0,1]
	v_pk_add_f32 v[62:63], v[62:63], v[72:73]
	v_pk_mul_f32 v[64:65], v[134:135], v[64:65] op_sel_hi:[1,0]
	v_pk_fma_f32 v[66:67], v[106:107], v[90:91], v[66:67] neg_lo:[0,0,1] neg_hi:[0,0,1]
	s_delay_alu instid0(VALU_DEP_4) | instskip(NEXT) | instid1(VALU_DEP_4)
	v_mov_b32_e32 v67, v69
	v_pk_add_f32 v[62:63], v[62:63], v[70:71]
	s_delay_alu instid0(VALU_DEP_4) | instskip(SKIP_1) | instid1(VALU_DEP_2)
	v_pk_fma_f32 v[68:69], v[108:109], v[92:93], v[64:65] op_sel_hi:[1,0,1]
	v_pk_fma_f32 v[64:65], v[108:109], v[92:93], v[64:65] neg_lo:[0,0,1] neg_hi:[0,0,1]
	v_mov_b32_e32 v65, v69
	s_delay_alu instid0(VALU_DEP_4) | instskip(NEXT) | instid1(VALU_DEP_1)
	v_pk_add_f32 v[62:63], v[62:63], v[66:67]
	v_pk_add_f32 v[62:63], v[62:63], v[64:65]
	s_wait_loadcnt 0x0
	s_delay_alu instid0(VALU_DEP_1)
	v_pk_add_f32 v[62:63], v[126:127], v[62:63] neg_lo:[0,1] neg_hi:[0,1]
	scratch_store_b64 off, v[62:63], off offset:104
	s_wait_xcnt 0x0
	v_cmpx_lt_u32_e32 12, v0
	s_cbranch_execz .LBB93_169
; %bb.168:
	scratch_load_b64 v[62:63], off, off offset:96
	v_mov_b64_e32 v[64:65], 0
	scratch_store_b64 off, v[64:65], off offset:96
	s_wait_loadcnt 0x0
	ds_store_b64 v1, v[62:63]
.LBB93_169:
	s_wait_xcnt 0x0
	s_or_b32 exec_lo, exec_lo, s0
	s_wait_storecnt_dscnt 0x0
	s_barrier_signal -1
	s_barrier_wait -1
	s_clause 0x9
	scratch_load_b128 v[62:65], off, off offset:104
	scratch_load_b128 v[66:69], off, off offset:120
	;; [unrolled: 1-line block ×8, first 2 shown]
	scratch_load_b64 v[126:127], off, off offset:232
	scratch_load_b64 v[128:129], off, off offset:96
	v_mov_b32_e32 v7, 0
	ds_load_2addr_b64 v[94:97], v7 offset0:51 offset1:52
	ds_load_2addr_b64 v[98:101], v7 offset0:53 offset1:54
	;; [unrolled: 1-line block ×8, first 2 shown]
	ds_load_b64 v[130:131], v7 offset:472
	s_mov_b32 s0, exec_lo
	s_wait_dscnt 0x8
	v_dual_mov_b32 v132, v97 :: v_dual_mov_b32 v133, v96
	s_wait_dscnt 0x5
	v_dual_mov_b32 v134, v101 :: v_dual_mov_b32 v139, v108
	v_dual_mov_b32 v135, v100 :: v_dual_mov_b32 v136, v105
	;; [unrolled: 1-line block ×3, first 2 shown]
	s_wait_loadcnt_dscnt 0x904
	v_dual_mul_f32 v9, v110, v63 :: v_dual_mul_f32 v23, v111, v63
	v_dual_mul_f32 v25, v113, v65 :: v_dual_mul_f32 v11, v112, v65
	s_wait_loadcnt_dscnt 0x803
	v_mul_f32_e32 v13, v114, v67
	s_wait_loadcnt_dscnt 0x601
	v_dual_mul_f32 v35, v123, v75 :: v_dual_fma_f32 v23, v110, v62, -v23
	v_dual_fmac_f32 v9, v111, v62 :: v_dual_mul_f32 v37, v125, v77
	v_dual_mul_f32 v27, v115, v67 :: v_dual_mul_f32 v29, v117, v69
	v_dual_fmac_f32 v11, v113, v64 :: v_dual_fma_f32 v25, v112, v64, -v25
	s_delay_alu instid0(VALU_DEP_3) | instskip(SKIP_3) | instid1(VALU_DEP_3)
	v_dual_add_f32 v9, 0, v9 :: v_dual_add_f32 v23, 0, v23
	v_dual_mul_f32 v15, v116, v69 :: v_dual_mul_f32 v17, v118, v71
	s_wait_loadcnt 0x5
	v_dual_mul_f32 v39, v95, v79 :: v_dual_fma_f32 v27, v114, v66, -v27
	v_dual_fmac_f32 v13, v115, v66 :: v_dual_add_f32 v9, v9, v11
	v_dual_add_f32 v11, v23, v25 :: v_dual_mov_b32 v62, v81
	v_dual_mul_f32 v31, v119, v71 :: v_dual_mul_f32 v33, v121, v73
	v_dual_fmac_f32 v15, v117, v68 :: v_dual_fma_f32 v23, v116, v68, -v29
	s_delay_alu instid0(VALU_DEP_3) | instskip(SKIP_1) | instid1(VALU_DEP_4)
	v_dual_add_f32 v9, v9, v13 :: v_dual_add_f32 v11, v11, v27
	v_dual_mul_f32 v19, v120, v73 :: v_dual_mul_f32 v21, v122, v75
	v_dual_fmac_f32 v17, v119, v70 :: v_dual_fma_f32 v13, v118, v70, -v31
	s_delay_alu instid0(VALU_DEP_3) | instskip(SKIP_3) | instid1(VALU_DEP_3)
	v_dual_add_f32 v9, v9, v15 :: v_dual_fma_f32 v15, v120, v72, -v33
	s_wait_loadcnt 0x4
	v_dual_add_f32 v11, v11, v23 :: v_dual_mov_b32 v66, v85
	v_fmac_f32_e32 v19, v121, v72
	v_dual_add_f32 v9, v9, v17 :: v_dual_fmac_f32 v21, v123, v74
	s_delay_alu instid0(VALU_DEP_3) | instskip(SKIP_1) | instid1(VALU_DEP_3)
	v_add_f32_e32 v11, v11, v13
	v_dual_mul_f32 v141, v124, v77 :: v_dual_mul_f32 v143, v94, v79
	v_dual_fma_f32 v13, v122, v74, -v35 :: v_dual_add_f32 v9, v9, v19
	s_delay_alu instid0(VALU_DEP_2) | instskip(SKIP_1) | instid1(VALU_DEP_3)
	v_dual_add_f32 v11, v11, v15 :: v_dual_fmac_f32 v141, v125, v76
	v_pk_mul_f32 v[64:65], v[98:99], v[82:83] op_sel:[1,1] op_sel_hi:[0,1]
	v_dual_fma_f32 v140, v124, v76, -v37 :: v_dual_add_f32 v71, v9, v21
	v_pk_mul_f32 v[62:63], v[132:133], v[62:63] op_sel_hi:[1,0]
	s_wait_loadcnt 0x3
	v_dual_add_f32 v70, v11, v13 :: v_dual_mov_b32 v72, v89
	v_pk_fma_f32 v[76:77], v[98:99], v[82:83], v[64:65] op_sel_hi:[1,0,1]
	v_fmac_f32_e32 v143, v95, v78
	v_pk_fma_f32 v[74:75], v[96:97], v[80:81], v[62:63] op_sel_hi:[1,0,1]
	v_fma_f32 v142, v94, v78, -v39
	v_pk_add_f32 v[70:71], v[70:71], v[140:141]
	v_pk_fma_f32 v[62:63], v[96:97], v[80:81], v[62:63] neg_lo:[0,0,1] neg_hi:[0,0,1]
	v_pk_fma_f32 v[64:65], v[98:99], v[82:83], v[64:65] neg_lo:[0,0,1] neg_hi:[0,0,1]
	v_pk_mul_f32 v[66:67], v[134:135], v[66:67] op_sel_hi:[1,0]
	v_dual_mov_b32 v63, v75 :: v_dual_mov_b32 v65, v77
	v_pk_add_f32 v[70:71], v[70:71], v[142:143]
	v_pk_mul_f32 v[68:69], v[102:103], v[86:87] op_sel:[1,1] op_sel_hi:[0,1]
	s_delay_alu instid0(VALU_DEP_4)
	v_pk_fma_f32 v[76:77], v[100:101], v[84:85], v[66:67] op_sel_hi:[1,0,1]
	v_pk_fma_f32 v[66:67], v[100:101], v[84:85], v[66:67] neg_lo:[0,0,1] neg_hi:[0,0,1]
	v_pk_mul_f32 v[72:73], v[136:137], v[72:73] op_sel_hi:[1,0]
	v_pk_add_f32 v[62:63], v[70:71], v[62:63]
	v_pk_fma_f32 v[70:71], v[102:103], v[86:87], v[68:69] op_sel_hi:[1,0,1]
	v_mov_b32_e32 v67, v77
	v_pk_fma_f32 v[68:69], v[102:103], v[86:87], v[68:69] neg_lo:[0,0,1] neg_hi:[0,0,1]
	s_wait_loadcnt 0x2
	v_pk_mul_f32 v[74:75], v[106:107], v[90:91] op_sel:[1,1] op_sel_hi:[0,1]
	v_pk_add_f32 v[62:63], v[62:63], v[64:65]
	v_dual_mov_b32 v64, v93 :: v_dual_mov_b32 v69, v71
	v_pk_fma_f32 v[70:71], v[104:105], v[88:89], v[72:73] op_sel_hi:[1,0,1]
	v_pk_fma_f32 v[72:73], v[104:105], v[88:89], v[72:73] neg_lo:[0,0,1] neg_hi:[0,0,1]
	s_delay_alu instid0(VALU_DEP_4)
	v_pk_add_f32 v[62:63], v[62:63], v[66:67]
	v_pk_fma_f32 v[66:67], v[106:107], v[90:91], v[74:75] op_sel_hi:[1,0,1]
	v_pk_mul_f32 v[64:65], v[138:139], v[64:65] op_sel_hi:[1,0]
	v_mov_b32_e32 v73, v71
	s_wait_loadcnt_dscnt 0x100
	v_pk_mul_f32 v[70:71], v[130:131], v[126:127] op_sel:[1,1] op_sel_hi:[0,1]
	v_pk_add_f32 v[62:63], v[62:63], v[68:69]
	v_pk_fma_f32 v[68:69], v[106:107], v[90:91], v[74:75] neg_lo:[0,0,1] neg_hi:[0,0,1]
	v_mov_b32_e32 v69, v67
	v_pk_fma_f32 v[66:67], v[108:109], v[92:93], v[64:65] op_sel_hi:[1,0,1]
	v_pk_fma_f32 v[64:65], v[108:109], v[92:93], v[64:65] neg_lo:[0,0,1] neg_hi:[0,0,1]
	v_pk_add_f32 v[62:63], v[62:63], v[72:73]
	s_delay_alu instid0(VALU_DEP_3) | instskip(SKIP_1) | instid1(VALU_DEP_3)
	v_mov_b32_e32 v65, v67
	v_pk_fma_f32 v[66:67], v[130:131], v[126:127], v[70:71] op_sel_hi:[1,0,1]
	v_pk_add_f32 v[62:63], v[62:63], v[68:69]
	v_pk_fma_f32 v[68:69], v[130:131], v[126:127], v[70:71] neg_lo:[0,0,1] neg_hi:[0,0,1]
	s_delay_alu instid0(VALU_DEP_3) | instskip(NEXT) | instid1(VALU_DEP_3)
	v_mov_b32_e32 v69, v67
	v_pk_add_f32 v[62:63], v[62:63], v[64:65]
	s_delay_alu instid0(VALU_DEP_1) | instskip(SKIP_1) | instid1(VALU_DEP_1)
	v_pk_add_f32 v[62:63], v[62:63], v[68:69]
	s_wait_loadcnt 0x0
	v_pk_add_f32 v[62:63], v[128:129], v[62:63] neg_lo:[0,1] neg_hi:[0,1]
	scratch_store_b64 off, v[62:63], off offset:96
	s_wait_xcnt 0x0
	v_cmpx_lt_u32_e32 11, v0
	s_cbranch_execz .LBB93_171
; %bb.170:
	scratch_load_b64 v[62:63], off, off offset:88
	v_mov_b64_e32 v[64:65], 0
	scratch_store_b64 off, v[64:65], off offset:88
	s_wait_loadcnt 0x0
	ds_store_b64 v1, v[62:63]
.LBB93_171:
	s_wait_xcnt 0x0
	s_or_b32 exec_lo, exec_lo, s0
	s_wait_storecnt_dscnt 0x0
	s_barrier_signal -1
	s_barrier_wait -1
	s_clause 0x9
	scratch_load_b128 v[62:65], off, off offset:96
	scratch_load_b128 v[66:69], off, off offset:112
	;; [unrolled: 1-line block ×9, first 2 shown]
	scratch_load_b64 v[134:135], off, off offset:88
	ds_load_b128 v[98:101], v7 offset:416
	ds_load_b128 v[102:105], v7 offset:432
	;; [unrolled: 1-line block ×9, first 2 shown]
	s_mov_b32 s0, exec_lo
	s_wait_dscnt 0x8
	v_dual_mov_b32 v136, v101 :: v_dual_mov_b32 v137, v100
	s_wait_dscnt 0x7
	v_dual_mov_b32 v138, v105 :: v_dual_mov_b32 v139, v104
	;; [unrolled: 2-line block ×4, first 2 shown]
	s_wait_loadcnt_dscnt 0x904
	v_dual_mul_f32 v7, v114, v63 :: v_dual_mul_f32 v9, v116, v65
	v_dual_mul_f32 v23, v115, v63 :: v_dual_mul_f32 v25, v117, v65
	s_wait_loadcnt_dscnt 0x803
	v_dual_mul_f32 v11, v118, v67 :: v_dual_mul_f32 v13, v120, v69
	s_delay_alu instid0(VALU_DEP_3) | instskip(SKIP_3) | instid1(VALU_DEP_3)
	v_dual_fmac_f32 v7, v115, v62 :: v_dual_fmac_f32 v9, v117, v64
	s_wait_loadcnt_dscnt 0x601
	v_dual_fma_f32 v23, v114, v62, -v23 :: v_dual_mul_f32 v35, v127, v75
	v_dual_mul_f32 v27, v119, v67 :: v_dual_mul_f32 v29, v121, v69
	v_dual_fma_f32 v25, v116, v64, -v25 :: v_dual_add_f32 v7, 0, v7
	s_delay_alu instid0(VALU_DEP_3) | instskip(SKIP_1) | instid1(VALU_DEP_3)
	v_dual_add_f32 v23, 0, v23 :: v_dual_mul_f32 v37, v129, v77
	v_dual_fmac_f32 v11, v119, v66 :: v_dual_fmac_f32 v13, v121, v68
	v_dual_fma_f32 v27, v118, v66, -v27 :: v_dual_add_f32 v7, v7, v9
	s_delay_alu instid0(VALU_DEP_3) | instskip(SKIP_2) | instid1(VALU_DEP_4)
	v_dual_add_f32 v9, v23, v25 :: v_dual_fma_f32 v25, v120, v68, -v29
	v_dual_mul_f32 v15, v122, v71 :: v_dual_mul_f32 v17, v124, v73
	v_dual_mul_f32 v31, v123, v71 :: v_dual_mul_f32 v33, v125, v73
	v_add_f32_e32 v7, v7, v11
	s_delay_alu instid0(VALU_DEP_3) | instskip(NEXT) | instid1(VALU_DEP_3)
	v_dual_add_f32 v9, v9, v27 :: v_dual_fmac_f32 v15, v123, v70
	v_fma_f32 v27, v122, v70, -v31
	v_dual_mul_f32 v19, v126, v75 :: v_dual_mul_f32 v21, v128, v77
	s_delay_alu instid0(VALU_DEP_4) | instskip(NEXT) | instid1(VALU_DEP_4)
	v_dual_add_f32 v7, v7, v13 :: v_dual_fmac_f32 v17, v125, v72
	v_dual_add_f32 v9, v9, v25 :: v_dual_fma_f32 v13, v124, v72, -v33
	s_wait_loadcnt 0x4
	s_delay_alu instid0(VALU_DEP_2) | instskip(NEXT) | instid1(VALU_DEP_2)
	v_dual_mov_b32 v64, v85 :: v_dual_add_f32 v7, v7, v15
	v_dual_fmac_f32 v19, v127, v74 :: v_dual_add_f32 v9, v9, v27
	v_fma_f32 v15, v126, v74, -v35
	s_wait_dscnt 0x0
	v_dual_mul_f32 v145, v130, v79 :: v_dual_mul_f32 v147, v132, v81
	v_add_f32_e32 v7, v7, v17
	v_dual_add_f32 v9, v9, v13 :: v_dual_fma_f32 v13, v128, v76, -v37
	v_dual_mul_f32 v23, v131, v79 :: v_dual_mul_f32 v11, v133, v81
	s_delay_alu instid0(VALU_DEP_3) | instskip(NEXT) | instid1(VALU_DEP_3)
	v_dual_fmac_f32 v21, v129, v76 :: v_dual_add_f32 v7, v7, v19
	v_dual_add_f32 v9, v9, v15 :: v_dual_fmac_f32 v145, v131, v78
	v_pk_mul_f32 v[62:63], v[98:99], v[82:83] op_sel:[1,1] op_sel_hi:[0,1]
	s_wait_loadcnt 0x3
	v_dual_mov_b32 v68, v89 :: v_dual_fma_f32 v144, v130, v78, -v23
	v_dual_add_f32 v71, v7, v21 :: v_dual_fmac_f32 v147, v133, v80
	v_dual_add_f32 v70, v9, v13 :: v_dual_fma_f32 v146, v132, v80, -v11
	v_pk_fma_f32 v[72:73], v[98:99], v[82:83], v[62:63] op_sel_hi:[1,0,1]
	v_pk_mul_f32 v[64:65], v[136:137], v[64:65] op_sel_hi:[1,0]
	v_pk_fma_f32 v[62:63], v[98:99], v[82:83], v[62:63] neg_lo:[0,0,1] neg_hi:[0,0,1]
	s_delay_alu instid0(VALU_DEP_4)
	v_pk_add_f32 v[70:71], v[70:71], v[144:145]
	v_pk_mul_f32 v[66:67], v[102:103], v[86:87] op_sel:[1,1] op_sel_hi:[0,1]
	v_mov_b32_e32 v63, v73
	v_pk_fma_f32 v[72:73], v[100:101], v[84:85], v[64:65] op_sel_hi:[1,0,1]
	v_pk_fma_f32 v[64:65], v[100:101], v[84:85], v[64:65] neg_lo:[0,0,1] neg_hi:[0,0,1]
	v_pk_add_f32 v[70:71], v[70:71], v[146:147]
	v_pk_fma_f32 v[76:77], v[102:103], v[86:87], v[66:67] op_sel_hi:[1,0,1]
	v_pk_mul_f32 v[68:69], v[138:139], v[68:69] op_sel_hi:[1,0]
	v_mov_b32_e32 v65, v73
	s_wait_loadcnt 0x2
	v_pk_mul_f32 v[74:75], v[106:107], v[90:91] op_sel:[1,1] op_sel_hi:[0,1]
	v_pk_add_f32 v[62:63], v[70:71], v[62:63]
	v_mov_b32_e32 v70, v93
	v_pk_fma_f32 v[66:67], v[102:103], v[86:87], v[66:67] neg_lo:[0,0,1] neg_hi:[0,0,1]
	v_mov_b32_e32 v67, v77
	v_pk_fma_f32 v[72:73], v[104:105], v[88:89], v[68:69] op_sel_hi:[1,0,1]
	v_pk_add_f32 v[62:63], v[62:63], v[64:65]
	v_pk_fma_f32 v[64:65], v[106:107], v[90:91], v[74:75] op_sel_hi:[1,0,1]
	v_pk_mul_f32 v[70:71], v[140:141], v[70:71] op_sel_hi:[1,0]
	v_pk_fma_f32 v[68:69], v[104:105], v[88:89], v[68:69] neg_lo:[0,0,1] neg_hi:[0,0,1]
	v_mov_b32_e32 v69, v73
	v_pk_add_f32 v[62:63], v[62:63], v[66:67]
	v_pk_fma_f32 v[72:73], v[106:107], v[90:91], v[74:75] neg_lo:[0,0,1] neg_hi:[0,0,1]
	v_mov_b32_e32 v73, v65
	v_pk_fma_f32 v[64:65], v[108:109], v[92:93], v[70:71] op_sel_hi:[1,0,1]
	s_wait_loadcnt 0x1
	v_pk_mul_f32 v[66:67], v[110:111], v[94:95] op_sel:[1,1] op_sel_hi:[0,1]
	v_pk_add_f32 v[62:63], v[62:63], v[68:69]
	v_mov_b32_e32 v64, v97
	v_pk_fma_f32 v[70:71], v[108:109], v[92:93], v[70:71] neg_lo:[0,0,1] neg_hi:[0,0,1]
	v_mov_b32_e32 v71, v65
	v_pk_fma_f32 v[68:69], v[110:111], v[94:95], v[66:67] op_sel_hi:[1,0,1]
	v_pk_add_f32 v[62:63], v[62:63], v[72:73]
	v_pk_mul_f32 v[64:65], v[142:143], v[64:65] op_sel_hi:[1,0]
	v_pk_fma_f32 v[66:67], v[110:111], v[94:95], v[66:67] neg_lo:[0,0,1] neg_hi:[0,0,1]
	s_delay_alu instid0(VALU_DEP_4) | instskip(NEXT) | instid1(VALU_DEP_4)
	v_mov_b32_e32 v67, v69
	v_pk_add_f32 v[62:63], v[62:63], v[70:71]
	s_delay_alu instid0(VALU_DEP_4) | instskip(SKIP_1) | instid1(VALU_DEP_2)
	v_pk_fma_f32 v[68:69], v[112:113], v[96:97], v[64:65] op_sel_hi:[1,0,1]
	v_pk_fma_f32 v[64:65], v[112:113], v[96:97], v[64:65] neg_lo:[0,0,1] neg_hi:[0,0,1]
	v_mov_b32_e32 v65, v69
	s_delay_alu instid0(VALU_DEP_4) | instskip(NEXT) | instid1(VALU_DEP_1)
	v_pk_add_f32 v[62:63], v[62:63], v[66:67]
	v_pk_add_f32 v[62:63], v[62:63], v[64:65]
	s_wait_loadcnt 0x0
	s_delay_alu instid0(VALU_DEP_1)
	v_pk_add_f32 v[62:63], v[134:135], v[62:63] neg_lo:[0,1] neg_hi:[0,1]
	scratch_store_b64 off, v[62:63], off offset:88
	s_wait_xcnt 0x0
	v_cmpx_lt_u32_e32 10, v0
	s_cbranch_execz .LBB93_173
; %bb.172:
	scratch_load_b64 v[62:63], off, off offset:80
	v_mov_b64_e32 v[64:65], 0
	scratch_store_b64 off, v[64:65], off offset:80
	s_wait_loadcnt 0x0
	ds_store_b64 v1, v[62:63]
.LBB93_173:
	s_wait_xcnt 0x0
	s_or_b32 exec_lo, exec_lo, s0
	s_wait_storecnt_dscnt 0x0
	s_barrier_signal -1
	s_barrier_wait -1
	s_clause 0xa
	scratch_load_b128 v[62:65], off, off offset:88
	scratch_load_b128 v[66:69], off, off offset:104
	;; [unrolled: 1-line block ×9, first 2 shown]
	scratch_load_b64 v[134:135], off, off offset:232
	scratch_load_b64 v[136:137], off, off offset:80
	v_mov_b32_e32 v7, 0
	ds_load_2addr_b64 v[98:101], v7 offset0:51 offset1:52
	ds_load_2addr_b64 v[102:105], v7 offset0:53 offset1:54
	;; [unrolled: 1-line block ×9, first 2 shown]
	ds_load_b64 v[138:139], v7 offset:472
	s_mov_b32 s0, exec_lo
	s_wait_dscnt 0x9
	v_dual_mov_b32 v140, v101 :: v_dual_mov_b32 v141, v100
	s_wait_dscnt 0x6
	v_dual_mov_b32 v142, v105 :: v_dual_mov_b32 v147, v112
	v_dual_mov_b32 v143, v104 :: v_dual_mov_b32 v144, v109
	;; [unrolled: 1-line block ×3, first 2 shown]
	s_wait_loadcnt_dscnt 0xa05
	v_dual_mul_f32 v9, v114, v63 :: v_dual_mul_f32 v27, v115, v63
	v_dual_mul_f32 v29, v117, v65 :: v_dual_mul_f32 v11, v116, v65
	s_wait_loadcnt_dscnt 0x904
	v_mul_f32_e32 v13, v118, v67
	s_wait_loadcnt_dscnt 0x702
	v_dual_mul_f32 v39, v127, v75 :: v_dual_fma_f32 v27, v114, v62, -v27
	v_dual_fmac_f32 v9, v115, v62 :: v_dual_mul_f32 v41, v129, v77
	v_dual_mul_f32 v31, v119, v67 :: v_dual_mul_f32 v33, v121, v69
	v_dual_fmac_f32 v11, v117, v64 :: v_dual_fma_f32 v29, v116, v64, -v29
	s_delay_alu instid0(VALU_DEP_3) | instskip(SKIP_3) | instid1(VALU_DEP_3)
	v_dual_add_f32 v9, 0, v9 :: v_dual_add_f32 v27, 0, v27
	v_dual_mul_f32 v15, v120, v69 :: v_dual_mul_f32 v17, v122, v71
	s_wait_loadcnt_dscnt 0x601
	v_dual_mul_f32 v43, v131, v79 :: v_dual_fma_f32 v31, v118, v66, -v31
	v_dual_fmac_f32 v13, v119, v66 :: v_dual_add_f32 v9, v9, v11
	s_delay_alu instid0(VALU_DEP_3) | instskip(SKIP_2) | instid1(VALU_DEP_3)
	v_dual_add_f32 v11, v27, v29 :: v_dual_fmac_f32 v15, v121, v68
	v_dual_mul_f32 v35, v123, v71 :: v_dual_mul_f32 v37, v125, v73
	v_dual_mul_f32 v27, v133, v81 :: v_dual_fma_f32 v29, v120, v68, -v33
	v_dual_add_f32 v9, v9, v13 :: v_dual_add_f32 v11, v11, v31
	v_dual_mul_f32 v19, v124, v73 :: v_dual_mul_f32 v21, v126, v75
	s_wait_loadcnt 0x5
	v_dual_mul_f32 v13, v99, v83 :: v_dual_fma_f32 v31, v122, v70, -v35
	s_delay_alu instid0(VALU_DEP_3) | instskip(SKIP_2) | instid1(VALU_DEP_2)
	v_dual_fmac_f32 v17, v123, v70 :: v_dual_add_f32 v9, v9, v15
	v_dual_add_f32 v11, v11, v29 :: v_dual_mov_b32 v62, v85
	v_dual_fmac_f32 v19, v125, v72 :: v_dual_fma_f32 v15, v124, v72, -v37
	v_dual_add_f32 v9, v9, v17 :: v_dual_add_f32 v11, v11, v31
	v_dual_mul_f32 v23, v128, v77 :: v_dual_mul_f32 v25, v130, v79
	v_dual_fmac_f32 v21, v127, v74 :: v_dual_fma_f32 v17, v126, v74, -v39
	s_delay_alu instid0(VALU_DEP_3) | instskip(SKIP_3) | instid1(VALU_DEP_3)
	v_add_f32_e32 v9, v9, v19
	s_wait_loadcnt 0x4
	v_dual_add_f32 v11, v11, v15 :: v_dual_mov_b32 v66, v89
	v_dual_fmac_f32 v23, v129, v76 :: v_dual_fma_f32 v15, v128, v76, -v41
	v_dual_add_f32 v9, v9, v21 :: v_dual_fmac_f32 v25, v131, v78
	s_delay_alu instid0(VALU_DEP_3) | instskip(SKIP_1) | instid1(VALU_DEP_3)
	v_add_f32_e32 v11, v11, v17
	v_dual_mul_f32 v149, v132, v81 :: v_dual_mul_f32 v151, v98, v83
	v_dual_fma_f32 v17, v130, v78, -v43 :: v_dual_add_f32 v9, v9, v23
	s_delay_alu instid0(VALU_DEP_2) | instskip(SKIP_2) | instid1(VALU_DEP_4)
	v_dual_add_f32 v11, v11, v15 :: v_dual_fmac_f32 v149, v133, v80
	v_fma_f32 v148, v132, v80, -v27
	v_pk_mul_f32 v[62:63], v[140:141], v[62:63] op_sel_hi:[1,0]
	v_add_f32_e32 v71, v9, v25
	s_wait_loadcnt 0x3
	v_dual_add_f32 v70, v11, v17 :: v_dual_mov_b32 v72, v93
	v_pk_mul_f32 v[64:65], v[102:103], v[86:87] op_sel:[1,1] op_sel_hi:[0,1]
	v_dual_fmac_f32 v151, v99, v82 :: v_dual_fma_f32 v150, v98, v82, -v13
	v_pk_fma_f32 v[74:75], v[100:101], v[84:85], v[62:63] op_sel_hi:[1,0,1]
	s_delay_alu instid0(VALU_DEP_4)
	v_pk_add_f32 v[70:71], v[70:71], v[148:149]
	v_pk_fma_f32 v[62:63], v[100:101], v[84:85], v[62:63] neg_lo:[0,0,1] neg_hi:[0,0,1]
	v_pk_fma_f32 v[76:77], v[102:103], v[86:87], v[64:65] op_sel_hi:[1,0,1]
	v_pk_mul_f32 v[66:67], v[142:143], v[66:67] op_sel_hi:[1,0]
	v_mov_b32_e32 v63, v75
	v_pk_add_f32 v[70:71], v[70:71], v[150:151]
	v_pk_fma_f32 v[64:65], v[102:103], v[86:87], v[64:65] neg_lo:[0,0,1] neg_hi:[0,0,1]
	v_pk_mul_f32 v[68:69], v[106:107], v[90:91] op_sel:[1,1] op_sel_hi:[0,1]
	v_mov_b32_e32 v65, v77
	v_pk_fma_f32 v[76:77], v[104:105], v[88:89], v[66:67] op_sel_hi:[1,0,1]
	v_pk_add_f32 v[62:63], v[70:71], v[62:63]
	v_pk_fma_f32 v[66:67], v[104:105], v[88:89], v[66:67] neg_lo:[0,0,1] neg_hi:[0,0,1]
	v_pk_fma_f32 v[70:71], v[106:107], v[90:91], v[68:69] op_sel_hi:[1,0,1]
	v_pk_mul_f32 v[72:73], v[144:145], v[72:73] op_sel_hi:[1,0]
	v_mov_b32_e32 v67, v77
	v_pk_add_f32 v[62:63], v[62:63], v[64:65]
	v_pk_fma_f32 v[68:69], v[106:107], v[90:91], v[68:69] neg_lo:[0,0,1] neg_hi:[0,0,1]
	s_wait_loadcnt 0x2
	v_pk_mul_f32 v[74:75], v[110:111], v[94:95] op_sel:[1,1] op_sel_hi:[0,1]
	v_dual_mov_b32 v64, v97 :: v_dual_mov_b32 v69, v71
	v_pk_fma_f32 v[70:71], v[108:109], v[92:93], v[72:73] op_sel_hi:[1,0,1]
	v_pk_add_f32 v[62:63], v[62:63], v[66:67]
	v_pk_fma_f32 v[72:73], v[108:109], v[92:93], v[72:73] neg_lo:[0,0,1] neg_hi:[0,0,1]
	v_pk_fma_f32 v[66:67], v[110:111], v[94:95], v[74:75] op_sel_hi:[1,0,1]
	v_pk_mul_f32 v[64:65], v[146:147], v[64:65] op_sel_hi:[1,0]
	v_mov_b32_e32 v73, v71
	v_pk_add_f32 v[62:63], v[62:63], v[68:69]
	v_pk_fma_f32 v[68:69], v[110:111], v[94:95], v[74:75] neg_lo:[0,0,1] neg_hi:[0,0,1]
	v_mov_b32_e32 v69, v67
	v_pk_fma_f32 v[66:67], v[112:113], v[96:97], v[64:65] op_sel_hi:[1,0,1]
	s_wait_loadcnt_dscnt 0x100
	v_pk_mul_f32 v[70:71], v[138:139], v[134:135] op_sel:[1,1] op_sel_hi:[0,1]
	v_pk_add_f32 v[62:63], v[62:63], v[72:73]
	v_pk_fma_f32 v[64:65], v[112:113], v[96:97], v[64:65] neg_lo:[0,0,1] neg_hi:[0,0,1]
	v_mov_b32_e32 v65, v67
	s_delay_alu instid0(VALU_DEP_4) | instskip(NEXT) | instid1(VALU_DEP_4)
	v_pk_fma_f32 v[66:67], v[138:139], v[134:135], v[70:71] op_sel_hi:[1,0,1]
	v_pk_add_f32 v[62:63], v[62:63], v[68:69]
	v_pk_fma_f32 v[68:69], v[138:139], v[134:135], v[70:71] neg_lo:[0,0,1] neg_hi:[0,0,1]
	s_delay_alu instid0(VALU_DEP_3) | instskip(NEXT) | instid1(VALU_DEP_3)
	v_mov_b32_e32 v69, v67
	v_pk_add_f32 v[62:63], v[62:63], v[64:65]
	s_delay_alu instid0(VALU_DEP_1) | instskip(SKIP_1) | instid1(VALU_DEP_1)
	v_pk_add_f32 v[62:63], v[62:63], v[68:69]
	s_wait_loadcnt 0x0
	v_pk_add_f32 v[62:63], v[136:137], v[62:63] neg_lo:[0,1] neg_hi:[0,1]
	scratch_store_b64 off, v[62:63], off offset:80
	s_wait_xcnt 0x0
	v_cmpx_lt_u32_e32 9, v0
	s_cbranch_execz .LBB93_175
; %bb.174:
	scratch_load_b64 v[62:63], off, off offset:72
	v_mov_b64_e32 v[64:65], 0
	scratch_store_b64 off, v[64:65], off offset:72
	s_wait_loadcnt 0x0
	ds_store_b64 v1, v[62:63]
.LBB93_175:
	s_wait_xcnt 0x0
	s_or_b32 exec_lo, exec_lo, s0
	s_wait_storecnt_dscnt 0x0
	s_barrier_signal -1
	s_barrier_wait -1
	s_clause 0xa
	scratch_load_b128 v[62:65], off, off offset:80
	scratch_load_b128 v[66:69], off, off offset:96
	;; [unrolled: 1-line block ×10, first 2 shown]
	scratch_load_b64 v[142:143], off, off offset:72
	ds_load_b128 v[102:105], v7 offset:416
	ds_load_b128 v[106:109], v7 offset:432
	;; [unrolled: 1-line block ×10, first 2 shown]
	s_mov_b32 s0, exec_lo
	s_wait_dscnt 0x9
	v_dual_mov_b32 v144, v105 :: v_dual_mov_b32 v145, v104
	s_wait_dscnt 0x8
	v_dual_mov_b32 v146, v109 :: v_dual_mov_b32 v147, v108
	;; [unrolled: 2-line block ×4, first 2 shown]
	s_wait_loadcnt_dscnt 0xa05
	v_dual_mul_f32 v7, v118, v63 :: v_dual_mul_f32 v9, v120, v65
	v_dual_mul_f32 v27, v119, v63 :: v_dual_mul_f32 v29, v121, v65
	s_wait_loadcnt_dscnt 0x904
	v_dual_mul_f32 v11, v122, v67 :: v_dual_mul_f32 v13, v124, v69
	s_delay_alu instid0(VALU_DEP_3) | instskip(SKIP_3) | instid1(VALU_DEP_3)
	v_dual_fmac_f32 v7, v119, v62 :: v_dual_fmac_f32 v9, v121, v64
	s_wait_loadcnt_dscnt 0x702
	v_dual_fma_f32 v27, v118, v62, -v27 :: v_dual_mul_f32 v39, v131, v75
	v_dual_mul_f32 v31, v123, v67 :: v_dual_mul_f32 v33, v125, v69
	v_dual_fma_f32 v29, v120, v64, -v29 :: v_dual_add_f32 v7, 0, v7
	s_delay_alu instid0(VALU_DEP_3) | instskip(SKIP_1) | instid1(VALU_DEP_3)
	v_dual_add_f32 v27, 0, v27 :: v_dual_mul_f32 v41, v133, v77
	v_dual_fmac_f32 v11, v123, v66 :: v_dual_fmac_f32 v13, v125, v68
	v_dual_fma_f32 v31, v122, v66, -v31 :: v_dual_add_f32 v7, v7, v9
	s_delay_alu instid0(VALU_DEP_3) | instskip(SKIP_2) | instid1(VALU_DEP_4)
	v_dual_add_f32 v9, v27, v29 :: v_dual_fma_f32 v29, v124, v68, -v33
	v_dual_mul_f32 v15, v126, v71 :: v_dual_mul_f32 v17, v128, v73
	v_dual_mul_f32 v35, v127, v71 :: v_dual_mul_f32 v37, v129, v73
	v_add_f32_e32 v7, v7, v11
	s_delay_alu instid0(VALU_DEP_3) | instskip(NEXT) | instid1(VALU_DEP_3)
	v_dual_add_f32 v9, v9, v31 :: v_dual_fmac_f32 v15, v127, v70
	v_fma_f32 v31, v126, v70, -v35
	v_dual_mul_f32 v19, v130, v75 :: v_dual_mul_f32 v21, v132, v77
	s_delay_alu instid0(VALU_DEP_4) | instskip(SKIP_2) | instid1(VALU_DEP_2)
	v_dual_add_f32 v7, v7, v13 :: v_dual_fmac_f32 v17, v129, v72
	s_wait_loadcnt_dscnt 0x500
	v_dual_add_f32 v9, v9, v29 :: v_dual_mul_f32 v13, v139, v83
	v_dual_fma_f32 v29, v128, v72, -v37 :: v_dual_add_f32 v7, v7, v15
	v_mul_f32_e32 v15, v141, v85
	s_delay_alu instid0(VALU_DEP_3) | instskip(NEXT) | instid1(VALU_DEP_3)
	v_dual_add_f32 v9, v9, v31 :: v_dual_fmac_f32 v19, v131, v74
	v_dual_fma_f32 v31, v130, v74, -v39 :: v_dual_add_f32 v7, v7, v17
	v_fmac_f32_e32 v21, v133, v76
	s_delay_alu instid0(VALU_DEP_3) | instskip(SKIP_4) | instid1(VALU_DEP_3)
	v_dual_add_f32 v9, v9, v29 :: v_dual_fma_f32 v17, v132, v76, -v41
	v_dual_mul_f32 v23, v134, v79 :: v_dual_mul_f32 v25, v136, v81
	v_dual_mul_f32 v27, v135, v79 :: v_dual_mul_f32 v11, v137, v81
	s_wait_loadcnt 0x4
	v_dual_add_f32 v7, v7, v19 :: v_dual_mov_b32 v64, v89
	v_dual_add_f32 v9, v9, v31 :: v_dual_fmac_f32 v23, v135, v78
	s_delay_alu instid0(VALU_DEP_2) | instskip(SKIP_1) | instid1(VALU_DEP_3)
	v_dual_fma_f32 v19, v134, v78, -v27 :: v_dual_add_f32 v7, v7, v21
	v_dual_mul_f32 v153, v138, v83 :: v_dual_mul_f32 v155, v140, v85
	v_dual_add_f32 v9, v9, v17 :: v_dual_fma_f32 v11, v136, v80, -v11
	s_delay_alu instid0(VALU_DEP_3) | instskip(SKIP_1) | instid1(VALU_DEP_3)
	v_dual_fmac_f32 v25, v137, v80 :: v_dual_add_f32 v7, v7, v23
	v_pk_mul_f32 v[62:63], v[102:103], v[86:87] op_sel:[1,1] op_sel_hi:[0,1]
	v_dual_add_f32 v9, v9, v19 :: v_dual_fmac_f32 v153, v139, v82
	s_wait_loadcnt 0x3
	v_dual_mov_b32 v68, v93 :: v_dual_fma_f32 v152, v138, v82, -v13
	s_delay_alu instid0(VALU_DEP_2)
	v_dual_add_f32 v71, v7, v25 :: v_dual_add_f32 v70, v9, v11
	v_fmac_f32_e32 v155, v141, v84
	v_pk_fma_f32 v[72:73], v[102:103], v[86:87], v[62:63] op_sel_hi:[1,0,1]
	v_fma_f32 v154, v140, v84, -v15
	v_pk_mul_f32 v[64:65], v[144:145], v[64:65] op_sel_hi:[1,0]
	v_pk_add_f32 v[70:71], v[70:71], v[152:153]
	v_pk_fma_f32 v[62:63], v[102:103], v[86:87], v[62:63] neg_lo:[0,0,1] neg_hi:[0,0,1]
	v_pk_mul_f32 v[66:67], v[106:107], v[90:91] op_sel:[1,1] op_sel_hi:[0,1]
	v_mov_b32_e32 v63, v73
	v_pk_fma_f32 v[72:73], v[104:105], v[88:89], v[64:65] op_sel_hi:[1,0,1]
	v_pk_add_f32 v[70:71], v[70:71], v[154:155]
	v_pk_fma_f32 v[64:65], v[104:105], v[88:89], v[64:65] neg_lo:[0,0,1] neg_hi:[0,0,1]
	v_pk_fma_f32 v[76:77], v[106:107], v[90:91], v[66:67] op_sel_hi:[1,0,1]
	v_pk_mul_f32 v[68:69], v[146:147], v[68:69] op_sel_hi:[1,0]
	v_mov_b32_e32 v65, v73
	v_pk_add_f32 v[62:63], v[70:71], v[62:63]
	s_wait_loadcnt 0x2
	v_pk_mul_f32 v[74:75], v[110:111], v[94:95] op_sel:[1,1] op_sel_hi:[0,1]
	v_mov_b32_e32 v70, v97
	v_pk_fma_f32 v[66:67], v[106:107], v[90:91], v[66:67] neg_lo:[0,0,1] neg_hi:[0,0,1]
	v_pk_fma_f32 v[72:73], v[108:109], v[92:93], v[68:69] op_sel_hi:[1,0,1]
	v_mov_b32_e32 v67, v77
	v_pk_add_f32 v[62:63], v[62:63], v[64:65]
	v_pk_fma_f32 v[64:65], v[110:111], v[94:95], v[74:75] op_sel_hi:[1,0,1]
	v_pk_mul_f32 v[70:71], v[148:149], v[70:71] op_sel_hi:[1,0]
	v_pk_fma_f32 v[68:69], v[108:109], v[92:93], v[68:69] neg_lo:[0,0,1] neg_hi:[0,0,1]
	v_mov_b32_e32 v69, v73
	v_pk_add_f32 v[62:63], v[62:63], v[66:67]
	v_pk_fma_f32 v[72:73], v[110:111], v[94:95], v[74:75] neg_lo:[0,0,1] neg_hi:[0,0,1]
	v_mov_b32_e32 v73, v65
	v_pk_fma_f32 v[64:65], v[112:113], v[96:97], v[70:71] op_sel_hi:[1,0,1]
	s_wait_loadcnt 0x1
	v_pk_mul_f32 v[66:67], v[114:115], v[98:99] op_sel:[1,1] op_sel_hi:[0,1]
	v_pk_add_f32 v[62:63], v[62:63], v[68:69]
	v_mov_b32_e32 v64, v101
	v_pk_fma_f32 v[70:71], v[112:113], v[96:97], v[70:71] neg_lo:[0,0,1] neg_hi:[0,0,1]
	s_delay_alu instid0(VALU_DEP_4)
	v_pk_fma_f32 v[68:69], v[114:115], v[98:99], v[66:67] op_sel_hi:[1,0,1]
	v_mov_b32_e32 v71, v65
	v_pk_add_f32 v[62:63], v[62:63], v[72:73]
	v_pk_mul_f32 v[64:65], v[150:151], v[64:65] op_sel_hi:[1,0]
	v_pk_fma_f32 v[66:67], v[114:115], v[98:99], v[66:67] neg_lo:[0,0,1] neg_hi:[0,0,1]
	v_mov_b32_e32 v67, v69
	s_delay_alu instid0(VALU_DEP_4) | instskip(NEXT) | instid1(VALU_DEP_4)
	v_pk_add_f32 v[62:63], v[62:63], v[70:71]
	v_pk_fma_f32 v[68:69], v[116:117], v[100:101], v[64:65] op_sel_hi:[1,0,1]
	v_pk_fma_f32 v[64:65], v[116:117], v[100:101], v[64:65] neg_lo:[0,0,1] neg_hi:[0,0,1]
	s_delay_alu instid0(VALU_DEP_3) | instskip(NEXT) | instid1(VALU_DEP_3)
	v_pk_add_f32 v[62:63], v[62:63], v[66:67]
	v_mov_b32_e32 v65, v69
	s_delay_alu instid0(VALU_DEP_1) | instskip(SKIP_1) | instid1(VALU_DEP_1)
	v_pk_add_f32 v[62:63], v[62:63], v[64:65]
	s_wait_loadcnt 0x0
	v_pk_add_f32 v[62:63], v[142:143], v[62:63] neg_lo:[0,1] neg_hi:[0,1]
	scratch_store_b64 off, v[62:63], off offset:72
	s_wait_xcnt 0x0
	v_cmpx_lt_u32_e32 8, v0
	s_cbranch_execz .LBB93_177
; %bb.176:
	scratch_load_b64 v[62:63], off, off offset:64
	v_mov_b64_e32 v[64:65], 0
	scratch_store_b64 off, v[64:65], off offset:64
	s_wait_loadcnt 0x0
	ds_store_b64 v1, v[62:63]
.LBB93_177:
	s_wait_xcnt 0x0
	s_or_b32 exec_lo, exec_lo, s0
	s_wait_storecnt_dscnt 0x0
	s_barrier_signal -1
	s_barrier_wait -1
	s_clause 0xb
	scratch_load_b128 v[62:65], off, off offset:72
	scratch_load_b128 v[66:69], off, off offset:88
	;; [unrolled: 1-line block ×10, first 2 shown]
	scratch_load_b64 v[142:143], off, off offset:232
	scratch_load_b64 v[144:145], off, off offset:64
	v_mov_b32_e32 v7, 0
	ds_load_2addr_b64 v[102:105], v7 offset0:51 offset1:52
	ds_load_2addr_b64 v[106:109], v7 offset0:53 offset1:54
	;; [unrolled: 1-line block ×10, first 2 shown]
	ds_load_b64 v[146:147], v7 offset:472
	s_mov_b32 s0, exec_lo
	s_wait_dscnt 0xa
	v_dual_mov_b32 v148, v105 :: v_dual_mov_b32 v149, v104
	s_wait_dscnt 0x7
	v_dual_mov_b32 v150, v109 :: v_dual_mov_b32 v155, v116
	v_dual_mov_b32 v151, v108 :: v_dual_mov_b32 v152, v113
	;; [unrolled: 1-line block ×3, first 2 shown]
	s_wait_loadcnt_dscnt 0xb06
	v_dual_mul_f32 v9, v118, v63 :: v_dual_mul_f32 v31, v119, v63
	v_dual_mul_f32 v33, v121, v65 :: v_dual_mul_f32 v11, v120, v65
	s_wait_loadcnt_dscnt 0xa05
	v_mul_f32_e32 v13, v122, v67
	s_wait_loadcnt_dscnt 0x803
	v_dual_mul_f32 v43, v131, v75 :: v_dual_fma_f32 v31, v118, v62, -v31
	v_dual_fmac_f32 v9, v119, v62 :: v_dual_mul_f32 v45, v133, v77
	v_dual_mul_f32 v35, v123, v67 :: v_dual_mul_f32 v37, v125, v69
	v_dual_fmac_f32 v11, v121, v64 :: v_dual_fma_f32 v33, v120, v64, -v33
	s_delay_alu instid0(VALU_DEP_3) | instskip(SKIP_3) | instid1(VALU_DEP_3)
	v_dual_add_f32 v9, 0, v9 :: v_dual_add_f32 v31, 0, v31
	v_dual_mul_f32 v15, v124, v69 :: v_dual_mul_f32 v17, v126, v71
	s_wait_loadcnt_dscnt 0x702
	v_dual_mul_f32 v47, v135, v79 :: v_dual_fma_f32 v35, v122, v66, -v35
	v_dual_fmac_f32 v13, v123, v66 :: v_dual_add_f32 v9, v9, v11
	s_delay_alu instid0(VALU_DEP_3) | instskip(SKIP_2) | instid1(VALU_DEP_3)
	v_dual_add_f32 v11, v31, v33 :: v_dual_fmac_f32 v15, v125, v68
	v_dual_mul_f32 v39, v127, v71 :: v_dual_mul_f32 v41, v129, v73
	v_dual_mul_f32 v31, v137, v81 :: v_dual_fma_f32 v33, v124, v68, -v37
	v_dual_add_f32 v9, v9, v13 :: v_dual_add_f32 v11, v11, v35
	v_dual_mul_f32 v19, v128, v73 :: v_dual_mul_f32 v21, v130, v75
	s_wait_loadcnt_dscnt 0x601
	v_dual_mul_f32 v13, v139, v83 :: v_dual_fma_f32 v35, v126, v70, -v39
	s_delay_alu instid0(VALU_DEP_3) | instskip(NEXT) | instid1(VALU_DEP_3)
	v_dual_fmac_f32 v17, v127, v70 :: v_dual_add_f32 v9, v9, v15
	v_dual_add_f32 v11, v11, v33 :: v_dual_fmac_f32 v19, v129, v72
	v_dual_mul_f32 v15, v141, v85 :: v_dual_fma_f32 v33, v128, v72, -v41
	s_delay_alu instid0(VALU_DEP_2) | instskip(SKIP_3) | instid1(VALU_DEP_3)
	v_dual_add_f32 v9, v9, v17 :: v_dual_add_f32 v11, v11, v35
	v_dual_mul_f32 v23, v132, v77 :: v_dual_mul_f32 v25, v134, v79
	s_wait_loadcnt 0x5
	v_dual_mul_f32 v17, v103, v87 :: v_dual_fma_f32 v35, v130, v74, -v43
	v_dual_fmac_f32 v21, v131, v74 :: v_dual_add_f32 v9, v9, v19
	v_dual_add_f32 v11, v11, v33 :: v_dual_mov_b32 v62, v89
	v_dual_fmac_f32 v23, v133, v76 :: v_dual_fma_f32 v19, v132, v76, -v45
	s_delay_alu instid0(VALU_DEP_2) | instskip(SKIP_2) | instid1(VALU_DEP_3)
	v_dual_add_f32 v9, v9, v21 :: v_dual_add_f32 v11, v11, v35
	v_dual_mul_f32 v27, v136, v81 :: v_dual_mul_f32 v29, v138, v83
	v_dual_fmac_f32 v25, v135, v78 :: v_dual_fma_f32 v21, v134, v78, -v47
	v_add_f32_e32 v9, v9, v23
	s_wait_loadcnt 0x4
	v_dual_add_f32 v11, v11, v19 :: v_dual_mov_b32 v66, v93
	v_fmac_f32_e32 v27, v137, v80
	s_delay_alu instid0(VALU_DEP_3) | instskip(SKIP_1) | instid1(VALU_DEP_4)
	v_dual_fma_f32 v19, v136, v80, -v31 :: v_dual_add_f32 v9, v9, v25
	v_fmac_f32_e32 v29, v139, v82
	v_add_f32_e32 v11, v11, v21
	v_dual_mul_f32 v157, v140, v85 :: v_dual_mul_f32 v159, v102, v87
	s_delay_alu instid0(VALU_DEP_4) | instskip(NEXT) | instid1(VALU_DEP_2)
	v_dual_fma_f32 v13, v138, v82, -v13 :: v_dual_add_f32 v9, v9, v27
	v_dual_add_f32 v11, v11, v19 :: v_dual_fmac_f32 v157, v141, v84
	v_fma_f32 v156, v140, v84, -v15
	v_pk_mul_f32 v[62:63], v[148:149], v[62:63] op_sel_hi:[1,0]
	s_delay_alu instid0(VALU_DEP_4)
	v_add_f32_e32 v71, v9, v29
	s_wait_loadcnt 0x3
	v_dual_add_f32 v70, v11, v13 :: v_dual_mov_b32 v72, v97
	v_pk_mul_f32 v[64:65], v[106:107], v[90:91] op_sel:[1,1] op_sel_hi:[0,1]
	v_dual_fmac_f32 v159, v103, v86 :: v_dual_fma_f32 v158, v102, v86, -v17
	v_pk_fma_f32 v[74:75], v[104:105], v[88:89], v[62:63] op_sel_hi:[1,0,1]
	s_delay_alu instid0(VALU_DEP_4)
	v_pk_add_f32 v[70:71], v[70:71], v[156:157]
	v_pk_fma_f32 v[62:63], v[104:105], v[88:89], v[62:63] neg_lo:[0,0,1] neg_hi:[0,0,1]
	v_pk_fma_f32 v[76:77], v[106:107], v[90:91], v[64:65] op_sel_hi:[1,0,1]
	v_pk_mul_f32 v[66:67], v[150:151], v[66:67] op_sel_hi:[1,0]
	v_mov_b32_e32 v63, v75
	v_pk_add_f32 v[70:71], v[70:71], v[158:159]
	v_pk_fma_f32 v[64:65], v[106:107], v[90:91], v[64:65] neg_lo:[0,0,1] neg_hi:[0,0,1]
	v_pk_mul_f32 v[68:69], v[110:111], v[94:95] op_sel:[1,1] op_sel_hi:[0,1]
	v_mov_b32_e32 v65, v77
	v_pk_fma_f32 v[76:77], v[108:109], v[92:93], v[66:67] op_sel_hi:[1,0,1]
	v_pk_add_f32 v[62:63], v[70:71], v[62:63]
	v_pk_fma_f32 v[66:67], v[108:109], v[92:93], v[66:67] neg_lo:[0,0,1] neg_hi:[0,0,1]
	v_pk_fma_f32 v[70:71], v[110:111], v[94:95], v[68:69] op_sel_hi:[1,0,1]
	v_pk_mul_f32 v[72:73], v[152:153], v[72:73] op_sel_hi:[1,0]
	v_mov_b32_e32 v67, v77
	v_pk_add_f32 v[62:63], v[62:63], v[64:65]
	v_pk_fma_f32 v[68:69], v[110:111], v[94:95], v[68:69] neg_lo:[0,0,1] neg_hi:[0,0,1]
	s_wait_loadcnt 0x2
	v_pk_mul_f32 v[74:75], v[114:115], v[98:99] op_sel:[1,1] op_sel_hi:[0,1]
	v_dual_mov_b32 v64, v101 :: v_dual_mov_b32 v69, v71
	v_pk_fma_f32 v[70:71], v[112:113], v[96:97], v[72:73] op_sel_hi:[1,0,1]
	v_pk_add_f32 v[62:63], v[62:63], v[66:67]
	v_pk_fma_f32 v[72:73], v[112:113], v[96:97], v[72:73] neg_lo:[0,0,1] neg_hi:[0,0,1]
	v_pk_fma_f32 v[66:67], v[114:115], v[98:99], v[74:75] op_sel_hi:[1,0,1]
	v_pk_mul_f32 v[64:65], v[154:155], v[64:65] op_sel_hi:[1,0]
	v_mov_b32_e32 v73, v71
	v_pk_add_f32 v[62:63], v[62:63], v[68:69]
	v_pk_fma_f32 v[68:69], v[114:115], v[98:99], v[74:75] neg_lo:[0,0,1] neg_hi:[0,0,1]
	v_mov_b32_e32 v69, v67
	v_pk_fma_f32 v[66:67], v[116:117], v[100:101], v[64:65] op_sel_hi:[1,0,1]
	s_wait_loadcnt_dscnt 0x100
	v_pk_mul_f32 v[70:71], v[146:147], v[142:143] op_sel:[1,1] op_sel_hi:[0,1]
	v_pk_add_f32 v[62:63], v[62:63], v[72:73]
	v_pk_fma_f32 v[64:65], v[116:117], v[100:101], v[64:65] neg_lo:[0,0,1] neg_hi:[0,0,1]
	v_mov_b32_e32 v65, v67
	s_delay_alu instid0(VALU_DEP_4) | instskip(NEXT) | instid1(VALU_DEP_4)
	v_pk_fma_f32 v[66:67], v[146:147], v[142:143], v[70:71] op_sel_hi:[1,0,1]
	v_pk_add_f32 v[62:63], v[62:63], v[68:69]
	v_pk_fma_f32 v[68:69], v[146:147], v[142:143], v[70:71] neg_lo:[0,0,1] neg_hi:[0,0,1]
	s_delay_alu instid0(VALU_DEP_3) | instskip(NEXT) | instid1(VALU_DEP_3)
	v_mov_b32_e32 v69, v67
	v_pk_add_f32 v[62:63], v[62:63], v[64:65]
	s_delay_alu instid0(VALU_DEP_1) | instskip(SKIP_1) | instid1(VALU_DEP_1)
	v_pk_add_f32 v[62:63], v[62:63], v[68:69]
	s_wait_loadcnt 0x0
	v_pk_add_f32 v[62:63], v[144:145], v[62:63] neg_lo:[0,1] neg_hi:[0,1]
	scratch_store_b64 off, v[62:63], off offset:64
	s_wait_xcnt 0x0
	v_cmpx_lt_u32_e32 7, v0
	s_cbranch_execz .LBB93_179
; %bb.178:
	scratch_load_b64 v[62:63], off, off offset:56
	v_mov_b64_e32 v[64:65], 0
	scratch_store_b64 off, v[64:65], off offset:56
	s_wait_loadcnt 0x0
	ds_store_b64 v1, v[62:63]
.LBB93_179:
	s_wait_xcnt 0x0
	s_or_b32 exec_lo, exec_lo, s0
	s_wait_storecnt_dscnt 0x0
	s_barrier_signal -1
	s_barrier_wait -1
	s_clause 0xb
	scratch_load_b128 v[62:65], off, off offset:64
	scratch_load_b128 v[66:69], off, off offset:80
	scratch_load_b128 v[70:73], off, off offset:96
	scratch_load_b128 v[74:77], off, off offset:112
	scratch_load_b128 v[78:81], off, off offset:128
	scratch_load_b128 v[82:85], off, off offset:144
	scratch_load_b128 v[86:89], off, off offset:160
	scratch_load_b128 v[90:93], off, off offset:176
	scratch_load_b128 v[94:97], off, off offset:192
	scratch_load_b128 v[98:101], off, off offset:208
	scratch_load_b128 v[102:105], off, off offset:224
	scratch_load_b64 v[150:151], off, off offset:56
	ds_load_b128 v[106:109], v7 offset:416
	ds_load_b128 v[110:113], v7 offset:432
	;; [unrolled: 1-line block ×11, first 2 shown]
	s_mov_b32 s0, exec_lo
	s_wait_dscnt 0xa
	v_dual_mov_b32 v152, v109 :: v_dual_mov_b32 v153, v108
	s_wait_dscnt 0x9
	v_dual_mov_b32 v154, v113 :: v_dual_mov_b32 v155, v112
	;; [unrolled: 2-line block ×4, first 2 shown]
	s_wait_loadcnt_dscnt 0xb06
	v_dual_mul_f32 v7, v122, v63 :: v_dual_mul_f32 v9, v124, v65
	v_dual_mul_f32 v31, v123, v63 :: v_dual_mul_f32 v33, v125, v65
	s_wait_loadcnt_dscnt 0xa05
	v_dual_mul_f32 v11, v126, v67 :: v_dual_mul_f32 v13, v128, v69
	s_delay_alu instid0(VALU_DEP_3) | instskip(SKIP_3) | instid1(VALU_DEP_3)
	v_dual_fmac_f32 v7, v123, v62 :: v_dual_fmac_f32 v9, v125, v64
	s_wait_loadcnt_dscnt 0x803
	v_dual_fma_f32 v31, v122, v62, -v31 :: v_dual_mul_f32 v43, v135, v75
	v_dual_mul_f32 v35, v127, v67 :: v_dual_mul_f32 v37, v129, v69
	v_dual_fma_f32 v33, v124, v64, -v33 :: v_dual_add_f32 v7, 0, v7
	s_delay_alu instid0(VALU_DEP_3) | instskip(SKIP_1) | instid1(VALU_DEP_3)
	v_dual_add_f32 v31, 0, v31 :: v_dual_mul_f32 v45, v137, v77
	v_dual_fmac_f32 v11, v127, v66 :: v_dual_fmac_f32 v13, v129, v68
	v_dual_fma_f32 v35, v126, v66, -v35 :: v_dual_add_f32 v7, v7, v9
	s_delay_alu instid0(VALU_DEP_3) | instskip(SKIP_2) | instid1(VALU_DEP_4)
	v_dual_add_f32 v9, v31, v33 :: v_dual_fma_f32 v33, v128, v68, -v37
	v_dual_mul_f32 v15, v130, v71 :: v_dual_mul_f32 v17, v132, v73
	v_dual_mul_f32 v39, v131, v71 :: v_dual_mul_f32 v41, v133, v73
	v_add_f32_e32 v7, v7, v11
	s_delay_alu instid0(VALU_DEP_3) | instskip(NEXT) | instid1(VALU_DEP_3)
	v_dual_add_f32 v9, v9, v35 :: v_dual_fmac_f32 v15, v131, v70
	v_fma_f32 v35, v130, v70, -v39
	v_dual_mul_f32 v19, v134, v75 :: v_dual_mul_f32 v21, v136, v77
	s_delay_alu instid0(VALU_DEP_4) | instskip(SKIP_2) | instid1(VALU_DEP_2)
	v_dual_add_f32 v7, v7, v13 :: v_dual_fmac_f32 v17, v133, v72
	s_wait_loadcnt_dscnt 0x601
	v_dual_add_f32 v9, v9, v33 :: v_dual_mul_f32 v13, v143, v83
	v_dual_fma_f32 v33, v132, v72, -v41 :: v_dual_add_f32 v7, v7, v15
	v_mul_f32_e32 v15, v145, v85
	s_delay_alu instid0(VALU_DEP_3) | instskip(NEXT) | instid1(VALU_DEP_3)
	v_dual_add_f32 v9, v9, v35 :: v_dual_fmac_f32 v19, v135, v74
	v_dual_fma_f32 v35, v134, v74, -v43 :: v_dual_add_f32 v7, v7, v17
	v_fmac_f32_e32 v21, v137, v76
	s_wait_loadcnt_dscnt 0x500
	s_delay_alu instid0(VALU_DEP_3) | instskip(SKIP_3) | instid1(VALU_DEP_3)
	v_dual_add_f32 v9, v9, v33 :: v_dual_mul_f32 v17, v147, v87
	v_dual_mul_f32 v23, v138, v79 :: v_dual_mul_f32 v25, v140, v81
	v_dual_mul_f32 v31, v139, v79 :: v_dual_mul_f32 v11, v141, v81
	v_dual_fma_f32 v33, v136, v76, -v45 :: v_dual_add_f32 v7, v7, v19
	v_dual_add_f32 v9, v9, v35 :: v_dual_fmac_f32 v23, v139, v78
	s_delay_alu instid0(VALU_DEP_3) | instskip(NEXT) | instid1(VALU_DEP_3)
	v_dual_mul_f32 v19, v149, v89 :: v_dual_fma_f32 v31, v138, v78, -v31
	v_dual_add_f32 v7, v7, v21 :: v_dual_fmac_f32 v25, v141, v80
	s_delay_alu instid0(VALU_DEP_3) | instskip(SKIP_2) | instid1(VALU_DEP_3)
	v_dual_add_f32 v9, v9, v33 :: v_dual_fma_f32 v11, v140, v80, -v11
	v_dual_mul_f32 v27, v142, v83 :: v_dual_mul_f32 v29, v144, v85
	s_wait_loadcnt 0x4
	v_dual_add_f32 v7, v7, v23 :: v_dual_mov_b32 v64, v93
	s_delay_alu instid0(VALU_DEP_2) | instskip(NEXT) | instid1(VALU_DEP_2)
	v_dual_add_f32 v9, v9, v31 :: v_dual_fmac_f32 v27, v143, v82
	v_dual_fma_f32 v13, v142, v82, -v13 :: v_dual_add_f32 v7, v7, v25
	v_dual_mul_f32 v161, v146, v87 :: v_dual_mul_f32 v163, v148, v89
	s_delay_alu instid0(VALU_DEP_3) | instskip(NEXT) | instid1(VALU_DEP_3)
	v_dual_add_f32 v9, v9, v11 :: v_dual_fma_f32 v11, v144, v84, -v15
	v_dual_fmac_f32 v29, v145, v84 :: v_dual_add_f32 v7, v7, v27
	v_pk_mul_f32 v[62:63], v[106:107], v[90:91] op_sel:[1,1] op_sel_hi:[0,1]
	s_delay_alu instid0(VALU_DEP_3) | instskip(SKIP_2) | instid1(VALU_DEP_2)
	v_dual_add_f32 v9, v9, v13 :: v_dual_fmac_f32 v161, v147, v86
	s_wait_loadcnt 0x3
	v_dual_mov_b32 v68, v97 :: v_dual_fma_f32 v160, v146, v86, -v17
	v_dual_add_f32 v71, v7, v29 :: v_dual_add_f32 v70, v9, v11
	v_fmac_f32_e32 v163, v149, v88
	v_pk_fma_f32 v[72:73], v[106:107], v[90:91], v[62:63] op_sel_hi:[1,0,1]
	v_fma_f32 v162, v148, v88, -v19
	v_pk_mul_f32 v[64:65], v[152:153], v[64:65] op_sel_hi:[1,0]
	v_pk_add_f32 v[70:71], v[70:71], v[160:161]
	v_pk_fma_f32 v[62:63], v[106:107], v[90:91], v[62:63] neg_lo:[0,0,1] neg_hi:[0,0,1]
	v_pk_mul_f32 v[66:67], v[110:111], v[94:95] op_sel:[1,1] op_sel_hi:[0,1]
	v_mov_b32_e32 v63, v73
	v_pk_fma_f32 v[72:73], v[108:109], v[92:93], v[64:65] op_sel_hi:[1,0,1]
	v_pk_add_f32 v[70:71], v[70:71], v[162:163]
	v_pk_fma_f32 v[64:65], v[108:109], v[92:93], v[64:65] neg_lo:[0,0,1] neg_hi:[0,0,1]
	v_pk_fma_f32 v[76:77], v[110:111], v[94:95], v[66:67] op_sel_hi:[1,0,1]
	v_pk_mul_f32 v[68:69], v[154:155], v[68:69] op_sel_hi:[1,0]
	v_mov_b32_e32 v65, v73
	v_pk_add_f32 v[62:63], v[70:71], v[62:63]
	s_wait_loadcnt 0x2
	v_pk_mul_f32 v[74:75], v[114:115], v[98:99] op_sel:[1,1] op_sel_hi:[0,1]
	v_mov_b32_e32 v70, v101
	v_pk_fma_f32 v[66:67], v[110:111], v[94:95], v[66:67] neg_lo:[0,0,1] neg_hi:[0,0,1]
	v_pk_fma_f32 v[72:73], v[112:113], v[96:97], v[68:69] op_sel_hi:[1,0,1]
	v_mov_b32_e32 v67, v77
	v_pk_add_f32 v[62:63], v[62:63], v[64:65]
	v_pk_fma_f32 v[64:65], v[114:115], v[98:99], v[74:75] op_sel_hi:[1,0,1]
	v_pk_mul_f32 v[70:71], v[156:157], v[70:71] op_sel_hi:[1,0]
	v_pk_fma_f32 v[68:69], v[112:113], v[96:97], v[68:69] neg_lo:[0,0,1] neg_hi:[0,0,1]
	v_mov_b32_e32 v69, v73
	v_pk_add_f32 v[62:63], v[62:63], v[66:67]
	v_pk_fma_f32 v[72:73], v[114:115], v[98:99], v[74:75] neg_lo:[0,0,1] neg_hi:[0,0,1]
	v_mov_b32_e32 v73, v65
	v_pk_fma_f32 v[64:65], v[116:117], v[100:101], v[70:71] op_sel_hi:[1,0,1]
	s_wait_loadcnt 0x1
	v_pk_mul_f32 v[66:67], v[118:119], v[102:103] op_sel:[1,1] op_sel_hi:[0,1]
	v_pk_add_f32 v[62:63], v[62:63], v[68:69]
	v_mov_b32_e32 v64, v105
	v_pk_fma_f32 v[70:71], v[116:117], v[100:101], v[70:71] neg_lo:[0,0,1] neg_hi:[0,0,1]
	s_delay_alu instid0(VALU_DEP_4)
	v_pk_fma_f32 v[68:69], v[118:119], v[102:103], v[66:67] op_sel_hi:[1,0,1]
	v_mov_b32_e32 v71, v65
	v_pk_add_f32 v[62:63], v[62:63], v[72:73]
	v_pk_mul_f32 v[64:65], v[158:159], v[64:65] op_sel_hi:[1,0]
	v_pk_fma_f32 v[66:67], v[118:119], v[102:103], v[66:67] neg_lo:[0,0,1] neg_hi:[0,0,1]
	v_mov_b32_e32 v67, v69
	s_delay_alu instid0(VALU_DEP_4) | instskip(NEXT) | instid1(VALU_DEP_4)
	v_pk_add_f32 v[62:63], v[62:63], v[70:71]
	v_pk_fma_f32 v[68:69], v[120:121], v[104:105], v[64:65] op_sel_hi:[1,0,1]
	v_pk_fma_f32 v[64:65], v[120:121], v[104:105], v[64:65] neg_lo:[0,0,1] neg_hi:[0,0,1]
	s_delay_alu instid0(VALU_DEP_3) | instskip(NEXT) | instid1(VALU_DEP_3)
	v_pk_add_f32 v[62:63], v[62:63], v[66:67]
	v_mov_b32_e32 v65, v69
	s_delay_alu instid0(VALU_DEP_1) | instskip(SKIP_1) | instid1(VALU_DEP_1)
	v_pk_add_f32 v[62:63], v[62:63], v[64:65]
	s_wait_loadcnt 0x0
	v_pk_add_f32 v[62:63], v[150:151], v[62:63] neg_lo:[0,1] neg_hi:[0,1]
	scratch_store_b64 off, v[62:63], off offset:56
	s_wait_xcnt 0x0
	v_cmpx_lt_u32_e32 6, v0
	s_cbranch_execz .LBB93_181
; %bb.180:
	scratch_load_b64 v[62:63], off, off offset:48
	v_mov_b64_e32 v[64:65], 0
	scratch_store_b64 off, v[64:65], off offset:48
	s_wait_loadcnt 0x0
	ds_store_b64 v1, v[62:63]
.LBB93_181:
	s_wait_xcnt 0x0
	s_or_b32 exec_lo, exec_lo, s0
	s_wait_storecnt_dscnt 0x0
	s_barrier_signal -1
	s_barrier_wait -1
	s_clause 0xc
	scratch_load_b128 v[62:65], off, off offset:56
	scratch_load_b128 v[66:69], off, off offset:72
	;; [unrolled: 1-line block ×11, first 2 shown]
	scratch_load_b64 v[150:151], off, off offset:232
	scratch_load_b64 v[152:153], off, off offset:48
	v_mov_b32_e32 v7, 0
	ds_load_2addr_b64 v[106:109], v7 offset0:51 offset1:52
	ds_load_2addr_b64 v[110:113], v7 offset0:53 offset1:54
	;; [unrolled: 1-line block ×11, first 2 shown]
	ds_load_b64 v[154:155], v7 offset:472
	s_mov_b32 s0, exec_lo
	s_wait_dscnt 0xb
	v_dual_mov_b32 v156, v109 :: v_dual_mov_b32 v157, v108
	s_wait_dscnt 0x8
	v_dual_mov_b32 v158, v113 :: v_dual_mov_b32 v163, v120
	v_dual_mov_b32 v159, v112 :: v_dual_mov_b32 v160, v117
	;; [unrolled: 1-line block ×3, first 2 shown]
	s_wait_loadcnt_dscnt 0xc07
	v_dual_mul_f32 v9, v122, v63 :: v_dual_mul_f32 v35, v123, v63
	v_dual_mul_f32 v37, v125, v65 :: v_dual_mul_f32 v11, v124, v65
	s_wait_loadcnt_dscnt 0xb06
	v_mul_f32_e32 v13, v126, v67
	s_wait_loadcnt_dscnt 0x904
	v_dual_mul_f32 v47, v135, v75 :: v_dual_fma_f32 v35, v122, v62, -v35
	v_dual_fmac_f32 v9, v123, v62 :: v_dual_mul_f32 v49, v137, v77
	v_dual_mul_f32 v39, v127, v67 :: v_dual_mul_f32 v41, v129, v69
	v_dual_fmac_f32 v11, v125, v64 :: v_dual_fma_f32 v37, v124, v64, -v37
	s_delay_alu instid0(VALU_DEP_3) | instskip(SKIP_3) | instid1(VALU_DEP_3)
	v_dual_add_f32 v9, 0, v9 :: v_dual_add_f32 v35, 0, v35
	v_dual_mul_f32 v15, v128, v69 :: v_dual_mul_f32 v17, v130, v71
	s_wait_loadcnt_dscnt 0x803
	v_dual_mul_f32 v51, v139, v79 :: v_dual_fma_f32 v39, v126, v66, -v39
	v_dual_fmac_f32 v13, v127, v66 :: v_dual_add_f32 v9, v9, v11
	s_delay_alu instid0(VALU_DEP_3) | instskip(SKIP_2) | instid1(VALU_DEP_3)
	v_dual_add_f32 v11, v35, v37 :: v_dual_fmac_f32 v15, v129, v68
	v_dual_mul_f32 v43, v131, v71 :: v_dual_mul_f32 v45, v133, v73
	v_dual_mul_f32 v35, v141, v81 :: v_dual_fma_f32 v37, v128, v68, -v41
	v_dual_add_f32 v9, v9, v13 :: v_dual_add_f32 v11, v11, v39
	v_dual_mul_f32 v19, v132, v73 :: v_dual_mul_f32 v21, v134, v75
	s_wait_loadcnt_dscnt 0x701
	v_dual_mul_f32 v13, v147, v83 :: v_dual_fma_f32 v39, v130, v70, -v43
	s_delay_alu instid0(VALU_DEP_3) | instskip(NEXT) | instid1(VALU_DEP_3)
	v_dual_fmac_f32 v17, v131, v70 :: v_dual_add_f32 v9, v9, v15
	v_dual_add_f32 v11, v11, v37 :: v_dual_fmac_f32 v19, v133, v72
	v_dual_mul_f32 v15, v149, v85 :: v_dual_fma_f32 v37, v132, v72, -v45
	s_delay_alu instid0(VALU_DEP_2) | instskip(SKIP_3) | instid1(VALU_DEP_3)
	v_dual_add_f32 v9, v9, v17 :: v_dual_add_f32 v11, v11, v39
	v_dual_mul_f32 v23, v136, v77 :: v_dual_mul_f32 v25, v138, v79
	s_wait_loadcnt 0x6
	v_dual_mul_f32 v17, v143, v87 :: v_dual_fma_f32 v39, v134, v74, -v47
	v_dual_fmac_f32 v21, v135, v74 :: v_dual_add_f32 v9, v9, v19
	s_delay_alu instid0(VALU_DEP_3) | instskip(SKIP_1) | instid1(VALU_DEP_2)
	v_dual_add_f32 v11, v11, v37 :: v_dual_fmac_f32 v23, v137, v76
	v_dual_mul_f32 v19, v145, v89 :: v_dual_fma_f32 v37, v136, v76, -v49
	v_dual_add_f32 v9, v9, v21 :: v_dual_add_f32 v11, v11, v39
	v_dual_mul_f32 v27, v140, v81 :: v_dual_mul_f32 v29, v146, v83
	s_wait_loadcnt 0x5
	v_dual_mul_f32 v21, v107, v91 :: v_dual_fma_f32 v39, v138, v78, -v51
	s_delay_alu instid0(VALU_DEP_3) | instskip(SKIP_2) | instid1(VALU_DEP_3)
	v_dual_fmac_f32 v25, v139, v78 :: v_dual_add_f32 v9, v9, v23
	v_dual_add_f32 v11, v11, v37 :: v_dual_mov_b32 v62, v93
	v_fmac_f32_e32 v27, v141, v80
	v_dual_fma_f32 v23, v140, v80, -v35 :: v_dual_add_f32 v9, v9, v25
	s_delay_alu instid0(VALU_DEP_3) | instskip(SKIP_1) | instid1(VALU_DEP_3)
	v_dual_add_f32 v11, v11, v39 :: v_dual_mul_f32 v31, v148, v85
	v_dual_mul_f32 v33, v142, v87 :: v_dual_fmac_f32 v29, v147, v82
	v_dual_add_f32 v9, v9, v27 :: v_dual_fma_f32 v13, v146, v82, -v13
	s_wait_loadcnt 0x4
	s_delay_alu instid0(VALU_DEP_3) | instskip(SKIP_3) | instid1(VALU_DEP_4)
	v_dual_add_f32 v11, v11, v23 :: v_dual_mov_b32 v66, v97
	v_fma_f32 v15, v148, v84, -v15
	v_fmac_f32_e32 v31, v149, v84
	v_dual_add_f32 v9, v9, v29 :: v_dual_fmac_f32 v33, v143, v86
	v_add_f32_e32 v11, v11, v13
	v_dual_mul_f32 v165, v144, v89 :: v_dual_mul_f32 v167, v106, v91
	s_delay_alu instid0(VALU_DEP_3) | instskip(NEXT) | instid1(VALU_DEP_2)
	v_dual_fma_f32 v13, v142, v86, -v17 :: v_dual_add_f32 v9, v9, v31
	v_dual_add_f32 v11, v11, v15 :: v_dual_fmac_f32 v165, v145, v88
	v_fma_f32 v164, v144, v88, -v19
	v_pk_mul_f32 v[62:63], v[156:157], v[62:63] op_sel_hi:[1,0]
	s_delay_alu instid0(VALU_DEP_4)
	v_add_f32_e32 v71, v9, v33
	s_wait_loadcnt 0x3
	v_dual_add_f32 v70, v11, v13 :: v_dual_mov_b32 v72, v101
	v_pk_mul_f32 v[64:65], v[110:111], v[94:95] op_sel:[1,1] op_sel_hi:[0,1]
	v_dual_fmac_f32 v167, v107, v90 :: v_dual_fma_f32 v166, v106, v90, -v21
	v_pk_fma_f32 v[74:75], v[108:109], v[92:93], v[62:63] op_sel_hi:[1,0,1]
	s_delay_alu instid0(VALU_DEP_4)
	v_pk_add_f32 v[70:71], v[70:71], v[164:165]
	v_pk_fma_f32 v[62:63], v[108:109], v[92:93], v[62:63] neg_lo:[0,0,1] neg_hi:[0,0,1]
	v_pk_fma_f32 v[76:77], v[110:111], v[94:95], v[64:65] op_sel_hi:[1,0,1]
	v_pk_mul_f32 v[66:67], v[158:159], v[66:67] op_sel_hi:[1,0]
	v_mov_b32_e32 v63, v75
	v_pk_add_f32 v[70:71], v[70:71], v[166:167]
	v_pk_fma_f32 v[64:65], v[110:111], v[94:95], v[64:65] neg_lo:[0,0,1] neg_hi:[0,0,1]
	v_pk_mul_f32 v[68:69], v[114:115], v[98:99] op_sel:[1,1] op_sel_hi:[0,1]
	v_mov_b32_e32 v65, v77
	v_pk_fma_f32 v[76:77], v[112:113], v[96:97], v[66:67] op_sel_hi:[1,0,1]
	v_pk_add_f32 v[62:63], v[70:71], v[62:63]
	v_pk_fma_f32 v[66:67], v[112:113], v[96:97], v[66:67] neg_lo:[0,0,1] neg_hi:[0,0,1]
	v_pk_fma_f32 v[70:71], v[114:115], v[98:99], v[68:69] op_sel_hi:[1,0,1]
	v_pk_mul_f32 v[72:73], v[160:161], v[72:73] op_sel_hi:[1,0]
	v_mov_b32_e32 v67, v77
	v_pk_add_f32 v[62:63], v[62:63], v[64:65]
	v_pk_fma_f32 v[68:69], v[114:115], v[98:99], v[68:69] neg_lo:[0,0,1] neg_hi:[0,0,1]
	s_wait_loadcnt 0x2
	v_pk_mul_f32 v[74:75], v[118:119], v[102:103] op_sel:[1,1] op_sel_hi:[0,1]
	v_dual_mov_b32 v64, v105 :: v_dual_mov_b32 v69, v71
	v_pk_fma_f32 v[70:71], v[116:117], v[100:101], v[72:73] op_sel_hi:[1,0,1]
	v_pk_add_f32 v[62:63], v[62:63], v[66:67]
	v_pk_fma_f32 v[72:73], v[116:117], v[100:101], v[72:73] neg_lo:[0,0,1] neg_hi:[0,0,1]
	v_pk_fma_f32 v[66:67], v[118:119], v[102:103], v[74:75] op_sel_hi:[1,0,1]
	v_pk_mul_f32 v[64:65], v[162:163], v[64:65] op_sel_hi:[1,0]
	v_mov_b32_e32 v73, v71
	v_pk_add_f32 v[62:63], v[62:63], v[68:69]
	v_pk_fma_f32 v[68:69], v[118:119], v[102:103], v[74:75] neg_lo:[0,0,1] neg_hi:[0,0,1]
	v_mov_b32_e32 v69, v67
	v_pk_fma_f32 v[66:67], v[120:121], v[104:105], v[64:65] op_sel_hi:[1,0,1]
	s_wait_loadcnt_dscnt 0x100
	v_pk_mul_f32 v[70:71], v[154:155], v[150:151] op_sel:[1,1] op_sel_hi:[0,1]
	v_pk_add_f32 v[62:63], v[62:63], v[72:73]
	v_pk_fma_f32 v[64:65], v[120:121], v[104:105], v[64:65] neg_lo:[0,0,1] neg_hi:[0,0,1]
	v_mov_b32_e32 v65, v67
	s_delay_alu instid0(VALU_DEP_4) | instskip(NEXT) | instid1(VALU_DEP_4)
	v_pk_fma_f32 v[66:67], v[154:155], v[150:151], v[70:71] op_sel_hi:[1,0,1]
	v_pk_add_f32 v[62:63], v[62:63], v[68:69]
	v_pk_fma_f32 v[68:69], v[154:155], v[150:151], v[70:71] neg_lo:[0,0,1] neg_hi:[0,0,1]
	s_delay_alu instid0(VALU_DEP_3) | instskip(NEXT) | instid1(VALU_DEP_3)
	v_mov_b32_e32 v69, v67
	v_pk_add_f32 v[62:63], v[62:63], v[64:65]
	s_delay_alu instid0(VALU_DEP_1) | instskip(SKIP_1) | instid1(VALU_DEP_1)
	v_pk_add_f32 v[62:63], v[62:63], v[68:69]
	s_wait_loadcnt 0x0
	v_pk_add_f32 v[62:63], v[152:153], v[62:63] neg_lo:[0,1] neg_hi:[0,1]
	scratch_store_b64 off, v[62:63], off offset:48
	s_wait_xcnt 0x0
	v_cmpx_lt_u32_e32 5, v0
	s_cbranch_execz .LBB93_183
; %bb.182:
	scratch_load_b64 v[62:63], off, off offset:40
	v_mov_b64_e32 v[64:65], 0
	scratch_store_b64 off, v[64:65], off offset:40
	s_wait_loadcnt 0x0
	ds_store_b64 v1, v[62:63]
.LBB93_183:
	s_wait_xcnt 0x0
	s_or_b32 exec_lo, exec_lo, s0
	s_wait_storecnt_dscnt 0x0
	s_barrier_signal -1
	s_barrier_wait -1
	s_clause 0xc
	scratch_load_b128 v[62:65], off, off offset:48
	scratch_load_b128 v[66:69], off, off offset:64
	;; [unrolled: 1-line block ×12, first 2 shown]
	scratch_load_b64 v[158:159], off, off offset:40
	ds_load_b128 v[110:113], v7 offset:416
	ds_load_b128 v[114:117], v7 offset:432
	;; [unrolled: 1-line block ×12, first 2 shown]
	s_mov_b32 s0, exec_lo
	s_wait_dscnt 0xb
	v_dual_mov_b32 v160, v113 :: v_dual_mov_b32 v161, v112
	s_wait_dscnt 0xa
	v_dual_mov_b32 v162, v117 :: v_dual_mov_b32 v163, v116
	;; [unrolled: 2-line block ×4, first 2 shown]
	s_wait_loadcnt_dscnt 0xc07
	v_dual_mul_f32 v7, v126, v63 :: v_dual_mul_f32 v9, v128, v65
	v_dual_mul_f32 v35, v127, v63 :: v_dual_mul_f32 v37, v129, v65
	s_wait_loadcnt_dscnt 0xb06
	v_dual_mul_f32 v11, v130, v67 :: v_dual_mul_f32 v13, v132, v69
	s_delay_alu instid0(VALU_DEP_3) | instskip(SKIP_3) | instid1(VALU_DEP_3)
	v_dual_fmac_f32 v7, v127, v62 :: v_dual_fmac_f32 v9, v129, v64
	s_wait_loadcnt_dscnt 0x904
	v_dual_fma_f32 v35, v126, v62, -v35 :: v_dual_mul_f32 v47, v139, v75
	v_dual_mul_f32 v39, v131, v67 :: v_dual_mul_f32 v41, v133, v69
	v_dual_fma_f32 v37, v128, v64, -v37 :: v_dual_add_f32 v7, 0, v7
	s_delay_alu instid0(VALU_DEP_3) | instskip(SKIP_1) | instid1(VALU_DEP_3)
	v_dual_add_f32 v35, 0, v35 :: v_dual_mul_f32 v49, v141, v77
	v_dual_fmac_f32 v11, v131, v66 :: v_dual_fmac_f32 v13, v133, v68
	v_dual_fma_f32 v39, v130, v66, -v39 :: v_dual_add_f32 v7, v7, v9
	s_delay_alu instid0(VALU_DEP_3) | instskip(SKIP_2) | instid1(VALU_DEP_4)
	v_dual_add_f32 v9, v35, v37 :: v_dual_fma_f32 v37, v132, v68, -v41
	v_dual_mul_f32 v15, v134, v71 :: v_dual_mul_f32 v17, v136, v73
	v_dual_mul_f32 v43, v135, v71 :: v_dual_mul_f32 v45, v137, v73
	v_add_f32_e32 v7, v7, v11
	s_delay_alu instid0(VALU_DEP_3) | instskip(NEXT) | instid1(VALU_DEP_3)
	v_dual_add_f32 v9, v9, v39 :: v_dual_fmac_f32 v15, v135, v70
	v_fma_f32 v39, v134, v70, -v43
	v_dual_mul_f32 v19, v138, v75 :: v_dual_mul_f32 v21, v140, v77
	s_delay_alu instid0(VALU_DEP_4) | instskip(SKIP_2) | instid1(VALU_DEP_2)
	v_dual_add_f32 v7, v7, v13 :: v_dual_fmac_f32 v17, v137, v72
	s_wait_loadcnt_dscnt 0x702
	v_dual_add_f32 v9, v9, v37 :: v_dual_mul_f32 v13, v147, v83
	v_dual_fma_f32 v37, v136, v72, -v45 :: v_dual_add_f32 v7, v7, v15
	v_mul_f32_e32 v15, v149, v85
	s_delay_alu instid0(VALU_DEP_3) | instskip(NEXT) | instid1(VALU_DEP_3)
	v_dual_add_f32 v9, v9, v39 :: v_dual_fmac_f32 v19, v139, v74
	v_dual_fma_f32 v39, v138, v74, -v47 :: v_dual_add_f32 v7, v7, v17
	v_fmac_f32_e32 v21, v141, v76
	s_wait_loadcnt_dscnt 0x601
	s_delay_alu instid0(VALU_DEP_3) | instskip(SKIP_3) | instid1(VALU_DEP_3)
	v_dual_add_f32 v9, v9, v37 :: v_dual_mul_f32 v17, v151, v87
	v_dual_mul_f32 v23, v142, v79 :: v_dual_mul_f32 v25, v144, v81
	v_dual_mul_f32 v35, v143, v79 :: v_dual_mul_f32 v11, v145, v81
	v_dual_fma_f32 v37, v140, v76, -v49 :: v_dual_add_f32 v7, v7, v19
	v_dual_add_f32 v9, v9, v39 :: v_dual_fmac_f32 v23, v143, v78
	s_delay_alu instid0(VALU_DEP_3) | instskip(NEXT) | instid1(VALU_DEP_3)
	v_dual_mul_f32 v19, v153, v89 :: v_dual_fma_f32 v35, v142, v78, -v35
	v_dual_add_f32 v7, v7, v21 :: v_dual_fmac_f32 v25, v145, v80
	s_wait_loadcnt_dscnt 0x500
	s_delay_alu instid0(VALU_DEP_3) | instskip(SKIP_1) | instid1(VALU_DEP_3)
	v_dual_add_f32 v9, v9, v37 :: v_dual_mul_f32 v21, v155, v91
	v_dual_mul_f32 v27, v146, v83 :: v_dual_mul_f32 v29, v148, v85
	v_dual_fma_f32 v11, v144, v80, -v11 :: v_dual_add_f32 v7, v7, v23
	s_delay_alu instid0(VALU_DEP_2) | instskip(SKIP_1) | instid1(VALU_DEP_2)
	v_dual_add_f32 v9, v9, v35 :: v_dual_fmac_f32 v27, v147, v82
	v_dual_mul_f32 v23, v157, v93 :: v_dual_fma_f32 v13, v146, v82, -v13
	v_dual_add_f32 v7, v7, v25 :: v_dual_add_f32 v9, v9, v11
	v_dual_mul_f32 v31, v150, v87 :: v_dual_mul_f32 v33, v152, v89
	v_dual_fmac_f32 v29, v149, v84 :: v_dual_fma_f32 v11, v148, v84, -v15
	s_delay_alu instid0(VALU_DEP_3) | instskip(SKIP_1) | instid1(VALU_DEP_3)
	v_dual_add_f32 v7, v7, v27 :: v_dual_add_f32 v9, v9, v13
	s_wait_loadcnt 0x4
	v_dual_mov_b32 v64, v97 :: v_dual_fmac_f32 v31, v151, v86
	s_delay_alu instid0(VALU_DEP_2) | instskip(NEXT) | instid1(VALU_DEP_3)
	v_dual_fma_f32 v13, v150, v86, -v17 :: v_dual_add_f32 v7, v7, v29
	v_dual_add_f32 v9, v9, v11 :: v_dual_fma_f32 v11, v152, v88, -v19
	v_dual_mul_f32 v169, v154, v91 :: v_dual_mul_f32 v171, v156, v93
	s_delay_alu instid0(VALU_DEP_3) | instskip(NEXT) | instid1(VALU_DEP_2)
	v_dual_fmac_f32 v33, v153, v88 :: v_dual_add_f32 v7, v7, v31
	v_dual_add_f32 v9, v9, v13 :: v_dual_fmac_f32 v169, v155, v90
	v_pk_mul_f32 v[62:63], v[110:111], v[94:95] op_sel:[1,1] op_sel_hi:[0,1]
	s_wait_loadcnt 0x3
	v_dual_mov_b32 v68, v101 :: v_dual_fma_f32 v168, v154, v90, -v21
	s_delay_alu instid0(VALU_DEP_3)
	v_dual_add_f32 v71, v7, v33 :: v_dual_add_f32 v70, v9, v11
	v_fmac_f32_e32 v171, v157, v92
	v_pk_fma_f32 v[72:73], v[110:111], v[94:95], v[62:63] op_sel_hi:[1,0,1]
	v_fma_f32 v170, v156, v92, -v23
	v_pk_mul_f32 v[64:65], v[160:161], v[64:65] op_sel_hi:[1,0]
	v_pk_add_f32 v[70:71], v[70:71], v[168:169]
	v_pk_fma_f32 v[62:63], v[110:111], v[94:95], v[62:63] neg_lo:[0,0,1] neg_hi:[0,0,1]
	v_pk_mul_f32 v[66:67], v[114:115], v[98:99] op_sel:[1,1] op_sel_hi:[0,1]
	v_mov_b32_e32 v63, v73
	v_pk_fma_f32 v[72:73], v[112:113], v[96:97], v[64:65] op_sel_hi:[1,0,1]
	v_pk_add_f32 v[70:71], v[70:71], v[170:171]
	v_pk_fma_f32 v[64:65], v[112:113], v[96:97], v[64:65] neg_lo:[0,0,1] neg_hi:[0,0,1]
	v_pk_fma_f32 v[76:77], v[114:115], v[98:99], v[66:67] op_sel_hi:[1,0,1]
	v_pk_mul_f32 v[68:69], v[162:163], v[68:69] op_sel_hi:[1,0]
	v_mov_b32_e32 v65, v73
	v_pk_add_f32 v[62:63], v[70:71], v[62:63]
	s_wait_loadcnt 0x2
	v_pk_mul_f32 v[74:75], v[118:119], v[102:103] op_sel:[1,1] op_sel_hi:[0,1]
	v_mov_b32_e32 v70, v105
	v_pk_fma_f32 v[66:67], v[114:115], v[98:99], v[66:67] neg_lo:[0,0,1] neg_hi:[0,0,1]
	v_pk_fma_f32 v[72:73], v[116:117], v[100:101], v[68:69] op_sel_hi:[1,0,1]
	v_mov_b32_e32 v67, v77
	v_pk_add_f32 v[62:63], v[62:63], v[64:65]
	v_pk_fma_f32 v[64:65], v[118:119], v[102:103], v[74:75] op_sel_hi:[1,0,1]
	v_pk_mul_f32 v[70:71], v[164:165], v[70:71] op_sel_hi:[1,0]
	v_pk_fma_f32 v[68:69], v[116:117], v[100:101], v[68:69] neg_lo:[0,0,1] neg_hi:[0,0,1]
	v_mov_b32_e32 v69, v73
	v_pk_add_f32 v[62:63], v[62:63], v[66:67]
	v_pk_fma_f32 v[72:73], v[118:119], v[102:103], v[74:75] neg_lo:[0,0,1] neg_hi:[0,0,1]
	v_mov_b32_e32 v73, v65
	v_pk_fma_f32 v[64:65], v[120:121], v[104:105], v[70:71] op_sel_hi:[1,0,1]
	s_wait_loadcnt 0x1
	v_pk_mul_f32 v[66:67], v[122:123], v[106:107] op_sel:[1,1] op_sel_hi:[0,1]
	v_pk_add_f32 v[62:63], v[62:63], v[68:69]
	v_mov_b32_e32 v64, v109
	v_pk_fma_f32 v[70:71], v[120:121], v[104:105], v[70:71] neg_lo:[0,0,1] neg_hi:[0,0,1]
	s_delay_alu instid0(VALU_DEP_4)
	v_pk_fma_f32 v[68:69], v[122:123], v[106:107], v[66:67] op_sel_hi:[1,0,1]
	v_mov_b32_e32 v71, v65
	v_pk_add_f32 v[62:63], v[62:63], v[72:73]
	v_pk_mul_f32 v[64:65], v[166:167], v[64:65] op_sel_hi:[1,0]
	v_pk_fma_f32 v[66:67], v[122:123], v[106:107], v[66:67] neg_lo:[0,0,1] neg_hi:[0,0,1]
	v_mov_b32_e32 v67, v69
	s_delay_alu instid0(VALU_DEP_4) | instskip(NEXT) | instid1(VALU_DEP_4)
	v_pk_add_f32 v[62:63], v[62:63], v[70:71]
	v_pk_fma_f32 v[68:69], v[124:125], v[108:109], v[64:65] op_sel_hi:[1,0,1]
	v_pk_fma_f32 v[64:65], v[124:125], v[108:109], v[64:65] neg_lo:[0,0,1] neg_hi:[0,0,1]
	s_delay_alu instid0(VALU_DEP_3) | instskip(NEXT) | instid1(VALU_DEP_3)
	v_pk_add_f32 v[62:63], v[62:63], v[66:67]
	v_mov_b32_e32 v65, v69
	s_delay_alu instid0(VALU_DEP_1) | instskip(SKIP_1) | instid1(VALU_DEP_1)
	v_pk_add_f32 v[62:63], v[62:63], v[64:65]
	s_wait_loadcnt 0x0
	v_pk_add_f32 v[62:63], v[158:159], v[62:63] neg_lo:[0,1] neg_hi:[0,1]
	scratch_store_b64 off, v[62:63], off offset:40
	s_wait_xcnt 0x0
	v_cmpx_lt_u32_e32 4, v0
	s_cbranch_execz .LBB93_185
; %bb.184:
	scratch_load_b64 v[62:63], off, off offset:32
	v_mov_b64_e32 v[64:65], 0
	scratch_store_b64 off, v[64:65], off offset:32
	s_wait_loadcnt 0x0
	ds_store_b64 v1, v[62:63]
.LBB93_185:
	s_wait_xcnt 0x0
	s_or_b32 exec_lo, exec_lo, s0
	s_wait_storecnt_dscnt 0x0
	s_barrier_signal -1
	s_barrier_wait -1
	s_clause 0xd
	scratch_load_b128 v[62:65], off, off offset:40
	scratch_load_b128 v[66:69], off, off offset:56
	;; [unrolled: 1-line block ×12, first 2 shown]
	scratch_load_b64 v[158:159], off, off offset:232
	scratch_load_b64 v[160:161], off, off offset:32
	v_mov_b32_e32 v7, 0
	ds_load_2addr_b64 v[110:113], v7 offset0:51 offset1:52
	ds_load_2addr_b64 v[114:117], v7 offset0:53 offset1:54
	;; [unrolled: 1-line block ×12, first 2 shown]
	ds_load_b64 v[162:163], v7 offset:472
	s_mov_b32 s0, exec_lo
	s_wait_dscnt 0xc
	v_dual_mov_b32 v164, v113 :: v_dual_mov_b32 v165, v112
	s_wait_dscnt 0x9
	v_dual_mov_b32 v166, v117 :: v_dual_mov_b32 v171, v124
	v_dual_mov_b32 v167, v116 :: v_dual_mov_b32 v168, v121
	;; [unrolled: 1-line block ×3, first 2 shown]
	s_wait_loadcnt_dscnt 0xd08
	v_dual_mul_f32 v9, v126, v63 :: v_dual_mul_f32 v39, v127, v63
	v_dual_mul_f32 v41, v129, v65 :: v_dual_mul_f32 v11, v128, v65
	s_wait_loadcnt_dscnt 0xc07
	v_mul_f32_e32 v13, v130, v67
	s_wait_loadcnt_dscnt 0xa05
	v_dual_mul_f32 v51, v139, v75 :: v_dual_fma_f32 v39, v126, v62, -v39
	v_dual_fmac_f32 v9, v127, v62 :: v_dual_mul_f32 v53, v141, v77
	v_dual_mul_f32 v43, v131, v67 :: v_dual_mul_f32 v45, v133, v69
	v_dual_fmac_f32 v11, v129, v64 :: v_dual_fma_f32 v41, v128, v64, -v41
	s_delay_alu instid0(VALU_DEP_3) | instskip(SKIP_3) | instid1(VALU_DEP_3)
	v_dual_add_f32 v9, 0, v9 :: v_dual_add_f32 v39, 0, v39
	v_dual_mul_f32 v15, v132, v69 :: v_dual_mul_f32 v17, v134, v71
	s_wait_loadcnt_dscnt 0x904
	v_dual_mul_f32 v55, v143, v79 :: v_dual_fma_f32 v43, v130, v66, -v43
	v_dual_fmac_f32 v13, v131, v66 :: v_dual_add_f32 v9, v9, v11
	s_delay_alu instid0(VALU_DEP_3) | instskip(SKIP_2) | instid1(VALU_DEP_3)
	v_dual_add_f32 v11, v39, v41 :: v_dual_fmac_f32 v15, v133, v68
	v_dual_mul_f32 v47, v135, v71 :: v_dual_mul_f32 v49, v137, v73
	v_dual_mul_f32 v39, v145, v81 :: v_dual_fma_f32 v41, v132, v68, -v45
	v_dual_add_f32 v9, v9, v13 :: v_dual_add_f32 v11, v11, v43
	v_dual_mul_f32 v19, v136, v73 :: v_dual_mul_f32 v21, v138, v75
	s_wait_loadcnt_dscnt 0x803
	v_dual_mul_f32 v13, v147, v83 :: v_dual_fma_f32 v43, v134, v70, -v47
	s_delay_alu instid0(VALU_DEP_3) | instskip(NEXT) | instid1(VALU_DEP_3)
	v_dual_fmac_f32 v17, v135, v70 :: v_dual_add_f32 v9, v9, v15
	v_dual_add_f32 v11, v11, v41 :: v_dual_fmac_f32 v19, v137, v72
	v_dual_mul_f32 v15, v149, v85 :: v_dual_fma_f32 v41, v136, v72, -v49
	s_delay_alu instid0(VALU_DEP_2) | instskip(SKIP_3) | instid1(VALU_DEP_3)
	v_dual_add_f32 v9, v9, v17 :: v_dual_add_f32 v11, v11, v43
	v_dual_mul_f32 v23, v140, v77 :: v_dual_mul_f32 v25, v142, v79
	s_wait_loadcnt_dscnt 0x702
	v_dual_mul_f32 v17, v151, v87 :: v_dual_fma_f32 v43, v138, v74, -v51
	v_dual_fmac_f32 v21, v139, v74 :: v_dual_add_f32 v9, v9, v19
	s_delay_alu instid0(VALU_DEP_3) | instskip(SKIP_1) | instid1(VALU_DEP_2)
	v_dual_add_f32 v11, v11, v41 :: v_dual_fmac_f32 v23, v141, v76
	v_dual_mul_f32 v19, v153, v89 :: v_dual_fma_f32 v41, v140, v76, -v53
	v_dual_add_f32 v9, v9, v21 :: v_dual_add_f32 v11, v11, v43
	v_dual_mul_f32 v27, v144, v81 :: v_dual_mul_f32 v29, v146, v83
	s_wait_loadcnt_dscnt 0x601
	v_dual_mul_f32 v21, v155, v91 :: v_dual_fma_f32 v43, v142, v78, -v55
	s_delay_alu instid0(VALU_DEP_3) | instskip(NEXT) | instid1(VALU_DEP_3)
	v_dual_fmac_f32 v25, v143, v78 :: v_dual_add_f32 v9, v9, v23
	v_dual_add_f32 v11, v11, v41 :: v_dual_fmac_f32 v27, v145, v80
	v_dual_mul_f32 v23, v157, v93 :: v_dual_fma_f32 v39, v144, v80, -v39
	s_delay_alu instid0(VALU_DEP_2) | instskip(SKIP_3) | instid1(VALU_DEP_3)
	v_dual_add_f32 v9, v9, v25 :: v_dual_add_f32 v11, v11, v43
	v_dual_mul_f32 v31, v148, v85 :: v_dual_mul_f32 v33, v150, v87
	s_wait_loadcnt 0x5
	v_dual_mul_f32 v25, v111, v95 :: v_dual_fma_f32 v13, v146, v82, -v13
	v_dual_fmac_f32 v29, v147, v82 :: v_dual_add_f32 v9, v9, v27
	v_dual_add_f32 v11, v11, v39 :: v_dual_mov_b32 v62, v97
	v_fmac_f32_e32 v31, v149, v84
	s_delay_alu instid0(VALU_DEP_3) | instskip(NEXT) | instid1(VALU_DEP_3)
	v_dual_fma_f32 v15, v148, v84, -v15 :: v_dual_add_f32 v9, v9, v29
	v_add_f32_e32 v11, v11, v13
	v_dual_mul_f32 v35, v152, v89 :: v_dual_mul_f32 v37, v154, v91
	s_delay_alu instid0(VALU_DEP_3) | instskip(NEXT) | instid1(VALU_DEP_3)
	v_dual_fmac_f32 v33, v151, v86 :: v_dual_add_f32 v9, v9, v31
	v_dual_fma_f32 v13, v150, v86, -v17 :: v_dual_add_f32 v11, v11, v15
	s_wait_loadcnt 0x4
	v_dual_mov_b32 v66, v101 :: v_dual_fma_f32 v15, v152, v88, -v19
	v_fmac_f32_e32 v35, v153, v88
	v_dual_add_f32 v9, v9, v33 :: v_dual_fmac_f32 v37, v155, v90
	v_add_f32_e32 v11, v11, v13
	v_dual_mul_f32 v173, v156, v93 :: v_dual_mul_f32 v175, v110, v95
	s_delay_alu instid0(VALU_DEP_3) | instskip(NEXT) | instid1(VALU_DEP_2)
	v_dual_fma_f32 v13, v154, v90, -v21 :: v_dual_add_f32 v9, v9, v35
	v_dual_add_f32 v11, v11, v15 :: v_dual_fmac_f32 v173, v157, v92
	v_fma_f32 v172, v156, v92, -v23
	v_pk_mul_f32 v[62:63], v[164:165], v[62:63] op_sel_hi:[1,0]
	s_delay_alu instid0(VALU_DEP_4)
	v_add_f32_e32 v71, v9, v37
	s_wait_loadcnt 0x3
	v_dual_add_f32 v70, v11, v13 :: v_dual_mov_b32 v72, v105
	v_pk_mul_f32 v[64:65], v[114:115], v[98:99] op_sel:[1,1] op_sel_hi:[0,1]
	v_dual_fmac_f32 v175, v111, v94 :: v_dual_fma_f32 v174, v110, v94, -v25
	v_pk_fma_f32 v[74:75], v[112:113], v[96:97], v[62:63] op_sel_hi:[1,0,1]
	s_delay_alu instid0(VALU_DEP_4)
	v_pk_add_f32 v[70:71], v[70:71], v[172:173]
	v_pk_fma_f32 v[62:63], v[112:113], v[96:97], v[62:63] neg_lo:[0,0,1] neg_hi:[0,0,1]
	v_pk_fma_f32 v[76:77], v[114:115], v[98:99], v[64:65] op_sel_hi:[1,0,1]
	v_pk_mul_f32 v[66:67], v[166:167], v[66:67] op_sel_hi:[1,0]
	v_mov_b32_e32 v63, v75
	v_pk_add_f32 v[70:71], v[70:71], v[174:175]
	v_pk_fma_f32 v[64:65], v[114:115], v[98:99], v[64:65] neg_lo:[0,0,1] neg_hi:[0,0,1]
	v_pk_mul_f32 v[68:69], v[118:119], v[102:103] op_sel:[1,1] op_sel_hi:[0,1]
	v_mov_b32_e32 v65, v77
	v_pk_fma_f32 v[76:77], v[116:117], v[100:101], v[66:67] op_sel_hi:[1,0,1]
	v_pk_add_f32 v[62:63], v[70:71], v[62:63]
	v_pk_fma_f32 v[66:67], v[116:117], v[100:101], v[66:67] neg_lo:[0,0,1] neg_hi:[0,0,1]
	v_pk_fma_f32 v[70:71], v[118:119], v[102:103], v[68:69] op_sel_hi:[1,0,1]
	v_pk_mul_f32 v[72:73], v[168:169], v[72:73] op_sel_hi:[1,0]
	v_mov_b32_e32 v67, v77
	v_pk_add_f32 v[62:63], v[62:63], v[64:65]
	v_pk_fma_f32 v[68:69], v[118:119], v[102:103], v[68:69] neg_lo:[0,0,1] neg_hi:[0,0,1]
	s_wait_loadcnt 0x2
	v_pk_mul_f32 v[74:75], v[122:123], v[106:107] op_sel:[1,1] op_sel_hi:[0,1]
	v_dual_mov_b32 v64, v109 :: v_dual_mov_b32 v69, v71
	v_pk_fma_f32 v[70:71], v[120:121], v[104:105], v[72:73] op_sel_hi:[1,0,1]
	v_pk_add_f32 v[62:63], v[62:63], v[66:67]
	v_pk_fma_f32 v[72:73], v[120:121], v[104:105], v[72:73] neg_lo:[0,0,1] neg_hi:[0,0,1]
	v_pk_fma_f32 v[66:67], v[122:123], v[106:107], v[74:75] op_sel_hi:[1,0,1]
	v_pk_mul_f32 v[64:65], v[170:171], v[64:65] op_sel_hi:[1,0]
	v_mov_b32_e32 v73, v71
	v_pk_add_f32 v[62:63], v[62:63], v[68:69]
	v_pk_fma_f32 v[68:69], v[122:123], v[106:107], v[74:75] neg_lo:[0,0,1] neg_hi:[0,0,1]
	v_mov_b32_e32 v69, v67
	v_pk_fma_f32 v[66:67], v[124:125], v[108:109], v[64:65] op_sel_hi:[1,0,1]
	s_wait_loadcnt_dscnt 0x100
	v_pk_mul_f32 v[70:71], v[162:163], v[158:159] op_sel:[1,1] op_sel_hi:[0,1]
	v_pk_add_f32 v[62:63], v[62:63], v[72:73]
	v_pk_fma_f32 v[64:65], v[124:125], v[108:109], v[64:65] neg_lo:[0,0,1] neg_hi:[0,0,1]
	v_mov_b32_e32 v65, v67
	s_delay_alu instid0(VALU_DEP_4) | instskip(NEXT) | instid1(VALU_DEP_4)
	v_pk_fma_f32 v[66:67], v[162:163], v[158:159], v[70:71] op_sel_hi:[1,0,1]
	v_pk_add_f32 v[62:63], v[62:63], v[68:69]
	v_pk_fma_f32 v[68:69], v[162:163], v[158:159], v[70:71] neg_lo:[0,0,1] neg_hi:[0,0,1]
	s_delay_alu instid0(VALU_DEP_3) | instskip(NEXT) | instid1(VALU_DEP_3)
	v_mov_b32_e32 v69, v67
	v_pk_add_f32 v[62:63], v[62:63], v[64:65]
	s_delay_alu instid0(VALU_DEP_1) | instskip(SKIP_1) | instid1(VALU_DEP_1)
	v_pk_add_f32 v[62:63], v[62:63], v[68:69]
	s_wait_loadcnt 0x0
	v_pk_add_f32 v[62:63], v[160:161], v[62:63] neg_lo:[0,1] neg_hi:[0,1]
	scratch_store_b64 off, v[62:63], off offset:32
	s_wait_xcnt 0x0
	v_cmpx_lt_u32_e32 3, v0
	s_cbranch_execz .LBB93_187
; %bb.186:
	scratch_load_b64 v[62:63], off, off offset:24
	v_mov_b64_e32 v[64:65], 0
	scratch_store_b64 off, v[64:65], off offset:24
	s_wait_loadcnt 0x0
	ds_store_b64 v1, v[62:63]
.LBB93_187:
	s_wait_xcnt 0x0
	s_or_b32 exec_lo, exec_lo, s0
	s_wait_storecnt_dscnt 0x0
	s_barrier_signal -1
	s_barrier_wait -1
	s_clause 0xd
	scratch_load_b128 v[62:65], off, off offset:32
	scratch_load_b128 v[66:69], off, off offset:48
	;; [unrolled: 1-line block ×13, first 2 shown]
	scratch_load_b64 v[166:167], off, off offset:24
	ds_load_b128 v[114:117], v7 offset:416
	ds_load_b128 v[118:121], v7 offset:432
	;; [unrolled: 1-line block ×13, first 2 shown]
	s_mov_b32 s0, exec_lo
	s_wait_dscnt 0xc
	v_dual_mov_b32 v168, v117 :: v_dual_mov_b32 v169, v116
	s_wait_dscnt 0xb
	v_dual_mov_b32 v170, v121 :: v_dual_mov_b32 v171, v120
	;; [unrolled: 2-line block ×4, first 2 shown]
	s_wait_loadcnt_dscnt 0xd08
	v_dual_mul_f32 v7, v130, v63 :: v_dual_mul_f32 v9, v132, v65
	v_dual_mul_f32 v39, v131, v63 :: v_dual_mul_f32 v41, v133, v65
	s_wait_loadcnt_dscnt 0xc07
	v_dual_mul_f32 v11, v134, v67 :: v_dual_mul_f32 v13, v136, v69
	s_delay_alu instid0(VALU_DEP_3) | instskip(SKIP_3) | instid1(VALU_DEP_3)
	v_dual_fmac_f32 v7, v131, v62 :: v_dual_fmac_f32 v9, v133, v64
	s_wait_loadcnt_dscnt 0xa05
	v_dual_fma_f32 v39, v130, v62, -v39 :: v_dual_mul_f32 v51, v143, v75
	v_dual_mul_f32 v43, v135, v67 :: v_dual_mul_f32 v45, v137, v69
	v_dual_fma_f32 v41, v132, v64, -v41 :: v_dual_add_f32 v7, 0, v7
	s_delay_alu instid0(VALU_DEP_3) | instskip(SKIP_1) | instid1(VALU_DEP_3)
	v_dual_add_f32 v39, 0, v39 :: v_dual_mul_f32 v53, v145, v77
	v_dual_fmac_f32 v11, v135, v66 :: v_dual_fmac_f32 v13, v137, v68
	v_dual_fma_f32 v43, v134, v66, -v43 :: v_dual_add_f32 v7, v7, v9
	s_delay_alu instid0(VALU_DEP_3) | instskip(SKIP_2) | instid1(VALU_DEP_4)
	v_dual_add_f32 v9, v39, v41 :: v_dual_fma_f32 v41, v136, v68, -v45
	v_dual_mul_f32 v15, v138, v71 :: v_dual_mul_f32 v17, v140, v73
	v_dual_mul_f32 v47, v139, v71 :: v_dual_mul_f32 v49, v141, v73
	v_add_f32_e32 v7, v7, v11
	s_delay_alu instid0(VALU_DEP_3) | instskip(NEXT) | instid1(VALU_DEP_3)
	v_dual_add_f32 v9, v9, v43 :: v_dual_fmac_f32 v15, v139, v70
	v_fma_f32 v43, v138, v70, -v47
	v_dual_mul_f32 v19, v142, v75 :: v_dual_mul_f32 v21, v144, v77
	s_delay_alu instid0(VALU_DEP_4) | instskip(SKIP_2) | instid1(VALU_DEP_2)
	v_dual_add_f32 v7, v7, v13 :: v_dual_fmac_f32 v17, v141, v72
	s_wait_loadcnt_dscnt 0x802
	v_dual_add_f32 v9, v9, v41 :: v_dual_mul_f32 v13, v155, v83
	v_dual_fma_f32 v41, v140, v72, -v49 :: v_dual_add_f32 v7, v7, v15
	v_mul_f32_e32 v15, v157, v85
	s_delay_alu instid0(VALU_DEP_3) | instskip(NEXT) | instid1(VALU_DEP_3)
	v_dual_add_f32 v9, v9, v43 :: v_dual_fmac_f32 v19, v143, v74
	v_dual_fma_f32 v43, v142, v74, -v51 :: v_dual_add_f32 v7, v7, v17
	v_fmac_f32_e32 v21, v145, v76
	s_wait_loadcnt_dscnt 0x701
	s_delay_alu instid0(VALU_DEP_3) | instskip(SKIP_3) | instid1(VALU_DEP_3)
	v_dual_add_f32 v9, v9, v41 :: v_dual_mul_f32 v17, v159, v87
	v_dual_mul_f32 v23, v150, v79 :: v_dual_mul_f32 v25, v152, v81
	v_dual_mul_f32 v39, v151, v79 :: v_dual_mul_f32 v11, v153, v81
	v_dual_fma_f32 v41, v144, v76, -v53 :: v_dual_add_f32 v7, v7, v19
	v_dual_add_f32 v9, v9, v43 :: v_dual_fmac_f32 v23, v151, v78
	s_delay_alu instid0(VALU_DEP_3) | instskip(NEXT) | instid1(VALU_DEP_3)
	v_dual_mul_f32 v19, v161, v89 :: v_dual_fma_f32 v39, v150, v78, -v39
	v_dual_add_f32 v7, v7, v21 :: v_dual_fmac_f32 v25, v153, v80
	s_wait_loadcnt_dscnt 0x600
	s_delay_alu instid0(VALU_DEP_3) | instskip(SKIP_1) | instid1(VALU_DEP_3)
	v_dual_add_f32 v9, v9, v41 :: v_dual_mul_f32 v21, v163, v91
	v_dual_mul_f32 v27, v154, v83 :: v_dual_mul_f32 v29, v156, v85
	v_dual_fma_f32 v11, v152, v80, -v11 :: v_dual_add_f32 v7, v7, v23
	s_delay_alu instid0(VALU_DEP_2) | instskip(SKIP_1) | instid1(VALU_DEP_2)
	v_dual_add_f32 v9, v9, v39 :: v_dual_fmac_f32 v27, v155, v82
	v_dual_mul_f32 v23, v165, v93 :: v_dual_fma_f32 v13, v154, v82, -v13
	v_dual_add_f32 v7, v7, v25 :: v_dual_add_f32 v9, v9, v11
	v_dual_mul_f32 v31, v158, v87 :: v_dual_mul_f32 v33, v160, v89
	s_wait_loadcnt 0x5
	v_dual_mul_f32 v11, v147, v95 :: v_dual_fmac_f32 v29, v157, v84
	s_delay_alu instid0(VALU_DEP_3) | instskip(NEXT) | instid1(VALU_DEP_3)
	v_dual_fma_f32 v15, v156, v84, -v15 :: v_dual_add_f32 v7, v7, v27
	v_dual_add_f32 v9, v9, v13 :: v_dual_fmac_f32 v31, v159, v86
	v_dual_mul_f32 v13, v149, v97 :: v_dual_fma_f32 v17, v158, v86, -v17
	s_delay_alu instid0(VALU_DEP_2) | instskip(SKIP_2) | instid1(VALU_DEP_3)
	v_dual_add_f32 v7, v7, v29 :: v_dual_add_f32 v9, v9, v15
	v_dual_mul_f32 v35, v162, v91 :: v_dual_mul_f32 v37, v164, v93
	v_dual_fmac_f32 v33, v161, v88 :: v_dual_fma_f32 v15, v160, v88, -v19
	v_dual_add_f32 v7, v7, v31 :: v_dual_add_f32 v9, v9, v17
	s_wait_loadcnt 0x4
	s_delay_alu instid0(VALU_DEP_3) | instskip(NEXT) | instid1(VALU_DEP_2)
	v_dual_mov_b32 v64, v101 :: v_dual_fmac_f32 v35, v163, v90
	v_dual_fma_f32 v17, v162, v90, -v21 :: v_dual_add_f32 v7, v7, v33
	s_delay_alu instid0(VALU_DEP_3) | instskip(SKIP_1) | instid1(VALU_DEP_3)
	v_dual_add_f32 v9, v9, v15 :: v_dual_fma_f32 v15, v164, v92, -v23
	v_dual_mul_f32 v177, v146, v95 :: v_dual_mul_f32 v179, v148, v97
	v_dual_fmac_f32 v37, v165, v92 :: v_dual_add_f32 v7, v7, v35
	s_delay_alu instid0(VALU_DEP_2) | instskip(SKIP_3) | instid1(VALU_DEP_3)
	v_dual_add_f32 v9, v9, v17 :: v_dual_fmac_f32 v177, v147, v94
	v_pk_mul_f32 v[62:63], v[114:115], v[98:99] op_sel:[1,1] op_sel_hi:[0,1]
	s_wait_loadcnt 0x3
	v_dual_mov_b32 v68, v105 :: v_dual_fma_f32 v176, v146, v94, -v11
	v_dual_add_f32 v71, v7, v37 :: v_dual_add_f32 v70, v9, v15
	v_dual_fmac_f32 v179, v149, v96 :: v_dual_fma_f32 v178, v148, v96, -v13
	v_pk_fma_f32 v[72:73], v[114:115], v[98:99], v[62:63] op_sel_hi:[1,0,1]
	v_pk_mul_f32 v[64:65], v[168:169], v[64:65] op_sel_hi:[1,0]
	s_delay_alu instid0(VALU_DEP_4)
	v_pk_add_f32 v[70:71], v[70:71], v[176:177]
	v_pk_fma_f32 v[62:63], v[114:115], v[98:99], v[62:63] neg_lo:[0,0,1] neg_hi:[0,0,1]
	v_pk_mul_f32 v[66:67], v[118:119], v[102:103] op_sel:[1,1] op_sel_hi:[0,1]
	v_mov_b32_e32 v63, v73
	v_pk_fma_f32 v[72:73], v[116:117], v[100:101], v[64:65] op_sel_hi:[1,0,1]
	v_pk_add_f32 v[70:71], v[70:71], v[178:179]
	v_pk_fma_f32 v[64:65], v[116:117], v[100:101], v[64:65] neg_lo:[0,0,1] neg_hi:[0,0,1]
	v_pk_fma_f32 v[76:77], v[118:119], v[102:103], v[66:67] op_sel_hi:[1,0,1]
	v_pk_mul_f32 v[68:69], v[170:171], v[68:69] op_sel_hi:[1,0]
	v_mov_b32_e32 v65, v73
	v_pk_add_f32 v[62:63], v[70:71], v[62:63]
	s_wait_loadcnt 0x2
	v_pk_mul_f32 v[74:75], v[122:123], v[106:107] op_sel:[1,1] op_sel_hi:[0,1]
	v_mov_b32_e32 v70, v109
	v_pk_fma_f32 v[66:67], v[118:119], v[102:103], v[66:67] neg_lo:[0,0,1] neg_hi:[0,0,1]
	v_mov_b32_e32 v67, v77
	v_pk_fma_f32 v[72:73], v[120:121], v[104:105], v[68:69] op_sel_hi:[1,0,1]
	v_pk_add_f32 v[62:63], v[62:63], v[64:65]
	v_pk_fma_f32 v[64:65], v[122:123], v[106:107], v[74:75] op_sel_hi:[1,0,1]
	v_pk_mul_f32 v[70:71], v[172:173], v[70:71] op_sel_hi:[1,0]
	v_pk_fma_f32 v[68:69], v[120:121], v[104:105], v[68:69] neg_lo:[0,0,1] neg_hi:[0,0,1]
	v_mov_b32_e32 v69, v73
	v_pk_add_f32 v[62:63], v[62:63], v[66:67]
	v_pk_fma_f32 v[72:73], v[122:123], v[106:107], v[74:75] neg_lo:[0,0,1] neg_hi:[0,0,1]
	v_mov_b32_e32 v73, v65
	v_pk_fma_f32 v[64:65], v[124:125], v[108:109], v[70:71] op_sel_hi:[1,0,1]
	s_wait_loadcnt 0x1
	v_pk_mul_f32 v[66:67], v[126:127], v[110:111] op_sel:[1,1] op_sel_hi:[0,1]
	v_pk_add_f32 v[62:63], v[62:63], v[68:69]
	v_mov_b32_e32 v64, v113
	v_pk_fma_f32 v[70:71], v[124:125], v[108:109], v[70:71] neg_lo:[0,0,1] neg_hi:[0,0,1]
	v_mov_b32_e32 v71, v65
	v_pk_fma_f32 v[68:69], v[126:127], v[110:111], v[66:67] op_sel_hi:[1,0,1]
	v_pk_add_f32 v[62:63], v[62:63], v[72:73]
	v_pk_mul_f32 v[64:65], v[174:175], v[64:65] op_sel_hi:[1,0]
	v_pk_fma_f32 v[66:67], v[126:127], v[110:111], v[66:67] neg_lo:[0,0,1] neg_hi:[0,0,1]
	s_delay_alu instid0(VALU_DEP_4) | instskip(NEXT) | instid1(VALU_DEP_4)
	v_mov_b32_e32 v67, v69
	v_pk_add_f32 v[62:63], v[62:63], v[70:71]
	s_delay_alu instid0(VALU_DEP_4) | instskip(SKIP_1) | instid1(VALU_DEP_2)
	v_pk_fma_f32 v[68:69], v[128:129], v[112:113], v[64:65] op_sel_hi:[1,0,1]
	v_pk_fma_f32 v[64:65], v[128:129], v[112:113], v[64:65] neg_lo:[0,0,1] neg_hi:[0,0,1]
	v_mov_b32_e32 v65, v69
	s_delay_alu instid0(VALU_DEP_4) | instskip(NEXT) | instid1(VALU_DEP_1)
	v_pk_add_f32 v[62:63], v[62:63], v[66:67]
	v_pk_add_f32 v[62:63], v[62:63], v[64:65]
	s_wait_loadcnt 0x0
	s_delay_alu instid0(VALU_DEP_1)
	v_pk_add_f32 v[62:63], v[166:167], v[62:63] neg_lo:[0,1] neg_hi:[0,1]
	scratch_store_b64 off, v[62:63], off offset:24
	s_wait_xcnt 0x0
	v_cmpx_lt_u32_e32 2, v0
	s_cbranch_execz .LBB93_189
; %bb.188:
	scratch_load_b64 v[62:63], off, off offset:16
	v_mov_b64_e32 v[64:65], 0
	scratch_store_b64 off, v[64:65], off offset:16
	s_wait_loadcnt 0x0
	ds_store_b64 v1, v[62:63]
.LBB93_189:
	s_wait_xcnt 0x0
	s_or_b32 exec_lo, exec_lo, s0
	s_wait_storecnt_dscnt 0x0
	s_barrier_signal -1
	s_barrier_wait -1
	s_clause 0xe
	scratch_load_b128 v[62:65], off, off offset:24
	scratch_load_b128 v[66:69], off, off offset:40
	;; [unrolled: 1-line block ×13, first 2 shown]
	scratch_load_b64 v[166:167], off, off offset:232
	scratch_load_b64 v[168:169], off, off offset:16
	v_mov_b32_e32 v41, 0
	ds_load_2addr_b64 v[114:117], v41 offset0:51 offset1:52
	ds_load_2addr_b64 v[118:121], v41 offset0:53 offset1:54
	;; [unrolled: 1-line block ×13, first 2 shown]
	ds_load_b64 v[170:171], v41 offset:472
	s_mov_b32 s0, exec_lo
	s_wait_dscnt 0xd
	v_dual_mov_b32 v172, v117 :: v_dual_mov_b32 v173, v116
	s_wait_dscnt 0xa
	v_dual_mov_b32 v174, v121 :: v_dual_mov_b32 v179, v128
	v_dual_mov_b32 v175, v120 :: v_dual_mov_b32 v176, v125
	;; [unrolled: 1-line block ×3, first 2 shown]
	s_wait_loadcnt_dscnt 0xe09
	v_dual_mul_f32 v7, v130, v63 :: v_dual_mul_f32 v43, v131, v63
	v_dual_mul_f32 v45, v133, v65 :: v_dual_mul_f32 v9, v132, v65
	s_wait_loadcnt_dscnt 0xd08
	v_mul_f32_e32 v11, v134, v67
	s_wait_loadcnt_dscnt 0xb05
	v_dual_mul_f32 v55, v147, v75 :: v_dual_fma_f32 v43, v130, v62, -v43
	v_dual_fmac_f32 v7, v131, v62 :: v_dual_mul_f32 v57, v149, v77
	v_dual_mul_f32 v47, v135, v67 :: v_dual_mul_f32 v49, v137, v69
	s_delay_alu instid0(VALU_DEP_2) | instskip(NEXT) | instid1(VALU_DEP_4)
	v_dual_fmac_f32 v9, v133, v64 :: v_dual_add_f32 v7, 0, v7
	v_dual_fma_f32 v45, v132, v64, -v45 :: v_dual_add_f32 v43, 0, v43
	v_dual_mul_f32 v13, v136, v69 :: v_dual_mul_f32 v15, v138, v71
	s_wait_loadcnt_dscnt 0xa04
	v_dual_mul_f32 v59, v151, v79 :: v_dual_fma_f32 v47, v134, v66, -v47
	v_fmac_f32_e32 v11, v135, v66
	s_delay_alu instid0(VALU_DEP_3) | instskip(SKIP_2) | instid1(VALU_DEP_3)
	v_dual_add_f32 v7, v7, v9 :: v_dual_fmac_f32 v13, v137, v68
	v_dual_add_f32 v9, v43, v45 :: v_dual_fma_f32 v45, v136, v68, -v49
	v_dual_mul_f32 v51, v139, v71 :: v_dual_mul_f32 v53, v141, v73
	v_dual_mul_f32 v43, v153, v81 :: v_dual_add_f32 v7, v7, v11
	s_delay_alu instid0(VALU_DEP_3) | instskip(SKIP_2) | instid1(VALU_DEP_2)
	v_dual_add_f32 v9, v9, v47 :: v_dual_fmac_f32 v15, v139, v70
	v_dual_mul_f32 v17, v140, v73 :: v_dual_mul_f32 v19, v146, v75
	s_wait_loadcnt_dscnt 0x903
	v_dual_mul_f32 v11, v155, v83 :: v_dual_add_f32 v9, v9, v45
	v_dual_fma_f32 v47, v138, v70, -v51 :: v_dual_add_f32 v7, v7, v13
	s_delay_alu instid0(VALU_DEP_3) | instskip(SKIP_1) | instid1(VALU_DEP_3)
	v_fmac_f32_e32 v17, v141, v72
	v_dual_mul_f32 v13, v157, v85 :: v_dual_fma_f32 v45, v140, v72, -v53
	v_dual_add_f32 v9, v9, v47 :: v_dual_fmac_f32 v19, v147, v74
	s_delay_alu instid0(VALU_DEP_4) | instskip(SKIP_2) | instid1(VALU_DEP_3)
	v_dual_add_f32 v7, v7, v15 :: v_dual_fma_f32 v47, v146, v74, -v55
	v_dual_mul_f32 v21, v148, v77 :: v_dual_mul_f32 v23, v150, v79
	s_wait_loadcnt_dscnt 0x802
	v_dual_mul_f32 v15, v159, v87 :: v_dual_add_f32 v9, v9, v45
	s_delay_alu instid0(VALU_DEP_2) | instskip(SKIP_1) | instid1(VALU_DEP_3)
	v_dual_add_f32 v7, v7, v17 :: v_dual_fmac_f32 v21, v149, v76
	v_dual_mul_f32 v17, v161, v89 :: v_dual_fma_f32 v45, v148, v76, -v57
	v_dual_add_f32 v9, v9, v47 :: v_dual_fmac_f32 v23, v151, v78
	s_delay_alu instid0(VALU_DEP_3) | instskip(SKIP_2) | instid1(VALU_DEP_3)
	v_dual_add_f32 v7, v7, v19 :: v_dual_fma_f32 v47, v150, v78, -v59
	v_dual_mul_f32 v25, v152, v81 :: v_dual_mul_f32 v27, v154, v83
	s_wait_loadcnt_dscnt 0x701
	v_dual_mul_f32 v19, v163, v91 :: v_dual_add_f32 v9, v9, v45
	s_delay_alu instid0(VALU_DEP_2) | instskip(SKIP_1) | instid1(VALU_DEP_3)
	v_dual_add_f32 v7, v7, v21 :: v_dual_fmac_f32 v25, v153, v80
	v_dual_mul_f32 v21, v165, v93 :: v_dual_fma_f32 v43, v152, v80, -v43
	v_dual_add_f32 v9, v9, v47 :: v_dual_fmac_f32 v27, v155, v82
	s_delay_alu instid0(VALU_DEP_3) | instskip(SKIP_1) | instid1(VALU_DEP_2)
	v_dual_add_f32 v7, v7, v23 :: v_dual_fma_f32 v11, v154, v82, -v11
	v_dual_mul_f32 v29, v156, v85 :: v_dual_mul_f32 v31, v158, v87
	v_dual_add_f32 v9, v9, v43 :: v_dual_add_f32 v7, v7, v25
	v_fma_f32 v13, v156, v84, -v13
	s_delay_alu instid0(VALU_DEP_3) | instskip(SKIP_1) | instid1(VALU_DEP_4)
	v_dual_fmac_f32 v29, v157, v84 :: v_dual_mul_f32 v33, v160, v89
	v_mul_f32_e32 v35, v162, v91
	v_add_f32_e32 v7, v7, v27
	v_add_f32_e32 v9, v9, v11
	s_wait_loadcnt 0x5
	v_dual_mul_f32 v11, v115, v99 :: v_dual_fma_f32 v15, v158, v86, -v15
	v_fmac_f32_e32 v31, v159, v86
	v_dual_add_f32 v7, v7, v29 :: v_dual_mov_b32 v62, v101
	v_add_f32_e32 v9, v9, v13
	v_fmac_f32_e32 v33, v161, v88
	s_delay_alu instid0(VALU_DEP_3) | instskip(SKIP_1) | instid1(VALU_DEP_4)
	v_dual_fma_f32 v13, v160, v88, -v17 :: v_dual_add_f32 v7, v7, v31
	v_dual_mul_f32 v37, v164, v93 :: v_dual_mul_f32 v39, v142, v95
	v_dual_add_f32 v9, v9, v15 :: v_dual_fmac_f32 v35, v163, v90
	s_delay_alu instid0(VALU_DEP_3) | instskip(SKIP_1) | instid1(VALU_DEP_3)
	v_dual_fma_f32 v15, v162, v90, -v19 :: v_dual_add_f32 v7, v7, v33
	v_dual_mul_f32 v23, v143, v95 :: v_dual_mul_f32 v25, v145, v97
	v_add_f32_e32 v9, v9, v13
	s_wait_loadcnt 0x4
	v_dual_mov_b32 v66, v105 :: v_dual_fma_f32 v13, v164, v92, -v21
	v_dual_fmac_f32 v37, v165, v92 :: v_dual_add_f32 v7, v7, v35
	s_delay_alu instid0(VALU_DEP_3) | instskip(SKIP_1) | instid1(VALU_DEP_3)
	v_dual_add_f32 v9, v9, v15 :: v_dual_fmac_f32 v39, v143, v94
	v_dual_mul_f32 v181, v144, v97 :: v_dual_mul_f32 v183, v114, v99
	v_dual_fma_f32 v15, v142, v94, -v23 :: v_dual_add_f32 v7, v7, v37
	s_delay_alu instid0(VALU_DEP_3) | instskip(NEXT) | instid1(VALU_DEP_3)
	v_dual_add_f32 v9, v9, v13 :: v_dual_fma_f32 v180, v144, v96, -v25
	v_fmac_f32_e32 v181, v145, v96
	v_pk_mul_f32 v[62:63], v[172:173], v[62:63] op_sel_hi:[1,0]
	s_delay_alu instid0(VALU_DEP_4) | instskip(NEXT) | instid1(VALU_DEP_4)
	v_add_f32_e32 v71, v7, v39
	v_dual_add_f32 v70, v9, v15 :: v_dual_fmac_f32 v183, v115, v98
	v_pk_mul_f32 v[64:65], v[118:119], v[102:103] op_sel:[1,1] op_sel_hi:[0,1]
	s_wait_loadcnt 0x3
	v_dual_mov_b32 v72, v109 :: v_dual_fma_f32 v182, v114, v98, -v11
	v_pk_fma_f32 v[74:75], v[116:117], v[100:101], v[62:63] op_sel_hi:[1,0,1]
	v_pk_add_f32 v[70:71], v[70:71], v[180:181]
	v_pk_fma_f32 v[62:63], v[116:117], v[100:101], v[62:63] neg_lo:[0,0,1] neg_hi:[0,0,1]
	v_pk_fma_f32 v[76:77], v[118:119], v[102:103], v[64:65] op_sel_hi:[1,0,1]
	v_pk_mul_f32 v[66:67], v[174:175], v[66:67] op_sel_hi:[1,0]
	v_mov_b32_e32 v63, v75
	v_pk_add_f32 v[70:71], v[70:71], v[182:183]
	v_pk_fma_f32 v[64:65], v[118:119], v[102:103], v[64:65] neg_lo:[0,0,1] neg_hi:[0,0,1]
	v_pk_mul_f32 v[68:69], v[122:123], v[106:107] op_sel:[1,1] op_sel_hi:[0,1]
	v_mov_b32_e32 v65, v77
	v_pk_fma_f32 v[76:77], v[120:121], v[104:105], v[66:67] op_sel_hi:[1,0,1]
	v_pk_add_f32 v[62:63], v[70:71], v[62:63]
	v_pk_fma_f32 v[66:67], v[120:121], v[104:105], v[66:67] neg_lo:[0,0,1] neg_hi:[0,0,1]
	v_pk_fma_f32 v[70:71], v[122:123], v[106:107], v[68:69] op_sel_hi:[1,0,1]
	v_pk_mul_f32 v[72:73], v[176:177], v[72:73] op_sel_hi:[1,0]
	v_mov_b32_e32 v67, v77
	v_pk_add_f32 v[62:63], v[62:63], v[64:65]
	v_pk_fma_f32 v[68:69], v[122:123], v[106:107], v[68:69] neg_lo:[0,0,1] neg_hi:[0,0,1]
	s_wait_loadcnt 0x2
	v_pk_mul_f32 v[74:75], v[126:127], v[110:111] op_sel:[1,1] op_sel_hi:[0,1]
	v_dual_mov_b32 v64, v113 :: v_dual_mov_b32 v69, v71
	v_pk_fma_f32 v[70:71], v[124:125], v[108:109], v[72:73] op_sel_hi:[1,0,1]
	v_pk_add_f32 v[62:63], v[62:63], v[66:67]
	v_pk_fma_f32 v[72:73], v[124:125], v[108:109], v[72:73] neg_lo:[0,0,1] neg_hi:[0,0,1]
	v_pk_fma_f32 v[66:67], v[126:127], v[110:111], v[74:75] op_sel_hi:[1,0,1]
	v_pk_mul_f32 v[64:65], v[178:179], v[64:65] op_sel_hi:[1,0]
	v_mov_b32_e32 v73, v71
	v_pk_add_f32 v[62:63], v[62:63], v[68:69]
	v_pk_fma_f32 v[68:69], v[126:127], v[110:111], v[74:75] neg_lo:[0,0,1] neg_hi:[0,0,1]
	v_mov_b32_e32 v69, v67
	v_pk_fma_f32 v[66:67], v[128:129], v[112:113], v[64:65] op_sel_hi:[1,0,1]
	s_wait_loadcnt_dscnt 0x100
	v_pk_mul_f32 v[70:71], v[170:171], v[166:167] op_sel:[1,1] op_sel_hi:[0,1]
	v_pk_add_f32 v[62:63], v[62:63], v[72:73]
	v_pk_fma_f32 v[64:65], v[128:129], v[112:113], v[64:65] neg_lo:[0,0,1] neg_hi:[0,0,1]
	v_mov_b32_e32 v65, v67
	s_delay_alu instid0(VALU_DEP_4) | instskip(NEXT) | instid1(VALU_DEP_4)
	v_pk_fma_f32 v[66:67], v[170:171], v[166:167], v[70:71] op_sel_hi:[1,0,1]
	v_pk_add_f32 v[62:63], v[62:63], v[68:69]
	v_pk_fma_f32 v[68:69], v[170:171], v[166:167], v[70:71] neg_lo:[0,0,1] neg_hi:[0,0,1]
	s_delay_alu instid0(VALU_DEP_3) | instskip(NEXT) | instid1(VALU_DEP_3)
	v_mov_b32_e32 v69, v67
	v_pk_add_f32 v[62:63], v[62:63], v[64:65]
	s_delay_alu instid0(VALU_DEP_1) | instskip(SKIP_1) | instid1(VALU_DEP_1)
	v_pk_add_f32 v[62:63], v[62:63], v[68:69]
	s_wait_loadcnt 0x0
	v_pk_add_f32 v[62:63], v[168:169], v[62:63] neg_lo:[0,1] neg_hi:[0,1]
	scratch_store_b64 off, v[62:63], off offset:16
	s_wait_xcnt 0x0
	v_cmpx_lt_u32_e32 1, v0
	s_cbranch_execz .LBB93_191
; %bb.190:
	scratch_load_b64 v[62:63], off, off offset:8
	v_mov_b64_e32 v[64:65], 0
	scratch_store_b64 off, v[64:65], off offset:8
	s_wait_loadcnt 0x0
	ds_store_b64 v1, v[62:63]
.LBB93_191:
	s_wait_xcnt 0x0
	s_or_b32 exec_lo, exec_lo, s0
	s_wait_storecnt_dscnt 0x0
	s_barrier_signal -1
	s_barrier_wait -1
	s_clause 0xe
	scratch_load_b128 v[62:65], off, off offset:16
	scratch_load_b128 v[66:69], off, off offset:32
	;; [unrolled: 1-line block ×14, first 2 shown]
	scratch_load_b64 v[174:175], off, off offset:8
	ds_load_b128 v[126:129], v41 offset:448
	ds_load_b128 v[130:133], v41 offset:464
	;; [unrolled: 1-line block ×14, first 2 shown]
	v_ashrrev_i32_e32 v39, 31, v38
	v_dual_ashrrev_i32 v7, 31, v6 :: v_dual_ashrrev_i32 v9, 31, v8
	v_dual_ashrrev_i32 v11, 31, v10 :: v_dual_ashrrev_i32 v13, 31, v12
	;; [unrolled: 1-line block ×6, first 2 shown]
	s_wait_dscnt 0xc
	v_dual_mov_b32 v180, v129 :: v_dual_mov_b32 v183, v132
	v_dual_mov_b32 v181, v128 :: v_dual_mov_b32 v182, v133
	s_wait_dscnt 0x9
	v_dual_mov_b32 v176, v121 :: v_dual_mov_b32 v177, v120
	s_wait_dscnt 0x8
	v_dual_mov_b32 v178, v125 :: v_dual_mov_b32 v179, v124
	v_dual_ashrrev_i32 v31, 31, v30 :: v_dual_ashrrev_i32 v33, 31, v32
	v_dual_ashrrev_i32 v35, 31, v34 :: v_dual_ashrrev_i32 v37, 31, v36
	s_mov_b32 s0, exec_lo
	s_wait_loadcnt 0xe
	v_dual_mul_f32 v41, v134, v63 :: v_dual_mul_f32 v53, v135, v63
	s_wait_loadcnt_dscnt 0xc07
	v_mul_f32_e32 v51, v144, v73
	v_dual_mul_f32 v43, v136, v65 :: v_dual_mul_f32 v45, v138, v67
	s_wait_loadcnt_dscnt 0xb06
	v_dual_mul_f32 v55, v137, v65 :: v_dual_mul_f32 v57, v146, v75
	v_dual_mul_f32 v73, v145, v73 :: v_dual_fmac_f32 v41, v135, v62
	v_dual_fma_f32 v53, v134, v62, -v53 :: v_dual_mul_f32 v62, v147, v75
	s_wait_loadcnt_dscnt 0x904
	v_dual_mul_f32 v186, v156, v85 :: v_dual_mul_f32 v67, v139, v67
	s_delay_alu instid0(VALU_DEP_3) | instskip(NEXT) | instid1(VALU_DEP_3)
	v_dual_fmac_f32 v43, v137, v64 :: v_dual_add_f32 v41, 0, v41
	v_dual_fma_f32 v55, v136, v64, -v55 :: v_dual_add_f32 v53, 0, v53
	v_dual_mul_f32 v47, v140, v69 :: v_dual_mul_f32 v49, v142, v71
	s_wait_loadcnt_dscnt 0x803
	v_dual_mul_f32 v69, v141, v69 :: v_dual_mul_f32 v187, v158, v87
	v_dual_mul_f32 v64, v149, v77 :: v_dual_fmac_f32 v45, v139, v66
	v_dual_fma_f32 v66, v138, v66, -v67 :: v_dual_add_f32 v41, v41, v43
	s_delay_alu instid0(VALU_DEP_3) | instskip(SKIP_3) | instid1(VALU_DEP_3)
	v_dual_add_f32 v43, v53, v55 :: v_dual_fma_f32 v55, v140, v68, -v69
	s_wait_loadcnt_dscnt 0x500
	v_dual_mul_f32 v65, v172, v101 :: v_dual_mul_f32 v71, v143, v71
	v_dual_mul_f32 v53, v151, v79 :: v_dual_fmac_f32 v47, v141, v68
	v_dual_add_f32 v41, v41, v45 :: v_dual_add_f32 v43, v43, v66
	v_dual_mul_f32 v45, v153, v81 :: v_dual_fmac_f32 v49, v143, v70
	s_delay_alu instid0(VALU_DEP_2) | instskip(NEXT) | instid1(VALU_DEP_3)
	v_dual_fma_f32 v66, v142, v70, -v71 :: v_dual_add_f32 v41, v41, v47
	v_dual_add_f32 v43, v43, v55 :: v_dual_fmac_f32 v51, v145, v72
	v_dual_mul_f32 v47, v155, v83 :: v_dual_fma_f32 v55, v144, v72, -v73
	s_delay_alu instid0(VALU_DEP_2) | instskip(SKIP_2) | instid1(VALU_DEP_3)
	v_dual_add_f32 v41, v41, v49 :: v_dual_add_f32 v43, v43, v66
	v_dual_mul_f32 v59, v148, v77 :: v_dual_mul_f32 v61, v150, v79
	v_dual_mul_f32 v49, v157, v85 :: v_dual_fmac_f32 v57, v147, v74
	v_dual_fma_f32 v62, v146, v74, -v62 :: v_dual_add_f32 v41, v41, v51
	s_delay_alu instid0(VALU_DEP_3) | instskip(SKIP_1) | instid1(VALU_DEP_2)
	v_dual_add_f32 v43, v43, v55 :: v_dual_fmac_f32 v59, v149, v76
	v_dual_mul_f32 v51, v159, v87 :: v_dual_fma_f32 v55, v148, v76, -v64
	v_dual_add_f32 v41, v41, v57 :: v_dual_add_f32 v43, v43, v62
	v_dual_mul_f32 v184, v152, v81 :: v_dual_mul_f32 v185, v154, v83
	v_dual_mul_f32 v57, v161, v89 :: v_dual_fmac_f32 v61, v151, v78
	s_delay_alu instid0(VALU_DEP_3) | instskip(NEXT) | instid1(VALU_DEP_3)
	v_dual_fma_f32 v53, v150, v78, -v53 :: v_dual_add_f32 v41, v41, v59
	v_dual_add_f32 v43, v43, v55 :: v_dual_fmac_f32 v184, v153, v80
	v_dual_mul_f32 v55, v163, v91 :: v_dual_fma_f32 v45, v152, v80, -v45
	s_delay_alu instid0(VALU_DEP_3) | instskip(NEXT) | instid1(VALU_DEP_3)
	v_dual_add_f32 v41, v41, v61 :: v_dual_fmac_f32 v185, v155, v82
	v_dual_add_f32 v43, v43, v53 :: v_dual_fma_f32 v47, v154, v82, -v47
	v_dual_fmac_f32 v186, v157, v84 :: v_dual_fma_f32 v49, v156, v84, -v49
	s_delay_alu instid0(VALU_DEP_2) | instskip(SKIP_1) | instid1(VALU_DEP_2)
	v_dual_add_f32 v41, v41, v184 :: v_dual_add_f32 v43, v43, v45
	v_dual_mul_f32 v188, v160, v89 :: v_dual_mul_f32 v189, v162, v91
	v_dual_fmac_f32 v187, v159, v86 :: v_dual_add_f32 v41, v41, v185
	s_delay_alu instid0(VALU_DEP_3) | instskip(NEXT) | instid1(VALU_DEP_3)
	v_dual_add_f32 v43, v43, v47 :: v_dual_mul_f32 v47, v169, v97
	v_dual_fma_f32 v51, v158, v86, -v51 :: v_dual_fmac_f32 v188, v161, v88
	s_delay_alu instid0(VALU_DEP_3) | instskip(NEXT) | instid1(VALU_DEP_3)
	v_dual_fma_f32 v57, v160, v88, -v57 :: v_dual_add_f32 v41, v41, v186
	v_add_f32_e32 v43, v43, v49
	v_dual_mul_f32 v49, v171, v99 :: v_dual_mul_f32 v190, v164, v93
	v_mul_f32_e32 v191, v166, v95
	s_delay_alu instid0(VALU_DEP_4) | instskip(NEXT) | instid1(VALU_DEP_4)
	v_dual_add_f32 v41, v41, v187 :: v_dual_fmac_f32 v189, v163, v90
	v_dual_add_f32 v43, v43, v51 :: v_dual_mul_f32 v51, v173, v101
	v_dual_mul_f32 v53, v165, v93 :: v_dual_mul_f32 v45, v167, v95
	s_delay_alu instid0(VALU_DEP_3) | instskip(NEXT) | instid1(VALU_DEP_3)
	v_dual_fma_f32 v55, v162, v90, -v55 :: v_dual_add_f32 v41, v41, v188
	v_dual_add_f32 v43, v43, v57 :: v_dual_fmac_f32 v190, v165, v92
	s_delay_alu instid0(VALU_DEP_3) | instskip(SKIP_1) | instid1(VALU_DEP_3)
	v_fma_f32 v53, v164, v92, -v53
	v_dual_mul_f32 v192, v168, v97 :: v_dual_mul_f32 v63, v170, v99
	v_dual_add_f32 v41, v41, v189 :: v_dual_add_f32 v43, v43, v55
	s_wait_loadcnt 0x4
	v_dual_mov_b32 v68, v105 :: v_dual_fmac_f32 v191, v167, v94
	v_fma_f32 v45, v166, v94, -v45
	s_delay_alu instid0(VALU_DEP_3) | instskip(SKIP_2) | instid1(VALU_DEP_3)
	v_dual_add_f32 v41, v41, v190 :: v_dual_add_f32 v43, v43, v53
	v_dual_fmac_f32 v192, v169, v96 :: v_dual_fma_f32 v47, v168, v96, -v47
	v_pk_mul_f32 v[66:67], v[118:119], v[102:103] op_sel:[1,1] op_sel_hi:[0,1]
	v_dual_add_f32 v41, v41, v191 :: v_dual_add_f32 v43, v43, v45
	s_wait_loadcnt 0x3
	v_dual_mov_b32 v72, v109 :: v_dual_fmac_f32 v63, v171, v98
	s_delay_alu instid0(VALU_DEP_2) | instskip(NEXT) | instid1(VALU_DEP_3)
	v_dual_fma_f32 v62, v170, v98, -v49 :: v_dual_add_f32 v75, v41, v192
	v_dual_add_f32 v74, v43, v47 :: v_dual_fmac_f32 v65, v173, v100
	v_pk_fma_f32 v[76:77], v[118:119], v[102:103], v[66:67] op_sel_hi:[1,0,1]
	v_fma_f32 v64, v172, v100, -v51
	v_pk_mul_f32 v[68:69], v[176:177], v[68:69] op_sel_hi:[1,0]
	s_delay_alu instid0(VALU_DEP_4)
	v_pk_add_f32 v[62:63], v[74:75], v[62:63]
	v_pk_fma_f32 v[66:67], v[118:119], v[102:103], v[66:67] neg_lo:[0,0,1] neg_hi:[0,0,1]
	v_pk_mul_f32 v[70:71], v[122:123], v[106:107] op_sel:[1,1] op_sel_hi:[0,1]
	v_mov_b32_e32 v67, v77
	v_pk_fma_f32 v[76:77], v[120:121], v[104:105], v[68:69] op_sel_hi:[1,0,1]
	v_pk_add_f32 v[62:63], v[62:63], v[64:65]
	v_pk_fma_f32 v[68:69], v[120:121], v[104:105], v[68:69] neg_lo:[0,0,1] neg_hi:[0,0,1]
	v_pk_fma_f32 v[64:65], v[122:123], v[106:107], v[70:71] op_sel_hi:[1,0,1]
	v_pk_mul_f32 v[72:73], v[178:179], v[72:73] op_sel_hi:[1,0]
	s_wait_loadcnt 0x2
	v_dual_mov_b32 v69, v77 :: v_dual_mov_b32 v64, v113
	v_pk_add_f32 v[62:63], v[62:63], v[66:67]
	v_pk_mul_f32 v[74:75], v[126:127], v[110:111] op_sel:[1,1] op_sel_hi:[0,1]
	v_pk_fma_f32 v[66:67], v[122:123], v[106:107], v[70:71] neg_lo:[0,0,1] neg_hi:[0,0,1]
	v_pk_fma_f32 v[70:71], v[124:125], v[108:109], v[72:73] op_sel_hi:[1,0,1]
	v_mov_b32_e32 v67, v65
	v_pk_add_f32 v[62:63], v[62:63], v[68:69]
	v_pk_fma_f32 v[68:69], v[126:127], v[110:111], v[74:75] op_sel_hi:[1,0,1]
	v_pk_mul_f32 v[64:65], v[180:181], v[64:65] op_sel_hi:[1,0]
	v_pk_fma_f32 v[72:73], v[124:125], v[108:109], v[72:73] neg_lo:[0,0,1] neg_hi:[0,0,1]
	v_mov_b32_e32 v73, v71
	v_pk_add_f32 v[62:63], v[62:63], v[66:67]
	v_pk_fma_f32 v[70:71], v[126:127], v[110:111], v[74:75] neg_lo:[0,0,1] neg_hi:[0,0,1]
	v_mov_b32_e32 v71, v69
	v_pk_fma_f32 v[68:69], v[128:129], v[112:113], v[64:65] op_sel_hi:[1,0,1]
	s_wait_loadcnt 0x1
	v_pk_mul_f32 v[66:67], v[130:131], v[114:115] op_sel:[1,1] op_sel_hi:[0,1]
	v_pk_add_f32 v[62:63], v[62:63], v[72:73]
	v_mov_b32_e32 v68, v117
	v_pk_fma_f32 v[64:65], v[128:129], v[112:113], v[64:65] neg_lo:[0,0,1] neg_hi:[0,0,1]
	v_dual_mov_b32 v65, v69 :: v_dual_ashrrev_i32 v41, 31, v40
	v_pk_fma_f32 v[72:73], v[130:131], v[114:115], v[66:67] op_sel_hi:[1,0,1]
	v_pk_add_f32 v[62:63], v[62:63], v[70:71]
	v_pk_mul_f32 v[68:69], v[182:183], v[68:69] op_sel_hi:[1,0]
	v_pk_fma_f32 v[66:67], v[130:131], v[114:115], v[66:67] neg_lo:[0,0,1] neg_hi:[0,0,1]
	s_delay_alu instid0(VALU_DEP_4) | instskip(NEXT) | instid1(VALU_DEP_4)
	v_dual_ashrrev_i32 v43, 31, v42 :: v_dual_mov_b32 v67, v73
	v_pk_add_f32 v[62:63], v[62:63], v[64:65]
	s_delay_alu instid0(VALU_DEP_4)
	v_pk_fma_f32 v[64:65], v[132:133], v[116:117], v[68:69] op_sel_hi:[1,0,1]
	v_pk_fma_f32 v[68:69], v[132:133], v[116:117], v[68:69] neg_lo:[0,0,1] neg_hi:[0,0,1]
	v_dual_ashrrev_i32 v45, 31, v44 :: v_dual_ashrrev_i32 v47, 31, v46
	v_ashrrev_i32_e32 v49, 31, v48
	v_pk_add_f32 v[62:63], v[62:63], v[66:67]
	v_dual_mov_b32 v69, v65 :: v_dual_ashrrev_i32 v51, 31, v50
	v_dual_ashrrev_i32 v53, 31, v52 :: v_dual_ashrrev_i32 v55, 31, v54
	v_ashrrev_i32_e32 v57, 31, v56
	s_delay_alu instid0(VALU_DEP_3) | instskip(SKIP_2) | instid1(VALU_DEP_2)
	v_pk_add_f32 v[62:63], v[62:63], v[68:69]
	v_dual_ashrrev_i32 v59, 31, v58 :: v_dual_ashrrev_i32 v61, 31, v60
	s_wait_loadcnt 0x0
	v_pk_add_f32 v[62:63], v[174:175], v[62:63] neg_lo:[0,1] neg_hi:[0,1]
	scratch_store_b64 off, v[62:63], off offset:8
	s_wait_xcnt 0x0
	v_cmpx_ne_u32_e32 0, v0
	s_cbranch_execz .LBB93_193
; %bb.192:
	scratch_load_b64 v[62:63], off, off
	v_mov_b64_e32 v[64:65], 0
	scratch_store_b64 off, v[64:65], off
	s_wait_loadcnt 0x0
	ds_store_b64 v1, v[62:63]
.LBB93_193:
	s_wait_xcnt 0x0
	s_or_b32 exec_lo, exec_lo, s0
	s_wait_storecnt_dscnt 0x0
	s_barrier_signal -1
	s_barrier_wait -1
	s_clause 0xf
	scratch_load_b128 v[62:65], off, off offset:8
	scratch_load_b128 v[66:69], off, off offset:24
	;; [unrolled: 1-line block ×14, first 2 shown]
	scratch_load_b64 v[174:175], off, off offset:232
	scratch_load_b64 v[176:177], off, off
	v_mov_b32_e32 v0, 0
	ds_load_2addr_b64 v[118:121], v0 offset0:51 offset1:52
	ds_load_2addr_b64 v[122:125], v0 offset0:53 offset1:54
	;; [unrolled: 1-line block ×14, first 2 shown]
	ds_load_b64 v[178:179], v0 offset:472
	s_and_b32 vcc_lo, exec_lo, s12
	s_wait_dscnt 0xe
	v_dual_mov_b32 v180, v121 :: v_dual_mov_b32 v181, v120
	s_wait_dscnt 0xb
	v_dual_mov_b32 v182, v125 :: v_dual_mov_b32 v187, v132
	v_dual_mov_b32 v183, v124 :: v_dual_mov_b32 v184, v129
	;; [unrolled: 1-line block ×3, first 2 shown]
	s_wait_loadcnt_dscnt 0xf0a
	v_dual_mul_f32 v1, v134, v63 :: v_dual_mul_f32 v63, v135, v63
	s_wait_loadcnt_dscnt 0xe09
	v_dual_mul_f32 v188, v136, v65 :: v_dual_mul_f32 v190, v138, v67
	;; [unrolled: 2-line block ×3, first 2 shown]
	v_dual_mul_f32 v65, v137, v65 :: v_dual_mul_f32 v75, v147, v75
	v_dual_fmac_f32 v1, v135, v62 :: v_dual_fma_f32 v62, v134, v62, -v63
	v_dual_mul_f32 v67, v139, v67 :: v_dual_mul_f32 v63, v149, v77
	s_delay_alu instid0(VALU_DEP_3) | instskip(NEXT) | instid1(VALU_DEP_3)
	v_dual_fmac_f32 v188, v137, v64 :: v_dual_fma_f32 v64, v136, v64, -v65
	v_dual_add_f32 v1, 0, v1 :: v_dual_add_f32 v62, 0, v62
	v_dual_mul_f32 v192, v140, v69 :: v_dual_mul_f32 v193, v142, v71
	s_wait_loadcnt_dscnt 0xb06
	v_dual_mul_f32 v69, v141, v69 :: v_dual_mul_f32 v65, v151, v79
	s_delay_alu instid0(VALU_DEP_3)
	v_dual_fmac_f32 v190, v139, v66 :: v_dual_add_f32 v1, v1, v188
	v_fma_f32 v66, v138, v66, -v67
	v_dual_add_f32 v62, v62, v64 :: v_dual_mul_f32 v64, v153, v81
	v_dual_mul_f32 v71, v143, v71 :: v_dual_mul_f32 v73, v145, v73
	v_dual_fmac_f32 v192, v141, v68 :: v_dual_fma_f32 v67, v140, v68, -v69
	v_add_f32_e32 v1, v1, v190
	s_wait_loadcnt_dscnt 0xa05
	v_dual_add_f32 v62, v62, v66 :: v_dual_mul_f32 v66, v155, v83
	v_dual_fmac_f32 v193, v143, v70 :: v_dual_fma_f32 v68, v142, v70, -v71
	s_delay_alu instid0(VALU_DEP_2) | instskip(SKIP_2) | instid1(VALU_DEP_3)
	v_dual_add_f32 v1, v1, v192 :: v_dual_add_f32 v62, v62, v67
	v_mul_f32_e32 v67, v157, v85
	v_dual_fmac_f32 v194, v145, v72 :: v_dual_fma_f32 v69, v144, v72, -v73
	v_dual_add_f32 v1, v1, v193 :: v_dual_add_f32 v62, v62, v68
	v_dual_mul_f32 v196, v148, v77 :: v_dual_mul_f32 v197, v150, v79
	s_wait_loadcnt_dscnt 0x904
	v_dual_mul_f32 v68, v159, v87 :: v_dual_fma_f32 v70, v146, v74, -v75
	s_delay_alu instid0(VALU_DEP_3) | instskip(SKIP_2) | instid1(VALU_DEP_3)
	v_dual_fmac_f32 v195, v147, v74 :: v_dual_add_f32 v62, v62, v69
	v_dual_add_f32 v1, v1, v194 :: v_dual_fma_f32 v63, v148, v76, -v63
	v_mul_f32_e32 v69, v161, v89
	v_dual_fmac_f32 v196, v149, v76 :: v_dual_add_f32 v62, v62, v70
	s_delay_alu instid0(VALU_DEP_3) | instskip(SKIP_3) | instid1(VALU_DEP_3)
	v_dual_add_f32 v1, v1, v195 :: v_dual_fmac_f32 v197, v151, v78
	v_dual_mul_f32 v198, v152, v81 :: v_dual_mul_f32 v199, v154, v83
	s_wait_loadcnt_dscnt 0x803
	v_dual_mul_f32 v70, v163, v91 :: v_dual_fma_f32 v65, v150, v78, -v65
	v_dual_add_f32 v1, v1, v196 :: v_dual_add_f32 v62, v62, v63
	v_mul_f32_e32 v63, v165, v93
	v_dual_fmac_f32 v198, v153, v80 :: v_dual_fma_f32 v64, v152, v80, -v64
	s_wait_loadcnt_dscnt 0x702
	s_delay_alu instid0(VALU_DEP_3) | instskip(SKIP_3) | instid1(VALU_DEP_3)
	v_dual_add_f32 v1, v1, v197 :: v_dual_mul_f32 v71, v167, v95
	v_dual_add_f32 v62, v62, v65 :: v_dual_fmac_f32 v199, v155, v82
	v_dual_mul_f32 v200, v156, v85 :: v_dual_mul_f32 v201, v158, v87
	v_dual_fma_f32 v65, v154, v82, -v66 :: v_dual_mul_f32 v72, v169, v97
	v_dual_add_f32 v1, v1, v198 :: v_dual_add_f32 v62, v62, v64
	s_delay_alu instid0(VALU_DEP_3) | instskip(SKIP_1) | instid1(VALU_DEP_3)
	v_dual_fmac_f32 v200, v157, v84 :: v_dual_fma_f32 v64, v156, v84, -v67
	v_dual_mul_f32 v202, v160, v89 :: v_dual_mul_f32 v203, v162, v91
	v_dual_add_f32 v1, v1, v199 :: v_dual_add_f32 v62, v62, v65
	s_wait_loadcnt_dscnt 0x601
	v_dual_mul_f32 v67, v171, v99 :: v_dual_fma_f32 v65, v158, v86, -v68
	s_delay_alu instid0(VALU_DEP_2) | instskip(NEXT) | instid1(VALU_DEP_3)
	v_dual_fmac_f32 v201, v159, v86 :: v_dual_add_f32 v1, v1, v200
	v_dual_add_f32 v62, v62, v64 :: v_dual_mul_f32 v73, v173, v101
	v_dual_fmac_f32 v202, v161, v88 :: v_dual_fma_f32 v64, v160, v88, -v69
	s_wait_loadcnt 0x5
	s_delay_alu instid0(VALU_DEP_3) | instskip(NEXT) | instid1(VALU_DEP_3)
	v_dual_add_f32 v1, v1, v201 :: v_dual_mul_f32 v74, v119, v103
	v_dual_add_f32 v62, v62, v65 :: v_dual_fmac_f32 v203, v163, v90
	v_dual_mul_f32 v204, v164, v93 :: v_dual_mul_f32 v205, v166, v95
	v_fma_f32 v65, v162, v90, -v70
	s_delay_alu instid0(VALU_DEP_3) | instskip(SKIP_1) | instid1(VALU_DEP_4)
	v_dual_add_f32 v1, v1, v202 :: v_dual_add_f32 v64, v62, v64
	v_mov_b32_e32 v62, v105
	v_dual_fmac_f32 v204, v165, v92 :: v_dual_fma_f32 v63, v164, v92, -v63
	s_delay_alu instid0(VALU_DEP_3) | instskip(SKIP_2) | instid1(VALU_DEP_3)
	v_dual_add_f32 v1, v1, v203 :: v_dual_add_f32 v66, v64, v65
	v_dual_mul_f32 v206, v168, v97 :: v_dual_mul_f32 v207, v170, v99
	v_dual_fmac_f32 v205, v167, v94 :: v_dual_fma_f32 v68, v166, v94, -v71
	v_dual_add_f32 v1, v1, v204 :: v_dual_add_f32 v63, v66, v63
	s_wait_loadcnt 0x4
	v_dual_mov_b32 v66, v109 :: v_dual_fma_f32 v70, v168, v96, -v72
	v_dual_fmac_f32 v206, v169, v96 :: v_dual_fmac_f32 v207, v171, v98
	s_delay_alu instid0(VALU_DEP_3) | instskip(SKIP_2) | instid1(VALU_DEP_3)
	v_dual_add_f32 v1, v1, v205 :: v_dual_add_f32 v63, v63, v68
	v_dual_mul_f32 v189, v172, v101 :: v_dual_mul_f32 v191, v118, v103
	v_fma_f32 v67, v170, v98, -v67
	v_dual_add_f32 v1, v1, v206 :: v_dual_fma_f32 v188, v172, v100, -v73
	s_delay_alu instid0(VALU_DEP_3) | instskip(SKIP_1) | instid1(VALU_DEP_3)
	v_dual_add_f32 v70, v63, v70 :: v_dual_fmac_f32 v189, v173, v100
	v_pk_mul_f32 v[62:63], v[180:181], v[62:63] op_sel_hi:[1,0]
	v_add_f32_e32 v71, v1, v207
	v_pk_mul_f32 v[64:65], v[122:123], v[106:107] op_sel:[1,1] op_sel_hi:[0,1]
	s_wait_loadcnt 0x3
	v_dual_add_f32 v70, v70, v67 :: v_dual_mov_b32 v72, v113
	v_dual_fmac_f32 v191, v119, v102 :: v_dual_fma_f32 v190, v118, v102, -v74
	v_pk_fma_f32 v[74:75], v[120:121], v[104:105], v[62:63] op_sel_hi:[1,0,1]
	s_delay_alu instid0(VALU_DEP_3)
	v_pk_add_f32 v[70:71], v[70:71], v[188:189]
	v_pk_fma_f32 v[62:63], v[120:121], v[104:105], v[62:63] neg_lo:[0,0,1] neg_hi:[0,0,1]
	v_pk_fma_f32 v[76:77], v[122:123], v[106:107], v[64:65] op_sel_hi:[1,0,1]
	v_pk_mul_f32 v[66:67], v[182:183], v[66:67] op_sel_hi:[1,0]
	v_mov_b32_e32 v63, v75
	v_pk_add_f32 v[70:71], v[70:71], v[190:191]
	v_pk_fma_f32 v[64:65], v[122:123], v[106:107], v[64:65] neg_lo:[0,0,1] neg_hi:[0,0,1]
	v_pk_mul_f32 v[68:69], v[126:127], v[110:111] op_sel:[1,1] op_sel_hi:[0,1]
	v_mov_b32_e32 v65, v77
	v_pk_fma_f32 v[76:77], v[124:125], v[108:109], v[66:67] op_sel_hi:[1,0,1]
	v_pk_add_f32 v[62:63], v[70:71], v[62:63]
	v_pk_fma_f32 v[66:67], v[124:125], v[108:109], v[66:67] neg_lo:[0,0,1] neg_hi:[0,0,1]
	v_pk_fma_f32 v[70:71], v[126:127], v[110:111], v[68:69] op_sel_hi:[1,0,1]
	v_pk_mul_f32 v[72:73], v[184:185], v[72:73] op_sel_hi:[1,0]
	v_mov_b32_e32 v67, v77
	v_pk_add_f32 v[62:63], v[62:63], v[64:65]
	v_pk_fma_f32 v[68:69], v[126:127], v[110:111], v[68:69] neg_lo:[0,0,1] neg_hi:[0,0,1]
	s_wait_loadcnt 0x2
	v_pk_mul_f32 v[74:75], v[130:131], v[114:115] op_sel:[1,1] op_sel_hi:[0,1]
	v_dual_mov_b32 v64, v117 :: v_dual_mov_b32 v69, v71
	v_pk_fma_f32 v[70:71], v[128:129], v[112:113], v[72:73] op_sel_hi:[1,0,1]
	v_pk_add_f32 v[62:63], v[62:63], v[66:67]
	v_pk_fma_f32 v[72:73], v[128:129], v[112:113], v[72:73] neg_lo:[0,0,1] neg_hi:[0,0,1]
	v_pk_fma_f32 v[66:67], v[130:131], v[114:115], v[74:75] op_sel_hi:[1,0,1]
	v_pk_mul_f32 v[64:65], v[186:187], v[64:65] op_sel_hi:[1,0]
	v_mov_b32_e32 v73, v71
	v_pk_add_f32 v[62:63], v[62:63], v[68:69]
	v_pk_fma_f32 v[70:71], v[130:131], v[114:115], v[74:75] neg_lo:[0,0,1] neg_hi:[0,0,1]
	s_wait_loadcnt_dscnt 0x100
	v_pk_mul_f32 v[68:69], v[178:179], v[174:175] op_sel:[1,1] op_sel_hi:[0,1]
	v_mov_b32_e32 v71, v67
	v_pk_fma_f32 v[66:67], v[132:133], v[116:117], v[64:65] op_sel_hi:[1,0,1]
	v_pk_add_f32 v[62:63], v[62:63], v[72:73]
	v_pk_fma_f32 v[64:65], v[132:133], v[116:117], v[64:65] neg_lo:[0,0,1] neg_hi:[0,0,1]
	v_pk_fma_f32 v[72:73], v[178:179], v[174:175], v[68:69] op_sel_hi:[1,0,1]
	s_delay_alu instid0(VALU_DEP_4) | instskip(NEXT) | instid1(VALU_DEP_4)
	v_mov_b32_e32 v65, v67
	v_pk_add_f32 v[62:63], v[62:63], v[70:71]
	v_pk_fma_f32 v[66:67], v[178:179], v[174:175], v[68:69] neg_lo:[0,0,1] neg_hi:[0,0,1]
	s_delay_alu instid0(VALU_DEP_4) | instskip(NEXT) | instid1(VALU_DEP_3)
	v_mov_b32_e32 v67, v73
	v_pk_add_f32 v[62:63], v[62:63], v[64:65]
	s_delay_alu instid0(VALU_DEP_1) | instskip(SKIP_1) | instid1(VALU_DEP_1)
	v_pk_add_f32 v[62:63], v[62:63], v[66:67]
	s_wait_loadcnt 0x0
	v_pk_add_f32 v[62:63], v[176:177], v[62:63] neg_lo:[0,1] neg_hi:[0,1]
	scratch_store_b64 off, v[62:63], off
	s_cbranch_vccz .LBB93_252
; %bb.194:
	global_load_b32 v0, v0, s[8:9] offset:112
	s_wait_loadcnt 0x0
	v_cmp_ne_u32_e32 vcc_lo, 29, v0
	s_cbranch_vccz .LBB93_196
; %bb.195:
	s_wait_xcnt 0x0
	v_lshlrev_b32_e32 v0, 3, v0
	s_delay_alu instid0(VALU_DEP_1)
	v_mov_b32_e32 v64, v0
	scratch_load_b64 v[0:1], v64, off offset:-8
	scratch_load_b64 v[62:63], off, off offset:224
	s_wait_loadcnt 0x1
	scratch_store_b64 off, v[0:1], off offset:224
	s_wait_loadcnt 0x0
	scratch_store_b64 v64, v[62:63], off offset:-8
.LBB93_196:
	s_wait_xcnt 0x0
	v_mov_b32_e32 v0, 0
	global_load_b32 v1, v0, s[8:9] offset:108
	s_wait_loadcnt 0x0
	v_cmp_eq_u32_e32 vcc_lo, 28, v1
	s_cbranch_vccnz .LBB93_198
; %bb.197:
	v_lshlrev_b32_e32 v1, 3, v1
	scratch_load_b64 v[62:63], v1, off offset:-8
	scratch_load_b64 v[64:65], off, off offset:216
	s_wait_loadcnt 0x1
	scratch_store_b64 off, v[62:63], off offset:216
	s_wait_loadcnt 0x0
	scratch_store_b64 v1, v[64:65], off offset:-8
.LBB93_198:
	global_load_b32 v0, v0, s[8:9] offset:104
	s_wait_loadcnt 0x0
	v_cmp_eq_u32_e32 vcc_lo, 27, v0
	s_cbranch_vccnz .LBB93_200
; %bb.199:
	s_wait_xcnt 0x0
	v_lshlrev_b32_e32 v0, 3, v0
	s_delay_alu instid0(VALU_DEP_1)
	v_mov_b32_e32 v64, v0
	scratch_load_b64 v[0:1], v64, off offset:-8
	scratch_load_b64 v[62:63], off, off offset:208
	s_wait_loadcnt 0x1
	scratch_store_b64 off, v[0:1], off offset:208
	s_wait_loadcnt 0x0
	scratch_store_b64 v64, v[62:63], off offset:-8
.LBB93_200:
	s_wait_xcnt 0x0
	v_mov_b32_e32 v0, 0
	global_load_b32 v1, v0, s[8:9] offset:100
	s_wait_loadcnt 0x0
	v_cmp_eq_u32_e32 vcc_lo, 26, v1
	s_cbranch_vccnz .LBB93_202
; %bb.201:
	v_lshlrev_b32_e32 v1, 3, v1
	scratch_load_b64 v[62:63], v1, off offset:-8
	scratch_load_b64 v[64:65], off, off offset:200
	s_wait_loadcnt 0x1
	scratch_store_b64 off, v[62:63], off offset:200
	s_wait_loadcnt 0x0
	scratch_store_b64 v1, v[64:65], off offset:-8
.LBB93_202:
	global_load_b32 v0, v0, s[8:9] offset:96
	s_wait_loadcnt 0x0
	v_cmp_eq_u32_e32 vcc_lo, 25, v0
	s_cbranch_vccnz .LBB93_204
; %bb.203:
	s_wait_xcnt 0x0
	v_lshlrev_b32_e32 v0, 3, v0
	s_delay_alu instid0(VALU_DEP_1)
	v_mov_b32_e32 v64, v0
	scratch_load_b64 v[0:1], v64, off offset:-8
	scratch_load_b64 v[62:63], off, off offset:192
	s_wait_loadcnt 0x1
	scratch_store_b64 off, v[0:1], off offset:192
	s_wait_loadcnt 0x0
	scratch_store_b64 v64, v[62:63], off offset:-8
.LBB93_204:
	;; [unrolled: 31-line block ×13, first 2 shown]
	s_wait_xcnt 0x0
	v_mov_b32_e32 v0, 0
	global_load_b32 v1, v0, s[8:9] offset:4
	s_wait_loadcnt 0x0
	v_cmp_eq_u32_e32 vcc_lo, 2, v1
	s_cbranch_vccnz .LBB93_250
; %bb.249:
	v_lshlrev_b32_e32 v1, 3, v1
	scratch_load_b64 v[62:63], v1, off offset:-8
	scratch_load_b64 v[64:65], off, off offset:8
	s_wait_loadcnt 0x1
	scratch_store_b64 off, v[62:63], off offset:8
	s_wait_loadcnt 0x0
	scratch_store_b64 v1, v[64:65], off offset:-8
.LBB93_250:
	global_load_b32 v0, v0, s[8:9]
	scratch_load_b64 v[62:63], off, off
	s_wait_loadcnt 0x1
	v_cmp_eq_u32_e32 vcc_lo, 1, v0
	s_cbranch_vccnz .LBB93_252
; %bb.251:
	s_wait_xcnt 0x1
	v_lshlrev_b32_e32 v0, 3, v0
	s_delay_alu instid0(VALU_DEP_1)
	v_mov_b32_e32 v64, v0
	scratch_load_b64 v[0:1], v64, off offset:-8
	s_wait_loadcnt 0x0
	scratch_store_b64 off, v[0:1], off
	scratch_store_b64 v64, v[62:63], off offset:-8
	scratch_load_b64 v[62:63], off, off
.LBB93_252:
	s_wait_loadcnt 0x0
	flat_store_b64 v[2:3], v[62:63]
	scratch_load_b64 v[2:3], off, off offset:8
	v_lshl_add_u64 v[88:89], v[6:7], 3, s[2:3]
	v_lshl_add_u64 v[86:87], v[8:9], 3, s[2:3]
	;; [unrolled: 1-line block ×28, first 2 shown]
	s_wait_loadcnt 0x0
	flat_store_b64 v[4:5], v[2:3]
	scratch_load_b64 v[2:3], off, off offset:16
	s_wait_loadcnt 0x0
	flat_store_b64 v[88:89], v[2:3]
	scratch_load_b64 v[2:3], off, off offset:24
	s_wait_loadcnt 0x0
	flat_store_b64 v[86:87], v[2:3]
	scratch_load_b64 v[2:3], off, off offset:32
	s_wait_loadcnt 0x0
	flat_store_b64 v[84:85], v[2:3]
	scratch_load_b64 v[2:3], off, off offset:40
	s_wait_loadcnt 0x0
	flat_store_b64 v[82:83], v[2:3]
	scratch_load_b64 v[2:3], off, off offset:48
	s_wait_loadcnt 0x0
	flat_store_b64 v[80:81], v[2:3]
	scratch_load_b64 v[2:3], off, off offset:56
	s_wait_loadcnt 0x0
	flat_store_b64 v[78:79], v[2:3]
	scratch_load_b64 v[2:3], off, off offset:64
	s_wait_loadcnt 0x0
	flat_store_b64 v[76:77], v[2:3]
	scratch_load_b64 v[2:3], off, off offset:72
	s_wait_loadcnt 0x0
	flat_store_b64 v[74:75], v[2:3]
	scratch_load_b64 v[2:3], off, off offset:80
	s_wait_loadcnt 0x0
	flat_store_b64 v[72:73], v[2:3]
	scratch_load_b64 v[2:3], off, off offset:88
	s_wait_loadcnt 0x0
	flat_store_b64 v[70:71], v[2:3]
	scratch_load_b64 v[2:3], off, off offset:96
	s_wait_loadcnt 0x0
	flat_store_b64 v[68:69], v[2:3]
	scratch_load_b64 v[2:3], off, off offset:104
	s_wait_loadcnt 0x0
	flat_store_b64 v[66:67], v[2:3]
	scratch_load_b64 v[2:3], off, off offset:112
	s_wait_loadcnt 0x0
	flat_store_b64 v[64:65], v[2:3]
	scratch_load_b64 v[2:3], off, off offset:120
	s_wait_loadcnt 0x0
	flat_store_b64 v[32:33], v[2:3]
	scratch_load_b64 v[2:3], off, off offset:128
	s_wait_loadcnt 0x0
	flat_store_b64 v[30:31], v[2:3]
	scratch_load_b64 v[2:3], off, off offset:136
	s_wait_loadcnt 0x0
	flat_store_b64 v[28:29], v[2:3]
	scratch_load_b64 v[2:3], off, off offset:144
	s_wait_loadcnt 0x0
	flat_store_b64 v[26:27], v[2:3]
	scratch_load_b64 v[2:3], off, off offset:152
	s_wait_loadcnt 0x0
	flat_store_b64 v[24:25], v[2:3]
	scratch_load_b64 v[2:3], off, off offset:160
	s_wait_loadcnt 0x0
	flat_store_b64 v[22:23], v[2:3]
	scratch_load_b64 v[2:3], off, off offset:168
	s_wait_loadcnt 0x0
	flat_store_b64 v[20:21], v[2:3]
	scratch_load_b64 v[2:3], off, off offset:176
	s_wait_loadcnt 0x0
	flat_store_b64 v[18:19], v[2:3]
	scratch_load_b64 v[2:3], off, off offset:184
	s_wait_loadcnt 0x0
	flat_store_b64 v[16:17], v[2:3]
	scratch_load_b64 v[2:3], off, off offset:192
	s_wait_loadcnt 0x0
	flat_store_b64 v[14:15], v[2:3]
	scratch_load_b64 v[2:3], off, off offset:200
	s_wait_loadcnt 0x0
	flat_store_b64 v[12:13], v[2:3]
	scratch_load_b64 v[2:3], off, off offset:208
	s_wait_loadcnt 0x0
	flat_store_b64 v[10:11], v[2:3]
	scratch_load_b64 v[2:3], off, off offset:216
	s_wait_loadcnt 0x0
	flat_store_b64 v[8:9], v[2:3]
	scratch_load_b64 v[2:3], off, off offset:224
	s_wait_loadcnt 0x0
	flat_store_b64 v[6:7], v[2:3]
	scratch_load_b64 v[2:3], off, off offset:232
	s_wait_loadcnt 0x0
	flat_store_b64 v[0:1], v[2:3]
	s_sendmsg sendmsg(MSG_DEALLOC_VGPRS)
	s_endpgm
	.section	.rodata,"a",@progbits
	.p2align	6, 0x0
	.amdhsa_kernel _ZN9rocsolver6v33100L18getri_kernel_smallILi30E19rocblas_complex_numIfEPKPS3_EEvT1_iilPiilS8_bb
		.amdhsa_group_segment_fixed_size 484
		.amdhsa_private_segment_fixed_size 256
		.amdhsa_kernarg_size 60
		.amdhsa_user_sgpr_count 2
		.amdhsa_user_sgpr_dispatch_ptr 0
		.amdhsa_user_sgpr_queue_ptr 0
		.amdhsa_user_sgpr_kernarg_segment_ptr 1
		.amdhsa_user_sgpr_dispatch_id 0
		.amdhsa_user_sgpr_kernarg_preload_length 0
		.amdhsa_user_sgpr_kernarg_preload_offset 0
		.amdhsa_user_sgpr_private_segment_size 0
		.amdhsa_wavefront_size32 1
		.amdhsa_uses_dynamic_stack 0
		.amdhsa_enable_private_segment 1
		.amdhsa_system_sgpr_workgroup_id_x 1
		.amdhsa_system_sgpr_workgroup_id_y 0
		.amdhsa_system_sgpr_workgroup_id_z 0
		.amdhsa_system_sgpr_workgroup_info 0
		.amdhsa_system_vgpr_workitem_id 0
		.amdhsa_next_free_vgpr 208
		.amdhsa_next_free_sgpr 19
		.amdhsa_named_barrier_count 0
		.amdhsa_reserve_vcc 1
		.amdhsa_float_round_mode_32 0
		.amdhsa_float_round_mode_16_64 0
		.amdhsa_float_denorm_mode_32 3
		.amdhsa_float_denorm_mode_16_64 3
		.amdhsa_fp16_overflow 0
		.amdhsa_memory_ordered 1
		.amdhsa_forward_progress 1
		.amdhsa_inst_pref_size 255
		.amdhsa_round_robin_scheduling 0
		.amdhsa_exception_fp_ieee_invalid_op 0
		.amdhsa_exception_fp_denorm_src 0
		.amdhsa_exception_fp_ieee_div_zero 0
		.amdhsa_exception_fp_ieee_overflow 0
		.amdhsa_exception_fp_ieee_underflow 0
		.amdhsa_exception_fp_ieee_inexact 0
		.amdhsa_exception_int_div_zero 0
	.end_amdhsa_kernel
	.section	.text._ZN9rocsolver6v33100L18getri_kernel_smallILi30E19rocblas_complex_numIfEPKPS3_EEvT1_iilPiilS8_bb,"axG",@progbits,_ZN9rocsolver6v33100L18getri_kernel_smallILi30E19rocblas_complex_numIfEPKPS3_EEvT1_iilPiilS8_bb,comdat
.Lfunc_end93:
	.size	_ZN9rocsolver6v33100L18getri_kernel_smallILi30E19rocblas_complex_numIfEPKPS3_EEvT1_iilPiilS8_bb, .Lfunc_end93-_ZN9rocsolver6v33100L18getri_kernel_smallILi30E19rocblas_complex_numIfEPKPS3_EEvT1_iilPiilS8_bb
                                        ; -- End function
	.set _ZN9rocsolver6v33100L18getri_kernel_smallILi30E19rocblas_complex_numIfEPKPS3_EEvT1_iilPiilS8_bb.num_vgpr, 208
	.set _ZN9rocsolver6v33100L18getri_kernel_smallILi30E19rocblas_complex_numIfEPKPS3_EEvT1_iilPiilS8_bb.num_agpr, 0
	.set _ZN9rocsolver6v33100L18getri_kernel_smallILi30E19rocblas_complex_numIfEPKPS3_EEvT1_iilPiilS8_bb.numbered_sgpr, 19
	.set _ZN9rocsolver6v33100L18getri_kernel_smallILi30E19rocblas_complex_numIfEPKPS3_EEvT1_iilPiilS8_bb.num_named_barrier, 0
	.set _ZN9rocsolver6v33100L18getri_kernel_smallILi30E19rocblas_complex_numIfEPKPS3_EEvT1_iilPiilS8_bb.private_seg_size, 256
	.set _ZN9rocsolver6v33100L18getri_kernel_smallILi30E19rocblas_complex_numIfEPKPS3_EEvT1_iilPiilS8_bb.uses_vcc, 1
	.set _ZN9rocsolver6v33100L18getri_kernel_smallILi30E19rocblas_complex_numIfEPKPS3_EEvT1_iilPiilS8_bb.uses_flat_scratch, 1
	.set _ZN9rocsolver6v33100L18getri_kernel_smallILi30E19rocblas_complex_numIfEPKPS3_EEvT1_iilPiilS8_bb.has_dyn_sized_stack, 0
	.set _ZN9rocsolver6v33100L18getri_kernel_smallILi30E19rocblas_complex_numIfEPKPS3_EEvT1_iilPiilS8_bb.has_recursion, 0
	.set _ZN9rocsolver6v33100L18getri_kernel_smallILi30E19rocblas_complex_numIfEPKPS3_EEvT1_iilPiilS8_bb.has_indirect_call, 0
	.section	.AMDGPU.csdata,"",@progbits
; Kernel info:
; codeLenInByte = 40668
; TotalNumSgprs: 21
; NumVgprs: 208
; ScratchSize: 256
; MemoryBound: 0
; FloatMode: 240
; IeeeMode: 1
; LDSByteSize: 484 bytes/workgroup (compile time only)
; SGPRBlocks: 0
; VGPRBlocks: 12
; NumSGPRsForWavesPerEU: 21
; NumVGPRsForWavesPerEU: 208
; NamedBarCnt: 0
; Occupancy: 4
; WaveLimiterHint : 1
; COMPUTE_PGM_RSRC2:SCRATCH_EN: 1
; COMPUTE_PGM_RSRC2:USER_SGPR: 2
; COMPUTE_PGM_RSRC2:TRAP_HANDLER: 0
; COMPUTE_PGM_RSRC2:TGID_X_EN: 1
; COMPUTE_PGM_RSRC2:TGID_Y_EN: 0
; COMPUTE_PGM_RSRC2:TGID_Z_EN: 0
; COMPUTE_PGM_RSRC2:TIDIG_COMP_CNT: 0
	.section	.text._ZN9rocsolver6v33100L18getri_kernel_smallILi31E19rocblas_complex_numIfEPKPS3_EEvT1_iilPiilS8_bb,"axG",@progbits,_ZN9rocsolver6v33100L18getri_kernel_smallILi31E19rocblas_complex_numIfEPKPS3_EEvT1_iilPiilS8_bb,comdat
	.globl	_ZN9rocsolver6v33100L18getri_kernel_smallILi31E19rocblas_complex_numIfEPKPS3_EEvT1_iilPiilS8_bb ; -- Begin function _ZN9rocsolver6v33100L18getri_kernel_smallILi31E19rocblas_complex_numIfEPKPS3_EEvT1_iilPiilS8_bb
	.p2align	8
	.type	_ZN9rocsolver6v33100L18getri_kernel_smallILi31E19rocblas_complex_numIfEPKPS3_EEvT1_iilPiilS8_bb,@function
_ZN9rocsolver6v33100L18getri_kernel_smallILi31E19rocblas_complex_numIfEPKPS3_EEvT1_iilPiilS8_bb: ; @_ZN9rocsolver6v33100L18getri_kernel_smallILi31E19rocblas_complex_numIfEPKPS3_EEvT1_iilPiilS8_bb
; %bb.0:
	s_mov_b32 s2, exec_lo
	v_cmpx_gt_u32_e32 31, v0
	s_cbranch_execz .LBB94_138
; %bb.1:
	s_clause 0x1
	s_load_b32 s13, s[0:1], 0x38
	s_load_b64 s[2:3], s[0:1], 0x0
	s_getreg_b32 s6, hwreg(HW_REG_IB_STS2, 6, 4)
	s_wait_kmcnt 0x0
	s_bitcmp1_b32 s13, 8
	s_cselect_b32 s12, -1, 0
	s_bfe_u32 s4, ttmp6, 0x4000c
	s_and_b32 s5, ttmp6, 15
	s_add_co_i32 s4, s4, 1
	s_delay_alu instid0(SALU_CYCLE_1) | instskip(NEXT) | instid1(SALU_CYCLE_1)
	s_mul_i32 s4, ttmp9, s4
	s_add_co_i32 s5, s5, s4
	s_cmp_eq_u32 s6, 0
	s_cselect_b32 s10, ttmp9, s5
	s_load_b128 s[4:7], s[0:1], 0x28
	s_ashr_i32 s11, s10, 31
	s_delay_alu instid0(SALU_CYCLE_1) | instskip(NEXT) | instid1(SALU_CYCLE_1)
	s_lshl_b64 s[8:9], s[10:11], 3
	s_add_nc_u64 s[2:3], s[2:3], s[8:9]
	s_bfe_u32 s8, s13, 0x10008
	s_load_b64 s[2:3], s[2:3], 0x0
	s_cmp_eq_u32 s8, 0
                                        ; implicit-def: $sgpr8_sgpr9
	s_cbranch_scc1 .LBB94_3
; %bb.2:
	s_load_b96 s[16:18], s[0:1], 0x18
	s_wait_kmcnt 0x0
	s_mul_u64 s[4:5], s[4:5], s[10:11]
	s_delay_alu instid0(SALU_CYCLE_1) | instskip(SKIP_4) | instid1(SALU_CYCLE_1)
	s_lshl_b64 s[4:5], s[4:5], 2
	s_ashr_i32 s9, s18, 31
	s_mov_b32 s8, s18
	s_add_nc_u64 s[4:5], s[16:17], s[4:5]
	s_lshl_b64 s[8:9], s[8:9], 2
	s_add_nc_u64 s[8:9], s[4:5], s[8:9]
.LBB94_3:
	s_wait_kmcnt 0x0
	s_clause 0x1
	s_load_b64 s[4:5], s[0:1], 0x8
	s_load_b32 s13, s[0:1], 0x38
	v_dual_mov_b32 v65, 0 :: v_dual_lshlrev_b32 v64, 3, v0
	s_wait_kmcnt 0x0
	s_ashr_i32 s1, s4, 31
	s_mov_b32 s0, s4
	s_delay_alu instid0(SALU_CYCLE_1) | instskip(NEXT) | instid1(SALU_CYCLE_1)
	s_lshl_b64 s[0:1], s[0:1], 3
	s_add_nc_u64 s[2:3], s[2:3], s[0:1]
	s_ashr_i32 s1, s5, 31
	flat_load_b64 v[6:7], v0, s[2:3] scale_offset
	v_add_nc_u64_e32 v[2:3], s[2:3], v[64:65]
	s_mov_b32 s0, s5
	s_bitcmp0_b32 s13, 0
	s_delay_alu instid0(VALU_DEP_1)
	v_lshl_add_u64 v[4:5], s[0:1], 3, v[2:3]
	s_mov_b32 s1, -1
	s_wait_loadcnt_dscnt 0x0
	scratch_store_b64 off, v[6:7], off
	flat_load_b64 v[8:9], v[4:5]
	s_wait_xcnt 0x1
	v_add3_u32 v6, s5, s5, v0
	s_wait_loadcnt_dscnt 0x0
	scratch_store_b64 off, v[8:9], off offset:8
	flat_load_b64 v[10:11], v6, s[2:3] scale_offset
	s_wait_xcnt 0x1
	v_add_nc_u32_e32 v8, s5, v6
	s_wait_loadcnt_dscnt 0x0
	scratch_store_b64 off, v[10:11], off offset:16
	flat_load_b64 v[12:13], v8, s[2:3] scale_offset
	s_wait_xcnt 0x1
	v_add_nc_u32_e32 v10, s5, v8
	;; [unrolled: 5-line block ×28, first 2 shown]
	s_wait_loadcnt_dscnt 0x0
	scratch_store_b64 off, v[66:67], off offset:232
	flat_load_b64 v[66:67], v62, s[2:3] scale_offset
	s_wait_loadcnt_dscnt 0x0
	scratch_store_b64 off, v[66:67], off offset:240
	s_cbranch_scc1 .LBB94_136
; %bb.4:
	v_cmp_eq_u32_e64 s0, 0, v0
	s_wait_xcnt 0x0
	s_and_saveexec_b32 s1, s0
; %bb.5:
	v_mov_b32_e32 v1, 0
	ds_store_b32 v1, v1 offset:248
; %bb.6:
	s_or_b32 exec_lo, exec_lo, s1
	s_wait_storecnt_dscnt 0x0
	s_barrier_signal -1
	s_barrier_wait -1
	scratch_load_b64 v[66:67], v0, off scale_offset
	s_wait_loadcnt 0x0
	v_cmp_eq_f32_e32 vcc_lo, 0, v66
	v_cmp_eq_f32_e64 s1, 0, v67
	s_and_b32 s1, vcc_lo, s1
	s_delay_alu instid0(SALU_CYCLE_1)
	s_and_saveexec_b32 s4, s1
	s_cbranch_execz .LBB94_10
; %bb.7:
	v_mov_b32_e32 v1, 0
	s_mov_b32 s5, 0
	ds_load_b32 v7, v1 offset:248
	s_wait_dscnt 0x0
	v_readfirstlane_b32 s1, v7
	v_add_nc_u32_e32 v7, 1, v0
	s_cmp_eq_u32 s1, 0
	s_delay_alu instid0(VALU_DEP_1) | instskip(SKIP_1) | instid1(SALU_CYCLE_1)
	v_cmp_gt_i32_e32 vcc_lo, s1, v7
	s_cselect_b32 s13, -1, 0
	s_or_b32 s13, s13, vcc_lo
	s_delay_alu instid0(SALU_CYCLE_1)
	s_and_b32 exec_lo, exec_lo, s13
	s_cbranch_execz .LBB94_10
; %bb.8:
	v_mov_b32_e32 v9, s1
.LBB94_9:                               ; =>This Inner Loop Header: Depth=1
	ds_cmpstore_rtn_b32 v9, v1, v7, v9 offset:248
	s_wait_dscnt 0x0
	v_cmp_ne_u32_e32 vcc_lo, 0, v9
	v_cmp_le_i32_e64 s1, v9, v7
	s_and_b32 s1, vcc_lo, s1
	s_delay_alu instid0(SALU_CYCLE_1) | instskip(NEXT) | instid1(SALU_CYCLE_1)
	s_and_b32 s1, exec_lo, s1
	s_or_b32 s5, s1, s5
	s_delay_alu instid0(SALU_CYCLE_1)
	s_and_not1_b32 exec_lo, exec_lo, s5
	s_cbranch_execnz .LBB94_9
.LBB94_10:
	s_or_b32 exec_lo, exec_lo, s4
	v_mov_b32_e32 v1, 0
	s_barrier_signal -1
	s_barrier_wait -1
	ds_load_b32 v7, v1 offset:248
	s_and_saveexec_b32 s1, s0
	s_cbranch_execz .LBB94_12
; %bb.11:
	s_lshl_b64 s[4:5], s[10:11], 2
	s_delay_alu instid0(SALU_CYCLE_1)
	s_add_nc_u64 s[4:5], s[6:7], s[4:5]
	s_wait_dscnt 0x0
	global_store_b32 v1, v7, s[4:5]
.LBB94_12:
	s_wait_xcnt 0x0
	s_or_b32 exec_lo, exec_lo, s1
	s_wait_dscnt 0x0
	v_cmp_ne_u32_e32 vcc_lo, 0, v7
	s_mov_b32 s1, 0
	s_cbranch_vccnz .LBB94_136
; %bb.13:
	v_lshl_add_u32 v7, v0, 3, 0
                                        ; implicit-def: $vgpr69
                                        ; implicit-def: $vgpr70
	scratch_load_b64 v[66:67], v7, off
	s_wait_loadcnt 0x0
	v_cmp_ngt_f32_e64 s1, |v66|, |v67|
	s_wait_xcnt 0x0
	s_and_saveexec_b32 s4, s1
	s_delay_alu instid0(SALU_CYCLE_1)
	s_xor_b32 s1, exec_lo, s4
	s_cbranch_execz .LBB94_15
; %bb.14:
	v_div_scale_f32 v1, null, v67, v67, v66
	v_div_scale_f32 v13, vcc_lo, v66, v67, v66
	s_delay_alu instid0(VALU_DEP_2) | instskip(SKIP_1) | instid1(TRANS32_DEP_1)
	v_rcp_f32_e32 v9, v1
	v_nop
	v_fma_f32 v11, -v1, v9, 1.0
	s_delay_alu instid0(VALU_DEP_1) | instskip(NEXT) | instid1(VALU_DEP_1)
	v_fmac_f32_e32 v9, v11, v9
	v_mul_f32_e32 v11, v13, v9
	s_delay_alu instid0(VALU_DEP_1) | instskip(NEXT) | instid1(VALU_DEP_1)
	v_fma_f32 v15, -v1, v11, v13
	v_fmac_f32_e32 v11, v15, v9
	s_delay_alu instid0(VALU_DEP_1) | instskip(NEXT) | instid1(VALU_DEP_1)
	v_fma_f32 v1, -v1, v11, v13
	v_div_fmas_f32 v1, v1, v9, v11
	s_delay_alu instid0(VALU_DEP_1) | instskip(NEXT) | instid1(VALU_DEP_1)
	v_div_fixup_f32 v1, v1, v67, v66
	v_fmac_f32_e32 v67, v66, v1
	s_delay_alu instid0(VALU_DEP_1) | instskip(NEXT) | instid1(VALU_DEP_1)
	v_div_scale_f32 v9, null, v67, v67, -1.0
	v_rcp_f32_e32 v11, v9
	v_nop
	s_delay_alu instid0(TRANS32_DEP_1) | instskip(NEXT) | instid1(VALU_DEP_1)
	v_fma_f32 v13, -v9, v11, 1.0
	v_fmac_f32_e32 v11, v13, v11
	v_div_scale_f32 v13, vcc_lo, -1.0, v67, -1.0
	s_delay_alu instid0(VALU_DEP_1) | instskip(NEXT) | instid1(VALU_DEP_1)
	v_mul_f32_e32 v15, v13, v11
	v_fma_f32 v17, -v9, v15, v13
	s_delay_alu instid0(VALU_DEP_1) | instskip(NEXT) | instid1(VALU_DEP_1)
	v_fmac_f32_e32 v15, v17, v11
	v_fma_f32 v9, -v9, v15, v13
	s_delay_alu instid0(VALU_DEP_1) | instskip(NEXT) | instid1(VALU_DEP_1)
	v_div_fmas_f32 v9, v9, v11, v15
	v_div_fixup_f32 v69, v9, v67, -1.0
                                        ; implicit-def: $vgpr66_vgpr67
	s_delay_alu instid0(VALU_DEP_1) | instskip(NEXT) | instid1(VALU_DEP_1)
	v_mul_f32_e32 v70, v1, v69
	v_xor_b32_e32 v68, 0x80000000, v70
.LBB94_15:
	s_and_not1_saveexec_b32 s1, s1
	s_cbranch_execz .LBB94_17
; %bb.16:
	v_div_scale_f32 v1, null, v66, v66, v67
	v_div_scale_f32 v13, vcc_lo, v67, v66, v67
	s_delay_alu instid0(VALU_DEP_2) | instskip(SKIP_1) | instid1(TRANS32_DEP_1)
	v_rcp_f32_e32 v9, v1
	v_nop
	v_fma_f32 v11, -v1, v9, 1.0
	s_delay_alu instid0(VALU_DEP_1) | instskip(NEXT) | instid1(VALU_DEP_1)
	v_fmac_f32_e32 v9, v11, v9
	v_mul_f32_e32 v11, v13, v9
	s_delay_alu instid0(VALU_DEP_1) | instskip(NEXT) | instid1(VALU_DEP_1)
	v_fma_f32 v15, -v1, v11, v13
	v_fmac_f32_e32 v11, v15, v9
	s_delay_alu instid0(VALU_DEP_1) | instskip(NEXT) | instid1(VALU_DEP_1)
	v_fma_f32 v1, -v1, v11, v13
	v_div_fmas_f32 v1, v1, v9, v11
	s_delay_alu instid0(VALU_DEP_1) | instskip(NEXT) | instid1(VALU_DEP_1)
	v_div_fixup_f32 v1, v1, v66, v67
	v_fmac_f32_e32 v66, v67, v1
	s_delay_alu instid0(VALU_DEP_1) | instskip(SKIP_1) | instid1(VALU_DEP_2)
	v_div_scale_f32 v9, null, v66, v66, 1.0
	v_div_scale_f32 v15, vcc_lo, 1.0, v66, 1.0
	v_rcp_f32_e32 v11, v9
	v_nop
	s_delay_alu instid0(TRANS32_DEP_1) | instskip(NEXT) | instid1(VALU_DEP_1)
	v_fma_f32 v13, -v9, v11, 1.0
	v_fmac_f32_e32 v11, v13, v11
	s_delay_alu instid0(VALU_DEP_1) | instskip(NEXT) | instid1(VALU_DEP_1)
	v_mul_f32_e32 v13, v15, v11
	v_fma_f32 v17, -v9, v13, v15
	s_delay_alu instid0(VALU_DEP_1) | instskip(NEXT) | instid1(VALU_DEP_1)
	v_fmac_f32_e32 v13, v17, v11
	v_fma_f32 v9, -v9, v13, v15
	s_delay_alu instid0(VALU_DEP_1) | instskip(NEXT) | instid1(VALU_DEP_1)
	v_div_fmas_f32 v9, v9, v11, v13
	v_div_fixup_f32 v68, v9, v66, 1.0
	s_delay_alu instid0(VALU_DEP_1)
	v_xor_b32_e32 v70, 0x80000000, v68
	v_mul_f32_e64 v69, v1, -v68
.LBB94_17:
	s_or_b32 exec_lo, exec_lo, s1
	scratch_store_b64 v7, v[68:69], off
	scratch_load_b64 v[66:67], off, off offset:8
	v_xor_b32_e32 v71, 0x80000000, v69
	v_add_nc_u32_e32 v1, 0x100, v64
	s_wait_loadcnt 0x0
	ds_store_2addr_b64 v64, v[70:71], v[66:67] offset1:32
	s_wait_storecnt_dscnt 0x0
	s_barrier_signal -1
	s_barrier_wait -1
	s_wait_xcnt 0x0
	s_and_saveexec_b32 s1, s0
	s_cbranch_execz .LBB94_19
; %bb.18:
	scratch_load_b64 v[66:67], v7, off
	ds_load_b64 v[68:69], v1
	s_wait_loadcnt_dscnt 0x0
	v_pk_mul_f32 v[72:73], v[68:69], v[66:67] op_sel:[1,1] op_sel_hi:[0,1]
	s_delay_alu instid0(VALU_DEP_1) | instskip(SKIP_2) | instid1(VALU_DEP_3)
	v_pk_fma_f32 v[74:75], v[68:69], v[66:67], v[72:73] op_sel_hi:[1,0,1]
	v_mov_b32_e32 v9, 0
	v_pk_fma_f32 v[66:67], v[68:69], v[66:67], v[72:73] neg_lo:[0,0,1] neg_hi:[0,0,1]
	v_mov_b32_e32 v67, v75
	ds_load_b64 v[70:71], v9 offset:8
	v_pk_add_f32 v[66:67], v[66:67], 0 op_sel_hi:[1,0]
	s_wait_dscnt 0x0
	s_delay_alu instid0(VALU_DEP_1) | instskip(NEXT) | instid1(VALU_DEP_1)
	v_pk_mul_f32 v[68:69], v[66:67], v[70:71] op_sel:[1,1] op_sel_hi:[0,1]
	v_pk_fma_f32 v[72:73], v[66:67], v[70:71], v[68:69] op_sel_hi:[1,0,1]
	v_pk_fma_f32 v[66:67], v[66:67], v[70:71], v[68:69] neg_lo:[0,0,1] neg_hi:[0,0,1]
	s_delay_alu instid0(VALU_DEP_2)
	v_mov_b32_e32 v67, v73
	scratch_store_b64 off, v[66:67], off offset:8
.LBB94_19:
	s_wait_xcnt 0x0
	s_or_b32 exec_lo, exec_lo, s1
	s_wait_storecnt 0x0
	s_barrier_signal -1
	s_barrier_wait -1
	scratch_load_b64 v[66:67], off, off offset:16
	s_mov_b32 s1, exec_lo
	s_wait_loadcnt 0x0
	ds_store_b64 v1, v[66:67]
	s_wait_dscnt 0x0
	s_barrier_signal -1
	s_barrier_wait -1
	v_cmpx_gt_u32_e32 2, v0
	s_cbranch_execz .LBB94_23
; %bb.20:
	scratch_load_b64 v[66:67], v7, off
	ds_load_b64 v[68:69], v1
	s_wait_loadcnt_dscnt 0x0
	v_pk_mul_f32 v[70:71], v[68:69], v[66:67] op_sel:[1,1] op_sel_hi:[0,1]
	s_delay_alu instid0(VALU_DEP_1) | instskip(SKIP_1) | instid1(VALU_DEP_2)
	v_pk_fma_f32 v[72:73], v[68:69], v[66:67], v[70:71] op_sel_hi:[1,0,1]
	v_pk_fma_f32 v[66:67], v[68:69], v[66:67], v[70:71] neg_lo:[0,0,1] neg_hi:[0,0,1]
	v_mov_b32_e32 v67, v73
	s_delay_alu instid0(VALU_DEP_1)
	v_pk_add_f32 v[66:67], v[66:67], 0 op_sel_hi:[1,0]
	s_and_saveexec_b32 s4, s0
	s_cbranch_execz .LBB94_22
; %bb.21:
	scratch_load_b64 v[68:69], off, off offset:8
	v_mov_b32_e32 v7, 0
	ds_load_b64 v[70:71], v7 offset:264
	s_wait_loadcnt_dscnt 0x0
	v_pk_mul_f32 v[72:73], v[70:71], v[68:69] op_sel:[1,1] op_sel_hi:[0,1]
	s_delay_alu instid0(VALU_DEP_1) | instskip(SKIP_1) | instid1(VALU_DEP_2)
	v_pk_fma_f32 v[74:75], v[70:71], v[68:69], v[72:73] op_sel_hi:[1,0,1]
	v_pk_fma_f32 v[68:69], v[70:71], v[68:69], v[72:73] neg_lo:[0,0,1] neg_hi:[0,0,1]
	v_mov_b32_e32 v69, v75
	s_delay_alu instid0(VALU_DEP_1)
	v_pk_add_f32 v[66:67], v[66:67], v[68:69]
.LBB94_22:
	s_or_b32 exec_lo, exec_lo, s4
	v_mov_b32_e32 v7, 0
	ds_load_b64 v[68:69], v7 offset:16
	s_wait_dscnt 0x0
	v_pk_mul_f32 v[70:71], v[66:67], v[68:69] op_sel:[1,1] op_sel_hi:[0,1]
	s_delay_alu instid0(VALU_DEP_1) | instskip(SKIP_1) | instid1(VALU_DEP_2)
	v_pk_fma_f32 v[72:73], v[66:67], v[68:69], v[70:71] op_sel_hi:[1,0,1]
	v_pk_fma_f32 v[66:67], v[66:67], v[68:69], v[70:71] neg_lo:[0,0,1] neg_hi:[0,0,1]
	v_mov_b32_e32 v67, v73
	scratch_store_b64 off, v[66:67], off offset:16
.LBB94_23:
	s_wait_xcnt 0x0
	s_or_b32 exec_lo, exec_lo, s1
	s_wait_storecnt 0x0
	s_barrier_signal -1
	s_barrier_wait -1
	scratch_load_b64 v[66:67], off, off offset:24
	v_add_nc_u32_e32 v7, -1, v0
	s_mov_b32 s0, exec_lo
	s_wait_loadcnt 0x0
	ds_store_b64 v1, v[66:67]
	s_wait_dscnt 0x0
	s_barrier_signal -1
	s_barrier_wait -1
	v_cmpx_gt_u32_e32 3, v0
	s_cbranch_execz .LBB94_27
; %bb.24:
	v_dual_mov_b32 v66, 0 :: v_dual_add_nc_u32 v9, -1, v0
	v_add_nc_u32_e32 v11, 0x100, v64
	v_mov_b32_e32 v13, v64
	s_mov_b32 s1, 0
	s_delay_alu instid0(VALU_DEP_3)
	v_mov_b32_e32 v67, v66
.LBB94_25:                              ; =>This Inner Loop Header: Depth=1
	scratch_load_b64 v[68:69], v13, off
	ds_load_b64 v[70:71], v11
	s_wait_xcnt 0x0
	v_dual_add_nc_u32 v11, 8, v11 :: v_dual_add_nc_u32 v13, 8, v13
	s_wait_loadcnt_dscnt 0x0
	v_pk_mul_f32 v[72:73], v[70:71], v[68:69] op_sel:[1,1] op_sel_hi:[0,1]
	s_delay_alu instid0(VALU_DEP_1) | instskip(SKIP_2) | instid1(VALU_DEP_3)
	v_pk_fma_f32 v[74:75], v[70:71], v[68:69], v[72:73] op_sel_hi:[1,0,1]
	v_add_nc_u32_e32 v9, 1, v9
	v_pk_fma_f32 v[68:69], v[70:71], v[68:69], v[72:73] neg_lo:[0,0,1] neg_hi:[0,0,1]
	v_mov_b32_e32 v69, v75
	s_delay_alu instid0(VALU_DEP_3) | instskip(NEXT) | instid1(VALU_DEP_2)
	v_cmp_lt_u32_e32 vcc_lo, 1, v9
	v_pk_add_f32 v[66:67], v[66:67], v[68:69]
	s_or_b32 s1, vcc_lo, s1
	s_delay_alu instid0(SALU_CYCLE_1)
	s_and_not1_b32 exec_lo, exec_lo, s1
	s_cbranch_execnz .LBB94_25
; %bb.26:
	s_or_b32 exec_lo, exec_lo, s1
	v_mov_b32_e32 v9, 0
	ds_load_b64 v[68:69], v9 offset:24
	s_wait_dscnt 0x0
	v_pk_mul_f32 v[70:71], v[66:67], v[68:69] op_sel:[1,1] op_sel_hi:[0,1]
	s_delay_alu instid0(VALU_DEP_1) | instskip(SKIP_1) | instid1(VALU_DEP_2)
	v_pk_fma_f32 v[72:73], v[66:67], v[68:69], v[70:71] op_sel_hi:[1,0,1]
	v_pk_fma_f32 v[66:67], v[66:67], v[68:69], v[70:71] neg_lo:[0,0,1] neg_hi:[0,0,1]
	v_mov_b32_e32 v67, v73
	scratch_store_b64 off, v[66:67], off offset:24
.LBB94_27:
	s_wait_xcnt 0x0
	s_or_b32 exec_lo, exec_lo, s0
	s_wait_storecnt 0x0
	s_barrier_signal -1
	s_barrier_wait -1
	scratch_load_b64 v[66:67], off, off offset:32
	s_mov_b32 s0, exec_lo
	s_wait_loadcnt 0x0
	ds_store_b64 v1, v[66:67]
	s_wait_dscnt 0x0
	s_barrier_signal -1
	s_barrier_wait -1
	v_cmpx_gt_u32_e32 4, v0
	s_cbranch_execz .LBB94_31
; %bb.28:
	v_dual_mov_b32 v66, 0 :: v_dual_add_nc_u32 v9, -1, v0
	v_add_nc_u32_e32 v11, 0x100, v64
	v_mov_b32_e32 v13, v64
	s_mov_b32 s1, 0
	s_delay_alu instid0(VALU_DEP_3)
	v_mov_b32_e32 v67, v66
.LBB94_29:                              ; =>This Inner Loop Header: Depth=1
	scratch_load_b64 v[68:69], v13, off
	ds_load_b64 v[70:71], v11
	s_wait_xcnt 0x0
	v_dual_add_nc_u32 v11, 8, v11 :: v_dual_add_nc_u32 v13, 8, v13
	s_wait_loadcnt_dscnt 0x0
	v_pk_mul_f32 v[72:73], v[70:71], v[68:69] op_sel:[1,1] op_sel_hi:[0,1]
	s_delay_alu instid0(VALU_DEP_1) | instskip(SKIP_2) | instid1(VALU_DEP_3)
	v_pk_fma_f32 v[74:75], v[70:71], v[68:69], v[72:73] op_sel_hi:[1,0,1]
	v_add_nc_u32_e32 v9, 1, v9
	v_pk_fma_f32 v[68:69], v[70:71], v[68:69], v[72:73] neg_lo:[0,0,1] neg_hi:[0,0,1]
	v_mov_b32_e32 v69, v75
	s_delay_alu instid0(VALU_DEP_3) | instskip(NEXT) | instid1(VALU_DEP_2)
	v_cmp_lt_u32_e32 vcc_lo, 2, v9
	v_pk_add_f32 v[66:67], v[66:67], v[68:69]
	s_or_b32 s1, vcc_lo, s1
	s_delay_alu instid0(SALU_CYCLE_1)
	s_and_not1_b32 exec_lo, exec_lo, s1
	s_cbranch_execnz .LBB94_29
; %bb.30:
	s_or_b32 exec_lo, exec_lo, s1
	v_mov_b32_e32 v9, 0
	ds_load_b64 v[68:69], v9 offset:32
	s_wait_dscnt 0x0
	v_pk_mul_f32 v[70:71], v[66:67], v[68:69] op_sel:[1,1] op_sel_hi:[0,1]
	s_delay_alu instid0(VALU_DEP_1) | instskip(SKIP_1) | instid1(VALU_DEP_2)
	v_pk_fma_f32 v[72:73], v[66:67], v[68:69], v[70:71] op_sel_hi:[1,0,1]
	v_pk_fma_f32 v[66:67], v[66:67], v[68:69], v[70:71] neg_lo:[0,0,1] neg_hi:[0,0,1]
	v_mov_b32_e32 v67, v73
	scratch_store_b64 off, v[66:67], off offset:32
.LBB94_31:
	s_wait_xcnt 0x0
	s_or_b32 exec_lo, exec_lo, s0
	s_wait_storecnt 0x0
	s_barrier_signal -1
	s_barrier_wait -1
	scratch_load_b64 v[66:67], off, off offset:40
	;; [unrolled: 52-line block ×19, first 2 shown]
	s_mov_b32 s0, exec_lo
	s_wait_loadcnt 0x0
	ds_store_b64 v1, v[66:67]
	s_wait_dscnt 0x0
	s_barrier_signal -1
	s_barrier_wait -1
	v_cmpx_gt_u32_e32 22, v0
	s_cbranch_execz .LBB94_103
; %bb.100:
	v_dual_mov_b32 v66, 0 :: v_dual_add_nc_u32 v9, -1, v0
	v_add_nc_u32_e32 v11, 0x100, v64
	v_mov_b32_e32 v13, v64
	s_mov_b32 s1, 0
	s_delay_alu instid0(VALU_DEP_3)
	v_mov_b32_e32 v67, v66
.LBB94_101:                             ; =>This Inner Loop Header: Depth=1
	scratch_load_b64 v[68:69], v13, off
	ds_load_b64 v[70:71], v11
	s_wait_xcnt 0x0
	v_dual_add_nc_u32 v11, 8, v11 :: v_dual_add_nc_u32 v13, 8, v13
	s_wait_loadcnt_dscnt 0x0
	v_pk_mul_f32 v[72:73], v[70:71], v[68:69] op_sel:[1,1] op_sel_hi:[0,1]
	s_delay_alu instid0(VALU_DEP_1) | instskip(SKIP_2) | instid1(VALU_DEP_3)
	v_pk_fma_f32 v[74:75], v[70:71], v[68:69], v[72:73] op_sel_hi:[1,0,1]
	v_add_nc_u32_e32 v9, 1, v9
	v_pk_fma_f32 v[68:69], v[70:71], v[68:69], v[72:73] neg_lo:[0,0,1] neg_hi:[0,0,1]
	v_mov_b32_e32 v69, v75
	s_delay_alu instid0(VALU_DEP_3) | instskip(NEXT) | instid1(VALU_DEP_2)
	v_cmp_lt_u32_e32 vcc_lo, 20, v9
	v_pk_add_f32 v[66:67], v[66:67], v[68:69]
	s_or_b32 s1, vcc_lo, s1
	s_delay_alu instid0(SALU_CYCLE_1)
	s_and_not1_b32 exec_lo, exec_lo, s1
	s_cbranch_execnz .LBB94_101
; %bb.102:
	s_or_b32 exec_lo, exec_lo, s1
	v_mov_b32_e32 v9, 0
	ds_load_b64 v[68:69], v9 offset:176
	s_wait_dscnt 0x0
	v_pk_mul_f32 v[70:71], v[66:67], v[68:69] op_sel:[1,1] op_sel_hi:[0,1]
	s_delay_alu instid0(VALU_DEP_1) | instskip(SKIP_1) | instid1(VALU_DEP_2)
	v_pk_fma_f32 v[72:73], v[66:67], v[68:69], v[70:71] op_sel_hi:[1,0,1]
	v_pk_fma_f32 v[66:67], v[66:67], v[68:69], v[70:71] neg_lo:[0,0,1] neg_hi:[0,0,1]
	v_mov_b32_e32 v67, v73
	scratch_store_b64 off, v[66:67], off offset:176
.LBB94_103:
	s_wait_xcnt 0x0
	s_or_b32 exec_lo, exec_lo, s0
	s_wait_storecnt 0x0
	s_barrier_signal -1
	s_barrier_wait -1
	scratch_load_b64 v[66:67], off, off offset:184
	s_mov_b32 s0, exec_lo
	s_wait_loadcnt 0x0
	ds_store_b64 v1, v[66:67]
	s_wait_dscnt 0x0
	s_barrier_signal -1
	s_barrier_wait -1
	v_cmpx_gt_u32_e32 23, v0
	s_cbranch_execz .LBB94_107
; %bb.104:
	v_dual_mov_b32 v66, 0 :: v_dual_add_nc_u32 v9, -1, v0
	v_add_nc_u32_e32 v11, 0x100, v64
	v_mov_b32_e32 v13, v64
	s_mov_b32 s1, 0
	s_delay_alu instid0(VALU_DEP_3)
	v_mov_b32_e32 v67, v66
.LBB94_105:                             ; =>This Inner Loop Header: Depth=1
	scratch_load_b64 v[68:69], v13, off
	ds_load_b64 v[70:71], v11
	s_wait_xcnt 0x0
	v_dual_add_nc_u32 v11, 8, v11 :: v_dual_add_nc_u32 v13, 8, v13
	s_wait_loadcnt_dscnt 0x0
	v_pk_mul_f32 v[72:73], v[70:71], v[68:69] op_sel:[1,1] op_sel_hi:[0,1]
	s_delay_alu instid0(VALU_DEP_1) | instskip(SKIP_2) | instid1(VALU_DEP_3)
	v_pk_fma_f32 v[74:75], v[70:71], v[68:69], v[72:73] op_sel_hi:[1,0,1]
	v_add_nc_u32_e32 v9, 1, v9
	v_pk_fma_f32 v[68:69], v[70:71], v[68:69], v[72:73] neg_lo:[0,0,1] neg_hi:[0,0,1]
	v_mov_b32_e32 v69, v75
	s_delay_alu instid0(VALU_DEP_3) | instskip(NEXT) | instid1(VALU_DEP_2)
	v_cmp_lt_u32_e32 vcc_lo, 21, v9
	v_pk_add_f32 v[66:67], v[66:67], v[68:69]
	s_or_b32 s1, vcc_lo, s1
	s_delay_alu instid0(SALU_CYCLE_1)
	s_and_not1_b32 exec_lo, exec_lo, s1
	s_cbranch_execnz .LBB94_105
; %bb.106:
	s_or_b32 exec_lo, exec_lo, s1
	v_mov_b32_e32 v9, 0
	ds_load_b64 v[68:69], v9 offset:184
	s_wait_dscnt 0x0
	v_pk_mul_f32 v[70:71], v[66:67], v[68:69] op_sel:[1,1] op_sel_hi:[0,1]
	s_delay_alu instid0(VALU_DEP_1) | instskip(SKIP_1) | instid1(VALU_DEP_2)
	v_pk_fma_f32 v[72:73], v[66:67], v[68:69], v[70:71] op_sel_hi:[1,0,1]
	v_pk_fma_f32 v[66:67], v[66:67], v[68:69], v[70:71] neg_lo:[0,0,1] neg_hi:[0,0,1]
	v_mov_b32_e32 v67, v73
	scratch_store_b64 off, v[66:67], off offset:184
.LBB94_107:
	s_wait_xcnt 0x0
	s_or_b32 exec_lo, exec_lo, s0
	s_wait_storecnt 0x0
	s_barrier_signal -1
	s_barrier_wait -1
	scratch_load_b64 v[66:67], off, off offset:192
	;; [unrolled: 52-line block ×8, first 2 shown]
	s_mov_b32 s0, exec_lo
	s_wait_loadcnt 0x0
	ds_store_b64 v1, v[66:67]
	s_wait_dscnt 0x0
	s_barrier_signal -1
	s_barrier_wait -1
	v_cmpx_ne_u32_e32 30, v0
	s_cbranch_execz .LBB94_135
; %bb.132:
	v_dual_mov_b32 v66, 0 :: v_dual_mov_b32 v9, v64
	s_mov_b32 s1, 0
	s_delay_alu instid0(VALU_DEP_1)
	v_mov_b32_e32 v67, v66
.LBB94_133:                             ; =>This Inner Loop Header: Depth=1
	scratch_load_b64 v[64:65], v9, off
	ds_load_b64 v[68:69], v1
	v_add_nc_u32_e32 v1, 8, v1
	s_wait_xcnt 0x0
	v_add_nc_u32_e32 v9, 8, v9
	s_wait_loadcnt_dscnt 0x0
	v_pk_mul_f32 v[70:71], v[68:69], v[64:65] op_sel:[1,1] op_sel_hi:[0,1]
	s_delay_alu instid0(VALU_DEP_1) | instskip(SKIP_2) | instid1(VALU_DEP_3)
	v_pk_fma_f32 v[72:73], v[68:69], v[64:65], v[70:71] op_sel_hi:[1,0,1]
	v_add_nc_u32_e32 v7, 1, v7
	v_pk_fma_f32 v[64:65], v[68:69], v[64:65], v[70:71] neg_lo:[0,0,1] neg_hi:[0,0,1]
	v_mov_b32_e32 v65, v73
	s_delay_alu instid0(VALU_DEP_3) | instskip(NEXT) | instid1(VALU_DEP_2)
	v_cmp_lt_u32_e32 vcc_lo, 28, v7
	v_pk_add_f32 v[66:67], v[66:67], v[64:65]
	s_or_b32 s1, vcc_lo, s1
	s_delay_alu instid0(SALU_CYCLE_1)
	s_and_not1_b32 exec_lo, exec_lo, s1
	s_cbranch_execnz .LBB94_133
; %bb.134:
	s_or_b32 exec_lo, exec_lo, s1
	v_mov_b32_e32 v1, 0
	ds_load_b64 v[64:65], v1 offset:240
	s_wait_dscnt 0x0
	v_pk_mul_f32 v[68:69], v[66:67], v[64:65] op_sel:[1,1] op_sel_hi:[0,1]
	s_delay_alu instid0(VALU_DEP_1) | instskip(SKIP_1) | instid1(VALU_DEP_2)
	v_pk_fma_f32 v[70:71], v[66:67], v[64:65], v[68:69] op_sel_hi:[1,0,1]
	v_pk_fma_f32 v[64:65], v[66:67], v[64:65], v[68:69] neg_lo:[0,0,1] neg_hi:[0,0,1]
	v_mov_b32_e32 v65, v71
	scratch_store_b64 off, v[64:65], off offset:240
.LBB94_135:
	s_wait_xcnt 0x0
	s_or_b32 exec_lo, exec_lo, s0
	s_mov_b32 s1, -1
	s_wait_storecnt 0x0
	s_barrier_signal -1
	s_barrier_wait -1
.LBB94_136:
	s_and_b32 vcc_lo, exec_lo, s1
	s_cbranch_vccz .LBB94_138
; %bb.137:
	v_mov_b32_e32 v1, 0
	s_lshl_b64 s[0:1], s[10:11], 2
	s_delay_alu instid0(SALU_CYCLE_1)
	s_add_nc_u64 s[0:1], s[6:7], s[0:1]
	global_load_b32 v1, v1, s[0:1]
	s_wait_loadcnt 0x0
	v_cmp_ne_u32_e32 vcc_lo, 0, v1
	s_cbranch_vccz .LBB94_139
.LBB94_138:
	s_sendmsg sendmsg(MSG_DEALLOC_VGPRS)
	s_endpgm
.LBB94_139:
	s_wait_xcnt 0x0
	v_lshl_add_u32 v1, v0, 3, 0x100
	s_mov_b32 s0, exec_lo
	v_cmpx_eq_u32_e32 30, v0
	s_cbranch_execz .LBB94_141
; %bb.140:
	scratch_load_b64 v[64:65], off, off offset:232
	v_mov_b64_e32 v[66:67], 0
	scratch_store_b64 off, v[66:67], off offset:232
	s_wait_loadcnt 0x0
	ds_store_b64 v1, v[64:65]
.LBB94_141:
	s_wait_xcnt 0x0
	s_or_b32 exec_lo, exec_lo, s0
	s_wait_storecnt_dscnt 0x0
	s_barrier_signal -1
	s_barrier_wait -1
	s_clause 0x1
	scratch_load_b64 v[64:65], off, off offset:240
	scratch_load_b64 v[66:67], off, off offset:232
	v_mov_b32_e32 v7, 0
	s_mov_b32 s0, exec_lo
	ds_load_b64 v[68:69], v7 offset:496
	s_wait_loadcnt_dscnt 0x100
	v_pk_mul_f32 v[70:71], v[68:69], v[64:65] op_sel:[1,1] op_sel_hi:[0,1]
	s_delay_alu instid0(VALU_DEP_1) | instskip(SKIP_1) | instid1(VALU_DEP_2)
	v_pk_fma_f32 v[72:73], v[68:69], v[64:65], v[70:71] op_sel_hi:[1,0,1]
	v_pk_fma_f32 v[64:65], v[68:69], v[64:65], v[70:71] neg_lo:[0,0,1] neg_hi:[0,0,1]
	v_mov_b32_e32 v65, v73
	s_delay_alu instid0(VALU_DEP_1) | instskip(SKIP_1) | instid1(VALU_DEP_1)
	v_pk_add_f32 v[64:65], v[64:65], 0 op_sel_hi:[1,0]
	s_wait_loadcnt 0x0
	v_pk_add_f32 v[64:65], v[66:67], v[64:65] neg_lo:[0,1] neg_hi:[0,1]
	scratch_store_b64 off, v[64:65], off offset:232
	s_wait_xcnt 0x0
	v_cmpx_lt_u32_e32 28, v0
	s_cbranch_execz .LBB94_143
; %bb.142:
	scratch_load_b64 v[64:65], off, off offset:224
	v_mov_b64_e32 v[66:67], 0
	scratch_store_b64 off, v[66:67], off offset:224
	s_wait_loadcnt 0x0
	ds_store_b64 v1, v[64:65]
.LBB94_143:
	s_wait_xcnt 0x0
	s_or_b32 exec_lo, exec_lo, s0
	s_wait_storecnt_dscnt 0x0
	s_barrier_signal -1
	s_barrier_wait -1
	s_clause 0x1
	scratch_load_b128 v[64:67], off, off offset:232
	scratch_load_b64 v[72:73], off, off offset:224
	ds_load_2addr_b64 v[68:71], v7 offset0:61 offset1:62
	s_mov_b32 s0, exec_lo
	s_wait_dscnt 0x0
	v_dual_mov_b32 v74, v71 :: v_dual_mov_b32 v75, v70
	s_wait_loadcnt 0x1
	v_pk_mul_f32 v[76:77], v[68:69], v[64:65] op_sel:[1,1] op_sel_hi:[0,1]
	s_delay_alu instid0(VALU_DEP_1) | instskip(SKIP_2) | instid1(VALU_DEP_3)
	v_pk_fma_f32 v[80:81], v[68:69], v[64:65], v[76:77] op_sel_hi:[1,0,1]
	v_mov_b32_e32 v78, v67
	v_pk_fma_f32 v[64:65], v[68:69], v[64:65], v[76:77] neg_lo:[0,0,1] neg_hi:[0,0,1]
	v_mov_b32_e32 v65, v81
	s_delay_alu instid0(VALU_DEP_3) | instskip(NEXT) | instid1(VALU_DEP_2)
	v_pk_mul_f32 v[74:75], v[74:75], v[78:79] op_sel_hi:[1,0]
	v_pk_add_f32 v[64:65], v[64:65], 0 op_sel_hi:[1,0]
	s_delay_alu instid0(VALU_DEP_2) | instskip(SKIP_1) | instid1(VALU_DEP_2)
	v_pk_fma_f32 v[68:69], v[70:71], v[66:67], v[74:75] op_sel_hi:[1,0,1]
	v_pk_fma_f32 v[66:67], v[70:71], v[66:67], v[74:75] neg_lo:[0,0,1] neg_hi:[0,0,1]
	v_mov_b32_e32 v67, v69
	s_delay_alu instid0(VALU_DEP_1) | instskip(SKIP_1) | instid1(VALU_DEP_1)
	v_pk_add_f32 v[64:65], v[64:65], v[66:67]
	s_wait_loadcnt 0x0
	v_pk_add_f32 v[64:65], v[72:73], v[64:65] neg_lo:[0,1] neg_hi:[0,1]
	scratch_store_b64 off, v[64:65], off offset:224
	s_wait_xcnt 0x0
	v_cmpx_lt_u32_e32 27, v0
	s_cbranch_execz .LBB94_145
; %bb.144:
	scratch_load_b64 v[64:65], off, off offset:216
	v_mov_b64_e32 v[66:67], 0
	scratch_store_b64 off, v[66:67], off offset:216
	s_wait_loadcnt 0x0
	ds_store_b64 v1, v[64:65]
.LBB94_145:
	s_wait_xcnt 0x0
	s_or_b32 exec_lo, exec_lo, s0
	s_wait_storecnt_dscnt 0x0
	s_barrier_signal -1
	s_barrier_wait -1
	s_clause 0x2
	scratch_load_b128 v[64:67], off, off offset:224
	scratch_load_b64 v[72:73], off, off offset:240
	scratch_load_b64 v[74:75], off, off offset:216
	v_mov_b32_e32 v7, 0
	ds_load_b128 v[68:71], v7 offset:480
	ds_load_b64 v[76:77], v7 offset:496
	s_mov_b32 s0, exec_lo
	s_wait_dscnt 0x1
	v_dual_mov_b32 v78, v71 :: v_dual_mov_b32 v79, v70
	s_wait_loadcnt 0x2
	v_mov_b32_e32 v82, v67
	v_pk_mul_f32 v[80:81], v[68:69], v[64:65] op_sel:[1,1] op_sel_hi:[0,1]
	s_delay_alu instid0(VALU_DEP_2) | instskip(NEXT) | instid1(VALU_DEP_2)
	v_pk_mul_f32 v[78:79], v[78:79], v[82:83] op_sel_hi:[1,0]
	v_pk_fma_f32 v[84:85], v[68:69], v[64:65], v[80:81] op_sel_hi:[1,0,1]
	v_pk_fma_f32 v[64:65], v[68:69], v[64:65], v[80:81] neg_lo:[0,0,1] neg_hi:[0,0,1]
	s_wait_loadcnt_dscnt 0x100
	v_pk_mul_f32 v[80:81], v[76:77], v[72:73] op_sel:[1,1] op_sel_hi:[0,1]
	v_pk_fma_f32 v[68:69], v[70:71], v[66:67], v[78:79] op_sel_hi:[1,0,1]
	v_mov_b32_e32 v65, v85
	v_pk_fma_f32 v[66:67], v[70:71], v[66:67], v[78:79] neg_lo:[0,0,1] neg_hi:[0,0,1]
	s_delay_alu instid0(VALU_DEP_4) | instskip(NEXT) | instid1(VALU_DEP_4)
	v_pk_fma_f32 v[70:71], v[76:77], v[72:73], v[80:81] neg_lo:[0,0,1] neg_hi:[0,0,1]
	v_mov_b32_e32 v67, v69
	s_delay_alu instid0(VALU_DEP_4) | instskip(SKIP_1) | instid1(VALU_DEP_2)
	v_pk_add_f32 v[64:65], v[64:65], 0 op_sel_hi:[1,0]
	v_pk_fma_f32 v[68:69], v[76:77], v[72:73], v[80:81] op_sel_hi:[1,0,1]
	v_pk_add_f32 v[64:65], v[64:65], v[66:67]
	s_delay_alu instid0(VALU_DEP_2) | instskip(NEXT) | instid1(VALU_DEP_1)
	v_mov_b32_e32 v71, v69
	v_pk_add_f32 v[64:65], v[64:65], v[70:71]
	s_wait_loadcnt 0x0
	s_delay_alu instid0(VALU_DEP_1)
	v_pk_add_f32 v[64:65], v[74:75], v[64:65] neg_lo:[0,1] neg_hi:[0,1]
	scratch_store_b64 off, v[64:65], off offset:216
	s_wait_xcnt 0x0
	v_cmpx_lt_u32_e32 26, v0
	s_cbranch_execz .LBB94_147
; %bb.146:
	scratch_load_b64 v[64:65], off, off offset:208
	v_mov_b64_e32 v[66:67], 0
	scratch_store_b64 off, v[66:67], off offset:208
	s_wait_loadcnt 0x0
	ds_store_b64 v1, v[64:65]
.LBB94_147:
	s_wait_xcnt 0x0
	s_or_b32 exec_lo, exec_lo, s0
	s_wait_storecnt_dscnt 0x0
	s_barrier_signal -1
	s_barrier_wait -1
	s_clause 0x2
	scratch_load_b128 v[64:67], off, off offset:216
	scratch_load_b128 v[68:71], off, off offset:232
	scratch_load_b64 v[80:81], off, off offset:208
	ds_load_2addr_b64 v[72:75], v7 offset0:59 offset1:60
	ds_load_2addr_b64 v[76:79], v7 offset0:61 offset1:62
	s_mov_b32 s0, exec_lo
	s_wait_dscnt 0x1
	v_dual_mov_b32 v82, v75 :: v_dual_mov_b32 v83, v74
	s_wait_loadcnt_dscnt 0x200
	v_dual_mov_b32 v88, v79 :: v_dual_mov_b32 v86, v67
	v_pk_mul_f32 v[84:85], v[72:73], v[64:65] op_sel:[1,1] op_sel_hi:[0,1]
	s_delay_alu instid0(VALU_DEP_2) | instskip(NEXT) | instid1(VALU_DEP_2)
	v_pk_mul_f32 v[82:83], v[82:83], v[86:87] op_sel_hi:[1,0]
	v_pk_fma_f32 v[90:91], v[72:73], v[64:65], v[84:85] op_sel_hi:[1,0,1]
	v_pk_fma_f32 v[64:65], v[72:73], v[64:65], v[84:85] neg_lo:[0,0,1] neg_hi:[0,0,1]
	v_mov_b32_e32 v89, v78
	s_wait_loadcnt 0x1
	v_pk_mul_f32 v[86:87], v[76:77], v[68:69] op_sel:[1,1] op_sel_hi:[0,1]
	v_pk_fma_f32 v[72:73], v[74:75], v[66:67], v[82:83] op_sel_hi:[1,0,1]
	v_dual_mov_b32 v65, v91 :: v_dual_mov_b32 v72, v71
	v_pk_fma_f32 v[66:67], v[74:75], v[66:67], v[82:83] neg_lo:[0,0,1] neg_hi:[0,0,1]
	s_delay_alu instid0(VALU_DEP_4) | instskip(NEXT) | instid1(VALU_DEP_4)
	v_pk_fma_f32 v[84:85], v[76:77], v[68:69], v[86:87] op_sel_hi:[1,0,1]
	v_mov_b32_e32 v67, v73
	s_delay_alu instid0(VALU_DEP_4) | instskip(SKIP_2) | instid1(VALU_DEP_3)
	v_pk_add_f32 v[64:65], v[64:65], 0 op_sel_hi:[1,0]
	v_pk_mul_f32 v[72:73], v[88:89], v[72:73] op_sel_hi:[1,0]
	v_pk_fma_f32 v[68:69], v[76:77], v[68:69], v[86:87] neg_lo:[0,0,1] neg_hi:[0,0,1]
	v_pk_add_f32 v[64:65], v[64:65], v[66:67]
	s_delay_alu instid0(VALU_DEP_3) | instskip(SKIP_2) | instid1(VALU_DEP_3)
	v_pk_fma_f32 v[66:67], v[78:79], v[70:71], v[72:73] op_sel_hi:[1,0,1]
	v_mov_b32_e32 v69, v85
	v_pk_fma_f32 v[70:71], v[78:79], v[70:71], v[72:73] neg_lo:[0,0,1] neg_hi:[0,0,1]
	v_mov_b32_e32 v71, v67
	s_delay_alu instid0(VALU_DEP_3) | instskip(NEXT) | instid1(VALU_DEP_1)
	v_pk_add_f32 v[64:65], v[64:65], v[68:69]
	v_pk_add_f32 v[64:65], v[64:65], v[70:71]
	s_wait_loadcnt 0x0
	s_delay_alu instid0(VALU_DEP_1)
	v_pk_add_f32 v[64:65], v[80:81], v[64:65] neg_lo:[0,1] neg_hi:[0,1]
	scratch_store_b64 off, v[64:65], off offset:208
	s_wait_xcnt 0x0
	v_cmpx_lt_u32_e32 25, v0
	s_cbranch_execz .LBB94_149
; %bb.148:
	scratch_load_b64 v[64:65], off, off offset:200
	v_mov_b64_e32 v[66:67], 0
	scratch_store_b64 off, v[66:67], off offset:200
	s_wait_loadcnt 0x0
	ds_store_b64 v1, v[64:65]
.LBB94_149:
	s_wait_xcnt 0x0
	s_or_b32 exec_lo, exec_lo, s0
	s_wait_storecnt_dscnt 0x0
	s_barrier_signal -1
	s_barrier_wait -1
	s_clause 0x3
	scratch_load_b128 v[64:67], off, off offset:208
	scratch_load_b128 v[68:71], off, off offset:224
	scratch_load_b64 v[80:81], off, off offset:240
	scratch_load_b64 v[82:83], off, off offset:200
	v_mov_b32_e32 v7, 0
	ds_load_b128 v[72:75], v7 offset:464
	ds_load_b128 v[76:79], v7 offset:480
	s_mov_b32 s0, exec_lo
	s_wait_dscnt 0x1
	v_dual_mov_b32 v84, v75 :: v_dual_mov_b32 v85, v74
	ds_load_b64 v[90:91], v7 offset:496
	s_wait_dscnt 0x1
	v_dual_mov_b32 v92, v79 :: v_dual_mov_b32 v93, v78
	s_wait_loadcnt 0x3
	v_pk_mul_f32 v[86:87], v[72:73], v[64:65] op_sel:[1,1] op_sel_hi:[0,1]
	v_mov_b32_e32 v88, v67
	s_delay_alu instid0(VALU_DEP_2) | instskip(NEXT) | instid1(VALU_DEP_2)
	v_pk_fma_f32 v[94:95], v[72:73], v[64:65], v[86:87] op_sel_hi:[1,0,1]
	v_pk_mul_f32 v[84:85], v[84:85], v[88:89] op_sel_hi:[1,0]
	v_pk_fma_f32 v[64:65], v[72:73], v[64:65], v[86:87] neg_lo:[0,0,1] neg_hi:[0,0,1]
	s_wait_loadcnt 0x2
	v_pk_mul_f32 v[88:89], v[76:77], v[68:69] op_sel:[1,1] op_sel_hi:[0,1]
	v_dual_mov_b32 v94, v71 :: v_dual_mov_b32 v65, v95
	v_pk_fma_f32 v[72:73], v[74:75], v[66:67], v[84:85] op_sel_hi:[1,0,1]
	v_pk_fma_f32 v[66:67], v[74:75], v[66:67], v[84:85] neg_lo:[0,0,1] neg_hi:[0,0,1]
	s_delay_alu instid0(VALU_DEP_4) | instskip(NEXT) | instid1(VALU_DEP_4)
	v_pk_fma_f32 v[86:87], v[76:77], v[68:69], v[88:89] op_sel_hi:[1,0,1]
	v_pk_mul_f32 v[92:93], v[92:93], v[94:95] op_sel_hi:[1,0]
	v_pk_add_f32 v[64:65], v[64:65], 0 op_sel_hi:[1,0]
	v_mov_b32_e32 v67, v73
	v_pk_fma_f32 v[68:69], v[76:77], v[68:69], v[88:89] neg_lo:[0,0,1] neg_hi:[0,0,1]
	v_mov_b32_e32 v69, v87
	v_pk_fma_f32 v[72:73], v[78:79], v[70:71], v[92:93] op_sel_hi:[1,0,1]
	v_pk_fma_f32 v[70:71], v[78:79], v[70:71], v[92:93] neg_lo:[0,0,1] neg_hi:[0,0,1]
	v_pk_add_f32 v[64:65], v[64:65], v[66:67]
	s_wait_loadcnt_dscnt 0x100
	v_pk_mul_f32 v[66:67], v[90:91], v[80:81] op_sel:[1,1] op_sel_hi:[0,1]
	s_delay_alu instid0(VALU_DEP_2) | instskip(NEXT) | instid1(VALU_DEP_2)
	v_pk_add_f32 v[64:65], v[64:65], v[68:69]
	v_pk_fma_f32 v[68:69], v[90:91], v[80:81], v[66:67] op_sel_hi:[1,0,1]
	v_mov_b32_e32 v71, v73
	v_pk_fma_f32 v[66:67], v[90:91], v[80:81], v[66:67] neg_lo:[0,0,1] neg_hi:[0,0,1]
	s_delay_alu instid0(VALU_DEP_3) | instskip(NEXT) | instid1(VALU_DEP_3)
	v_mov_b32_e32 v67, v69
	v_pk_add_f32 v[64:65], v[64:65], v[70:71]
	s_delay_alu instid0(VALU_DEP_1) | instskip(SKIP_1) | instid1(VALU_DEP_1)
	v_pk_add_f32 v[64:65], v[64:65], v[66:67]
	s_wait_loadcnt 0x0
	v_pk_add_f32 v[64:65], v[82:83], v[64:65] neg_lo:[0,1] neg_hi:[0,1]
	scratch_store_b64 off, v[64:65], off offset:200
	s_wait_xcnt 0x0
	v_cmpx_lt_u32_e32 24, v0
	s_cbranch_execz .LBB94_151
; %bb.150:
	scratch_load_b64 v[64:65], off, off offset:192
	v_mov_b64_e32 v[66:67], 0
	scratch_store_b64 off, v[66:67], off offset:192
	s_wait_loadcnt 0x0
	ds_store_b64 v1, v[64:65]
.LBB94_151:
	s_wait_xcnt 0x0
	s_or_b32 exec_lo, exec_lo, s0
	s_wait_storecnt_dscnt 0x0
	s_barrier_signal -1
	s_barrier_wait -1
	s_clause 0x3
	scratch_load_b128 v[64:67], off, off offset:200
	scratch_load_b128 v[68:71], off, off offset:216
	;; [unrolled: 1-line block ×3, first 2 shown]
	scratch_load_b64 v[88:89], off, off offset:192
	ds_load_2addr_b64 v[76:79], v7 offset0:57 offset1:58
	ds_load_2addr_b64 v[80:83], v7 offset0:59 offset1:60
	;; [unrolled: 1-line block ×3, first 2 shown]
	s_mov_b32 s0, exec_lo
	s_wait_dscnt 0x2
	v_dual_mov_b32 v90, v79 :: v_dual_mov_b32 v91, v78
	s_wait_dscnt 0x1
	v_dual_mov_b32 v92, v83 :: v_dual_mov_b32 v93, v82
	;; [unrolled: 2-line block ×3, first 2 shown]
	s_wait_loadcnt 0x3
	v_pk_mul_f32 v[94:95], v[76:77], v[64:65] op_sel:[1,1] op_sel_hi:[0,1]
	v_mov_b32_e32 v96, v67
	s_delay_alu instid0(VALU_DEP_2) | instskip(NEXT) | instid1(VALU_DEP_2)
	v_pk_fma_f32 v[100:101], v[76:77], v[64:65], v[94:95] op_sel_hi:[1,0,1]
	v_pk_mul_f32 v[90:91], v[90:91], v[96:97] op_sel_hi:[1,0]
	v_pk_fma_f32 v[64:65], v[76:77], v[64:65], v[94:95] neg_lo:[0,0,1] neg_hi:[0,0,1]
	s_wait_loadcnt 0x2
	v_pk_mul_f32 v[96:97], v[80:81], v[68:69] op_sel:[1,1] op_sel_hi:[0,1]
	v_mov_b32_e32 v100, v71
	v_pk_fma_f32 v[76:77], v[78:79], v[66:67], v[90:91] op_sel_hi:[1,0,1]
	v_mov_b32_e32 v65, v101
	v_pk_fma_f32 v[66:67], v[78:79], v[66:67], v[90:91] neg_lo:[0,0,1] neg_hi:[0,0,1]
	v_pk_fma_f32 v[94:95], v[80:81], v[68:69], v[96:97] op_sel_hi:[1,0,1]
	v_pk_mul_f32 v[92:93], v[92:93], v[100:101] op_sel_hi:[1,0]
	v_mov_b32_e32 v67, v77
	v_pk_add_f32 v[64:65], v[64:65], 0 op_sel_hi:[1,0]
	v_pk_fma_f32 v[68:69], v[80:81], v[68:69], v[96:97] neg_lo:[0,0,1] neg_hi:[0,0,1]
	s_wait_loadcnt 0x1
	v_pk_mul_f32 v[76:77], v[84:85], v[72:73] op_sel:[1,1] op_sel_hi:[0,1]
	v_mov_b32_e32 v69, v95
	v_pk_fma_f32 v[78:79], v[82:83], v[70:71], v[92:93] op_sel_hi:[1,0,1]
	v_pk_add_f32 v[64:65], v[64:65], v[66:67]
	v_mov_b32_e32 v66, v75
	v_pk_fma_f32 v[70:71], v[82:83], v[70:71], v[92:93] neg_lo:[0,0,1] neg_hi:[0,0,1]
	v_pk_fma_f32 v[80:81], v[84:85], v[72:73], v[76:77] op_sel_hi:[1,0,1]
	v_mov_b32_e32 v71, v79
	v_pk_add_f32 v[64:65], v[64:65], v[68:69]
	v_pk_mul_f32 v[66:67], v[98:99], v[66:67] op_sel_hi:[1,0]
	v_pk_fma_f32 v[68:69], v[84:85], v[72:73], v[76:77] neg_lo:[0,0,1] neg_hi:[0,0,1]
	v_mov_b32_e32 v69, v81
	s_delay_alu instid0(VALU_DEP_4) | instskip(NEXT) | instid1(VALU_DEP_4)
	v_pk_add_f32 v[64:65], v[64:65], v[70:71]
	v_pk_fma_f32 v[70:71], v[86:87], v[74:75], v[66:67] op_sel_hi:[1,0,1]
	v_pk_fma_f32 v[66:67], v[86:87], v[74:75], v[66:67] neg_lo:[0,0,1] neg_hi:[0,0,1]
	s_delay_alu instid0(VALU_DEP_3) | instskip(NEXT) | instid1(VALU_DEP_3)
	v_pk_add_f32 v[64:65], v[64:65], v[68:69]
	v_mov_b32_e32 v67, v71
	s_delay_alu instid0(VALU_DEP_1) | instskip(SKIP_1) | instid1(VALU_DEP_1)
	v_pk_add_f32 v[64:65], v[64:65], v[66:67]
	s_wait_loadcnt 0x0
	v_pk_add_f32 v[64:65], v[88:89], v[64:65] neg_lo:[0,1] neg_hi:[0,1]
	scratch_store_b64 off, v[64:65], off offset:192
	s_wait_xcnt 0x0
	v_cmpx_lt_u32_e32 23, v0
	s_cbranch_execz .LBB94_153
; %bb.152:
	scratch_load_b64 v[64:65], off, off offset:184
	v_mov_b64_e32 v[66:67], 0
	scratch_store_b64 off, v[66:67], off offset:184
	s_wait_loadcnt 0x0
	ds_store_b64 v1, v[64:65]
.LBB94_153:
	s_wait_xcnt 0x0
	s_or_b32 exec_lo, exec_lo, s0
	s_wait_storecnt_dscnt 0x0
	s_barrier_signal -1
	s_barrier_wait -1
	s_clause 0x4
	scratch_load_b128 v[64:67], off, off offset:192
	scratch_load_b128 v[68:71], off, off offset:208
	;; [unrolled: 1-line block ×3, first 2 shown]
	scratch_load_b64 v[88:89], off, off offset:240
	scratch_load_b64 v[90:91], off, off offset:184
	v_mov_b32_e32 v7, 0
	ds_load_b128 v[76:79], v7 offset:448
	ds_load_b128 v[80:83], v7 offset:464
	;; [unrolled: 1-line block ×3, first 2 shown]
	ds_load_b64 v[92:93], v7 offset:496
	s_mov_b32 s0, exec_lo
	s_wait_dscnt 0x3
	v_dual_mov_b32 v94, v79 :: v_dual_mov_b32 v95, v78
	s_wait_dscnt 0x2
	v_dual_mov_b32 v96, v83 :: v_dual_mov_b32 v97, v82
	;; [unrolled: 2-line block ×3, first 2 shown]
	s_wait_loadcnt 0x4
	v_pk_mul_f32 v[98:99], v[76:77], v[64:65] op_sel:[1,1] op_sel_hi:[0,1]
	v_mov_b32_e32 v100, v67
	s_wait_loadcnt 0x3
	v_pk_mul_f32 v[104:105], v[80:81], v[68:69] op_sel:[1,1] op_sel_hi:[0,1]
	s_wait_loadcnt 0x2
	v_pk_mul_f32 v[108:109], v[84:85], v[72:73] op_sel:[1,1] op_sel_hi:[0,1]
	v_pk_fma_f32 v[106:107], v[76:77], v[64:65], v[98:99] op_sel_hi:[1,0,1]
	v_pk_mul_f32 v[94:95], v[94:95], v[100:101] op_sel_hi:[1,0]
	v_pk_fma_f32 v[64:65], v[76:77], v[64:65], v[98:99] neg_lo:[0,0,1] neg_hi:[0,0,1]
	v_mov_b32_e32 v100, v71
	v_pk_fma_f32 v[98:99], v[80:81], v[68:69], v[104:105] op_sel_hi:[1,0,1]
	v_mov_b32_e32 v65, v107
	v_pk_fma_f32 v[76:77], v[78:79], v[66:67], v[94:95] op_sel_hi:[1,0,1]
	v_pk_fma_f32 v[66:67], v[78:79], v[66:67], v[94:95] neg_lo:[0,0,1] neg_hi:[0,0,1]
	v_pk_mul_f32 v[96:97], v[96:97], v[100:101] op_sel_hi:[1,0]
	v_pk_fma_f32 v[68:69], v[80:81], v[68:69], v[104:105] neg_lo:[0,0,1] neg_hi:[0,0,1]
	v_pk_add_f32 v[64:65], v[64:65], 0 op_sel_hi:[1,0]
	v_dual_mov_b32 v67, v77 :: v_dual_mov_b32 v76, v75
	s_delay_alu instid0(VALU_DEP_4) | instskip(SKIP_2) | instid1(VALU_DEP_4)
	v_pk_fma_f32 v[78:79], v[82:83], v[70:71], v[96:97] op_sel_hi:[1,0,1]
	v_mov_b32_e32 v69, v99
	v_pk_fma_f32 v[70:71], v[82:83], v[70:71], v[96:97] neg_lo:[0,0,1] neg_hi:[0,0,1]
	v_pk_add_f32 v[64:65], v[64:65], v[66:67]
	v_pk_fma_f32 v[66:67], v[84:85], v[72:73], v[108:109] op_sel_hi:[1,0,1]
	v_pk_mul_f32 v[76:77], v[102:103], v[76:77] op_sel_hi:[1,0]
	v_mov_b32_e32 v71, v79
	s_delay_alu instid0(VALU_DEP_4)
	v_pk_add_f32 v[64:65], v[64:65], v[68:69]
	v_pk_fma_f32 v[68:69], v[84:85], v[72:73], v[108:109] neg_lo:[0,0,1] neg_hi:[0,0,1]
	v_mov_b32_e32 v69, v67
	v_pk_fma_f32 v[66:67], v[86:87], v[74:75], v[76:77] op_sel_hi:[1,0,1]
	v_pk_fma_f32 v[72:73], v[86:87], v[74:75], v[76:77] neg_lo:[0,0,1] neg_hi:[0,0,1]
	v_pk_add_f32 v[64:65], v[64:65], v[70:71]
	s_wait_loadcnt_dscnt 0x100
	v_pk_mul_f32 v[70:71], v[92:93], v[88:89] op_sel:[1,1] op_sel_hi:[0,1]
	v_mov_b32_e32 v73, v67
	s_delay_alu instid0(VALU_DEP_3) | instskip(NEXT) | instid1(VALU_DEP_3)
	v_pk_add_f32 v[64:65], v[64:65], v[68:69]
	v_pk_fma_f32 v[66:67], v[92:93], v[88:89], v[70:71] op_sel_hi:[1,0,1]
	v_pk_fma_f32 v[68:69], v[92:93], v[88:89], v[70:71] neg_lo:[0,0,1] neg_hi:[0,0,1]
	s_delay_alu instid0(VALU_DEP_3) | instskip(NEXT) | instid1(VALU_DEP_3)
	v_pk_add_f32 v[64:65], v[64:65], v[72:73]
	v_mov_b32_e32 v69, v67
	s_delay_alu instid0(VALU_DEP_1) | instskip(SKIP_1) | instid1(VALU_DEP_1)
	v_pk_add_f32 v[64:65], v[64:65], v[68:69]
	s_wait_loadcnt 0x0
	v_pk_add_f32 v[64:65], v[90:91], v[64:65] neg_lo:[0,1] neg_hi:[0,1]
	scratch_store_b64 off, v[64:65], off offset:184
	s_wait_xcnt 0x0
	v_cmpx_lt_u32_e32 22, v0
	s_cbranch_execz .LBB94_155
; %bb.154:
	scratch_load_b64 v[64:65], off, off offset:176
	v_mov_b64_e32 v[66:67], 0
	scratch_store_b64 off, v[66:67], off offset:176
	s_wait_loadcnt 0x0
	ds_store_b64 v1, v[64:65]
.LBB94_155:
	s_wait_xcnt 0x0
	s_or_b32 exec_lo, exec_lo, s0
	s_wait_storecnt_dscnt 0x0
	s_barrier_signal -1
	s_barrier_wait -1
	s_clause 0x4
	scratch_load_b128 v[64:67], off, off offset:184
	scratch_load_b128 v[68:71], off, off offset:200
	;; [unrolled: 1-line block ×4, first 2 shown]
	scratch_load_b64 v[96:97], off, off offset:176
	ds_load_2addr_b64 v[80:83], v7 offset0:55 offset1:56
	ds_load_2addr_b64 v[84:87], v7 offset0:57 offset1:58
	;; [unrolled: 1-line block ×4, first 2 shown]
	s_mov_b32 s0, exec_lo
	s_wait_dscnt 0x3
	v_dual_mov_b32 v98, v83 :: v_dual_mov_b32 v99, v82
	s_wait_dscnt 0x2
	v_dual_mov_b32 v100, v87 :: v_dual_mov_b32 v101, v86
	;; [unrolled: 2-line block ×3, first 2 shown]
	v_dual_mov_b32 v103, v90 :: v_dual_mov_b32 v108, v95
	s_wait_loadcnt 0x4
	v_mov_b32_e32 v106, v67
	v_pk_mul_f32 v[104:105], v[80:81], v[64:65] op_sel:[1,1] op_sel_hi:[0,1]
	s_wait_loadcnt 0x3
	v_pk_mul_f32 v[110:111], v[84:85], v[68:69] op_sel:[1,1] op_sel_hi:[0,1]
	s_wait_loadcnt 0x2
	v_pk_mul_f32 v[114:115], v[88:89], v[72:73] op_sel:[1,1] op_sel_hi:[0,1]
	v_pk_mul_f32 v[98:99], v[98:99], v[106:107] op_sel_hi:[1,0]
	v_pk_fma_f32 v[112:113], v[80:81], v[64:65], v[104:105] op_sel_hi:[1,0,1]
	v_pk_fma_f32 v[64:65], v[80:81], v[64:65], v[104:105] neg_lo:[0,0,1] neg_hi:[0,0,1]
	v_mov_b32_e32 v106, v71
	v_pk_fma_f32 v[104:105], v[84:85], v[68:69], v[110:111] op_sel_hi:[1,0,1]
	v_pk_fma_f32 v[80:81], v[82:83], v[66:67], v[98:99] op_sel_hi:[1,0,1]
	v_mov_b32_e32 v65, v113
	v_pk_fma_f32 v[66:67], v[82:83], v[66:67], v[98:99] neg_lo:[0,0,1] neg_hi:[0,0,1]
	v_pk_mul_f32 v[100:101], v[100:101], v[106:107] op_sel_hi:[1,0]
	s_delay_alu instid0(VALU_DEP_4) | instskip(NEXT) | instid1(VALU_DEP_4)
	v_dual_mov_b32 v80, v75 :: v_dual_mov_b32 v67, v81
	v_pk_add_f32 v[64:65], v[64:65], 0 op_sel_hi:[1,0]
	v_pk_fma_f32 v[68:69], v[84:85], v[68:69], v[110:111] neg_lo:[0,0,1] neg_hi:[0,0,1]
	v_mov_b32_e32 v69, v105
	v_pk_fma_f32 v[82:83], v[86:87], v[70:71], v[100:101] op_sel_hi:[1,0,1]
	v_pk_mul_f32 v[80:81], v[102:103], v[80:81] op_sel_hi:[1,0]
	v_pk_add_f32 v[64:65], v[64:65], v[66:67]
	v_pk_fma_f32 v[66:67], v[88:89], v[72:73], v[114:115] op_sel_hi:[1,0,1]
	v_pk_fma_f32 v[70:71], v[86:87], v[70:71], v[100:101] neg_lo:[0,0,1] neg_hi:[0,0,1]
	v_mov_b32_e32 v71, v83
	v_pk_fma_f32 v[72:73], v[88:89], v[72:73], v[114:115] neg_lo:[0,0,1] neg_hi:[0,0,1]
	v_pk_add_f32 v[64:65], v[64:65], v[68:69]
	v_mov_b32_e32 v73, v67
	v_pk_fma_f32 v[66:67], v[90:91], v[74:75], v[80:81] op_sel_hi:[1,0,1]
	s_wait_loadcnt 0x1
	v_pk_mul_f32 v[68:69], v[92:93], v[76:77] op_sel:[1,1] op_sel_hi:[0,1]
	v_mov_b32_e32 v66, v79
	v_pk_add_f32 v[64:65], v[64:65], v[70:71]
	v_pk_fma_f32 v[74:75], v[90:91], v[74:75], v[80:81] neg_lo:[0,0,1] neg_hi:[0,0,1]
	v_mov_b32_e32 v75, v67
	v_pk_fma_f32 v[70:71], v[92:93], v[76:77], v[68:69] op_sel_hi:[1,0,1]
	v_pk_mul_f32 v[66:67], v[108:109], v[66:67] op_sel_hi:[1,0]
	v_pk_add_f32 v[64:65], v[64:65], v[72:73]
	v_pk_fma_f32 v[68:69], v[92:93], v[76:77], v[68:69] neg_lo:[0,0,1] neg_hi:[0,0,1]
	s_delay_alu instid0(VALU_DEP_4) | instskip(NEXT) | instid1(VALU_DEP_4)
	v_mov_b32_e32 v69, v71
	v_pk_fma_f32 v[70:71], v[94:95], v[78:79], v[66:67] op_sel_hi:[1,0,1]
	s_delay_alu instid0(VALU_DEP_4) | instskip(SKIP_1) | instid1(VALU_DEP_3)
	v_pk_add_f32 v[64:65], v[64:65], v[74:75]
	v_pk_fma_f32 v[66:67], v[94:95], v[78:79], v[66:67] neg_lo:[0,0,1] neg_hi:[0,0,1]
	v_mov_b32_e32 v67, v71
	s_delay_alu instid0(VALU_DEP_3) | instskip(NEXT) | instid1(VALU_DEP_1)
	v_pk_add_f32 v[64:65], v[64:65], v[68:69]
	v_pk_add_f32 v[64:65], v[64:65], v[66:67]
	s_wait_loadcnt 0x0
	s_delay_alu instid0(VALU_DEP_1)
	v_pk_add_f32 v[64:65], v[96:97], v[64:65] neg_lo:[0,1] neg_hi:[0,1]
	scratch_store_b64 off, v[64:65], off offset:176
	s_wait_xcnt 0x0
	v_cmpx_lt_u32_e32 21, v0
	s_cbranch_execz .LBB94_157
; %bb.156:
	scratch_load_b64 v[64:65], off, off offset:168
	v_mov_b64_e32 v[66:67], 0
	scratch_store_b64 off, v[66:67], off offset:168
	s_wait_loadcnt 0x0
	ds_store_b64 v1, v[64:65]
.LBB94_157:
	s_wait_xcnt 0x0
	s_or_b32 exec_lo, exec_lo, s0
	s_wait_storecnt_dscnt 0x0
	s_barrier_signal -1
	s_barrier_wait -1
	s_clause 0x5
	scratch_load_b128 v[64:67], off, off offset:176
	scratch_load_b128 v[68:71], off, off offset:192
	;; [unrolled: 1-line block ×4, first 2 shown]
	scratch_load_b64 v[96:97], off, off offset:240
	scratch_load_b64 v[98:99], off, off offset:168
	v_mov_b32_e32 v7, 0
	ds_load_b128 v[80:83], v7 offset:432
	ds_load_b128 v[84:87], v7 offset:448
	;; [unrolled: 1-line block ×4, first 2 shown]
	ds_load_b64 v[100:101], v7 offset:496
	s_mov_b32 s0, exec_lo
	s_wait_dscnt 0x4
	v_dual_mov_b32 v102, v83 :: v_dual_mov_b32 v103, v82
	s_wait_dscnt 0x1
	v_dual_mov_b32 v104, v87 :: v_dual_mov_b32 v109, v94
	v_dual_mov_b32 v105, v86 :: v_dual_mov_b32 v106, v91
	;; [unrolled: 1-line block ×3, first 2 shown]
	s_wait_loadcnt 0x5
	v_dual_mov_b32 v110, v67 :: v_dual_mul_f32 v111, v80, v65
	v_mul_f32_e32 v9, v81, v65
	s_wait_loadcnt 0x4
	v_pk_mul_f32 v[112:113], v[84:85], v[68:69] op_sel:[1,1] op_sel_hi:[0,1]
	v_mov_b32_e32 v114, v71
	s_wait_loadcnt 0x3
	v_pk_mul_f32 v[116:117], v[88:89], v[72:73] op_sel:[1,1] op_sel_hi:[0,1]
	v_pk_mul_f32 v[102:103], v[102:103], v[110:111] op_sel_hi:[1,0]
	v_dual_fmac_f32 v111, v81, v64 :: v_dual_fma_f32 v110, v80, v64, -v9
	v_mov_b32_e32 v64, v75
	v_pk_fma_f32 v[118:119], v[84:85], v[68:69], v[112:113] op_sel_hi:[1,0,1]
	s_delay_alu instid0(VALU_DEP_4)
	v_pk_fma_f32 v[80:81], v[82:83], v[66:67], v[102:103] op_sel_hi:[1,0,1]
	v_pk_fma_f32 v[66:67], v[82:83], v[66:67], v[102:103] neg_lo:[0,0,1] neg_hi:[0,0,1]
	v_pk_mul_f32 v[104:105], v[104:105], v[114:115] op_sel_hi:[1,0]
	v_pk_add_f32 v[110:111], v[110:111], 0 op_sel_hi:[1,0]
	v_pk_fma_f32 v[68:69], v[84:85], v[68:69], v[112:113] neg_lo:[0,0,1] neg_hi:[0,0,1]
	v_dual_mov_b32 v67, v81 :: v_dual_mov_b32 v69, v119
	s_delay_alu instid0(VALU_DEP_4) | instskip(SKIP_2) | instid1(VALU_DEP_4)
	v_pk_fma_f32 v[82:83], v[86:87], v[70:71], v[104:105] op_sel_hi:[1,0,1]
	v_pk_fma_f32 v[70:71], v[86:87], v[70:71], v[104:105] neg_lo:[0,0,1] neg_hi:[0,0,1]
	v_pk_fma_f32 v[84:85], v[88:89], v[72:73], v[116:117] op_sel_hi:[1,0,1]
	v_pk_add_f32 v[66:67], v[110:111], v[66:67]
	v_pk_mul_f32 v[64:65], v[106:107], v[64:65] op_sel_hi:[1,0]
	v_mov_b32_e32 v71, v83
	v_pk_fma_f32 v[72:73], v[88:89], v[72:73], v[116:117] neg_lo:[0,0,1] neg_hi:[0,0,1]
	s_wait_loadcnt 0x2
	v_pk_mul_f32 v[80:81], v[92:93], v[76:77] op_sel:[1,1] op_sel_hi:[0,1]
	v_pk_add_f32 v[66:67], v[66:67], v[68:69]
	v_mov_b32_e32 v68, v79
	v_pk_fma_f32 v[82:83], v[90:91], v[74:75], v[64:65] op_sel_hi:[1,0,1]
	v_mov_b32_e32 v73, v85
	v_pk_fma_f32 v[64:65], v[90:91], v[74:75], v[64:65] neg_lo:[0,0,1] neg_hi:[0,0,1]
	v_pk_add_f32 v[66:67], v[66:67], v[70:71]
	v_pk_fma_f32 v[70:71], v[92:93], v[76:77], v[80:81] op_sel_hi:[1,0,1]
	v_pk_mul_f32 v[68:69], v[108:109], v[68:69] op_sel_hi:[1,0]
	v_mov_b32_e32 v65, v83
	s_delay_alu instid0(VALU_DEP_4)
	v_pk_add_f32 v[66:67], v[66:67], v[72:73]
	v_pk_fma_f32 v[72:73], v[92:93], v[76:77], v[80:81] neg_lo:[0,0,1] neg_hi:[0,0,1]
	v_mov_b32_e32 v73, v71
	v_pk_fma_f32 v[70:71], v[94:95], v[78:79], v[68:69] op_sel_hi:[1,0,1]
	v_pk_fma_f32 v[68:69], v[94:95], v[78:79], v[68:69] neg_lo:[0,0,1] neg_hi:[0,0,1]
	v_pk_add_f32 v[64:65], v[66:67], v[64:65]
	s_wait_loadcnt_dscnt 0x100
	v_pk_mul_f32 v[66:67], v[100:101], v[96:97] op_sel:[1,1] op_sel_hi:[0,1]
	v_mov_b32_e32 v69, v71
	s_delay_alu instid0(VALU_DEP_3) | instskip(NEXT) | instid1(VALU_DEP_3)
	v_pk_add_f32 v[64:65], v[64:65], v[72:73]
	v_pk_fma_f32 v[70:71], v[100:101], v[96:97], v[66:67] op_sel_hi:[1,0,1]
	v_pk_fma_f32 v[66:67], v[100:101], v[96:97], v[66:67] neg_lo:[0,0,1] neg_hi:[0,0,1]
	s_delay_alu instid0(VALU_DEP_3) | instskip(NEXT) | instid1(VALU_DEP_3)
	v_pk_add_f32 v[64:65], v[64:65], v[68:69]
	v_mov_b32_e32 v67, v71
	s_delay_alu instid0(VALU_DEP_1) | instskip(SKIP_1) | instid1(VALU_DEP_1)
	v_pk_add_f32 v[64:65], v[64:65], v[66:67]
	s_wait_loadcnt 0x0
	v_pk_add_f32 v[64:65], v[98:99], v[64:65] neg_lo:[0,1] neg_hi:[0,1]
	scratch_store_b64 off, v[64:65], off offset:168
	s_wait_xcnt 0x0
	v_cmpx_lt_u32_e32 20, v0
	s_cbranch_execz .LBB94_159
; %bb.158:
	scratch_load_b64 v[64:65], off, off offset:160
	v_mov_b64_e32 v[66:67], 0
	scratch_store_b64 off, v[66:67], off offset:160
	s_wait_loadcnt 0x0
	ds_store_b64 v1, v[64:65]
.LBB94_159:
	s_wait_xcnt 0x0
	s_or_b32 exec_lo, exec_lo, s0
	s_wait_storecnt_dscnt 0x0
	s_barrier_signal -1
	s_barrier_wait -1
	s_clause 0x5
	scratch_load_b128 v[64:67], off, off offset:168
	scratch_load_b128 v[68:71], off, off offset:184
	;; [unrolled: 1-line block ×5, first 2 shown]
	scratch_load_b64 v[104:105], off, off offset:160
	ds_load_2addr_b64 v[84:87], v7 offset0:55 offset1:56
	ds_load_2addr_b64 v[88:91], v7 offset0:57 offset1:58
	;; [unrolled: 1-line block ×5, first 2 shown]
	s_mov_b32 s0, exec_lo
	s_wait_dscnt 0x4
	v_dual_mov_b32 v106, v87 :: v_dual_mov_b32 v107, v86
	s_wait_dscnt 0x3
	v_dual_mov_b32 v108, v91 :: v_dual_mov_b32 v109, v90
	;; [unrolled: 2-line block ×4, first 2 shown]
	s_wait_loadcnt_dscnt 0x500
	v_dual_mul_f32 v115, v100, v65 :: v_dual_mul_f32 v117, v102, v67
	v_dual_mul_f32 v7, v101, v65 :: v_dual_mul_f32 v9, v103, v67
	s_wait_loadcnt 0x4
	v_pk_mul_f32 v[118:119], v[84:85], v[68:69] op_sel:[1,1] op_sel_hi:[0,1]
	s_wait_loadcnt 0x3
	v_dual_mov_b32 v120, v71 :: v_dual_mov_b32 v124, v75
	v_dual_fmac_f32 v115, v101, v64 :: v_dual_fmac_f32 v117, v103, v66
	v_dual_fma_f32 v114, v100, v64, -v7 :: v_dual_fma_f32 v116, v102, v66, -v9
	v_pk_fma_f32 v[64:65], v[84:85], v[68:69], v[118:119] op_sel_hi:[1,0,1]
	s_delay_alu instid0(VALU_DEP_4) | instskip(SKIP_1) | instid1(VALU_DEP_4)
	v_pk_mul_f32 v[66:67], v[106:107], v[120:121] op_sel_hi:[1,0]
	v_pk_fma_f32 v[68:69], v[84:85], v[68:69], v[118:119] neg_lo:[0,0,1] neg_hi:[0,0,1]
	v_pk_add_f32 v[100:101], v[114:115], 0 op_sel_hi:[1,0]
	v_pk_mul_f32 v[122:123], v[88:89], v[72:73] op_sel:[1,1] op_sel_hi:[0,1]
	v_mov_b32_e32 v69, v65
	v_pk_fma_f32 v[64:65], v[86:87], v[70:71], v[66:67] op_sel_hi:[1,0,1]
	v_pk_fma_f32 v[66:67], v[86:87], v[70:71], v[66:67] neg_lo:[0,0,1] neg_hi:[0,0,1]
	v_pk_add_f32 v[84:85], v[100:101], v[116:117]
	v_pk_fma_f32 v[100:101], v[88:89], v[72:73], v[122:123] op_sel_hi:[1,0,1]
	v_pk_mul_f32 v[106:107], v[108:109], v[124:125] op_sel_hi:[1,0]
	v_mov_b32_e32 v67, v65
	s_wait_loadcnt 0x2
	v_pk_mul_f32 v[102:103], v[92:93], v[76:77] op_sel:[1,1] op_sel_hi:[0,1]
	v_pk_add_f32 v[64:65], v[84:85], v[68:69]
	v_mov_b32_e32 v68, v79
	v_pk_fma_f32 v[70:71], v[88:89], v[72:73], v[122:123] neg_lo:[0,0,1] neg_hi:[0,0,1]
	v_mov_b32_e32 v71, v101
	v_pk_fma_f32 v[72:73], v[90:91], v[74:75], v[106:107] op_sel_hi:[1,0,1]
	v_pk_add_f32 v[64:65], v[64:65], v[66:67]
	v_pk_fma_f32 v[66:67], v[92:93], v[76:77], v[102:103] op_sel_hi:[1,0,1]
	v_pk_mul_f32 v[68:69], v[110:111], v[68:69] op_sel_hi:[1,0]
	v_pk_fma_f32 v[74:75], v[90:91], v[74:75], v[106:107] neg_lo:[0,0,1] neg_hi:[0,0,1]
	v_mov_b32_e32 v75, v73
	v_pk_add_f32 v[64:65], v[64:65], v[70:71]
	v_pk_fma_f32 v[72:73], v[92:93], v[76:77], v[102:103] neg_lo:[0,0,1] neg_hi:[0,0,1]
	v_mov_b32_e32 v73, v67
	v_pk_fma_f32 v[66:67], v[94:95], v[78:79], v[68:69] op_sel_hi:[1,0,1]
	s_wait_loadcnt 0x1
	v_pk_mul_f32 v[70:71], v[96:97], v[80:81] op_sel:[1,1] op_sel_hi:[0,1]
	v_pk_add_f32 v[64:65], v[64:65], v[74:75]
	v_mov_b32_e32 v66, v83
	v_pk_fma_f32 v[68:69], v[94:95], v[78:79], v[68:69] neg_lo:[0,0,1] neg_hi:[0,0,1]
	v_mov_b32_e32 v69, v67
	v_pk_fma_f32 v[74:75], v[96:97], v[80:81], v[70:71] op_sel_hi:[1,0,1]
	v_pk_add_f32 v[64:65], v[64:65], v[72:73]
	v_pk_mul_f32 v[66:67], v[112:113], v[66:67] op_sel_hi:[1,0]
	v_pk_fma_f32 v[70:71], v[96:97], v[80:81], v[70:71] neg_lo:[0,0,1] neg_hi:[0,0,1]
	s_delay_alu instid0(VALU_DEP_3) | instskip(NEXT) | instid1(VALU_DEP_3)
	v_pk_add_f32 v[64:65], v[64:65], v[68:69]
	v_pk_fma_f32 v[68:69], v[98:99], v[82:83], v[66:67] op_sel_hi:[1,0,1]
	v_mov_b32_e32 v71, v75
	v_pk_fma_f32 v[66:67], v[98:99], v[82:83], v[66:67] neg_lo:[0,0,1] neg_hi:[0,0,1]
	s_delay_alu instid0(VALU_DEP_3) | instskip(NEXT) | instid1(VALU_DEP_3)
	v_mov_b32_e32 v67, v69
	v_pk_add_f32 v[64:65], v[64:65], v[70:71]
	s_delay_alu instid0(VALU_DEP_1) | instskip(SKIP_1) | instid1(VALU_DEP_1)
	v_pk_add_f32 v[64:65], v[64:65], v[66:67]
	s_wait_loadcnt 0x0
	v_pk_add_f32 v[64:65], v[104:105], v[64:65] neg_lo:[0,1] neg_hi:[0,1]
	scratch_store_b64 off, v[64:65], off offset:160
	s_wait_xcnt 0x0
	v_cmpx_lt_u32_e32 19, v0
	s_cbranch_execz .LBB94_161
; %bb.160:
	scratch_load_b64 v[64:65], off, off offset:152
	v_mov_b64_e32 v[66:67], 0
	scratch_store_b64 off, v[66:67], off offset:152
	s_wait_loadcnt 0x0
	ds_store_b64 v1, v[64:65]
.LBB94_161:
	s_wait_xcnt 0x0
	s_or_b32 exec_lo, exec_lo, s0
	s_wait_storecnt_dscnt 0x0
	s_barrier_signal -1
	s_barrier_wait -1
	s_clause 0x6
	scratch_load_b128 v[64:67], off, off offset:160
	scratch_load_b128 v[68:71], off, off offset:176
	scratch_load_b128 v[72:75], off, off offset:192
	scratch_load_b128 v[76:79], off, off offset:208
	scratch_load_b128 v[80:83], off, off offset:224
	scratch_load_b64 v[104:105], off, off offset:240
	scratch_load_b64 v[106:107], off, off offset:152
	v_mov_b32_e32 v7, 0
	ds_load_b128 v[84:87], v7 offset:432
	ds_load_b128 v[88:91], v7 offset:448
	;; [unrolled: 1-line block ×5, first 2 shown]
	ds_load_b64 v[108:109], v7 offset:496
	s_mov_b32 s0, exec_lo
	s_wait_dscnt 0x5
	v_dual_mov_b32 v110, v87 :: v_dual_mov_b32 v111, v86
	s_wait_dscnt 0x2
	v_dual_mov_b32 v112, v91 :: v_dual_mov_b32 v117, v98
	v_dual_mov_b32 v113, v90 :: v_dual_mov_b32 v114, v95
	;; [unrolled: 1-line block ×3, first 2 shown]
	s_wait_loadcnt_dscnt 0x601
	v_dual_mul_f32 v9, v100, v65 :: v_dual_mul_f32 v11, v101, v65
	v_dual_mul_f32 v13, v103, v67 :: v_dual_mul_f32 v119, v102, v67
	s_wait_loadcnt 0x5
	v_dual_mul_f32 v121, v84, v69 :: v_dual_mul_f32 v15, v85, v69
	s_wait_loadcnt 0x4
	v_dual_mov_b32 v120, v71 :: v_dual_mov_b32 v124, v75
	v_dual_fmac_f32 v9, v101, v64 :: v_dual_fma_f32 v11, v100, v64, -v11
	v_dual_fma_f32 v118, v102, v66, -v13 :: v_dual_fmac_f32 v119, v103, v66
	s_delay_alu instid0(VALU_DEP_3) | instskip(NEXT) | instid1(VALU_DEP_3)
	v_pk_mul_f32 v[64:65], v[110:111], v[120:121] op_sel_hi:[1,0]
	v_dual_add_f32 v67, 0, v9 :: v_dual_add_f32 v66, 0, v11
	s_wait_loadcnt 0x3
	v_mov_b32_e32 v100, v79
	v_pk_mul_f32 v[122:123], v[88:89], v[72:73] op_sel:[1,1] op_sel_hi:[0,1]
	v_dual_fmac_f32 v121, v85, v68 :: v_dual_fma_f32 v120, v84, v68, -v15
	v_pk_fma_f32 v[68:69], v[86:87], v[70:71], v[64:65] op_sel_hi:[1,0,1]
	v_pk_add_f32 v[66:67], v[66:67], v[118:119]
	v_pk_fma_f32 v[64:65], v[86:87], v[70:71], v[64:65] neg_lo:[0,0,1] neg_hi:[0,0,1]
	v_pk_fma_f32 v[84:85], v[88:89], v[72:73], v[122:123] op_sel_hi:[1,0,1]
	v_pk_mul_f32 v[102:103], v[112:113], v[124:125] op_sel_hi:[1,0]
	v_mov_b32_e32 v65, v69
	v_pk_add_f32 v[66:67], v[66:67], v[120:121]
	v_pk_fma_f32 v[70:71], v[88:89], v[72:73], v[122:123] neg_lo:[0,0,1] neg_hi:[0,0,1]
	v_pk_mul_f32 v[126:127], v[92:93], v[76:77] op_sel:[1,1] op_sel_hi:[0,1]
	v_mov_b32_e32 v71, v85
	v_pk_fma_f32 v[72:73], v[90:91], v[74:75], v[102:103] op_sel_hi:[1,0,1]
	v_pk_add_f32 v[64:65], v[66:67], v[64:65]
	v_pk_fma_f32 v[74:75], v[90:91], v[74:75], v[102:103] neg_lo:[0,0,1] neg_hi:[0,0,1]
	v_pk_fma_f32 v[66:67], v[92:93], v[76:77], v[126:127] op_sel_hi:[1,0,1]
	v_pk_mul_f32 v[84:85], v[114:115], v[100:101] op_sel_hi:[1,0]
	s_wait_loadcnt 0x2
	v_dual_mov_b32 v75, v73 :: v_dual_mov_b32 v66, v83
	v_pk_add_f32 v[64:65], v[64:65], v[70:71]
	v_pk_fma_f32 v[70:71], v[92:93], v[76:77], v[126:127] neg_lo:[0,0,1] neg_hi:[0,0,1]
	v_pk_mul_f32 v[68:69], v[96:97], v[80:81] op_sel:[1,1] op_sel_hi:[0,1]
	v_pk_fma_f32 v[72:73], v[94:95], v[78:79], v[84:85] op_sel_hi:[1,0,1]
	v_mov_b32_e32 v71, v67
	v_pk_add_f32 v[64:65], v[64:65], v[74:75]
	v_pk_fma_f32 v[76:77], v[94:95], v[78:79], v[84:85] neg_lo:[0,0,1] neg_hi:[0,0,1]
	v_pk_fma_f32 v[74:75], v[96:97], v[80:81], v[68:69] op_sel_hi:[1,0,1]
	v_pk_mul_f32 v[66:67], v[116:117], v[66:67] op_sel_hi:[1,0]
	v_mov_b32_e32 v77, v73
	v_pk_add_f32 v[64:65], v[64:65], v[70:71]
	v_pk_fma_f32 v[68:69], v[96:97], v[80:81], v[68:69] neg_lo:[0,0,1] neg_hi:[0,0,1]
	s_wait_loadcnt_dscnt 0x100
	v_pk_mul_f32 v[72:73], v[108:109], v[104:105] op_sel:[1,1] op_sel_hi:[0,1]
	v_pk_fma_f32 v[70:71], v[98:99], v[82:83], v[66:67] op_sel_hi:[1,0,1]
	v_mov_b32_e32 v69, v75
	v_pk_add_f32 v[64:65], v[64:65], v[76:77]
	v_pk_fma_f32 v[66:67], v[98:99], v[82:83], v[66:67] neg_lo:[0,0,1] neg_hi:[0,0,1]
	s_delay_alu instid0(VALU_DEP_4) | instskip(SKIP_1) | instid1(VALU_DEP_4)
	v_mov_b32_e32 v67, v71
	v_pk_fma_f32 v[70:71], v[108:109], v[104:105], v[72:73] neg_lo:[0,0,1] neg_hi:[0,0,1]
	v_pk_add_f32 v[64:65], v[64:65], v[68:69]
	v_pk_fma_f32 v[68:69], v[108:109], v[104:105], v[72:73] op_sel_hi:[1,0,1]
	s_delay_alu instid0(VALU_DEP_2) | instskip(NEXT) | instid1(VALU_DEP_2)
	v_pk_add_f32 v[64:65], v[64:65], v[66:67]
	v_mov_b32_e32 v71, v69
	s_delay_alu instid0(VALU_DEP_1) | instskip(SKIP_1) | instid1(VALU_DEP_1)
	v_pk_add_f32 v[64:65], v[64:65], v[70:71]
	s_wait_loadcnt 0x0
	v_pk_add_f32 v[64:65], v[106:107], v[64:65] neg_lo:[0,1] neg_hi:[0,1]
	scratch_store_b64 off, v[64:65], off offset:152
	s_wait_xcnt 0x0
	v_cmpx_lt_u32_e32 18, v0
	s_cbranch_execz .LBB94_163
; %bb.162:
	scratch_load_b64 v[64:65], off, off offset:144
	v_mov_b64_e32 v[66:67], 0
	scratch_store_b64 off, v[66:67], off offset:144
	s_wait_loadcnt 0x0
	ds_store_b64 v1, v[64:65]
.LBB94_163:
	s_wait_xcnt 0x0
	s_or_b32 exec_lo, exec_lo, s0
	s_wait_storecnt_dscnt 0x0
	s_barrier_signal -1
	s_barrier_wait -1
	s_clause 0x6
	scratch_load_b128 v[64:67], off, off offset:152
	scratch_load_b128 v[68:71], off, off offset:168
	;; [unrolled: 1-line block ×6, first 2 shown]
	scratch_load_b64 v[112:113], off, off offset:144
	ds_load_2addr_b64 v[88:91], v7 offset0:55 offset1:56
	ds_load_2addr_b64 v[92:95], v7 offset0:57 offset1:58
	;; [unrolled: 1-line block ×6, first 2 shown]
	s_mov_b32 s0, exec_lo
	s_wait_dscnt 0x5
	v_dual_mov_b32 v114, v91 :: v_dual_mov_b32 v115, v90
	s_wait_dscnt 0x4
	v_dual_mov_b32 v116, v95 :: v_dual_mov_b32 v117, v94
	;; [unrolled: 2-line block ×4, first 2 shown]
	s_wait_loadcnt_dscnt 0x601
	v_dual_mul_f32 v7, v104, v65 :: v_dual_mul_f32 v9, v106, v67
	v_dual_mul_f32 v11, v105, v65 :: v_dual_mul_f32 v13, v107, v67
	s_wait_loadcnt 0x4
	s_delay_alu instid0(VALU_DEP_2)
	v_dual_mov_b32 v128, v75 :: v_dual_fmac_f32 v7, v105, v64
	s_wait_dscnt 0x0
	v_dual_mul_f32 v123, v108, v69 :: v_dual_mul_f32 v125, v110, v71
	v_dual_fma_f32 v11, v104, v64, -v11 :: v_dual_fmac_f32 v9, v107, v66
	v_dual_mul_f32 v15, v109, v69 :: v_dual_mul_f32 v17, v111, v71
	v_dual_fma_f32 v13, v106, v66, -v13 :: v_dual_add_f32 v7, 0, v7
	s_wait_loadcnt 0x3
	s_delay_alu instid0(VALU_DEP_3) | instskip(SKIP_3) | instid1(VALU_DEP_4)
	v_dual_add_f32 v11, 0, v11 :: v_dual_mov_b32 v66, v79
	v_pk_mul_f32 v[126:127], v[88:89], v[72:73] op_sel:[1,1] op_sel_hi:[0,1]
	v_pk_mul_f32 v[64:65], v[92:93], v[76:77] op_sel:[1,1] op_sel_hi:[0,1]
	v_dual_fmac_f32 v123, v109, v68 :: v_dual_add_f32 v69, v7, v9
	v_dual_fma_f32 v122, v108, v68, -v15 :: v_dual_add_f32 v68, v11, v13
	v_fmac_f32_e32 v125, v111, v70
	v_fma_f32 v124, v110, v70, -v17
	v_pk_fma_f32 v[70:71], v[88:89], v[72:73], v[126:127] op_sel_hi:[1,0,1]
	v_pk_mul_f32 v[104:105], v[114:115], v[128:129] op_sel_hi:[1,0]
	v_pk_add_f32 v[68:69], v[68:69], v[122:123]
	v_pk_fma_f32 v[72:73], v[88:89], v[72:73], v[126:127] neg_lo:[0,0,1] neg_hi:[0,0,1]
	v_pk_fma_f32 v[88:89], v[92:93], v[76:77], v[64:65] op_sel_hi:[1,0,1]
	v_pk_fma_f32 v[64:65], v[92:93], v[76:77], v[64:65] neg_lo:[0,0,1] neg_hi:[0,0,1]
	v_mov_b32_e32 v73, v71
	v_pk_fma_f32 v[70:71], v[90:91], v[74:75], v[104:105] op_sel_hi:[1,0,1]
	v_pk_fma_f32 v[74:75], v[90:91], v[74:75], v[104:105] neg_lo:[0,0,1] neg_hi:[0,0,1]
	v_mov_b32_e32 v65, v89
	v_pk_add_f32 v[68:69], v[68:69], v[124:125]
	v_pk_mul_f32 v[66:67], v[116:117], v[66:67] op_sel_hi:[1,0]
	s_wait_loadcnt 0x2
	v_dual_mov_b32 v75, v71 :: v_dual_mov_b32 v70, v83
	v_pk_mul_f32 v[106:107], v[96:97], v[80:81] op_sel:[1,1] op_sel_hi:[0,1]
	v_pk_add_f32 v[68:69], v[68:69], v[72:73]
	v_pk_fma_f32 v[72:73], v[94:95], v[78:79], v[66:67] op_sel_hi:[1,0,1]
	v_pk_fma_f32 v[66:67], v[94:95], v[78:79], v[66:67] neg_lo:[0,0,1] neg_hi:[0,0,1]
	v_pk_mul_f32 v[70:71], v[118:119], v[70:71] op_sel_hi:[1,0]
	s_delay_alu instid0(VALU_DEP_4) | instskip(SKIP_3) | instid1(VALU_DEP_4)
	v_pk_add_f32 v[68:69], v[68:69], v[74:75]
	v_pk_fma_f32 v[74:75], v[96:97], v[80:81], v[106:107] op_sel_hi:[1,0,1]
	v_mov_b32_e32 v67, v73
	v_pk_fma_f32 v[72:73], v[96:97], v[80:81], v[106:107] neg_lo:[0,0,1] neg_hi:[0,0,1]
	v_pk_add_f32 v[64:65], v[68:69], v[64:65]
	s_wait_loadcnt 0x1
	v_pk_mul_f32 v[68:69], v[100:101], v[84:85] op_sel:[1,1] op_sel_hi:[0,1]
	v_mov_b32_e32 v73, v75
	v_pk_fma_f32 v[74:75], v[98:99], v[82:83], v[70:71] op_sel_hi:[1,0,1]
	v_pk_fma_f32 v[70:71], v[98:99], v[82:83], v[70:71] neg_lo:[0,0,1] neg_hi:[0,0,1]
	v_pk_add_f32 v[64:65], v[64:65], v[66:67]
	v_mov_b32_e32 v66, v87
	v_pk_fma_f32 v[76:77], v[100:101], v[84:85], v[68:69] op_sel_hi:[1,0,1]
	v_mov_b32_e32 v71, v75
	v_pk_fma_f32 v[68:69], v[100:101], v[84:85], v[68:69] neg_lo:[0,0,1] neg_hi:[0,0,1]
	v_pk_add_f32 v[64:65], v[64:65], v[72:73]
	v_pk_mul_f32 v[66:67], v[120:121], v[66:67] op_sel_hi:[1,0]
	s_delay_alu instid0(VALU_DEP_2) | instskip(NEXT) | instid1(VALU_DEP_2)
	v_pk_add_f32 v[64:65], v[64:65], v[70:71]
	v_pk_fma_f32 v[70:71], v[102:103], v[86:87], v[66:67] op_sel_hi:[1,0,1]
	v_mov_b32_e32 v69, v77
	v_pk_fma_f32 v[66:67], v[102:103], v[86:87], v[66:67] neg_lo:[0,0,1] neg_hi:[0,0,1]
	s_delay_alu instid0(VALU_DEP_3) | instskip(NEXT) | instid1(VALU_DEP_3)
	v_mov_b32_e32 v67, v71
	v_pk_add_f32 v[64:65], v[64:65], v[68:69]
	s_delay_alu instid0(VALU_DEP_1) | instskip(SKIP_1) | instid1(VALU_DEP_1)
	v_pk_add_f32 v[64:65], v[64:65], v[66:67]
	s_wait_loadcnt 0x0
	v_pk_add_f32 v[64:65], v[112:113], v[64:65] neg_lo:[0,1] neg_hi:[0,1]
	scratch_store_b64 off, v[64:65], off offset:144
	s_wait_xcnt 0x0
	v_cmpx_lt_u32_e32 17, v0
	s_cbranch_execz .LBB94_165
; %bb.164:
	scratch_load_b64 v[64:65], off, off offset:136
	v_mov_b64_e32 v[66:67], 0
	scratch_store_b64 off, v[66:67], off offset:136
	s_wait_loadcnt 0x0
	ds_store_b64 v1, v[64:65]
.LBB94_165:
	s_wait_xcnt 0x0
	s_or_b32 exec_lo, exec_lo, s0
	s_wait_storecnt_dscnt 0x0
	s_barrier_signal -1
	s_barrier_wait -1
	s_clause 0x7
	scratch_load_b128 v[64:67], off, off offset:144
	scratch_load_b128 v[68:71], off, off offset:160
	;; [unrolled: 1-line block ×6, first 2 shown]
	scratch_load_b64 v[112:113], off, off offset:240
	scratch_load_b64 v[114:115], off, off offset:136
	v_mov_b32_e32 v7, 0
	ds_load_b128 v[88:91], v7 offset:432
	ds_load_b128 v[92:95], v7 offset:448
	ds_load_b128 v[96:99], v7 offset:464
	ds_load_b128 v[100:103], v7 offset:480
	ds_load_b128 v[104:107], v7 offset:400
	ds_load_b128 v[108:111], v7 offset:416
	ds_load_b64 v[116:117], v7 offset:496
	s_mov_b32 s0, exec_lo
	s_wait_dscnt 0x6
	v_dual_mov_b32 v118, v91 :: v_dual_mov_b32 v119, v90
	s_wait_dscnt 0x3
	v_dual_mov_b32 v120, v95 :: v_dual_mov_b32 v125, v102
	v_dual_mov_b32 v121, v94 :: v_dual_mov_b32 v122, v99
	v_dual_mov_b32 v123, v98 :: v_dual_mov_b32 v124, v103
	s_wait_loadcnt_dscnt 0x702
	v_dual_mul_f32 v9, v104, v65 :: v_dual_mul_f32 v15, v105, v65
	v_dual_mul_f32 v17, v107, v67 :: v_dual_mul_f32 v11, v106, v67
	s_wait_loadcnt_dscnt 0x601
	s_delay_alu instid0(VALU_DEP_2) | instskip(NEXT) | instid1(VALU_DEP_3)
	v_dual_mul_f32 v13, v108, v69 :: v_dual_fmac_f32 v9, v105, v64
	v_dual_fma_f32 v15, v104, v64, -v15 :: v_dual_mul_f32 v19, v109, v69
	v_mul_f32_e32 v21, v111, v71
	s_wait_loadcnt 0x4
	v_dual_mov_b32 v64, v79 :: v_dual_fma_f32 v17, v106, v66, -v17
	v_dual_fmac_f32 v11, v107, v66 :: v_dual_add_f32 v9, 0, v9
	v_dual_add_f32 v15, 0, v15 :: v_dual_fmac_f32 v13, v109, v68
	v_dual_mul_f32 v127, v110, v71 :: v_dual_mul_f32 v129, v88, v73
	v_dual_mul_f32 v23, v89, v73 :: v_dual_mov_b32 v128, v75
	s_delay_alu instid0(VALU_DEP_4) | instskip(NEXT) | instid1(VALU_DEP_4)
	v_dual_fma_f32 v19, v108, v68, -v19 :: v_dual_add_f32 v9, v9, v11
	v_dual_add_f32 v11, v15, v17 :: v_dual_fma_f32 v126, v110, v70, -v21
	s_delay_alu instid0(VALU_DEP_4) | instskip(NEXT) | instid1(VALU_DEP_4)
	v_fmac_f32_e32 v127, v111, v70
	v_pk_mul_f32 v[68:69], v[118:119], v[128:129] op_sel_hi:[1,0]
	s_delay_alu instid0(VALU_DEP_3)
	v_dual_add_f32 v71, v9, v13 :: v_dual_add_f32 v70, v11, v19
	v_fmac_f32_e32 v129, v89, v72
	v_pk_mul_f32 v[130:131], v[92:93], v[76:77] op_sel:[1,1] op_sel_hi:[0,1]
	s_wait_loadcnt 0x3
	v_dual_mov_b32 v104, v83 :: v_dual_fma_f32 v128, v88, v72, -v23
	v_pk_fma_f32 v[72:73], v[90:91], v[74:75], v[68:69] op_sel_hi:[1,0,1]
	v_pk_add_f32 v[70:71], v[70:71], v[126:127]
	v_pk_fma_f32 v[68:69], v[90:91], v[74:75], v[68:69] neg_lo:[0,0,1] neg_hi:[0,0,1]
	v_pk_fma_f32 v[88:89], v[92:93], v[76:77], v[130:131] op_sel_hi:[1,0,1]
	v_pk_mul_f32 v[64:65], v[120:121], v[64:65] op_sel_hi:[1,0]
	v_mov_b32_e32 v69, v73
	v_pk_add_f32 v[70:71], v[70:71], v[128:129]
	v_pk_fma_f32 v[74:75], v[92:93], v[76:77], v[130:131] neg_lo:[0,0,1] neg_hi:[0,0,1]
	v_pk_mul_f32 v[66:67], v[96:97], v[80:81] op_sel:[1,1] op_sel_hi:[0,1]
	v_mov_b32_e32 v75, v89
	v_pk_fma_f32 v[76:77], v[94:95], v[78:79], v[64:65] op_sel_hi:[1,0,1]
	v_pk_add_f32 v[68:69], v[70:71], v[68:69]
	v_pk_fma_f32 v[64:65], v[94:95], v[78:79], v[64:65] neg_lo:[0,0,1] neg_hi:[0,0,1]
	v_pk_fma_f32 v[70:71], v[96:97], v[80:81], v[66:67] op_sel_hi:[1,0,1]
	v_pk_mul_f32 v[88:89], v[122:123], v[104:105] op_sel_hi:[1,0]
	s_wait_loadcnt 0x2
	v_dual_mov_b32 v65, v77 :: v_dual_mov_b32 v70, v87
	v_pk_add_f32 v[68:69], v[68:69], v[74:75]
	v_pk_fma_f32 v[66:67], v[96:97], v[80:81], v[66:67] neg_lo:[0,0,1] neg_hi:[0,0,1]
	v_pk_mul_f32 v[72:73], v[100:101], v[84:85] op_sel:[1,1] op_sel_hi:[0,1]
	v_pk_fma_f32 v[74:75], v[98:99], v[82:83], v[88:89] op_sel_hi:[1,0,1]
	v_mov_b32_e32 v67, v71
	v_pk_add_f32 v[64:65], v[68:69], v[64:65]
	v_pk_fma_f32 v[76:77], v[98:99], v[82:83], v[88:89] neg_lo:[0,0,1] neg_hi:[0,0,1]
	v_pk_fma_f32 v[68:69], v[100:101], v[84:85], v[72:73] op_sel_hi:[1,0,1]
	v_pk_mul_f32 v[70:71], v[124:125], v[70:71] op_sel_hi:[1,0]
	v_mov_b32_e32 v77, v75
	v_pk_add_f32 v[64:65], v[64:65], v[66:67]
	v_pk_fma_f32 v[66:67], v[100:101], v[84:85], v[72:73] neg_lo:[0,0,1] neg_hi:[0,0,1]
	v_mov_b32_e32 v67, v69
	v_pk_fma_f32 v[68:69], v[102:103], v[86:87], v[70:71] op_sel_hi:[1,0,1]
	s_wait_loadcnt_dscnt 0x100
	v_pk_mul_f32 v[72:73], v[116:117], v[112:113] op_sel:[1,1] op_sel_hi:[0,1]
	v_pk_add_f32 v[64:65], v[64:65], v[76:77]
	v_pk_fma_f32 v[70:71], v[102:103], v[86:87], v[70:71] neg_lo:[0,0,1] neg_hi:[0,0,1]
	v_mov_b32_e32 v71, v69
	s_delay_alu instid0(VALU_DEP_4) | instskip(NEXT) | instid1(VALU_DEP_4)
	v_pk_fma_f32 v[68:69], v[116:117], v[112:113], v[72:73] neg_lo:[0,0,1] neg_hi:[0,0,1]
	v_pk_add_f32 v[64:65], v[64:65], v[66:67]
	v_pk_fma_f32 v[66:67], v[116:117], v[112:113], v[72:73] op_sel_hi:[1,0,1]
	s_delay_alu instid0(VALU_DEP_2) | instskip(NEXT) | instid1(VALU_DEP_2)
	v_pk_add_f32 v[64:65], v[64:65], v[70:71]
	v_mov_b32_e32 v69, v67
	s_delay_alu instid0(VALU_DEP_1) | instskip(SKIP_1) | instid1(VALU_DEP_1)
	v_pk_add_f32 v[64:65], v[64:65], v[68:69]
	s_wait_loadcnt 0x0
	v_pk_add_f32 v[64:65], v[114:115], v[64:65] neg_lo:[0,1] neg_hi:[0,1]
	scratch_store_b64 off, v[64:65], off offset:136
	s_wait_xcnt 0x0
	v_cmpx_lt_u32_e32 16, v0
	s_cbranch_execz .LBB94_167
; %bb.166:
	scratch_load_b64 v[64:65], off, off offset:128
	v_mov_b64_e32 v[66:67], 0
	scratch_store_b64 off, v[66:67], off offset:128
	s_wait_loadcnt 0x0
	ds_store_b64 v1, v[64:65]
.LBB94_167:
	s_wait_xcnt 0x0
	s_or_b32 exec_lo, exec_lo, s0
	s_wait_storecnt_dscnt 0x0
	s_barrier_signal -1
	s_barrier_wait -1
	s_clause 0x7
	scratch_load_b128 v[64:67], off, off offset:136
	scratch_load_b128 v[68:71], off, off offset:152
	;; [unrolled: 1-line block ×7, first 2 shown]
	scratch_load_b64 v[120:121], off, off offset:128
	ds_load_2addr_b64 v[92:95], v7 offset0:55 offset1:56
	ds_load_2addr_b64 v[96:99], v7 offset0:57 offset1:58
	;; [unrolled: 1-line block ×7, first 2 shown]
	s_mov_b32 s0, exec_lo
	s_wait_dscnt 0x6
	v_dual_mov_b32 v122, v95 :: v_dual_mov_b32 v123, v94
	s_wait_dscnt 0x5
	v_dual_mov_b32 v124, v99 :: v_dual_mov_b32 v125, v98
	;; [unrolled: 2-line block ×4, first 2 shown]
	s_wait_loadcnt_dscnt 0x702
	v_dual_mul_f32 v7, v108, v65 :: v_dual_mul_f32 v9, v110, v67
	v_dual_mul_f32 v15, v109, v65 :: v_dual_mul_f32 v17, v111, v67
	s_wait_loadcnt_dscnt 0x601
	v_dual_mul_f32 v11, v112, v69 :: v_dual_mul_f32 v13, v114, v71
	s_delay_alu instid0(VALU_DEP_3) | instskip(NEXT) | instid1(VALU_DEP_3)
	v_dual_fmac_f32 v7, v109, v64 :: v_dual_fmac_f32 v9, v111, v66
	v_dual_fma_f32 v15, v108, v64, -v15 :: v_dual_fma_f32 v17, v110, v66, -v17
	v_dual_mul_f32 v19, v113, v69 :: v_dual_mul_f32 v21, v115, v71
	s_wait_loadcnt 0x4
	s_delay_alu instid0(VALU_DEP_3) | instskip(NEXT) | instid1(VALU_DEP_3)
	v_dual_add_f32 v7, 0, v7 :: v_dual_mov_b32 v66, v79
	v_dual_add_f32 v15, 0, v15 :: v_dual_fmac_f32 v11, v113, v68
	s_delay_alu instid0(VALU_DEP_2) | instskip(SKIP_2) | instid1(VALU_DEP_3)
	v_dual_fma_f32 v19, v112, v68, -v19 :: v_dual_add_f32 v7, v7, v9
	s_wait_dscnt 0x0
	v_dual_mul_f32 v131, v116, v73 :: v_dual_mul_f32 v133, v118, v75
	v_dual_add_f32 v9, v15, v17 :: v_dual_fma_f32 v15, v114, v70, -v21
	v_dual_mul_f32 v23, v117, v73 :: v_dual_mul_f32 v25, v119, v75
	s_delay_alu instid0(VALU_DEP_2) | instskip(NEXT) | instid1(VALU_DEP_4)
	v_dual_fmac_f32 v13, v115, v70 :: v_dual_add_f32 v9, v9, v19
	v_dual_add_f32 v7, v7, v11 :: v_dual_fmac_f32 v131, v117, v72
	v_pk_mul_f32 v[64:65], v[92:93], v[76:77] op_sel:[1,1] op_sel_hi:[0,1]
	s_wait_loadcnt 0x3
	v_pk_mul_f32 v[68:69], v[96:97], v[80:81] op_sel:[1,1] op_sel_hi:[0,1]
	v_dual_mov_b32 v70, v83 :: v_dual_fma_f32 v130, v116, v72, -v23
	v_dual_add_f32 v73, v7, v13 :: v_dual_add_f32 v72, v9, v15
	v_fmac_f32_e32 v133, v119, v74
	v_fma_f32 v132, v118, v74, -v25
	v_pk_fma_f32 v[74:75], v[92:93], v[76:77], v[64:65] op_sel_hi:[1,0,1]
	v_pk_mul_f32 v[66:67], v[122:123], v[66:67] op_sel_hi:[1,0]
	v_pk_add_f32 v[72:73], v[72:73], v[130:131]
	v_pk_fma_f32 v[64:65], v[92:93], v[76:77], v[64:65] neg_lo:[0,0,1] neg_hi:[0,0,1]
	v_pk_fma_f32 v[76:77], v[96:97], v[80:81], v[68:69] op_sel_hi:[1,0,1]
	v_pk_fma_f32 v[68:69], v[96:97], v[80:81], v[68:69] neg_lo:[0,0,1] neg_hi:[0,0,1]
	v_mov_b32_e32 v65, v75
	v_pk_fma_f32 v[74:75], v[94:95], v[78:79], v[66:67] op_sel_hi:[1,0,1]
	v_pk_fma_f32 v[66:67], v[94:95], v[78:79], v[66:67] neg_lo:[0,0,1] neg_hi:[0,0,1]
	v_mov_b32_e32 v69, v77
	v_pk_add_f32 v[72:73], v[72:73], v[132:133]
	v_pk_mul_f32 v[70:71], v[124:125], v[70:71] op_sel_hi:[1,0]
	v_mov_b32_e32 v67, v75
	s_wait_loadcnt 0x2
	v_pk_mul_f32 v[108:109], v[100:101], v[84:85] op_sel:[1,1] op_sel_hi:[0,1]
	v_pk_add_f32 v[64:65], v[72:73], v[64:65]
	v_mov_b32_e32 v72, v87
	v_pk_fma_f32 v[74:75], v[98:99], v[82:83], v[70:71] op_sel_hi:[1,0,1]
	v_pk_fma_f32 v[70:71], v[98:99], v[82:83], v[70:71] neg_lo:[0,0,1] neg_hi:[0,0,1]
	s_delay_alu instid0(VALU_DEP_4)
	v_pk_add_f32 v[64:65], v[64:65], v[66:67]
	v_pk_fma_f32 v[66:67], v[100:101], v[84:85], v[108:109] op_sel_hi:[1,0,1]
	v_pk_mul_f32 v[72:73], v[126:127], v[72:73] op_sel_hi:[1,0]
	v_mov_b32_e32 v71, v75
	v_pk_fma_f32 v[74:75], v[100:101], v[84:85], v[108:109] neg_lo:[0,0,1] neg_hi:[0,0,1]
	v_pk_add_f32 v[64:65], v[64:65], v[68:69]
	v_mov_b32_e32 v75, v67
	v_pk_fma_f32 v[66:67], v[102:103], v[86:87], v[72:73] op_sel_hi:[1,0,1]
	s_wait_loadcnt 0x1
	v_pk_mul_f32 v[68:69], v[104:105], v[88:89] op_sel:[1,1] op_sel_hi:[0,1]
	v_mov_b32_e32 v66, v91
	v_pk_add_f32 v[64:65], v[64:65], v[70:71]
	v_pk_fma_f32 v[72:73], v[102:103], v[86:87], v[72:73] neg_lo:[0,0,1] neg_hi:[0,0,1]
	v_mov_b32_e32 v73, v67
	v_pk_fma_f32 v[70:71], v[104:105], v[88:89], v[68:69] op_sel_hi:[1,0,1]
	v_pk_mul_f32 v[66:67], v[128:129], v[66:67] op_sel_hi:[1,0]
	v_pk_add_f32 v[64:65], v[64:65], v[74:75]
	v_pk_fma_f32 v[68:69], v[104:105], v[88:89], v[68:69] neg_lo:[0,0,1] neg_hi:[0,0,1]
	s_delay_alu instid0(VALU_DEP_4) | instskip(NEXT) | instid1(VALU_DEP_4)
	v_mov_b32_e32 v69, v71
	v_pk_fma_f32 v[70:71], v[106:107], v[90:91], v[66:67] op_sel_hi:[1,0,1]
	s_delay_alu instid0(VALU_DEP_4) | instskip(SKIP_1) | instid1(VALU_DEP_3)
	v_pk_add_f32 v[64:65], v[64:65], v[72:73]
	v_pk_fma_f32 v[66:67], v[106:107], v[90:91], v[66:67] neg_lo:[0,0,1] neg_hi:[0,0,1]
	v_mov_b32_e32 v67, v71
	s_delay_alu instid0(VALU_DEP_3) | instskip(NEXT) | instid1(VALU_DEP_1)
	v_pk_add_f32 v[64:65], v[64:65], v[68:69]
	v_pk_add_f32 v[64:65], v[64:65], v[66:67]
	s_wait_loadcnt 0x0
	s_delay_alu instid0(VALU_DEP_1)
	v_pk_add_f32 v[64:65], v[120:121], v[64:65] neg_lo:[0,1] neg_hi:[0,1]
	scratch_store_b64 off, v[64:65], off offset:128
	s_wait_xcnt 0x0
	v_cmpx_lt_u32_e32 15, v0
	s_cbranch_execz .LBB94_169
; %bb.168:
	scratch_load_b64 v[64:65], off, off offset:120
	v_mov_b64_e32 v[66:67], 0
	scratch_store_b64 off, v[66:67], off offset:120
	s_wait_loadcnt 0x0
	ds_store_b64 v1, v[64:65]
.LBB94_169:
	s_wait_xcnt 0x0
	s_or_b32 exec_lo, exec_lo, s0
	s_wait_storecnt_dscnt 0x0
	s_barrier_signal -1
	s_barrier_wait -1
	s_clause 0x8
	scratch_load_b128 v[64:67], off, off offset:128
	scratch_load_b128 v[68:71], off, off offset:144
	;; [unrolled: 1-line block ×7, first 2 shown]
	scratch_load_b64 v[120:121], off, off offset:240
	scratch_load_b64 v[122:123], off, off offset:120
	v_mov_b32_e32 v7, 0
	ds_load_b128 v[92:95], v7 offset:432
	ds_load_b128 v[96:99], v7 offset:448
	;; [unrolled: 1-line block ×7, first 2 shown]
	ds_load_b64 v[124:125], v7 offset:496
	s_mov_b32 s0, exec_lo
	s_wait_dscnt 0x7
	v_dual_mov_b32 v126, v95 :: v_dual_mov_b32 v127, v94
	s_wait_dscnt 0x4
	v_dual_mov_b32 v128, v99 :: v_dual_mov_b32 v133, v106
	v_dual_mov_b32 v129, v98 :: v_dual_mov_b32 v130, v103
	;; [unrolled: 1-line block ×3, first 2 shown]
	s_wait_loadcnt_dscnt 0x803
	v_dual_mul_f32 v9, v108, v65 :: v_dual_mul_f32 v19, v109, v65
	v_dual_mul_f32 v21, v111, v67 :: v_dual_mul_f32 v11, v110, v67
	s_wait_loadcnt_dscnt 0x702
	v_mul_f32_e32 v13, v112, v69
	s_wait_loadcnt 0x5
	v_dual_mul_f32 v31, v93, v77 :: v_dual_fma_f32 v19, v108, v64, -v19
	v_dual_fmac_f32 v9, v109, v64 :: v_dual_mov_b32 v64, v79
	v_dual_mul_f32 v23, v113, v69 :: v_dual_mul_f32 v25, v115, v71
	v_dual_fmac_f32 v11, v111, v66 :: v_dual_fma_f32 v21, v110, v66, -v21
	s_delay_alu instid0(VALU_DEP_3) | instskip(SKIP_3) | instid1(VALU_DEP_3)
	v_dual_add_f32 v9, 0, v9 :: v_dual_add_f32 v19, 0, v19
	s_wait_dscnt 0x1
	v_dual_mul_f32 v15, v114, v71 :: v_dual_mul_f32 v17, v116, v73
	v_dual_fmac_f32 v13, v113, v68 :: v_dual_fma_f32 v23, v112, v68, -v23
	v_dual_add_f32 v9, v9, v11 :: v_dual_add_f32 v11, v19, v21
	v_dual_mul_f32 v27, v117, v73 :: v_dual_mul_f32 v29, v119, v75
	s_wait_loadcnt 0x4
	v_dual_mov_b32 v68, v83 :: v_dual_fma_f32 v19, v114, v70, -v25
	s_delay_alu instid0(VALU_DEP_3) | instskip(SKIP_2) | instid1(VALU_DEP_3)
	v_dual_fmac_f32 v15, v115, v70 :: v_dual_add_f32 v9, v9, v13
	v_dual_add_f32 v11, v11, v23 :: v_dual_fmac_f32 v17, v117, v72
	v_dual_mul_f32 v135, v118, v75 :: v_dual_mul_f32 v137, v92, v77
	v_dual_fma_f32 v13, v116, v72, -v27 :: v_dual_add_f32 v9, v9, v15
	s_delay_alu instid0(VALU_DEP_3) | instskip(NEXT) | instid1(VALU_DEP_3)
	v_dual_add_f32 v11, v11, v19 :: v_dual_fma_f32 v134, v118, v74, -v29
	v_fmac_f32_e32 v135, v119, v74
	v_pk_mul_f32 v[64:65], v[126:127], v[64:65] op_sel_hi:[1,0]
	s_delay_alu instid0(VALU_DEP_4) | instskip(NEXT) | instid1(VALU_DEP_4)
	v_add_f32_e32 v73, v9, v17
	v_dual_add_f32 v72, v11, v13 :: v_dual_fmac_f32 v137, v93, v76
	v_pk_mul_f32 v[66:67], v[96:97], v[80:81] op_sel:[1,1] op_sel_hi:[0,1]
	s_wait_loadcnt 0x3
	v_dual_mov_b32 v74, v87 :: v_dual_fma_f32 v136, v92, v76, -v31
	v_pk_fma_f32 v[76:77], v[94:95], v[78:79], v[64:65] op_sel_hi:[1,0,1]
	v_pk_add_f32 v[72:73], v[72:73], v[134:135]
	v_pk_fma_f32 v[64:65], v[94:95], v[78:79], v[64:65] neg_lo:[0,0,1] neg_hi:[0,0,1]
	v_pk_fma_f32 v[92:93], v[96:97], v[80:81], v[66:67] op_sel_hi:[1,0,1]
	v_pk_mul_f32 v[68:69], v[128:129], v[68:69] op_sel_hi:[1,0]
	v_mov_b32_e32 v65, v77
	v_pk_add_f32 v[72:73], v[72:73], v[136:137]
	v_pk_fma_f32 v[66:67], v[96:97], v[80:81], v[66:67] neg_lo:[0,0,1] neg_hi:[0,0,1]
	v_pk_mul_f32 v[70:71], v[100:101], v[84:85] op_sel:[1,1] op_sel_hi:[0,1]
	v_mov_b32_e32 v67, v93
	v_pk_fma_f32 v[78:79], v[98:99], v[82:83], v[68:69] op_sel_hi:[1,0,1]
	v_pk_add_f32 v[64:65], v[72:73], v[64:65]
	v_pk_fma_f32 v[68:69], v[98:99], v[82:83], v[68:69] neg_lo:[0,0,1] neg_hi:[0,0,1]
	v_pk_fma_f32 v[72:73], v[100:101], v[84:85], v[70:71] op_sel_hi:[1,0,1]
	v_pk_mul_f32 v[74:75], v[130:131], v[74:75] op_sel_hi:[1,0]
	v_mov_b32_e32 v69, v79
	v_pk_add_f32 v[64:65], v[64:65], v[66:67]
	v_pk_fma_f32 v[70:71], v[100:101], v[84:85], v[70:71] neg_lo:[0,0,1] neg_hi:[0,0,1]
	s_wait_loadcnt 0x2
	v_pk_mul_f32 v[76:77], v[104:105], v[88:89] op_sel:[1,1] op_sel_hi:[0,1]
	v_dual_mov_b32 v66, v91 :: v_dual_mov_b32 v71, v73
	v_pk_fma_f32 v[72:73], v[102:103], v[86:87], v[74:75] op_sel_hi:[1,0,1]
	v_pk_add_f32 v[64:65], v[64:65], v[68:69]
	v_pk_fma_f32 v[74:75], v[102:103], v[86:87], v[74:75] neg_lo:[0,0,1] neg_hi:[0,0,1]
	v_pk_fma_f32 v[68:69], v[104:105], v[88:89], v[76:77] op_sel_hi:[1,0,1]
	v_pk_mul_f32 v[66:67], v[132:133], v[66:67] op_sel_hi:[1,0]
	v_mov_b32_e32 v75, v73
	v_pk_add_f32 v[64:65], v[64:65], v[70:71]
	v_pk_fma_f32 v[70:71], v[104:105], v[88:89], v[76:77] neg_lo:[0,0,1] neg_hi:[0,0,1]
	v_mov_b32_e32 v71, v69
	v_pk_fma_f32 v[68:69], v[106:107], v[90:91], v[66:67] op_sel_hi:[1,0,1]
	s_wait_loadcnt_dscnt 0x100
	v_pk_mul_f32 v[72:73], v[124:125], v[120:121] op_sel:[1,1] op_sel_hi:[0,1]
	v_pk_add_f32 v[64:65], v[64:65], v[74:75]
	v_pk_fma_f32 v[66:67], v[106:107], v[90:91], v[66:67] neg_lo:[0,0,1] neg_hi:[0,0,1]
	v_mov_b32_e32 v67, v69
	s_delay_alu instid0(VALU_DEP_4) | instskip(NEXT) | instid1(VALU_DEP_4)
	v_pk_fma_f32 v[68:69], v[124:125], v[120:121], v[72:73] op_sel_hi:[1,0,1]
	v_pk_add_f32 v[64:65], v[64:65], v[70:71]
	v_pk_fma_f32 v[70:71], v[124:125], v[120:121], v[72:73] neg_lo:[0,0,1] neg_hi:[0,0,1]
	s_delay_alu instid0(VALU_DEP_3) | instskip(NEXT) | instid1(VALU_DEP_3)
	v_mov_b32_e32 v71, v69
	v_pk_add_f32 v[64:65], v[64:65], v[66:67]
	s_delay_alu instid0(VALU_DEP_1) | instskip(SKIP_1) | instid1(VALU_DEP_1)
	v_pk_add_f32 v[64:65], v[64:65], v[70:71]
	s_wait_loadcnt 0x0
	v_pk_add_f32 v[64:65], v[122:123], v[64:65] neg_lo:[0,1] neg_hi:[0,1]
	scratch_store_b64 off, v[64:65], off offset:120
	s_wait_xcnt 0x0
	v_cmpx_lt_u32_e32 14, v0
	s_cbranch_execz .LBB94_171
; %bb.170:
	scratch_load_b64 v[64:65], off, off offset:112
	v_mov_b64_e32 v[66:67], 0
	scratch_store_b64 off, v[66:67], off offset:112
	s_wait_loadcnt 0x0
	ds_store_b64 v1, v[64:65]
.LBB94_171:
	s_wait_xcnt 0x0
	s_or_b32 exec_lo, exec_lo, s0
	s_wait_storecnt_dscnt 0x0
	s_barrier_signal -1
	s_barrier_wait -1
	s_clause 0x8
	scratch_load_b128 v[64:67], off, off offset:120
	scratch_load_b128 v[68:71], off, off offset:136
	;; [unrolled: 1-line block ×8, first 2 shown]
	scratch_load_b64 v[128:129], off, off offset:112
	ds_load_2addr_b64 v[96:99], v7 offset0:55 offset1:56
	ds_load_2addr_b64 v[100:103], v7 offset0:57 offset1:58
	;; [unrolled: 1-line block ×8, first 2 shown]
	s_mov_b32 s0, exec_lo
	s_wait_dscnt 0x7
	v_dual_mov_b32 v130, v99 :: v_dual_mov_b32 v131, v98
	s_wait_dscnt 0x6
	v_dual_mov_b32 v132, v103 :: v_dual_mov_b32 v133, v102
	;; [unrolled: 2-line block ×4, first 2 shown]
	s_wait_loadcnt_dscnt 0x803
	v_dual_mul_f32 v7, v112, v65 :: v_dual_mul_f32 v9, v114, v67
	v_dual_mul_f32 v19, v113, v65 :: v_dual_mul_f32 v21, v115, v67
	s_wait_loadcnt_dscnt 0x702
	v_dual_mul_f32 v11, v116, v69 :: v_dual_mul_f32 v13, v118, v71
	s_delay_alu instid0(VALU_DEP_3) | instskip(SKIP_3) | instid1(VALU_DEP_3)
	v_dual_fmac_f32 v7, v113, v64 :: v_dual_fmac_f32 v9, v115, v66
	s_wait_loadcnt_dscnt 0x500
	v_dual_fma_f32 v19, v112, v64, -v19 :: v_dual_mul_f32 v31, v125, v77
	v_dual_mul_f32 v23, v117, v69 :: v_dual_mul_f32 v25, v119, v71
	v_dual_fma_f32 v21, v114, v66, -v21 :: v_dual_add_f32 v7, 0, v7
	s_delay_alu instid0(VALU_DEP_3) | instskip(SKIP_1) | instid1(VALU_DEP_4)
	v_dual_add_f32 v19, 0, v19 :: v_dual_fmac_f32 v11, v117, v68
	v_dual_mul_f32 v15, v120, v73 :: v_dual_mul_f32 v17, v122, v75
	v_dual_mul_f32 v33, v127, v79 :: v_dual_fma_f32 v23, v116, v68, -v23
	s_delay_alu instid0(VALU_DEP_4) | instskip(NEXT) | instid1(VALU_DEP_3)
	v_add_f32_e32 v7, v7, v9
	v_dual_add_f32 v9, v19, v21 :: v_dual_fmac_f32 v15, v121, v72
	v_dual_mul_f32 v27, v121, v73 :: v_dual_mul_f32 v29, v123, v75
	s_delay_alu instid0(VALU_DEP_2) | instskip(NEXT) | instid1(VALU_DEP_4)
	v_dual_fmac_f32 v13, v119, v70 :: v_dual_add_f32 v9, v9, v23
	v_dual_fma_f32 v19, v118, v70, -v25 :: v_dual_add_f32 v7, v7, v11
	s_wait_loadcnt 0x4
	s_delay_alu instid0(VALU_DEP_3) | instskip(SKIP_1) | instid1(VALU_DEP_3)
	v_dual_fma_f32 v11, v120, v72, -v27 :: v_dual_mov_b32 v66, v83
	v_dual_mul_f32 v139, v124, v77 :: v_dual_mul_f32 v141, v126, v79
	v_dual_add_f32 v7, v7, v13 :: v_dual_fma_f32 v13, v122, v74, -v29
	v_dual_add_f32 v9, v9, v19 :: v_dual_fmac_f32 v17, v123, v74
	v_pk_mul_f32 v[64:65], v[96:97], v[80:81] op_sel:[1,1] op_sel_hi:[0,1]
	s_delay_alu instid0(VALU_DEP_3) | instskip(SKIP_1) | instid1(VALU_DEP_3)
	v_dual_add_f32 v7, v7, v15 :: v_dual_fmac_f32 v139, v125, v76
	s_wait_loadcnt 0x3
	v_dual_add_f32 v9, v9, v11 :: v_dual_mov_b32 v70, v87
	s_delay_alu instid0(VALU_DEP_2) | instskip(NEXT) | instid1(VALU_DEP_2)
	v_dual_fma_f32 v138, v124, v76, -v31 :: v_dual_add_f32 v73, v7, v17
	v_dual_fma_f32 v140, v126, v78, -v33 :: v_dual_add_f32 v72, v9, v13
	v_fmac_f32_e32 v141, v127, v78
	v_pk_fma_f32 v[74:75], v[96:97], v[80:81], v[64:65] op_sel_hi:[1,0,1]
	v_pk_mul_f32 v[66:67], v[130:131], v[66:67] op_sel_hi:[1,0]
	v_pk_fma_f32 v[64:65], v[96:97], v[80:81], v[64:65] neg_lo:[0,0,1] neg_hi:[0,0,1]
	v_pk_add_f32 v[72:73], v[72:73], v[138:139]
	v_pk_mul_f32 v[68:69], v[100:101], v[84:85] op_sel:[1,1] op_sel_hi:[0,1]
	v_mov_b32_e32 v65, v75
	v_pk_fma_f32 v[74:75], v[98:99], v[82:83], v[66:67] op_sel_hi:[1,0,1]
	v_pk_fma_f32 v[66:67], v[98:99], v[82:83], v[66:67] neg_lo:[0,0,1] neg_hi:[0,0,1]
	v_pk_add_f32 v[72:73], v[72:73], v[140:141]
	v_pk_fma_f32 v[78:79], v[100:101], v[84:85], v[68:69] op_sel_hi:[1,0,1]
	v_pk_mul_f32 v[70:71], v[132:133], v[70:71] op_sel_hi:[1,0]
	v_mov_b32_e32 v67, v75
	s_wait_loadcnt 0x2
	v_pk_mul_f32 v[76:77], v[104:105], v[88:89] op_sel:[1,1] op_sel_hi:[0,1]
	v_pk_add_f32 v[64:65], v[72:73], v[64:65]
	v_mov_b32_e32 v72, v91
	v_pk_fma_f32 v[68:69], v[100:101], v[84:85], v[68:69] neg_lo:[0,0,1] neg_hi:[0,0,1]
	v_mov_b32_e32 v69, v79
	v_pk_fma_f32 v[74:75], v[102:103], v[86:87], v[70:71] op_sel_hi:[1,0,1]
	v_pk_add_f32 v[64:65], v[64:65], v[66:67]
	v_pk_fma_f32 v[66:67], v[104:105], v[88:89], v[76:77] op_sel_hi:[1,0,1]
	v_pk_mul_f32 v[72:73], v[134:135], v[72:73] op_sel_hi:[1,0]
	v_pk_fma_f32 v[70:71], v[102:103], v[86:87], v[70:71] neg_lo:[0,0,1] neg_hi:[0,0,1]
	v_mov_b32_e32 v71, v75
	v_pk_add_f32 v[64:65], v[64:65], v[68:69]
	v_pk_fma_f32 v[74:75], v[104:105], v[88:89], v[76:77] neg_lo:[0,0,1] neg_hi:[0,0,1]
	v_mov_b32_e32 v75, v67
	v_pk_fma_f32 v[66:67], v[106:107], v[90:91], v[72:73] op_sel_hi:[1,0,1]
	s_wait_loadcnt 0x1
	v_pk_mul_f32 v[68:69], v[108:109], v[92:93] op_sel:[1,1] op_sel_hi:[0,1]
	v_pk_add_f32 v[64:65], v[64:65], v[70:71]
	v_mov_b32_e32 v66, v95
	v_pk_fma_f32 v[72:73], v[106:107], v[90:91], v[72:73] neg_lo:[0,0,1] neg_hi:[0,0,1]
	v_mov_b32_e32 v73, v67
	v_pk_fma_f32 v[70:71], v[108:109], v[92:93], v[68:69] op_sel_hi:[1,0,1]
	v_pk_add_f32 v[64:65], v[64:65], v[74:75]
	v_pk_mul_f32 v[66:67], v[136:137], v[66:67] op_sel_hi:[1,0]
	v_pk_fma_f32 v[68:69], v[108:109], v[92:93], v[68:69] neg_lo:[0,0,1] neg_hi:[0,0,1]
	s_delay_alu instid0(VALU_DEP_4) | instskip(NEXT) | instid1(VALU_DEP_4)
	v_mov_b32_e32 v69, v71
	v_pk_add_f32 v[64:65], v[64:65], v[72:73]
	s_delay_alu instid0(VALU_DEP_4) | instskip(SKIP_1) | instid1(VALU_DEP_2)
	v_pk_fma_f32 v[70:71], v[110:111], v[94:95], v[66:67] op_sel_hi:[1,0,1]
	v_pk_fma_f32 v[66:67], v[110:111], v[94:95], v[66:67] neg_lo:[0,0,1] neg_hi:[0,0,1]
	v_mov_b32_e32 v67, v71
	s_delay_alu instid0(VALU_DEP_4) | instskip(NEXT) | instid1(VALU_DEP_1)
	v_pk_add_f32 v[64:65], v[64:65], v[68:69]
	v_pk_add_f32 v[64:65], v[64:65], v[66:67]
	s_wait_loadcnt 0x0
	s_delay_alu instid0(VALU_DEP_1)
	v_pk_add_f32 v[64:65], v[128:129], v[64:65] neg_lo:[0,1] neg_hi:[0,1]
	scratch_store_b64 off, v[64:65], off offset:112
	s_wait_xcnt 0x0
	v_cmpx_lt_u32_e32 13, v0
	s_cbranch_execz .LBB94_173
; %bb.172:
	scratch_load_b64 v[64:65], off, off offset:104
	v_mov_b64_e32 v[66:67], 0
	scratch_store_b64 off, v[66:67], off offset:104
	s_wait_loadcnt 0x0
	ds_store_b64 v1, v[64:65]
.LBB94_173:
	s_wait_xcnt 0x0
	s_or_b32 exec_lo, exec_lo, s0
	s_wait_storecnt_dscnt 0x0
	s_barrier_signal -1
	s_barrier_wait -1
	s_clause 0x9
	scratch_load_b128 v[64:67], off, off offset:112
	scratch_load_b128 v[68:71], off, off offset:128
	;; [unrolled: 1-line block ×8, first 2 shown]
	scratch_load_b64 v[128:129], off, off offset:240
	scratch_load_b64 v[130:131], off, off offset:104
	v_mov_b32_e32 v7, 0
	ds_load_b128 v[96:99], v7 offset:432
	ds_load_b128 v[100:103], v7 offset:448
	;; [unrolled: 1-line block ×8, first 2 shown]
	ds_load_b64 v[132:133], v7 offset:496
	s_mov_b32 s0, exec_lo
	s_wait_dscnt 0x8
	v_dual_mov_b32 v134, v99 :: v_dual_mov_b32 v135, v98
	s_wait_dscnt 0x5
	v_dual_mov_b32 v136, v103 :: v_dual_mov_b32 v141, v110
	v_dual_mov_b32 v137, v102 :: v_dual_mov_b32 v138, v107
	;; [unrolled: 1-line block ×3, first 2 shown]
	s_wait_loadcnt_dscnt 0x904
	v_dual_mul_f32 v9, v112, v65 :: v_dual_mul_f32 v23, v113, v65
	v_dual_mul_f32 v25, v115, v67 :: v_dual_mul_f32 v11, v114, v67
	s_wait_loadcnt_dscnt 0x803
	v_mul_f32_e32 v13, v116, v69
	s_wait_loadcnt_dscnt 0x601
	v_dual_mul_f32 v35, v125, v77 :: v_dual_fma_f32 v23, v112, v64, -v23
	v_dual_fmac_f32 v9, v113, v64 :: v_dual_mul_f32 v37, v127, v79
	v_dual_mul_f32 v27, v117, v69 :: v_dual_mul_f32 v29, v119, v71
	v_dual_fmac_f32 v11, v115, v66 :: v_dual_fma_f32 v25, v114, v66, -v25
	s_delay_alu instid0(VALU_DEP_3)
	v_dual_add_f32 v9, 0, v9 :: v_dual_add_f32 v23, 0, v23
	v_dual_mul_f32 v15, v118, v71 :: v_dual_mul_f32 v17, v120, v73
	s_wait_loadcnt 0x5
	v_dual_mul_f32 v39, v97, v81 :: v_dual_fma_f32 v27, v116, v68, -v27
	v_fmac_f32_e32 v13, v117, v68
	v_dual_add_f32 v9, v9, v11 :: v_dual_mov_b32 v64, v83
	v_add_f32_e32 v11, v23, v25
	v_dual_mul_f32 v31, v121, v73 :: v_dual_mul_f32 v33, v123, v75
	v_dual_fmac_f32 v15, v119, v70 :: v_dual_fma_f32 v23, v118, v70, -v29
	s_delay_alu instid0(VALU_DEP_3) | instskip(SKIP_1) | instid1(VALU_DEP_4)
	v_dual_add_f32 v9, v9, v13 :: v_dual_add_f32 v11, v11, v27
	v_dual_mul_f32 v19, v122, v75 :: v_dual_mul_f32 v21, v124, v77
	v_dual_fmac_f32 v17, v121, v72 :: v_dual_fma_f32 v13, v120, v72, -v31
	s_wait_loadcnt 0x4
	s_delay_alu instid0(VALU_DEP_3) | instskip(SKIP_1) | instid1(VALU_DEP_2)
	v_dual_add_f32 v9, v9, v15 :: v_dual_mov_b32 v68, v87
	v_dual_add_f32 v11, v11, v23 :: v_dual_fma_f32 v15, v122, v74, -v33
	v_dual_fmac_f32 v19, v123, v74 :: v_dual_add_f32 v9, v9, v17
	v_dual_mul_f32 v143, v126, v79 :: v_dual_mul_f32 v145, v96, v81
	s_delay_alu instid0(VALU_DEP_3) | instskip(NEXT) | instid1(VALU_DEP_3)
	v_dual_add_f32 v11, v11, v13 :: v_dual_fmac_f32 v21, v125, v76
	v_dual_fma_f32 v13, v124, v76, -v35 :: v_dual_add_f32 v9, v9, v19
	s_delay_alu instid0(VALU_DEP_3) | instskip(NEXT) | instid1(VALU_DEP_3)
	v_fmac_f32_e32 v143, v127, v78
	v_dual_add_f32 v11, v11, v15 :: v_dual_fma_f32 v142, v126, v78, -v37
	v_pk_mul_f32 v[64:65], v[134:135], v[64:65] op_sel_hi:[1,0]
	s_delay_alu instid0(VALU_DEP_4) | instskip(SKIP_1) | instid1(VALU_DEP_4)
	v_add_f32_e32 v73, v9, v21
	v_pk_mul_f32 v[66:67], v[100:101], v[84:85] op_sel:[1,1] op_sel_hi:[0,1]
	v_dual_add_f32 v72, v11, v13 :: v_dual_fmac_f32 v145, v97, v80
	s_wait_loadcnt 0x3
	v_dual_mov_b32 v74, v91 :: v_dual_fma_f32 v144, v96, v80, -v39
	v_pk_fma_f32 v[76:77], v[98:99], v[82:83], v[64:65] op_sel_hi:[1,0,1]
	s_delay_alu instid0(VALU_DEP_3)
	v_pk_add_f32 v[72:73], v[72:73], v[142:143]
	v_pk_fma_f32 v[64:65], v[98:99], v[82:83], v[64:65] neg_lo:[0,0,1] neg_hi:[0,0,1]
	v_pk_fma_f32 v[78:79], v[100:101], v[84:85], v[66:67] op_sel_hi:[1,0,1]
	v_pk_mul_f32 v[68:69], v[136:137], v[68:69] op_sel_hi:[1,0]
	v_mov_b32_e32 v65, v77
	v_pk_add_f32 v[72:73], v[72:73], v[144:145]
	v_pk_fma_f32 v[66:67], v[100:101], v[84:85], v[66:67] neg_lo:[0,0,1] neg_hi:[0,0,1]
	v_pk_mul_f32 v[70:71], v[104:105], v[88:89] op_sel:[1,1] op_sel_hi:[0,1]
	v_mov_b32_e32 v67, v79
	v_pk_fma_f32 v[78:79], v[102:103], v[86:87], v[68:69] op_sel_hi:[1,0,1]
	v_pk_add_f32 v[64:65], v[72:73], v[64:65]
	v_pk_fma_f32 v[68:69], v[102:103], v[86:87], v[68:69] neg_lo:[0,0,1] neg_hi:[0,0,1]
	v_pk_fma_f32 v[72:73], v[104:105], v[88:89], v[70:71] op_sel_hi:[1,0,1]
	v_pk_mul_f32 v[74:75], v[138:139], v[74:75] op_sel_hi:[1,0]
	v_mov_b32_e32 v69, v79
	v_pk_add_f32 v[64:65], v[64:65], v[66:67]
	v_pk_fma_f32 v[70:71], v[104:105], v[88:89], v[70:71] neg_lo:[0,0,1] neg_hi:[0,0,1]
	s_wait_loadcnt 0x2
	v_pk_mul_f32 v[76:77], v[108:109], v[92:93] op_sel:[1,1] op_sel_hi:[0,1]
	v_dual_mov_b32 v66, v95 :: v_dual_mov_b32 v71, v73
	v_pk_fma_f32 v[72:73], v[106:107], v[90:91], v[74:75] op_sel_hi:[1,0,1]
	v_pk_add_f32 v[64:65], v[64:65], v[68:69]
	v_pk_fma_f32 v[74:75], v[106:107], v[90:91], v[74:75] neg_lo:[0,0,1] neg_hi:[0,0,1]
	v_pk_fma_f32 v[68:69], v[108:109], v[92:93], v[76:77] op_sel_hi:[1,0,1]
	v_pk_mul_f32 v[66:67], v[140:141], v[66:67] op_sel_hi:[1,0]
	v_mov_b32_e32 v75, v73
	v_pk_add_f32 v[64:65], v[64:65], v[70:71]
	v_pk_fma_f32 v[70:71], v[108:109], v[92:93], v[76:77] neg_lo:[0,0,1] neg_hi:[0,0,1]
	v_mov_b32_e32 v71, v69
	v_pk_fma_f32 v[68:69], v[110:111], v[94:95], v[66:67] op_sel_hi:[1,0,1]
	s_wait_loadcnt_dscnt 0x100
	v_pk_mul_f32 v[72:73], v[132:133], v[128:129] op_sel:[1,1] op_sel_hi:[0,1]
	v_pk_add_f32 v[64:65], v[64:65], v[74:75]
	v_pk_fma_f32 v[66:67], v[110:111], v[94:95], v[66:67] neg_lo:[0,0,1] neg_hi:[0,0,1]
	v_mov_b32_e32 v67, v69
	s_delay_alu instid0(VALU_DEP_4) | instskip(NEXT) | instid1(VALU_DEP_4)
	v_pk_fma_f32 v[68:69], v[132:133], v[128:129], v[72:73] op_sel_hi:[1,0,1]
	v_pk_add_f32 v[64:65], v[64:65], v[70:71]
	v_pk_fma_f32 v[70:71], v[132:133], v[128:129], v[72:73] neg_lo:[0,0,1] neg_hi:[0,0,1]
	s_delay_alu instid0(VALU_DEP_3) | instskip(NEXT) | instid1(VALU_DEP_3)
	v_mov_b32_e32 v71, v69
	v_pk_add_f32 v[64:65], v[64:65], v[66:67]
	s_delay_alu instid0(VALU_DEP_1) | instskip(SKIP_1) | instid1(VALU_DEP_1)
	v_pk_add_f32 v[64:65], v[64:65], v[70:71]
	s_wait_loadcnt 0x0
	v_pk_add_f32 v[64:65], v[130:131], v[64:65] neg_lo:[0,1] neg_hi:[0,1]
	scratch_store_b64 off, v[64:65], off offset:104
	s_wait_xcnt 0x0
	v_cmpx_lt_u32_e32 12, v0
	s_cbranch_execz .LBB94_175
; %bb.174:
	scratch_load_b64 v[64:65], off, off offset:96
	v_mov_b64_e32 v[66:67], 0
	scratch_store_b64 off, v[66:67], off offset:96
	s_wait_loadcnt 0x0
	ds_store_b64 v1, v[64:65]
.LBB94_175:
	s_wait_xcnt 0x0
	s_or_b32 exec_lo, exec_lo, s0
	s_wait_storecnt_dscnt 0x0
	s_barrier_signal -1
	s_barrier_wait -1
	s_clause 0x9
	scratch_load_b128 v[64:67], off, off offset:104
	scratch_load_b128 v[68:71], off, off offset:120
	;; [unrolled: 1-line block ×9, first 2 shown]
	scratch_load_b64 v[136:137], off, off offset:96
	ds_load_2addr_b64 v[100:103], v7 offset0:55 offset1:56
	ds_load_2addr_b64 v[104:107], v7 offset0:57 offset1:58
	;; [unrolled: 1-line block ×9, first 2 shown]
	s_mov_b32 s0, exec_lo
	s_wait_dscnt 0x8
	v_dual_mov_b32 v138, v103 :: v_dual_mov_b32 v139, v102
	s_wait_dscnt 0x7
	v_dual_mov_b32 v140, v107 :: v_dual_mov_b32 v141, v106
	s_wait_dscnt 0x6
	v_dual_mov_b32 v142, v111 :: v_dual_mov_b32 v143, v110
	s_wait_dscnt 0x5
	v_dual_mov_b32 v144, v115 :: v_dual_mov_b32 v145, v114
	s_wait_loadcnt_dscnt 0x904
	v_dual_mul_f32 v7, v116, v65 :: v_dual_mul_f32 v9, v118, v67
	v_dual_mul_f32 v23, v117, v65 :: v_dual_mul_f32 v25, v119, v67
	s_wait_loadcnt_dscnt 0x803
	v_dual_mul_f32 v11, v120, v69 :: v_dual_mul_f32 v13, v122, v71
	s_delay_alu instid0(VALU_DEP_3) | instskip(SKIP_3) | instid1(VALU_DEP_3)
	v_dual_fmac_f32 v7, v117, v64 :: v_dual_fmac_f32 v9, v119, v66
	s_wait_loadcnt_dscnt 0x601
	v_dual_fma_f32 v23, v116, v64, -v23 :: v_dual_mul_f32 v35, v129, v77
	v_dual_mul_f32 v27, v121, v69 :: v_dual_mul_f32 v29, v123, v71
	v_dual_fma_f32 v25, v118, v66, -v25 :: v_dual_add_f32 v7, 0, v7
	s_delay_alu instid0(VALU_DEP_3) | instskip(SKIP_1) | instid1(VALU_DEP_4)
	v_dual_add_f32 v23, 0, v23 :: v_dual_fmac_f32 v11, v121, v68
	v_dual_mul_f32 v15, v124, v73 :: v_dual_mul_f32 v17, v126, v75
	v_dual_mul_f32 v37, v131, v79 :: v_dual_fma_f32 v27, v120, v68, -v27
	s_delay_alu instid0(VALU_DEP_4) | instskip(NEXT) | instid1(VALU_DEP_3)
	v_add_f32_e32 v7, v7, v9
	v_dual_add_f32 v9, v23, v25 :: v_dual_fmac_f32 v15, v125, v72
	v_dual_mul_f32 v31, v125, v73 :: v_dual_mul_f32 v33, v127, v75
	s_wait_loadcnt_dscnt 0x500
	v_dual_mul_f32 v23, v133, v81 :: v_dual_fmac_f32 v13, v123, v70
	v_dual_fma_f32 v25, v122, v70, -v29 :: v_dual_add_f32 v7, v7, v11
	s_delay_alu instid0(VALU_DEP_3) | instskip(SKIP_1) | instid1(VALU_DEP_3)
	v_dual_add_f32 v9, v9, v27 :: v_dual_fma_f32 v27, v124, v72, -v31
	v_dual_mul_f32 v19, v128, v77 :: v_dual_mul_f32 v21, v130, v79
	v_add_f32_e32 v7, v7, v13
	s_delay_alu instid0(VALU_DEP_3) | instskip(SKIP_1) | instid1(VALU_DEP_3)
	v_dual_mul_f32 v11, v135, v83 :: v_dual_add_f32 v9, v9, v25
	v_fmac_f32_e32 v17, v127, v74
	v_dual_fma_f32 v13, v126, v74, -v33 :: v_dual_add_f32 v7, v7, v15
	s_wait_loadcnt 0x4
	v_dual_mov_b32 v66, v87 :: v_dual_fmac_f32 v19, v129, v76
	v_dual_add_f32 v9, v9, v27 :: v_dual_fma_f32 v15, v128, v76, -v35
	s_delay_alu instid0(VALU_DEP_3) | instskip(SKIP_1) | instid1(VALU_DEP_3)
	v_add_f32_e32 v7, v7, v17
	v_dual_mul_f32 v147, v132, v81 :: v_dual_mul_f32 v149, v134, v83
	v_dual_add_f32 v9, v9, v13 :: v_dual_fmac_f32 v21, v131, v78
	s_delay_alu instid0(VALU_DEP_3) | instskip(SKIP_2) | instid1(VALU_DEP_3)
	v_dual_fma_f32 v13, v130, v78, -v37 :: v_dual_add_f32 v7, v7, v19
	v_pk_mul_f32 v[64:65], v[100:101], v[84:85] op_sel:[1,1] op_sel_hi:[0,1]
	s_wait_loadcnt 0x3
	v_dual_add_f32 v9, v9, v15 :: v_dual_mov_b32 v70, v91
	s_delay_alu instid0(VALU_DEP_3) | instskip(NEXT) | instid1(VALU_DEP_2)
	v_dual_fmac_f32 v147, v133, v80 :: v_dual_add_f32 v73, v7, v21
	v_dual_fma_f32 v146, v132, v80, -v23 :: v_dual_add_f32 v72, v9, v13
	v_dual_fmac_f32 v149, v135, v82 :: v_dual_fma_f32 v148, v134, v82, -v11
	v_pk_fma_f32 v[74:75], v[100:101], v[84:85], v[64:65] op_sel_hi:[1,0,1]
	v_pk_mul_f32 v[66:67], v[138:139], v[66:67] op_sel_hi:[1,0]
	s_delay_alu instid0(VALU_DEP_4)
	v_pk_add_f32 v[72:73], v[72:73], v[146:147]
	v_pk_fma_f32 v[64:65], v[100:101], v[84:85], v[64:65] neg_lo:[0,0,1] neg_hi:[0,0,1]
	v_pk_mul_f32 v[68:69], v[104:105], v[88:89] op_sel:[1,1] op_sel_hi:[0,1]
	v_mov_b32_e32 v65, v75
	v_pk_fma_f32 v[74:75], v[102:103], v[86:87], v[66:67] op_sel_hi:[1,0,1]
	v_pk_add_f32 v[72:73], v[72:73], v[148:149]
	v_pk_fma_f32 v[66:67], v[102:103], v[86:87], v[66:67] neg_lo:[0,0,1] neg_hi:[0,0,1]
	v_pk_fma_f32 v[78:79], v[104:105], v[88:89], v[68:69] op_sel_hi:[1,0,1]
	v_pk_mul_f32 v[70:71], v[140:141], v[70:71] op_sel_hi:[1,0]
	v_mov_b32_e32 v67, v75
	v_pk_add_f32 v[64:65], v[72:73], v[64:65]
	s_wait_loadcnt 0x2
	v_pk_mul_f32 v[76:77], v[108:109], v[92:93] op_sel:[1,1] op_sel_hi:[0,1]
	v_mov_b32_e32 v72, v95
	v_pk_fma_f32 v[68:69], v[104:105], v[88:89], v[68:69] neg_lo:[0,0,1] neg_hi:[0,0,1]
	v_mov_b32_e32 v69, v79
	v_pk_fma_f32 v[74:75], v[106:107], v[90:91], v[70:71] op_sel_hi:[1,0,1]
	v_pk_add_f32 v[64:65], v[64:65], v[66:67]
	v_pk_fma_f32 v[66:67], v[108:109], v[92:93], v[76:77] op_sel_hi:[1,0,1]
	v_pk_mul_f32 v[72:73], v[142:143], v[72:73] op_sel_hi:[1,0]
	v_pk_fma_f32 v[70:71], v[106:107], v[90:91], v[70:71] neg_lo:[0,0,1] neg_hi:[0,0,1]
	v_mov_b32_e32 v71, v75
	v_pk_add_f32 v[64:65], v[64:65], v[68:69]
	v_pk_fma_f32 v[74:75], v[108:109], v[92:93], v[76:77] neg_lo:[0,0,1] neg_hi:[0,0,1]
	v_mov_b32_e32 v75, v67
	v_pk_fma_f32 v[66:67], v[110:111], v[94:95], v[72:73] op_sel_hi:[1,0,1]
	s_wait_loadcnt 0x1
	v_pk_mul_f32 v[68:69], v[112:113], v[96:97] op_sel:[1,1] op_sel_hi:[0,1]
	v_pk_add_f32 v[64:65], v[64:65], v[70:71]
	v_mov_b32_e32 v66, v99
	v_pk_fma_f32 v[72:73], v[110:111], v[94:95], v[72:73] neg_lo:[0,0,1] neg_hi:[0,0,1]
	v_mov_b32_e32 v73, v67
	v_pk_fma_f32 v[70:71], v[112:113], v[96:97], v[68:69] op_sel_hi:[1,0,1]
	v_pk_add_f32 v[64:65], v[64:65], v[74:75]
	v_pk_mul_f32 v[66:67], v[144:145], v[66:67] op_sel_hi:[1,0]
	v_pk_fma_f32 v[68:69], v[112:113], v[96:97], v[68:69] neg_lo:[0,0,1] neg_hi:[0,0,1]
	s_delay_alu instid0(VALU_DEP_4) | instskip(NEXT) | instid1(VALU_DEP_4)
	v_mov_b32_e32 v69, v71
	v_pk_add_f32 v[64:65], v[64:65], v[72:73]
	s_delay_alu instid0(VALU_DEP_4) | instskip(SKIP_1) | instid1(VALU_DEP_2)
	v_pk_fma_f32 v[70:71], v[114:115], v[98:99], v[66:67] op_sel_hi:[1,0,1]
	v_pk_fma_f32 v[66:67], v[114:115], v[98:99], v[66:67] neg_lo:[0,0,1] neg_hi:[0,0,1]
	v_mov_b32_e32 v67, v71
	s_delay_alu instid0(VALU_DEP_4) | instskip(NEXT) | instid1(VALU_DEP_1)
	v_pk_add_f32 v[64:65], v[64:65], v[68:69]
	v_pk_add_f32 v[64:65], v[64:65], v[66:67]
	s_wait_loadcnt 0x0
	s_delay_alu instid0(VALU_DEP_1)
	v_pk_add_f32 v[64:65], v[136:137], v[64:65] neg_lo:[0,1] neg_hi:[0,1]
	scratch_store_b64 off, v[64:65], off offset:96
	s_wait_xcnt 0x0
	v_cmpx_lt_u32_e32 11, v0
	s_cbranch_execz .LBB94_177
; %bb.176:
	scratch_load_b64 v[64:65], off, off offset:88
	v_mov_b64_e32 v[66:67], 0
	scratch_store_b64 off, v[66:67], off offset:88
	s_wait_loadcnt 0x0
	ds_store_b64 v1, v[64:65]
.LBB94_177:
	s_wait_xcnt 0x0
	s_or_b32 exec_lo, exec_lo, s0
	s_wait_storecnt_dscnt 0x0
	s_barrier_signal -1
	s_barrier_wait -1
	s_clause 0xa
	scratch_load_b128 v[64:67], off, off offset:96
	scratch_load_b128 v[68:71], off, off offset:112
	;; [unrolled: 1-line block ×9, first 2 shown]
	scratch_load_b64 v[136:137], off, off offset:240
	scratch_load_b64 v[138:139], off, off offset:88
	v_mov_b32_e32 v7, 0
	ds_load_b128 v[100:103], v7 offset:432
	ds_load_b128 v[104:107], v7 offset:448
	ds_load_b128 v[108:111], v7 offset:464
	ds_load_b128 v[112:115], v7 offset:480
	ds_load_b128 v[116:119], v7 offset:352
	ds_load_b128 v[120:123], v7 offset:368
	ds_load_b128 v[124:127], v7 offset:384
	ds_load_b128 v[128:131], v7 offset:400
	ds_load_b128 v[132:135], v7 offset:416
	ds_load_b64 v[140:141], v7 offset:496
	s_mov_b32 s0, exec_lo
	s_wait_dscnt 0x9
	v_dual_mov_b32 v142, v103 :: v_dual_mov_b32 v143, v102
	s_wait_dscnt 0x6
	v_dual_mov_b32 v144, v107 :: v_dual_mov_b32 v149, v114
	v_dual_mov_b32 v145, v106 :: v_dual_mov_b32 v146, v111
	;; [unrolled: 1-line block ×3, first 2 shown]
	s_wait_loadcnt_dscnt 0xa05
	v_dual_mul_f32 v9, v116, v65 :: v_dual_mul_f32 v27, v117, v65
	v_dual_mul_f32 v29, v119, v67 :: v_dual_mul_f32 v11, v118, v67
	s_wait_loadcnt_dscnt 0x904
	v_mul_f32_e32 v13, v120, v69
	s_wait_loadcnt_dscnt 0x702
	v_dual_mul_f32 v39, v129, v77 :: v_dual_fma_f32 v27, v116, v64, -v27
	v_dual_fmac_f32 v9, v117, v64 :: v_dual_mul_f32 v41, v131, v79
	v_dual_mul_f32 v31, v121, v69 :: v_dual_mul_f32 v33, v123, v71
	v_dual_fmac_f32 v11, v119, v66 :: v_dual_fma_f32 v29, v118, v66, -v29
	s_delay_alu instid0(VALU_DEP_3) | instskip(SKIP_4) | instid1(VALU_DEP_3)
	v_dual_add_f32 v9, 0, v9 :: v_dual_add_f32 v27, 0, v27
	v_dual_mul_f32 v15, v122, v71 :: v_dual_mul_f32 v17, v124, v73
	s_wait_loadcnt_dscnt 0x601
	v_dual_mul_f32 v43, v133, v81 :: v_dual_fma_f32 v31, v120, v68, -v31
	v_fmac_f32_e32 v13, v121, v68
	v_dual_add_f32 v9, v9, v11 :: v_dual_fmac_f32 v15, v123, v70
	v_add_f32_e32 v11, v27, v29
	v_dual_mul_f32 v35, v125, v73 :: v_dual_mul_f32 v37, v127, v75
	v_dual_mul_f32 v27, v135, v83 :: v_dual_fma_f32 v29, v122, v70, -v33
	s_delay_alu instid0(VALU_DEP_3) | instskip(SKIP_3) | instid1(VALU_DEP_3)
	v_dual_add_f32 v9, v9, v13 :: v_dual_add_f32 v11, v11, v31
	v_dual_mul_f32 v19, v126, v75 :: v_dual_mul_f32 v21, v128, v77
	s_wait_loadcnt 0x5
	v_dual_mul_f32 v13, v101, v85 :: v_dual_fma_f32 v31, v124, v72, -v35
	v_dual_fmac_f32 v17, v125, v72 :: v_dual_add_f32 v11, v11, v29
	v_dual_add_f32 v9, v9, v15 :: v_dual_mov_b32 v64, v87
	v_dual_fmac_f32 v19, v127, v74 :: v_dual_fma_f32 v15, v126, v74, -v37
	s_delay_alu instid0(VALU_DEP_2) | instskip(SKIP_3) | instid1(VALU_DEP_3)
	v_dual_add_f32 v11, v11, v31 :: v_dual_add_f32 v9, v9, v17
	v_dual_mul_f32 v23, v130, v79 :: v_dual_mul_f32 v25, v132, v81
	v_dual_fmac_f32 v21, v129, v76 :: v_dual_fma_f32 v17, v128, v76, -v39
	s_wait_loadcnt 0x4
	v_dual_add_f32 v9, v9, v19 :: v_dual_mov_b32 v68, v91
	v_dual_add_f32 v11, v11, v15 :: v_dual_fma_f32 v15, v130, v78, -v41
	s_delay_alu instid0(VALU_DEP_2) | instskip(SKIP_1) | instid1(VALU_DEP_3)
	v_dual_fmac_f32 v23, v131, v78 :: v_dual_add_f32 v9, v9, v21
	v_dual_mul_f32 v151, v134, v83 :: v_dual_mul_f32 v153, v100, v85
	v_dual_add_f32 v11, v11, v17 :: v_dual_fmac_f32 v25, v133, v80
	s_delay_alu instid0(VALU_DEP_3) | instskip(NEXT) | instid1(VALU_DEP_3)
	v_dual_fma_f32 v17, v132, v80, -v43 :: v_dual_add_f32 v9, v9, v23
	v_fmac_f32_e32 v151, v135, v82
	s_delay_alu instid0(VALU_DEP_3) | instskip(SKIP_1) | instid1(VALU_DEP_4)
	v_dual_add_f32 v11, v11, v15 :: v_dual_fma_f32 v150, v134, v82, -v27
	v_pk_mul_f32 v[64:65], v[142:143], v[64:65] op_sel_hi:[1,0]
	v_add_f32_e32 v73, v9, v25
	v_pk_mul_f32 v[66:67], v[104:105], v[88:89] op_sel:[1,1] op_sel_hi:[0,1]
	s_delay_alu instid0(VALU_DEP_4) | instskip(SKIP_3) | instid1(VALU_DEP_3)
	v_dual_add_f32 v72, v11, v17 :: v_dual_fmac_f32 v153, v101, v84
	s_wait_loadcnt 0x3
	v_dual_mov_b32 v74, v95 :: v_dual_fma_f32 v152, v100, v84, -v13
	v_pk_fma_f32 v[76:77], v[102:103], v[86:87], v[64:65] op_sel_hi:[1,0,1]
	v_pk_add_f32 v[72:73], v[72:73], v[150:151]
	v_pk_fma_f32 v[64:65], v[102:103], v[86:87], v[64:65] neg_lo:[0,0,1] neg_hi:[0,0,1]
	v_pk_fma_f32 v[78:79], v[104:105], v[88:89], v[66:67] op_sel_hi:[1,0,1]
	v_pk_mul_f32 v[68:69], v[144:145], v[68:69] op_sel_hi:[1,0]
	v_mov_b32_e32 v65, v77
	v_pk_add_f32 v[72:73], v[72:73], v[152:153]
	v_pk_fma_f32 v[66:67], v[104:105], v[88:89], v[66:67] neg_lo:[0,0,1] neg_hi:[0,0,1]
	v_pk_mul_f32 v[70:71], v[108:109], v[92:93] op_sel:[1,1] op_sel_hi:[0,1]
	v_mov_b32_e32 v67, v79
	v_pk_fma_f32 v[78:79], v[106:107], v[90:91], v[68:69] op_sel_hi:[1,0,1]
	v_pk_add_f32 v[64:65], v[72:73], v[64:65]
	v_pk_fma_f32 v[68:69], v[106:107], v[90:91], v[68:69] neg_lo:[0,0,1] neg_hi:[0,0,1]
	v_pk_fma_f32 v[72:73], v[108:109], v[92:93], v[70:71] op_sel_hi:[1,0,1]
	v_pk_mul_f32 v[74:75], v[146:147], v[74:75] op_sel_hi:[1,0]
	v_mov_b32_e32 v69, v79
	v_pk_add_f32 v[64:65], v[64:65], v[66:67]
	v_pk_fma_f32 v[70:71], v[108:109], v[92:93], v[70:71] neg_lo:[0,0,1] neg_hi:[0,0,1]
	s_wait_loadcnt 0x2
	v_pk_mul_f32 v[76:77], v[112:113], v[96:97] op_sel:[1,1] op_sel_hi:[0,1]
	v_dual_mov_b32 v66, v99 :: v_dual_mov_b32 v71, v73
	v_pk_fma_f32 v[72:73], v[110:111], v[94:95], v[74:75] op_sel_hi:[1,0,1]
	v_pk_add_f32 v[64:65], v[64:65], v[68:69]
	v_pk_fma_f32 v[74:75], v[110:111], v[94:95], v[74:75] neg_lo:[0,0,1] neg_hi:[0,0,1]
	v_pk_fma_f32 v[68:69], v[112:113], v[96:97], v[76:77] op_sel_hi:[1,0,1]
	v_pk_mul_f32 v[66:67], v[148:149], v[66:67] op_sel_hi:[1,0]
	v_mov_b32_e32 v75, v73
	v_pk_add_f32 v[64:65], v[64:65], v[70:71]
	v_pk_fma_f32 v[70:71], v[112:113], v[96:97], v[76:77] neg_lo:[0,0,1] neg_hi:[0,0,1]
	v_mov_b32_e32 v71, v69
	v_pk_fma_f32 v[68:69], v[114:115], v[98:99], v[66:67] op_sel_hi:[1,0,1]
	s_wait_loadcnt_dscnt 0x100
	v_pk_mul_f32 v[72:73], v[140:141], v[136:137] op_sel:[1,1] op_sel_hi:[0,1]
	v_pk_add_f32 v[64:65], v[64:65], v[74:75]
	v_pk_fma_f32 v[66:67], v[114:115], v[98:99], v[66:67] neg_lo:[0,0,1] neg_hi:[0,0,1]
	v_mov_b32_e32 v67, v69
	s_delay_alu instid0(VALU_DEP_4) | instskip(NEXT) | instid1(VALU_DEP_4)
	v_pk_fma_f32 v[68:69], v[140:141], v[136:137], v[72:73] op_sel_hi:[1,0,1]
	v_pk_add_f32 v[64:65], v[64:65], v[70:71]
	v_pk_fma_f32 v[70:71], v[140:141], v[136:137], v[72:73] neg_lo:[0,0,1] neg_hi:[0,0,1]
	s_delay_alu instid0(VALU_DEP_3) | instskip(NEXT) | instid1(VALU_DEP_3)
	v_mov_b32_e32 v71, v69
	v_pk_add_f32 v[64:65], v[64:65], v[66:67]
	s_delay_alu instid0(VALU_DEP_1) | instskip(SKIP_1) | instid1(VALU_DEP_1)
	v_pk_add_f32 v[64:65], v[64:65], v[70:71]
	s_wait_loadcnt 0x0
	v_pk_add_f32 v[64:65], v[138:139], v[64:65] neg_lo:[0,1] neg_hi:[0,1]
	scratch_store_b64 off, v[64:65], off offset:88
	s_wait_xcnt 0x0
	v_cmpx_lt_u32_e32 10, v0
	s_cbranch_execz .LBB94_179
; %bb.178:
	scratch_load_b64 v[64:65], off, off offset:80
	v_mov_b64_e32 v[66:67], 0
	scratch_store_b64 off, v[66:67], off offset:80
	s_wait_loadcnt 0x0
	ds_store_b64 v1, v[64:65]
.LBB94_179:
	s_wait_xcnt 0x0
	s_or_b32 exec_lo, exec_lo, s0
	s_wait_storecnt_dscnt 0x0
	s_barrier_signal -1
	s_barrier_wait -1
	s_clause 0xa
	scratch_load_b128 v[64:67], off, off offset:88
	scratch_load_b128 v[68:71], off, off offset:104
	;; [unrolled: 1-line block ×10, first 2 shown]
	scratch_load_b64 v[144:145], off, off offset:80
	ds_load_2addr_b64 v[104:107], v7 offset0:55 offset1:56
	ds_load_2addr_b64 v[108:111], v7 offset0:57 offset1:58
	;; [unrolled: 1-line block ×10, first 2 shown]
	s_mov_b32 s0, exec_lo
	s_wait_dscnt 0x9
	v_dual_mov_b32 v146, v107 :: v_dual_mov_b32 v147, v106
	s_wait_dscnt 0x8
	v_dual_mov_b32 v148, v111 :: v_dual_mov_b32 v149, v110
	;; [unrolled: 2-line block ×4, first 2 shown]
	s_wait_loadcnt_dscnt 0xa05
	v_dual_mul_f32 v7, v120, v65 :: v_dual_mul_f32 v9, v122, v67
	v_dual_mul_f32 v27, v121, v65 :: v_dual_mul_f32 v29, v123, v67
	s_wait_loadcnt_dscnt 0x904
	v_dual_mul_f32 v11, v124, v69 :: v_dual_mul_f32 v13, v126, v71
	s_delay_alu instid0(VALU_DEP_3) | instskip(SKIP_3) | instid1(VALU_DEP_3)
	v_dual_fmac_f32 v7, v121, v64 :: v_dual_fmac_f32 v9, v123, v66
	s_wait_loadcnt_dscnt 0x702
	v_dual_fma_f32 v27, v120, v64, -v27 :: v_dual_mul_f32 v39, v133, v77
	v_dual_mul_f32 v31, v125, v69 :: v_dual_mul_f32 v33, v127, v71
	v_dual_fma_f32 v29, v122, v66, -v29 :: v_dual_add_f32 v7, 0, v7
	s_delay_alu instid0(VALU_DEP_3) | instskip(SKIP_1) | instid1(VALU_DEP_4)
	v_dual_add_f32 v27, 0, v27 :: v_dual_fmac_f32 v11, v125, v68
	v_dual_mul_f32 v15, v128, v73 :: v_dual_mul_f32 v17, v130, v75
	v_dual_mul_f32 v41, v135, v79 :: v_dual_fma_f32 v31, v124, v68, -v31
	s_delay_alu instid0(VALU_DEP_4) | instskip(NEXT) | instid1(VALU_DEP_3)
	v_add_f32_e32 v7, v7, v9
	v_dual_add_f32 v9, v27, v29 :: v_dual_fmac_f32 v15, v129, v72
	v_dual_mul_f32 v35, v129, v73 :: v_dual_mul_f32 v37, v131, v75
	s_wait_loadcnt_dscnt 0x601
	v_dual_mul_f32 v27, v137, v81 :: v_dual_fmac_f32 v13, v127, v70
	v_dual_fma_f32 v29, v126, v70, -v33 :: v_dual_add_f32 v7, v7, v11
	s_delay_alu instid0(VALU_DEP_3) | instskip(SKIP_1) | instid1(VALU_DEP_3)
	v_dual_add_f32 v9, v9, v31 :: v_dual_fma_f32 v31, v128, v72, -v35
	v_dual_mul_f32 v19, v132, v77 :: v_dual_mul_f32 v21, v134, v79
	v_add_f32_e32 v7, v7, v13
	s_delay_alu instid0(VALU_DEP_3) | instskip(SKIP_2) | instid1(VALU_DEP_3)
	v_dual_mul_f32 v11, v139, v83 :: v_dual_add_f32 v9, v9, v29
	s_wait_loadcnt_dscnt 0x500
	v_dual_mul_f32 v13, v141, v85 :: v_dual_fmac_f32 v17, v131, v74
	v_dual_fma_f32 v29, v130, v74, -v37 :: v_dual_add_f32 v7, v7, v15
	s_delay_alu instid0(VALU_DEP_3) | instskip(SKIP_1) | instid1(VALU_DEP_3)
	v_dual_add_f32 v9, v9, v31 :: v_dual_fma_f32 v31, v132, v76, -v39
	v_dual_mul_f32 v15, v143, v87 :: v_dual_fmac_f32 v19, v133, v76
	v_dual_add_f32 v7, v7, v17 :: v_dual_fma_f32 v17, v134, v78, -v41
	s_delay_alu instid0(VALU_DEP_3) | instskip(SKIP_1) | instid1(VALU_DEP_3)
	v_dual_add_f32 v9, v9, v29 :: v_dual_fmac_f32 v21, v135, v78
	v_dual_mul_f32 v23, v136, v81 :: v_dual_mul_f32 v25, v138, v83
	v_add_f32_e32 v7, v7, v19
	s_wait_loadcnt 0x4
	s_delay_alu instid0(VALU_DEP_3) | instskip(NEXT) | instid1(VALU_DEP_3)
	v_dual_add_f32 v9, v9, v31 :: v_dual_mov_b32 v66, v91
	v_fmac_f32_e32 v23, v137, v80
	s_delay_alu instid0(VALU_DEP_3) | instskip(NEXT) | instid1(VALU_DEP_3)
	v_dual_fma_f32 v19, v136, v80, -v27 :: v_dual_add_f32 v7, v7, v21
	v_dual_add_f32 v9, v9, v17 :: v_dual_fmac_f32 v25, v139, v82
	v_dual_mul_f32 v155, v140, v85 :: v_dual_mul_f32 v157, v142, v87
	s_delay_alu instid0(VALU_DEP_3) | instskip(SKIP_1) | instid1(VALU_DEP_3)
	v_dual_fma_f32 v11, v138, v82, -v11 :: v_dual_add_f32 v7, v7, v23
	s_wait_loadcnt 0x3
	v_dual_add_f32 v9, v9, v19 :: v_dual_mov_b32 v70, v95
	v_pk_mul_f32 v[64:65], v[104:105], v[88:89] op_sel:[1,1] op_sel_hi:[0,1]
	v_dual_fmac_f32 v155, v141, v84 :: v_dual_fma_f32 v154, v140, v84, -v13
	s_delay_alu instid0(VALU_DEP_3) | instskip(SKIP_1) | instid1(VALU_DEP_4)
	v_dual_add_f32 v73, v7, v25 :: v_dual_add_f32 v72, v9, v11
	v_dual_fmac_f32 v157, v143, v86 :: v_dual_fma_f32 v156, v142, v86, -v15
	v_pk_fma_f32 v[74:75], v[104:105], v[88:89], v[64:65] op_sel_hi:[1,0,1]
	v_pk_mul_f32 v[66:67], v[146:147], v[66:67] op_sel_hi:[1,0]
	s_delay_alu instid0(VALU_DEP_4)
	v_pk_add_f32 v[72:73], v[72:73], v[154:155]
	v_pk_fma_f32 v[64:65], v[104:105], v[88:89], v[64:65] neg_lo:[0,0,1] neg_hi:[0,0,1]
	v_pk_mul_f32 v[68:69], v[108:109], v[92:93] op_sel:[1,1] op_sel_hi:[0,1]
	v_mov_b32_e32 v65, v75
	v_pk_fma_f32 v[74:75], v[106:107], v[90:91], v[66:67] op_sel_hi:[1,0,1]
	v_pk_add_f32 v[72:73], v[72:73], v[156:157]
	v_pk_fma_f32 v[66:67], v[106:107], v[90:91], v[66:67] neg_lo:[0,0,1] neg_hi:[0,0,1]
	v_pk_fma_f32 v[78:79], v[108:109], v[92:93], v[68:69] op_sel_hi:[1,0,1]
	v_pk_mul_f32 v[70:71], v[148:149], v[70:71] op_sel_hi:[1,0]
	v_mov_b32_e32 v67, v75
	v_pk_add_f32 v[64:65], v[72:73], v[64:65]
	s_wait_loadcnt 0x2
	v_pk_mul_f32 v[76:77], v[112:113], v[96:97] op_sel:[1,1] op_sel_hi:[0,1]
	v_mov_b32_e32 v72, v99
	v_pk_fma_f32 v[68:69], v[108:109], v[92:93], v[68:69] neg_lo:[0,0,1] neg_hi:[0,0,1]
	v_mov_b32_e32 v69, v79
	v_pk_fma_f32 v[74:75], v[110:111], v[94:95], v[70:71] op_sel_hi:[1,0,1]
	v_pk_add_f32 v[64:65], v[64:65], v[66:67]
	v_pk_fma_f32 v[66:67], v[112:113], v[96:97], v[76:77] op_sel_hi:[1,0,1]
	v_pk_mul_f32 v[72:73], v[150:151], v[72:73] op_sel_hi:[1,0]
	v_pk_fma_f32 v[70:71], v[110:111], v[94:95], v[70:71] neg_lo:[0,0,1] neg_hi:[0,0,1]
	v_mov_b32_e32 v71, v75
	v_pk_add_f32 v[64:65], v[64:65], v[68:69]
	v_pk_fma_f32 v[74:75], v[112:113], v[96:97], v[76:77] neg_lo:[0,0,1] neg_hi:[0,0,1]
	v_mov_b32_e32 v75, v67
	v_pk_fma_f32 v[66:67], v[114:115], v[98:99], v[72:73] op_sel_hi:[1,0,1]
	s_wait_loadcnt 0x1
	v_pk_mul_f32 v[68:69], v[116:117], v[100:101] op_sel:[1,1] op_sel_hi:[0,1]
	v_pk_add_f32 v[64:65], v[64:65], v[70:71]
	v_mov_b32_e32 v66, v103
	v_pk_fma_f32 v[72:73], v[114:115], v[98:99], v[72:73] neg_lo:[0,0,1] neg_hi:[0,0,1]
	v_mov_b32_e32 v73, v67
	v_pk_fma_f32 v[70:71], v[116:117], v[100:101], v[68:69] op_sel_hi:[1,0,1]
	v_pk_add_f32 v[64:65], v[64:65], v[74:75]
	v_pk_mul_f32 v[66:67], v[152:153], v[66:67] op_sel_hi:[1,0]
	v_pk_fma_f32 v[68:69], v[116:117], v[100:101], v[68:69] neg_lo:[0,0,1] neg_hi:[0,0,1]
	s_delay_alu instid0(VALU_DEP_4) | instskip(NEXT) | instid1(VALU_DEP_4)
	v_mov_b32_e32 v69, v71
	v_pk_add_f32 v[64:65], v[64:65], v[72:73]
	s_delay_alu instid0(VALU_DEP_4) | instskip(SKIP_1) | instid1(VALU_DEP_2)
	v_pk_fma_f32 v[70:71], v[118:119], v[102:103], v[66:67] op_sel_hi:[1,0,1]
	v_pk_fma_f32 v[66:67], v[118:119], v[102:103], v[66:67] neg_lo:[0,0,1] neg_hi:[0,0,1]
	v_mov_b32_e32 v67, v71
	s_delay_alu instid0(VALU_DEP_4) | instskip(NEXT) | instid1(VALU_DEP_1)
	v_pk_add_f32 v[64:65], v[64:65], v[68:69]
	v_pk_add_f32 v[64:65], v[64:65], v[66:67]
	s_wait_loadcnt 0x0
	s_delay_alu instid0(VALU_DEP_1)
	v_pk_add_f32 v[64:65], v[144:145], v[64:65] neg_lo:[0,1] neg_hi:[0,1]
	scratch_store_b64 off, v[64:65], off offset:80
	s_wait_xcnt 0x0
	v_cmpx_lt_u32_e32 9, v0
	s_cbranch_execz .LBB94_181
; %bb.180:
	scratch_load_b64 v[64:65], off, off offset:72
	v_mov_b64_e32 v[66:67], 0
	scratch_store_b64 off, v[66:67], off offset:72
	s_wait_loadcnt 0x0
	ds_store_b64 v1, v[64:65]
.LBB94_181:
	s_wait_xcnt 0x0
	s_or_b32 exec_lo, exec_lo, s0
	s_wait_storecnt_dscnt 0x0
	s_barrier_signal -1
	s_barrier_wait -1
	s_clause 0xb
	scratch_load_b128 v[64:67], off, off offset:80
	scratch_load_b128 v[68:71], off, off offset:96
	;; [unrolled: 1-line block ×10, first 2 shown]
	scratch_load_b64 v[144:145], off, off offset:240
	scratch_load_b64 v[146:147], off, off offset:72
	v_mov_b32_e32 v7, 0
	ds_load_b128 v[104:107], v7 offset:432
	ds_load_b128 v[108:111], v7 offset:448
	;; [unrolled: 1-line block ×10, first 2 shown]
	ds_load_b64 v[148:149], v7 offset:496
	s_mov_b32 s0, exec_lo
	s_wait_dscnt 0xa
	v_dual_mov_b32 v150, v107 :: v_dual_mov_b32 v151, v106
	s_wait_dscnt 0x7
	v_dual_mov_b32 v152, v111 :: v_dual_mov_b32 v157, v118
	v_dual_mov_b32 v153, v110 :: v_dual_mov_b32 v154, v115
	v_dual_mov_b32 v155, v114 :: v_dual_mov_b32 v156, v119
	s_wait_loadcnt_dscnt 0xb06
	v_dual_mul_f32 v9, v120, v65 :: v_dual_mul_f32 v31, v121, v65
	v_dual_mul_f32 v33, v123, v67 :: v_dual_mul_f32 v11, v122, v67
	s_wait_loadcnt_dscnt 0xa05
	v_mul_f32_e32 v13, v124, v69
	s_wait_loadcnt_dscnt 0x803
	v_dual_mul_f32 v43, v133, v77 :: v_dual_fma_f32 v31, v120, v64, -v31
	v_dual_fmac_f32 v9, v121, v64 :: v_dual_mul_f32 v45, v135, v79
	v_dual_mul_f32 v35, v125, v69 :: v_dual_mul_f32 v37, v127, v71
	v_dual_fmac_f32 v11, v123, v66 :: v_dual_fma_f32 v33, v122, v66, -v33
	s_delay_alu instid0(VALU_DEP_3) | instskip(SKIP_4) | instid1(VALU_DEP_3)
	v_dual_add_f32 v9, 0, v9 :: v_dual_add_f32 v31, 0, v31
	v_dual_mul_f32 v15, v126, v71 :: v_dual_mul_f32 v17, v128, v73
	s_wait_loadcnt_dscnt 0x702
	v_dual_mul_f32 v47, v137, v81 :: v_dual_fma_f32 v35, v124, v68, -v35
	v_fmac_f32_e32 v13, v125, v68
	v_dual_add_f32 v9, v9, v11 :: v_dual_fmac_f32 v15, v127, v70
	v_add_f32_e32 v11, v31, v33
	v_dual_mul_f32 v39, v129, v73 :: v_dual_mul_f32 v41, v131, v75
	v_dual_mul_f32 v31, v139, v83 :: v_dual_fma_f32 v33, v126, v70, -v37
	s_delay_alu instid0(VALU_DEP_3) | instskip(SKIP_3) | instid1(VALU_DEP_3)
	v_dual_add_f32 v9, v9, v13 :: v_dual_add_f32 v11, v11, v35
	v_dual_mul_f32 v19, v130, v75 :: v_dual_mul_f32 v21, v132, v77
	s_wait_loadcnt_dscnt 0x601
	v_dual_mul_f32 v13, v141, v85 :: v_dual_fma_f32 v35, v128, v72, -v39
	v_dual_fmac_f32 v17, v129, v72 :: v_dual_add_f32 v11, v11, v33
	s_delay_alu instid0(VALU_DEP_3) | instskip(SKIP_1) | instid1(VALU_DEP_2)
	v_dual_add_f32 v9, v9, v15 :: v_dual_fmac_f32 v19, v131, v74
	v_dual_mul_f32 v15, v143, v87 :: v_dual_fma_f32 v33, v130, v74, -v41
	v_dual_add_f32 v11, v11, v35 :: v_dual_add_f32 v9, v9, v17
	v_dual_mul_f32 v23, v134, v79 :: v_dual_mul_f32 v25, v136, v81
	s_wait_loadcnt 0x5
	v_dual_mul_f32 v17, v105, v89 :: v_dual_fma_f32 v35, v132, v76, -v43
	s_delay_alu instid0(VALU_DEP_3) | instskip(SKIP_2) | instid1(VALU_DEP_2)
	v_dual_fmac_f32 v21, v133, v76 :: v_dual_add_f32 v11, v11, v33
	v_dual_add_f32 v9, v9, v19 :: v_dual_mov_b32 v64, v91
	v_dual_fmac_f32 v23, v135, v78 :: v_dual_fma_f32 v19, v134, v78, -v45
	v_dual_add_f32 v11, v11, v35 :: v_dual_add_f32 v9, v9, v21
	v_dual_mul_f32 v27, v138, v83 :: v_dual_mul_f32 v29, v140, v85
	v_dual_fmac_f32 v25, v137, v80 :: v_dual_fma_f32 v21, v136, v80, -v47
	s_wait_loadcnt 0x4
	s_delay_alu instid0(VALU_DEP_3) | instskip(SKIP_1) | instid1(VALU_DEP_2)
	v_dual_add_f32 v9, v9, v23 :: v_dual_mov_b32 v68, v95
	v_dual_add_f32 v11, v11, v19 :: v_dual_fma_f32 v19, v138, v82, -v31
	v_dual_fmac_f32 v27, v139, v82 :: v_dual_add_f32 v9, v9, v25
	v_dual_mul_f32 v159, v142, v87 :: v_dual_mul_f32 v161, v104, v89
	s_delay_alu instid0(VALU_DEP_3) | instskip(NEXT) | instid1(VALU_DEP_3)
	v_dual_add_f32 v11, v11, v21 :: v_dual_fmac_f32 v29, v141, v84
	v_dual_fma_f32 v13, v140, v84, -v13 :: v_dual_add_f32 v9, v9, v27
	s_delay_alu instid0(VALU_DEP_3) | instskip(NEXT) | instid1(VALU_DEP_3)
	v_fmac_f32_e32 v159, v143, v86
	v_dual_add_f32 v11, v11, v19 :: v_dual_fma_f32 v158, v142, v86, -v15
	v_pk_mul_f32 v[64:65], v[150:151], v[64:65] op_sel_hi:[1,0]
	s_delay_alu instid0(VALU_DEP_4) | instskip(SKIP_1) | instid1(VALU_DEP_4)
	v_add_f32_e32 v73, v9, v29
	v_pk_mul_f32 v[66:67], v[108:109], v[92:93] op_sel:[1,1] op_sel_hi:[0,1]
	v_dual_add_f32 v72, v11, v13 :: v_dual_fmac_f32 v161, v105, v88
	s_wait_loadcnt 0x3
	v_dual_mov_b32 v74, v99 :: v_dual_fma_f32 v160, v104, v88, -v17
	v_pk_fma_f32 v[76:77], v[106:107], v[90:91], v[64:65] op_sel_hi:[1,0,1]
	s_delay_alu instid0(VALU_DEP_3)
	v_pk_add_f32 v[72:73], v[72:73], v[158:159]
	v_pk_fma_f32 v[64:65], v[106:107], v[90:91], v[64:65] neg_lo:[0,0,1] neg_hi:[0,0,1]
	v_pk_fma_f32 v[78:79], v[108:109], v[92:93], v[66:67] op_sel_hi:[1,0,1]
	v_pk_mul_f32 v[68:69], v[152:153], v[68:69] op_sel_hi:[1,0]
	v_mov_b32_e32 v65, v77
	v_pk_add_f32 v[72:73], v[72:73], v[160:161]
	v_pk_fma_f32 v[66:67], v[108:109], v[92:93], v[66:67] neg_lo:[0,0,1] neg_hi:[0,0,1]
	v_pk_mul_f32 v[70:71], v[112:113], v[96:97] op_sel:[1,1] op_sel_hi:[0,1]
	v_mov_b32_e32 v67, v79
	v_pk_fma_f32 v[78:79], v[110:111], v[94:95], v[68:69] op_sel_hi:[1,0,1]
	v_pk_add_f32 v[64:65], v[72:73], v[64:65]
	v_pk_fma_f32 v[68:69], v[110:111], v[94:95], v[68:69] neg_lo:[0,0,1] neg_hi:[0,0,1]
	v_pk_fma_f32 v[72:73], v[112:113], v[96:97], v[70:71] op_sel_hi:[1,0,1]
	v_pk_mul_f32 v[74:75], v[154:155], v[74:75] op_sel_hi:[1,0]
	v_mov_b32_e32 v69, v79
	v_pk_add_f32 v[64:65], v[64:65], v[66:67]
	v_pk_fma_f32 v[70:71], v[112:113], v[96:97], v[70:71] neg_lo:[0,0,1] neg_hi:[0,0,1]
	s_wait_loadcnt 0x2
	v_pk_mul_f32 v[76:77], v[116:117], v[100:101] op_sel:[1,1] op_sel_hi:[0,1]
	v_dual_mov_b32 v66, v103 :: v_dual_mov_b32 v71, v73
	v_pk_fma_f32 v[72:73], v[114:115], v[98:99], v[74:75] op_sel_hi:[1,0,1]
	v_pk_add_f32 v[64:65], v[64:65], v[68:69]
	v_pk_fma_f32 v[74:75], v[114:115], v[98:99], v[74:75] neg_lo:[0,0,1] neg_hi:[0,0,1]
	v_pk_fma_f32 v[68:69], v[116:117], v[100:101], v[76:77] op_sel_hi:[1,0,1]
	v_pk_mul_f32 v[66:67], v[156:157], v[66:67] op_sel_hi:[1,0]
	v_mov_b32_e32 v75, v73
	v_pk_add_f32 v[64:65], v[64:65], v[70:71]
	v_pk_fma_f32 v[70:71], v[116:117], v[100:101], v[76:77] neg_lo:[0,0,1] neg_hi:[0,0,1]
	v_mov_b32_e32 v71, v69
	v_pk_fma_f32 v[68:69], v[118:119], v[102:103], v[66:67] op_sel_hi:[1,0,1]
	s_wait_loadcnt_dscnt 0x100
	v_pk_mul_f32 v[72:73], v[148:149], v[144:145] op_sel:[1,1] op_sel_hi:[0,1]
	v_pk_add_f32 v[64:65], v[64:65], v[74:75]
	v_pk_fma_f32 v[66:67], v[118:119], v[102:103], v[66:67] neg_lo:[0,0,1] neg_hi:[0,0,1]
	v_mov_b32_e32 v67, v69
	s_delay_alu instid0(VALU_DEP_4) | instskip(NEXT) | instid1(VALU_DEP_4)
	v_pk_fma_f32 v[68:69], v[148:149], v[144:145], v[72:73] op_sel_hi:[1,0,1]
	v_pk_add_f32 v[64:65], v[64:65], v[70:71]
	v_pk_fma_f32 v[70:71], v[148:149], v[144:145], v[72:73] neg_lo:[0,0,1] neg_hi:[0,0,1]
	s_delay_alu instid0(VALU_DEP_3) | instskip(NEXT) | instid1(VALU_DEP_3)
	v_mov_b32_e32 v71, v69
	v_pk_add_f32 v[64:65], v[64:65], v[66:67]
	s_delay_alu instid0(VALU_DEP_1) | instskip(SKIP_1) | instid1(VALU_DEP_1)
	v_pk_add_f32 v[64:65], v[64:65], v[70:71]
	s_wait_loadcnt 0x0
	v_pk_add_f32 v[64:65], v[146:147], v[64:65] neg_lo:[0,1] neg_hi:[0,1]
	scratch_store_b64 off, v[64:65], off offset:72
	s_wait_xcnt 0x0
	v_cmpx_lt_u32_e32 8, v0
	s_cbranch_execz .LBB94_183
; %bb.182:
	scratch_load_b64 v[64:65], off, off offset:64
	v_mov_b64_e32 v[66:67], 0
	scratch_store_b64 off, v[66:67], off offset:64
	s_wait_loadcnt 0x0
	ds_store_b64 v1, v[64:65]
.LBB94_183:
	s_wait_xcnt 0x0
	s_or_b32 exec_lo, exec_lo, s0
	s_wait_storecnt_dscnt 0x0
	s_barrier_signal -1
	s_barrier_wait -1
	s_clause 0xb
	scratch_load_b128 v[64:67], off, off offset:72
	scratch_load_b128 v[68:71], off, off offset:88
	;; [unrolled: 1-line block ×11, first 2 shown]
	scratch_load_b64 v[152:153], off, off offset:64
	ds_load_2addr_b64 v[108:111], v7 offset0:55 offset1:56
	ds_load_2addr_b64 v[112:115], v7 offset0:57 offset1:58
	;; [unrolled: 1-line block ×11, first 2 shown]
	s_mov_b32 s0, exec_lo
	s_wait_dscnt 0xa
	v_dual_mov_b32 v154, v111 :: v_dual_mov_b32 v155, v110
	s_wait_dscnt 0x9
	v_dual_mov_b32 v156, v115 :: v_dual_mov_b32 v157, v114
	;; [unrolled: 2-line block ×4, first 2 shown]
	s_wait_loadcnt_dscnt 0xb06
	v_dual_mul_f32 v7, v124, v65 :: v_dual_mul_f32 v9, v126, v67
	v_dual_mul_f32 v31, v125, v65 :: v_dual_mul_f32 v33, v127, v67
	s_wait_loadcnt_dscnt 0xa05
	v_dual_mul_f32 v11, v128, v69 :: v_dual_mul_f32 v13, v130, v71
	s_delay_alu instid0(VALU_DEP_3) | instskip(SKIP_3) | instid1(VALU_DEP_3)
	v_dual_fmac_f32 v7, v125, v64 :: v_dual_fmac_f32 v9, v127, v66
	s_wait_loadcnt_dscnt 0x803
	v_dual_fma_f32 v31, v124, v64, -v31 :: v_dual_mul_f32 v43, v137, v77
	v_dual_mul_f32 v35, v129, v69 :: v_dual_mul_f32 v37, v131, v71
	v_dual_fma_f32 v33, v126, v66, -v33 :: v_dual_add_f32 v7, 0, v7
	s_delay_alu instid0(VALU_DEP_3) | instskip(SKIP_1) | instid1(VALU_DEP_4)
	v_dual_add_f32 v31, 0, v31 :: v_dual_fmac_f32 v11, v129, v68
	v_dual_mul_f32 v15, v132, v73 :: v_dual_mul_f32 v17, v134, v75
	v_dual_mul_f32 v45, v139, v79 :: v_dual_fma_f32 v35, v128, v68, -v35
	s_delay_alu instid0(VALU_DEP_4) | instskip(NEXT) | instid1(VALU_DEP_3)
	v_add_f32_e32 v7, v7, v9
	v_dual_add_f32 v9, v31, v33 :: v_dual_fmac_f32 v15, v133, v72
	v_dual_mul_f32 v39, v133, v73 :: v_dual_mul_f32 v41, v135, v75
	s_wait_loadcnt_dscnt 0x702
	v_dual_mul_f32 v31, v141, v81 :: v_dual_fmac_f32 v13, v131, v70
	v_dual_fma_f32 v33, v130, v70, -v37 :: v_dual_add_f32 v7, v7, v11
	s_delay_alu instid0(VALU_DEP_3) | instskip(SKIP_1) | instid1(VALU_DEP_3)
	v_dual_add_f32 v9, v9, v35 :: v_dual_fma_f32 v35, v132, v72, -v39
	v_dual_mul_f32 v19, v136, v77 :: v_dual_mul_f32 v21, v138, v79
	v_add_f32_e32 v7, v7, v13
	s_delay_alu instid0(VALU_DEP_3) | instskip(SKIP_2) | instid1(VALU_DEP_3)
	v_dual_mul_f32 v11, v143, v83 :: v_dual_add_f32 v9, v9, v33
	s_wait_loadcnt_dscnt 0x601
	v_dual_mul_f32 v13, v145, v85 :: v_dual_fmac_f32 v17, v135, v74
	v_dual_fma_f32 v33, v134, v74, -v41 :: v_dual_add_f32 v7, v7, v15
	s_delay_alu instid0(VALU_DEP_3) | instskip(SKIP_1) | instid1(VALU_DEP_3)
	v_dual_add_f32 v9, v9, v35 :: v_dual_fma_f32 v35, v136, v76, -v43
	v_dual_mul_f32 v15, v147, v87 :: v_dual_fmac_f32 v19, v137, v76
	v_add_f32_e32 v7, v7, v17
	s_delay_alu instid0(VALU_DEP_3)
	v_dual_add_f32 v9, v9, v33 :: v_dual_fmac_f32 v21, v139, v78
	v_dual_mul_f32 v23, v140, v81 :: v_dual_mul_f32 v25, v142, v83
	s_wait_loadcnt_dscnt 0x500
	v_dual_fma_f32 v33, v138, v78, -v45 :: v_dual_mul_f32 v17, v149, v89
	v_add_f32_e32 v7, v7, v19
	v_dual_add_f32 v9, v9, v35 :: v_dual_fma_f32 v31, v140, v80, -v31
	v_dual_mul_f32 v19, v151, v91 :: v_dual_fmac_f32 v23, v141, v80
	s_delay_alu instid0(VALU_DEP_3) | instskip(NEXT) | instid1(VALU_DEP_3)
	v_dual_add_f32 v7, v7, v21 :: v_dual_fma_f32 v11, v142, v82, -v11
	v_dual_add_f32 v9, v9, v33 :: v_dual_fmac_f32 v25, v143, v82
	v_dual_mul_f32 v27, v144, v85 :: v_dual_mul_f32 v29, v146, v87
	s_delay_alu instid0(VALU_DEP_3) | instskip(SKIP_1) | instid1(VALU_DEP_3)
	v_add_f32_e32 v7, v7, v23
	s_wait_loadcnt 0x4
	v_dual_add_f32 v9, v9, v31 :: v_dual_mov_b32 v66, v95
	s_delay_alu instid0(VALU_DEP_3) | instskip(NEXT) | instid1(VALU_DEP_2)
	v_dual_fmac_f32 v27, v145, v84 :: v_dual_fma_f32 v13, v144, v84, -v13
	v_dual_add_f32 v7, v7, v25 :: v_dual_add_f32 v9, v9, v11
	v_dual_fmac_f32 v29, v147, v86 :: v_dual_mul_f32 v163, v148, v89
	v_mul_f32_e32 v165, v150, v91
	s_delay_alu instid0(VALU_DEP_3) | instskip(SKIP_4) | instid1(VALU_DEP_3)
	v_dual_fma_f32 v11, v146, v86, -v15 :: v_dual_add_f32 v7, v7, v27
	s_wait_loadcnt 0x3
	v_dual_add_f32 v9, v9, v13 :: v_dual_mov_b32 v70, v99
	v_pk_mul_f32 v[64:65], v[108:109], v[92:93] op_sel:[1,1] op_sel_hi:[0,1]
	v_dual_fmac_f32 v163, v149, v88 :: v_dual_fma_f32 v162, v148, v88, -v17
	v_dual_add_f32 v73, v7, v29 :: v_dual_add_f32 v72, v9, v11
	v_dual_fmac_f32 v165, v151, v90 :: v_dual_fma_f32 v164, v150, v90, -v19
	s_delay_alu instid0(VALU_DEP_4) | instskip(SKIP_1) | instid1(VALU_DEP_4)
	v_pk_fma_f32 v[74:75], v[108:109], v[92:93], v[64:65] op_sel_hi:[1,0,1]
	v_pk_mul_f32 v[66:67], v[154:155], v[66:67] op_sel_hi:[1,0]
	v_pk_add_f32 v[72:73], v[72:73], v[162:163]
	v_pk_fma_f32 v[64:65], v[108:109], v[92:93], v[64:65] neg_lo:[0,0,1] neg_hi:[0,0,1]
	v_pk_mul_f32 v[68:69], v[112:113], v[96:97] op_sel:[1,1] op_sel_hi:[0,1]
	v_mov_b32_e32 v65, v75
	v_pk_fma_f32 v[74:75], v[110:111], v[94:95], v[66:67] op_sel_hi:[1,0,1]
	v_pk_add_f32 v[72:73], v[72:73], v[164:165]
	v_pk_fma_f32 v[66:67], v[110:111], v[94:95], v[66:67] neg_lo:[0,0,1] neg_hi:[0,0,1]
	v_pk_fma_f32 v[78:79], v[112:113], v[96:97], v[68:69] op_sel_hi:[1,0,1]
	v_pk_mul_f32 v[70:71], v[156:157], v[70:71] op_sel_hi:[1,0]
	v_mov_b32_e32 v67, v75
	v_pk_add_f32 v[64:65], v[72:73], v[64:65]
	s_wait_loadcnt 0x2
	v_pk_mul_f32 v[76:77], v[116:117], v[100:101] op_sel:[1,1] op_sel_hi:[0,1]
	v_mov_b32_e32 v72, v103
	v_pk_fma_f32 v[68:69], v[112:113], v[96:97], v[68:69] neg_lo:[0,0,1] neg_hi:[0,0,1]
	v_mov_b32_e32 v69, v79
	v_pk_fma_f32 v[74:75], v[114:115], v[98:99], v[70:71] op_sel_hi:[1,0,1]
	v_pk_add_f32 v[64:65], v[64:65], v[66:67]
	v_pk_fma_f32 v[66:67], v[116:117], v[100:101], v[76:77] op_sel_hi:[1,0,1]
	v_pk_mul_f32 v[72:73], v[158:159], v[72:73] op_sel_hi:[1,0]
	v_pk_fma_f32 v[70:71], v[114:115], v[98:99], v[70:71] neg_lo:[0,0,1] neg_hi:[0,0,1]
	v_mov_b32_e32 v71, v75
	v_pk_add_f32 v[64:65], v[64:65], v[68:69]
	v_pk_fma_f32 v[74:75], v[116:117], v[100:101], v[76:77] neg_lo:[0,0,1] neg_hi:[0,0,1]
	v_mov_b32_e32 v75, v67
	v_pk_fma_f32 v[66:67], v[118:119], v[102:103], v[72:73] op_sel_hi:[1,0,1]
	s_wait_loadcnt 0x1
	v_pk_mul_f32 v[68:69], v[120:121], v[104:105] op_sel:[1,1] op_sel_hi:[0,1]
	v_pk_add_f32 v[64:65], v[64:65], v[70:71]
	v_mov_b32_e32 v66, v107
	v_pk_fma_f32 v[72:73], v[118:119], v[102:103], v[72:73] neg_lo:[0,0,1] neg_hi:[0,0,1]
	v_mov_b32_e32 v73, v67
	v_pk_fma_f32 v[70:71], v[120:121], v[104:105], v[68:69] op_sel_hi:[1,0,1]
	v_pk_add_f32 v[64:65], v[64:65], v[74:75]
	v_pk_mul_f32 v[66:67], v[160:161], v[66:67] op_sel_hi:[1,0]
	v_pk_fma_f32 v[68:69], v[120:121], v[104:105], v[68:69] neg_lo:[0,0,1] neg_hi:[0,0,1]
	s_delay_alu instid0(VALU_DEP_4) | instskip(NEXT) | instid1(VALU_DEP_4)
	v_mov_b32_e32 v69, v71
	v_pk_add_f32 v[64:65], v[64:65], v[72:73]
	s_delay_alu instid0(VALU_DEP_4) | instskip(SKIP_1) | instid1(VALU_DEP_2)
	v_pk_fma_f32 v[70:71], v[122:123], v[106:107], v[66:67] op_sel_hi:[1,0,1]
	v_pk_fma_f32 v[66:67], v[122:123], v[106:107], v[66:67] neg_lo:[0,0,1] neg_hi:[0,0,1]
	v_mov_b32_e32 v67, v71
	s_delay_alu instid0(VALU_DEP_4) | instskip(NEXT) | instid1(VALU_DEP_1)
	v_pk_add_f32 v[64:65], v[64:65], v[68:69]
	v_pk_add_f32 v[64:65], v[64:65], v[66:67]
	s_wait_loadcnt 0x0
	s_delay_alu instid0(VALU_DEP_1)
	v_pk_add_f32 v[64:65], v[152:153], v[64:65] neg_lo:[0,1] neg_hi:[0,1]
	scratch_store_b64 off, v[64:65], off offset:64
	s_wait_xcnt 0x0
	v_cmpx_lt_u32_e32 7, v0
	s_cbranch_execz .LBB94_185
; %bb.184:
	scratch_load_b64 v[64:65], off, off offset:56
	v_mov_b64_e32 v[66:67], 0
	scratch_store_b64 off, v[66:67], off offset:56
	s_wait_loadcnt 0x0
	ds_store_b64 v1, v[64:65]
.LBB94_185:
	s_wait_xcnt 0x0
	s_or_b32 exec_lo, exec_lo, s0
	s_wait_storecnt_dscnt 0x0
	s_barrier_signal -1
	s_barrier_wait -1
	s_clause 0xc
	scratch_load_b128 v[64:67], off, off offset:64
	scratch_load_b128 v[68:71], off, off offset:80
	;; [unrolled: 1-line block ×11, first 2 shown]
	scratch_load_b64 v[152:153], off, off offset:240
	scratch_load_b64 v[154:155], off, off offset:56
	v_mov_b32_e32 v7, 0
	ds_load_b128 v[108:111], v7 offset:432
	ds_load_b128 v[112:115], v7 offset:448
	;; [unrolled: 1-line block ×11, first 2 shown]
	ds_load_b64 v[156:157], v7 offset:496
	s_mov_b32 s0, exec_lo
	s_wait_dscnt 0xb
	v_dual_mov_b32 v158, v111 :: v_dual_mov_b32 v159, v110
	s_wait_dscnt 0x8
	v_dual_mov_b32 v160, v115 :: v_dual_mov_b32 v165, v122
	v_dual_mov_b32 v161, v114 :: v_dual_mov_b32 v162, v119
	;; [unrolled: 1-line block ×3, first 2 shown]
	s_wait_loadcnt_dscnt 0xc07
	v_dual_mul_f32 v9, v124, v65 :: v_dual_mul_f32 v35, v125, v65
	v_dual_mul_f32 v37, v127, v67 :: v_dual_mul_f32 v11, v126, v67
	s_wait_loadcnt_dscnt 0xb06
	v_mul_f32_e32 v13, v128, v69
	s_wait_loadcnt_dscnt 0x904
	v_dual_mul_f32 v47, v137, v77 :: v_dual_fma_f32 v35, v124, v64, -v35
	v_dual_fmac_f32 v9, v125, v64 :: v_dual_mul_f32 v49, v139, v79
	v_dual_mul_f32 v39, v129, v69 :: v_dual_mul_f32 v41, v131, v71
	v_dual_fmac_f32 v11, v127, v66 :: v_dual_fma_f32 v37, v126, v66, -v37
	s_delay_alu instid0(VALU_DEP_3) | instskip(SKIP_4) | instid1(VALU_DEP_3)
	v_dual_add_f32 v9, 0, v9 :: v_dual_add_f32 v35, 0, v35
	v_dual_mul_f32 v15, v130, v71 :: v_dual_mul_f32 v17, v132, v73
	s_wait_loadcnt_dscnt 0x803
	v_dual_mul_f32 v51, v141, v81 :: v_dual_fma_f32 v39, v128, v68, -v39
	v_fmac_f32_e32 v13, v129, v68
	v_dual_add_f32 v9, v9, v11 :: v_dual_fmac_f32 v15, v131, v70
	v_add_f32_e32 v11, v35, v37
	v_dual_mul_f32 v43, v133, v73 :: v_dual_mul_f32 v45, v135, v75
	v_dual_mul_f32 v35, v143, v83 :: v_dual_fma_f32 v37, v130, v70, -v41
	s_delay_alu instid0(VALU_DEP_3) | instskip(SKIP_3) | instid1(VALU_DEP_3)
	v_dual_add_f32 v9, v9, v13 :: v_dual_add_f32 v11, v11, v39
	v_dual_mul_f32 v19, v134, v75 :: v_dual_mul_f32 v21, v136, v77
	s_wait_loadcnt_dscnt 0x701
	v_dual_mul_f32 v13, v149, v85 :: v_dual_fma_f32 v39, v132, v72, -v43
	v_dual_fmac_f32 v17, v133, v72 :: v_dual_add_f32 v11, v11, v37
	s_delay_alu instid0(VALU_DEP_3) | instskip(SKIP_1) | instid1(VALU_DEP_2)
	v_dual_add_f32 v9, v9, v15 :: v_dual_fmac_f32 v19, v135, v74
	v_dual_mul_f32 v15, v151, v87 :: v_dual_fma_f32 v37, v134, v74, -v45
	v_dual_add_f32 v11, v11, v39 :: v_dual_add_f32 v9, v9, v17
	v_dual_mul_f32 v23, v138, v79 :: v_dual_mul_f32 v25, v140, v81
	s_wait_loadcnt 0x6
	v_dual_mul_f32 v17, v145, v89 :: v_dual_fma_f32 v39, v136, v76, -v47
	s_delay_alu instid0(VALU_DEP_3) | instskip(NEXT) | instid1(VALU_DEP_3)
	v_dual_fmac_f32 v21, v137, v76 :: v_dual_add_f32 v11, v11, v37
	v_dual_add_f32 v9, v9, v19 :: v_dual_fmac_f32 v23, v139, v78
	v_dual_mul_f32 v19, v147, v91 :: v_dual_fma_f32 v37, v138, v78, -v49
	s_delay_alu instid0(VALU_DEP_2) | instskip(SKIP_3) | instid1(VALU_DEP_3)
	v_dual_add_f32 v11, v11, v39 :: v_dual_add_f32 v9, v9, v21
	v_dual_mul_f32 v27, v142, v83 :: v_dual_mul_f32 v29, v148, v85
	s_wait_loadcnt 0x5
	v_dual_mul_f32 v21, v109, v93 :: v_dual_fma_f32 v39, v140, v80, -v51
	v_dual_fmac_f32 v25, v141, v80 :: v_dual_add_f32 v11, v11, v37
	v_dual_add_f32 v9, v9, v23 :: v_dual_mov_b32 v64, v95
	v_fmac_f32_e32 v27, v143, v82
	s_delay_alu instid0(VALU_DEP_3) | instskip(NEXT) | instid1(VALU_DEP_3)
	v_dual_fma_f32 v23, v142, v82, -v35 :: v_dual_add_f32 v11, v11, v39
	v_dual_add_f32 v9, v9, v25 :: v_dual_mul_f32 v31, v150, v87
	v_dual_mul_f32 v33, v144, v89 :: v_dual_fmac_f32 v29, v149, v84
	s_delay_alu instid0(VALU_DEP_3) | instskip(SKIP_1) | instid1(VALU_DEP_3)
	v_dual_add_f32 v11, v11, v23 :: v_dual_fma_f32 v13, v148, v84, -v13
	s_wait_loadcnt 0x4
	v_dual_add_f32 v9, v9, v27 :: v_dual_mov_b32 v68, v99
	v_fma_f32 v15, v150, v86, -v15
	v_fmac_f32_e32 v31, v151, v86
	v_dual_add_f32 v11, v11, v13 :: v_dual_fmac_f32 v33, v145, v88
	s_delay_alu instid0(VALU_DEP_4) | instskip(SKIP_1) | instid1(VALU_DEP_3)
	v_dual_add_f32 v9, v9, v29 :: v_dual_mul_f32 v167, v146, v91
	v_mul_f32_e32 v169, v108, v93
	v_dual_fma_f32 v13, v144, v88, -v17 :: v_dual_add_f32 v11, v11, v15
	s_delay_alu instid0(VALU_DEP_3) | instskip(NEXT) | instid1(VALU_DEP_4)
	v_dual_fma_f32 v166, v146, v90, -v19 :: v_dual_add_f32 v9, v9, v31
	v_fmac_f32_e32 v167, v147, v90
	v_pk_mul_f32 v[64:65], v[158:159], v[64:65] op_sel_hi:[1,0]
	s_delay_alu instid0(VALU_DEP_4) | instskip(NEXT) | instid1(VALU_DEP_4)
	v_dual_add_f32 v72, v11, v13 :: v_dual_fmac_f32 v169, v109, v92
	v_add_f32_e32 v73, v9, v33
	v_pk_mul_f32 v[66:67], v[112:113], v[96:97] op_sel:[1,1] op_sel_hi:[0,1]
	s_wait_loadcnt 0x3
	v_dual_mov_b32 v74, v103 :: v_dual_fma_f32 v168, v108, v92, -v21
	v_pk_fma_f32 v[76:77], v[110:111], v[94:95], v[64:65] op_sel_hi:[1,0,1]
	v_pk_add_f32 v[72:73], v[72:73], v[166:167]
	v_pk_fma_f32 v[64:65], v[110:111], v[94:95], v[64:65] neg_lo:[0,0,1] neg_hi:[0,0,1]
	v_pk_fma_f32 v[78:79], v[112:113], v[96:97], v[66:67] op_sel_hi:[1,0,1]
	v_pk_mul_f32 v[68:69], v[160:161], v[68:69] op_sel_hi:[1,0]
	v_mov_b32_e32 v65, v77
	v_pk_add_f32 v[72:73], v[72:73], v[168:169]
	v_pk_fma_f32 v[66:67], v[112:113], v[96:97], v[66:67] neg_lo:[0,0,1] neg_hi:[0,0,1]
	v_pk_mul_f32 v[70:71], v[116:117], v[100:101] op_sel:[1,1] op_sel_hi:[0,1]
	v_mov_b32_e32 v67, v79
	v_pk_fma_f32 v[78:79], v[114:115], v[98:99], v[68:69] op_sel_hi:[1,0,1]
	v_pk_add_f32 v[64:65], v[72:73], v[64:65]
	v_pk_fma_f32 v[68:69], v[114:115], v[98:99], v[68:69] neg_lo:[0,0,1] neg_hi:[0,0,1]
	v_pk_fma_f32 v[72:73], v[116:117], v[100:101], v[70:71] op_sel_hi:[1,0,1]
	v_pk_mul_f32 v[74:75], v[162:163], v[74:75] op_sel_hi:[1,0]
	v_mov_b32_e32 v69, v79
	v_pk_add_f32 v[64:65], v[64:65], v[66:67]
	v_pk_fma_f32 v[70:71], v[116:117], v[100:101], v[70:71] neg_lo:[0,0,1] neg_hi:[0,0,1]
	s_wait_loadcnt 0x2
	v_pk_mul_f32 v[76:77], v[120:121], v[104:105] op_sel:[1,1] op_sel_hi:[0,1]
	v_dual_mov_b32 v66, v107 :: v_dual_mov_b32 v71, v73
	v_pk_fma_f32 v[72:73], v[118:119], v[102:103], v[74:75] op_sel_hi:[1,0,1]
	v_pk_add_f32 v[64:65], v[64:65], v[68:69]
	v_pk_fma_f32 v[74:75], v[118:119], v[102:103], v[74:75] neg_lo:[0,0,1] neg_hi:[0,0,1]
	v_pk_fma_f32 v[68:69], v[120:121], v[104:105], v[76:77] op_sel_hi:[1,0,1]
	v_pk_mul_f32 v[66:67], v[164:165], v[66:67] op_sel_hi:[1,0]
	v_mov_b32_e32 v75, v73
	v_pk_add_f32 v[64:65], v[64:65], v[70:71]
	v_pk_fma_f32 v[70:71], v[120:121], v[104:105], v[76:77] neg_lo:[0,0,1] neg_hi:[0,0,1]
	v_mov_b32_e32 v71, v69
	v_pk_fma_f32 v[68:69], v[122:123], v[106:107], v[66:67] op_sel_hi:[1,0,1]
	s_wait_loadcnt_dscnt 0x100
	v_pk_mul_f32 v[72:73], v[156:157], v[152:153] op_sel:[1,1] op_sel_hi:[0,1]
	v_pk_add_f32 v[64:65], v[64:65], v[74:75]
	v_pk_fma_f32 v[66:67], v[122:123], v[106:107], v[66:67] neg_lo:[0,0,1] neg_hi:[0,0,1]
	v_mov_b32_e32 v67, v69
	s_delay_alu instid0(VALU_DEP_4) | instskip(NEXT) | instid1(VALU_DEP_4)
	v_pk_fma_f32 v[68:69], v[156:157], v[152:153], v[72:73] op_sel_hi:[1,0,1]
	v_pk_add_f32 v[64:65], v[64:65], v[70:71]
	v_pk_fma_f32 v[70:71], v[156:157], v[152:153], v[72:73] neg_lo:[0,0,1] neg_hi:[0,0,1]
	s_delay_alu instid0(VALU_DEP_3) | instskip(NEXT) | instid1(VALU_DEP_3)
	v_mov_b32_e32 v71, v69
	v_pk_add_f32 v[64:65], v[64:65], v[66:67]
	s_delay_alu instid0(VALU_DEP_1) | instskip(SKIP_1) | instid1(VALU_DEP_1)
	v_pk_add_f32 v[64:65], v[64:65], v[70:71]
	s_wait_loadcnt 0x0
	v_pk_add_f32 v[64:65], v[154:155], v[64:65] neg_lo:[0,1] neg_hi:[0,1]
	scratch_store_b64 off, v[64:65], off offset:56
	s_wait_xcnt 0x0
	v_cmpx_lt_u32_e32 6, v0
	s_cbranch_execz .LBB94_187
; %bb.186:
	scratch_load_b64 v[64:65], off, off offset:48
	v_mov_b64_e32 v[66:67], 0
	scratch_store_b64 off, v[66:67], off offset:48
	s_wait_loadcnt 0x0
	ds_store_b64 v1, v[64:65]
.LBB94_187:
	s_wait_xcnt 0x0
	s_or_b32 exec_lo, exec_lo, s0
	s_wait_storecnt_dscnt 0x0
	s_barrier_signal -1
	s_barrier_wait -1
	s_clause 0xc
	scratch_load_b128 v[64:67], off, off offset:56
	scratch_load_b128 v[68:71], off, off offset:72
	;; [unrolled: 1-line block ×12, first 2 shown]
	scratch_load_b64 v[160:161], off, off offset:48
	ds_load_2addr_b64 v[112:115], v7 offset0:55 offset1:56
	ds_load_2addr_b64 v[116:119], v7 offset0:57 offset1:58
	ds_load_2addr_b64 v[120:123], v7 offset0:59 offset1:60
	ds_load_2addr_b64 v[124:127], v7 offset0:61 offset1:62
	ds_load_2addr_b64 v[128:131], v7 offset0:39 offset1:40
	ds_load_2addr_b64 v[132:135], v7 offset0:41 offset1:42
	ds_load_2addr_b64 v[136:139], v7 offset0:43 offset1:44
	ds_load_2addr_b64 v[140:143], v7 offset0:45 offset1:46
	ds_load_2addr_b64 v[144:147], v7 offset0:47 offset1:48
	ds_load_2addr_b64 v[148:151], v7 offset0:49 offset1:50
	ds_load_2addr_b64 v[152:155], v7 offset0:51 offset1:52
	ds_load_2addr_b64 v[156:159], v7 offset0:53 offset1:54
	s_mov_b32 s0, exec_lo
	s_wait_dscnt 0xb
	v_dual_mov_b32 v162, v115 :: v_dual_mov_b32 v163, v114
	s_wait_dscnt 0xa
	v_dual_mov_b32 v164, v119 :: v_dual_mov_b32 v165, v118
	;; [unrolled: 2-line block ×4, first 2 shown]
	s_wait_loadcnt_dscnt 0xc07
	v_dual_mul_f32 v7, v128, v65 :: v_dual_mul_f32 v9, v130, v67
	v_dual_mul_f32 v35, v129, v65 :: v_dual_mul_f32 v37, v131, v67
	s_wait_loadcnt_dscnt 0xb06
	v_dual_mul_f32 v11, v132, v69 :: v_dual_mul_f32 v13, v134, v71
	s_delay_alu instid0(VALU_DEP_3) | instskip(SKIP_3) | instid1(VALU_DEP_3)
	v_dual_fmac_f32 v7, v129, v64 :: v_dual_fmac_f32 v9, v131, v66
	s_wait_loadcnt_dscnt 0x904
	v_dual_fma_f32 v35, v128, v64, -v35 :: v_dual_mul_f32 v47, v141, v77
	v_dual_mul_f32 v39, v133, v69 :: v_dual_mul_f32 v41, v135, v71
	v_dual_fma_f32 v37, v130, v66, -v37 :: v_dual_add_f32 v7, 0, v7
	s_delay_alu instid0(VALU_DEP_3) | instskip(SKIP_1) | instid1(VALU_DEP_4)
	v_dual_add_f32 v35, 0, v35 :: v_dual_fmac_f32 v11, v133, v68
	v_dual_mul_f32 v15, v136, v73 :: v_dual_mul_f32 v17, v138, v75
	v_dual_mul_f32 v49, v143, v79 :: v_dual_fma_f32 v39, v132, v68, -v39
	s_delay_alu instid0(VALU_DEP_4) | instskip(NEXT) | instid1(VALU_DEP_3)
	v_add_f32_e32 v7, v7, v9
	v_dual_add_f32 v9, v35, v37 :: v_dual_fmac_f32 v15, v137, v72
	v_dual_mul_f32 v43, v137, v73 :: v_dual_mul_f32 v45, v139, v75
	s_wait_loadcnt_dscnt 0x803
	v_dual_mul_f32 v35, v145, v81 :: v_dual_fmac_f32 v13, v135, v70
	v_dual_fma_f32 v37, v134, v70, -v41 :: v_dual_add_f32 v7, v7, v11
	s_delay_alu instid0(VALU_DEP_3) | instskip(SKIP_1) | instid1(VALU_DEP_3)
	v_dual_add_f32 v9, v9, v39 :: v_dual_fma_f32 v39, v136, v72, -v43
	v_dual_mul_f32 v19, v140, v77 :: v_dual_mul_f32 v21, v142, v79
	v_add_f32_e32 v7, v7, v13
	s_delay_alu instid0(VALU_DEP_3) | instskip(SKIP_2) | instid1(VALU_DEP_3)
	v_dual_mul_f32 v11, v147, v83 :: v_dual_add_f32 v9, v9, v37
	s_wait_loadcnt_dscnt 0x702
	v_dual_mul_f32 v13, v149, v85 :: v_dual_fmac_f32 v17, v139, v74
	v_dual_fma_f32 v37, v138, v74, -v45 :: v_dual_add_f32 v7, v7, v15
	s_delay_alu instid0(VALU_DEP_3) | instskip(SKIP_1) | instid1(VALU_DEP_3)
	v_dual_add_f32 v9, v9, v39 :: v_dual_fma_f32 v39, v140, v76, -v47
	v_dual_mul_f32 v15, v151, v87 :: v_dual_fmac_f32 v19, v141, v76
	v_add_f32_e32 v7, v7, v17
	s_delay_alu instid0(VALU_DEP_3)
	v_dual_add_f32 v9, v9, v37 :: v_dual_fmac_f32 v21, v143, v78
	v_dual_mul_f32 v23, v144, v81 :: v_dual_mul_f32 v25, v146, v83
	s_wait_loadcnt_dscnt 0x601
	v_dual_fma_f32 v37, v142, v78, -v49 :: v_dual_mul_f32 v17, v153, v89
	v_add_f32_e32 v7, v7, v19
	v_dual_add_f32 v9, v9, v39 :: v_dual_fma_f32 v35, v144, v80, -v35
	v_dual_mul_f32 v19, v155, v91 :: v_dual_fmac_f32 v23, v145, v80
	s_delay_alu instid0(VALU_DEP_3) | instskip(NEXT) | instid1(VALU_DEP_3)
	v_dual_add_f32 v7, v7, v21 :: v_dual_fma_f32 v11, v146, v82, -v11
	v_dual_add_f32 v9, v9, v37 :: v_dual_fmac_f32 v25, v147, v82
	v_dual_mul_f32 v27, v148, v85 :: v_dual_mul_f32 v29, v150, v87
	s_wait_loadcnt_dscnt 0x500
	s_delay_alu instid0(VALU_DEP_3) | instskip(NEXT) | instid1(VALU_DEP_3)
	v_dual_mul_f32 v21, v157, v93 :: v_dual_add_f32 v7, v7, v23
	v_dual_add_f32 v9, v9, v35 :: v_dual_fma_f32 v13, v148, v84, -v13
	s_delay_alu instid0(VALU_DEP_3) | instskip(NEXT) | instid1(VALU_DEP_2)
	v_dual_mul_f32 v23, v159, v95 :: v_dual_fmac_f32 v27, v149, v84
	v_dual_add_f32 v7, v7, v25 :: v_dual_add_f32 v9, v9, v11
	v_dual_mul_f32 v31, v152, v89 :: v_dual_mul_f32 v33, v154, v91
	v_dual_fmac_f32 v29, v151, v86 :: v_dual_fma_f32 v11, v150, v86, -v15
	s_delay_alu instid0(VALU_DEP_3) | instskip(SKIP_1) | instid1(VALU_DEP_3)
	v_dual_add_f32 v7, v7, v27 :: v_dual_add_f32 v9, v9, v13
	s_wait_loadcnt 0x4
	v_dual_mov_b32 v66, v99 :: v_dual_fmac_f32 v31, v153, v88
	s_delay_alu instid0(VALU_DEP_2) | instskip(NEXT) | instid1(VALU_DEP_3)
	v_dual_fma_f32 v13, v152, v88, -v17 :: v_dual_add_f32 v7, v7, v29
	v_dual_add_f32 v9, v9, v11 :: v_dual_fmac_f32 v33, v155, v90
	v_dual_mul_f32 v171, v156, v93 :: v_dual_mul_f32 v173, v158, v95
	s_delay_alu instid0(VALU_DEP_3) | instskip(SKIP_1) | instid1(VALU_DEP_3)
	v_dual_fma_f32 v11, v154, v90, -v19 :: v_dual_add_f32 v7, v7, v31
	s_wait_loadcnt 0x3
	v_dual_add_f32 v9, v9, v13 :: v_dual_mov_b32 v70, v103
	v_pk_mul_f32 v[64:65], v[112:113], v[96:97] op_sel:[1,1] op_sel_hi:[0,1]
	v_dual_fmac_f32 v171, v157, v92 :: v_dual_fma_f32 v170, v156, v92, -v21
	s_delay_alu instid0(VALU_DEP_3) | instskip(SKIP_1) | instid1(VALU_DEP_4)
	v_dual_add_f32 v73, v7, v33 :: v_dual_add_f32 v72, v9, v11
	v_dual_fmac_f32 v173, v159, v94 :: v_dual_fma_f32 v172, v158, v94, -v23
	v_pk_fma_f32 v[74:75], v[112:113], v[96:97], v[64:65] op_sel_hi:[1,0,1]
	v_pk_mul_f32 v[66:67], v[162:163], v[66:67] op_sel_hi:[1,0]
	s_delay_alu instid0(VALU_DEP_4)
	v_pk_add_f32 v[72:73], v[72:73], v[170:171]
	v_pk_fma_f32 v[64:65], v[112:113], v[96:97], v[64:65] neg_lo:[0,0,1] neg_hi:[0,0,1]
	v_pk_mul_f32 v[68:69], v[116:117], v[100:101] op_sel:[1,1] op_sel_hi:[0,1]
	v_mov_b32_e32 v65, v75
	v_pk_fma_f32 v[74:75], v[114:115], v[98:99], v[66:67] op_sel_hi:[1,0,1]
	v_pk_add_f32 v[72:73], v[72:73], v[172:173]
	v_pk_fma_f32 v[66:67], v[114:115], v[98:99], v[66:67] neg_lo:[0,0,1] neg_hi:[0,0,1]
	v_pk_fma_f32 v[78:79], v[116:117], v[100:101], v[68:69] op_sel_hi:[1,0,1]
	v_pk_mul_f32 v[70:71], v[164:165], v[70:71] op_sel_hi:[1,0]
	v_mov_b32_e32 v67, v75
	v_pk_add_f32 v[64:65], v[72:73], v[64:65]
	s_wait_loadcnt 0x2
	v_pk_mul_f32 v[76:77], v[120:121], v[104:105] op_sel:[1,1] op_sel_hi:[0,1]
	v_mov_b32_e32 v72, v107
	v_pk_fma_f32 v[68:69], v[116:117], v[100:101], v[68:69] neg_lo:[0,0,1] neg_hi:[0,0,1]
	v_mov_b32_e32 v69, v79
	v_pk_fma_f32 v[74:75], v[118:119], v[102:103], v[70:71] op_sel_hi:[1,0,1]
	v_pk_add_f32 v[64:65], v[64:65], v[66:67]
	v_pk_fma_f32 v[66:67], v[120:121], v[104:105], v[76:77] op_sel_hi:[1,0,1]
	v_pk_mul_f32 v[72:73], v[166:167], v[72:73] op_sel_hi:[1,0]
	v_pk_fma_f32 v[70:71], v[118:119], v[102:103], v[70:71] neg_lo:[0,0,1] neg_hi:[0,0,1]
	v_mov_b32_e32 v71, v75
	v_pk_add_f32 v[64:65], v[64:65], v[68:69]
	v_pk_fma_f32 v[74:75], v[120:121], v[104:105], v[76:77] neg_lo:[0,0,1] neg_hi:[0,0,1]
	v_mov_b32_e32 v75, v67
	v_pk_fma_f32 v[66:67], v[122:123], v[106:107], v[72:73] op_sel_hi:[1,0,1]
	s_wait_loadcnt 0x1
	v_pk_mul_f32 v[68:69], v[124:125], v[108:109] op_sel:[1,1] op_sel_hi:[0,1]
	v_pk_add_f32 v[64:65], v[64:65], v[70:71]
	v_mov_b32_e32 v66, v111
	v_pk_fma_f32 v[72:73], v[122:123], v[106:107], v[72:73] neg_lo:[0,0,1] neg_hi:[0,0,1]
	v_mov_b32_e32 v73, v67
	v_pk_fma_f32 v[70:71], v[124:125], v[108:109], v[68:69] op_sel_hi:[1,0,1]
	v_pk_add_f32 v[64:65], v[64:65], v[74:75]
	v_pk_mul_f32 v[66:67], v[168:169], v[66:67] op_sel_hi:[1,0]
	v_pk_fma_f32 v[68:69], v[124:125], v[108:109], v[68:69] neg_lo:[0,0,1] neg_hi:[0,0,1]
	s_delay_alu instid0(VALU_DEP_4) | instskip(NEXT) | instid1(VALU_DEP_4)
	v_mov_b32_e32 v69, v71
	v_pk_add_f32 v[64:65], v[64:65], v[72:73]
	s_delay_alu instid0(VALU_DEP_4) | instskip(SKIP_1) | instid1(VALU_DEP_2)
	v_pk_fma_f32 v[70:71], v[126:127], v[110:111], v[66:67] op_sel_hi:[1,0,1]
	v_pk_fma_f32 v[66:67], v[126:127], v[110:111], v[66:67] neg_lo:[0,0,1] neg_hi:[0,0,1]
	v_mov_b32_e32 v67, v71
	s_delay_alu instid0(VALU_DEP_4) | instskip(NEXT) | instid1(VALU_DEP_1)
	v_pk_add_f32 v[64:65], v[64:65], v[68:69]
	v_pk_add_f32 v[64:65], v[64:65], v[66:67]
	s_wait_loadcnt 0x0
	s_delay_alu instid0(VALU_DEP_1)
	v_pk_add_f32 v[64:65], v[160:161], v[64:65] neg_lo:[0,1] neg_hi:[0,1]
	scratch_store_b64 off, v[64:65], off offset:48
	s_wait_xcnt 0x0
	v_cmpx_lt_u32_e32 5, v0
	s_cbranch_execz .LBB94_189
; %bb.188:
	scratch_load_b64 v[64:65], off, off offset:40
	v_mov_b64_e32 v[66:67], 0
	scratch_store_b64 off, v[66:67], off offset:40
	s_wait_loadcnt 0x0
	ds_store_b64 v1, v[64:65]
.LBB94_189:
	s_wait_xcnt 0x0
	s_or_b32 exec_lo, exec_lo, s0
	s_wait_storecnt_dscnt 0x0
	s_barrier_signal -1
	s_barrier_wait -1
	s_clause 0xd
	scratch_load_b128 v[64:67], off, off offset:48
	scratch_load_b128 v[68:71], off, off offset:64
	;; [unrolled: 1-line block ×12, first 2 shown]
	scratch_load_b64 v[160:161], off, off offset:240
	scratch_load_b64 v[162:163], off, off offset:40
	v_mov_b32_e32 v7, 0
	ds_load_b128 v[112:115], v7 offset:432
	ds_load_b128 v[116:119], v7 offset:448
	;; [unrolled: 1-line block ×12, first 2 shown]
	ds_load_b64 v[164:165], v7 offset:496
	s_mov_b32 s0, exec_lo
	s_wait_dscnt 0xc
	v_dual_mov_b32 v166, v115 :: v_dual_mov_b32 v167, v114
	s_wait_dscnt 0x9
	v_dual_mov_b32 v168, v119 :: v_dual_mov_b32 v173, v126
	v_dual_mov_b32 v169, v118 :: v_dual_mov_b32 v170, v123
	;; [unrolled: 1-line block ×3, first 2 shown]
	s_wait_loadcnt_dscnt 0xd08
	v_dual_mul_f32 v9, v128, v65 :: v_dual_mul_f32 v39, v129, v65
	v_dual_mul_f32 v41, v131, v67 :: v_dual_mul_f32 v11, v130, v67
	s_wait_loadcnt_dscnt 0xc07
	v_mul_f32_e32 v13, v132, v69
	s_wait_loadcnt_dscnt 0xa05
	v_dual_mul_f32 v51, v141, v77 :: v_dual_fma_f32 v39, v128, v64, -v39
	v_dual_fmac_f32 v9, v129, v64 :: v_dual_mul_f32 v53, v143, v79
	v_dual_mul_f32 v43, v133, v69 :: v_dual_mul_f32 v45, v135, v71
	v_dual_fmac_f32 v11, v131, v66 :: v_dual_fma_f32 v41, v130, v66, -v41
	s_delay_alu instid0(VALU_DEP_3) | instskip(SKIP_4) | instid1(VALU_DEP_3)
	v_dual_add_f32 v9, 0, v9 :: v_dual_add_f32 v39, 0, v39
	v_dual_mul_f32 v15, v134, v71 :: v_dual_mul_f32 v17, v136, v73
	s_wait_loadcnt_dscnt 0x904
	v_dual_mul_f32 v55, v145, v81 :: v_dual_fma_f32 v43, v132, v68, -v43
	v_fmac_f32_e32 v13, v133, v68
	v_dual_add_f32 v9, v9, v11 :: v_dual_fmac_f32 v15, v135, v70
	v_add_f32_e32 v11, v39, v41
	v_dual_mul_f32 v47, v137, v73 :: v_dual_mul_f32 v49, v139, v75
	v_dual_mul_f32 v39, v147, v83 :: v_dual_fma_f32 v41, v134, v70, -v45
	s_delay_alu instid0(VALU_DEP_3) | instskip(SKIP_3) | instid1(VALU_DEP_3)
	v_dual_add_f32 v9, v9, v13 :: v_dual_add_f32 v11, v11, v43
	v_dual_mul_f32 v19, v138, v75 :: v_dual_mul_f32 v21, v140, v77
	s_wait_loadcnt_dscnt 0x803
	v_dual_mul_f32 v13, v149, v85 :: v_dual_fma_f32 v43, v136, v72, -v47
	v_dual_fmac_f32 v17, v137, v72 :: v_dual_add_f32 v11, v11, v41
	s_delay_alu instid0(VALU_DEP_3) | instskip(SKIP_1) | instid1(VALU_DEP_2)
	v_dual_add_f32 v9, v9, v15 :: v_dual_fmac_f32 v19, v139, v74
	v_dual_mul_f32 v15, v151, v87 :: v_dual_fma_f32 v41, v138, v74, -v49
	v_dual_add_f32 v11, v11, v43 :: v_dual_add_f32 v9, v9, v17
	v_dual_mul_f32 v23, v142, v79 :: v_dual_mul_f32 v25, v144, v81
	s_wait_loadcnt_dscnt 0x702
	v_dual_mul_f32 v17, v153, v89 :: v_dual_fma_f32 v43, v140, v76, -v51
	s_delay_alu instid0(VALU_DEP_3) | instskip(NEXT) | instid1(VALU_DEP_3)
	v_dual_fmac_f32 v21, v141, v76 :: v_dual_add_f32 v11, v11, v41
	v_dual_add_f32 v9, v9, v19 :: v_dual_fmac_f32 v23, v143, v78
	v_dual_mul_f32 v19, v155, v91 :: v_dual_fma_f32 v41, v142, v78, -v53
	s_delay_alu instid0(VALU_DEP_2) | instskip(SKIP_3) | instid1(VALU_DEP_3)
	v_dual_add_f32 v11, v11, v43 :: v_dual_add_f32 v9, v9, v21
	v_dual_mul_f32 v27, v146, v83 :: v_dual_mul_f32 v29, v148, v85
	s_wait_loadcnt_dscnt 0x601
	v_dual_mul_f32 v21, v157, v93 :: v_dual_fma_f32 v43, v144, v80, -v55
	v_dual_fmac_f32 v25, v145, v80 :: v_dual_add_f32 v11, v11, v41
	s_delay_alu instid0(VALU_DEP_3) | instskip(SKIP_1) | instid1(VALU_DEP_2)
	v_dual_add_f32 v9, v9, v23 :: v_dual_fmac_f32 v27, v147, v82
	v_dual_mul_f32 v23, v159, v95 :: v_dual_fma_f32 v39, v146, v82, -v39
	v_dual_add_f32 v11, v11, v43 :: v_dual_add_f32 v9, v9, v25
	v_dual_mul_f32 v31, v150, v87 :: v_dual_mul_f32 v33, v152, v89
	s_wait_loadcnt 0x5
	v_dual_mul_f32 v25, v113, v97 :: v_dual_fma_f32 v13, v148, v84, -v13
	s_delay_alu instid0(VALU_DEP_3) | instskip(SKIP_2) | instid1(VALU_DEP_3)
	v_dual_fmac_f32 v29, v149, v84 :: v_dual_add_f32 v11, v11, v39
	v_dual_add_f32 v9, v9, v27 :: v_dual_mov_b32 v64, v99
	v_fmac_f32_e32 v31, v151, v86
	v_dual_fma_f32 v15, v150, v86, -v15 :: v_dual_add_f32 v11, v11, v13
	s_delay_alu instid0(VALU_DEP_3) | instskip(SKIP_1) | instid1(VALU_DEP_3)
	v_dual_add_f32 v9, v9, v29 :: v_dual_mul_f32 v35, v154, v91
	v_dual_mul_f32 v37, v156, v93 :: v_dual_fmac_f32 v33, v153, v88
	v_dual_add_f32 v11, v11, v15 :: v_dual_fma_f32 v13, v152, v88, -v17
	s_wait_loadcnt 0x4
	s_delay_alu instid0(VALU_DEP_3) | instskip(SKIP_3) | instid1(VALU_DEP_4)
	v_dual_add_f32 v9, v9, v31 :: v_dual_mov_b32 v68, v103
	v_fma_f32 v15, v154, v90, -v19
	v_fmac_f32_e32 v35, v155, v90
	v_dual_add_f32 v11, v11, v13 :: v_dual_fmac_f32 v37, v157, v92
	v_dual_add_f32 v9, v9, v33 :: v_dual_mul_f32 v175, v158, v95
	v_mul_f32_e32 v177, v112, v97
	s_delay_alu instid0(VALU_DEP_3) | instskip(NEXT) | instid1(VALU_DEP_3)
	v_dual_fma_f32 v13, v156, v92, -v21 :: v_dual_add_f32 v11, v11, v15
	v_dual_fma_f32 v174, v158, v94, -v23 :: v_dual_add_f32 v9, v9, v35
	s_delay_alu instid0(VALU_DEP_4) | instskip(SKIP_1) | instid1(VALU_DEP_4)
	v_fmac_f32_e32 v175, v159, v94
	v_pk_mul_f32 v[64:65], v[166:167], v[64:65] op_sel_hi:[1,0]
	v_dual_add_f32 v72, v11, v13 :: v_dual_fmac_f32 v177, v113, v96
	s_delay_alu instid0(VALU_DEP_4)
	v_add_f32_e32 v73, v9, v37
	v_pk_mul_f32 v[66:67], v[116:117], v[100:101] op_sel:[1,1] op_sel_hi:[0,1]
	s_wait_loadcnt 0x3
	v_dual_mov_b32 v74, v107 :: v_dual_fma_f32 v176, v112, v96, -v25
	v_pk_fma_f32 v[76:77], v[114:115], v[98:99], v[64:65] op_sel_hi:[1,0,1]
	v_pk_add_f32 v[72:73], v[72:73], v[174:175]
	v_pk_fma_f32 v[64:65], v[114:115], v[98:99], v[64:65] neg_lo:[0,0,1] neg_hi:[0,0,1]
	v_pk_fma_f32 v[78:79], v[116:117], v[100:101], v[66:67] op_sel_hi:[1,0,1]
	v_pk_mul_f32 v[68:69], v[168:169], v[68:69] op_sel_hi:[1,0]
	v_mov_b32_e32 v65, v77
	v_pk_add_f32 v[72:73], v[72:73], v[176:177]
	v_pk_fma_f32 v[66:67], v[116:117], v[100:101], v[66:67] neg_lo:[0,0,1] neg_hi:[0,0,1]
	v_pk_mul_f32 v[70:71], v[120:121], v[104:105] op_sel:[1,1] op_sel_hi:[0,1]
	v_mov_b32_e32 v67, v79
	v_pk_fma_f32 v[78:79], v[118:119], v[102:103], v[68:69] op_sel_hi:[1,0,1]
	v_pk_add_f32 v[64:65], v[72:73], v[64:65]
	v_pk_fma_f32 v[68:69], v[118:119], v[102:103], v[68:69] neg_lo:[0,0,1] neg_hi:[0,0,1]
	v_pk_fma_f32 v[72:73], v[120:121], v[104:105], v[70:71] op_sel_hi:[1,0,1]
	v_pk_mul_f32 v[74:75], v[170:171], v[74:75] op_sel_hi:[1,0]
	v_mov_b32_e32 v69, v79
	v_pk_add_f32 v[64:65], v[64:65], v[66:67]
	v_pk_fma_f32 v[70:71], v[120:121], v[104:105], v[70:71] neg_lo:[0,0,1] neg_hi:[0,0,1]
	s_wait_loadcnt 0x2
	v_pk_mul_f32 v[76:77], v[124:125], v[108:109] op_sel:[1,1] op_sel_hi:[0,1]
	v_dual_mov_b32 v66, v111 :: v_dual_mov_b32 v71, v73
	v_pk_fma_f32 v[72:73], v[122:123], v[106:107], v[74:75] op_sel_hi:[1,0,1]
	v_pk_add_f32 v[64:65], v[64:65], v[68:69]
	v_pk_fma_f32 v[74:75], v[122:123], v[106:107], v[74:75] neg_lo:[0,0,1] neg_hi:[0,0,1]
	v_pk_fma_f32 v[68:69], v[124:125], v[108:109], v[76:77] op_sel_hi:[1,0,1]
	v_pk_mul_f32 v[66:67], v[172:173], v[66:67] op_sel_hi:[1,0]
	v_mov_b32_e32 v75, v73
	v_pk_add_f32 v[64:65], v[64:65], v[70:71]
	v_pk_fma_f32 v[70:71], v[124:125], v[108:109], v[76:77] neg_lo:[0,0,1] neg_hi:[0,0,1]
	v_mov_b32_e32 v71, v69
	v_pk_fma_f32 v[68:69], v[126:127], v[110:111], v[66:67] op_sel_hi:[1,0,1]
	s_wait_loadcnt_dscnt 0x100
	v_pk_mul_f32 v[72:73], v[164:165], v[160:161] op_sel:[1,1] op_sel_hi:[0,1]
	v_pk_add_f32 v[64:65], v[64:65], v[74:75]
	v_pk_fma_f32 v[66:67], v[126:127], v[110:111], v[66:67] neg_lo:[0,0,1] neg_hi:[0,0,1]
	v_mov_b32_e32 v67, v69
	s_delay_alu instid0(VALU_DEP_4) | instskip(NEXT) | instid1(VALU_DEP_4)
	v_pk_fma_f32 v[68:69], v[164:165], v[160:161], v[72:73] op_sel_hi:[1,0,1]
	v_pk_add_f32 v[64:65], v[64:65], v[70:71]
	v_pk_fma_f32 v[70:71], v[164:165], v[160:161], v[72:73] neg_lo:[0,0,1] neg_hi:[0,0,1]
	s_delay_alu instid0(VALU_DEP_3) | instskip(NEXT) | instid1(VALU_DEP_3)
	v_mov_b32_e32 v71, v69
	v_pk_add_f32 v[64:65], v[64:65], v[66:67]
	s_delay_alu instid0(VALU_DEP_1) | instskip(SKIP_1) | instid1(VALU_DEP_1)
	v_pk_add_f32 v[64:65], v[64:65], v[70:71]
	s_wait_loadcnt 0x0
	v_pk_add_f32 v[64:65], v[162:163], v[64:65] neg_lo:[0,1] neg_hi:[0,1]
	scratch_store_b64 off, v[64:65], off offset:40
	s_wait_xcnt 0x0
	v_cmpx_lt_u32_e32 4, v0
	s_cbranch_execz .LBB94_191
; %bb.190:
	scratch_load_b64 v[64:65], off, off offset:32
	v_mov_b64_e32 v[66:67], 0
	scratch_store_b64 off, v[66:67], off offset:32
	s_wait_loadcnt 0x0
	ds_store_b64 v1, v[64:65]
.LBB94_191:
	s_wait_xcnt 0x0
	s_or_b32 exec_lo, exec_lo, s0
	s_wait_storecnt_dscnt 0x0
	s_barrier_signal -1
	s_barrier_wait -1
	s_clause 0xd
	scratch_load_b128 v[64:67], off, off offset:40
	scratch_load_b128 v[68:71], off, off offset:56
	;; [unrolled: 1-line block ×13, first 2 shown]
	scratch_load_b64 v[168:169], off, off offset:32
	ds_load_2addr_b64 v[116:119], v7 offset0:55 offset1:56
	ds_load_2addr_b64 v[120:123], v7 offset0:57 offset1:58
	;; [unrolled: 1-line block ×13, first 2 shown]
	s_mov_b32 s0, exec_lo
	s_wait_dscnt 0xc
	v_dual_mov_b32 v170, v119 :: v_dual_mov_b32 v171, v118
	s_wait_dscnt 0xb
	v_dual_mov_b32 v172, v123 :: v_dual_mov_b32 v173, v122
	;; [unrolled: 2-line block ×4, first 2 shown]
	s_wait_loadcnt_dscnt 0xd08
	v_dual_mul_f32 v7, v132, v65 :: v_dual_mul_f32 v9, v134, v67
	v_dual_mul_f32 v39, v133, v65 :: v_dual_mul_f32 v41, v135, v67
	s_wait_loadcnt_dscnt 0xc07
	v_dual_mul_f32 v11, v136, v69 :: v_dual_mul_f32 v13, v138, v71
	s_delay_alu instid0(VALU_DEP_3) | instskip(SKIP_3) | instid1(VALU_DEP_3)
	v_dual_fmac_f32 v7, v133, v64 :: v_dual_fmac_f32 v9, v135, v66
	s_wait_loadcnt_dscnt 0xa05
	v_dual_fma_f32 v39, v132, v64, -v39 :: v_dual_mul_f32 v51, v145, v77
	v_dual_mul_f32 v43, v137, v69 :: v_dual_mul_f32 v45, v139, v71
	v_dual_fma_f32 v41, v134, v66, -v41 :: v_dual_add_f32 v7, 0, v7
	s_delay_alu instid0(VALU_DEP_3) | instskip(SKIP_1) | instid1(VALU_DEP_4)
	v_dual_add_f32 v39, 0, v39 :: v_dual_fmac_f32 v11, v137, v68
	v_dual_mul_f32 v15, v140, v73 :: v_dual_mul_f32 v17, v142, v75
	v_dual_mul_f32 v53, v147, v79 :: v_dual_fma_f32 v43, v136, v68, -v43
	s_delay_alu instid0(VALU_DEP_4) | instskip(NEXT) | instid1(VALU_DEP_3)
	v_add_f32_e32 v7, v7, v9
	v_dual_add_f32 v9, v39, v41 :: v_dual_fmac_f32 v15, v141, v72
	v_dual_mul_f32 v47, v141, v73 :: v_dual_mul_f32 v49, v143, v75
	s_wait_loadcnt_dscnt 0x903
	v_dual_mul_f32 v39, v153, v81 :: v_dual_fmac_f32 v13, v139, v70
	v_dual_fma_f32 v41, v138, v70, -v45 :: v_dual_add_f32 v7, v7, v11
	s_delay_alu instid0(VALU_DEP_3) | instskip(SKIP_1) | instid1(VALU_DEP_3)
	v_dual_add_f32 v9, v9, v43 :: v_dual_fma_f32 v43, v140, v72, -v47
	v_dual_mul_f32 v19, v144, v77 :: v_dual_mul_f32 v21, v146, v79
	v_add_f32_e32 v7, v7, v13
	s_delay_alu instid0(VALU_DEP_3) | instskip(SKIP_2) | instid1(VALU_DEP_3)
	v_dual_mul_f32 v11, v155, v83 :: v_dual_add_f32 v9, v9, v41
	s_wait_loadcnt_dscnt 0x802
	v_dual_mul_f32 v13, v157, v85 :: v_dual_fmac_f32 v17, v143, v74
	v_dual_fma_f32 v41, v142, v74, -v49 :: v_dual_add_f32 v7, v7, v15
	s_delay_alu instid0(VALU_DEP_3) | instskip(SKIP_1) | instid1(VALU_DEP_3)
	v_dual_add_f32 v9, v9, v43 :: v_dual_fma_f32 v43, v144, v76, -v51
	v_dual_mul_f32 v15, v159, v87 :: v_dual_fmac_f32 v19, v145, v76
	v_add_f32_e32 v7, v7, v17
	s_delay_alu instid0(VALU_DEP_3)
	v_dual_add_f32 v9, v9, v41 :: v_dual_fmac_f32 v21, v147, v78
	v_dual_mul_f32 v23, v152, v81 :: v_dual_mul_f32 v25, v154, v83
	s_wait_loadcnt_dscnt 0x701
	v_dual_fma_f32 v41, v146, v78, -v53 :: v_dual_mul_f32 v17, v161, v89
	v_add_f32_e32 v7, v7, v19
	v_dual_add_f32 v9, v9, v43 :: v_dual_fma_f32 v39, v152, v80, -v39
	v_dual_mul_f32 v19, v163, v91 :: v_dual_fmac_f32 v23, v153, v80
	s_delay_alu instid0(VALU_DEP_3) | instskip(NEXT) | instid1(VALU_DEP_3)
	v_dual_add_f32 v7, v7, v21 :: v_dual_fma_f32 v11, v154, v82, -v11
	v_dual_add_f32 v9, v9, v41 :: v_dual_fmac_f32 v25, v155, v82
	v_dual_mul_f32 v27, v156, v85 :: v_dual_mul_f32 v29, v158, v87
	s_wait_loadcnt_dscnt 0x600
	s_delay_alu instid0(VALU_DEP_3) | instskip(NEXT) | instid1(VALU_DEP_3)
	v_dual_mul_f32 v21, v165, v93 :: v_dual_add_f32 v7, v7, v23
	v_dual_add_f32 v9, v9, v39 :: v_dual_fma_f32 v13, v156, v84, -v13
	s_delay_alu instid0(VALU_DEP_3) | instskip(NEXT) | instid1(VALU_DEP_2)
	v_dual_mul_f32 v23, v167, v95 :: v_dual_fmac_f32 v27, v157, v84
	v_dual_add_f32 v7, v7, v25 :: v_dual_add_f32 v9, v9, v11
	v_dual_mul_f32 v31, v160, v89 :: v_dual_mul_f32 v33, v162, v91
	s_wait_loadcnt 0x5
	v_dual_mul_f32 v11, v149, v97 :: v_dual_fmac_f32 v29, v159, v86
	s_delay_alu instid0(VALU_DEP_3) | instskip(SKIP_2) | instid1(VALU_DEP_2)
	v_dual_fma_f32 v15, v158, v86, -v15 :: v_dual_add_f32 v7, v7, v27
	v_dual_add_f32 v9, v9, v13 :: v_dual_mul_f32 v13, v151, v99
	v_dual_fmac_f32 v31, v161, v88 :: v_dual_fma_f32 v17, v160, v88, -v17
	v_dual_add_f32 v7, v7, v29 :: v_dual_add_f32 v9, v9, v15
	v_dual_mul_f32 v35, v164, v93 :: v_dual_mul_f32 v37, v166, v95
	v_dual_fmac_f32 v33, v163, v90 :: v_dual_fma_f32 v15, v162, v90, -v19
	s_delay_alu instid0(VALU_DEP_3) | instskip(SKIP_1) | instid1(VALU_DEP_3)
	v_dual_add_f32 v7, v7, v31 :: v_dual_add_f32 v9, v9, v17
	s_wait_loadcnt 0x4
	v_dual_mov_b32 v66, v103 :: v_dual_fmac_f32 v35, v165, v92
	s_delay_alu instid0(VALU_DEP_2) | instskip(NEXT) | instid1(VALU_DEP_3)
	v_dual_fma_f32 v17, v164, v92, -v21 :: v_dual_add_f32 v7, v7, v33
	v_dual_add_f32 v9, v9, v15 :: v_dual_fmac_f32 v37, v167, v94
	v_dual_mul_f32 v179, v148, v97 :: v_dual_mul_f32 v181, v150, v99
	s_delay_alu instid0(VALU_DEP_3) | instskip(SKIP_1) | instid1(VALU_DEP_3)
	v_dual_fma_f32 v15, v166, v94, -v23 :: v_dual_add_f32 v7, v7, v35
	s_wait_loadcnt 0x3
	v_dual_add_f32 v9, v9, v17 :: v_dual_mov_b32 v70, v107
	v_pk_mul_f32 v[64:65], v[116:117], v[100:101] op_sel:[1,1] op_sel_hi:[0,1]
	s_delay_alu instid0(VALU_DEP_3) | instskip(NEXT) | instid1(VALU_DEP_3)
	v_dual_fmac_f32 v179, v149, v96 :: v_dual_add_f32 v73, v7, v37
	v_dual_fma_f32 v178, v148, v96, -v11 :: v_dual_add_f32 v72, v9, v15
	v_fmac_f32_e32 v181, v151, v98
	s_delay_alu instid0(VALU_DEP_4)
	v_pk_fma_f32 v[74:75], v[116:117], v[100:101], v[64:65] op_sel_hi:[1,0,1]
	v_fma_f32 v180, v150, v98, -v13
	v_pk_mul_f32 v[66:67], v[170:171], v[66:67] op_sel_hi:[1,0]
	v_pk_add_f32 v[72:73], v[72:73], v[178:179]
	v_pk_fma_f32 v[64:65], v[116:117], v[100:101], v[64:65] neg_lo:[0,0,1] neg_hi:[0,0,1]
	v_pk_mul_f32 v[68:69], v[120:121], v[104:105] op_sel:[1,1] op_sel_hi:[0,1]
	v_mov_b32_e32 v65, v75
	v_pk_fma_f32 v[74:75], v[118:119], v[102:103], v[66:67] op_sel_hi:[1,0,1]
	v_pk_add_f32 v[72:73], v[72:73], v[180:181]
	v_pk_fma_f32 v[66:67], v[118:119], v[102:103], v[66:67] neg_lo:[0,0,1] neg_hi:[0,0,1]
	v_pk_fma_f32 v[78:79], v[120:121], v[104:105], v[68:69] op_sel_hi:[1,0,1]
	v_pk_mul_f32 v[70:71], v[172:173], v[70:71] op_sel_hi:[1,0]
	v_mov_b32_e32 v67, v75
	v_pk_add_f32 v[64:65], v[72:73], v[64:65]
	s_wait_loadcnt 0x2
	v_pk_mul_f32 v[76:77], v[124:125], v[108:109] op_sel:[1,1] op_sel_hi:[0,1]
	v_mov_b32_e32 v72, v111
	v_pk_fma_f32 v[68:69], v[120:121], v[104:105], v[68:69] neg_lo:[0,0,1] neg_hi:[0,0,1]
	v_pk_fma_f32 v[74:75], v[122:123], v[106:107], v[70:71] op_sel_hi:[1,0,1]
	v_mov_b32_e32 v69, v79
	v_pk_add_f32 v[64:65], v[64:65], v[66:67]
	v_pk_fma_f32 v[66:67], v[124:125], v[108:109], v[76:77] op_sel_hi:[1,0,1]
	v_pk_mul_f32 v[72:73], v[174:175], v[72:73] op_sel_hi:[1,0]
	v_pk_fma_f32 v[70:71], v[122:123], v[106:107], v[70:71] neg_lo:[0,0,1] neg_hi:[0,0,1]
	v_mov_b32_e32 v71, v75
	v_pk_add_f32 v[64:65], v[64:65], v[68:69]
	v_pk_fma_f32 v[74:75], v[124:125], v[108:109], v[76:77] neg_lo:[0,0,1] neg_hi:[0,0,1]
	v_mov_b32_e32 v75, v67
	v_pk_fma_f32 v[66:67], v[126:127], v[110:111], v[72:73] op_sel_hi:[1,0,1]
	s_wait_loadcnt 0x1
	v_pk_mul_f32 v[68:69], v[128:129], v[112:113] op_sel:[1,1] op_sel_hi:[0,1]
	v_pk_add_f32 v[64:65], v[64:65], v[70:71]
	v_mov_b32_e32 v66, v115
	v_pk_fma_f32 v[72:73], v[126:127], v[110:111], v[72:73] neg_lo:[0,0,1] neg_hi:[0,0,1]
	s_delay_alu instid0(VALU_DEP_4)
	v_pk_fma_f32 v[70:71], v[128:129], v[112:113], v[68:69] op_sel_hi:[1,0,1]
	v_mov_b32_e32 v73, v67
	v_pk_add_f32 v[64:65], v[64:65], v[74:75]
	v_pk_mul_f32 v[66:67], v[176:177], v[66:67] op_sel_hi:[1,0]
	v_pk_fma_f32 v[68:69], v[128:129], v[112:113], v[68:69] neg_lo:[0,0,1] neg_hi:[0,0,1]
	v_mov_b32_e32 v69, v71
	s_delay_alu instid0(VALU_DEP_4) | instskip(NEXT) | instid1(VALU_DEP_4)
	v_pk_add_f32 v[64:65], v[64:65], v[72:73]
	v_pk_fma_f32 v[70:71], v[130:131], v[114:115], v[66:67] op_sel_hi:[1,0,1]
	v_pk_fma_f32 v[66:67], v[130:131], v[114:115], v[66:67] neg_lo:[0,0,1] neg_hi:[0,0,1]
	s_delay_alu instid0(VALU_DEP_3) | instskip(NEXT) | instid1(VALU_DEP_3)
	v_pk_add_f32 v[64:65], v[64:65], v[68:69]
	v_mov_b32_e32 v67, v71
	s_delay_alu instid0(VALU_DEP_1) | instskip(SKIP_1) | instid1(VALU_DEP_1)
	v_pk_add_f32 v[64:65], v[64:65], v[66:67]
	s_wait_loadcnt 0x0
	v_pk_add_f32 v[64:65], v[168:169], v[64:65] neg_lo:[0,1] neg_hi:[0,1]
	scratch_store_b64 off, v[64:65], off offset:32
	s_wait_xcnt 0x0
	v_cmpx_lt_u32_e32 3, v0
	s_cbranch_execz .LBB94_193
; %bb.192:
	scratch_load_b64 v[64:65], off, off offset:24
	v_mov_b64_e32 v[66:67], 0
	scratch_store_b64 off, v[66:67], off offset:24
	s_wait_loadcnt 0x0
	ds_store_b64 v1, v[64:65]
.LBB94_193:
	s_wait_xcnt 0x0
	s_or_b32 exec_lo, exec_lo, s0
	s_wait_storecnt_dscnt 0x0
	s_barrier_signal -1
	s_barrier_wait -1
	s_clause 0xe
	scratch_load_b128 v[64:67], off, off offset:32
	scratch_load_b128 v[68:71], off, off offset:48
	;; [unrolled: 1-line block ×13, first 2 shown]
	scratch_load_b64 v[168:169], off, off offset:240
	scratch_load_b64 v[170:171], off, off offset:24
	v_mov_b32_e32 v7, 0
	ds_load_b128 v[116:119], v7 offset:432
	ds_load_b128 v[120:123], v7 offset:448
	;; [unrolled: 1-line block ×13, first 2 shown]
	ds_load_b64 v[172:173], v7 offset:496
	s_mov_b32 s0, exec_lo
	s_wait_dscnt 0xd
	v_dual_mov_b32 v174, v119 :: v_dual_mov_b32 v175, v118
	s_wait_dscnt 0xa
	v_dual_mov_b32 v176, v123 :: v_dual_mov_b32 v181, v130
	v_dual_mov_b32 v177, v122 :: v_dual_mov_b32 v178, v127
	;; [unrolled: 1-line block ×3, first 2 shown]
	s_wait_loadcnt_dscnt 0xe09
	v_dual_mul_f32 v9, v132, v65 :: v_dual_mul_f32 v43, v133, v65
	v_dual_mul_f32 v45, v135, v67 :: v_dual_mul_f32 v11, v134, v67
	s_wait_loadcnt_dscnt 0xd08
	v_mul_f32_e32 v13, v136, v69
	s_wait_loadcnt_dscnt 0xb05
	v_dual_mul_f32 v55, v149, v77 :: v_dual_fma_f32 v43, v132, v64, -v43
	v_dual_fmac_f32 v9, v133, v64 :: v_dual_mul_f32 v57, v151, v79
	v_dual_mul_f32 v47, v137, v69 :: v_dual_mul_f32 v49, v139, v71
	v_dual_fmac_f32 v11, v135, v66 :: v_dual_fma_f32 v45, v134, v66, -v45
	s_delay_alu instid0(VALU_DEP_3) | instskip(SKIP_4) | instid1(VALU_DEP_3)
	v_dual_add_f32 v9, 0, v9 :: v_dual_add_f32 v43, 0, v43
	v_dual_mul_f32 v15, v138, v71 :: v_dual_mul_f32 v17, v140, v73
	s_wait_loadcnt_dscnt 0xa04
	v_dual_mul_f32 v59, v153, v81 :: v_dual_fma_f32 v47, v136, v68, -v47
	v_fmac_f32_e32 v13, v137, v68
	v_dual_add_f32 v9, v9, v11 :: v_dual_fmac_f32 v15, v139, v70
	v_add_f32_e32 v11, v43, v45
	v_dual_mul_f32 v51, v141, v73 :: v_dual_mul_f32 v53, v143, v75
	v_dual_mul_f32 v43, v155, v83 :: v_dual_fma_f32 v45, v138, v70, -v49
	s_delay_alu instid0(VALU_DEP_3) | instskip(SKIP_3) | instid1(VALU_DEP_3)
	v_dual_add_f32 v9, v9, v13 :: v_dual_add_f32 v11, v11, v47
	v_dual_mul_f32 v19, v142, v75 :: v_dual_mul_f32 v21, v148, v77
	s_wait_loadcnt_dscnt 0x903
	v_dual_mul_f32 v13, v157, v85 :: v_dual_fma_f32 v47, v140, v72, -v51
	v_dual_fmac_f32 v17, v141, v72 :: v_dual_add_f32 v11, v11, v45
	s_delay_alu instid0(VALU_DEP_3) | instskip(SKIP_1) | instid1(VALU_DEP_2)
	v_dual_add_f32 v9, v9, v15 :: v_dual_fmac_f32 v19, v143, v74
	v_dual_mul_f32 v15, v159, v87 :: v_dual_fma_f32 v45, v142, v74, -v53
	v_dual_add_f32 v11, v11, v47 :: v_dual_add_f32 v9, v9, v17
	v_dual_mul_f32 v23, v150, v79 :: v_dual_mul_f32 v25, v152, v81
	s_wait_loadcnt_dscnt 0x802
	v_dual_mul_f32 v17, v161, v89 :: v_dual_fma_f32 v47, v148, v76, -v55
	s_delay_alu instid0(VALU_DEP_3) | instskip(NEXT) | instid1(VALU_DEP_3)
	v_dual_fmac_f32 v21, v149, v76 :: v_dual_add_f32 v11, v11, v45
	v_dual_add_f32 v9, v9, v19 :: v_dual_fmac_f32 v23, v151, v78
	v_dual_mul_f32 v19, v163, v91 :: v_dual_fma_f32 v45, v150, v78, -v57
	s_delay_alu instid0(VALU_DEP_2) | instskip(SKIP_3) | instid1(VALU_DEP_3)
	v_dual_add_f32 v11, v11, v47 :: v_dual_add_f32 v9, v9, v21
	v_dual_mul_f32 v27, v154, v83 :: v_dual_mul_f32 v29, v156, v85
	s_wait_loadcnt_dscnt 0x701
	v_dual_mul_f32 v21, v165, v93 :: v_dual_fma_f32 v47, v152, v80, -v59
	v_dual_fmac_f32 v25, v153, v80 :: v_dual_add_f32 v11, v11, v45
	s_delay_alu instid0(VALU_DEP_3) | instskip(SKIP_1) | instid1(VALU_DEP_2)
	v_dual_add_f32 v9, v9, v23 :: v_dual_fmac_f32 v27, v155, v82
	v_dual_mul_f32 v23, v167, v95 :: v_dual_fma_f32 v43, v154, v82, -v43
	v_dual_add_f32 v11, v11, v47 :: v_dual_add_f32 v9, v9, v25
	v_dual_mul_f32 v31, v158, v87 :: v_dual_mul_f32 v33, v160, v89
	s_wait_loadcnt 0x6
	v_dual_mul_f32 v25, v145, v97 :: v_dual_fma_f32 v13, v156, v84, -v13
	s_delay_alu instid0(VALU_DEP_3) | instskip(NEXT) | instid1(VALU_DEP_3)
	v_dual_fmac_f32 v29, v157, v84 :: v_dual_add_f32 v11, v11, v43
	v_dual_add_f32 v9, v9, v27 :: v_dual_fmac_f32 v31, v159, v86
	v_dual_mul_f32 v27, v147, v99 :: v_dual_fma_f32 v15, v158, v86, -v15
	s_delay_alu instid0(VALU_DEP_3) | instskip(NEXT) | instid1(VALU_DEP_3)
	v_dual_add_f32 v11, v11, v13 :: v_dual_fmac_f32 v33, v161, v88
	v_dual_add_f32 v9, v9, v29 :: v_dual_fma_f32 v17, v160, v88, -v17
	v_dual_mul_f32 v35, v162, v91 :: v_dual_mul_f32 v37, v164, v93
	s_wait_loadcnt 0x5
	s_delay_alu instid0(VALU_DEP_3) | instskip(NEXT) | instid1(VALU_DEP_3)
	v_dual_mul_f32 v13, v117, v101 :: v_dual_add_f32 v11, v11, v15
	v_dual_add_f32 v9, v9, v31 :: v_dual_mov_b32 v64, v103
	s_delay_alu instid0(VALU_DEP_3) | instskip(NEXT) | instid1(VALU_DEP_3)
	v_fmac_f32_e32 v35, v163, v90
	v_dual_fma_f32 v15, v162, v90, -v19 :: v_dual_add_f32 v11, v11, v17
	s_delay_alu instid0(VALU_DEP_3) | instskip(SKIP_1) | instid1(VALU_DEP_3)
	v_dual_add_f32 v9, v9, v33 :: v_dual_mul_f32 v39, v166, v95
	v_dual_mul_f32 v41, v144, v97 :: v_dual_fmac_f32 v37, v165, v92
	v_dual_add_f32 v11, v11, v15 :: v_dual_fma_f32 v17, v164, v92, -v21
	s_wait_loadcnt 0x4
	s_delay_alu instid0(VALU_DEP_3) | instskip(SKIP_3) | instid1(VALU_DEP_4)
	v_dual_add_f32 v9, v9, v35 :: v_dual_mov_b32 v68, v107
	v_fma_f32 v15, v166, v94, -v23
	v_fmac_f32_e32 v39, v167, v94
	v_dual_add_f32 v11, v11, v17 :: v_dual_fmac_f32 v41, v145, v96
	v_dual_add_f32 v9, v9, v37 :: v_dual_mul_f32 v183, v146, v99
	v_mul_f32_e32 v185, v116, v101
	s_delay_alu instid0(VALU_DEP_3) | instskip(NEXT) | instid1(VALU_DEP_3)
	v_dual_fma_f32 v17, v144, v96, -v25 :: v_dual_add_f32 v11, v11, v15
	v_dual_fma_f32 v182, v146, v98, -v27 :: v_dual_add_f32 v9, v9, v39
	s_delay_alu instid0(VALU_DEP_4) | instskip(SKIP_1) | instid1(VALU_DEP_4)
	v_fmac_f32_e32 v183, v147, v98
	v_pk_mul_f32 v[64:65], v[174:175], v[64:65] op_sel_hi:[1,0]
	v_dual_add_f32 v72, v11, v17 :: v_dual_fmac_f32 v185, v117, v100
	s_delay_alu instid0(VALU_DEP_4)
	v_add_f32_e32 v73, v9, v41
	v_pk_mul_f32 v[66:67], v[120:121], v[104:105] op_sel:[1,1] op_sel_hi:[0,1]
	s_wait_loadcnt 0x3
	v_dual_mov_b32 v74, v111 :: v_dual_fma_f32 v184, v116, v100, -v13
	v_pk_fma_f32 v[76:77], v[118:119], v[102:103], v[64:65] op_sel_hi:[1,0,1]
	v_pk_add_f32 v[72:73], v[72:73], v[182:183]
	v_pk_fma_f32 v[64:65], v[118:119], v[102:103], v[64:65] neg_lo:[0,0,1] neg_hi:[0,0,1]
	v_pk_fma_f32 v[78:79], v[120:121], v[104:105], v[66:67] op_sel_hi:[1,0,1]
	v_pk_mul_f32 v[68:69], v[176:177], v[68:69] op_sel_hi:[1,0]
	v_mov_b32_e32 v65, v77
	v_pk_add_f32 v[72:73], v[72:73], v[184:185]
	v_pk_fma_f32 v[66:67], v[120:121], v[104:105], v[66:67] neg_lo:[0,0,1] neg_hi:[0,0,1]
	v_pk_mul_f32 v[70:71], v[124:125], v[108:109] op_sel:[1,1] op_sel_hi:[0,1]
	v_mov_b32_e32 v67, v79
	v_pk_fma_f32 v[78:79], v[122:123], v[106:107], v[68:69] op_sel_hi:[1,0,1]
	v_pk_add_f32 v[64:65], v[72:73], v[64:65]
	v_pk_fma_f32 v[68:69], v[122:123], v[106:107], v[68:69] neg_lo:[0,0,1] neg_hi:[0,0,1]
	v_pk_fma_f32 v[72:73], v[124:125], v[108:109], v[70:71] op_sel_hi:[1,0,1]
	v_pk_mul_f32 v[74:75], v[178:179], v[74:75] op_sel_hi:[1,0]
	v_mov_b32_e32 v69, v79
	v_pk_add_f32 v[64:65], v[64:65], v[66:67]
	v_pk_fma_f32 v[70:71], v[124:125], v[108:109], v[70:71] neg_lo:[0,0,1] neg_hi:[0,0,1]
	s_wait_loadcnt 0x2
	v_pk_mul_f32 v[76:77], v[128:129], v[112:113] op_sel:[1,1] op_sel_hi:[0,1]
	v_dual_mov_b32 v66, v115 :: v_dual_mov_b32 v71, v73
	v_pk_fma_f32 v[72:73], v[126:127], v[110:111], v[74:75] op_sel_hi:[1,0,1]
	v_pk_add_f32 v[64:65], v[64:65], v[68:69]
	v_pk_fma_f32 v[74:75], v[126:127], v[110:111], v[74:75] neg_lo:[0,0,1] neg_hi:[0,0,1]
	v_pk_fma_f32 v[68:69], v[128:129], v[112:113], v[76:77] op_sel_hi:[1,0,1]
	v_pk_mul_f32 v[66:67], v[180:181], v[66:67] op_sel_hi:[1,0]
	v_mov_b32_e32 v75, v73
	v_pk_add_f32 v[64:65], v[64:65], v[70:71]
	v_pk_fma_f32 v[70:71], v[128:129], v[112:113], v[76:77] neg_lo:[0,0,1] neg_hi:[0,0,1]
	v_mov_b32_e32 v71, v69
	v_pk_fma_f32 v[68:69], v[130:131], v[114:115], v[66:67] op_sel_hi:[1,0,1]
	s_wait_loadcnt_dscnt 0x100
	v_pk_mul_f32 v[72:73], v[172:173], v[168:169] op_sel:[1,1] op_sel_hi:[0,1]
	v_pk_add_f32 v[64:65], v[64:65], v[74:75]
	v_pk_fma_f32 v[66:67], v[130:131], v[114:115], v[66:67] neg_lo:[0,0,1] neg_hi:[0,0,1]
	v_mov_b32_e32 v67, v69
	s_delay_alu instid0(VALU_DEP_4) | instskip(NEXT) | instid1(VALU_DEP_4)
	v_pk_fma_f32 v[68:69], v[172:173], v[168:169], v[72:73] op_sel_hi:[1,0,1]
	v_pk_add_f32 v[64:65], v[64:65], v[70:71]
	v_pk_fma_f32 v[70:71], v[172:173], v[168:169], v[72:73] neg_lo:[0,0,1] neg_hi:[0,0,1]
	s_delay_alu instid0(VALU_DEP_3) | instskip(NEXT) | instid1(VALU_DEP_3)
	v_mov_b32_e32 v71, v69
	v_pk_add_f32 v[64:65], v[64:65], v[66:67]
	s_delay_alu instid0(VALU_DEP_1) | instskip(SKIP_1) | instid1(VALU_DEP_1)
	v_pk_add_f32 v[64:65], v[64:65], v[70:71]
	s_wait_loadcnt 0x0
	v_pk_add_f32 v[64:65], v[170:171], v[64:65] neg_lo:[0,1] neg_hi:[0,1]
	scratch_store_b64 off, v[64:65], off offset:24
	s_wait_xcnt 0x0
	v_cmpx_lt_u32_e32 2, v0
	s_cbranch_execz .LBB94_195
; %bb.194:
	scratch_load_b64 v[64:65], off, off offset:16
	v_mov_b64_e32 v[66:67], 0
	scratch_store_b64 off, v[66:67], off offset:16
	s_wait_loadcnt 0x0
	ds_store_b64 v1, v[64:65]
.LBB94_195:
	s_wait_xcnt 0x0
	s_or_b32 exec_lo, exec_lo, s0
	s_wait_storecnt_dscnt 0x0
	s_barrier_signal -1
	s_barrier_wait -1
	s_clause 0xe
	scratch_load_b128 v[64:67], off, off offset:24
	scratch_load_b128 v[68:71], off, off offset:40
	;; [unrolled: 1-line block ×14, first 2 shown]
	scratch_load_b64 v[176:177], off, off offset:16
	ds_load_2addr_b64 v[120:123], v7 offset0:55 offset1:56
	ds_load_2addr_b64 v[124:127], v7 offset0:57 offset1:58
	ds_load_2addr_b64 v[128:131], v7 offset0:59 offset1:60
	ds_load_2addr_b64 v[132:135], v7 offset0:61 offset1:62
	ds_load_2addr_b64 v[136:139], v7 offset0:35 offset1:36
	ds_load_2addr_b64 v[140:143], v7 offset0:37 offset1:38
	ds_load_2addr_b64 v[144:147], v7 offset0:39 offset1:40
	ds_load_2addr_b64 v[148:151], v7 offset0:41 offset1:42
	ds_load_2addr_b64 v[152:155], v7 offset0:43 offset1:44
	ds_load_2addr_b64 v[156:159], v7 offset0:45 offset1:46
	ds_load_2addr_b64 v[160:163], v7 offset0:47 offset1:48
	ds_load_2addr_b64 v[164:167], v7 offset0:49 offset1:50
	ds_load_2addr_b64 v[168:171], v7 offset0:51 offset1:52
	ds_load_2addr_b64 v[172:175], v7 offset0:53 offset1:54
	s_mov_b32 s0, exec_lo
	s_wait_dscnt 0xd
	v_dual_mov_b32 v178, v123 :: v_dual_mov_b32 v179, v122
	s_wait_dscnt 0xc
	v_dual_mov_b32 v180, v127 :: v_dual_mov_b32 v181, v126
	;; [unrolled: 2-line block ×4, first 2 shown]
	s_wait_loadcnt_dscnt 0xe09
	v_dual_mul_f32 v7, v136, v65 :: v_dual_mul_f32 v9, v138, v67
	v_dual_mul_f32 v43, v137, v65 :: v_dual_mul_f32 v45, v139, v67
	s_wait_loadcnt_dscnt 0xd08
	v_dual_mul_f32 v11, v140, v69 :: v_dual_mul_f32 v13, v142, v71
	s_delay_alu instid0(VALU_DEP_3) | instskip(SKIP_3) | instid1(VALU_DEP_3)
	v_dual_fmac_f32 v7, v137, v64 :: v_dual_fmac_f32 v9, v139, v66
	s_wait_loadcnt_dscnt 0xb06
	v_dual_fma_f32 v43, v136, v64, -v43 :: v_dual_mul_f32 v55, v149, v77
	v_dual_mul_f32 v47, v141, v69 :: v_dual_mul_f32 v49, v143, v71
	v_dual_fma_f32 v45, v138, v66, -v45 :: v_dual_add_f32 v7, 0, v7
	s_delay_alu instid0(VALU_DEP_3) | instskip(SKIP_1) | instid1(VALU_DEP_4)
	v_dual_add_f32 v43, 0, v43 :: v_dual_fmac_f32 v11, v141, v68
	v_dual_mul_f32 v15, v144, v73 :: v_dual_mul_f32 v17, v146, v75
	v_dual_mul_f32 v57, v151, v79 :: v_dual_fma_f32 v47, v140, v68, -v47
	s_delay_alu instid0(VALU_DEP_4) | instskip(NEXT) | instid1(VALU_DEP_3)
	v_add_f32_e32 v7, v7, v9
	v_dual_add_f32 v9, v43, v45 :: v_dual_fmac_f32 v15, v145, v72
	v_dual_mul_f32 v51, v145, v73 :: v_dual_mul_f32 v53, v147, v75
	s_wait_loadcnt_dscnt 0xa05
	v_dual_mul_f32 v43, v153, v81 :: v_dual_fmac_f32 v13, v143, v70
	v_dual_fma_f32 v45, v142, v70, -v49 :: v_dual_add_f32 v7, v7, v11
	s_delay_alu instid0(VALU_DEP_3) | instskip(SKIP_1) | instid1(VALU_DEP_3)
	v_dual_add_f32 v9, v9, v47 :: v_dual_fma_f32 v47, v144, v72, -v51
	v_dual_mul_f32 v19, v148, v77 :: v_dual_mul_f32 v21, v150, v79
	v_add_f32_e32 v7, v7, v13
	s_delay_alu instid0(VALU_DEP_3) | instskip(SKIP_2) | instid1(VALU_DEP_3)
	v_dual_mul_f32 v11, v155, v83 :: v_dual_add_f32 v9, v9, v45
	s_wait_loadcnt_dscnt 0x904
	v_dual_mul_f32 v13, v157, v85 :: v_dual_fmac_f32 v17, v147, v74
	v_dual_fma_f32 v45, v146, v74, -v53 :: v_dual_add_f32 v7, v7, v15
	s_delay_alu instid0(VALU_DEP_3) | instskip(SKIP_1) | instid1(VALU_DEP_3)
	v_dual_add_f32 v9, v9, v47 :: v_dual_fma_f32 v47, v148, v76, -v55
	v_dual_mul_f32 v15, v159, v87 :: v_dual_fmac_f32 v19, v149, v76
	v_add_f32_e32 v7, v7, v17
	s_delay_alu instid0(VALU_DEP_3)
	v_dual_add_f32 v9, v9, v45 :: v_dual_fmac_f32 v21, v151, v78
	v_dual_mul_f32 v23, v152, v81 :: v_dual_mul_f32 v25, v154, v83
	s_wait_loadcnt_dscnt 0x803
	v_dual_fma_f32 v45, v150, v78, -v57 :: v_dual_mul_f32 v17, v161, v89
	v_add_f32_e32 v7, v7, v19
	v_dual_add_f32 v9, v9, v47 :: v_dual_fma_f32 v43, v152, v80, -v43
	v_dual_mul_f32 v19, v163, v91 :: v_dual_fmac_f32 v23, v153, v80
	s_delay_alu instid0(VALU_DEP_3) | instskip(NEXT) | instid1(VALU_DEP_3)
	v_dual_add_f32 v7, v7, v21 :: v_dual_fma_f32 v11, v154, v82, -v11
	v_dual_add_f32 v9, v9, v45 :: v_dual_fmac_f32 v25, v155, v82
	v_dual_mul_f32 v27, v156, v85 :: v_dual_mul_f32 v29, v158, v87
	s_wait_loadcnt_dscnt 0x702
	s_delay_alu instid0(VALU_DEP_3) | instskip(NEXT) | instid1(VALU_DEP_3)
	v_dual_mul_f32 v21, v165, v93 :: v_dual_add_f32 v7, v7, v23
	v_dual_add_f32 v9, v9, v43 :: v_dual_fma_f32 v13, v156, v84, -v13
	s_delay_alu instid0(VALU_DEP_3) | instskip(NEXT) | instid1(VALU_DEP_2)
	v_dual_mul_f32 v23, v167, v95 :: v_dual_fmac_f32 v27, v157, v84
	v_dual_add_f32 v7, v7, v25 :: v_dual_add_f32 v9, v9, v11
	v_dual_mul_f32 v31, v160, v89 :: v_dual_mul_f32 v33, v162, v91
	s_wait_loadcnt_dscnt 0x601
	v_dual_mul_f32 v11, v169, v97 :: v_dual_fmac_f32 v29, v159, v86
	s_delay_alu instid0(VALU_DEP_3) | instskip(SKIP_2) | instid1(VALU_DEP_2)
	v_dual_fma_f32 v15, v158, v86, -v15 :: v_dual_add_f32 v7, v7, v27
	v_dual_add_f32 v9, v9, v13 :: v_dual_mul_f32 v13, v171, v99
	v_dual_fmac_f32 v31, v161, v88 :: v_dual_fma_f32 v17, v160, v88, -v17
	v_dual_add_f32 v7, v7, v29 :: v_dual_add_f32 v9, v9, v15
	v_dual_mul_f32 v35, v164, v93 :: v_dual_mul_f32 v37, v166, v95
	s_wait_loadcnt_dscnt 0x500
	v_dual_mul_f32 v15, v173, v101 :: v_dual_fmac_f32 v33, v163, v90
	s_delay_alu instid0(VALU_DEP_3) | instskip(SKIP_2) | instid1(VALU_DEP_2)
	v_dual_fma_f32 v19, v162, v90, -v19 :: v_dual_add_f32 v7, v7, v31
	v_dual_add_f32 v9, v9, v17 :: v_dual_mul_f32 v17, v175, v103
	v_dual_fmac_f32 v35, v165, v92 :: v_dual_fma_f32 v21, v164, v92, -v21
	v_dual_add_f32 v7, v7, v33 :: v_dual_add_f32 v9, v9, v19
	v_dual_mul_f32 v39, v168, v97 :: v_dual_mul_f32 v41, v170, v99
	v_dual_fmac_f32 v37, v167, v94 :: v_dual_fma_f32 v19, v166, v94, -v23
	s_delay_alu instid0(VALU_DEP_3) | instskip(SKIP_1) | instid1(VALU_DEP_3)
	v_dual_add_f32 v7, v7, v35 :: v_dual_add_f32 v9, v9, v21
	s_wait_loadcnt 0x4
	v_dual_mov_b32 v66, v107 :: v_dual_fmac_f32 v39, v169, v96
	s_delay_alu instid0(VALU_DEP_2) | instskip(NEXT) | instid1(VALU_DEP_3)
	v_dual_fma_f32 v11, v168, v96, -v11 :: v_dual_add_f32 v7, v7, v37
	v_dual_add_f32 v9, v9, v19 :: v_dual_fmac_f32 v41, v171, v98
	v_dual_mul_f32 v187, v172, v101 :: v_dual_mul_f32 v189, v174, v103
	s_delay_alu instid0(VALU_DEP_3) | instskip(SKIP_1) | instid1(VALU_DEP_3)
	v_dual_fma_f32 v13, v170, v98, -v13 :: v_dual_add_f32 v7, v7, v39
	s_wait_loadcnt 0x3
	v_dual_add_f32 v9, v9, v11 :: v_dual_mov_b32 v70, v111
	v_pk_mul_f32 v[64:65], v[120:121], v[104:105] op_sel:[1,1] op_sel_hi:[0,1]
	s_delay_alu instid0(VALU_DEP_3) | instskip(NEXT) | instid1(VALU_DEP_3)
	v_dual_fmac_f32 v187, v173, v100 :: v_dual_add_f32 v73, v7, v41
	v_dual_fma_f32 v186, v172, v100, -v15 :: v_dual_add_f32 v72, v9, v13
	v_fmac_f32_e32 v189, v175, v102
	s_delay_alu instid0(VALU_DEP_4)
	v_pk_fma_f32 v[74:75], v[120:121], v[104:105], v[64:65] op_sel_hi:[1,0,1]
	v_fma_f32 v188, v174, v102, -v17
	v_pk_mul_f32 v[66:67], v[178:179], v[66:67] op_sel_hi:[1,0]
	v_pk_add_f32 v[72:73], v[72:73], v[186:187]
	v_pk_fma_f32 v[64:65], v[120:121], v[104:105], v[64:65] neg_lo:[0,0,1] neg_hi:[0,0,1]
	v_pk_mul_f32 v[68:69], v[124:125], v[108:109] op_sel:[1,1] op_sel_hi:[0,1]
	v_mov_b32_e32 v65, v75
	v_pk_fma_f32 v[74:75], v[122:123], v[106:107], v[66:67] op_sel_hi:[1,0,1]
	v_pk_add_f32 v[72:73], v[72:73], v[188:189]
	v_pk_fma_f32 v[66:67], v[122:123], v[106:107], v[66:67] neg_lo:[0,0,1] neg_hi:[0,0,1]
	v_pk_fma_f32 v[78:79], v[124:125], v[108:109], v[68:69] op_sel_hi:[1,0,1]
	v_pk_mul_f32 v[70:71], v[180:181], v[70:71] op_sel_hi:[1,0]
	v_mov_b32_e32 v67, v75
	v_pk_add_f32 v[64:65], v[72:73], v[64:65]
	s_wait_loadcnt 0x2
	v_pk_mul_f32 v[76:77], v[128:129], v[112:113] op_sel:[1,1] op_sel_hi:[0,1]
	v_mov_b32_e32 v72, v115
	v_pk_fma_f32 v[68:69], v[124:125], v[108:109], v[68:69] neg_lo:[0,0,1] neg_hi:[0,0,1]
	v_pk_fma_f32 v[74:75], v[126:127], v[110:111], v[70:71] op_sel_hi:[1,0,1]
	v_mov_b32_e32 v69, v79
	v_pk_add_f32 v[64:65], v[64:65], v[66:67]
	v_pk_fma_f32 v[66:67], v[128:129], v[112:113], v[76:77] op_sel_hi:[1,0,1]
	v_pk_mul_f32 v[72:73], v[182:183], v[72:73] op_sel_hi:[1,0]
	v_pk_fma_f32 v[70:71], v[126:127], v[110:111], v[70:71] neg_lo:[0,0,1] neg_hi:[0,0,1]
	v_mov_b32_e32 v71, v75
	v_pk_add_f32 v[64:65], v[64:65], v[68:69]
	v_pk_fma_f32 v[74:75], v[128:129], v[112:113], v[76:77] neg_lo:[0,0,1] neg_hi:[0,0,1]
	v_mov_b32_e32 v75, v67
	v_pk_fma_f32 v[66:67], v[130:131], v[114:115], v[72:73] op_sel_hi:[1,0,1]
	s_wait_loadcnt 0x1
	v_pk_mul_f32 v[68:69], v[132:133], v[116:117] op_sel:[1,1] op_sel_hi:[0,1]
	v_pk_add_f32 v[64:65], v[64:65], v[70:71]
	v_mov_b32_e32 v66, v119
	v_pk_fma_f32 v[72:73], v[130:131], v[114:115], v[72:73] neg_lo:[0,0,1] neg_hi:[0,0,1]
	s_delay_alu instid0(VALU_DEP_4)
	v_pk_fma_f32 v[70:71], v[132:133], v[116:117], v[68:69] op_sel_hi:[1,0,1]
	v_mov_b32_e32 v73, v67
	v_pk_add_f32 v[64:65], v[64:65], v[74:75]
	v_pk_mul_f32 v[66:67], v[184:185], v[66:67] op_sel_hi:[1,0]
	v_pk_fma_f32 v[68:69], v[132:133], v[116:117], v[68:69] neg_lo:[0,0,1] neg_hi:[0,0,1]
	v_mov_b32_e32 v69, v71
	s_delay_alu instid0(VALU_DEP_4) | instskip(NEXT) | instid1(VALU_DEP_4)
	v_pk_add_f32 v[64:65], v[64:65], v[72:73]
	v_pk_fma_f32 v[70:71], v[134:135], v[118:119], v[66:67] op_sel_hi:[1,0,1]
	v_pk_fma_f32 v[66:67], v[134:135], v[118:119], v[66:67] neg_lo:[0,0,1] neg_hi:[0,0,1]
	s_delay_alu instid0(VALU_DEP_3) | instskip(NEXT) | instid1(VALU_DEP_3)
	v_pk_add_f32 v[64:65], v[64:65], v[68:69]
	v_mov_b32_e32 v67, v71
	s_delay_alu instid0(VALU_DEP_1) | instskip(SKIP_1) | instid1(VALU_DEP_1)
	v_pk_add_f32 v[64:65], v[64:65], v[66:67]
	s_wait_loadcnt 0x0
	v_pk_add_f32 v[64:65], v[176:177], v[64:65] neg_lo:[0,1] neg_hi:[0,1]
	scratch_store_b64 off, v[64:65], off offset:16
	s_wait_xcnt 0x0
	v_cmpx_lt_u32_e32 1, v0
	s_cbranch_execz .LBB94_197
; %bb.196:
	scratch_load_b64 v[64:65], off, off offset:8
	v_mov_b64_e32 v[66:67], 0
	scratch_store_b64 off, v[66:67], off offset:8
	s_wait_loadcnt 0x0
	ds_store_b64 v1, v[64:65]
.LBB94_197:
	s_wait_xcnt 0x0
	s_or_b32 exec_lo, exec_lo, s0
	s_wait_storecnt_dscnt 0x0
	s_barrier_signal -1
	s_barrier_wait -1
	s_clause 0xf
	scratch_load_b128 v[66:69], off, off offset:16
	scratch_load_b128 v[70:73], off, off offset:32
	;; [unrolled: 1-line block ×14, first 2 shown]
	scratch_load_b64 v[178:179], off, off offset:240
	scratch_load_b64 v[180:181], off, off offset:8
	v_dual_mov_b32 v64, 0 :: v_dual_ashrrev_i32 v23, 31, v22
	v_dual_ashrrev_i32 v7, 31, v6 :: v_dual_ashrrev_i32 v9, 31, v8
	v_dual_ashrrev_i32 v11, 31, v10 :: v_dual_ashrrev_i32 v13, 31, v12
	ds_load_b128 v[122:125], v64 offset:432
	ds_load_b128 v[138:141], v64 offset:272
	;; [unrolled: 1-line block ×14, first 2 shown]
	ds_load_b64 v[182:183], v64 offset:496
	v_dual_ashrrev_i32 v15, 31, v14 :: v_dual_ashrrev_i32 v17, 31, v16
	v_dual_ashrrev_i32 v19, 31, v18 :: v_dual_ashrrev_i32 v21, 31, v20
	;; [unrolled: 1-line block ×6, first 2 shown]
	s_mov_b32 s0, exec_lo
	s_wait_dscnt 0xe
	v_dual_mov_b32 v184, v125 :: v_dual_mov_b32 v185, v124
	s_wait_dscnt 0xc
	v_dual_mov_b32 v186, v129 :: v_dual_mov_b32 v187, v128
	;; [unrolled: 2-line block ×4, first 2 shown]
	s_wait_loadcnt 0xf
	v_dual_mul_f32 v41, v138, v67 :: v_dual_mul_f32 v43, v140, v69
	v_dual_mul_f32 v45, v139, v67 :: v_dual_mul_f32 v47, v141, v69
	s_wait_loadcnt_dscnt 0xc07
	v_dual_mul_f32 v61, v150, v79 :: v_dual_mul_f32 v63, v152, v81
	s_delay_alu instid0(VALU_DEP_2)
	v_dual_mul_f32 v79, v151, v79 :: v_dual_fma_f32 v45, v138, v66, -v45
	v_dual_fmac_f32 v41, v139, v66 :: v_dual_mul_f32 v49, v142, v71
	s_wait_loadcnt 0x5
	v_dual_mul_f32 v51, v144, v73 :: v_dual_mul_f32 v69, v122, v107
	v_dual_mul_f32 v55, v143, v71 :: v_dual_mul_f32 v59, v148, v77
	v_dual_mul_f32 v66, v153, v81 :: v_dual_fma_f32 v47, v140, v68, -v47
	v_dual_fmac_f32 v43, v141, v68 :: v_dual_add_f32 v41, 0, v41
	s_wait_dscnt 0x6
	v_dual_add_f32 v45, 0, v45 :: v_dual_mul_f32 v68, v155, v83
	v_dual_mul_f32 v53, v146, v75 :: v_dual_mul_f32 v57, v145, v73
	v_dual_fmac_f32 v49, v143, v70 :: v_dual_fma_f32 v55, v142, v70, -v55
	v_add_f32_e32 v41, v41, v43
	s_delay_alu instid0(VALU_DEP_3) | instskip(SKIP_1) | instid1(VALU_DEP_2)
	v_dual_add_f32 v43, v45, v47 :: v_dual_fmac_f32 v53, v147, v74
	v_dual_mul_f32 v75, v147, v75 :: v_dual_mul_f32 v77, v149, v77
	v_dual_mul_f32 v45, v157, v85 :: v_dual_add_f32 v43, v43, v55
	v_dual_fmac_f32 v51, v145, v72 :: v_dual_fma_f32 v47, v144, v72, -v57
	s_delay_alu instid0(VALU_DEP_3)
	v_dual_add_f32 v41, v41, v49 :: v_dual_fma_f32 v55, v146, v74, -v75
	s_wait_dscnt 0x5
	v_mul_f32_e32 v49, v159, v87
	v_fmac_f32_e32 v61, v151, v78
	v_dual_add_f32 v43, v43, v47 :: v_dual_mul_f32 v47, v161, v89
	v_dual_add_f32 v41, v41, v51 :: v_dual_fma_f32 v51, v148, v76, -v77
	s_delay_alu instid0(VALU_DEP_2) | instskip(NEXT) | instid1(VALU_DEP_2)
	v_dual_fmac_f32 v59, v149, v76 :: v_dual_add_f32 v43, v43, v55
	v_dual_fma_f32 v55, v150, v78, -v79 :: v_dual_add_f32 v41, v41, v53
	s_wait_dscnt 0x4
	v_mul_f32_e32 v53, v163, v91
	v_dual_mul_f32 v65, v154, v83 :: v_dual_mul_f32 v71, v156, v85
	v_dual_add_f32 v43, v43, v51 :: v_dual_mul_f32 v51, v165, v93
	v_dual_add_f32 v41, v41, v59 :: v_dual_fma_f32 v57, v152, v80, -v66
	s_delay_alu instid0(VALU_DEP_2) | instskip(SKIP_1) | instid1(VALU_DEP_2)
	v_dual_fmac_f32 v63, v153, v80 :: v_dual_add_f32 v43, v43, v55
	s_wait_dscnt 0x3
	v_dual_mul_f32 v55, v167, v95 :: v_dual_add_f32 v41, v41, v61
	v_dual_fmac_f32 v65, v155, v82 :: v_dual_fma_f32 v59, v154, v82, -v68
	s_delay_alu instid0(VALU_DEP_3) | instskip(NEXT) | instid1(VALU_DEP_3)
	v_dual_add_f32 v43, v43, v57 :: v_dual_mul_f32 v73, v158, v87
	v_dual_mul_f32 v192, v160, v89 :: v_dual_add_f32 v41, v41, v63
	v_dual_mul_f32 v57, v169, v97 :: v_dual_fma_f32 v45, v156, v84, -v45
	s_delay_alu instid0(VALU_DEP_3) | instskip(SKIP_1) | instid1(VALU_DEP_3)
	v_dual_fmac_f32 v71, v157, v84 :: v_dual_add_f32 v43, v43, v59
	s_wait_dscnt 0x2
	v_dual_add_f32 v41, v41, v65 :: v_dual_mul_f32 v59, v171, v99
	v_fmac_f32_e32 v73, v159, v86
	s_delay_alu instid0(VALU_DEP_3) | instskip(NEXT) | instid1(VALU_DEP_3)
	v_dual_fma_f32 v49, v158, v86, -v49 :: v_dual_add_f32 v43, v43, v45
	v_add_f32_e32 v41, v41, v71
	v_dual_mul_f32 v193, v162, v91 :: v_dual_mul_f32 v194, v164, v93
	v_dual_mul_f32 v45, v173, v101 :: v_dual_fma_f32 v47, v160, v88, -v47
	s_delay_alu instid0(VALU_DEP_4) | instskip(SKIP_3) | instid1(VALU_DEP_3)
	v_dual_fmac_f32 v192, v161, v88 :: v_dual_add_f32 v43, v43, v49
	s_wait_dscnt 0x1
	v_dual_add_f32 v41, v41, v73 :: v_dual_mul_f32 v49, v175, v103
	v_fmac_f32_e32 v193, v163, v90
	v_dual_fma_f32 v53, v162, v90, -v53 :: v_dual_add_f32 v43, v43, v47
	s_delay_alu instid0(VALU_DEP_3) | instskip(SKIP_2) | instid1(VALU_DEP_4)
	v_dual_add_f32 v41, v41, v192 :: v_dual_mul_f32 v195, v166, v95
	v_mul_f32_e32 v196, v168, v97
	v_dual_mul_f32 v47, v177, v105 :: v_dual_fma_f32 v51, v164, v92, -v51
	v_dual_fmac_f32 v194, v165, v92 :: v_dual_add_f32 v43, v43, v53
	s_delay_alu instid0(VALU_DEP_4) | instskip(SKIP_1) | instid1(VALU_DEP_3)
	v_dual_add_f32 v41, v41, v193 :: v_dual_mul_f32 v53, v123, v107
	v_dual_fmac_f32 v195, v167, v94 :: v_dual_mov_b32 v68, v109
	v_dual_fma_f32 v55, v166, v94, -v55 :: v_dual_add_f32 v43, v43, v51
	s_delay_alu instid0(VALU_DEP_3) | instskip(SKIP_1) | instid1(VALU_DEP_3)
	v_dual_add_f32 v41, v41, v194 :: v_dual_fma_f32 v51, v168, v96, -v57
	v_dual_mul_f32 v197, v170, v99 :: v_dual_mul_f32 v198, v172, v101
	v_dual_fmac_f32 v196, v169, v96 :: v_dual_add_f32 v43, v43, v55
	s_delay_alu instid0(VALU_DEP_2) | instskip(SKIP_2) | instid1(VALU_DEP_3)
	v_dual_add_f32 v41, v41, v195 :: v_dual_fmac_f32 v197, v171, v98
	v_fma_f32 v55, v170, v98, -v59
	v_dual_mul_f32 v199, v174, v103 :: v_dual_mul_f32 v67, v176, v105
	v_dual_add_f32 v41, v41, v196 :: v_dual_add_f32 v43, v43, v51
	s_wait_loadcnt 0x4
	v_mov_b32_e32 v72, v113
	v_dual_fmac_f32 v198, v173, v100 :: v_dual_fma_f32 v45, v172, v100, -v45
	s_delay_alu instid0(VALU_DEP_3) | instskip(SKIP_2) | instid1(VALU_DEP_3)
	v_dual_add_f32 v41, v41, v197 :: v_dual_add_f32 v43, v43, v55
	v_dual_fmac_f32 v199, v175, v102 :: v_dual_fma_f32 v49, v174, v102, -v49
	v_pk_mul_f32 v[76:77], v[184:185], v[68:69] op_sel_hi:[1,0]
	v_dual_add_f32 v41, v41, v198 :: v_dual_add_f32 v43, v43, v45
	v_fmac_f32_e32 v67, v177, v104
	v_fma_f32 v66, v176, v104, -v47
	v_pk_mul_f32 v[70:71], v[126:127], v[110:111] op_sel:[1,1] op_sel_hi:[0,1]
	s_delay_alu instid0(VALU_DEP_4)
	v_dual_add_f32 v79, v41, v199 :: v_dual_add_f32 v78, v43, v49
	s_wait_loadcnt 0x3
	v_dual_mov_b32 v80, v117 :: v_dual_fmac_f32 v69, v123, v106
	v_pk_fma_f32 v[82:83], v[124:125], v[108:109], v[76:77] op_sel_hi:[1,0,1]
	v_fma_f32 v68, v122, v106, -v53
	v_pk_add_f32 v[66:67], v[78:79], v[66:67]
	v_pk_fma_f32 v[76:77], v[124:125], v[108:109], v[76:77] neg_lo:[0,0,1] neg_hi:[0,0,1]
	v_pk_fma_f32 v[78:79], v[126:127], v[110:111], v[70:71] op_sel_hi:[1,0,1]
	v_pk_mul_f32 v[72:73], v[186:187], v[72:73] op_sel_hi:[1,0]
	v_mov_b32_e32 v77, v83
	v_pk_add_f32 v[66:67], v[66:67], v[68:69]
	v_pk_fma_f32 v[70:71], v[126:127], v[110:111], v[70:71] neg_lo:[0,0,1] neg_hi:[0,0,1]
	v_pk_mul_f32 v[74:75], v[130:131], v[114:115] op_sel:[1,1] op_sel_hi:[0,1]
	v_mov_b32_e32 v71, v79
	v_pk_fma_f32 v[78:79], v[128:129], v[112:113], v[72:73] op_sel_hi:[1,0,1]
	v_pk_add_f32 v[66:67], v[66:67], v[76:77]
	v_pk_fma_f32 v[72:73], v[128:129], v[112:113], v[72:73] neg_lo:[0,0,1] neg_hi:[0,0,1]
	v_pk_fma_f32 v[76:77], v[130:131], v[114:115], v[74:75] op_sel_hi:[1,0,1]
	v_pk_mul_f32 v[80:81], v[188:189], v[80:81] op_sel_hi:[1,0]
	v_mov_b32_e32 v73, v79
	v_pk_add_f32 v[66:67], v[66:67], v[70:71]
	v_pk_fma_f32 v[74:75], v[130:131], v[114:115], v[74:75] neg_lo:[0,0,1] neg_hi:[0,0,1]
	s_wait_loadcnt 0x2
	v_pk_mul_f32 v[68:69], v[134:135], v[118:119] op_sel:[1,1] op_sel_hi:[0,1]
	v_dual_mov_b32 v70, v121 :: v_dual_mov_b32 v75, v77
	v_pk_fma_f32 v[76:77], v[132:133], v[116:117], v[80:81] op_sel_hi:[1,0,1]
	v_pk_add_f32 v[66:67], v[66:67], v[72:73]
	v_pk_fma_f32 v[78:79], v[132:133], v[116:117], v[80:81] neg_lo:[0,0,1] neg_hi:[0,0,1]
	v_pk_fma_f32 v[72:73], v[134:135], v[118:119], v[68:69] op_sel_hi:[1,0,1]
	v_pk_mul_f32 v[70:71], v[190:191], v[70:71] op_sel_hi:[1,0]
	v_dual_mov_b32 v79, v77 :: v_dual_ashrrev_i32 v41, 31, v40
	v_pk_add_f32 v[66:67], v[66:67], v[74:75]
	v_pk_fma_f32 v[68:69], v[134:135], v[118:119], v[68:69] neg_lo:[0,0,1] neg_hi:[0,0,1]
	v_dual_mov_b32 v69, v73 :: v_dual_ashrrev_i32 v43, 31, v42
	v_pk_fma_f32 v[72:73], v[136:137], v[120:121], v[70:71] op_sel_hi:[1,0,1]
	s_delay_alu instid0(VALU_DEP_4)
	v_pk_add_f32 v[66:67], v[66:67], v[78:79]
	s_wait_loadcnt_dscnt 0x100
	v_pk_mul_f32 v[74:75], v[182:183], v[178:179] op_sel:[1,1] op_sel_hi:[0,1]
	v_pk_fma_f32 v[70:71], v[136:137], v[120:121], v[70:71] neg_lo:[0,0,1] neg_hi:[0,0,1]
	v_dual_ashrrev_i32 v45, 31, v44 :: v_dual_mov_b32 v71, v73
	v_pk_add_f32 v[66:67], v[66:67], v[68:69]
	s_delay_alu instid0(VALU_DEP_4)
	v_pk_fma_f32 v[68:69], v[182:183], v[178:179], v[74:75] op_sel_hi:[1,0,1]
	v_pk_fma_f32 v[72:73], v[182:183], v[178:179], v[74:75] neg_lo:[0,0,1] neg_hi:[0,0,1]
	v_dual_ashrrev_i32 v47, 31, v46 :: v_dual_ashrrev_i32 v49, 31, v48
	v_ashrrev_i32_e32 v51, 31, v50
	v_pk_add_f32 v[66:67], v[66:67], v[70:71]
	v_dual_mov_b32 v73, v69 :: v_dual_ashrrev_i32 v53, 31, v52
	v_dual_ashrrev_i32 v55, 31, v54 :: v_dual_ashrrev_i32 v57, 31, v56
	v_ashrrev_i32_e32 v59, 31, v58
	s_delay_alu instid0(VALU_DEP_3) | instskip(SKIP_2) | instid1(VALU_DEP_2)
	v_pk_add_f32 v[66:67], v[66:67], v[72:73]
	v_dual_ashrrev_i32 v61, 31, v60 :: v_dual_ashrrev_i32 v63, 31, v62
	s_wait_loadcnt 0x0
	v_pk_add_f32 v[66:67], v[180:181], v[66:67] neg_lo:[0,1] neg_hi:[0,1]
	scratch_store_b64 off, v[66:67], off offset:8
	s_wait_xcnt 0x0
	v_cmpx_ne_u32_e32 0, v0
	s_cbranch_execz .LBB94_199
; %bb.198:
	scratch_load_b64 v[66:67], off, off
	v_mov_b64_e32 v[68:69], 0
	scratch_store_b64 off, v[68:69], off
	s_wait_loadcnt 0x0
	ds_store_b64 v1, v[66:67]
.LBB94_199:
	s_wait_xcnt 0x0
	s_or_b32 exec_lo, exec_lo, s0
	s_wait_storecnt_dscnt 0x0
	s_barrier_signal -1
	s_barrier_wait -1
	s_clause 0xf
	scratch_load_b128 v[66:69], off, off offset:8
	scratch_load_b128 v[70:73], off, off offset:24
	;; [unrolled: 1-line block ×15, first 2 shown]
	scratch_load_b64 v[0:1], off, off
	ds_load_2addr_b64 v[126:129], v64 offset0:55 offset1:56
	ds_load_2addr_b64 v[130:133], v64 offset0:57 offset1:58
	;; [unrolled: 1-line block ×15, first 2 shown]
	s_and_b32 vcc_lo, exec_lo, s12
	s_wait_dscnt 0xe
	v_dual_mov_b32 v64, v129 :: v_dual_mov_b32 v65, v128
	s_wait_dscnt 0xd
	v_dual_mov_b32 v186, v133 :: v_dual_mov_b32 v187, v132
	;; [unrolled: 2-line block ×4, first 2 shown]
	s_wait_loadcnt_dscnt 0xf0a
	v_dual_mul_f32 v192, v142, v67 :: v_dual_mul_f32 v194, v144, v69
	v_dual_mul_f32 v67, v143, v67 :: v_dual_mul_f32 v69, v145, v69
	s_wait_loadcnt_dscnt 0xc06
	v_dual_mul_f32 v200, v158, v79 :: v_dual_mul_f32 v201, v160, v81
	v_mul_f32_e32 v79, v159, v79
	s_delay_alu instid0(VALU_DEP_3)
	v_dual_fmac_f32 v192, v143, v66 :: v_dual_fma_f32 v66, v142, v66, -v67
	v_dual_mul_f32 v196, v146, v71 :: v_dual_mul_f32 v197, v148, v73
	v_dual_mul_f32 v71, v147, v71 :: v_dual_mul_f32 v73, v149, v73
	v_mul_f32_e32 v67, v161, v81
	v_dual_fmac_f32 v194, v145, v68 :: v_dual_fma_f32 v68, v144, v68, -v69
	v_dual_add_f32 v69, 0, v192 :: v_dual_add_f32 v66, 0, v66
	s_wait_loadcnt_dscnt 0xb05
	v_mul_f32_e32 v81, v163, v83
	v_dual_fmac_f32 v196, v147, v70 :: v_dual_fma_f32 v70, v146, v70, -v71
	s_delay_alu instid0(VALU_DEP_3) | instskip(SKIP_3) | instid1(VALU_DEP_3)
	v_dual_add_f32 v69, v69, v194 :: v_dual_fma_f32 v71, v148, v72, -v73
	v_add_f32_e32 v66, v66, v68
	v_dual_mul_f32 v198, v154, v75 :: v_dual_mul_f32 v199, v156, v77
	v_dual_mul_f32 v75, v155, v75 :: v_dual_mul_f32 v77, v157, v77
	v_dual_mul_f32 v68, v165, v85 :: v_dual_add_f32 v66, v66, v70
	s_wait_loadcnt_dscnt 0xa04
	v_dual_fmac_f32 v197, v149, v72 :: v_dual_mul_f32 v70, v167, v87
	v_dual_add_f32 v69, v69, v196 :: v_dual_fmac_f32 v198, v155, v74
	v_fma_f32 v72, v154, v74, -v75
	v_dual_add_f32 v66, v66, v71 :: v_dual_mul_f32 v71, v169, v89
	s_delay_alu instid0(VALU_DEP_3) | instskip(SKIP_2) | instid1(VALU_DEP_3)
	v_add_f32_e32 v69, v69, v197
	v_dual_fmac_f32 v199, v157, v76 :: v_dual_fma_f32 v73, v156, v76, -v77
	s_wait_loadcnt_dscnt 0x903
	v_dual_add_f32 v66, v66, v72 :: v_dual_mul_f32 v72, v171, v91
	v_fma_f32 v74, v158, v78, -v79
	v_add_f32_e32 v69, v69, v198
	s_delay_alu instid0(VALU_DEP_3) | instskip(SKIP_1) | instid1(VALU_DEP_3)
	v_dual_fmac_f32 v200, v159, v78 :: v_dual_add_f32 v66, v66, v73
	v_dual_fmac_f32 v201, v161, v80 :: v_dual_mul_f32 v202, v162, v83
	v_dual_mul_f32 v203, v164, v85 :: v_dual_add_f32 v69, v69, v199
	v_dual_mul_f32 v73, v173, v93 :: v_dual_fma_f32 v67, v160, v80, -v67
	s_wait_loadcnt_dscnt 0x802
	v_dual_add_f32 v66, v66, v74 :: v_dual_mul_f32 v74, v175, v95
	s_delay_alu instid0(VALU_DEP_3) | instskip(NEXT) | instid1(VALU_DEP_2)
	v_dual_fma_f32 v75, v162, v82, -v81 :: v_dual_add_f32 v69, v69, v200
	v_dual_fmac_f32 v202, v163, v82 :: v_dual_add_f32 v66, v66, v67
	v_dual_mul_f32 v67, v177, v97 :: v_dual_mul_f32 v204, v166, v87
	v_mul_f32_e32 v205, v168, v89
	s_delay_alu instid0(VALU_DEP_4)
	v_add_f32_e32 v69, v69, v201
	v_dual_fmac_f32 v203, v165, v84 :: v_dual_fma_f32 v68, v164, v84, -v68
	v_add_f32_e32 v66, v66, v75
	s_wait_loadcnt_dscnt 0x701
	v_dual_mul_f32 v75, v179, v99 :: v_dual_fma_f32 v70, v166, v86, -v70
	v_add_f32_e32 v69, v69, v202
	s_delay_alu instid0(VALU_DEP_3) | instskip(SKIP_1) | instid1(VALU_DEP_3)
	v_dual_fmac_f32 v204, v167, v86 :: v_dual_add_f32 v66, v66, v68
	v_dual_mul_f32 v76, v181, v101 :: v_dual_mul_f32 v206, v170, v91
	v_dual_mul_f32 v207, v172, v93 :: v_dual_add_f32 v69, v69, v203
	v_dual_fmac_f32 v205, v169, v88 :: v_dual_fma_f32 v68, v168, v88, -v71
	s_wait_loadcnt_dscnt 0x600
	v_dual_add_f32 v66, v66, v70 :: v_dual_mul_f32 v77, v183, v103
	s_delay_alu instid0(VALU_DEP_3) | instskip(NEXT) | instid1(VALU_DEP_2)
	v_dual_fma_f32 v70, v170, v90, -v72 :: v_dual_add_f32 v69, v69, v204
	v_dual_fmac_f32 v206, v171, v90 :: v_dual_add_f32 v66, v66, v68
	v_dual_mul_f32 v78, v185, v105 :: v_dual_mul_f32 v208, v174, v95
	v_mul_f32_e32 v209, v176, v97
	s_delay_alu instid0(VALU_DEP_4)
	v_add_f32_e32 v69, v69, v205
	v_dual_fmac_f32 v207, v173, v92 :: v_dual_fma_f32 v68, v172, v92, -v73
	s_wait_loadcnt 0x5
	v_mul_f32_e32 v73, v151, v107
	v_fmac_f32_e32 v208, v175, v94
	v_add_f32_e32 v69, v69, v206
	v_add_f32_e32 v66, v66, v70
	v_fma_f32 v70, v174, v94, -v74
	v_dual_mul_f32 v210, v178, v99 :: v_dual_mul_f32 v211, v180, v101
	s_delay_alu instid0(VALU_DEP_3) | instskip(SKIP_2) | instid1(VALU_DEP_3)
	v_dual_add_f32 v69, v69, v207 :: v_dual_add_f32 v66, v66, v68
	v_mul_f32_e32 v79, v153, v109
	v_dual_fmac_f32 v209, v177, v96 :: v_dual_fma_f32 v68, v176, v96, -v67
	v_dual_add_f32 v69, v69, v208 :: v_dual_add_f32 v70, v66, v70
	v_dual_fmac_f32 v210, v179, v98 :: v_dual_fma_f32 v71, v178, v98, -v75
	v_dual_mul_f32 v212, v182, v103 :: v_dual_mul_f32 v213, v184, v105
	s_delay_alu instid0(VALU_DEP_3) | instskip(SKIP_2) | instid1(VALU_DEP_3)
	v_dual_add_f32 v69, v69, v209 :: v_dual_add_f32 v70, v70, v68
	s_wait_loadcnt 0x4
	v_dual_mov_b32 v68, v113 :: v_dual_fma_f32 v72, v180, v100, -v76
	v_dual_fmac_f32 v211, v181, v100 :: v_dual_fmac_f32 v212, v183, v102
	v_fma_f32 v75, v182, v102, -v77
	v_dual_add_f32 v74, v70, v71 :: v_dual_add_f32 v69, v69, v210
	v_dual_mul_f32 v193, v150, v107 :: v_dual_mul_f32 v195, v152, v109
	v_pk_mul_f32 v[66:67], v[126:127], v[110:111] op_sel:[1,1] op_sel_hi:[0,1]
	s_delay_alu instid0(VALU_DEP_3) | instskip(SKIP_2) | instid1(VALU_DEP_2)
	v_dual_add_f32 v74, v74, v72 :: v_dual_add_f32 v69, v69, v211
	s_wait_loadcnt 0x3
	v_dual_fma_f32 v76, v184, v104, -v78 :: v_dual_mov_b32 v72, v117
	v_dual_fmac_f32 v193, v151, v106 :: v_dual_add_f32 v78, v74, v75
	s_delay_alu instid0(VALU_DEP_3)
	v_add_f32_e32 v69, v69, v212
	v_fma_f32 v194, v152, v108, -v79
	v_pk_mul_f32 v[70:71], v[130:131], v[114:115] op_sel:[1,1] op_sel_hi:[0,1]
	s_wait_loadcnt 0x2
	v_pk_mul_f32 v[74:75], v[134:135], v[118:119] op_sel:[1,1] op_sel_hi:[0,1]
	v_add_f32_e32 v76, v78, v76
	v_pk_fma_f32 v[78:79], v[126:127], v[110:111], v[66:67] op_sel_hi:[1,0,1]
	v_fmac_f32_e32 v213, v185, v104
	v_pk_mul_f32 v[64:65], v[64:65], v[68:69] op_sel_hi:[1,0]
	v_pk_fma_f32 v[66:67], v[126:127], v[110:111], v[66:67] neg_lo:[0,0,1] neg_hi:[0,0,1]
	v_pk_fma_f32 v[80:81], v[130:131], v[114:115], v[70:71] op_sel_hi:[1,0,1]
	v_dual_mov_b32 v67, v79 :: v_dual_fma_f32 v192, v150, v106, -v73
	v_add_f32_e32 v77, v69, v213
	v_pk_fma_f32 v[78:79], v[128:129], v[112:113], v[64:65] op_sel_hi:[1,0,1]
	v_pk_mul_f32 v[72:73], v[186:187], v[72:73] op_sel_hi:[1,0]
	v_pk_fma_f32 v[64:65], v[128:129], v[112:113], v[64:65] neg_lo:[0,0,1] neg_hi:[0,0,1]
	v_pk_fma_f32 v[70:71], v[130:131], v[114:115], v[70:71] neg_lo:[0,0,1] neg_hi:[0,0,1]
	s_delay_alu instid0(VALU_DEP_4) | instskip(SKIP_4) | instid1(VALU_DEP_3)
	v_dual_mov_b32 v71, v81 :: v_dual_mov_b32 v65, v79
	v_pk_add_f32 v[68:69], v[76:77], v[192:193]
	v_pk_fma_f32 v[78:79], v[132:133], v[116:117], v[72:73] op_sel_hi:[1,0,1]
	v_fmac_f32_e32 v195, v153, v108
	v_pk_fma_f32 v[72:73], v[132:133], v[116:117], v[72:73] neg_lo:[0,0,1] neg_hi:[0,0,1]
	v_dual_mov_b32 v76, v121 :: v_dual_mov_b32 v73, v79
	s_delay_alu instid0(VALU_DEP_3) | instskip(NEXT) | instid1(VALU_DEP_2)
	v_pk_add_f32 v[68:69], v[68:69], v[194:195]
	v_pk_mul_f32 v[76:77], v[188:189], v[76:77] op_sel_hi:[1,0]
	s_delay_alu instid0(VALU_DEP_2) | instskip(SKIP_2) | instid1(VALU_DEP_2)
	v_pk_add_f32 v[66:67], v[68:69], v[66:67]
	s_wait_loadcnt 0x1
	v_pk_mul_f32 v[68:69], v[138:139], v[122:123] op_sel:[1,1] op_sel_hi:[0,1]
	v_pk_add_f32 v[64:65], v[66:67], v[64:65]
	v_pk_fma_f32 v[66:67], v[134:135], v[118:119], v[74:75] op_sel_hi:[1,0,1]
	v_mov_b32_e32 v66, v125
	s_delay_alu instid0(VALU_DEP_3)
	v_pk_add_f32 v[64:65], v[64:65], v[70:71]
	v_pk_fma_f32 v[70:71], v[134:135], v[118:119], v[74:75] neg_lo:[0,0,1] neg_hi:[0,0,1]
	v_pk_fma_f32 v[74:75], v[136:137], v[120:121], v[76:77] op_sel_hi:[1,0,1]
	v_mov_b32_e32 v71, v67
	v_pk_fma_f32 v[76:77], v[136:137], v[120:121], v[76:77] neg_lo:[0,0,1] neg_hi:[0,0,1]
	v_pk_add_f32 v[64:65], v[64:65], v[72:73]
	v_pk_fma_f32 v[72:73], v[138:139], v[122:123], v[68:69] op_sel_hi:[1,0,1]
	v_pk_mul_f32 v[66:67], v[190:191], v[66:67] op_sel_hi:[1,0]
	v_mov_b32_e32 v77, v75
	v_pk_fma_f32 v[68:69], v[138:139], v[122:123], v[68:69] neg_lo:[0,0,1] neg_hi:[0,0,1]
	v_pk_add_f32 v[64:65], v[64:65], v[70:71]
	s_delay_alu instid0(VALU_DEP_4) | instskip(SKIP_2) | instid1(VALU_DEP_4)
	v_pk_fma_f32 v[70:71], v[140:141], v[124:125], v[66:67] op_sel_hi:[1,0,1]
	v_mov_b32_e32 v69, v73
	v_pk_fma_f32 v[66:67], v[140:141], v[124:125], v[66:67] neg_lo:[0,0,1] neg_hi:[0,0,1]
	v_pk_add_f32 v[64:65], v[64:65], v[76:77]
	s_delay_alu instid0(VALU_DEP_4) | instskip(NEXT) | instid1(VALU_DEP_2)
	v_mov_b32_e32 v67, v71
	v_pk_add_f32 v[64:65], v[64:65], v[68:69]
	s_delay_alu instid0(VALU_DEP_1) | instskip(SKIP_1) | instid1(VALU_DEP_1)
	v_pk_add_f32 v[64:65], v[64:65], v[66:67]
	s_wait_loadcnt 0x0
	v_pk_add_f32 v[64:65], v[0:1], v[64:65] neg_lo:[0,1] neg_hi:[0,1]
	scratch_store_b64 off, v[64:65], off
	s_cbranch_vccz .LBB94_260
; %bb.200:
	v_mov_b32_e32 v0, 0
	global_load_b32 v1, v0, s[8:9] offset:116
	s_wait_loadcnt 0x0
	v_cmp_ne_u32_e32 vcc_lo, 30, v1
	s_cbranch_vccz .LBB94_202
; %bb.201:
	v_lshlrev_b32_e32 v1, 3, v1
	scratch_load_b64 v[64:65], v1, off offset:-8
	scratch_load_b64 v[66:67], off, off offset:232
	s_wait_loadcnt 0x1
	scratch_store_b64 off, v[64:65], off offset:232
	s_wait_loadcnt 0x0
	scratch_store_b64 v1, v[66:67], off offset:-8
.LBB94_202:
	global_load_b32 v0, v0, s[8:9] offset:112
	s_wait_loadcnt 0x0
	v_cmp_eq_u32_e32 vcc_lo, 29, v0
	s_cbranch_vccnz .LBB94_204
; %bb.203:
	s_wait_xcnt 0x0
	v_lshlrev_b32_e32 v0, 3, v0
	s_delay_alu instid0(VALU_DEP_1)
	v_mov_b32_e32 v66, v0
	scratch_load_b64 v[0:1], v66, off offset:-8
	scratch_load_b64 v[64:65], off, off offset:224
	s_wait_loadcnt 0x1
	scratch_store_b64 off, v[0:1], off offset:224
	s_wait_loadcnt 0x0
	scratch_store_b64 v66, v[64:65], off offset:-8
.LBB94_204:
	s_wait_xcnt 0x0
	v_mov_b32_e32 v0, 0
	global_load_b32 v1, v0, s[8:9] offset:108
	s_wait_loadcnt 0x0
	v_cmp_eq_u32_e32 vcc_lo, 28, v1
	s_cbranch_vccnz .LBB94_206
; %bb.205:
	v_lshlrev_b32_e32 v1, 3, v1
	scratch_load_b64 v[64:65], v1, off offset:-8
	scratch_load_b64 v[66:67], off, off offset:216
	s_wait_loadcnt 0x1
	scratch_store_b64 off, v[64:65], off offset:216
	s_wait_loadcnt 0x0
	scratch_store_b64 v1, v[66:67], off offset:-8
.LBB94_206:
	global_load_b32 v0, v0, s[8:9] offset:104
	s_wait_loadcnt 0x0
	v_cmp_eq_u32_e32 vcc_lo, 27, v0
	s_cbranch_vccnz .LBB94_208
; %bb.207:
	s_wait_xcnt 0x0
	v_lshlrev_b32_e32 v0, 3, v0
	s_delay_alu instid0(VALU_DEP_1)
	v_mov_b32_e32 v66, v0
	scratch_load_b64 v[0:1], v66, off offset:-8
	scratch_load_b64 v[64:65], off, off offset:208
	s_wait_loadcnt 0x1
	scratch_store_b64 off, v[0:1], off offset:208
	s_wait_loadcnt 0x0
	scratch_store_b64 v66, v[64:65], off offset:-8
.LBB94_208:
	s_wait_xcnt 0x0
	v_mov_b32_e32 v0, 0
	global_load_b32 v1, v0, s[8:9] offset:100
	s_wait_loadcnt 0x0
	v_cmp_eq_u32_e32 vcc_lo, 26, v1
	s_cbranch_vccnz .LBB94_210
; %bb.209:
	v_lshlrev_b32_e32 v1, 3, v1
	scratch_load_b64 v[64:65], v1, off offset:-8
	scratch_load_b64 v[66:67], off, off offset:200
	s_wait_loadcnt 0x1
	scratch_store_b64 off, v[64:65], off offset:200
	s_wait_loadcnt 0x0
	scratch_store_b64 v1, v[66:67], off offset:-8
.LBB94_210:
	;; [unrolled: 31-line block ×14, first 2 shown]
	global_load_b32 v0, v0, s[8:9]
	scratch_load_b64 v[64:65], off, off
	s_wait_loadcnt 0x1
	v_cmp_eq_u32_e32 vcc_lo, 1, v0
	s_cbranch_vccnz .LBB94_260
; %bb.259:
	s_wait_xcnt 0x1
	v_lshlrev_b32_e32 v0, 3, v0
	s_delay_alu instid0(VALU_DEP_1)
	v_mov_b32_e32 v66, v0
	scratch_load_b64 v[0:1], v66, off offset:-8
	s_wait_loadcnt 0x0
	scratch_store_b64 off, v[0:1], off
	scratch_store_b64 v66, v[64:65], off offset:-8
	scratch_load_b64 v[64:65], off, off
.LBB94_260:
	s_wait_loadcnt 0x0
	flat_store_b64 v[2:3], v[64:65]
	scratch_load_b64 v[2:3], off, off offset:8
	v_lshl_add_u64 v[92:93], v[6:7], 3, s[2:3]
	v_lshl_add_u64 v[90:91], v[8:9], 3, s[2:3]
	;; [unrolled: 1-line block ×29, first 2 shown]
	s_wait_loadcnt 0x0
	flat_store_b64 v[4:5], v[2:3]
	scratch_load_b64 v[2:3], off, off offset:16
	s_wait_loadcnt 0x0
	flat_store_b64 v[92:93], v[2:3]
	scratch_load_b64 v[2:3], off, off offset:24
	;; [unrolled: 3-line block ×29, first 2 shown]
	s_wait_loadcnt 0x0
	flat_store_b64 v[0:1], v[2:3]
	s_sendmsg sendmsg(MSG_DEALLOC_VGPRS)
	s_endpgm
	.section	.rodata,"a",@progbits
	.p2align	6, 0x0
	.amdhsa_kernel _ZN9rocsolver6v33100L18getri_kernel_smallILi31E19rocblas_complex_numIfEPKPS3_EEvT1_iilPiilS8_bb
		.amdhsa_group_segment_fixed_size 504
		.amdhsa_private_segment_fixed_size 256
		.amdhsa_kernarg_size 60
		.amdhsa_user_sgpr_count 2
		.amdhsa_user_sgpr_dispatch_ptr 0
		.amdhsa_user_sgpr_queue_ptr 0
		.amdhsa_user_sgpr_kernarg_segment_ptr 1
		.amdhsa_user_sgpr_dispatch_id 0
		.amdhsa_user_sgpr_kernarg_preload_length 0
		.amdhsa_user_sgpr_kernarg_preload_offset 0
		.amdhsa_user_sgpr_private_segment_size 0
		.amdhsa_wavefront_size32 1
		.amdhsa_uses_dynamic_stack 0
		.amdhsa_enable_private_segment 1
		.amdhsa_system_sgpr_workgroup_id_x 1
		.amdhsa_system_sgpr_workgroup_id_y 0
		.amdhsa_system_sgpr_workgroup_id_z 0
		.amdhsa_system_sgpr_workgroup_info 0
		.amdhsa_system_vgpr_workitem_id 0
		.amdhsa_next_free_vgpr 214
		.amdhsa_next_free_sgpr 19
		.amdhsa_named_barrier_count 0
		.amdhsa_reserve_vcc 1
		.amdhsa_float_round_mode_32 0
		.amdhsa_float_round_mode_16_64 0
		.amdhsa_float_denorm_mode_32 3
		.amdhsa_float_denorm_mode_16_64 3
		.amdhsa_fp16_overflow 0
		.amdhsa_memory_ordered 1
		.amdhsa_forward_progress 1
		.amdhsa_inst_pref_size 255
		.amdhsa_round_robin_scheduling 0
		.amdhsa_exception_fp_ieee_invalid_op 0
		.amdhsa_exception_fp_denorm_src 0
		.amdhsa_exception_fp_ieee_div_zero 0
		.amdhsa_exception_fp_ieee_overflow 0
		.amdhsa_exception_fp_ieee_underflow 0
		.amdhsa_exception_fp_ieee_inexact 0
		.amdhsa_exception_int_div_zero 0
	.end_amdhsa_kernel
	.section	.text._ZN9rocsolver6v33100L18getri_kernel_smallILi31E19rocblas_complex_numIfEPKPS3_EEvT1_iilPiilS8_bb,"axG",@progbits,_ZN9rocsolver6v33100L18getri_kernel_smallILi31E19rocblas_complex_numIfEPKPS3_EEvT1_iilPiilS8_bb,comdat
.Lfunc_end94:
	.size	_ZN9rocsolver6v33100L18getri_kernel_smallILi31E19rocblas_complex_numIfEPKPS3_EEvT1_iilPiilS8_bb, .Lfunc_end94-_ZN9rocsolver6v33100L18getri_kernel_smallILi31E19rocblas_complex_numIfEPKPS3_EEvT1_iilPiilS8_bb
                                        ; -- End function
	.set _ZN9rocsolver6v33100L18getri_kernel_smallILi31E19rocblas_complex_numIfEPKPS3_EEvT1_iilPiilS8_bb.num_vgpr, 214
	.set _ZN9rocsolver6v33100L18getri_kernel_smallILi31E19rocblas_complex_numIfEPKPS3_EEvT1_iilPiilS8_bb.num_agpr, 0
	.set _ZN9rocsolver6v33100L18getri_kernel_smallILi31E19rocblas_complex_numIfEPKPS3_EEvT1_iilPiilS8_bb.numbered_sgpr, 19
	.set _ZN9rocsolver6v33100L18getri_kernel_smallILi31E19rocblas_complex_numIfEPKPS3_EEvT1_iilPiilS8_bb.num_named_barrier, 0
	.set _ZN9rocsolver6v33100L18getri_kernel_smallILi31E19rocblas_complex_numIfEPKPS3_EEvT1_iilPiilS8_bb.private_seg_size, 256
	.set _ZN9rocsolver6v33100L18getri_kernel_smallILi31E19rocblas_complex_numIfEPKPS3_EEvT1_iilPiilS8_bb.uses_vcc, 1
	.set _ZN9rocsolver6v33100L18getri_kernel_smallILi31E19rocblas_complex_numIfEPKPS3_EEvT1_iilPiilS8_bb.uses_flat_scratch, 1
	.set _ZN9rocsolver6v33100L18getri_kernel_smallILi31E19rocblas_complex_numIfEPKPS3_EEvT1_iilPiilS8_bb.has_dyn_sized_stack, 0
	.set _ZN9rocsolver6v33100L18getri_kernel_smallILi31E19rocblas_complex_numIfEPKPS3_EEvT1_iilPiilS8_bb.has_recursion, 0
	.set _ZN9rocsolver6v33100L18getri_kernel_smallILi31E19rocblas_complex_numIfEPKPS3_EEvT1_iilPiilS8_bb.has_indirect_call, 0
	.section	.AMDGPU.csdata,"",@progbits
; Kernel info:
; codeLenInByte = 42688
; TotalNumSgprs: 21
; NumVgprs: 214
; ScratchSize: 256
; MemoryBound: 0
; FloatMode: 240
; IeeeMode: 1
; LDSByteSize: 504 bytes/workgroup (compile time only)
; SGPRBlocks: 0
; VGPRBlocks: 13
; NumSGPRsForWavesPerEU: 21
; NumVGPRsForWavesPerEU: 214
; NamedBarCnt: 0
; Occupancy: 4
; WaveLimiterHint : 1
; COMPUTE_PGM_RSRC2:SCRATCH_EN: 1
; COMPUTE_PGM_RSRC2:USER_SGPR: 2
; COMPUTE_PGM_RSRC2:TRAP_HANDLER: 0
; COMPUTE_PGM_RSRC2:TGID_X_EN: 1
; COMPUTE_PGM_RSRC2:TGID_Y_EN: 0
; COMPUTE_PGM_RSRC2:TGID_Z_EN: 0
; COMPUTE_PGM_RSRC2:TIDIG_COMP_CNT: 0
	.section	.text._ZN9rocsolver6v33100L18getri_kernel_smallILi32E19rocblas_complex_numIfEPKPS3_EEvT1_iilPiilS8_bb,"axG",@progbits,_ZN9rocsolver6v33100L18getri_kernel_smallILi32E19rocblas_complex_numIfEPKPS3_EEvT1_iilPiilS8_bb,comdat
	.globl	_ZN9rocsolver6v33100L18getri_kernel_smallILi32E19rocblas_complex_numIfEPKPS3_EEvT1_iilPiilS8_bb ; -- Begin function _ZN9rocsolver6v33100L18getri_kernel_smallILi32E19rocblas_complex_numIfEPKPS3_EEvT1_iilPiilS8_bb
	.p2align	8
	.type	_ZN9rocsolver6v33100L18getri_kernel_smallILi32E19rocblas_complex_numIfEPKPS3_EEvT1_iilPiilS8_bb,@function
_ZN9rocsolver6v33100L18getri_kernel_smallILi32E19rocblas_complex_numIfEPKPS3_EEvT1_iilPiilS8_bb: ; @_ZN9rocsolver6v33100L18getri_kernel_smallILi32E19rocblas_complex_numIfEPKPS3_EEvT1_iilPiilS8_bb
; %bb.0:
	s_mov_b32 s2, exec_lo
	v_cmpx_gt_u32_e32 32, v0
	s_cbranch_execz .LBB95_142
; %bb.1:
	s_clause 0x1
	s_load_b32 s13, s[0:1], 0x38
	s_load_b64 s[2:3], s[0:1], 0x0
	s_getreg_b32 s6, hwreg(HW_REG_IB_STS2, 6, 4)
	s_wait_kmcnt 0x0
	s_bitcmp1_b32 s13, 8
	s_cselect_b32 s12, -1, 0
	s_bfe_u32 s4, ttmp6, 0x4000c
	s_and_b32 s5, ttmp6, 15
	s_add_co_i32 s4, s4, 1
	s_delay_alu instid0(SALU_CYCLE_1) | instskip(NEXT) | instid1(SALU_CYCLE_1)
	s_mul_i32 s4, ttmp9, s4
	s_add_co_i32 s5, s5, s4
	s_cmp_eq_u32 s6, 0
	s_cselect_b32 s10, ttmp9, s5
	s_load_b128 s[4:7], s[0:1], 0x28
	s_ashr_i32 s11, s10, 31
	s_delay_alu instid0(SALU_CYCLE_1) | instskip(NEXT) | instid1(SALU_CYCLE_1)
	s_lshl_b64 s[8:9], s[10:11], 3
	s_add_nc_u64 s[2:3], s[2:3], s[8:9]
	s_bfe_u32 s8, s13, 0x10008
	s_load_b64 s[2:3], s[2:3], 0x0
	s_cmp_eq_u32 s8, 0
                                        ; implicit-def: $sgpr8_sgpr9
	s_cbranch_scc1 .LBB95_3
; %bb.2:
	s_load_b96 s[16:18], s[0:1], 0x18
	s_wait_kmcnt 0x0
	s_mul_u64 s[4:5], s[4:5], s[10:11]
	s_delay_alu instid0(SALU_CYCLE_1) | instskip(SKIP_4) | instid1(SALU_CYCLE_1)
	s_lshl_b64 s[4:5], s[4:5], 2
	s_ashr_i32 s9, s18, 31
	s_mov_b32 s8, s18
	s_add_nc_u64 s[4:5], s[16:17], s[4:5]
	s_lshl_b64 s[8:9], s[8:9], 2
	s_add_nc_u64 s[8:9], s[4:5], s[8:9]
.LBB95_3:
	s_wait_kmcnt 0x0
	s_clause 0x1
	s_load_b64 s[4:5], s[0:1], 0x8
	s_load_b32 s13, s[0:1], 0x38
	v_dual_mov_b32 v67, 0 :: v_dual_lshlrev_b32 v66, 3, v0
	s_wait_kmcnt 0x0
	s_ashr_i32 s1, s4, 31
	s_mov_b32 s0, s4
	s_delay_alu instid0(SALU_CYCLE_1) | instskip(NEXT) | instid1(SALU_CYCLE_1)
	s_lshl_b64 s[0:1], s[0:1], 3
	s_add_nc_u64 s[2:3], s[2:3], s[0:1]
	s_ashr_i32 s1, s5, 31
	flat_load_b64 v[6:7], v0, s[2:3] scale_offset
	v_add_nc_u64_e32 v[2:3], s[2:3], v[66:67]
	s_mov_b32 s0, s5
	s_bitcmp0_b32 s13, 0
	s_delay_alu instid0(VALU_DEP_1)
	v_lshl_add_u64 v[4:5], s[0:1], 3, v[2:3]
	s_mov_b32 s1, -1
	s_wait_loadcnt_dscnt 0x0
	scratch_store_b64 off, v[6:7], off
	flat_load_b64 v[8:9], v[4:5]
	s_wait_xcnt 0x1
	v_add3_u32 v6, s5, s5, v0
	s_wait_loadcnt_dscnt 0x0
	scratch_store_b64 off, v[8:9], off offset:8
	flat_load_b64 v[10:11], v6, s[2:3] scale_offset
	s_wait_xcnt 0x1
	v_add_nc_u32_e32 v8, s5, v6
	s_wait_loadcnt_dscnt 0x0
	scratch_store_b64 off, v[10:11], off offset:16
	flat_load_b64 v[12:13], v8, s[2:3] scale_offset
	s_wait_xcnt 0x1
	v_add_nc_u32_e32 v10, s5, v8
	;; [unrolled: 5-line block ×29, first 2 shown]
	s_wait_loadcnt_dscnt 0x0
	scratch_store_b64 off, v[68:69], off offset:240
	flat_load_b64 v[68:69], v64, s[2:3] scale_offset
	s_wait_loadcnt_dscnt 0x0
	scratch_store_b64 off, v[68:69], off offset:248
	s_cbranch_scc1 .LBB95_140
; %bb.4:
	v_cmp_eq_u32_e64 s0, 0, v0
	s_wait_xcnt 0x0
	s_and_saveexec_b32 s1, s0
; %bb.5:
	v_mov_b32_e32 v1, 0
	ds_store_b32 v1, v1 offset:512
; %bb.6:
	s_or_b32 exec_lo, exec_lo, s1
	s_wait_storecnt_dscnt 0x0
	s_barrier_signal -1
	s_barrier_wait -1
	scratch_load_b64 v[68:69], v0, off scale_offset
	s_wait_loadcnt 0x0
	v_cmp_eq_f32_e32 vcc_lo, 0, v68
	v_cmp_eq_f32_e64 s1, 0, v69
	s_and_b32 s1, vcc_lo, s1
	s_delay_alu instid0(SALU_CYCLE_1)
	s_and_saveexec_b32 s4, s1
	s_cbranch_execz .LBB95_10
; %bb.7:
	v_mov_b32_e32 v1, 0
	s_mov_b32 s5, 0
	ds_load_b32 v7, v1 offset:512
	s_wait_dscnt 0x0
	v_readfirstlane_b32 s1, v7
	v_add_nc_u32_e32 v7, 1, v0
	s_cmp_eq_u32 s1, 0
	s_delay_alu instid0(VALU_DEP_1) | instskip(SKIP_1) | instid1(SALU_CYCLE_1)
	v_cmp_gt_i32_e32 vcc_lo, s1, v7
	s_cselect_b32 s13, -1, 0
	s_or_b32 s13, s13, vcc_lo
	s_delay_alu instid0(SALU_CYCLE_1)
	s_and_b32 exec_lo, exec_lo, s13
	s_cbranch_execz .LBB95_10
; %bb.8:
	v_mov_b32_e32 v9, s1
.LBB95_9:                               ; =>This Inner Loop Header: Depth=1
	ds_cmpstore_rtn_b32 v9, v1, v7, v9 offset:512
	s_wait_dscnt 0x0
	v_cmp_ne_u32_e32 vcc_lo, 0, v9
	v_cmp_le_i32_e64 s1, v9, v7
	s_and_b32 s1, vcc_lo, s1
	s_delay_alu instid0(SALU_CYCLE_1) | instskip(NEXT) | instid1(SALU_CYCLE_1)
	s_and_b32 s1, exec_lo, s1
	s_or_b32 s5, s1, s5
	s_delay_alu instid0(SALU_CYCLE_1)
	s_and_not1_b32 exec_lo, exec_lo, s5
	s_cbranch_execnz .LBB95_9
.LBB95_10:
	s_or_b32 exec_lo, exec_lo, s4
	v_mov_b32_e32 v1, 0
	s_barrier_signal -1
	s_barrier_wait -1
	ds_load_b32 v7, v1 offset:512
	s_and_saveexec_b32 s1, s0
	s_cbranch_execz .LBB95_12
; %bb.11:
	s_lshl_b64 s[4:5], s[10:11], 2
	s_delay_alu instid0(SALU_CYCLE_1)
	s_add_nc_u64 s[4:5], s[6:7], s[4:5]
	s_wait_dscnt 0x0
	global_store_b32 v1, v7, s[4:5]
.LBB95_12:
	s_wait_xcnt 0x0
	s_or_b32 exec_lo, exec_lo, s1
	s_wait_dscnt 0x0
	v_cmp_ne_u32_e32 vcc_lo, 0, v7
	s_mov_b32 s1, 0
	s_cbranch_vccnz .LBB95_140
; %bb.13:
	v_lshl_add_u32 v7, v0, 3, 0
                                        ; implicit-def: $vgpr71
                                        ; implicit-def: $vgpr72
	scratch_load_b64 v[68:69], v7, off
	s_wait_loadcnt 0x0
	v_cmp_ngt_f32_e64 s1, |v68|, |v69|
	s_wait_xcnt 0x0
	s_and_saveexec_b32 s4, s1
	s_delay_alu instid0(SALU_CYCLE_1)
	s_xor_b32 s1, exec_lo, s4
	s_cbranch_execz .LBB95_15
; %bb.14:
	v_div_scale_f32 v1, null, v69, v69, v68
	v_div_scale_f32 v13, vcc_lo, v68, v69, v68
	s_delay_alu instid0(VALU_DEP_2) | instskip(SKIP_1) | instid1(TRANS32_DEP_1)
	v_rcp_f32_e32 v9, v1
	v_nop
	v_fma_f32 v11, -v1, v9, 1.0
	s_delay_alu instid0(VALU_DEP_1) | instskip(NEXT) | instid1(VALU_DEP_1)
	v_fmac_f32_e32 v9, v11, v9
	v_mul_f32_e32 v11, v13, v9
	s_delay_alu instid0(VALU_DEP_1) | instskip(NEXT) | instid1(VALU_DEP_1)
	v_fma_f32 v15, -v1, v11, v13
	v_fmac_f32_e32 v11, v15, v9
	s_delay_alu instid0(VALU_DEP_1) | instskip(NEXT) | instid1(VALU_DEP_1)
	v_fma_f32 v1, -v1, v11, v13
	v_div_fmas_f32 v1, v1, v9, v11
	s_delay_alu instid0(VALU_DEP_1) | instskip(NEXT) | instid1(VALU_DEP_1)
	v_div_fixup_f32 v1, v1, v69, v68
	v_fmac_f32_e32 v69, v68, v1
	s_delay_alu instid0(VALU_DEP_1) | instskip(NEXT) | instid1(VALU_DEP_1)
	v_div_scale_f32 v9, null, v69, v69, -1.0
	v_rcp_f32_e32 v11, v9
	v_nop
	s_delay_alu instid0(TRANS32_DEP_1) | instskip(NEXT) | instid1(VALU_DEP_1)
	v_fma_f32 v13, -v9, v11, 1.0
	v_fmac_f32_e32 v11, v13, v11
	v_div_scale_f32 v13, vcc_lo, -1.0, v69, -1.0
	s_delay_alu instid0(VALU_DEP_1) | instskip(NEXT) | instid1(VALU_DEP_1)
	v_mul_f32_e32 v15, v13, v11
	v_fma_f32 v17, -v9, v15, v13
	s_delay_alu instid0(VALU_DEP_1) | instskip(NEXT) | instid1(VALU_DEP_1)
	v_fmac_f32_e32 v15, v17, v11
	v_fma_f32 v9, -v9, v15, v13
	s_delay_alu instid0(VALU_DEP_1) | instskip(NEXT) | instid1(VALU_DEP_1)
	v_div_fmas_f32 v9, v9, v11, v15
	v_div_fixup_f32 v71, v9, v69, -1.0
                                        ; implicit-def: $vgpr68_vgpr69
	s_delay_alu instid0(VALU_DEP_1) | instskip(NEXT) | instid1(VALU_DEP_1)
	v_mul_f32_e32 v72, v1, v71
	v_xor_b32_e32 v70, 0x80000000, v72
.LBB95_15:
	s_and_not1_saveexec_b32 s1, s1
	s_cbranch_execz .LBB95_17
; %bb.16:
	v_div_scale_f32 v1, null, v68, v68, v69
	v_div_scale_f32 v13, vcc_lo, v69, v68, v69
	s_delay_alu instid0(VALU_DEP_2) | instskip(SKIP_1) | instid1(TRANS32_DEP_1)
	v_rcp_f32_e32 v9, v1
	v_nop
	v_fma_f32 v11, -v1, v9, 1.0
	s_delay_alu instid0(VALU_DEP_1) | instskip(NEXT) | instid1(VALU_DEP_1)
	v_fmac_f32_e32 v9, v11, v9
	v_mul_f32_e32 v11, v13, v9
	s_delay_alu instid0(VALU_DEP_1) | instskip(NEXT) | instid1(VALU_DEP_1)
	v_fma_f32 v15, -v1, v11, v13
	v_fmac_f32_e32 v11, v15, v9
	s_delay_alu instid0(VALU_DEP_1) | instskip(NEXT) | instid1(VALU_DEP_1)
	v_fma_f32 v1, -v1, v11, v13
	v_div_fmas_f32 v1, v1, v9, v11
	s_delay_alu instid0(VALU_DEP_1) | instskip(NEXT) | instid1(VALU_DEP_1)
	v_div_fixup_f32 v1, v1, v68, v69
	v_fmac_f32_e32 v68, v69, v1
	s_delay_alu instid0(VALU_DEP_1) | instskip(SKIP_1) | instid1(VALU_DEP_2)
	v_div_scale_f32 v9, null, v68, v68, 1.0
	v_div_scale_f32 v15, vcc_lo, 1.0, v68, 1.0
	v_rcp_f32_e32 v11, v9
	v_nop
	s_delay_alu instid0(TRANS32_DEP_1) | instskip(NEXT) | instid1(VALU_DEP_1)
	v_fma_f32 v13, -v9, v11, 1.0
	v_fmac_f32_e32 v11, v13, v11
	s_delay_alu instid0(VALU_DEP_1) | instskip(NEXT) | instid1(VALU_DEP_1)
	v_mul_f32_e32 v13, v15, v11
	v_fma_f32 v17, -v9, v13, v15
	s_delay_alu instid0(VALU_DEP_1) | instskip(NEXT) | instid1(VALU_DEP_1)
	v_fmac_f32_e32 v13, v17, v11
	v_fma_f32 v9, -v9, v13, v15
	s_delay_alu instid0(VALU_DEP_1) | instskip(NEXT) | instid1(VALU_DEP_1)
	v_div_fmas_f32 v9, v9, v11, v13
	v_div_fixup_f32 v70, v9, v68, 1.0
	s_delay_alu instid0(VALU_DEP_1)
	v_xor_b32_e32 v72, 0x80000000, v70
	v_mul_f32_e64 v71, v1, -v70
.LBB95_17:
	s_or_b32 exec_lo, exec_lo, s1
	scratch_store_b64 v7, v[70:71], off
	scratch_load_b64 v[68:69], off, off offset:8
	v_xor_b32_e32 v73, 0x80000000, v71
	v_add_nc_u32_e32 v1, 0x100, v66
	s_wait_loadcnt 0x0
	ds_store_2addr_b64 v66, v[72:73], v[68:69] offset1:32
	s_wait_storecnt_dscnt 0x0
	s_barrier_signal -1
	s_barrier_wait -1
	s_wait_xcnt 0x0
	s_and_saveexec_b32 s1, s0
	s_cbranch_execz .LBB95_19
; %bb.18:
	scratch_load_b64 v[68:69], v7, off
	ds_load_b64 v[70:71], v1
	s_wait_loadcnt_dscnt 0x0
	v_pk_mul_f32 v[74:75], v[70:71], v[68:69] op_sel:[1,1] op_sel_hi:[0,1]
	s_delay_alu instid0(VALU_DEP_1) | instskip(SKIP_2) | instid1(VALU_DEP_3)
	v_pk_fma_f32 v[76:77], v[70:71], v[68:69], v[74:75] op_sel_hi:[1,0,1]
	v_mov_b32_e32 v9, 0
	v_pk_fma_f32 v[68:69], v[70:71], v[68:69], v[74:75] neg_lo:[0,0,1] neg_hi:[0,0,1]
	v_mov_b32_e32 v69, v77
	ds_load_b64 v[72:73], v9 offset:8
	v_pk_add_f32 v[68:69], v[68:69], 0 op_sel_hi:[1,0]
	s_wait_dscnt 0x0
	s_delay_alu instid0(VALU_DEP_1) | instskip(NEXT) | instid1(VALU_DEP_1)
	v_pk_mul_f32 v[70:71], v[68:69], v[72:73] op_sel:[1,1] op_sel_hi:[0,1]
	v_pk_fma_f32 v[74:75], v[68:69], v[72:73], v[70:71] op_sel_hi:[1,0,1]
	v_pk_fma_f32 v[68:69], v[68:69], v[72:73], v[70:71] neg_lo:[0,0,1] neg_hi:[0,0,1]
	s_delay_alu instid0(VALU_DEP_2)
	v_mov_b32_e32 v69, v75
	scratch_store_b64 off, v[68:69], off offset:8
.LBB95_19:
	s_wait_xcnt 0x0
	s_or_b32 exec_lo, exec_lo, s1
	s_wait_storecnt 0x0
	s_barrier_signal -1
	s_barrier_wait -1
	scratch_load_b64 v[68:69], off, off offset:16
	s_mov_b32 s1, exec_lo
	s_wait_loadcnt 0x0
	ds_store_b64 v1, v[68:69]
	s_wait_dscnt 0x0
	s_barrier_signal -1
	s_barrier_wait -1
	v_cmpx_gt_u32_e32 2, v0
	s_cbranch_execz .LBB95_23
; %bb.20:
	scratch_load_b64 v[68:69], v7, off
	ds_load_b64 v[70:71], v1
	s_wait_loadcnt_dscnt 0x0
	v_pk_mul_f32 v[72:73], v[70:71], v[68:69] op_sel:[1,1] op_sel_hi:[0,1]
	s_delay_alu instid0(VALU_DEP_1) | instskip(SKIP_1) | instid1(VALU_DEP_2)
	v_pk_fma_f32 v[74:75], v[70:71], v[68:69], v[72:73] op_sel_hi:[1,0,1]
	v_pk_fma_f32 v[68:69], v[70:71], v[68:69], v[72:73] neg_lo:[0,0,1] neg_hi:[0,0,1]
	v_mov_b32_e32 v69, v75
	s_delay_alu instid0(VALU_DEP_1)
	v_pk_add_f32 v[68:69], v[68:69], 0 op_sel_hi:[1,0]
	s_and_saveexec_b32 s4, s0
	s_cbranch_execz .LBB95_22
; %bb.21:
	scratch_load_b64 v[70:71], off, off offset:8
	v_mov_b32_e32 v7, 0
	ds_load_b64 v[72:73], v7 offset:264
	s_wait_loadcnt_dscnt 0x0
	v_pk_mul_f32 v[74:75], v[72:73], v[70:71] op_sel:[1,1] op_sel_hi:[0,1]
	s_delay_alu instid0(VALU_DEP_1) | instskip(SKIP_1) | instid1(VALU_DEP_2)
	v_pk_fma_f32 v[76:77], v[72:73], v[70:71], v[74:75] op_sel_hi:[1,0,1]
	v_pk_fma_f32 v[70:71], v[72:73], v[70:71], v[74:75] neg_lo:[0,0,1] neg_hi:[0,0,1]
	v_mov_b32_e32 v71, v77
	s_delay_alu instid0(VALU_DEP_1)
	v_pk_add_f32 v[68:69], v[68:69], v[70:71]
.LBB95_22:
	s_or_b32 exec_lo, exec_lo, s4
	v_mov_b32_e32 v7, 0
	ds_load_b64 v[70:71], v7 offset:16
	s_wait_dscnt 0x0
	v_pk_mul_f32 v[72:73], v[68:69], v[70:71] op_sel:[1,1] op_sel_hi:[0,1]
	s_delay_alu instid0(VALU_DEP_1) | instskip(SKIP_1) | instid1(VALU_DEP_2)
	v_pk_fma_f32 v[74:75], v[68:69], v[70:71], v[72:73] op_sel_hi:[1,0,1]
	v_pk_fma_f32 v[68:69], v[68:69], v[70:71], v[72:73] neg_lo:[0,0,1] neg_hi:[0,0,1]
	v_mov_b32_e32 v69, v75
	scratch_store_b64 off, v[68:69], off offset:16
.LBB95_23:
	s_wait_xcnt 0x0
	s_or_b32 exec_lo, exec_lo, s1
	s_wait_storecnt 0x0
	s_barrier_signal -1
	s_barrier_wait -1
	scratch_load_b64 v[68:69], off, off offset:24
	v_add_nc_u32_e32 v7, -1, v0
	s_mov_b32 s0, exec_lo
	s_wait_loadcnt 0x0
	ds_store_b64 v1, v[68:69]
	s_wait_dscnt 0x0
	s_barrier_signal -1
	s_barrier_wait -1
	v_cmpx_gt_u32_e32 3, v0
	s_cbranch_execz .LBB95_27
; %bb.24:
	v_dual_mov_b32 v68, 0 :: v_dual_add_nc_u32 v9, -1, v0
	v_add_nc_u32_e32 v11, 0x100, v66
	v_mov_b32_e32 v13, v66
	s_mov_b32 s1, 0
	s_delay_alu instid0(VALU_DEP_3)
	v_mov_b32_e32 v69, v68
.LBB95_25:                              ; =>This Inner Loop Header: Depth=1
	scratch_load_b64 v[70:71], v13, off
	ds_load_b64 v[72:73], v11
	s_wait_xcnt 0x0
	v_dual_add_nc_u32 v11, 8, v11 :: v_dual_add_nc_u32 v13, 8, v13
	s_wait_loadcnt_dscnt 0x0
	v_pk_mul_f32 v[74:75], v[72:73], v[70:71] op_sel:[1,1] op_sel_hi:[0,1]
	s_delay_alu instid0(VALU_DEP_1) | instskip(SKIP_2) | instid1(VALU_DEP_3)
	v_pk_fma_f32 v[76:77], v[72:73], v[70:71], v[74:75] op_sel_hi:[1,0,1]
	v_add_nc_u32_e32 v9, 1, v9
	v_pk_fma_f32 v[70:71], v[72:73], v[70:71], v[74:75] neg_lo:[0,0,1] neg_hi:[0,0,1]
	v_mov_b32_e32 v71, v77
	s_delay_alu instid0(VALU_DEP_3) | instskip(NEXT) | instid1(VALU_DEP_2)
	v_cmp_lt_u32_e32 vcc_lo, 1, v9
	v_pk_add_f32 v[68:69], v[68:69], v[70:71]
	s_or_b32 s1, vcc_lo, s1
	s_delay_alu instid0(SALU_CYCLE_1)
	s_and_not1_b32 exec_lo, exec_lo, s1
	s_cbranch_execnz .LBB95_25
; %bb.26:
	s_or_b32 exec_lo, exec_lo, s1
	v_mov_b32_e32 v9, 0
	ds_load_b64 v[70:71], v9 offset:24
	s_wait_dscnt 0x0
	v_pk_mul_f32 v[72:73], v[68:69], v[70:71] op_sel:[1,1] op_sel_hi:[0,1]
	s_delay_alu instid0(VALU_DEP_1) | instskip(SKIP_1) | instid1(VALU_DEP_2)
	v_pk_fma_f32 v[74:75], v[68:69], v[70:71], v[72:73] op_sel_hi:[1,0,1]
	v_pk_fma_f32 v[68:69], v[68:69], v[70:71], v[72:73] neg_lo:[0,0,1] neg_hi:[0,0,1]
	v_mov_b32_e32 v69, v75
	scratch_store_b64 off, v[68:69], off offset:24
.LBB95_27:
	s_wait_xcnt 0x0
	s_or_b32 exec_lo, exec_lo, s0
	s_wait_storecnt 0x0
	s_barrier_signal -1
	s_barrier_wait -1
	scratch_load_b64 v[68:69], off, off offset:32
	s_mov_b32 s0, exec_lo
	s_wait_loadcnt 0x0
	ds_store_b64 v1, v[68:69]
	s_wait_dscnt 0x0
	s_barrier_signal -1
	s_barrier_wait -1
	v_cmpx_gt_u32_e32 4, v0
	s_cbranch_execz .LBB95_31
; %bb.28:
	v_dual_mov_b32 v68, 0 :: v_dual_add_nc_u32 v9, -1, v0
	v_add_nc_u32_e32 v11, 0x100, v66
	v_mov_b32_e32 v13, v66
	s_mov_b32 s1, 0
	s_delay_alu instid0(VALU_DEP_3)
	v_mov_b32_e32 v69, v68
.LBB95_29:                              ; =>This Inner Loop Header: Depth=1
	scratch_load_b64 v[70:71], v13, off
	ds_load_b64 v[72:73], v11
	s_wait_xcnt 0x0
	v_dual_add_nc_u32 v11, 8, v11 :: v_dual_add_nc_u32 v13, 8, v13
	s_wait_loadcnt_dscnt 0x0
	v_pk_mul_f32 v[74:75], v[72:73], v[70:71] op_sel:[1,1] op_sel_hi:[0,1]
	s_delay_alu instid0(VALU_DEP_1) | instskip(SKIP_2) | instid1(VALU_DEP_3)
	v_pk_fma_f32 v[76:77], v[72:73], v[70:71], v[74:75] op_sel_hi:[1,0,1]
	v_add_nc_u32_e32 v9, 1, v9
	v_pk_fma_f32 v[70:71], v[72:73], v[70:71], v[74:75] neg_lo:[0,0,1] neg_hi:[0,0,1]
	v_mov_b32_e32 v71, v77
	s_delay_alu instid0(VALU_DEP_3) | instskip(NEXT) | instid1(VALU_DEP_2)
	v_cmp_lt_u32_e32 vcc_lo, 2, v9
	v_pk_add_f32 v[68:69], v[68:69], v[70:71]
	s_or_b32 s1, vcc_lo, s1
	s_delay_alu instid0(SALU_CYCLE_1)
	s_and_not1_b32 exec_lo, exec_lo, s1
	s_cbranch_execnz .LBB95_29
; %bb.30:
	s_or_b32 exec_lo, exec_lo, s1
	v_mov_b32_e32 v9, 0
	ds_load_b64 v[70:71], v9 offset:32
	s_wait_dscnt 0x0
	v_pk_mul_f32 v[72:73], v[68:69], v[70:71] op_sel:[1,1] op_sel_hi:[0,1]
	s_delay_alu instid0(VALU_DEP_1) | instskip(SKIP_1) | instid1(VALU_DEP_2)
	v_pk_fma_f32 v[74:75], v[68:69], v[70:71], v[72:73] op_sel_hi:[1,0,1]
	v_pk_fma_f32 v[68:69], v[68:69], v[70:71], v[72:73] neg_lo:[0,0,1] neg_hi:[0,0,1]
	v_mov_b32_e32 v69, v75
	scratch_store_b64 off, v[68:69], off offset:32
.LBB95_31:
	s_wait_xcnt 0x0
	s_or_b32 exec_lo, exec_lo, s0
	s_wait_storecnt 0x0
	s_barrier_signal -1
	s_barrier_wait -1
	scratch_load_b64 v[68:69], off, off offset:40
	;; [unrolled: 52-line block ×19, first 2 shown]
	s_mov_b32 s0, exec_lo
	s_wait_loadcnt 0x0
	ds_store_b64 v1, v[68:69]
	s_wait_dscnt 0x0
	s_barrier_signal -1
	s_barrier_wait -1
	v_cmpx_gt_u32_e32 22, v0
	s_cbranch_execz .LBB95_103
; %bb.100:
	v_dual_mov_b32 v68, 0 :: v_dual_add_nc_u32 v9, -1, v0
	v_add_nc_u32_e32 v11, 0x100, v66
	v_mov_b32_e32 v13, v66
	s_mov_b32 s1, 0
	s_delay_alu instid0(VALU_DEP_3)
	v_mov_b32_e32 v69, v68
.LBB95_101:                             ; =>This Inner Loop Header: Depth=1
	scratch_load_b64 v[70:71], v13, off
	ds_load_b64 v[72:73], v11
	s_wait_xcnt 0x0
	v_dual_add_nc_u32 v11, 8, v11 :: v_dual_add_nc_u32 v13, 8, v13
	s_wait_loadcnt_dscnt 0x0
	v_pk_mul_f32 v[74:75], v[72:73], v[70:71] op_sel:[1,1] op_sel_hi:[0,1]
	s_delay_alu instid0(VALU_DEP_1) | instskip(SKIP_2) | instid1(VALU_DEP_3)
	v_pk_fma_f32 v[76:77], v[72:73], v[70:71], v[74:75] op_sel_hi:[1,0,1]
	v_add_nc_u32_e32 v9, 1, v9
	v_pk_fma_f32 v[70:71], v[72:73], v[70:71], v[74:75] neg_lo:[0,0,1] neg_hi:[0,0,1]
	v_mov_b32_e32 v71, v77
	s_delay_alu instid0(VALU_DEP_3) | instskip(NEXT) | instid1(VALU_DEP_2)
	v_cmp_lt_u32_e32 vcc_lo, 20, v9
	v_pk_add_f32 v[68:69], v[68:69], v[70:71]
	s_or_b32 s1, vcc_lo, s1
	s_delay_alu instid0(SALU_CYCLE_1)
	s_and_not1_b32 exec_lo, exec_lo, s1
	s_cbranch_execnz .LBB95_101
; %bb.102:
	s_or_b32 exec_lo, exec_lo, s1
	v_mov_b32_e32 v9, 0
	ds_load_b64 v[70:71], v9 offset:176
	s_wait_dscnt 0x0
	v_pk_mul_f32 v[72:73], v[68:69], v[70:71] op_sel:[1,1] op_sel_hi:[0,1]
	s_delay_alu instid0(VALU_DEP_1) | instskip(SKIP_1) | instid1(VALU_DEP_2)
	v_pk_fma_f32 v[74:75], v[68:69], v[70:71], v[72:73] op_sel_hi:[1,0,1]
	v_pk_fma_f32 v[68:69], v[68:69], v[70:71], v[72:73] neg_lo:[0,0,1] neg_hi:[0,0,1]
	v_mov_b32_e32 v69, v75
	scratch_store_b64 off, v[68:69], off offset:176
.LBB95_103:
	s_wait_xcnt 0x0
	s_or_b32 exec_lo, exec_lo, s0
	s_wait_storecnt 0x0
	s_barrier_signal -1
	s_barrier_wait -1
	scratch_load_b64 v[68:69], off, off offset:184
	s_mov_b32 s0, exec_lo
	s_wait_loadcnt 0x0
	ds_store_b64 v1, v[68:69]
	s_wait_dscnt 0x0
	s_barrier_signal -1
	s_barrier_wait -1
	v_cmpx_gt_u32_e32 23, v0
	s_cbranch_execz .LBB95_107
; %bb.104:
	v_dual_mov_b32 v68, 0 :: v_dual_add_nc_u32 v9, -1, v0
	v_add_nc_u32_e32 v11, 0x100, v66
	v_mov_b32_e32 v13, v66
	s_mov_b32 s1, 0
	s_delay_alu instid0(VALU_DEP_3)
	v_mov_b32_e32 v69, v68
.LBB95_105:                             ; =>This Inner Loop Header: Depth=1
	scratch_load_b64 v[70:71], v13, off
	ds_load_b64 v[72:73], v11
	s_wait_xcnt 0x0
	v_dual_add_nc_u32 v11, 8, v11 :: v_dual_add_nc_u32 v13, 8, v13
	s_wait_loadcnt_dscnt 0x0
	v_pk_mul_f32 v[74:75], v[72:73], v[70:71] op_sel:[1,1] op_sel_hi:[0,1]
	s_delay_alu instid0(VALU_DEP_1) | instskip(SKIP_2) | instid1(VALU_DEP_3)
	v_pk_fma_f32 v[76:77], v[72:73], v[70:71], v[74:75] op_sel_hi:[1,0,1]
	v_add_nc_u32_e32 v9, 1, v9
	v_pk_fma_f32 v[70:71], v[72:73], v[70:71], v[74:75] neg_lo:[0,0,1] neg_hi:[0,0,1]
	v_mov_b32_e32 v71, v77
	s_delay_alu instid0(VALU_DEP_3) | instskip(NEXT) | instid1(VALU_DEP_2)
	v_cmp_lt_u32_e32 vcc_lo, 21, v9
	v_pk_add_f32 v[68:69], v[68:69], v[70:71]
	s_or_b32 s1, vcc_lo, s1
	s_delay_alu instid0(SALU_CYCLE_1)
	s_and_not1_b32 exec_lo, exec_lo, s1
	s_cbranch_execnz .LBB95_105
; %bb.106:
	s_or_b32 exec_lo, exec_lo, s1
	v_mov_b32_e32 v9, 0
	ds_load_b64 v[70:71], v9 offset:184
	s_wait_dscnt 0x0
	v_pk_mul_f32 v[72:73], v[68:69], v[70:71] op_sel:[1,1] op_sel_hi:[0,1]
	s_delay_alu instid0(VALU_DEP_1) | instskip(SKIP_1) | instid1(VALU_DEP_2)
	v_pk_fma_f32 v[74:75], v[68:69], v[70:71], v[72:73] op_sel_hi:[1,0,1]
	v_pk_fma_f32 v[68:69], v[68:69], v[70:71], v[72:73] neg_lo:[0,0,1] neg_hi:[0,0,1]
	v_mov_b32_e32 v69, v75
	scratch_store_b64 off, v[68:69], off offset:184
.LBB95_107:
	s_wait_xcnt 0x0
	s_or_b32 exec_lo, exec_lo, s0
	s_wait_storecnt 0x0
	s_barrier_signal -1
	s_barrier_wait -1
	scratch_load_b64 v[68:69], off, off offset:192
	s_mov_b32 s0, exec_lo
	s_wait_loadcnt 0x0
	ds_store_b64 v1, v[68:69]
	s_wait_dscnt 0x0
	s_barrier_signal -1
	s_barrier_wait -1
	v_cmpx_gt_u32_e32 24, v0
	s_cbranch_execz .LBB95_111
; %bb.108:
	v_dual_mov_b32 v68, 0 :: v_dual_add_nc_u32 v9, -1, v0
	v_add_nc_u32_e32 v11, 0x100, v66
	v_mov_b32_e32 v13, v66
	s_mov_b32 s1, 0
	s_delay_alu instid0(VALU_DEP_3)
	v_mov_b32_e32 v69, v68
.LBB95_109:                             ; =>This Inner Loop Header: Depth=1
	scratch_load_b64 v[70:71], v13, off
	ds_load_b64 v[72:73], v11
	s_wait_xcnt 0x0
	v_dual_add_nc_u32 v11, 8, v11 :: v_dual_add_nc_u32 v13, 8, v13
	s_wait_loadcnt_dscnt 0x0
	v_pk_mul_f32 v[74:75], v[72:73], v[70:71] op_sel:[1,1] op_sel_hi:[0,1]
	s_delay_alu instid0(VALU_DEP_1) | instskip(SKIP_2) | instid1(VALU_DEP_3)
	v_pk_fma_f32 v[76:77], v[72:73], v[70:71], v[74:75] op_sel_hi:[1,0,1]
	v_add_nc_u32_e32 v9, 1, v9
	v_pk_fma_f32 v[70:71], v[72:73], v[70:71], v[74:75] neg_lo:[0,0,1] neg_hi:[0,0,1]
	v_mov_b32_e32 v71, v77
	s_delay_alu instid0(VALU_DEP_3) | instskip(NEXT) | instid1(VALU_DEP_2)
	v_cmp_lt_u32_e32 vcc_lo, 22, v9
	v_pk_add_f32 v[68:69], v[68:69], v[70:71]
	s_or_b32 s1, vcc_lo, s1
	s_delay_alu instid0(SALU_CYCLE_1)
	s_and_not1_b32 exec_lo, exec_lo, s1
	s_cbranch_execnz .LBB95_109
; %bb.110:
	s_or_b32 exec_lo, exec_lo, s1
	v_mov_b32_e32 v9, 0
	ds_load_b64 v[70:71], v9 offset:192
	s_wait_dscnt 0x0
	v_pk_mul_f32 v[72:73], v[68:69], v[70:71] op_sel:[1,1] op_sel_hi:[0,1]
	s_delay_alu instid0(VALU_DEP_1) | instskip(SKIP_1) | instid1(VALU_DEP_2)
	v_pk_fma_f32 v[74:75], v[68:69], v[70:71], v[72:73] op_sel_hi:[1,0,1]
	v_pk_fma_f32 v[68:69], v[68:69], v[70:71], v[72:73] neg_lo:[0,0,1] neg_hi:[0,0,1]
	v_mov_b32_e32 v69, v75
	scratch_store_b64 off, v[68:69], off offset:192
.LBB95_111:
	s_wait_xcnt 0x0
	s_or_b32 exec_lo, exec_lo, s0
	s_wait_storecnt 0x0
	s_barrier_signal -1
	s_barrier_wait -1
	scratch_load_b64 v[68:69], off, off offset:200
	s_mov_b32 s0, exec_lo
	s_wait_loadcnt 0x0
	ds_store_b64 v1, v[68:69]
	s_wait_dscnt 0x0
	s_barrier_signal -1
	s_barrier_wait -1
	v_cmpx_gt_u32_e32 25, v0
	s_cbranch_execz .LBB95_115
; %bb.112:
	v_dual_mov_b32 v68, 0 :: v_dual_add_nc_u32 v9, -1, v0
	v_add_nc_u32_e32 v11, 0x100, v66
	v_mov_b32_e32 v13, v66
	s_mov_b32 s1, 0
	s_delay_alu instid0(VALU_DEP_3)
	v_mov_b32_e32 v69, v68
.LBB95_113:                             ; =>This Inner Loop Header: Depth=1
	scratch_load_b64 v[70:71], v13, off
	ds_load_b64 v[72:73], v11
	s_wait_xcnt 0x0
	v_dual_add_nc_u32 v11, 8, v11 :: v_dual_add_nc_u32 v13, 8, v13
	s_wait_loadcnt_dscnt 0x0
	v_pk_mul_f32 v[74:75], v[72:73], v[70:71] op_sel:[1,1] op_sel_hi:[0,1]
	s_delay_alu instid0(VALU_DEP_1) | instskip(SKIP_2) | instid1(VALU_DEP_3)
	v_pk_fma_f32 v[76:77], v[72:73], v[70:71], v[74:75] op_sel_hi:[1,0,1]
	v_add_nc_u32_e32 v9, 1, v9
	v_pk_fma_f32 v[70:71], v[72:73], v[70:71], v[74:75] neg_lo:[0,0,1] neg_hi:[0,0,1]
	v_mov_b32_e32 v71, v77
	s_delay_alu instid0(VALU_DEP_3) | instskip(NEXT) | instid1(VALU_DEP_2)
	v_cmp_lt_u32_e32 vcc_lo, 23, v9
	v_pk_add_f32 v[68:69], v[68:69], v[70:71]
	s_or_b32 s1, vcc_lo, s1
	s_delay_alu instid0(SALU_CYCLE_1)
	s_and_not1_b32 exec_lo, exec_lo, s1
	s_cbranch_execnz .LBB95_113
; %bb.114:
	s_or_b32 exec_lo, exec_lo, s1
	v_mov_b32_e32 v9, 0
	ds_load_b64 v[70:71], v9 offset:200
	s_wait_dscnt 0x0
	v_pk_mul_f32 v[72:73], v[68:69], v[70:71] op_sel:[1,1] op_sel_hi:[0,1]
	s_delay_alu instid0(VALU_DEP_1) | instskip(SKIP_1) | instid1(VALU_DEP_2)
	v_pk_fma_f32 v[74:75], v[68:69], v[70:71], v[72:73] op_sel_hi:[1,0,1]
	v_pk_fma_f32 v[68:69], v[68:69], v[70:71], v[72:73] neg_lo:[0,0,1] neg_hi:[0,0,1]
	v_mov_b32_e32 v69, v75
	scratch_store_b64 off, v[68:69], off offset:200
.LBB95_115:
	s_wait_xcnt 0x0
	s_or_b32 exec_lo, exec_lo, s0
	s_wait_storecnt 0x0
	s_barrier_signal -1
	s_barrier_wait -1
	scratch_load_b64 v[68:69], off, off offset:208
	s_mov_b32 s0, exec_lo
	s_wait_loadcnt 0x0
	ds_store_b64 v1, v[68:69]
	s_wait_dscnt 0x0
	s_barrier_signal -1
	s_barrier_wait -1
	v_cmpx_gt_u32_e32 26, v0
	s_cbranch_execz .LBB95_119
; %bb.116:
	v_dual_mov_b32 v68, 0 :: v_dual_add_nc_u32 v9, -1, v0
	v_add_nc_u32_e32 v11, 0x100, v66
	v_mov_b32_e32 v13, v66
	s_mov_b32 s1, 0
	s_delay_alu instid0(VALU_DEP_3)
	v_mov_b32_e32 v69, v68
.LBB95_117:                             ; =>This Inner Loop Header: Depth=1
	scratch_load_b64 v[70:71], v13, off
	ds_load_b64 v[72:73], v11
	s_wait_xcnt 0x0
	v_dual_add_nc_u32 v11, 8, v11 :: v_dual_add_nc_u32 v13, 8, v13
	s_wait_loadcnt_dscnt 0x0
	v_pk_mul_f32 v[74:75], v[72:73], v[70:71] op_sel:[1,1] op_sel_hi:[0,1]
	s_delay_alu instid0(VALU_DEP_1) | instskip(SKIP_2) | instid1(VALU_DEP_3)
	v_pk_fma_f32 v[76:77], v[72:73], v[70:71], v[74:75] op_sel_hi:[1,0,1]
	v_add_nc_u32_e32 v9, 1, v9
	v_pk_fma_f32 v[70:71], v[72:73], v[70:71], v[74:75] neg_lo:[0,0,1] neg_hi:[0,0,1]
	v_mov_b32_e32 v71, v77
	s_delay_alu instid0(VALU_DEP_3) | instskip(NEXT) | instid1(VALU_DEP_2)
	v_cmp_lt_u32_e32 vcc_lo, 24, v9
	v_pk_add_f32 v[68:69], v[68:69], v[70:71]
	s_or_b32 s1, vcc_lo, s1
	s_delay_alu instid0(SALU_CYCLE_1)
	s_and_not1_b32 exec_lo, exec_lo, s1
	s_cbranch_execnz .LBB95_117
; %bb.118:
	s_or_b32 exec_lo, exec_lo, s1
	v_mov_b32_e32 v9, 0
	ds_load_b64 v[70:71], v9 offset:208
	s_wait_dscnt 0x0
	v_pk_mul_f32 v[72:73], v[68:69], v[70:71] op_sel:[1,1] op_sel_hi:[0,1]
	s_delay_alu instid0(VALU_DEP_1) | instskip(SKIP_1) | instid1(VALU_DEP_2)
	v_pk_fma_f32 v[74:75], v[68:69], v[70:71], v[72:73] op_sel_hi:[1,0,1]
	v_pk_fma_f32 v[68:69], v[68:69], v[70:71], v[72:73] neg_lo:[0,0,1] neg_hi:[0,0,1]
	v_mov_b32_e32 v69, v75
	scratch_store_b64 off, v[68:69], off offset:208
.LBB95_119:
	s_wait_xcnt 0x0
	s_or_b32 exec_lo, exec_lo, s0
	s_wait_storecnt 0x0
	s_barrier_signal -1
	s_barrier_wait -1
	scratch_load_b64 v[68:69], off, off offset:216
	s_mov_b32 s0, exec_lo
	s_wait_loadcnt 0x0
	ds_store_b64 v1, v[68:69]
	s_wait_dscnt 0x0
	s_barrier_signal -1
	s_barrier_wait -1
	v_cmpx_gt_u32_e32 27, v0
	s_cbranch_execz .LBB95_123
; %bb.120:
	v_dual_mov_b32 v68, 0 :: v_dual_add_nc_u32 v9, -1, v0
	v_add_nc_u32_e32 v11, 0x100, v66
	v_mov_b32_e32 v13, v66
	s_mov_b32 s1, 0
	s_delay_alu instid0(VALU_DEP_3)
	v_mov_b32_e32 v69, v68
.LBB95_121:                             ; =>This Inner Loop Header: Depth=1
	scratch_load_b64 v[70:71], v13, off
	ds_load_b64 v[72:73], v11
	s_wait_xcnt 0x0
	v_dual_add_nc_u32 v11, 8, v11 :: v_dual_add_nc_u32 v13, 8, v13
	s_wait_loadcnt_dscnt 0x0
	v_pk_mul_f32 v[74:75], v[72:73], v[70:71] op_sel:[1,1] op_sel_hi:[0,1]
	s_delay_alu instid0(VALU_DEP_1) | instskip(SKIP_2) | instid1(VALU_DEP_3)
	v_pk_fma_f32 v[76:77], v[72:73], v[70:71], v[74:75] op_sel_hi:[1,0,1]
	v_add_nc_u32_e32 v9, 1, v9
	v_pk_fma_f32 v[70:71], v[72:73], v[70:71], v[74:75] neg_lo:[0,0,1] neg_hi:[0,0,1]
	v_mov_b32_e32 v71, v77
	s_delay_alu instid0(VALU_DEP_3) | instskip(NEXT) | instid1(VALU_DEP_2)
	v_cmp_lt_u32_e32 vcc_lo, 25, v9
	v_pk_add_f32 v[68:69], v[68:69], v[70:71]
	s_or_b32 s1, vcc_lo, s1
	s_delay_alu instid0(SALU_CYCLE_1)
	s_and_not1_b32 exec_lo, exec_lo, s1
	s_cbranch_execnz .LBB95_121
; %bb.122:
	s_or_b32 exec_lo, exec_lo, s1
	v_mov_b32_e32 v9, 0
	ds_load_b64 v[70:71], v9 offset:216
	s_wait_dscnt 0x0
	v_pk_mul_f32 v[72:73], v[68:69], v[70:71] op_sel:[1,1] op_sel_hi:[0,1]
	s_delay_alu instid0(VALU_DEP_1) | instskip(SKIP_1) | instid1(VALU_DEP_2)
	v_pk_fma_f32 v[74:75], v[68:69], v[70:71], v[72:73] op_sel_hi:[1,0,1]
	v_pk_fma_f32 v[68:69], v[68:69], v[70:71], v[72:73] neg_lo:[0,0,1] neg_hi:[0,0,1]
	v_mov_b32_e32 v69, v75
	scratch_store_b64 off, v[68:69], off offset:216
.LBB95_123:
	s_wait_xcnt 0x0
	s_or_b32 exec_lo, exec_lo, s0
	s_wait_storecnt 0x0
	s_barrier_signal -1
	s_barrier_wait -1
	scratch_load_b64 v[68:69], off, off offset:224
	s_mov_b32 s0, exec_lo
	s_wait_loadcnt 0x0
	ds_store_b64 v1, v[68:69]
	s_wait_dscnt 0x0
	s_barrier_signal -1
	s_barrier_wait -1
	v_cmpx_gt_u32_e32 28, v0
	s_cbranch_execz .LBB95_127
; %bb.124:
	v_dual_mov_b32 v68, 0 :: v_dual_add_nc_u32 v9, -1, v0
	v_add_nc_u32_e32 v11, 0x100, v66
	v_mov_b32_e32 v13, v66
	s_mov_b32 s1, 0
	s_delay_alu instid0(VALU_DEP_3)
	v_mov_b32_e32 v69, v68
.LBB95_125:                             ; =>This Inner Loop Header: Depth=1
	scratch_load_b64 v[70:71], v13, off
	ds_load_b64 v[72:73], v11
	s_wait_xcnt 0x0
	v_dual_add_nc_u32 v11, 8, v11 :: v_dual_add_nc_u32 v13, 8, v13
	s_wait_loadcnt_dscnt 0x0
	v_pk_mul_f32 v[74:75], v[72:73], v[70:71] op_sel:[1,1] op_sel_hi:[0,1]
	s_delay_alu instid0(VALU_DEP_1) | instskip(SKIP_2) | instid1(VALU_DEP_3)
	v_pk_fma_f32 v[76:77], v[72:73], v[70:71], v[74:75] op_sel_hi:[1,0,1]
	v_add_nc_u32_e32 v9, 1, v9
	v_pk_fma_f32 v[70:71], v[72:73], v[70:71], v[74:75] neg_lo:[0,0,1] neg_hi:[0,0,1]
	v_mov_b32_e32 v71, v77
	s_delay_alu instid0(VALU_DEP_3) | instskip(NEXT) | instid1(VALU_DEP_2)
	v_cmp_lt_u32_e32 vcc_lo, 26, v9
	v_pk_add_f32 v[68:69], v[68:69], v[70:71]
	s_or_b32 s1, vcc_lo, s1
	s_delay_alu instid0(SALU_CYCLE_1)
	s_and_not1_b32 exec_lo, exec_lo, s1
	s_cbranch_execnz .LBB95_125
; %bb.126:
	s_or_b32 exec_lo, exec_lo, s1
	v_mov_b32_e32 v9, 0
	ds_load_b64 v[70:71], v9 offset:224
	s_wait_dscnt 0x0
	v_pk_mul_f32 v[72:73], v[68:69], v[70:71] op_sel:[1,1] op_sel_hi:[0,1]
	s_delay_alu instid0(VALU_DEP_1) | instskip(SKIP_1) | instid1(VALU_DEP_2)
	v_pk_fma_f32 v[74:75], v[68:69], v[70:71], v[72:73] op_sel_hi:[1,0,1]
	v_pk_fma_f32 v[68:69], v[68:69], v[70:71], v[72:73] neg_lo:[0,0,1] neg_hi:[0,0,1]
	v_mov_b32_e32 v69, v75
	scratch_store_b64 off, v[68:69], off offset:224
.LBB95_127:
	s_wait_xcnt 0x0
	s_or_b32 exec_lo, exec_lo, s0
	s_wait_storecnt 0x0
	s_barrier_signal -1
	s_barrier_wait -1
	scratch_load_b64 v[68:69], off, off offset:232
	s_mov_b32 s0, exec_lo
	s_wait_loadcnt 0x0
	ds_store_b64 v1, v[68:69]
	s_wait_dscnt 0x0
	s_barrier_signal -1
	s_barrier_wait -1
	v_cmpx_gt_u32_e32 29, v0
	s_cbranch_execz .LBB95_131
; %bb.128:
	v_dual_mov_b32 v68, 0 :: v_dual_add_nc_u32 v9, -1, v0
	v_add_nc_u32_e32 v11, 0x100, v66
	v_mov_b32_e32 v13, v66
	s_mov_b32 s1, 0
	s_delay_alu instid0(VALU_DEP_3)
	v_mov_b32_e32 v69, v68
.LBB95_129:                             ; =>This Inner Loop Header: Depth=1
	scratch_load_b64 v[70:71], v13, off
	ds_load_b64 v[72:73], v11
	s_wait_xcnt 0x0
	v_dual_add_nc_u32 v11, 8, v11 :: v_dual_add_nc_u32 v13, 8, v13
	s_wait_loadcnt_dscnt 0x0
	v_pk_mul_f32 v[74:75], v[72:73], v[70:71] op_sel:[1,1] op_sel_hi:[0,1]
	s_delay_alu instid0(VALU_DEP_1) | instskip(SKIP_2) | instid1(VALU_DEP_3)
	v_pk_fma_f32 v[76:77], v[72:73], v[70:71], v[74:75] op_sel_hi:[1,0,1]
	v_add_nc_u32_e32 v9, 1, v9
	v_pk_fma_f32 v[70:71], v[72:73], v[70:71], v[74:75] neg_lo:[0,0,1] neg_hi:[0,0,1]
	v_mov_b32_e32 v71, v77
	s_delay_alu instid0(VALU_DEP_3) | instskip(NEXT) | instid1(VALU_DEP_2)
	v_cmp_lt_u32_e32 vcc_lo, 27, v9
	v_pk_add_f32 v[68:69], v[68:69], v[70:71]
	s_or_b32 s1, vcc_lo, s1
	s_delay_alu instid0(SALU_CYCLE_1)
	s_and_not1_b32 exec_lo, exec_lo, s1
	s_cbranch_execnz .LBB95_129
; %bb.130:
	s_or_b32 exec_lo, exec_lo, s1
	v_mov_b32_e32 v9, 0
	ds_load_b64 v[70:71], v9 offset:232
	s_wait_dscnt 0x0
	v_pk_mul_f32 v[72:73], v[68:69], v[70:71] op_sel:[1,1] op_sel_hi:[0,1]
	s_delay_alu instid0(VALU_DEP_1) | instskip(SKIP_1) | instid1(VALU_DEP_2)
	v_pk_fma_f32 v[74:75], v[68:69], v[70:71], v[72:73] op_sel_hi:[1,0,1]
	v_pk_fma_f32 v[68:69], v[68:69], v[70:71], v[72:73] neg_lo:[0,0,1] neg_hi:[0,0,1]
	v_mov_b32_e32 v69, v75
	scratch_store_b64 off, v[68:69], off offset:232
.LBB95_131:
	s_wait_xcnt 0x0
	s_or_b32 exec_lo, exec_lo, s0
	s_wait_storecnt 0x0
	s_barrier_signal -1
	s_barrier_wait -1
	scratch_load_b64 v[68:69], off, off offset:240
	s_mov_b32 s0, exec_lo
	s_wait_loadcnt 0x0
	ds_store_b64 v1, v[68:69]
	s_wait_dscnt 0x0
	s_barrier_signal -1
	s_barrier_wait -1
	v_cmpx_gt_u32_e32 30, v0
	s_cbranch_execz .LBB95_135
; %bb.132:
	v_dual_mov_b32 v68, 0 :: v_dual_add_nc_u32 v9, -1, v0
	v_add_nc_u32_e32 v11, 0x100, v66
	v_mov_b32_e32 v13, v66
	s_mov_b32 s1, 0
	s_delay_alu instid0(VALU_DEP_3)
	v_mov_b32_e32 v69, v68
.LBB95_133:                             ; =>This Inner Loop Header: Depth=1
	scratch_load_b64 v[70:71], v13, off
	ds_load_b64 v[72:73], v11
	s_wait_xcnt 0x0
	v_dual_add_nc_u32 v11, 8, v11 :: v_dual_add_nc_u32 v13, 8, v13
	s_wait_loadcnt_dscnt 0x0
	v_pk_mul_f32 v[74:75], v[72:73], v[70:71] op_sel:[1,1] op_sel_hi:[0,1]
	s_delay_alu instid0(VALU_DEP_1) | instskip(SKIP_2) | instid1(VALU_DEP_3)
	v_pk_fma_f32 v[76:77], v[72:73], v[70:71], v[74:75] op_sel_hi:[1,0,1]
	v_add_nc_u32_e32 v9, 1, v9
	v_pk_fma_f32 v[70:71], v[72:73], v[70:71], v[74:75] neg_lo:[0,0,1] neg_hi:[0,0,1]
	v_mov_b32_e32 v71, v77
	s_delay_alu instid0(VALU_DEP_3) | instskip(NEXT) | instid1(VALU_DEP_2)
	v_cmp_lt_u32_e32 vcc_lo, 28, v9
	v_pk_add_f32 v[68:69], v[68:69], v[70:71]
	s_or_b32 s1, vcc_lo, s1
	s_delay_alu instid0(SALU_CYCLE_1)
	s_and_not1_b32 exec_lo, exec_lo, s1
	s_cbranch_execnz .LBB95_133
; %bb.134:
	s_or_b32 exec_lo, exec_lo, s1
	v_mov_b32_e32 v9, 0
	ds_load_b64 v[70:71], v9 offset:240
	s_wait_dscnt 0x0
	v_pk_mul_f32 v[72:73], v[68:69], v[70:71] op_sel:[1,1] op_sel_hi:[0,1]
	s_delay_alu instid0(VALU_DEP_1) | instskip(SKIP_1) | instid1(VALU_DEP_2)
	v_pk_fma_f32 v[74:75], v[68:69], v[70:71], v[72:73] op_sel_hi:[1,0,1]
	v_pk_fma_f32 v[68:69], v[68:69], v[70:71], v[72:73] neg_lo:[0,0,1] neg_hi:[0,0,1]
	v_mov_b32_e32 v69, v75
	scratch_store_b64 off, v[68:69], off offset:240
.LBB95_135:
	s_wait_xcnt 0x0
	s_or_b32 exec_lo, exec_lo, s0
	s_wait_storecnt 0x0
	s_barrier_signal -1
	s_barrier_wait -1
	scratch_load_b64 v[68:69], off, off offset:248
	s_mov_b32 s0, exec_lo
	s_wait_loadcnt 0x0
	ds_store_b64 v1, v[68:69]
	s_wait_dscnt 0x0
	s_barrier_signal -1
	s_barrier_wait -1
	v_cmpx_ne_u32_e32 31, v0
	s_cbranch_execz .LBB95_139
; %bb.136:
	v_dual_mov_b32 v68, 0 :: v_dual_mov_b32 v9, v66
	s_mov_b32 s1, 0
	s_delay_alu instid0(VALU_DEP_1)
	v_mov_b32_e32 v69, v68
.LBB95_137:                             ; =>This Inner Loop Header: Depth=1
	scratch_load_b64 v[66:67], v9, off
	ds_load_b64 v[70:71], v1
	v_add_nc_u32_e32 v1, 8, v1
	s_wait_xcnt 0x0
	v_add_nc_u32_e32 v9, 8, v9
	s_wait_loadcnt_dscnt 0x0
	v_pk_mul_f32 v[72:73], v[70:71], v[66:67] op_sel:[1,1] op_sel_hi:[0,1]
	s_delay_alu instid0(VALU_DEP_1) | instskip(SKIP_2) | instid1(VALU_DEP_3)
	v_pk_fma_f32 v[74:75], v[70:71], v[66:67], v[72:73] op_sel_hi:[1,0,1]
	v_add_nc_u32_e32 v7, 1, v7
	v_pk_fma_f32 v[66:67], v[70:71], v[66:67], v[72:73] neg_lo:[0,0,1] neg_hi:[0,0,1]
	v_mov_b32_e32 v67, v75
	s_delay_alu instid0(VALU_DEP_3) | instskip(NEXT) | instid1(VALU_DEP_2)
	v_cmp_lt_u32_e32 vcc_lo, 29, v7
	v_pk_add_f32 v[68:69], v[68:69], v[66:67]
	s_or_b32 s1, vcc_lo, s1
	s_delay_alu instid0(SALU_CYCLE_1)
	s_and_not1_b32 exec_lo, exec_lo, s1
	s_cbranch_execnz .LBB95_137
; %bb.138:
	s_or_b32 exec_lo, exec_lo, s1
	v_mov_b32_e32 v1, 0
	ds_load_b64 v[66:67], v1 offset:248
	s_wait_dscnt 0x0
	v_pk_mul_f32 v[70:71], v[68:69], v[66:67] op_sel:[1,1] op_sel_hi:[0,1]
	s_delay_alu instid0(VALU_DEP_1) | instskip(SKIP_1) | instid1(VALU_DEP_2)
	v_pk_fma_f32 v[72:73], v[68:69], v[66:67], v[70:71] op_sel_hi:[1,0,1]
	v_pk_fma_f32 v[66:67], v[68:69], v[66:67], v[70:71] neg_lo:[0,0,1] neg_hi:[0,0,1]
	v_mov_b32_e32 v67, v73
	scratch_store_b64 off, v[66:67], off offset:248
.LBB95_139:
	s_wait_xcnt 0x0
	s_or_b32 exec_lo, exec_lo, s0
	s_mov_b32 s1, -1
	s_wait_storecnt 0x0
	s_barrier_signal -1
	s_barrier_wait -1
.LBB95_140:
	s_and_b32 vcc_lo, exec_lo, s1
	s_cbranch_vccz .LBB95_142
; %bb.141:
	v_mov_b32_e32 v1, 0
	s_lshl_b64 s[0:1], s[10:11], 2
	s_delay_alu instid0(SALU_CYCLE_1)
	s_add_nc_u64 s[0:1], s[6:7], s[0:1]
	global_load_b32 v1, v1, s[0:1]
	s_wait_loadcnt 0x0
	v_cmp_ne_u32_e32 vcc_lo, 0, v1
	s_cbranch_vccz .LBB95_143
.LBB95_142:
	s_sendmsg sendmsg(MSG_DEALLOC_VGPRS)
	s_endpgm
.LBB95_143:
	s_wait_xcnt 0x0
	v_lshl_add_u32 v1, v0, 3, 0x100
	s_mov_b32 s0, exec_lo
	v_cmpx_eq_u32_e32 31, v0
	s_cbranch_execz .LBB95_145
; %bb.144:
	scratch_load_b64 v[66:67], off, off offset:240
	v_mov_b64_e32 v[68:69], 0
	scratch_store_b64 off, v[68:69], off offset:240
	s_wait_loadcnt 0x0
	ds_store_b64 v1, v[66:67]
.LBB95_145:
	s_wait_xcnt 0x0
	s_or_b32 exec_lo, exec_lo, s0
	s_wait_storecnt_dscnt 0x0
	s_barrier_signal -1
	s_barrier_wait -1
	s_clause 0x1
	scratch_load_b64 v[66:67], off, off offset:248
	scratch_load_b64 v[68:69], off, off offset:240
	v_mov_b32_e32 v7, 0
	s_mov_b32 s0, exec_lo
	ds_load_b64 v[70:71], v7 offset:504
	s_wait_loadcnt_dscnt 0x100
	v_pk_mul_f32 v[72:73], v[70:71], v[66:67] op_sel:[1,1] op_sel_hi:[0,1]
	s_delay_alu instid0(VALU_DEP_1) | instskip(SKIP_1) | instid1(VALU_DEP_2)
	v_pk_fma_f32 v[74:75], v[70:71], v[66:67], v[72:73] op_sel_hi:[1,0,1]
	v_pk_fma_f32 v[66:67], v[70:71], v[66:67], v[72:73] neg_lo:[0,0,1] neg_hi:[0,0,1]
	v_mov_b32_e32 v67, v75
	s_delay_alu instid0(VALU_DEP_1) | instskip(SKIP_1) | instid1(VALU_DEP_1)
	v_pk_add_f32 v[66:67], v[66:67], 0 op_sel_hi:[1,0]
	s_wait_loadcnt 0x0
	v_pk_add_f32 v[66:67], v[68:69], v[66:67] neg_lo:[0,1] neg_hi:[0,1]
	scratch_store_b64 off, v[66:67], off offset:240
	s_wait_xcnt 0x0
	v_cmpx_lt_u32_e32 29, v0
	s_cbranch_execz .LBB95_147
; %bb.146:
	scratch_load_b64 v[66:67], off, off offset:232
	v_mov_b64_e32 v[68:69], 0
	scratch_store_b64 off, v[68:69], off offset:232
	s_wait_loadcnt 0x0
	ds_store_b64 v1, v[66:67]
.LBB95_147:
	s_wait_xcnt 0x0
	s_or_b32 exec_lo, exec_lo, s0
	s_wait_storecnt_dscnt 0x0
	s_barrier_signal -1
	s_barrier_wait -1
	s_clause 0x1
	scratch_load_b128 v[66:69], off, off offset:240
	scratch_load_b64 v[74:75], off, off offset:232
	ds_load_b128 v[70:73], v7 offset:496
	s_mov_b32 s0, exec_lo
	s_wait_dscnt 0x0
	v_dual_mov_b32 v76, v73 :: v_dual_mov_b32 v77, v72
	s_wait_loadcnt 0x1
	v_pk_mul_f32 v[78:79], v[70:71], v[66:67] op_sel:[1,1] op_sel_hi:[0,1]
	s_delay_alu instid0(VALU_DEP_1) | instskip(SKIP_2) | instid1(VALU_DEP_3)
	v_pk_fma_f32 v[82:83], v[70:71], v[66:67], v[78:79] op_sel_hi:[1,0,1]
	v_mov_b32_e32 v80, v69
	v_pk_fma_f32 v[66:67], v[70:71], v[66:67], v[78:79] neg_lo:[0,0,1] neg_hi:[0,0,1]
	v_mov_b32_e32 v67, v83
	s_delay_alu instid0(VALU_DEP_3) | instskip(NEXT) | instid1(VALU_DEP_2)
	v_pk_mul_f32 v[76:77], v[76:77], v[80:81] op_sel_hi:[1,0]
	v_pk_add_f32 v[66:67], v[66:67], 0 op_sel_hi:[1,0]
	s_delay_alu instid0(VALU_DEP_2) | instskip(SKIP_1) | instid1(VALU_DEP_2)
	v_pk_fma_f32 v[70:71], v[72:73], v[68:69], v[76:77] op_sel_hi:[1,0,1]
	v_pk_fma_f32 v[68:69], v[72:73], v[68:69], v[76:77] neg_lo:[0,0,1] neg_hi:[0,0,1]
	v_mov_b32_e32 v69, v71
	s_delay_alu instid0(VALU_DEP_1) | instskip(SKIP_1) | instid1(VALU_DEP_1)
	v_pk_add_f32 v[66:67], v[66:67], v[68:69]
	s_wait_loadcnt 0x0
	v_pk_add_f32 v[66:67], v[74:75], v[66:67] neg_lo:[0,1] neg_hi:[0,1]
	scratch_store_b64 off, v[66:67], off offset:232
	s_wait_xcnt 0x0
	v_cmpx_lt_u32_e32 28, v0
	s_cbranch_execz .LBB95_149
; %bb.148:
	scratch_load_b64 v[66:67], off, off offset:224
	v_mov_b64_e32 v[68:69], 0
	scratch_store_b64 off, v[68:69], off offset:224
	s_wait_loadcnt 0x0
	ds_store_b64 v1, v[66:67]
.LBB95_149:
	s_wait_xcnt 0x0
	s_or_b32 exec_lo, exec_lo, s0
	s_wait_storecnt_dscnt 0x0
	s_barrier_signal -1
	s_barrier_wait -1
	s_clause 0x2
	scratch_load_b128 v[66:69], off, off offset:232
	scratch_load_b64 v[74:75], off, off offset:248
	scratch_load_b64 v[76:77], off, off offset:224
	v_mov_b32_e32 v7, 0
	ds_load_2addr_b64 v[70:73], v7 offset0:61 offset1:62
	ds_load_b64 v[78:79], v7 offset:504
	s_mov_b32 s0, exec_lo
	s_wait_dscnt 0x1
	v_dual_mov_b32 v80, v73 :: v_dual_mov_b32 v81, v72
	s_wait_loadcnt 0x2
	v_mov_b32_e32 v84, v69
	v_pk_mul_f32 v[82:83], v[70:71], v[66:67] op_sel:[1,1] op_sel_hi:[0,1]
	s_delay_alu instid0(VALU_DEP_2) | instskip(NEXT) | instid1(VALU_DEP_2)
	v_pk_mul_f32 v[80:81], v[80:81], v[84:85] op_sel_hi:[1,0]
	v_pk_fma_f32 v[86:87], v[70:71], v[66:67], v[82:83] op_sel_hi:[1,0,1]
	v_pk_fma_f32 v[66:67], v[70:71], v[66:67], v[82:83] neg_lo:[0,0,1] neg_hi:[0,0,1]
	s_wait_loadcnt_dscnt 0x100
	v_pk_mul_f32 v[82:83], v[78:79], v[74:75] op_sel:[1,1] op_sel_hi:[0,1]
	v_pk_fma_f32 v[70:71], v[72:73], v[68:69], v[80:81] op_sel_hi:[1,0,1]
	v_mov_b32_e32 v67, v87
	v_pk_fma_f32 v[68:69], v[72:73], v[68:69], v[80:81] neg_lo:[0,0,1] neg_hi:[0,0,1]
	s_delay_alu instid0(VALU_DEP_4) | instskip(NEXT) | instid1(VALU_DEP_4)
	v_pk_fma_f32 v[72:73], v[78:79], v[74:75], v[82:83] neg_lo:[0,0,1] neg_hi:[0,0,1]
	v_mov_b32_e32 v69, v71
	s_delay_alu instid0(VALU_DEP_4) | instskip(SKIP_1) | instid1(VALU_DEP_2)
	v_pk_add_f32 v[66:67], v[66:67], 0 op_sel_hi:[1,0]
	v_pk_fma_f32 v[70:71], v[78:79], v[74:75], v[82:83] op_sel_hi:[1,0,1]
	v_pk_add_f32 v[66:67], v[66:67], v[68:69]
	s_delay_alu instid0(VALU_DEP_2) | instskip(NEXT) | instid1(VALU_DEP_1)
	v_mov_b32_e32 v73, v71
	v_pk_add_f32 v[66:67], v[66:67], v[72:73]
	s_wait_loadcnt 0x0
	s_delay_alu instid0(VALU_DEP_1)
	v_pk_add_f32 v[66:67], v[76:77], v[66:67] neg_lo:[0,1] neg_hi:[0,1]
	scratch_store_b64 off, v[66:67], off offset:224
	s_wait_xcnt 0x0
	v_cmpx_lt_u32_e32 27, v0
	s_cbranch_execz .LBB95_151
; %bb.150:
	scratch_load_b64 v[66:67], off, off offset:216
	v_mov_b64_e32 v[68:69], 0
	scratch_store_b64 off, v[68:69], off offset:216
	s_wait_loadcnt 0x0
	ds_store_b64 v1, v[66:67]
.LBB95_151:
	s_wait_xcnt 0x0
	s_or_b32 exec_lo, exec_lo, s0
	s_wait_storecnt_dscnt 0x0
	s_barrier_signal -1
	s_barrier_wait -1
	s_clause 0x2
	scratch_load_b128 v[66:69], off, off offset:224
	scratch_load_b128 v[70:73], off, off offset:240
	scratch_load_b64 v[82:83], off, off offset:216
	ds_load_b128 v[74:77], v7 offset:480
	ds_load_b128 v[78:81], v7 offset:496
	s_mov_b32 s0, exec_lo
	s_wait_dscnt 0x1
	v_dual_mov_b32 v84, v77 :: v_dual_mov_b32 v85, v76
	s_wait_loadcnt_dscnt 0x200
	v_dual_mov_b32 v90, v81 :: v_dual_mov_b32 v88, v69
	v_pk_mul_f32 v[86:87], v[74:75], v[66:67] op_sel:[1,1] op_sel_hi:[0,1]
	s_delay_alu instid0(VALU_DEP_2) | instskip(NEXT) | instid1(VALU_DEP_2)
	v_pk_mul_f32 v[84:85], v[84:85], v[88:89] op_sel_hi:[1,0]
	v_pk_fma_f32 v[92:93], v[74:75], v[66:67], v[86:87] op_sel_hi:[1,0,1]
	v_pk_fma_f32 v[66:67], v[74:75], v[66:67], v[86:87] neg_lo:[0,0,1] neg_hi:[0,0,1]
	v_mov_b32_e32 v91, v80
	s_wait_loadcnt 0x1
	v_pk_mul_f32 v[88:89], v[78:79], v[70:71] op_sel:[1,1] op_sel_hi:[0,1]
	v_pk_fma_f32 v[74:75], v[76:77], v[68:69], v[84:85] op_sel_hi:[1,0,1]
	v_dual_mov_b32 v67, v93 :: v_dual_mov_b32 v74, v73
	v_pk_fma_f32 v[68:69], v[76:77], v[68:69], v[84:85] neg_lo:[0,0,1] neg_hi:[0,0,1]
	s_delay_alu instid0(VALU_DEP_4) | instskip(NEXT) | instid1(VALU_DEP_4)
	v_pk_fma_f32 v[86:87], v[78:79], v[70:71], v[88:89] op_sel_hi:[1,0,1]
	v_mov_b32_e32 v69, v75
	s_delay_alu instid0(VALU_DEP_4) | instskip(SKIP_2) | instid1(VALU_DEP_3)
	v_pk_add_f32 v[66:67], v[66:67], 0 op_sel_hi:[1,0]
	v_pk_mul_f32 v[74:75], v[90:91], v[74:75] op_sel_hi:[1,0]
	v_pk_fma_f32 v[70:71], v[78:79], v[70:71], v[88:89] neg_lo:[0,0,1] neg_hi:[0,0,1]
	v_pk_add_f32 v[66:67], v[66:67], v[68:69]
	s_delay_alu instid0(VALU_DEP_3) | instskip(SKIP_2) | instid1(VALU_DEP_3)
	v_pk_fma_f32 v[68:69], v[80:81], v[72:73], v[74:75] op_sel_hi:[1,0,1]
	v_mov_b32_e32 v71, v87
	v_pk_fma_f32 v[72:73], v[80:81], v[72:73], v[74:75] neg_lo:[0,0,1] neg_hi:[0,0,1]
	v_mov_b32_e32 v73, v69
	s_delay_alu instid0(VALU_DEP_3) | instskip(NEXT) | instid1(VALU_DEP_1)
	v_pk_add_f32 v[66:67], v[66:67], v[70:71]
	v_pk_add_f32 v[66:67], v[66:67], v[72:73]
	s_wait_loadcnt 0x0
	s_delay_alu instid0(VALU_DEP_1)
	v_pk_add_f32 v[66:67], v[82:83], v[66:67] neg_lo:[0,1] neg_hi:[0,1]
	scratch_store_b64 off, v[66:67], off offset:216
	s_wait_xcnt 0x0
	v_cmpx_lt_u32_e32 26, v0
	s_cbranch_execz .LBB95_153
; %bb.152:
	scratch_load_b64 v[66:67], off, off offset:208
	v_mov_b64_e32 v[68:69], 0
	scratch_store_b64 off, v[68:69], off offset:208
	s_wait_loadcnt 0x0
	ds_store_b64 v1, v[66:67]
.LBB95_153:
	s_wait_xcnt 0x0
	s_or_b32 exec_lo, exec_lo, s0
	s_wait_storecnt_dscnt 0x0
	s_barrier_signal -1
	s_barrier_wait -1
	s_clause 0x3
	scratch_load_b128 v[66:69], off, off offset:216
	scratch_load_b128 v[70:73], off, off offset:232
	scratch_load_b64 v[82:83], off, off offset:248
	scratch_load_b64 v[84:85], off, off offset:208
	v_mov_b32_e32 v7, 0
	ds_load_2addr_b64 v[74:77], v7 offset0:59 offset1:60
	ds_load_2addr_b64 v[78:81], v7 offset0:61 offset1:62
	s_mov_b32 s0, exec_lo
	s_wait_dscnt 0x1
	v_dual_mov_b32 v86, v77 :: v_dual_mov_b32 v87, v76
	ds_load_b64 v[92:93], v7 offset:504
	s_wait_dscnt 0x1
	v_dual_mov_b32 v94, v81 :: v_dual_mov_b32 v95, v80
	s_wait_loadcnt 0x3
	v_pk_mul_f32 v[88:89], v[74:75], v[66:67] op_sel:[1,1] op_sel_hi:[0,1]
	v_mov_b32_e32 v90, v69
	s_delay_alu instid0(VALU_DEP_2) | instskip(NEXT) | instid1(VALU_DEP_2)
	v_pk_fma_f32 v[96:97], v[74:75], v[66:67], v[88:89] op_sel_hi:[1,0,1]
	v_pk_mul_f32 v[86:87], v[86:87], v[90:91] op_sel_hi:[1,0]
	v_pk_fma_f32 v[66:67], v[74:75], v[66:67], v[88:89] neg_lo:[0,0,1] neg_hi:[0,0,1]
	s_wait_loadcnt 0x2
	v_pk_mul_f32 v[90:91], v[78:79], v[70:71] op_sel:[1,1] op_sel_hi:[0,1]
	v_dual_mov_b32 v96, v73 :: v_dual_mov_b32 v67, v97
	v_pk_fma_f32 v[74:75], v[76:77], v[68:69], v[86:87] op_sel_hi:[1,0,1]
	v_pk_fma_f32 v[68:69], v[76:77], v[68:69], v[86:87] neg_lo:[0,0,1] neg_hi:[0,0,1]
	s_delay_alu instid0(VALU_DEP_4) | instskip(NEXT) | instid1(VALU_DEP_4)
	v_pk_fma_f32 v[88:89], v[78:79], v[70:71], v[90:91] op_sel_hi:[1,0,1]
	v_pk_mul_f32 v[94:95], v[94:95], v[96:97] op_sel_hi:[1,0]
	v_pk_add_f32 v[66:67], v[66:67], 0 op_sel_hi:[1,0]
	v_mov_b32_e32 v69, v75
	v_pk_fma_f32 v[70:71], v[78:79], v[70:71], v[90:91] neg_lo:[0,0,1] neg_hi:[0,0,1]
	v_mov_b32_e32 v71, v89
	v_pk_fma_f32 v[74:75], v[80:81], v[72:73], v[94:95] op_sel_hi:[1,0,1]
	v_pk_fma_f32 v[72:73], v[80:81], v[72:73], v[94:95] neg_lo:[0,0,1] neg_hi:[0,0,1]
	v_pk_add_f32 v[66:67], v[66:67], v[68:69]
	s_wait_loadcnt_dscnt 0x100
	v_pk_mul_f32 v[68:69], v[92:93], v[82:83] op_sel:[1,1] op_sel_hi:[0,1]
	s_delay_alu instid0(VALU_DEP_2) | instskip(NEXT) | instid1(VALU_DEP_2)
	v_pk_add_f32 v[66:67], v[66:67], v[70:71]
	v_pk_fma_f32 v[70:71], v[92:93], v[82:83], v[68:69] op_sel_hi:[1,0,1]
	v_mov_b32_e32 v73, v75
	v_pk_fma_f32 v[68:69], v[92:93], v[82:83], v[68:69] neg_lo:[0,0,1] neg_hi:[0,0,1]
	s_delay_alu instid0(VALU_DEP_3) | instskip(NEXT) | instid1(VALU_DEP_3)
	v_mov_b32_e32 v69, v71
	v_pk_add_f32 v[66:67], v[66:67], v[72:73]
	s_delay_alu instid0(VALU_DEP_1) | instskip(SKIP_1) | instid1(VALU_DEP_1)
	v_pk_add_f32 v[66:67], v[66:67], v[68:69]
	s_wait_loadcnt 0x0
	v_pk_add_f32 v[66:67], v[84:85], v[66:67] neg_lo:[0,1] neg_hi:[0,1]
	scratch_store_b64 off, v[66:67], off offset:208
	s_wait_xcnt 0x0
	v_cmpx_lt_u32_e32 25, v0
	s_cbranch_execz .LBB95_155
; %bb.154:
	scratch_load_b64 v[66:67], off, off offset:200
	v_mov_b64_e32 v[68:69], 0
	scratch_store_b64 off, v[68:69], off offset:200
	s_wait_loadcnt 0x0
	ds_store_b64 v1, v[66:67]
.LBB95_155:
	s_wait_xcnt 0x0
	s_or_b32 exec_lo, exec_lo, s0
	s_wait_storecnt_dscnt 0x0
	s_barrier_signal -1
	s_barrier_wait -1
	s_clause 0x3
	scratch_load_b128 v[66:69], off, off offset:208
	scratch_load_b128 v[70:73], off, off offset:224
	;; [unrolled: 1-line block ×3, first 2 shown]
	scratch_load_b64 v[90:91], off, off offset:200
	ds_load_b128 v[78:81], v7 offset:464
	ds_load_b128 v[82:85], v7 offset:480
	;; [unrolled: 1-line block ×3, first 2 shown]
	s_mov_b32 s0, exec_lo
	s_wait_dscnt 0x2
	v_dual_mov_b32 v92, v81 :: v_dual_mov_b32 v93, v80
	s_wait_dscnt 0x1
	v_dual_mov_b32 v94, v85 :: v_dual_mov_b32 v95, v84
	;; [unrolled: 2-line block ×3, first 2 shown]
	s_wait_loadcnt 0x3
	v_pk_mul_f32 v[96:97], v[78:79], v[66:67] op_sel:[1,1] op_sel_hi:[0,1]
	v_mov_b32_e32 v98, v69
	s_delay_alu instid0(VALU_DEP_2) | instskip(NEXT) | instid1(VALU_DEP_2)
	v_pk_fma_f32 v[102:103], v[78:79], v[66:67], v[96:97] op_sel_hi:[1,0,1]
	v_pk_mul_f32 v[92:93], v[92:93], v[98:99] op_sel_hi:[1,0]
	v_pk_fma_f32 v[66:67], v[78:79], v[66:67], v[96:97] neg_lo:[0,0,1] neg_hi:[0,0,1]
	s_wait_loadcnt 0x2
	v_pk_mul_f32 v[98:99], v[82:83], v[70:71] op_sel:[1,1] op_sel_hi:[0,1]
	v_mov_b32_e32 v102, v73
	v_pk_fma_f32 v[78:79], v[80:81], v[68:69], v[92:93] op_sel_hi:[1,0,1]
	v_mov_b32_e32 v67, v103
	v_pk_fma_f32 v[68:69], v[80:81], v[68:69], v[92:93] neg_lo:[0,0,1] neg_hi:[0,0,1]
	v_pk_fma_f32 v[96:97], v[82:83], v[70:71], v[98:99] op_sel_hi:[1,0,1]
	v_pk_mul_f32 v[94:95], v[94:95], v[102:103] op_sel_hi:[1,0]
	v_mov_b32_e32 v69, v79
	v_pk_add_f32 v[66:67], v[66:67], 0 op_sel_hi:[1,0]
	v_pk_fma_f32 v[70:71], v[82:83], v[70:71], v[98:99] neg_lo:[0,0,1] neg_hi:[0,0,1]
	s_wait_loadcnt 0x1
	v_pk_mul_f32 v[78:79], v[86:87], v[74:75] op_sel:[1,1] op_sel_hi:[0,1]
	v_mov_b32_e32 v71, v97
	v_pk_fma_f32 v[80:81], v[84:85], v[72:73], v[94:95] op_sel_hi:[1,0,1]
	v_pk_add_f32 v[66:67], v[66:67], v[68:69]
	v_mov_b32_e32 v68, v77
	v_pk_fma_f32 v[72:73], v[84:85], v[72:73], v[94:95] neg_lo:[0,0,1] neg_hi:[0,0,1]
	v_pk_fma_f32 v[82:83], v[86:87], v[74:75], v[78:79] op_sel_hi:[1,0,1]
	v_mov_b32_e32 v73, v81
	v_pk_add_f32 v[66:67], v[66:67], v[70:71]
	v_pk_mul_f32 v[68:69], v[100:101], v[68:69] op_sel_hi:[1,0]
	v_pk_fma_f32 v[70:71], v[86:87], v[74:75], v[78:79] neg_lo:[0,0,1] neg_hi:[0,0,1]
	v_mov_b32_e32 v71, v83
	s_delay_alu instid0(VALU_DEP_4) | instskip(NEXT) | instid1(VALU_DEP_4)
	v_pk_add_f32 v[66:67], v[66:67], v[72:73]
	v_pk_fma_f32 v[72:73], v[88:89], v[76:77], v[68:69] op_sel_hi:[1,0,1]
	v_pk_fma_f32 v[68:69], v[88:89], v[76:77], v[68:69] neg_lo:[0,0,1] neg_hi:[0,0,1]
	s_delay_alu instid0(VALU_DEP_3) | instskip(NEXT) | instid1(VALU_DEP_3)
	v_pk_add_f32 v[66:67], v[66:67], v[70:71]
	v_mov_b32_e32 v69, v73
	s_delay_alu instid0(VALU_DEP_1) | instskip(SKIP_1) | instid1(VALU_DEP_1)
	v_pk_add_f32 v[66:67], v[66:67], v[68:69]
	s_wait_loadcnt 0x0
	v_pk_add_f32 v[66:67], v[90:91], v[66:67] neg_lo:[0,1] neg_hi:[0,1]
	scratch_store_b64 off, v[66:67], off offset:200
	s_wait_xcnt 0x0
	v_cmpx_lt_u32_e32 24, v0
	s_cbranch_execz .LBB95_157
; %bb.156:
	scratch_load_b64 v[66:67], off, off offset:192
	v_mov_b64_e32 v[68:69], 0
	scratch_store_b64 off, v[68:69], off offset:192
	s_wait_loadcnt 0x0
	ds_store_b64 v1, v[66:67]
.LBB95_157:
	s_wait_xcnt 0x0
	s_or_b32 exec_lo, exec_lo, s0
	s_wait_storecnt_dscnt 0x0
	s_barrier_signal -1
	s_barrier_wait -1
	s_clause 0x4
	scratch_load_b128 v[66:69], off, off offset:200
	scratch_load_b128 v[70:73], off, off offset:216
	scratch_load_b128 v[74:77], off, off offset:232
	scratch_load_b64 v[90:91], off, off offset:248
	scratch_load_b64 v[92:93], off, off offset:192
	v_mov_b32_e32 v7, 0
	ds_load_2addr_b64 v[78:81], v7 offset0:57 offset1:58
	ds_load_2addr_b64 v[82:85], v7 offset0:59 offset1:60
	;; [unrolled: 1-line block ×3, first 2 shown]
	ds_load_b64 v[94:95], v7 offset:504
	s_mov_b32 s0, exec_lo
	s_wait_dscnt 0x3
	v_dual_mov_b32 v96, v81 :: v_dual_mov_b32 v97, v80
	s_wait_dscnt 0x2
	v_dual_mov_b32 v98, v85 :: v_dual_mov_b32 v99, v84
	;; [unrolled: 2-line block ×3, first 2 shown]
	s_wait_loadcnt 0x4
	v_pk_mul_f32 v[100:101], v[78:79], v[66:67] op_sel:[1,1] op_sel_hi:[0,1]
	v_mov_b32_e32 v102, v69
	s_wait_loadcnt 0x3
	v_pk_mul_f32 v[106:107], v[82:83], v[70:71] op_sel:[1,1] op_sel_hi:[0,1]
	s_wait_loadcnt 0x2
	v_pk_mul_f32 v[110:111], v[86:87], v[74:75] op_sel:[1,1] op_sel_hi:[0,1]
	v_pk_fma_f32 v[108:109], v[78:79], v[66:67], v[100:101] op_sel_hi:[1,0,1]
	v_pk_mul_f32 v[96:97], v[96:97], v[102:103] op_sel_hi:[1,0]
	v_pk_fma_f32 v[66:67], v[78:79], v[66:67], v[100:101] neg_lo:[0,0,1] neg_hi:[0,0,1]
	v_mov_b32_e32 v102, v73
	v_pk_fma_f32 v[100:101], v[82:83], v[70:71], v[106:107] op_sel_hi:[1,0,1]
	v_mov_b32_e32 v67, v109
	v_pk_fma_f32 v[78:79], v[80:81], v[68:69], v[96:97] op_sel_hi:[1,0,1]
	v_pk_fma_f32 v[68:69], v[80:81], v[68:69], v[96:97] neg_lo:[0,0,1] neg_hi:[0,0,1]
	v_pk_mul_f32 v[98:99], v[98:99], v[102:103] op_sel_hi:[1,0]
	v_pk_fma_f32 v[70:71], v[82:83], v[70:71], v[106:107] neg_lo:[0,0,1] neg_hi:[0,0,1]
	v_pk_add_f32 v[66:67], v[66:67], 0 op_sel_hi:[1,0]
	v_dual_mov_b32 v69, v79 :: v_dual_mov_b32 v78, v77
	s_delay_alu instid0(VALU_DEP_4) | instskip(SKIP_2) | instid1(VALU_DEP_4)
	v_pk_fma_f32 v[80:81], v[84:85], v[72:73], v[98:99] op_sel_hi:[1,0,1]
	v_mov_b32_e32 v71, v101
	v_pk_fma_f32 v[72:73], v[84:85], v[72:73], v[98:99] neg_lo:[0,0,1] neg_hi:[0,0,1]
	v_pk_add_f32 v[66:67], v[66:67], v[68:69]
	v_pk_fma_f32 v[68:69], v[86:87], v[74:75], v[110:111] op_sel_hi:[1,0,1]
	v_pk_mul_f32 v[78:79], v[104:105], v[78:79] op_sel_hi:[1,0]
	v_mov_b32_e32 v73, v81
	s_delay_alu instid0(VALU_DEP_4)
	v_pk_add_f32 v[66:67], v[66:67], v[70:71]
	v_pk_fma_f32 v[70:71], v[86:87], v[74:75], v[110:111] neg_lo:[0,0,1] neg_hi:[0,0,1]
	v_mov_b32_e32 v71, v69
	v_pk_fma_f32 v[68:69], v[88:89], v[76:77], v[78:79] op_sel_hi:[1,0,1]
	v_pk_fma_f32 v[74:75], v[88:89], v[76:77], v[78:79] neg_lo:[0,0,1] neg_hi:[0,0,1]
	v_pk_add_f32 v[66:67], v[66:67], v[72:73]
	s_wait_loadcnt_dscnt 0x100
	v_pk_mul_f32 v[72:73], v[94:95], v[90:91] op_sel:[1,1] op_sel_hi:[0,1]
	v_mov_b32_e32 v75, v69
	s_delay_alu instid0(VALU_DEP_3) | instskip(NEXT) | instid1(VALU_DEP_3)
	v_pk_add_f32 v[66:67], v[66:67], v[70:71]
	v_pk_fma_f32 v[68:69], v[94:95], v[90:91], v[72:73] op_sel_hi:[1,0,1]
	v_pk_fma_f32 v[70:71], v[94:95], v[90:91], v[72:73] neg_lo:[0,0,1] neg_hi:[0,0,1]
	s_delay_alu instid0(VALU_DEP_3) | instskip(NEXT) | instid1(VALU_DEP_3)
	v_pk_add_f32 v[66:67], v[66:67], v[74:75]
	v_mov_b32_e32 v71, v69
	s_delay_alu instid0(VALU_DEP_1) | instskip(SKIP_1) | instid1(VALU_DEP_1)
	v_pk_add_f32 v[66:67], v[66:67], v[70:71]
	s_wait_loadcnt 0x0
	v_pk_add_f32 v[66:67], v[92:93], v[66:67] neg_lo:[0,1] neg_hi:[0,1]
	scratch_store_b64 off, v[66:67], off offset:192
	s_wait_xcnt 0x0
	v_cmpx_lt_u32_e32 23, v0
	s_cbranch_execz .LBB95_159
; %bb.158:
	scratch_load_b64 v[66:67], off, off offset:184
	v_mov_b64_e32 v[68:69], 0
	scratch_store_b64 off, v[68:69], off offset:184
	s_wait_loadcnt 0x0
	ds_store_b64 v1, v[66:67]
.LBB95_159:
	s_wait_xcnt 0x0
	s_or_b32 exec_lo, exec_lo, s0
	s_wait_storecnt_dscnt 0x0
	s_barrier_signal -1
	s_barrier_wait -1
	s_clause 0x4
	scratch_load_b128 v[66:69], off, off offset:192
	scratch_load_b128 v[70:73], off, off offset:208
	;; [unrolled: 1-line block ×4, first 2 shown]
	scratch_load_b64 v[98:99], off, off offset:184
	ds_load_b128 v[82:85], v7 offset:448
	ds_load_b128 v[86:89], v7 offset:464
	;; [unrolled: 1-line block ×4, first 2 shown]
	s_mov_b32 s0, exec_lo
	s_wait_dscnt 0x3
	v_dual_mov_b32 v100, v85 :: v_dual_mov_b32 v101, v84
	s_wait_dscnt 0x2
	v_dual_mov_b32 v102, v89 :: v_dual_mov_b32 v103, v88
	;; [unrolled: 2-line block ×3, first 2 shown]
	v_dual_mov_b32 v105, v92 :: v_dual_mov_b32 v110, v97
	s_wait_loadcnt 0x4
	v_mov_b32_e32 v108, v69
	v_pk_mul_f32 v[106:107], v[82:83], v[66:67] op_sel:[1,1] op_sel_hi:[0,1]
	s_wait_loadcnt 0x3
	v_pk_mul_f32 v[112:113], v[86:87], v[70:71] op_sel:[1,1] op_sel_hi:[0,1]
	s_wait_loadcnt 0x2
	v_pk_mul_f32 v[116:117], v[90:91], v[74:75] op_sel:[1,1] op_sel_hi:[0,1]
	v_pk_mul_f32 v[100:101], v[100:101], v[108:109] op_sel_hi:[1,0]
	v_pk_fma_f32 v[114:115], v[82:83], v[66:67], v[106:107] op_sel_hi:[1,0,1]
	v_pk_fma_f32 v[66:67], v[82:83], v[66:67], v[106:107] neg_lo:[0,0,1] neg_hi:[0,0,1]
	v_mov_b32_e32 v108, v73
	v_pk_fma_f32 v[106:107], v[86:87], v[70:71], v[112:113] op_sel_hi:[1,0,1]
	v_pk_fma_f32 v[82:83], v[84:85], v[68:69], v[100:101] op_sel_hi:[1,0,1]
	v_mov_b32_e32 v67, v115
	v_pk_fma_f32 v[68:69], v[84:85], v[68:69], v[100:101] neg_lo:[0,0,1] neg_hi:[0,0,1]
	v_pk_mul_f32 v[102:103], v[102:103], v[108:109] op_sel_hi:[1,0]
	s_delay_alu instid0(VALU_DEP_4) | instskip(NEXT) | instid1(VALU_DEP_4)
	v_dual_mov_b32 v82, v77 :: v_dual_mov_b32 v69, v83
	v_pk_add_f32 v[66:67], v[66:67], 0 op_sel_hi:[1,0]
	v_pk_fma_f32 v[70:71], v[86:87], v[70:71], v[112:113] neg_lo:[0,0,1] neg_hi:[0,0,1]
	v_mov_b32_e32 v71, v107
	v_pk_fma_f32 v[84:85], v[88:89], v[72:73], v[102:103] op_sel_hi:[1,0,1]
	v_pk_mul_f32 v[82:83], v[104:105], v[82:83] op_sel_hi:[1,0]
	v_pk_add_f32 v[66:67], v[66:67], v[68:69]
	v_pk_fma_f32 v[68:69], v[90:91], v[74:75], v[116:117] op_sel_hi:[1,0,1]
	v_pk_fma_f32 v[72:73], v[88:89], v[72:73], v[102:103] neg_lo:[0,0,1] neg_hi:[0,0,1]
	v_mov_b32_e32 v73, v85
	v_pk_fma_f32 v[74:75], v[90:91], v[74:75], v[116:117] neg_lo:[0,0,1] neg_hi:[0,0,1]
	v_pk_add_f32 v[66:67], v[66:67], v[70:71]
	v_mov_b32_e32 v75, v69
	v_pk_fma_f32 v[68:69], v[92:93], v[76:77], v[82:83] op_sel_hi:[1,0,1]
	s_wait_loadcnt 0x1
	v_pk_mul_f32 v[70:71], v[94:95], v[78:79] op_sel:[1,1] op_sel_hi:[0,1]
	v_mov_b32_e32 v68, v81
	v_pk_add_f32 v[66:67], v[66:67], v[72:73]
	v_pk_fma_f32 v[76:77], v[92:93], v[76:77], v[82:83] neg_lo:[0,0,1] neg_hi:[0,0,1]
	v_mov_b32_e32 v77, v69
	v_pk_fma_f32 v[72:73], v[94:95], v[78:79], v[70:71] op_sel_hi:[1,0,1]
	v_pk_mul_f32 v[68:69], v[110:111], v[68:69] op_sel_hi:[1,0]
	v_pk_add_f32 v[66:67], v[66:67], v[74:75]
	v_pk_fma_f32 v[70:71], v[94:95], v[78:79], v[70:71] neg_lo:[0,0,1] neg_hi:[0,0,1]
	s_delay_alu instid0(VALU_DEP_4) | instskip(NEXT) | instid1(VALU_DEP_4)
	v_mov_b32_e32 v71, v73
	v_pk_fma_f32 v[72:73], v[96:97], v[80:81], v[68:69] op_sel_hi:[1,0,1]
	s_delay_alu instid0(VALU_DEP_4) | instskip(SKIP_1) | instid1(VALU_DEP_3)
	v_pk_add_f32 v[66:67], v[66:67], v[76:77]
	v_pk_fma_f32 v[68:69], v[96:97], v[80:81], v[68:69] neg_lo:[0,0,1] neg_hi:[0,0,1]
	v_mov_b32_e32 v69, v73
	s_delay_alu instid0(VALU_DEP_3) | instskip(NEXT) | instid1(VALU_DEP_1)
	v_pk_add_f32 v[66:67], v[66:67], v[70:71]
	v_pk_add_f32 v[66:67], v[66:67], v[68:69]
	s_wait_loadcnt 0x0
	s_delay_alu instid0(VALU_DEP_1)
	v_pk_add_f32 v[66:67], v[98:99], v[66:67] neg_lo:[0,1] neg_hi:[0,1]
	scratch_store_b64 off, v[66:67], off offset:184
	s_wait_xcnt 0x0
	v_cmpx_lt_u32_e32 22, v0
	s_cbranch_execz .LBB95_161
; %bb.160:
	scratch_load_b64 v[66:67], off, off offset:176
	v_mov_b64_e32 v[68:69], 0
	scratch_store_b64 off, v[68:69], off offset:176
	s_wait_loadcnt 0x0
	ds_store_b64 v1, v[66:67]
.LBB95_161:
	s_wait_xcnt 0x0
	s_or_b32 exec_lo, exec_lo, s0
	s_wait_storecnt_dscnt 0x0
	s_barrier_signal -1
	s_barrier_wait -1
	s_clause 0x5
	scratch_load_b128 v[66:69], off, off offset:184
	scratch_load_b128 v[70:73], off, off offset:200
	;; [unrolled: 1-line block ×4, first 2 shown]
	scratch_load_b64 v[98:99], off, off offset:248
	scratch_load_b64 v[100:101], off, off offset:176
	v_mov_b32_e32 v7, 0
	ds_load_2addr_b64 v[82:85], v7 offset0:55 offset1:56
	ds_load_2addr_b64 v[86:89], v7 offset0:57 offset1:58
	;; [unrolled: 1-line block ×4, first 2 shown]
	ds_load_b64 v[102:103], v7 offset:504
	s_mov_b32 s0, exec_lo
	s_wait_dscnt 0x4
	v_dual_mov_b32 v104, v85 :: v_dual_mov_b32 v105, v84
	s_wait_dscnt 0x1
	v_dual_mov_b32 v106, v89 :: v_dual_mov_b32 v111, v96
	v_dual_mov_b32 v107, v88 :: v_dual_mov_b32 v108, v93
	;; [unrolled: 1-line block ×3, first 2 shown]
	s_wait_loadcnt 0x5
	v_dual_mov_b32 v112, v69 :: v_dual_mul_f32 v113, v82, v67
	v_mul_f32_e32 v9, v83, v67
	s_wait_loadcnt 0x4
	v_pk_mul_f32 v[114:115], v[86:87], v[70:71] op_sel:[1,1] op_sel_hi:[0,1]
	v_mov_b32_e32 v116, v73
	s_wait_loadcnt 0x3
	v_pk_mul_f32 v[118:119], v[90:91], v[74:75] op_sel:[1,1] op_sel_hi:[0,1]
	v_pk_mul_f32 v[104:105], v[104:105], v[112:113] op_sel_hi:[1,0]
	v_fmac_f32_e32 v113, v83, v66
	v_dual_fma_f32 v112, v82, v66, -v9 :: v_dual_mov_b32 v66, v77
	v_pk_fma_f32 v[120:121], v[86:87], v[70:71], v[114:115] op_sel_hi:[1,0,1]
	s_delay_alu instid0(VALU_DEP_4)
	v_pk_fma_f32 v[82:83], v[84:85], v[68:69], v[104:105] op_sel_hi:[1,0,1]
	v_pk_fma_f32 v[68:69], v[84:85], v[68:69], v[104:105] neg_lo:[0,0,1] neg_hi:[0,0,1]
	v_pk_mul_f32 v[106:107], v[106:107], v[116:117] op_sel_hi:[1,0]
	v_pk_add_f32 v[112:113], v[112:113], 0 op_sel_hi:[1,0]
	v_pk_fma_f32 v[70:71], v[86:87], v[70:71], v[114:115] neg_lo:[0,0,1] neg_hi:[0,0,1]
	v_dual_mov_b32 v69, v83 :: v_dual_mov_b32 v71, v121
	s_delay_alu instid0(VALU_DEP_4) | instskip(SKIP_2) | instid1(VALU_DEP_4)
	v_pk_fma_f32 v[84:85], v[88:89], v[72:73], v[106:107] op_sel_hi:[1,0,1]
	v_pk_fma_f32 v[72:73], v[88:89], v[72:73], v[106:107] neg_lo:[0,0,1] neg_hi:[0,0,1]
	v_pk_fma_f32 v[86:87], v[90:91], v[74:75], v[118:119] op_sel_hi:[1,0,1]
	v_pk_add_f32 v[68:69], v[112:113], v[68:69]
	v_pk_mul_f32 v[66:67], v[108:109], v[66:67] op_sel_hi:[1,0]
	v_mov_b32_e32 v73, v85
	v_pk_fma_f32 v[74:75], v[90:91], v[74:75], v[118:119] neg_lo:[0,0,1] neg_hi:[0,0,1]
	s_wait_loadcnt 0x2
	v_pk_mul_f32 v[82:83], v[94:95], v[78:79] op_sel:[1,1] op_sel_hi:[0,1]
	v_pk_add_f32 v[68:69], v[68:69], v[70:71]
	v_mov_b32_e32 v70, v81
	v_pk_fma_f32 v[84:85], v[92:93], v[76:77], v[66:67] op_sel_hi:[1,0,1]
	v_mov_b32_e32 v75, v87
	v_pk_fma_f32 v[66:67], v[92:93], v[76:77], v[66:67] neg_lo:[0,0,1] neg_hi:[0,0,1]
	v_pk_add_f32 v[68:69], v[68:69], v[72:73]
	v_pk_fma_f32 v[72:73], v[94:95], v[78:79], v[82:83] op_sel_hi:[1,0,1]
	v_pk_mul_f32 v[70:71], v[110:111], v[70:71] op_sel_hi:[1,0]
	v_mov_b32_e32 v67, v85
	s_delay_alu instid0(VALU_DEP_4)
	v_pk_add_f32 v[68:69], v[68:69], v[74:75]
	v_pk_fma_f32 v[74:75], v[94:95], v[78:79], v[82:83] neg_lo:[0,0,1] neg_hi:[0,0,1]
	v_mov_b32_e32 v75, v73
	v_pk_fma_f32 v[72:73], v[96:97], v[80:81], v[70:71] op_sel_hi:[1,0,1]
	v_pk_fma_f32 v[70:71], v[96:97], v[80:81], v[70:71] neg_lo:[0,0,1] neg_hi:[0,0,1]
	v_pk_add_f32 v[66:67], v[68:69], v[66:67]
	s_wait_loadcnt_dscnt 0x100
	v_pk_mul_f32 v[68:69], v[102:103], v[98:99] op_sel:[1,1] op_sel_hi:[0,1]
	v_mov_b32_e32 v71, v73
	s_delay_alu instid0(VALU_DEP_3) | instskip(NEXT) | instid1(VALU_DEP_3)
	v_pk_add_f32 v[66:67], v[66:67], v[74:75]
	v_pk_fma_f32 v[72:73], v[102:103], v[98:99], v[68:69] op_sel_hi:[1,0,1]
	v_pk_fma_f32 v[68:69], v[102:103], v[98:99], v[68:69] neg_lo:[0,0,1] neg_hi:[0,0,1]
	s_delay_alu instid0(VALU_DEP_3) | instskip(NEXT) | instid1(VALU_DEP_3)
	v_pk_add_f32 v[66:67], v[66:67], v[70:71]
	v_mov_b32_e32 v69, v73
	s_delay_alu instid0(VALU_DEP_1) | instskip(SKIP_1) | instid1(VALU_DEP_1)
	v_pk_add_f32 v[66:67], v[66:67], v[68:69]
	s_wait_loadcnt 0x0
	v_pk_add_f32 v[66:67], v[100:101], v[66:67] neg_lo:[0,1] neg_hi:[0,1]
	scratch_store_b64 off, v[66:67], off offset:176
	s_wait_xcnt 0x0
	v_cmpx_lt_u32_e32 21, v0
	s_cbranch_execz .LBB95_163
; %bb.162:
	scratch_load_b64 v[66:67], off, off offset:168
	v_mov_b64_e32 v[68:69], 0
	scratch_store_b64 off, v[68:69], off offset:168
	s_wait_loadcnt 0x0
	ds_store_b64 v1, v[66:67]
.LBB95_163:
	s_wait_xcnt 0x0
	s_or_b32 exec_lo, exec_lo, s0
	s_wait_storecnt_dscnt 0x0
	s_barrier_signal -1
	s_barrier_wait -1
	s_clause 0x5
	scratch_load_b128 v[66:69], off, off offset:176
	scratch_load_b128 v[70:73], off, off offset:192
	;; [unrolled: 1-line block ×5, first 2 shown]
	scratch_load_b64 v[106:107], off, off offset:168
	ds_load_b128 v[86:89], v7 offset:448
	ds_load_b128 v[90:93], v7 offset:464
	;; [unrolled: 1-line block ×5, first 2 shown]
	s_mov_b32 s0, exec_lo
	s_wait_dscnt 0x4
	v_dual_mov_b32 v108, v89 :: v_dual_mov_b32 v109, v88
	s_wait_dscnt 0x3
	v_dual_mov_b32 v110, v93 :: v_dual_mov_b32 v111, v92
	;; [unrolled: 2-line block ×4, first 2 shown]
	s_wait_loadcnt_dscnt 0x500
	v_dual_mul_f32 v117, v102, v67 :: v_dual_mul_f32 v119, v104, v69
	v_dual_mul_f32 v7, v103, v67 :: v_dual_mul_f32 v9, v105, v69
	s_wait_loadcnt 0x4
	v_pk_mul_f32 v[120:121], v[86:87], v[70:71] op_sel:[1,1] op_sel_hi:[0,1]
	s_wait_loadcnt 0x3
	v_dual_mov_b32 v122, v73 :: v_dual_mov_b32 v126, v77
	v_dual_fmac_f32 v117, v103, v66 :: v_dual_fma_f32 v116, v102, v66, -v7
	v_dual_fmac_f32 v119, v105, v68 :: v_dual_fma_f32 v118, v104, v68, -v9
	v_pk_fma_f32 v[66:67], v[86:87], v[70:71], v[120:121] op_sel_hi:[1,0,1]
	s_delay_alu instid0(VALU_DEP_4) | instskip(NEXT) | instid1(VALU_DEP_4)
	v_pk_mul_f32 v[68:69], v[108:109], v[122:123] op_sel_hi:[1,0]
	v_pk_add_f32 v[102:103], v[116:117], 0 op_sel_hi:[1,0]
	v_pk_fma_f32 v[70:71], v[86:87], v[70:71], v[120:121] neg_lo:[0,0,1] neg_hi:[0,0,1]
	v_pk_mul_f32 v[124:125], v[90:91], v[74:75] op_sel:[1,1] op_sel_hi:[0,1]
	v_mov_b32_e32 v71, v67
	v_pk_fma_f32 v[66:67], v[88:89], v[72:73], v[68:69] op_sel_hi:[1,0,1]
	v_pk_add_f32 v[86:87], v[102:103], v[118:119]
	v_pk_fma_f32 v[68:69], v[88:89], v[72:73], v[68:69] neg_lo:[0,0,1] neg_hi:[0,0,1]
	v_pk_fma_f32 v[102:103], v[90:91], v[74:75], v[124:125] op_sel_hi:[1,0,1]
	v_pk_mul_f32 v[108:109], v[110:111], v[126:127] op_sel_hi:[1,0]
	v_mov_b32_e32 v69, v67
	v_pk_add_f32 v[66:67], v[86:87], v[70:71]
	s_wait_loadcnt 0x2
	v_pk_mul_f32 v[104:105], v[94:95], v[78:79] op_sel:[1,1] op_sel_hi:[0,1]
	v_mov_b32_e32 v70, v81
	v_pk_fma_f32 v[72:73], v[90:91], v[74:75], v[124:125] neg_lo:[0,0,1] neg_hi:[0,0,1]
	v_mov_b32_e32 v73, v103
	v_pk_fma_f32 v[74:75], v[92:93], v[76:77], v[108:109] op_sel_hi:[1,0,1]
	v_pk_add_f32 v[66:67], v[66:67], v[68:69]
	v_pk_fma_f32 v[68:69], v[94:95], v[78:79], v[104:105] op_sel_hi:[1,0,1]
	v_pk_mul_f32 v[70:71], v[112:113], v[70:71] op_sel_hi:[1,0]
	v_pk_fma_f32 v[76:77], v[92:93], v[76:77], v[108:109] neg_lo:[0,0,1] neg_hi:[0,0,1]
	v_mov_b32_e32 v77, v75
	v_pk_add_f32 v[66:67], v[66:67], v[72:73]
	v_pk_fma_f32 v[74:75], v[94:95], v[78:79], v[104:105] neg_lo:[0,0,1] neg_hi:[0,0,1]
	v_mov_b32_e32 v75, v69
	v_pk_fma_f32 v[68:69], v[96:97], v[80:81], v[70:71] op_sel_hi:[1,0,1]
	s_wait_loadcnt 0x1
	v_pk_mul_f32 v[72:73], v[98:99], v[82:83] op_sel:[1,1] op_sel_hi:[0,1]
	v_pk_add_f32 v[66:67], v[66:67], v[76:77]
	v_mov_b32_e32 v68, v85
	v_pk_fma_f32 v[70:71], v[96:97], v[80:81], v[70:71] neg_lo:[0,0,1] neg_hi:[0,0,1]
	v_mov_b32_e32 v71, v69
	v_pk_fma_f32 v[76:77], v[98:99], v[82:83], v[72:73] op_sel_hi:[1,0,1]
	v_pk_add_f32 v[66:67], v[66:67], v[74:75]
	v_pk_mul_f32 v[68:69], v[114:115], v[68:69] op_sel_hi:[1,0]
	v_pk_fma_f32 v[72:73], v[98:99], v[82:83], v[72:73] neg_lo:[0,0,1] neg_hi:[0,0,1]
	s_delay_alu instid0(VALU_DEP_3) | instskip(NEXT) | instid1(VALU_DEP_3)
	v_pk_add_f32 v[66:67], v[66:67], v[70:71]
	v_pk_fma_f32 v[70:71], v[100:101], v[84:85], v[68:69] op_sel_hi:[1,0,1]
	v_mov_b32_e32 v73, v77
	v_pk_fma_f32 v[68:69], v[100:101], v[84:85], v[68:69] neg_lo:[0,0,1] neg_hi:[0,0,1]
	s_delay_alu instid0(VALU_DEP_3) | instskip(NEXT) | instid1(VALU_DEP_3)
	v_mov_b32_e32 v69, v71
	v_pk_add_f32 v[66:67], v[66:67], v[72:73]
	s_delay_alu instid0(VALU_DEP_1) | instskip(SKIP_1) | instid1(VALU_DEP_1)
	v_pk_add_f32 v[66:67], v[66:67], v[68:69]
	s_wait_loadcnt 0x0
	v_pk_add_f32 v[66:67], v[106:107], v[66:67] neg_lo:[0,1] neg_hi:[0,1]
	scratch_store_b64 off, v[66:67], off offset:168
	s_wait_xcnt 0x0
	v_cmpx_lt_u32_e32 20, v0
	s_cbranch_execz .LBB95_165
; %bb.164:
	scratch_load_b64 v[66:67], off, off offset:160
	v_mov_b64_e32 v[68:69], 0
	scratch_store_b64 off, v[68:69], off offset:160
	s_wait_loadcnt 0x0
	ds_store_b64 v1, v[66:67]
.LBB95_165:
	s_wait_xcnt 0x0
	s_or_b32 exec_lo, exec_lo, s0
	s_wait_storecnt_dscnt 0x0
	s_barrier_signal -1
	s_barrier_wait -1
	s_clause 0x6
	scratch_load_b128 v[66:69], off, off offset:168
	scratch_load_b128 v[70:73], off, off offset:184
	;; [unrolled: 1-line block ×5, first 2 shown]
	scratch_load_b64 v[106:107], off, off offset:248
	scratch_load_b64 v[108:109], off, off offset:160
	v_mov_b32_e32 v7, 0
	ds_load_2addr_b64 v[86:89], v7 offset0:55 offset1:56
	ds_load_2addr_b64 v[90:93], v7 offset0:57 offset1:58
	;; [unrolled: 1-line block ×5, first 2 shown]
	ds_load_b64 v[110:111], v7 offset:504
	s_mov_b32 s0, exec_lo
	s_wait_dscnt 0x5
	v_dual_mov_b32 v112, v89 :: v_dual_mov_b32 v113, v88
	s_wait_dscnt 0x2
	v_dual_mov_b32 v114, v93 :: v_dual_mov_b32 v119, v100
	v_dual_mov_b32 v115, v92 :: v_dual_mov_b32 v116, v97
	;; [unrolled: 1-line block ×3, first 2 shown]
	s_wait_loadcnt_dscnt 0x601
	v_dual_mul_f32 v9, v102, v67 :: v_dual_mul_f32 v11, v103, v67
	v_dual_mul_f32 v13, v105, v69 :: v_dual_mul_f32 v121, v104, v69
	s_wait_loadcnt 0x5
	v_dual_mul_f32 v123, v86, v71 :: v_dual_mul_f32 v15, v87, v71
	s_wait_loadcnt 0x4
	v_dual_mov_b32 v122, v73 :: v_dual_mov_b32 v126, v77
	v_dual_fmac_f32 v9, v103, v66 :: v_dual_fma_f32 v11, v102, v66, -v11
	v_fmac_f32_e32 v121, v105, v68
	v_pk_mul_f32 v[124:125], v[90:91], v[74:75] op_sel:[1,1] op_sel_hi:[0,1]
	s_delay_alu instid0(VALU_DEP_3)
	v_dual_fma_f32 v120, v104, v68, -v13 :: v_dual_add_f32 v69, 0, v9
	v_pk_mul_f32 v[66:67], v[112:113], v[122:123] op_sel_hi:[1,0]
	s_wait_loadcnt 0x3
	v_dual_add_f32 v68, 0, v11 :: v_dual_mov_b32 v102, v81
	v_fmac_f32_e32 v123, v87, v70
	v_fma_f32 v122, v86, v70, -v15
	v_pk_fma_f32 v[70:71], v[88:89], v[72:73], v[66:67] op_sel_hi:[1,0,1]
	s_delay_alu instid0(VALU_DEP_4) | instskip(SKIP_4) | instid1(VALU_DEP_4)
	v_pk_add_f32 v[68:69], v[68:69], v[120:121]
	v_pk_fma_f32 v[86:87], v[90:91], v[74:75], v[124:125] op_sel_hi:[1,0,1]
	v_pk_fma_f32 v[66:67], v[88:89], v[72:73], v[66:67] neg_lo:[0,0,1] neg_hi:[0,0,1]
	v_pk_fma_f32 v[72:73], v[90:91], v[74:75], v[124:125] neg_lo:[0,0,1] neg_hi:[0,0,1]
	v_pk_mul_f32 v[104:105], v[114:115], v[126:127] op_sel_hi:[1,0]
	v_dual_mov_b32 v67, v71 :: v_dual_mov_b32 v73, v87
	v_pk_add_f32 v[68:69], v[68:69], v[122:123]
	v_pk_mul_f32 v[128:129], v[94:95], v[78:79] op_sel:[1,1] op_sel_hi:[0,1]
	s_delay_alu instid0(VALU_DEP_4)
	v_pk_fma_f32 v[74:75], v[92:93], v[76:77], v[104:105] op_sel_hi:[1,0,1]
	v_pk_fma_f32 v[76:77], v[92:93], v[76:77], v[104:105] neg_lo:[0,0,1] neg_hi:[0,0,1]
	v_pk_mul_f32 v[86:87], v[116:117], v[102:103] op_sel_hi:[1,0]
	v_pk_add_f32 v[66:67], v[68:69], v[66:67]
	v_pk_fma_f32 v[68:69], v[94:95], v[78:79], v[128:129] op_sel_hi:[1,0,1]
	s_wait_loadcnt 0x2
	v_dual_mov_b32 v77, v75 :: v_dual_mov_b32 v68, v85
	v_pk_mul_f32 v[70:71], v[98:99], v[82:83] op_sel:[1,1] op_sel_hi:[0,1]
	v_pk_add_f32 v[66:67], v[66:67], v[72:73]
	v_pk_fma_f32 v[72:73], v[94:95], v[78:79], v[128:129] neg_lo:[0,0,1] neg_hi:[0,0,1]
	v_pk_fma_f32 v[74:75], v[96:97], v[80:81], v[86:87] op_sel_hi:[1,0,1]
	v_mov_b32_e32 v73, v69
	v_pk_fma_f32 v[78:79], v[96:97], v[80:81], v[86:87] neg_lo:[0,0,1] neg_hi:[0,0,1]
	v_pk_add_f32 v[66:67], v[66:67], v[76:77]
	v_pk_fma_f32 v[76:77], v[98:99], v[82:83], v[70:71] op_sel_hi:[1,0,1]
	v_pk_mul_f32 v[68:69], v[118:119], v[68:69] op_sel_hi:[1,0]
	v_mov_b32_e32 v79, v75
	v_pk_fma_f32 v[70:71], v[98:99], v[82:83], v[70:71] neg_lo:[0,0,1] neg_hi:[0,0,1]
	v_pk_add_f32 v[66:67], v[66:67], v[72:73]
	s_wait_loadcnt_dscnt 0x100
	v_pk_mul_f32 v[74:75], v[110:111], v[106:107] op_sel:[1,1] op_sel_hi:[0,1]
	v_pk_fma_f32 v[72:73], v[100:101], v[84:85], v[68:69] op_sel_hi:[1,0,1]
	v_mov_b32_e32 v71, v77
	v_pk_fma_f32 v[68:69], v[100:101], v[84:85], v[68:69] neg_lo:[0,0,1] neg_hi:[0,0,1]
	v_pk_add_f32 v[66:67], v[66:67], v[78:79]
	s_delay_alu instid0(VALU_DEP_4) | instskip(SKIP_1) | instid1(VALU_DEP_3)
	v_mov_b32_e32 v69, v73
	v_pk_fma_f32 v[72:73], v[110:111], v[106:107], v[74:75] neg_lo:[0,0,1] neg_hi:[0,0,1]
	v_pk_add_f32 v[66:67], v[66:67], v[70:71]
	v_pk_fma_f32 v[70:71], v[110:111], v[106:107], v[74:75] op_sel_hi:[1,0,1]
	s_delay_alu instid0(VALU_DEP_2) | instskip(NEXT) | instid1(VALU_DEP_2)
	v_pk_add_f32 v[66:67], v[66:67], v[68:69]
	v_mov_b32_e32 v73, v71
	s_delay_alu instid0(VALU_DEP_1) | instskip(SKIP_1) | instid1(VALU_DEP_1)
	v_pk_add_f32 v[66:67], v[66:67], v[72:73]
	s_wait_loadcnt 0x0
	v_pk_add_f32 v[66:67], v[108:109], v[66:67] neg_lo:[0,1] neg_hi:[0,1]
	scratch_store_b64 off, v[66:67], off offset:160
	s_wait_xcnt 0x0
	v_cmpx_lt_u32_e32 19, v0
	s_cbranch_execz .LBB95_167
; %bb.166:
	scratch_load_b64 v[66:67], off, off offset:152
	v_mov_b64_e32 v[68:69], 0
	scratch_store_b64 off, v[68:69], off offset:152
	s_wait_loadcnt 0x0
	ds_store_b64 v1, v[66:67]
.LBB95_167:
	s_wait_xcnt 0x0
	s_or_b32 exec_lo, exec_lo, s0
	s_wait_storecnt_dscnt 0x0
	s_barrier_signal -1
	s_barrier_wait -1
	s_clause 0x6
	scratch_load_b128 v[66:69], off, off offset:160
	scratch_load_b128 v[70:73], off, off offset:176
	;; [unrolled: 1-line block ×6, first 2 shown]
	scratch_load_b64 v[114:115], off, off offset:152
	ds_load_b128 v[90:93], v7 offset:448
	ds_load_b128 v[94:97], v7 offset:464
	;; [unrolled: 1-line block ×6, first 2 shown]
	s_mov_b32 s0, exec_lo
	s_wait_dscnt 0x5
	v_dual_mov_b32 v116, v93 :: v_dual_mov_b32 v117, v92
	s_wait_dscnt 0x4
	v_dual_mov_b32 v118, v97 :: v_dual_mov_b32 v119, v96
	;; [unrolled: 2-line block ×4, first 2 shown]
	s_wait_loadcnt_dscnt 0x601
	v_dual_mul_f32 v7, v106, v67 :: v_dual_mul_f32 v9, v108, v69
	v_dual_mul_f32 v11, v107, v67 :: v_dual_mul_f32 v13, v109, v69
	s_wait_loadcnt 0x4
	s_delay_alu instid0(VALU_DEP_2)
	v_dual_mov_b32 v130, v77 :: v_dual_fmac_f32 v7, v107, v66
	s_wait_dscnt 0x0
	v_dual_mul_f32 v125, v110, v71 :: v_dual_mul_f32 v127, v112, v73
	v_dual_fma_f32 v11, v106, v66, -v11 :: v_dual_fmac_f32 v9, v109, v68
	v_dual_mul_f32 v15, v111, v71 :: v_dual_mul_f32 v17, v113, v73
	v_dual_fma_f32 v13, v108, v68, -v13 :: v_dual_add_f32 v7, 0, v7
	s_wait_loadcnt 0x3
	s_delay_alu instid0(VALU_DEP_3) | instskip(SKIP_3) | instid1(VALU_DEP_4)
	v_dual_add_f32 v11, 0, v11 :: v_dual_mov_b32 v68, v81
	v_pk_mul_f32 v[128:129], v[90:91], v[74:75] op_sel:[1,1] op_sel_hi:[0,1]
	v_dual_fmac_f32 v125, v111, v70 :: v_dual_fma_f32 v124, v110, v70, -v15
	v_dual_add_f32 v71, v7, v9 :: v_dual_fmac_f32 v127, v113, v72
	v_dual_add_f32 v70, v11, v13 :: v_dual_fma_f32 v126, v112, v72, -v17
	s_delay_alu instid0(VALU_DEP_4) | instskip(SKIP_2) | instid1(VALU_DEP_4)
	v_pk_fma_f32 v[72:73], v[90:91], v[74:75], v[128:129] op_sel_hi:[1,0,1]
	v_pk_mul_f32 v[106:107], v[116:117], v[130:131] op_sel_hi:[1,0]
	v_pk_fma_f32 v[74:75], v[90:91], v[74:75], v[128:129] neg_lo:[0,0,1] neg_hi:[0,0,1]
	v_pk_add_f32 v[70:71], v[70:71], v[124:125]
	v_pk_mul_f32 v[66:67], v[94:95], v[78:79] op_sel:[1,1] op_sel_hi:[0,1]
	v_mov_b32_e32 v75, v73
	v_pk_fma_f32 v[72:73], v[92:93], v[76:77], v[106:107] op_sel_hi:[1,0,1]
	v_pk_fma_f32 v[76:77], v[92:93], v[76:77], v[106:107] neg_lo:[0,0,1] neg_hi:[0,0,1]
	v_pk_add_f32 v[70:71], v[70:71], v[126:127]
	v_pk_fma_f32 v[90:91], v[94:95], v[78:79], v[66:67] op_sel_hi:[1,0,1]
	v_pk_mul_f32 v[68:69], v[118:119], v[68:69] op_sel_hi:[1,0]
	v_mov_b32_e32 v77, v73
	v_pk_fma_f32 v[66:67], v[94:95], v[78:79], v[66:67] neg_lo:[0,0,1] neg_hi:[0,0,1]
	v_pk_add_f32 v[70:71], v[70:71], v[74:75]
	s_wait_loadcnt 0x2
	v_pk_mul_f32 v[108:109], v[98:99], v[82:83] op_sel:[1,1] op_sel_hi:[0,1]
	v_dual_mov_b32 v72, v85 :: v_dual_mov_b32 v67, v91
	v_pk_fma_f32 v[74:75], v[96:97], v[80:81], v[68:69] op_sel_hi:[1,0,1]
	v_pk_add_f32 v[70:71], v[70:71], v[76:77]
	v_pk_fma_f32 v[68:69], v[96:97], v[80:81], v[68:69] neg_lo:[0,0,1] neg_hi:[0,0,1]
	v_pk_fma_f32 v[76:77], v[98:99], v[82:83], v[108:109] op_sel_hi:[1,0,1]
	v_pk_mul_f32 v[72:73], v[120:121], v[72:73] op_sel_hi:[1,0]
	v_mov_b32_e32 v69, v75
	v_pk_add_f32 v[66:67], v[70:71], v[66:67]
	v_pk_fma_f32 v[74:75], v[98:99], v[82:83], v[108:109] neg_lo:[0,0,1] neg_hi:[0,0,1]
	s_wait_loadcnt 0x1
	v_pk_mul_f32 v[70:71], v[102:103], v[86:87] op_sel:[1,1] op_sel_hi:[0,1]
	v_mov_b32_e32 v75, v77
	v_pk_fma_f32 v[76:77], v[100:101], v[84:85], v[72:73] op_sel_hi:[1,0,1]
	v_pk_add_f32 v[66:67], v[66:67], v[68:69]
	v_mov_b32_e32 v68, v89
	v_pk_fma_f32 v[72:73], v[100:101], v[84:85], v[72:73] neg_lo:[0,0,1] neg_hi:[0,0,1]
	v_pk_fma_f32 v[78:79], v[102:103], v[86:87], v[70:71] op_sel_hi:[1,0,1]
	v_mov_b32_e32 v73, v77
	v_pk_add_f32 v[66:67], v[66:67], v[74:75]
	v_pk_mul_f32 v[68:69], v[122:123], v[68:69] op_sel_hi:[1,0]
	v_pk_fma_f32 v[70:71], v[102:103], v[86:87], v[70:71] neg_lo:[0,0,1] neg_hi:[0,0,1]
	s_delay_alu instid0(VALU_DEP_3) | instskip(NEXT) | instid1(VALU_DEP_3)
	v_pk_add_f32 v[66:67], v[66:67], v[72:73]
	v_pk_fma_f32 v[72:73], v[104:105], v[88:89], v[68:69] op_sel_hi:[1,0,1]
	v_mov_b32_e32 v71, v79
	v_pk_fma_f32 v[68:69], v[104:105], v[88:89], v[68:69] neg_lo:[0,0,1] neg_hi:[0,0,1]
	s_delay_alu instid0(VALU_DEP_3) | instskip(NEXT) | instid1(VALU_DEP_3)
	v_mov_b32_e32 v69, v73
	v_pk_add_f32 v[66:67], v[66:67], v[70:71]
	s_delay_alu instid0(VALU_DEP_1) | instskip(SKIP_1) | instid1(VALU_DEP_1)
	v_pk_add_f32 v[66:67], v[66:67], v[68:69]
	s_wait_loadcnt 0x0
	v_pk_add_f32 v[66:67], v[114:115], v[66:67] neg_lo:[0,1] neg_hi:[0,1]
	scratch_store_b64 off, v[66:67], off offset:152
	s_wait_xcnt 0x0
	v_cmpx_lt_u32_e32 18, v0
	s_cbranch_execz .LBB95_169
; %bb.168:
	scratch_load_b64 v[66:67], off, off offset:144
	v_mov_b64_e32 v[68:69], 0
	scratch_store_b64 off, v[68:69], off offset:144
	s_wait_loadcnt 0x0
	ds_store_b64 v1, v[66:67]
.LBB95_169:
	s_wait_xcnt 0x0
	s_or_b32 exec_lo, exec_lo, s0
	s_wait_storecnt_dscnt 0x0
	s_barrier_signal -1
	s_barrier_wait -1
	s_clause 0x7
	scratch_load_b128 v[66:69], off, off offset:152
	scratch_load_b128 v[70:73], off, off offset:168
	scratch_load_b128 v[74:77], off, off offset:184
	scratch_load_b128 v[78:81], off, off offset:200
	scratch_load_b128 v[82:85], off, off offset:216
	scratch_load_b128 v[86:89], off, off offset:232
	scratch_load_b64 v[114:115], off, off offset:248
	scratch_load_b64 v[116:117], off, off offset:144
	v_mov_b32_e32 v7, 0
	ds_load_2addr_b64 v[90:93], v7 offset0:55 offset1:56
	ds_load_2addr_b64 v[94:97], v7 offset0:57 offset1:58
	;; [unrolled: 1-line block ×6, first 2 shown]
	ds_load_b64 v[118:119], v7 offset:504
	s_mov_b32 s0, exec_lo
	s_wait_dscnt 0x6
	v_dual_mov_b32 v120, v93 :: v_dual_mov_b32 v121, v92
	s_wait_dscnt 0x3
	v_dual_mov_b32 v122, v97 :: v_dual_mov_b32 v127, v104
	v_dual_mov_b32 v123, v96 :: v_dual_mov_b32 v124, v101
	;; [unrolled: 1-line block ×3, first 2 shown]
	s_wait_loadcnt_dscnt 0x702
	v_dual_mul_f32 v9, v106, v67 :: v_dual_mul_f32 v15, v107, v67
	v_dual_mul_f32 v17, v109, v69 :: v_dual_mul_f32 v11, v108, v69
	s_wait_loadcnt_dscnt 0x601
	s_delay_alu instid0(VALU_DEP_2) | instskip(NEXT) | instid1(VALU_DEP_3)
	v_dual_mul_f32 v13, v110, v71 :: v_dual_fmac_f32 v9, v107, v66
	v_dual_fma_f32 v15, v106, v66, -v15 :: v_dual_mul_f32 v19, v111, v71
	v_mul_f32_e32 v21, v113, v73
	s_wait_loadcnt 0x4
	v_dual_mov_b32 v66, v81 :: v_dual_fma_f32 v17, v108, v68, -v17
	v_dual_fmac_f32 v11, v109, v68 :: v_dual_add_f32 v9, 0, v9
	v_dual_add_f32 v15, 0, v15 :: v_dual_fmac_f32 v13, v111, v70
	v_dual_mul_f32 v129, v112, v73 :: v_dual_mul_f32 v131, v90, v75
	v_dual_mul_f32 v23, v91, v75 :: v_dual_mov_b32 v130, v77
	s_delay_alu instid0(VALU_DEP_4) | instskip(NEXT) | instid1(VALU_DEP_3)
	v_dual_fma_f32 v19, v110, v70, -v19 :: v_dual_add_f32 v9, v9, v11
	v_dual_add_f32 v11, v15, v17 :: v_dual_fmac_f32 v129, v113, v72
	v_pk_mul_f32 v[132:133], v[94:95], v[78:79] op_sel:[1,1] op_sel_hi:[0,1]
	s_delay_alu instid0(VALU_DEP_3)
	v_dual_fma_f32 v128, v112, v72, -v21 :: v_dual_add_f32 v73, v9, v13
	v_pk_mul_f32 v[70:71], v[120:121], v[130:131] op_sel_hi:[1,0]
	s_wait_loadcnt 0x3
	v_dual_add_f32 v72, v11, v19 :: v_dual_mov_b32 v106, v85
	v_fmac_f32_e32 v131, v91, v74
	v_fma_f32 v130, v90, v74, -v23
	v_pk_fma_f32 v[74:75], v[92:93], v[76:77], v[70:71] op_sel_hi:[1,0,1]
	s_delay_alu instid0(VALU_DEP_4) | instskip(SKIP_4) | instid1(VALU_DEP_4)
	v_pk_add_f32 v[72:73], v[72:73], v[128:129]
	v_pk_fma_f32 v[90:91], v[94:95], v[78:79], v[132:133] op_sel_hi:[1,0,1]
	v_pk_fma_f32 v[70:71], v[92:93], v[76:77], v[70:71] neg_lo:[0,0,1] neg_hi:[0,0,1]
	v_pk_fma_f32 v[76:77], v[94:95], v[78:79], v[132:133] neg_lo:[0,0,1] neg_hi:[0,0,1]
	v_pk_mul_f32 v[66:67], v[122:123], v[66:67] op_sel_hi:[1,0]
	v_dual_mov_b32 v71, v75 :: v_dual_mov_b32 v77, v91
	v_pk_add_f32 v[72:73], v[72:73], v[130:131]
	v_pk_mul_f32 v[68:69], v[98:99], v[82:83] op_sel:[1,1] op_sel_hi:[0,1]
	s_delay_alu instid0(VALU_DEP_4)
	v_pk_fma_f32 v[78:79], v[96:97], v[80:81], v[66:67] op_sel_hi:[1,0,1]
	v_pk_fma_f32 v[66:67], v[96:97], v[80:81], v[66:67] neg_lo:[0,0,1] neg_hi:[0,0,1]
	v_pk_mul_f32 v[90:91], v[124:125], v[106:107] op_sel_hi:[1,0]
	v_pk_add_f32 v[70:71], v[72:73], v[70:71]
	v_pk_fma_f32 v[72:73], v[98:99], v[82:83], v[68:69] op_sel_hi:[1,0,1]
	s_wait_loadcnt 0x2
	v_dual_mov_b32 v67, v79 :: v_dual_mov_b32 v72, v89
	v_pk_fma_f32 v[68:69], v[98:99], v[82:83], v[68:69] neg_lo:[0,0,1] neg_hi:[0,0,1]
	v_pk_add_f32 v[70:71], v[70:71], v[76:77]
	v_pk_mul_f32 v[74:75], v[102:103], v[86:87] op_sel:[1,1] op_sel_hi:[0,1]
	v_pk_fma_f32 v[76:77], v[100:101], v[84:85], v[90:91] op_sel_hi:[1,0,1]
	v_mov_b32_e32 v69, v73
	v_pk_fma_f32 v[78:79], v[100:101], v[84:85], v[90:91] neg_lo:[0,0,1] neg_hi:[0,0,1]
	v_pk_add_f32 v[66:67], v[70:71], v[66:67]
	v_pk_fma_f32 v[70:71], v[102:103], v[86:87], v[74:75] op_sel_hi:[1,0,1]
	v_pk_mul_f32 v[72:73], v[126:127], v[72:73] op_sel_hi:[1,0]
	v_mov_b32_e32 v79, v77
	s_delay_alu instid0(VALU_DEP_4)
	v_pk_add_f32 v[66:67], v[66:67], v[68:69]
	v_pk_fma_f32 v[68:69], v[102:103], v[86:87], v[74:75] neg_lo:[0,0,1] neg_hi:[0,0,1]
	v_mov_b32_e32 v69, v71
	v_pk_fma_f32 v[70:71], v[104:105], v[88:89], v[72:73] op_sel_hi:[1,0,1]
	s_wait_loadcnt_dscnt 0x100
	v_pk_mul_f32 v[74:75], v[118:119], v[114:115] op_sel:[1,1] op_sel_hi:[0,1]
	v_pk_add_f32 v[66:67], v[66:67], v[78:79]
	v_pk_fma_f32 v[72:73], v[104:105], v[88:89], v[72:73] neg_lo:[0,0,1] neg_hi:[0,0,1]
	v_mov_b32_e32 v73, v71
	s_delay_alu instid0(VALU_DEP_4) | instskip(NEXT) | instid1(VALU_DEP_4)
	v_pk_fma_f32 v[70:71], v[118:119], v[114:115], v[74:75] neg_lo:[0,0,1] neg_hi:[0,0,1]
	v_pk_add_f32 v[66:67], v[66:67], v[68:69]
	v_pk_fma_f32 v[68:69], v[118:119], v[114:115], v[74:75] op_sel_hi:[1,0,1]
	s_delay_alu instid0(VALU_DEP_2) | instskip(NEXT) | instid1(VALU_DEP_2)
	v_pk_add_f32 v[66:67], v[66:67], v[72:73]
	v_mov_b32_e32 v71, v69
	s_delay_alu instid0(VALU_DEP_1) | instskip(SKIP_1) | instid1(VALU_DEP_1)
	v_pk_add_f32 v[66:67], v[66:67], v[70:71]
	s_wait_loadcnt 0x0
	v_pk_add_f32 v[66:67], v[116:117], v[66:67] neg_lo:[0,1] neg_hi:[0,1]
	scratch_store_b64 off, v[66:67], off offset:144
	s_wait_xcnt 0x0
	v_cmpx_lt_u32_e32 17, v0
	s_cbranch_execz .LBB95_171
; %bb.170:
	scratch_load_b64 v[66:67], off, off offset:136
	v_mov_b64_e32 v[68:69], 0
	scratch_store_b64 off, v[68:69], off offset:136
	s_wait_loadcnt 0x0
	ds_store_b64 v1, v[66:67]
.LBB95_171:
	s_wait_xcnt 0x0
	s_or_b32 exec_lo, exec_lo, s0
	s_wait_storecnt_dscnt 0x0
	s_barrier_signal -1
	s_barrier_wait -1
	s_clause 0x7
	scratch_load_b128 v[66:69], off, off offset:144
	scratch_load_b128 v[70:73], off, off offset:160
	;; [unrolled: 1-line block ×7, first 2 shown]
	scratch_load_b64 v[122:123], off, off offset:136
	ds_load_b128 v[94:97], v7 offset:448
	ds_load_b128 v[98:101], v7 offset:464
	;; [unrolled: 1-line block ×7, first 2 shown]
	s_mov_b32 s0, exec_lo
	s_wait_dscnt 0x6
	v_dual_mov_b32 v124, v97 :: v_dual_mov_b32 v125, v96
	s_wait_dscnt 0x5
	v_dual_mov_b32 v126, v101 :: v_dual_mov_b32 v127, v100
	;; [unrolled: 2-line block ×4, first 2 shown]
	s_wait_loadcnt_dscnt 0x702
	v_dual_mul_f32 v7, v110, v67 :: v_dual_mul_f32 v9, v112, v69
	v_dual_mul_f32 v15, v111, v67 :: v_dual_mul_f32 v17, v113, v69
	s_wait_loadcnt_dscnt 0x601
	v_dual_mul_f32 v11, v114, v71 :: v_dual_mul_f32 v13, v116, v73
	s_delay_alu instid0(VALU_DEP_3) | instskip(NEXT) | instid1(VALU_DEP_3)
	v_dual_fmac_f32 v7, v111, v66 :: v_dual_fmac_f32 v9, v113, v68
	v_dual_fma_f32 v15, v110, v66, -v15 :: v_dual_fma_f32 v17, v112, v68, -v17
	v_dual_mul_f32 v19, v115, v71 :: v_dual_mul_f32 v21, v117, v73
	s_wait_loadcnt 0x4
	s_delay_alu instid0(VALU_DEP_3) | instskip(NEXT) | instid1(VALU_DEP_3)
	v_dual_add_f32 v7, 0, v7 :: v_dual_mov_b32 v68, v81
	v_dual_add_f32 v15, 0, v15 :: v_dual_fmac_f32 v11, v115, v70
	s_delay_alu instid0(VALU_DEP_2) | instskip(SKIP_2) | instid1(VALU_DEP_3)
	v_dual_fma_f32 v19, v114, v70, -v19 :: v_dual_add_f32 v7, v7, v9
	s_wait_dscnt 0x0
	v_dual_mul_f32 v133, v118, v75 :: v_dual_mul_f32 v135, v120, v77
	v_dual_add_f32 v9, v15, v17 :: v_dual_fmac_f32 v13, v117, v72
	v_dual_mul_f32 v23, v119, v75 :: v_dual_mul_f32 v25, v121, v77
	v_dual_fma_f32 v15, v116, v72, -v21 :: v_dual_add_f32 v7, v7, v11
	s_delay_alu instid0(VALU_DEP_3) | instskip(SKIP_3) | instid1(VALU_DEP_3)
	v_dual_add_f32 v9, v9, v19 :: v_dual_fmac_f32 v133, v119, v74
	v_pk_mul_f32 v[66:67], v[94:95], v[78:79] op_sel:[1,1] op_sel_hi:[0,1]
	s_wait_loadcnt 0x3
	v_dual_mov_b32 v72, v85 :: v_dual_fma_f32 v132, v118, v74, -v23
	v_dual_add_f32 v75, v7, v13 :: v_dual_add_f32 v74, v9, v15
	v_dual_fmac_f32 v135, v121, v76 :: v_dual_fma_f32 v134, v120, v76, -v25
	v_pk_fma_f32 v[76:77], v[94:95], v[78:79], v[66:67] op_sel_hi:[1,0,1]
	v_pk_mul_f32 v[68:69], v[124:125], v[68:69] op_sel_hi:[1,0]
	s_delay_alu instid0(VALU_DEP_4)
	v_pk_add_f32 v[74:75], v[74:75], v[132:133]
	v_pk_fma_f32 v[66:67], v[94:95], v[78:79], v[66:67] neg_lo:[0,0,1] neg_hi:[0,0,1]
	v_pk_mul_f32 v[70:71], v[98:99], v[82:83] op_sel:[1,1] op_sel_hi:[0,1]
	v_mov_b32_e32 v67, v77
	v_pk_fma_f32 v[76:77], v[96:97], v[80:81], v[68:69] op_sel_hi:[1,0,1]
	v_pk_add_f32 v[74:75], v[74:75], v[134:135]
	v_pk_fma_f32 v[68:69], v[96:97], v[80:81], v[68:69] neg_lo:[0,0,1] neg_hi:[0,0,1]
	v_pk_fma_f32 v[78:79], v[98:99], v[82:83], v[70:71] op_sel_hi:[1,0,1]
	v_pk_mul_f32 v[72:73], v[126:127], v[72:73] op_sel_hi:[1,0]
	v_mov_b32_e32 v69, v77
	v_pk_add_f32 v[66:67], v[74:75], v[66:67]
	s_wait_loadcnt 0x2
	v_pk_mul_f32 v[110:111], v[102:103], v[86:87] op_sel:[1,1] op_sel_hi:[0,1]
	v_mov_b32_e32 v74, v89
	v_pk_fma_f32 v[70:71], v[98:99], v[82:83], v[70:71] neg_lo:[0,0,1] neg_hi:[0,0,1]
	v_mov_b32_e32 v71, v79
	v_pk_fma_f32 v[76:77], v[100:101], v[84:85], v[72:73] op_sel_hi:[1,0,1]
	v_pk_add_f32 v[66:67], v[66:67], v[68:69]
	v_pk_fma_f32 v[68:69], v[102:103], v[86:87], v[110:111] op_sel_hi:[1,0,1]
	v_pk_mul_f32 v[74:75], v[128:129], v[74:75] op_sel_hi:[1,0]
	v_pk_fma_f32 v[72:73], v[100:101], v[84:85], v[72:73] neg_lo:[0,0,1] neg_hi:[0,0,1]
	v_mov_b32_e32 v73, v77
	v_pk_add_f32 v[66:67], v[66:67], v[70:71]
	v_pk_fma_f32 v[76:77], v[102:103], v[86:87], v[110:111] neg_lo:[0,0,1] neg_hi:[0,0,1]
	v_mov_b32_e32 v77, v69
	v_pk_fma_f32 v[68:69], v[104:105], v[88:89], v[74:75] op_sel_hi:[1,0,1]
	s_wait_loadcnt 0x1
	v_pk_mul_f32 v[70:71], v[106:107], v[90:91] op_sel:[1,1] op_sel_hi:[0,1]
	v_pk_add_f32 v[66:67], v[66:67], v[72:73]
	v_mov_b32_e32 v68, v93
	v_pk_fma_f32 v[74:75], v[104:105], v[88:89], v[74:75] neg_lo:[0,0,1] neg_hi:[0,0,1]
	v_mov_b32_e32 v75, v69
	v_pk_fma_f32 v[72:73], v[106:107], v[90:91], v[70:71] op_sel_hi:[1,0,1]
	v_pk_add_f32 v[66:67], v[66:67], v[76:77]
	v_pk_mul_f32 v[68:69], v[130:131], v[68:69] op_sel_hi:[1,0]
	v_pk_fma_f32 v[70:71], v[106:107], v[90:91], v[70:71] neg_lo:[0,0,1] neg_hi:[0,0,1]
	s_delay_alu instid0(VALU_DEP_4) | instskip(NEXT) | instid1(VALU_DEP_4)
	v_mov_b32_e32 v71, v73
	v_pk_add_f32 v[66:67], v[66:67], v[74:75]
	s_delay_alu instid0(VALU_DEP_4) | instskip(SKIP_1) | instid1(VALU_DEP_2)
	v_pk_fma_f32 v[72:73], v[108:109], v[92:93], v[68:69] op_sel_hi:[1,0,1]
	v_pk_fma_f32 v[68:69], v[108:109], v[92:93], v[68:69] neg_lo:[0,0,1] neg_hi:[0,0,1]
	v_mov_b32_e32 v69, v73
	s_delay_alu instid0(VALU_DEP_4) | instskip(NEXT) | instid1(VALU_DEP_1)
	v_pk_add_f32 v[66:67], v[66:67], v[70:71]
	v_pk_add_f32 v[66:67], v[66:67], v[68:69]
	s_wait_loadcnt 0x0
	s_delay_alu instid0(VALU_DEP_1)
	v_pk_add_f32 v[66:67], v[122:123], v[66:67] neg_lo:[0,1] neg_hi:[0,1]
	scratch_store_b64 off, v[66:67], off offset:136
	s_wait_xcnt 0x0
	v_cmpx_lt_u32_e32 16, v0
	s_cbranch_execz .LBB95_173
; %bb.172:
	scratch_load_b64 v[66:67], off, off offset:128
	v_mov_b64_e32 v[68:69], 0
	scratch_store_b64 off, v[68:69], off offset:128
	s_wait_loadcnt 0x0
	ds_store_b64 v1, v[66:67]
.LBB95_173:
	s_wait_xcnt 0x0
	s_or_b32 exec_lo, exec_lo, s0
	s_wait_storecnt_dscnt 0x0
	s_barrier_signal -1
	s_barrier_wait -1
	s_clause 0x8
	scratch_load_b128 v[66:69], off, off offset:136
	scratch_load_b128 v[70:73], off, off offset:152
	;; [unrolled: 1-line block ×7, first 2 shown]
	scratch_load_b64 v[122:123], off, off offset:248
	scratch_load_b64 v[124:125], off, off offset:128
	v_mov_b32_e32 v7, 0
	ds_load_2addr_b64 v[94:97], v7 offset0:55 offset1:56
	ds_load_2addr_b64 v[98:101], v7 offset0:57 offset1:58
	;; [unrolled: 1-line block ×7, first 2 shown]
	ds_load_b64 v[126:127], v7 offset:504
	s_mov_b32 s0, exec_lo
	s_wait_dscnt 0x7
	v_dual_mov_b32 v128, v97 :: v_dual_mov_b32 v129, v96
	s_wait_dscnt 0x4
	v_dual_mov_b32 v130, v101 :: v_dual_mov_b32 v135, v108
	v_dual_mov_b32 v131, v100 :: v_dual_mov_b32 v132, v105
	;; [unrolled: 1-line block ×3, first 2 shown]
	s_wait_loadcnt_dscnt 0x803
	v_dual_mul_f32 v9, v110, v67 :: v_dual_mul_f32 v19, v111, v67
	v_dual_mul_f32 v21, v113, v69 :: v_dual_mul_f32 v11, v112, v69
	s_wait_loadcnt_dscnt 0x702
	v_mul_f32_e32 v13, v114, v71
	s_wait_loadcnt 0x5
	v_dual_mul_f32 v31, v95, v79 :: v_dual_fma_f32 v19, v110, v66, -v19
	v_dual_fmac_f32 v9, v111, v66 :: v_dual_mov_b32 v66, v81
	v_dual_mul_f32 v23, v115, v71 :: v_dual_mul_f32 v25, v117, v73
	v_dual_fmac_f32 v11, v113, v68 :: v_dual_fma_f32 v21, v112, v68, -v21
	s_delay_alu instid0(VALU_DEP_3) | instskip(SKIP_3) | instid1(VALU_DEP_3)
	v_dual_add_f32 v9, 0, v9 :: v_dual_add_f32 v19, 0, v19
	s_wait_dscnt 0x1
	v_dual_mul_f32 v15, v116, v73 :: v_dual_mul_f32 v17, v118, v75
	v_dual_fmac_f32 v13, v115, v70 :: v_dual_fma_f32 v23, v114, v70, -v23
	v_dual_add_f32 v9, v9, v11 :: v_dual_add_f32 v11, v19, v21
	v_dual_mul_f32 v27, v119, v75 :: v_dual_mul_f32 v29, v121, v77
	s_wait_loadcnt 0x4
	v_dual_mov_b32 v70, v85 :: v_dual_fma_f32 v19, v116, v72, -v25
	s_delay_alu instid0(VALU_DEP_3) | instskip(SKIP_2) | instid1(VALU_DEP_2)
	v_dual_fmac_f32 v15, v117, v72 :: v_dual_add_f32 v11, v11, v23
	v_dual_add_f32 v9, v9, v13 :: v_dual_fmac_f32 v17, v119, v74
	v_dual_mul_f32 v137, v120, v77 :: v_dual_mul_f32 v139, v94, v79
	v_dual_fma_f32 v13, v118, v74, -v27 :: v_dual_add_f32 v9, v9, v15
	s_delay_alu instid0(VALU_DEP_2) | instskip(SKIP_1) | instid1(VALU_DEP_3)
	v_dual_add_f32 v11, v11, v19 :: v_dual_fmac_f32 v137, v121, v76
	v_pk_mul_f32 v[68:69], v[98:99], v[82:83] op_sel:[1,1] op_sel_hi:[0,1]
	v_dual_fma_f32 v136, v120, v76, -v29 :: v_dual_add_f32 v75, v9, v17
	v_pk_mul_f32 v[66:67], v[128:129], v[66:67] op_sel_hi:[1,0]
	s_wait_loadcnt 0x3
	v_dual_add_f32 v74, v11, v13 :: v_dual_mov_b32 v76, v89
	v_fmac_f32_e32 v139, v95, v78
	v_fma_f32 v138, v94, v78, -v31
	v_pk_fma_f32 v[78:79], v[96:97], v[80:81], v[66:67] op_sel_hi:[1,0,1]
	s_delay_alu instid0(VALU_DEP_4) | instskip(SKIP_4) | instid1(VALU_DEP_4)
	v_pk_add_f32 v[74:75], v[74:75], v[136:137]
	v_pk_fma_f32 v[94:95], v[98:99], v[82:83], v[68:69] op_sel_hi:[1,0,1]
	v_pk_fma_f32 v[66:67], v[96:97], v[80:81], v[66:67] neg_lo:[0,0,1] neg_hi:[0,0,1]
	v_pk_fma_f32 v[68:69], v[98:99], v[82:83], v[68:69] neg_lo:[0,0,1] neg_hi:[0,0,1]
	v_pk_mul_f32 v[70:71], v[130:131], v[70:71] op_sel_hi:[1,0]
	v_dual_mov_b32 v67, v79 :: v_dual_mov_b32 v69, v95
	v_pk_add_f32 v[74:75], v[74:75], v[138:139]
	v_pk_mul_f32 v[72:73], v[102:103], v[86:87] op_sel:[1,1] op_sel_hi:[0,1]
	s_delay_alu instid0(VALU_DEP_4)
	v_pk_fma_f32 v[80:81], v[100:101], v[84:85], v[70:71] op_sel_hi:[1,0,1]
	v_pk_fma_f32 v[70:71], v[100:101], v[84:85], v[70:71] neg_lo:[0,0,1] neg_hi:[0,0,1]
	v_pk_mul_f32 v[76:77], v[132:133], v[76:77] op_sel_hi:[1,0]
	v_pk_add_f32 v[66:67], v[74:75], v[66:67]
	v_pk_fma_f32 v[74:75], v[102:103], v[86:87], v[72:73] op_sel_hi:[1,0,1]
	v_mov_b32_e32 v71, v81
	v_pk_fma_f32 v[72:73], v[102:103], v[86:87], v[72:73] neg_lo:[0,0,1] neg_hi:[0,0,1]
	s_wait_loadcnt 0x2
	v_pk_mul_f32 v[78:79], v[106:107], v[90:91] op_sel:[1,1] op_sel_hi:[0,1]
	v_pk_add_f32 v[66:67], v[66:67], v[68:69]
	v_dual_mov_b32 v68, v93 :: v_dual_mov_b32 v73, v75
	v_pk_fma_f32 v[74:75], v[104:105], v[88:89], v[76:77] op_sel_hi:[1,0,1]
	v_pk_fma_f32 v[76:77], v[104:105], v[88:89], v[76:77] neg_lo:[0,0,1] neg_hi:[0,0,1]
	s_delay_alu instid0(VALU_DEP_4)
	v_pk_add_f32 v[66:67], v[66:67], v[70:71]
	v_pk_fma_f32 v[70:71], v[106:107], v[90:91], v[78:79] op_sel_hi:[1,0,1]
	v_pk_mul_f32 v[68:69], v[134:135], v[68:69] op_sel_hi:[1,0]
	v_mov_b32_e32 v77, v75
	s_wait_loadcnt_dscnt 0x100
	v_pk_mul_f32 v[74:75], v[126:127], v[122:123] op_sel:[1,1] op_sel_hi:[0,1]
	v_pk_add_f32 v[66:67], v[66:67], v[72:73]
	v_pk_fma_f32 v[72:73], v[106:107], v[90:91], v[78:79] neg_lo:[0,0,1] neg_hi:[0,0,1]
	v_mov_b32_e32 v73, v71
	v_pk_fma_f32 v[70:71], v[108:109], v[92:93], v[68:69] op_sel_hi:[1,0,1]
	v_pk_fma_f32 v[68:69], v[108:109], v[92:93], v[68:69] neg_lo:[0,0,1] neg_hi:[0,0,1]
	v_pk_add_f32 v[66:67], v[66:67], v[76:77]
	s_delay_alu instid0(VALU_DEP_3) | instskip(SKIP_1) | instid1(VALU_DEP_3)
	v_mov_b32_e32 v69, v71
	v_pk_fma_f32 v[70:71], v[126:127], v[122:123], v[74:75] op_sel_hi:[1,0,1]
	v_pk_add_f32 v[66:67], v[66:67], v[72:73]
	v_pk_fma_f32 v[72:73], v[126:127], v[122:123], v[74:75] neg_lo:[0,0,1] neg_hi:[0,0,1]
	s_delay_alu instid0(VALU_DEP_3) | instskip(NEXT) | instid1(VALU_DEP_3)
	v_mov_b32_e32 v73, v71
	v_pk_add_f32 v[66:67], v[66:67], v[68:69]
	s_delay_alu instid0(VALU_DEP_1) | instskip(SKIP_1) | instid1(VALU_DEP_1)
	v_pk_add_f32 v[66:67], v[66:67], v[72:73]
	s_wait_loadcnt 0x0
	v_pk_add_f32 v[66:67], v[124:125], v[66:67] neg_lo:[0,1] neg_hi:[0,1]
	scratch_store_b64 off, v[66:67], off offset:128
	s_wait_xcnt 0x0
	v_cmpx_lt_u32_e32 15, v0
	s_cbranch_execz .LBB95_175
; %bb.174:
	scratch_load_b64 v[66:67], off, off offset:120
	v_mov_b64_e32 v[68:69], 0
	scratch_store_b64 off, v[68:69], off offset:120
	s_wait_loadcnt 0x0
	ds_store_b64 v1, v[66:67]
.LBB95_175:
	s_wait_xcnt 0x0
	s_or_b32 exec_lo, exec_lo, s0
	s_wait_storecnt_dscnt 0x0
	s_barrier_signal -1
	s_barrier_wait -1
	s_clause 0x8
	scratch_load_b128 v[66:69], off, off offset:128
	scratch_load_b128 v[70:73], off, off offset:144
	;; [unrolled: 1-line block ×8, first 2 shown]
	scratch_load_b64 v[130:131], off, off offset:120
	ds_load_b128 v[98:101], v7 offset:448
	ds_load_b128 v[102:105], v7 offset:464
	;; [unrolled: 1-line block ×8, first 2 shown]
	s_mov_b32 s0, exec_lo
	s_wait_dscnt 0x7
	v_dual_mov_b32 v132, v101 :: v_dual_mov_b32 v133, v100
	s_wait_dscnt 0x6
	v_dual_mov_b32 v134, v105 :: v_dual_mov_b32 v135, v104
	;; [unrolled: 2-line block ×4, first 2 shown]
	s_wait_loadcnt_dscnt 0x803
	v_dual_mul_f32 v7, v114, v67 :: v_dual_mul_f32 v9, v116, v69
	v_dual_mul_f32 v19, v115, v67 :: v_dual_mul_f32 v21, v117, v69
	s_wait_loadcnt_dscnt 0x702
	v_dual_mul_f32 v11, v118, v71 :: v_dual_mul_f32 v13, v120, v73
	s_delay_alu instid0(VALU_DEP_3) | instskip(SKIP_3) | instid1(VALU_DEP_3)
	v_dual_fmac_f32 v7, v115, v66 :: v_dual_fmac_f32 v9, v117, v68
	s_wait_loadcnt_dscnt 0x500
	v_dual_fma_f32 v19, v114, v66, -v19 :: v_dual_mul_f32 v31, v127, v79
	v_dual_mul_f32 v23, v119, v71 :: v_dual_mul_f32 v25, v121, v73
	v_dual_fma_f32 v21, v116, v68, -v21 :: v_dual_add_f32 v7, 0, v7
	s_delay_alu instid0(VALU_DEP_3) | instskip(SKIP_1) | instid1(VALU_DEP_3)
	v_dual_add_f32 v19, 0, v19 :: v_dual_mul_f32 v33, v129, v81
	v_dual_fmac_f32 v11, v119, v70 :: v_dual_fmac_f32 v13, v121, v72
	v_dual_fma_f32 v23, v118, v70, -v23 :: v_dual_add_f32 v7, v7, v9
	s_delay_alu instid0(VALU_DEP_3) | instskip(SKIP_4) | instid1(VALU_DEP_3)
	v_dual_add_f32 v9, v19, v21 :: v_dual_fma_f32 v19, v120, v72, -v25
	v_dual_mul_f32 v15, v122, v75 :: v_dual_mul_f32 v17, v124, v77
	v_dual_mul_f32 v27, v123, v75 :: v_dual_mul_f32 v29, v125, v77
	s_wait_loadcnt 0x4
	v_dual_add_f32 v7, v7, v11 :: v_dual_mov_b32 v68, v85
	v_dual_add_f32 v9, v9, v23 :: v_dual_fmac_f32 v15, v123, v74
	s_delay_alu instid0(VALU_DEP_2) | instskip(SKIP_1) | instid1(VALU_DEP_3)
	v_dual_fma_f32 v11, v122, v74, -v27 :: v_dual_add_f32 v7, v7, v13
	v_dual_mul_f32 v141, v126, v79 :: v_dual_mul_f32 v143, v128, v81
	v_dual_add_f32 v9, v9, v19 :: v_dual_fma_f32 v13, v124, v76, -v29
	s_delay_alu instid0(VALU_DEP_3) | instskip(SKIP_1) | instid1(VALU_DEP_3)
	v_dual_fmac_f32 v17, v125, v76 :: v_dual_add_f32 v7, v7, v15
	v_pk_mul_f32 v[66:67], v[98:99], v[82:83] op_sel:[1,1] op_sel_hi:[0,1]
	v_dual_add_f32 v9, v9, v11 :: v_dual_fmac_f32 v141, v127, v78
	s_wait_loadcnt 0x3
	v_dual_mov_b32 v72, v89 :: v_dual_fma_f32 v140, v126, v78, -v31
	v_dual_add_f32 v75, v7, v17 :: v_dual_fmac_f32 v143, v129, v80
	s_delay_alu instid0(VALU_DEP_3) | instskip(SKIP_3) | instid1(VALU_DEP_4)
	v_dual_add_f32 v74, v9, v13 :: v_dual_fma_f32 v142, v128, v80, -v33
	v_pk_fma_f32 v[76:77], v[98:99], v[82:83], v[66:67] op_sel_hi:[1,0,1]
	v_pk_mul_f32 v[68:69], v[132:133], v[68:69] op_sel_hi:[1,0]
	v_pk_fma_f32 v[66:67], v[98:99], v[82:83], v[66:67] neg_lo:[0,0,1] neg_hi:[0,0,1]
	v_pk_add_f32 v[74:75], v[74:75], v[140:141]
	v_pk_mul_f32 v[70:71], v[102:103], v[86:87] op_sel:[1,1] op_sel_hi:[0,1]
	v_mov_b32_e32 v67, v77
	v_pk_fma_f32 v[76:77], v[100:101], v[84:85], v[68:69] op_sel_hi:[1,0,1]
	v_pk_fma_f32 v[68:69], v[100:101], v[84:85], v[68:69] neg_lo:[0,0,1] neg_hi:[0,0,1]
	v_pk_add_f32 v[74:75], v[74:75], v[142:143]
	v_pk_fma_f32 v[80:81], v[102:103], v[86:87], v[70:71] op_sel_hi:[1,0,1]
	v_pk_mul_f32 v[72:73], v[134:135], v[72:73] op_sel_hi:[1,0]
	v_mov_b32_e32 v69, v77
	s_wait_loadcnt 0x2
	v_pk_mul_f32 v[78:79], v[106:107], v[90:91] op_sel:[1,1] op_sel_hi:[0,1]
	v_pk_add_f32 v[66:67], v[74:75], v[66:67]
	v_mov_b32_e32 v74, v93
	v_pk_fma_f32 v[70:71], v[102:103], v[86:87], v[70:71] neg_lo:[0,0,1] neg_hi:[0,0,1]
	v_mov_b32_e32 v71, v81
	v_pk_fma_f32 v[76:77], v[104:105], v[88:89], v[72:73] op_sel_hi:[1,0,1]
	v_pk_add_f32 v[66:67], v[66:67], v[68:69]
	v_pk_fma_f32 v[68:69], v[106:107], v[90:91], v[78:79] op_sel_hi:[1,0,1]
	v_pk_mul_f32 v[74:75], v[136:137], v[74:75] op_sel_hi:[1,0]
	v_pk_fma_f32 v[72:73], v[104:105], v[88:89], v[72:73] neg_lo:[0,0,1] neg_hi:[0,0,1]
	v_mov_b32_e32 v73, v77
	v_pk_add_f32 v[66:67], v[66:67], v[70:71]
	v_pk_fma_f32 v[76:77], v[106:107], v[90:91], v[78:79] neg_lo:[0,0,1] neg_hi:[0,0,1]
	v_mov_b32_e32 v77, v69
	v_pk_fma_f32 v[68:69], v[108:109], v[92:93], v[74:75] op_sel_hi:[1,0,1]
	s_wait_loadcnt 0x1
	v_pk_mul_f32 v[70:71], v[110:111], v[94:95] op_sel:[1,1] op_sel_hi:[0,1]
	v_pk_add_f32 v[66:67], v[66:67], v[72:73]
	v_mov_b32_e32 v68, v97
	v_pk_fma_f32 v[74:75], v[108:109], v[92:93], v[74:75] neg_lo:[0,0,1] neg_hi:[0,0,1]
	v_mov_b32_e32 v75, v69
	v_pk_fma_f32 v[72:73], v[110:111], v[94:95], v[70:71] op_sel_hi:[1,0,1]
	v_pk_add_f32 v[66:67], v[66:67], v[76:77]
	v_pk_mul_f32 v[68:69], v[138:139], v[68:69] op_sel_hi:[1,0]
	v_pk_fma_f32 v[70:71], v[110:111], v[94:95], v[70:71] neg_lo:[0,0,1] neg_hi:[0,0,1]
	s_delay_alu instid0(VALU_DEP_4) | instskip(NEXT) | instid1(VALU_DEP_4)
	v_mov_b32_e32 v71, v73
	v_pk_add_f32 v[66:67], v[66:67], v[74:75]
	s_delay_alu instid0(VALU_DEP_4) | instskip(SKIP_1) | instid1(VALU_DEP_2)
	v_pk_fma_f32 v[72:73], v[112:113], v[96:97], v[68:69] op_sel_hi:[1,0,1]
	v_pk_fma_f32 v[68:69], v[112:113], v[96:97], v[68:69] neg_lo:[0,0,1] neg_hi:[0,0,1]
	v_mov_b32_e32 v69, v73
	s_delay_alu instid0(VALU_DEP_4) | instskip(NEXT) | instid1(VALU_DEP_1)
	v_pk_add_f32 v[66:67], v[66:67], v[70:71]
	v_pk_add_f32 v[66:67], v[66:67], v[68:69]
	s_wait_loadcnt 0x0
	s_delay_alu instid0(VALU_DEP_1)
	v_pk_add_f32 v[66:67], v[130:131], v[66:67] neg_lo:[0,1] neg_hi:[0,1]
	scratch_store_b64 off, v[66:67], off offset:120
	s_wait_xcnt 0x0
	v_cmpx_lt_u32_e32 14, v0
	s_cbranch_execz .LBB95_177
; %bb.176:
	scratch_load_b64 v[66:67], off, off offset:112
	v_mov_b64_e32 v[68:69], 0
	scratch_store_b64 off, v[68:69], off offset:112
	s_wait_loadcnt 0x0
	ds_store_b64 v1, v[66:67]
.LBB95_177:
	s_wait_xcnt 0x0
	s_or_b32 exec_lo, exec_lo, s0
	s_wait_storecnt_dscnt 0x0
	s_barrier_signal -1
	s_barrier_wait -1
	s_clause 0x9
	scratch_load_b128 v[66:69], off, off offset:120
	scratch_load_b128 v[70:73], off, off offset:136
	;; [unrolled: 1-line block ×8, first 2 shown]
	scratch_load_b64 v[130:131], off, off offset:248
	scratch_load_b64 v[132:133], off, off offset:112
	v_mov_b32_e32 v7, 0
	ds_load_2addr_b64 v[98:101], v7 offset0:55 offset1:56
	ds_load_2addr_b64 v[102:105], v7 offset0:57 offset1:58
	;; [unrolled: 1-line block ×8, first 2 shown]
	ds_load_b64 v[134:135], v7 offset:504
	s_mov_b32 s0, exec_lo
	s_wait_dscnt 0x8
	v_dual_mov_b32 v136, v101 :: v_dual_mov_b32 v137, v100
	s_wait_dscnt 0x5
	v_dual_mov_b32 v138, v105 :: v_dual_mov_b32 v143, v112
	v_dual_mov_b32 v139, v104 :: v_dual_mov_b32 v140, v109
	;; [unrolled: 1-line block ×3, first 2 shown]
	s_wait_loadcnt_dscnt 0x904
	v_dual_mul_f32 v9, v114, v67 :: v_dual_mul_f32 v23, v115, v67
	v_dual_mul_f32 v25, v117, v69 :: v_dual_mul_f32 v11, v116, v69
	s_wait_loadcnt_dscnt 0x803
	v_mul_f32_e32 v13, v118, v71
	s_wait_loadcnt_dscnt 0x601
	v_dual_mul_f32 v35, v127, v79 :: v_dual_fma_f32 v23, v114, v66, -v23
	v_dual_fmac_f32 v9, v115, v66 :: v_dual_mul_f32 v37, v129, v81
	v_dual_mul_f32 v27, v119, v71 :: v_dual_mul_f32 v29, v121, v73
	v_dual_fmac_f32 v11, v117, v68 :: v_dual_fma_f32 v25, v116, v68, -v25
	s_delay_alu instid0(VALU_DEP_3) | instskip(SKIP_3) | instid1(VALU_DEP_3)
	v_dual_add_f32 v9, 0, v9 :: v_dual_add_f32 v23, 0, v23
	v_dual_mul_f32 v15, v120, v73 :: v_dual_mul_f32 v17, v122, v75
	s_wait_loadcnt 0x5
	v_dual_mul_f32 v39, v99, v83 :: v_dual_fma_f32 v27, v118, v70, -v27
	v_dual_fmac_f32 v13, v119, v70 :: v_dual_add_f32 v9, v9, v11
	v_dual_add_f32 v11, v23, v25 :: v_dual_mov_b32 v66, v85
	v_dual_mul_f32 v31, v123, v75 :: v_dual_mul_f32 v33, v125, v77
	v_dual_fmac_f32 v15, v121, v72 :: v_dual_fma_f32 v23, v120, v72, -v29
	s_delay_alu instid0(VALU_DEP_3) | instskip(SKIP_1) | instid1(VALU_DEP_4)
	v_dual_add_f32 v9, v9, v13 :: v_dual_add_f32 v11, v11, v27
	v_dual_mul_f32 v19, v124, v77 :: v_dual_mul_f32 v21, v126, v79
	v_dual_fmac_f32 v17, v123, v74 :: v_dual_fma_f32 v13, v122, v74, -v31
	s_delay_alu instid0(VALU_DEP_3) | instskip(SKIP_3) | instid1(VALU_DEP_3)
	v_dual_add_f32 v9, v9, v15 :: v_dual_fma_f32 v15, v124, v76, -v33
	s_wait_loadcnt 0x4
	v_dual_add_f32 v11, v11, v23 :: v_dual_mov_b32 v70, v89
	v_fmac_f32_e32 v19, v125, v76
	v_dual_add_f32 v9, v9, v17 :: v_dual_fmac_f32 v21, v127, v78
	s_delay_alu instid0(VALU_DEP_3) | instskip(SKIP_1) | instid1(VALU_DEP_3)
	v_add_f32_e32 v11, v11, v13
	v_dual_mul_f32 v145, v128, v81 :: v_dual_mul_f32 v147, v98, v83
	v_dual_fma_f32 v13, v126, v78, -v35 :: v_dual_add_f32 v9, v9, v19
	s_delay_alu instid0(VALU_DEP_2) | instskip(SKIP_1) | instid1(VALU_DEP_3)
	v_dual_add_f32 v11, v11, v15 :: v_dual_fmac_f32 v145, v129, v80
	v_pk_mul_f32 v[68:69], v[102:103], v[86:87] op_sel:[1,1] op_sel_hi:[0,1]
	v_dual_fma_f32 v144, v128, v80, -v37 :: v_dual_add_f32 v75, v9, v21
	v_pk_mul_f32 v[66:67], v[136:137], v[66:67] op_sel_hi:[1,0]
	s_wait_loadcnt 0x3
	v_dual_add_f32 v74, v11, v13 :: v_dual_mov_b32 v76, v93
	v_pk_fma_f32 v[80:81], v[102:103], v[86:87], v[68:69] op_sel_hi:[1,0,1]
	v_fmac_f32_e32 v147, v99, v82
	v_pk_fma_f32 v[78:79], v[100:101], v[84:85], v[66:67] op_sel_hi:[1,0,1]
	v_fma_f32 v146, v98, v82, -v39
	v_pk_add_f32 v[74:75], v[74:75], v[144:145]
	v_pk_fma_f32 v[66:67], v[100:101], v[84:85], v[66:67] neg_lo:[0,0,1] neg_hi:[0,0,1]
	v_pk_fma_f32 v[68:69], v[102:103], v[86:87], v[68:69] neg_lo:[0,0,1] neg_hi:[0,0,1]
	v_pk_mul_f32 v[70:71], v[138:139], v[70:71] op_sel_hi:[1,0]
	v_dual_mov_b32 v67, v79 :: v_dual_mov_b32 v69, v81
	v_pk_add_f32 v[74:75], v[74:75], v[146:147]
	v_pk_mul_f32 v[72:73], v[106:107], v[90:91] op_sel:[1,1] op_sel_hi:[0,1]
	s_delay_alu instid0(VALU_DEP_4)
	v_pk_fma_f32 v[80:81], v[104:105], v[88:89], v[70:71] op_sel_hi:[1,0,1]
	v_pk_fma_f32 v[70:71], v[104:105], v[88:89], v[70:71] neg_lo:[0,0,1] neg_hi:[0,0,1]
	v_pk_mul_f32 v[76:77], v[140:141], v[76:77] op_sel_hi:[1,0]
	v_pk_add_f32 v[66:67], v[74:75], v[66:67]
	v_pk_fma_f32 v[74:75], v[106:107], v[90:91], v[72:73] op_sel_hi:[1,0,1]
	v_mov_b32_e32 v71, v81
	v_pk_fma_f32 v[72:73], v[106:107], v[90:91], v[72:73] neg_lo:[0,0,1] neg_hi:[0,0,1]
	s_wait_loadcnt 0x2
	v_pk_mul_f32 v[78:79], v[110:111], v[94:95] op_sel:[1,1] op_sel_hi:[0,1]
	v_pk_add_f32 v[66:67], v[66:67], v[68:69]
	v_dual_mov_b32 v68, v97 :: v_dual_mov_b32 v73, v75
	v_pk_fma_f32 v[74:75], v[108:109], v[92:93], v[76:77] op_sel_hi:[1,0,1]
	v_pk_fma_f32 v[76:77], v[108:109], v[92:93], v[76:77] neg_lo:[0,0,1] neg_hi:[0,0,1]
	s_delay_alu instid0(VALU_DEP_4)
	v_pk_add_f32 v[66:67], v[66:67], v[70:71]
	v_pk_fma_f32 v[70:71], v[110:111], v[94:95], v[78:79] op_sel_hi:[1,0,1]
	v_pk_mul_f32 v[68:69], v[142:143], v[68:69] op_sel_hi:[1,0]
	v_mov_b32_e32 v77, v75
	s_wait_loadcnt_dscnt 0x100
	v_pk_mul_f32 v[74:75], v[134:135], v[130:131] op_sel:[1,1] op_sel_hi:[0,1]
	v_pk_add_f32 v[66:67], v[66:67], v[72:73]
	v_pk_fma_f32 v[72:73], v[110:111], v[94:95], v[78:79] neg_lo:[0,0,1] neg_hi:[0,0,1]
	v_mov_b32_e32 v73, v71
	v_pk_fma_f32 v[70:71], v[112:113], v[96:97], v[68:69] op_sel_hi:[1,0,1]
	v_pk_fma_f32 v[68:69], v[112:113], v[96:97], v[68:69] neg_lo:[0,0,1] neg_hi:[0,0,1]
	v_pk_add_f32 v[66:67], v[66:67], v[76:77]
	s_delay_alu instid0(VALU_DEP_3) | instskip(SKIP_1) | instid1(VALU_DEP_3)
	v_mov_b32_e32 v69, v71
	v_pk_fma_f32 v[70:71], v[134:135], v[130:131], v[74:75] op_sel_hi:[1,0,1]
	v_pk_add_f32 v[66:67], v[66:67], v[72:73]
	v_pk_fma_f32 v[72:73], v[134:135], v[130:131], v[74:75] neg_lo:[0,0,1] neg_hi:[0,0,1]
	s_delay_alu instid0(VALU_DEP_3) | instskip(NEXT) | instid1(VALU_DEP_3)
	v_mov_b32_e32 v73, v71
	v_pk_add_f32 v[66:67], v[66:67], v[68:69]
	s_delay_alu instid0(VALU_DEP_1) | instskip(SKIP_1) | instid1(VALU_DEP_1)
	v_pk_add_f32 v[66:67], v[66:67], v[72:73]
	s_wait_loadcnt 0x0
	v_pk_add_f32 v[66:67], v[132:133], v[66:67] neg_lo:[0,1] neg_hi:[0,1]
	scratch_store_b64 off, v[66:67], off offset:112
	s_wait_xcnt 0x0
	v_cmpx_lt_u32_e32 13, v0
	s_cbranch_execz .LBB95_179
; %bb.178:
	scratch_load_b64 v[66:67], off, off offset:104
	v_mov_b64_e32 v[68:69], 0
	scratch_store_b64 off, v[68:69], off offset:104
	s_wait_loadcnt 0x0
	ds_store_b64 v1, v[66:67]
.LBB95_179:
	s_wait_xcnt 0x0
	s_or_b32 exec_lo, exec_lo, s0
	s_wait_storecnt_dscnt 0x0
	s_barrier_signal -1
	s_barrier_wait -1
	s_clause 0x9
	scratch_load_b128 v[66:69], off, off offset:112
	scratch_load_b128 v[70:73], off, off offset:128
	;; [unrolled: 1-line block ×9, first 2 shown]
	scratch_load_b64 v[138:139], off, off offset:104
	ds_load_b128 v[102:105], v7 offset:448
	ds_load_b128 v[106:109], v7 offset:464
	;; [unrolled: 1-line block ×9, first 2 shown]
	s_mov_b32 s0, exec_lo
	s_wait_dscnt 0x8
	v_dual_mov_b32 v140, v105 :: v_dual_mov_b32 v141, v104
	s_wait_dscnt 0x7
	v_dual_mov_b32 v142, v109 :: v_dual_mov_b32 v143, v108
	s_wait_dscnt 0x6
	v_dual_mov_b32 v144, v113 :: v_dual_mov_b32 v145, v112
	s_wait_dscnt 0x5
	v_dual_mov_b32 v146, v117 :: v_dual_mov_b32 v147, v116
	s_wait_loadcnt_dscnt 0x904
	v_dual_mul_f32 v7, v118, v67 :: v_dual_mul_f32 v9, v120, v69
	v_dual_mul_f32 v23, v119, v67 :: v_dual_mul_f32 v25, v121, v69
	s_wait_loadcnt_dscnt 0x803
	v_dual_mul_f32 v11, v122, v71 :: v_dual_mul_f32 v13, v124, v73
	s_delay_alu instid0(VALU_DEP_3) | instskip(SKIP_3) | instid1(VALU_DEP_3)
	v_dual_fmac_f32 v7, v119, v66 :: v_dual_fmac_f32 v9, v121, v68
	s_wait_loadcnt_dscnt 0x601
	v_dual_fma_f32 v23, v118, v66, -v23 :: v_dual_mul_f32 v35, v131, v79
	v_dual_mul_f32 v27, v123, v71 :: v_dual_mul_f32 v29, v125, v73
	v_dual_fma_f32 v25, v120, v68, -v25 :: v_dual_add_f32 v7, 0, v7
	s_delay_alu instid0(VALU_DEP_3) | instskip(SKIP_1) | instid1(VALU_DEP_3)
	v_dual_add_f32 v23, 0, v23 :: v_dual_mul_f32 v37, v133, v81
	v_dual_fmac_f32 v11, v123, v70 :: v_dual_fmac_f32 v13, v125, v72
	v_dual_fma_f32 v27, v122, v70, -v27 :: v_dual_add_f32 v7, v7, v9
	s_delay_alu instid0(VALU_DEP_3) | instskip(SKIP_2) | instid1(VALU_DEP_4)
	v_dual_add_f32 v9, v23, v25 :: v_dual_fma_f32 v25, v124, v72, -v29
	v_dual_mul_f32 v15, v126, v75 :: v_dual_mul_f32 v17, v128, v77
	v_dual_mul_f32 v31, v127, v75 :: v_dual_mul_f32 v33, v129, v77
	v_add_f32_e32 v7, v7, v11
	s_delay_alu instid0(VALU_DEP_3) | instskip(NEXT) | instid1(VALU_DEP_3)
	v_dual_add_f32 v9, v9, v27 :: v_dual_fmac_f32 v15, v127, v74
	v_fma_f32 v27, v126, v74, -v31
	v_dual_mul_f32 v19, v130, v79 :: v_dual_mul_f32 v21, v132, v81
	s_delay_alu instid0(VALU_DEP_4) | instskip(NEXT) | instid1(VALU_DEP_4)
	v_dual_add_f32 v7, v7, v13 :: v_dual_fmac_f32 v17, v129, v76
	v_dual_add_f32 v9, v9, v25 :: v_dual_fma_f32 v13, v128, v76, -v33
	s_wait_loadcnt 0x4
	s_delay_alu instid0(VALU_DEP_2) | instskip(NEXT) | instid1(VALU_DEP_2)
	v_dual_mov_b32 v68, v89 :: v_dual_add_f32 v7, v7, v15
	v_dual_fmac_f32 v19, v131, v78 :: v_dual_add_f32 v9, v9, v27
	v_fma_f32 v15, v130, v78, -v35
	s_wait_dscnt 0x0
	v_dual_mul_f32 v149, v134, v83 :: v_dual_mul_f32 v151, v136, v85
	v_add_f32_e32 v7, v7, v17
	v_dual_add_f32 v9, v9, v13 :: v_dual_fma_f32 v13, v132, v80, -v37
	v_dual_mul_f32 v23, v135, v83 :: v_dual_mul_f32 v11, v137, v85
	s_delay_alu instid0(VALU_DEP_3) | instskip(NEXT) | instid1(VALU_DEP_3)
	v_dual_fmac_f32 v21, v133, v80 :: v_dual_add_f32 v7, v7, v19
	v_dual_add_f32 v9, v9, v15 :: v_dual_fmac_f32 v149, v135, v82
	v_pk_mul_f32 v[66:67], v[102:103], v[86:87] op_sel:[1,1] op_sel_hi:[0,1]
	s_wait_loadcnt 0x3
	v_dual_mov_b32 v72, v93 :: v_dual_fma_f32 v148, v134, v82, -v23
	v_dual_add_f32 v75, v7, v21 :: v_dual_fmac_f32 v151, v137, v84
	v_dual_add_f32 v74, v9, v13 :: v_dual_fma_f32 v150, v136, v84, -v11
	v_pk_fma_f32 v[76:77], v[102:103], v[86:87], v[66:67] op_sel_hi:[1,0,1]
	v_pk_mul_f32 v[68:69], v[140:141], v[68:69] op_sel_hi:[1,0]
	v_pk_fma_f32 v[66:67], v[102:103], v[86:87], v[66:67] neg_lo:[0,0,1] neg_hi:[0,0,1]
	s_delay_alu instid0(VALU_DEP_4)
	v_pk_add_f32 v[74:75], v[74:75], v[148:149]
	v_pk_mul_f32 v[70:71], v[106:107], v[90:91] op_sel:[1,1] op_sel_hi:[0,1]
	v_mov_b32_e32 v67, v77
	v_pk_fma_f32 v[76:77], v[104:105], v[88:89], v[68:69] op_sel_hi:[1,0,1]
	v_pk_fma_f32 v[68:69], v[104:105], v[88:89], v[68:69] neg_lo:[0,0,1] neg_hi:[0,0,1]
	v_pk_add_f32 v[74:75], v[74:75], v[150:151]
	v_pk_fma_f32 v[80:81], v[106:107], v[90:91], v[70:71] op_sel_hi:[1,0,1]
	v_pk_mul_f32 v[72:73], v[142:143], v[72:73] op_sel_hi:[1,0]
	v_mov_b32_e32 v69, v77
	s_wait_loadcnt 0x2
	v_pk_mul_f32 v[78:79], v[110:111], v[94:95] op_sel:[1,1] op_sel_hi:[0,1]
	v_pk_add_f32 v[66:67], v[74:75], v[66:67]
	v_mov_b32_e32 v74, v97
	v_pk_fma_f32 v[70:71], v[106:107], v[90:91], v[70:71] neg_lo:[0,0,1] neg_hi:[0,0,1]
	v_mov_b32_e32 v71, v81
	v_pk_fma_f32 v[76:77], v[108:109], v[92:93], v[72:73] op_sel_hi:[1,0,1]
	v_pk_add_f32 v[66:67], v[66:67], v[68:69]
	v_pk_fma_f32 v[68:69], v[110:111], v[94:95], v[78:79] op_sel_hi:[1,0,1]
	v_pk_mul_f32 v[74:75], v[144:145], v[74:75] op_sel_hi:[1,0]
	v_pk_fma_f32 v[72:73], v[108:109], v[92:93], v[72:73] neg_lo:[0,0,1] neg_hi:[0,0,1]
	v_mov_b32_e32 v73, v77
	v_pk_add_f32 v[66:67], v[66:67], v[70:71]
	v_pk_fma_f32 v[76:77], v[110:111], v[94:95], v[78:79] neg_lo:[0,0,1] neg_hi:[0,0,1]
	v_mov_b32_e32 v77, v69
	v_pk_fma_f32 v[68:69], v[112:113], v[96:97], v[74:75] op_sel_hi:[1,0,1]
	s_wait_loadcnt 0x1
	v_pk_mul_f32 v[70:71], v[114:115], v[98:99] op_sel:[1,1] op_sel_hi:[0,1]
	v_pk_add_f32 v[66:67], v[66:67], v[72:73]
	v_mov_b32_e32 v68, v101
	v_pk_fma_f32 v[74:75], v[112:113], v[96:97], v[74:75] neg_lo:[0,0,1] neg_hi:[0,0,1]
	v_mov_b32_e32 v75, v69
	v_pk_fma_f32 v[72:73], v[114:115], v[98:99], v[70:71] op_sel_hi:[1,0,1]
	v_pk_add_f32 v[66:67], v[66:67], v[76:77]
	v_pk_mul_f32 v[68:69], v[146:147], v[68:69] op_sel_hi:[1,0]
	v_pk_fma_f32 v[70:71], v[114:115], v[98:99], v[70:71] neg_lo:[0,0,1] neg_hi:[0,0,1]
	s_delay_alu instid0(VALU_DEP_4) | instskip(NEXT) | instid1(VALU_DEP_4)
	v_mov_b32_e32 v71, v73
	v_pk_add_f32 v[66:67], v[66:67], v[74:75]
	s_delay_alu instid0(VALU_DEP_4) | instskip(SKIP_1) | instid1(VALU_DEP_2)
	v_pk_fma_f32 v[72:73], v[116:117], v[100:101], v[68:69] op_sel_hi:[1,0,1]
	v_pk_fma_f32 v[68:69], v[116:117], v[100:101], v[68:69] neg_lo:[0,0,1] neg_hi:[0,0,1]
	v_mov_b32_e32 v69, v73
	s_delay_alu instid0(VALU_DEP_4) | instskip(NEXT) | instid1(VALU_DEP_1)
	v_pk_add_f32 v[66:67], v[66:67], v[70:71]
	v_pk_add_f32 v[66:67], v[66:67], v[68:69]
	s_wait_loadcnt 0x0
	s_delay_alu instid0(VALU_DEP_1)
	v_pk_add_f32 v[66:67], v[138:139], v[66:67] neg_lo:[0,1] neg_hi:[0,1]
	scratch_store_b64 off, v[66:67], off offset:104
	s_wait_xcnt 0x0
	v_cmpx_lt_u32_e32 12, v0
	s_cbranch_execz .LBB95_181
; %bb.180:
	scratch_load_b64 v[66:67], off, off offset:96
	v_mov_b64_e32 v[68:69], 0
	scratch_store_b64 off, v[68:69], off offset:96
	s_wait_loadcnt 0x0
	ds_store_b64 v1, v[66:67]
.LBB95_181:
	s_wait_xcnt 0x0
	s_or_b32 exec_lo, exec_lo, s0
	s_wait_storecnt_dscnt 0x0
	s_barrier_signal -1
	s_barrier_wait -1
	s_clause 0xa
	scratch_load_b128 v[66:69], off, off offset:104
	scratch_load_b128 v[70:73], off, off offset:120
	;; [unrolled: 1-line block ×9, first 2 shown]
	scratch_load_b64 v[138:139], off, off offset:248
	scratch_load_b64 v[140:141], off, off offset:96
	v_mov_b32_e32 v7, 0
	ds_load_2addr_b64 v[102:105], v7 offset0:55 offset1:56
	ds_load_2addr_b64 v[106:109], v7 offset0:57 offset1:58
	;; [unrolled: 1-line block ×9, first 2 shown]
	ds_load_b64 v[142:143], v7 offset:504
	s_mov_b32 s0, exec_lo
	s_wait_dscnt 0x9
	v_dual_mov_b32 v144, v105 :: v_dual_mov_b32 v145, v104
	s_wait_dscnt 0x6
	v_dual_mov_b32 v146, v109 :: v_dual_mov_b32 v151, v116
	v_dual_mov_b32 v147, v108 :: v_dual_mov_b32 v148, v113
	;; [unrolled: 1-line block ×3, first 2 shown]
	s_wait_loadcnt_dscnt 0xa05
	v_dual_mul_f32 v9, v118, v67 :: v_dual_mul_f32 v27, v119, v67
	v_dual_mul_f32 v29, v121, v69 :: v_dual_mul_f32 v11, v120, v69
	s_wait_loadcnt_dscnt 0x904
	v_mul_f32_e32 v13, v122, v71
	s_wait_loadcnt_dscnt 0x702
	v_dual_mul_f32 v39, v131, v79 :: v_dual_fma_f32 v27, v118, v66, -v27
	v_dual_fmac_f32 v9, v119, v66 :: v_dual_mul_f32 v41, v133, v81
	v_dual_mul_f32 v31, v123, v71 :: v_dual_mul_f32 v33, v125, v73
	v_dual_fmac_f32 v11, v121, v68 :: v_dual_fma_f32 v29, v120, v68, -v29
	s_delay_alu instid0(VALU_DEP_3) | instskip(SKIP_3) | instid1(VALU_DEP_3)
	v_dual_add_f32 v9, 0, v9 :: v_dual_add_f32 v27, 0, v27
	v_dual_mul_f32 v15, v124, v73 :: v_dual_mul_f32 v17, v126, v75
	s_wait_loadcnt_dscnt 0x601
	v_dual_mul_f32 v43, v135, v83 :: v_dual_fma_f32 v31, v122, v70, -v31
	v_dual_fmac_f32 v13, v123, v70 :: v_dual_add_f32 v9, v9, v11
	s_delay_alu instid0(VALU_DEP_3) | instskip(SKIP_2) | instid1(VALU_DEP_3)
	v_dual_add_f32 v11, v27, v29 :: v_dual_fmac_f32 v15, v125, v72
	v_dual_mul_f32 v35, v127, v75 :: v_dual_mul_f32 v37, v129, v77
	v_dual_mul_f32 v27, v137, v85 :: v_dual_fma_f32 v29, v124, v72, -v33
	v_dual_add_f32 v9, v9, v13 :: v_dual_add_f32 v11, v11, v31
	v_dual_mul_f32 v19, v128, v77 :: v_dual_mul_f32 v21, v130, v79
	s_wait_loadcnt 0x5
	v_dual_mul_f32 v13, v103, v87 :: v_dual_fma_f32 v31, v126, v74, -v35
	s_delay_alu instid0(VALU_DEP_3) | instskip(SKIP_2) | instid1(VALU_DEP_2)
	v_dual_fmac_f32 v17, v127, v74 :: v_dual_add_f32 v9, v9, v15
	v_dual_add_f32 v11, v11, v29 :: v_dual_mov_b32 v66, v89
	v_dual_fmac_f32 v19, v129, v76 :: v_dual_fma_f32 v15, v128, v76, -v37
	v_dual_add_f32 v9, v9, v17 :: v_dual_add_f32 v11, v11, v31
	v_dual_mul_f32 v23, v132, v81 :: v_dual_mul_f32 v25, v134, v83
	v_dual_fmac_f32 v21, v131, v78 :: v_dual_fma_f32 v17, v130, v78, -v39
	s_delay_alu instid0(VALU_DEP_3) | instskip(SKIP_3) | instid1(VALU_DEP_3)
	v_add_f32_e32 v9, v9, v19
	s_wait_loadcnt 0x4
	v_dual_add_f32 v11, v11, v15 :: v_dual_mov_b32 v70, v93
	v_dual_fmac_f32 v23, v133, v80 :: v_dual_fma_f32 v15, v132, v80, -v41
	v_dual_add_f32 v9, v9, v21 :: v_dual_fmac_f32 v25, v135, v82
	s_delay_alu instid0(VALU_DEP_3) | instskip(SKIP_1) | instid1(VALU_DEP_3)
	v_add_f32_e32 v11, v11, v17
	v_dual_mul_f32 v153, v136, v85 :: v_dual_mul_f32 v155, v102, v87
	v_dual_fma_f32 v17, v134, v82, -v43 :: v_dual_add_f32 v9, v9, v23
	s_delay_alu instid0(VALU_DEP_2) | instskip(SKIP_2) | instid1(VALU_DEP_4)
	v_dual_add_f32 v11, v11, v15 :: v_dual_fmac_f32 v153, v137, v84
	v_fma_f32 v152, v136, v84, -v27
	v_pk_mul_f32 v[66:67], v[144:145], v[66:67] op_sel_hi:[1,0]
	v_add_f32_e32 v75, v9, v25
	s_wait_loadcnt 0x3
	v_dual_add_f32 v74, v11, v17 :: v_dual_mov_b32 v76, v97
	v_pk_mul_f32 v[68:69], v[106:107], v[90:91] op_sel:[1,1] op_sel_hi:[0,1]
	v_dual_fmac_f32 v155, v103, v86 :: v_dual_fma_f32 v154, v102, v86, -v13
	v_pk_fma_f32 v[78:79], v[104:105], v[88:89], v[66:67] op_sel_hi:[1,0,1]
	s_delay_alu instid0(VALU_DEP_4)
	v_pk_add_f32 v[74:75], v[74:75], v[152:153]
	v_pk_fma_f32 v[66:67], v[104:105], v[88:89], v[66:67] neg_lo:[0,0,1] neg_hi:[0,0,1]
	v_pk_fma_f32 v[80:81], v[106:107], v[90:91], v[68:69] op_sel_hi:[1,0,1]
	v_pk_mul_f32 v[70:71], v[146:147], v[70:71] op_sel_hi:[1,0]
	v_mov_b32_e32 v67, v79
	v_pk_add_f32 v[74:75], v[74:75], v[154:155]
	v_pk_fma_f32 v[68:69], v[106:107], v[90:91], v[68:69] neg_lo:[0,0,1] neg_hi:[0,0,1]
	v_pk_mul_f32 v[72:73], v[110:111], v[94:95] op_sel:[1,1] op_sel_hi:[0,1]
	v_mov_b32_e32 v69, v81
	v_pk_fma_f32 v[80:81], v[108:109], v[92:93], v[70:71] op_sel_hi:[1,0,1]
	v_pk_add_f32 v[66:67], v[74:75], v[66:67]
	v_pk_fma_f32 v[70:71], v[108:109], v[92:93], v[70:71] neg_lo:[0,0,1] neg_hi:[0,0,1]
	v_pk_fma_f32 v[74:75], v[110:111], v[94:95], v[72:73] op_sel_hi:[1,0,1]
	v_pk_mul_f32 v[76:77], v[148:149], v[76:77] op_sel_hi:[1,0]
	v_mov_b32_e32 v71, v81
	v_pk_add_f32 v[66:67], v[66:67], v[68:69]
	v_pk_fma_f32 v[72:73], v[110:111], v[94:95], v[72:73] neg_lo:[0,0,1] neg_hi:[0,0,1]
	s_wait_loadcnt 0x2
	v_pk_mul_f32 v[78:79], v[114:115], v[98:99] op_sel:[1,1] op_sel_hi:[0,1]
	v_dual_mov_b32 v68, v101 :: v_dual_mov_b32 v73, v75
	v_pk_fma_f32 v[74:75], v[112:113], v[96:97], v[76:77] op_sel_hi:[1,0,1]
	v_pk_add_f32 v[66:67], v[66:67], v[70:71]
	v_pk_fma_f32 v[76:77], v[112:113], v[96:97], v[76:77] neg_lo:[0,0,1] neg_hi:[0,0,1]
	v_pk_fma_f32 v[70:71], v[114:115], v[98:99], v[78:79] op_sel_hi:[1,0,1]
	v_pk_mul_f32 v[68:69], v[150:151], v[68:69] op_sel_hi:[1,0]
	v_mov_b32_e32 v77, v75
	v_pk_add_f32 v[66:67], v[66:67], v[72:73]
	v_pk_fma_f32 v[72:73], v[114:115], v[98:99], v[78:79] neg_lo:[0,0,1] neg_hi:[0,0,1]
	v_mov_b32_e32 v73, v71
	v_pk_fma_f32 v[70:71], v[116:117], v[100:101], v[68:69] op_sel_hi:[1,0,1]
	s_wait_loadcnt_dscnt 0x100
	v_pk_mul_f32 v[74:75], v[142:143], v[138:139] op_sel:[1,1] op_sel_hi:[0,1]
	v_pk_add_f32 v[66:67], v[66:67], v[76:77]
	v_pk_fma_f32 v[68:69], v[116:117], v[100:101], v[68:69] neg_lo:[0,0,1] neg_hi:[0,0,1]
	v_mov_b32_e32 v69, v71
	s_delay_alu instid0(VALU_DEP_4) | instskip(NEXT) | instid1(VALU_DEP_4)
	v_pk_fma_f32 v[70:71], v[142:143], v[138:139], v[74:75] op_sel_hi:[1,0,1]
	v_pk_add_f32 v[66:67], v[66:67], v[72:73]
	v_pk_fma_f32 v[72:73], v[142:143], v[138:139], v[74:75] neg_lo:[0,0,1] neg_hi:[0,0,1]
	s_delay_alu instid0(VALU_DEP_3) | instskip(NEXT) | instid1(VALU_DEP_3)
	v_mov_b32_e32 v73, v71
	v_pk_add_f32 v[66:67], v[66:67], v[68:69]
	s_delay_alu instid0(VALU_DEP_1) | instskip(SKIP_1) | instid1(VALU_DEP_1)
	v_pk_add_f32 v[66:67], v[66:67], v[72:73]
	s_wait_loadcnt 0x0
	v_pk_add_f32 v[66:67], v[140:141], v[66:67] neg_lo:[0,1] neg_hi:[0,1]
	scratch_store_b64 off, v[66:67], off offset:96
	s_wait_xcnt 0x0
	v_cmpx_lt_u32_e32 11, v0
	s_cbranch_execz .LBB95_183
; %bb.182:
	scratch_load_b64 v[66:67], off, off offset:88
	v_mov_b64_e32 v[68:69], 0
	scratch_store_b64 off, v[68:69], off offset:88
	s_wait_loadcnt 0x0
	ds_store_b64 v1, v[66:67]
.LBB95_183:
	s_wait_xcnt 0x0
	s_or_b32 exec_lo, exec_lo, s0
	s_wait_storecnt_dscnt 0x0
	s_barrier_signal -1
	s_barrier_wait -1
	s_clause 0xa
	scratch_load_b128 v[66:69], off, off offset:96
	scratch_load_b128 v[70:73], off, off offset:112
	;; [unrolled: 1-line block ×10, first 2 shown]
	scratch_load_b64 v[146:147], off, off offset:88
	ds_load_b128 v[106:109], v7 offset:448
	ds_load_b128 v[110:113], v7 offset:464
	ds_load_b128 v[114:117], v7 offset:480
	ds_load_b128 v[118:121], v7 offset:496
	ds_load_b128 v[122:125], v7 offset:352
	ds_load_b128 v[126:129], v7 offset:368
	ds_load_b128 v[130:133], v7 offset:384
	ds_load_b128 v[134:137], v7 offset:400
	ds_load_b128 v[138:141], v7 offset:416
	ds_load_b128 v[142:145], v7 offset:432
	s_mov_b32 s0, exec_lo
	s_wait_dscnt 0x9
	v_dual_mov_b32 v148, v109 :: v_dual_mov_b32 v149, v108
	s_wait_dscnt 0x8
	v_dual_mov_b32 v150, v113 :: v_dual_mov_b32 v151, v112
	;; [unrolled: 2-line block ×4, first 2 shown]
	s_wait_loadcnt_dscnt 0xa05
	v_dual_mul_f32 v7, v122, v67 :: v_dual_mul_f32 v9, v124, v69
	v_dual_mul_f32 v27, v123, v67 :: v_dual_mul_f32 v29, v125, v69
	s_wait_loadcnt_dscnt 0x904
	v_dual_mul_f32 v11, v126, v71 :: v_dual_mul_f32 v13, v128, v73
	s_delay_alu instid0(VALU_DEP_3) | instskip(SKIP_3) | instid1(VALU_DEP_3)
	v_dual_fmac_f32 v7, v123, v66 :: v_dual_fmac_f32 v9, v125, v68
	s_wait_loadcnt_dscnt 0x702
	v_dual_fma_f32 v27, v122, v66, -v27 :: v_dual_mul_f32 v39, v135, v79
	v_dual_mul_f32 v31, v127, v71 :: v_dual_mul_f32 v33, v129, v73
	v_dual_fma_f32 v29, v124, v68, -v29 :: v_dual_add_f32 v7, 0, v7
	s_delay_alu instid0(VALU_DEP_3) | instskip(SKIP_1) | instid1(VALU_DEP_3)
	v_dual_add_f32 v27, 0, v27 :: v_dual_mul_f32 v41, v137, v81
	v_dual_fmac_f32 v11, v127, v70 :: v_dual_fmac_f32 v13, v129, v72
	v_dual_fma_f32 v31, v126, v70, -v31 :: v_dual_add_f32 v7, v7, v9
	s_delay_alu instid0(VALU_DEP_3) | instskip(SKIP_2) | instid1(VALU_DEP_4)
	v_dual_add_f32 v9, v27, v29 :: v_dual_fma_f32 v29, v128, v72, -v33
	v_dual_mul_f32 v15, v130, v75 :: v_dual_mul_f32 v17, v132, v77
	v_dual_mul_f32 v35, v131, v75 :: v_dual_mul_f32 v37, v133, v77
	v_add_f32_e32 v7, v7, v11
	s_delay_alu instid0(VALU_DEP_3) | instskip(NEXT) | instid1(VALU_DEP_3)
	v_dual_add_f32 v9, v9, v31 :: v_dual_fmac_f32 v15, v131, v74
	v_fma_f32 v31, v130, v74, -v35
	v_dual_mul_f32 v19, v134, v79 :: v_dual_mul_f32 v21, v136, v81
	s_delay_alu instid0(VALU_DEP_4) | instskip(SKIP_2) | instid1(VALU_DEP_2)
	v_dual_add_f32 v7, v7, v13 :: v_dual_fmac_f32 v17, v133, v76
	s_wait_loadcnt_dscnt 0x500
	v_dual_add_f32 v9, v9, v29 :: v_dual_mul_f32 v13, v143, v87
	v_dual_fma_f32 v29, v132, v76, -v37 :: v_dual_add_f32 v7, v7, v15
	v_mul_f32_e32 v15, v145, v89
	s_delay_alu instid0(VALU_DEP_3) | instskip(NEXT) | instid1(VALU_DEP_3)
	v_dual_add_f32 v9, v9, v31 :: v_dual_fmac_f32 v19, v135, v78
	v_dual_fma_f32 v31, v134, v78, -v39 :: v_dual_add_f32 v7, v7, v17
	v_fmac_f32_e32 v21, v137, v80
	s_delay_alu instid0(VALU_DEP_3) | instskip(SKIP_4) | instid1(VALU_DEP_3)
	v_dual_add_f32 v9, v9, v29 :: v_dual_fma_f32 v17, v136, v80, -v41
	v_dual_mul_f32 v23, v138, v83 :: v_dual_mul_f32 v25, v140, v85
	v_dual_mul_f32 v27, v139, v83 :: v_dual_mul_f32 v11, v141, v85
	s_wait_loadcnt 0x4
	v_dual_add_f32 v7, v7, v19 :: v_dual_mov_b32 v68, v93
	v_dual_add_f32 v9, v9, v31 :: v_dual_fmac_f32 v23, v139, v82
	s_delay_alu instid0(VALU_DEP_2) | instskip(SKIP_1) | instid1(VALU_DEP_3)
	v_dual_fma_f32 v19, v138, v82, -v27 :: v_dual_add_f32 v7, v7, v21
	v_dual_mul_f32 v157, v142, v87 :: v_dual_mul_f32 v159, v144, v89
	v_dual_add_f32 v9, v9, v17 :: v_dual_fma_f32 v11, v140, v84, -v11
	s_delay_alu instid0(VALU_DEP_3) | instskip(SKIP_1) | instid1(VALU_DEP_3)
	v_dual_fmac_f32 v25, v141, v84 :: v_dual_add_f32 v7, v7, v23
	v_pk_mul_f32 v[66:67], v[106:107], v[90:91] op_sel:[1,1] op_sel_hi:[0,1]
	v_dual_add_f32 v9, v9, v19 :: v_dual_fmac_f32 v157, v143, v86
	s_wait_loadcnt 0x3
	v_dual_mov_b32 v72, v97 :: v_dual_fma_f32 v156, v142, v86, -v13
	s_delay_alu instid0(VALU_DEP_2)
	v_dual_add_f32 v75, v7, v25 :: v_dual_add_f32 v74, v9, v11
	v_fmac_f32_e32 v159, v145, v88
	v_pk_fma_f32 v[76:77], v[106:107], v[90:91], v[66:67] op_sel_hi:[1,0,1]
	v_fma_f32 v158, v144, v88, -v15
	v_pk_mul_f32 v[68:69], v[148:149], v[68:69] op_sel_hi:[1,0]
	v_pk_add_f32 v[74:75], v[74:75], v[156:157]
	v_pk_fma_f32 v[66:67], v[106:107], v[90:91], v[66:67] neg_lo:[0,0,1] neg_hi:[0,0,1]
	v_pk_mul_f32 v[70:71], v[110:111], v[94:95] op_sel:[1,1] op_sel_hi:[0,1]
	v_mov_b32_e32 v67, v77
	v_pk_fma_f32 v[76:77], v[108:109], v[92:93], v[68:69] op_sel_hi:[1,0,1]
	v_pk_add_f32 v[74:75], v[74:75], v[158:159]
	v_pk_fma_f32 v[68:69], v[108:109], v[92:93], v[68:69] neg_lo:[0,0,1] neg_hi:[0,0,1]
	v_pk_fma_f32 v[80:81], v[110:111], v[94:95], v[70:71] op_sel_hi:[1,0,1]
	v_pk_mul_f32 v[72:73], v[150:151], v[72:73] op_sel_hi:[1,0]
	v_mov_b32_e32 v69, v77
	v_pk_add_f32 v[66:67], v[74:75], v[66:67]
	s_wait_loadcnt 0x2
	v_pk_mul_f32 v[78:79], v[114:115], v[98:99] op_sel:[1,1] op_sel_hi:[0,1]
	v_mov_b32_e32 v74, v101
	v_pk_fma_f32 v[70:71], v[110:111], v[94:95], v[70:71] neg_lo:[0,0,1] neg_hi:[0,0,1]
	v_pk_fma_f32 v[76:77], v[112:113], v[96:97], v[72:73] op_sel_hi:[1,0,1]
	v_mov_b32_e32 v71, v81
	v_pk_add_f32 v[66:67], v[66:67], v[68:69]
	v_pk_fma_f32 v[68:69], v[114:115], v[98:99], v[78:79] op_sel_hi:[1,0,1]
	v_pk_mul_f32 v[74:75], v[152:153], v[74:75] op_sel_hi:[1,0]
	v_pk_fma_f32 v[72:73], v[112:113], v[96:97], v[72:73] neg_lo:[0,0,1] neg_hi:[0,0,1]
	v_mov_b32_e32 v73, v77
	v_pk_add_f32 v[66:67], v[66:67], v[70:71]
	v_pk_fma_f32 v[76:77], v[114:115], v[98:99], v[78:79] neg_lo:[0,0,1] neg_hi:[0,0,1]
	v_mov_b32_e32 v77, v69
	v_pk_fma_f32 v[68:69], v[116:117], v[100:101], v[74:75] op_sel_hi:[1,0,1]
	s_wait_loadcnt 0x1
	v_pk_mul_f32 v[70:71], v[118:119], v[102:103] op_sel:[1,1] op_sel_hi:[0,1]
	v_pk_add_f32 v[66:67], v[66:67], v[72:73]
	v_mov_b32_e32 v68, v105
	v_pk_fma_f32 v[74:75], v[116:117], v[100:101], v[74:75] neg_lo:[0,0,1] neg_hi:[0,0,1]
	s_delay_alu instid0(VALU_DEP_4)
	v_pk_fma_f32 v[72:73], v[118:119], v[102:103], v[70:71] op_sel_hi:[1,0,1]
	v_mov_b32_e32 v75, v69
	v_pk_add_f32 v[66:67], v[66:67], v[76:77]
	v_pk_mul_f32 v[68:69], v[154:155], v[68:69] op_sel_hi:[1,0]
	v_pk_fma_f32 v[70:71], v[118:119], v[102:103], v[70:71] neg_lo:[0,0,1] neg_hi:[0,0,1]
	v_mov_b32_e32 v71, v73
	s_delay_alu instid0(VALU_DEP_4) | instskip(NEXT) | instid1(VALU_DEP_4)
	v_pk_add_f32 v[66:67], v[66:67], v[74:75]
	v_pk_fma_f32 v[72:73], v[120:121], v[104:105], v[68:69] op_sel_hi:[1,0,1]
	v_pk_fma_f32 v[68:69], v[120:121], v[104:105], v[68:69] neg_lo:[0,0,1] neg_hi:[0,0,1]
	s_delay_alu instid0(VALU_DEP_3) | instskip(NEXT) | instid1(VALU_DEP_3)
	v_pk_add_f32 v[66:67], v[66:67], v[70:71]
	v_mov_b32_e32 v69, v73
	s_delay_alu instid0(VALU_DEP_1) | instskip(SKIP_1) | instid1(VALU_DEP_1)
	v_pk_add_f32 v[66:67], v[66:67], v[68:69]
	s_wait_loadcnt 0x0
	v_pk_add_f32 v[66:67], v[146:147], v[66:67] neg_lo:[0,1] neg_hi:[0,1]
	scratch_store_b64 off, v[66:67], off offset:88
	s_wait_xcnt 0x0
	v_cmpx_lt_u32_e32 10, v0
	s_cbranch_execz .LBB95_185
; %bb.184:
	scratch_load_b64 v[66:67], off, off offset:80
	v_mov_b64_e32 v[68:69], 0
	scratch_store_b64 off, v[68:69], off offset:80
	s_wait_loadcnt 0x0
	ds_store_b64 v1, v[66:67]
.LBB95_185:
	s_wait_xcnt 0x0
	s_or_b32 exec_lo, exec_lo, s0
	s_wait_storecnt_dscnt 0x0
	s_barrier_signal -1
	s_barrier_wait -1
	s_clause 0xb
	scratch_load_b128 v[66:69], off, off offset:88
	scratch_load_b128 v[70:73], off, off offset:104
	;; [unrolled: 1-line block ×10, first 2 shown]
	scratch_load_b64 v[146:147], off, off offset:248
	scratch_load_b64 v[148:149], off, off offset:80
	v_mov_b32_e32 v7, 0
	ds_load_2addr_b64 v[106:109], v7 offset0:55 offset1:56
	ds_load_2addr_b64 v[110:113], v7 offset0:57 offset1:58
	ds_load_2addr_b64 v[114:117], v7 offset0:59 offset1:60
	ds_load_2addr_b64 v[118:121], v7 offset0:61 offset1:62
	ds_load_2addr_b64 v[122:125], v7 offset0:43 offset1:44
	ds_load_2addr_b64 v[126:129], v7 offset0:45 offset1:46
	ds_load_2addr_b64 v[130:133], v7 offset0:47 offset1:48
	ds_load_2addr_b64 v[134:137], v7 offset0:49 offset1:50
	ds_load_2addr_b64 v[138:141], v7 offset0:51 offset1:52
	ds_load_2addr_b64 v[142:145], v7 offset0:53 offset1:54
	ds_load_b64 v[150:151], v7 offset:504
	s_mov_b32 s0, exec_lo
	s_wait_dscnt 0xa
	v_dual_mov_b32 v152, v109 :: v_dual_mov_b32 v153, v108
	s_wait_dscnt 0x7
	v_dual_mov_b32 v154, v113 :: v_dual_mov_b32 v159, v120
	v_dual_mov_b32 v155, v112 :: v_dual_mov_b32 v156, v117
	;; [unrolled: 1-line block ×3, first 2 shown]
	s_wait_loadcnt_dscnt 0xb06
	v_dual_mul_f32 v9, v122, v67 :: v_dual_mul_f32 v31, v123, v67
	v_dual_mul_f32 v33, v125, v69 :: v_dual_mul_f32 v11, v124, v69
	s_wait_loadcnt_dscnt 0xa05
	v_mul_f32_e32 v13, v126, v71
	s_wait_loadcnt_dscnt 0x803
	v_dual_mul_f32 v43, v135, v79 :: v_dual_fma_f32 v31, v122, v66, -v31
	v_dual_fmac_f32 v9, v123, v66 :: v_dual_mul_f32 v45, v137, v81
	v_dual_mul_f32 v35, v127, v71 :: v_dual_mul_f32 v37, v129, v73
	v_dual_fmac_f32 v11, v125, v68 :: v_dual_fma_f32 v33, v124, v68, -v33
	s_delay_alu instid0(VALU_DEP_3) | instskip(SKIP_3) | instid1(VALU_DEP_3)
	v_dual_add_f32 v9, 0, v9 :: v_dual_add_f32 v31, 0, v31
	v_dual_mul_f32 v15, v128, v73 :: v_dual_mul_f32 v17, v130, v75
	s_wait_loadcnt_dscnt 0x702
	v_dual_mul_f32 v47, v139, v83 :: v_dual_fma_f32 v35, v126, v70, -v35
	v_dual_fmac_f32 v13, v127, v70 :: v_dual_add_f32 v9, v9, v11
	s_delay_alu instid0(VALU_DEP_3) | instskip(SKIP_2) | instid1(VALU_DEP_3)
	v_dual_add_f32 v11, v31, v33 :: v_dual_fmac_f32 v15, v129, v72
	v_dual_mul_f32 v39, v131, v75 :: v_dual_mul_f32 v41, v133, v77
	v_dual_mul_f32 v31, v141, v85 :: v_dual_fma_f32 v33, v128, v72, -v37
	v_dual_add_f32 v9, v9, v13 :: v_dual_add_f32 v11, v11, v35
	v_dual_mul_f32 v19, v132, v77 :: v_dual_mul_f32 v21, v134, v79
	s_wait_loadcnt_dscnt 0x601
	v_dual_mul_f32 v13, v143, v87 :: v_dual_fma_f32 v35, v130, v74, -v39
	s_delay_alu instid0(VALU_DEP_3) | instskip(NEXT) | instid1(VALU_DEP_3)
	v_dual_fmac_f32 v17, v131, v74 :: v_dual_add_f32 v9, v9, v15
	v_dual_add_f32 v11, v11, v33 :: v_dual_fmac_f32 v19, v133, v76
	v_dual_mul_f32 v15, v145, v89 :: v_dual_fma_f32 v33, v132, v76, -v41
	s_delay_alu instid0(VALU_DEP_2) | instskip(SKIP_3) | instid1(VALU_DEP_3)
	v_dual_add_f32 v9, v9, v17 :: v_dual_add_f32 v11, v11, v35
	v_dual_mul_f32 v23, v136, v81 :: v_dual_mul_f32 v25, v138, v83
	s_wait_loadcnt 0x5
	v_dual_mul_f32 v17, v107, v91 :: v_dual_fma_f32 v35, v134, v78, -v43
	v_dual_fmac_f32 v21, v135, v78 :: v_dual_add_f32 v9, v9, v19
	v_dual_add_f32 v11, v11, v33 :: v_dual_mov_b32 v66, v93
	v_dual_fmac_f32 v23, v137, v80 :: v_dual_fma_f32 v19, v136, v80, -v45
	s_delay_alu instid0(VALU_DEP_2) | instskip(SKIP_2) | instid1(VALU_DEP_3)
	v_dual_add_f32 v9, v9, v21 :: v_dual_add_f32 v11, v11, v35
	v_dual_mul_f32 v27, v140, v85 :: v_dual_mul_f32 v29, v142, v87
	v_dual_fmac_f32 v25, v139, v82 :: v_dual_fma_f32 v21, v138, v82, -v47
	v_add_f32_e32 v9, v9, v23
	s_wait_loadcnt 0x4
	v_dual_add_f32 v11, v11, v19 :: v_dual_mov_b32 v70, v97
	v_fmac_f32_e32 v27, v141, v84
	s_delay_alu instid0(VALU_DEP_3) | instskip(SKIP_1) | instid1(VALU_DEP_4)
	v_dual_fma_f32 v19, v140, v84, -v31 :: v_dual_add_f32 v9, v9, v25
	v_fmac_f32_e32 v29, v143, v86
	v_add_f32_e32 v11, v11, v21
	v_dual_mul_f32 v161, v144, v89 :: v_dual_mul_f32 v163, v106, v91
	s_delay_alu instid0(VALU_DEP_4) | instskip(NEXT) | instid1(VALU_DEP_2)
	v_dual_fma_f32 v13, v142, v86, -v13 :: v_dual_add_f32 v9, v9, v27
	v_dual_add_f32 v11, v11, v19 :: v_dual_fmac_f32 v161, v145, v88
	v_fma_f32 v160, v144, v88, -v15
	v_pk_mul_f32 v[66:67], v[152:153], v[66:67] op_sel_hi:[1,0]
	s_delay_alu instid0(VALU_DEP_4)
	v_add_f32_e32 v75, v9, v29
	s_wait_loadcnt 0x3
	v_dual_add_f32 v74, v11, v13 :: v_dual_mov_b32 v76, v101
	v_pk_mul_f32 v[68:69], v[110:111], v[94:95] op_sel:[1,1] op_sel_hi:[0,1]
	v_dual_fmac_f32 v163, v107, v90 :: v_dual_fma_f32 v162, v106, v90, -v17
	v_pk_fma_f32 v[78:79], v[108:109], v[92:93], v[66:67] op_sel_hi:[1,0,1]
	s_delay_alu instid0(VALU_DEP_4)
	v_pk_add_f32 v[74:75], v[74:75], v[160:161]
	v_pk_fma_f32 v[66:67], v[108:109], v[92:93], v[66:67] neg_lo:[0,0,1] neg_hi:[0,0,1]
	v_pk_fma_f32 v[80:81], v[110:111], v[94:95], v[68:69] op_sel_hi:[1,0,1]
	v_pk_mul_f32 v[70:71], v[154:155], v[70:71] op_sel_hi:[1,0]
	v_mov_b32_e32 v67, v79
	v_pk_add_f32 v[74:75], v[74:75], v[162:163]
	v_pk_fma_f32 v[68:69], v[110:111], v[94:95], v[68:69] neg_lo:[0,0,1] neg_hi:[0,0,1]
	v_pk_mul_f32 v[72:73], v[114:115], v[98:99] op_sel:[1,1] op_sel_hi:[0,1]
	v_mov_b32_e32 v69, v81
	v_pk_fma_f32 v[80:81], v[112:113], v[96:97], v[70:71] op_sel_hi:[1,0,1]
	v_pk_add_f32 v[66:67], v[74:75], v[66:67]
	v_pk_fma_f32 v[70:71], v[112:113], v[96:97], v[70:71] neg_lo:[0,0,1] neg_hi:[0,0,1]
	v_pk_fma_f32 v[74:75], v[114:115], v[98:99], v[72:73] op_sel_hi:[1,0,1]
	v_pk_mul_f32 v[76:77], v[156:157], v[76:77] op_sel_hi:[1,0]
	v_mov_b32_e32 v71, v81
	v_pk_add_f32 v[66:67], v[66:67], v[68:69]
	v_pk_fma_f32 v[72:73], v[114:115], v[98:99], v[72:73] neg_lo:[0,0,1] neg_hi:[0,0,1]
	s_wait_loadcnt 0x2
	v_pk_mul_f32 v[78:79], v[118:119], v[102:103] op_sel:[1,1] op_sel_hi:[0,1]
	v_dual_mov_b32 v68, v105 :: v_dual_mov_b32 v73, v75
	v_pk_fma_f32 v[74:75], v[116:117], v[100:101], v[76:77] op_sel_hi:[1,0,1]
	v_pk_add_f32 v[66:67], v[66:67], v[70:71]
	v_pk_fma_f32 v[76:77], v[116:117], v[100:101], v[76:77] neg_lo:[0,0,1] neg_hi:[0,0,1]
	v_pk_fma_f32 v[70:71], v[118:119], v[102:103], v[78:79] op_sel_hi:[1,0,1]
	v_pk_mul_f32 v[68:69], v[158:159], v[68:69] op_sel_hi:[1,0]
	v_mov_b32_e32 v77, v75
	v_pk_add_f32 v[66:67], v[66:67], v[72:73]
	v_pk_fma_f32 v[72:73], v[118:119], v[102:103], v[78:79] neg_lo:[0,0,1] neg_hi:[0,0,1]
	v_mov_b32_e32 v73, v71
	v_pk_fma_f32 v[70:71], v[120:121], v[104:105], v[68:69] op_sel_hi:[1,0,1]
	s_wait_loadcnt_dscnt 0x100
	v_pk_mul_f32 v[74:75], v[150:151], v[146:147] op_sel:[1,1] op_sel_hi:[0,1]
	v_pk_add_f32 v[66:67], v[66:67], v[76:77]
	v_pk_fma_f32 v[68:69], v[120:121], v[104:105], v[68:69] neg_lo:[0,0,1] neg_hi:[0,0,1]
	v_mov_b32_e32 v69, v71
	s_delay_alu instid0(VALU_DEP_4) | instskip(NEXT) | instid1(VALU_DEP_4)
	v_pk_fma_f32 v[70:71], v[150:151], v[146:147], v[74:75] op_sel_hi:[1,0,1]
	v_pk_add_f32 v[66:67], v[66:67], v[72:73]
	v_pk_fma_f32 v[72:73], v[150:151], v[146:147], v[74:75] neg_lo:[0,0,1] neg_hi:[0,0,1]
	s_delay_alu instid0(VALU_DEP_3) | instskip(NEXT) | instid1(VALU_DEP_3)
	v_mov_b32_e32 v73, v71
	v_pk_add_f32 v[66:67], v[66:67], v[68:69]
	s_delay_alu instid0(VALU_DEP_1) | instskip(SKIP_1) | instid1(VALU_DEP_1)
	v_pk_add_f32 v[66:67], v[66:67], v[72:73]
	s_wait_loadcnt 0x0
	v_pk_add_f32 v[66:67], v[148:149], v[66:67] neg_lo:[0,1] neg_hi:[0,1]
	scratch_store_b64 off, v[66:67], off offset:80
	s_wait_xcnt 0x0
	v_cmpx_lt_u32_e32 9, v0
	s_cbranch_execz .LBB95_187
; %bb.186:
	scratch_load_b64 v[66:67], off, off offset:72
	v_mov_b64_e32 v[68:69], 0
	scratch_store_b64 off, v[68:69], off offset:72
	s_wait_loadcnt 0x0
	ds_store_b64 v1, v[66:67]
.LBB95_187:
	s_wait_xcnt 0x0
	s_or_b32 exec_lo, exec_lo, s0
	s_wait_storecnt_dscnt 0x0
	s_barrier_signal -1
	s_barrier_wait -1
	s_clause 0xb
	scratch_load_b128 v[66:69], off, off offset:80
	scratch_load_b128 v[70:73], off, off offset:96
	;; [unrolled: 1-line block ×11, first 2 shown]
	scratch_load_b64 v[154:155], off, off offset:72
	ds_load_b128 v[110:113], v7 offset:448
	ds_load_b128 v[114:117], v7 offset:464
	;; [unrolled: 1-line block ×11, first 2 shown]
	s_mov_b32 s0, exec_lo
	s_wait_dscnt 0xa
	v_dual_mov_b32 v156, v113 :: v_dual_mov_b32 v157, v112
	s_wait_dscnt 0x9
	v_dual_mov_b32 v158, v117 :: v_dual_mov_b32 v159, v116
	;; [unrolled: 2-line block ×4, first 2 shown]
	s_wait_loadcnt_dscnt 0xb06
	v_dual_mul_f32 v7, v126, v67 :: v_dual_mul_f32 v9, v128, v69
	v_dual_mul_f32 v31, v127, v67 :: v_dual_mul_f32 v33, v129, v69
	s_wait_loadcnt_dscnt 0xa05
	v_dual_mul_f32 v11, v130, v71 :: v_dual_mul_f32 v13, v132, v73
	s_delay_alu instid0(VALU_DEP_3) | instskip(SKIP_3) | instid1(VALU_DEP_3)
	v_dual_fmac_f32 v7, v127, v66 :: v_dual_fmac_f32 v9, v129, v68
	s_wait_loadcnt_dscnt 0x803
	v_dual_fma_f32 v31, v126, v66, -v31 :: v_dual_mul_f32 v43, v139, v79
	v_dual_mul_f32 v35, v131, v71 :: v_dual_mul_f32 v37, v133, v73
	v_dual_fma_f32 v33, v128, v68, -v33 :: v_dual_add_f32 v7, 0, v7
	s_delay_alu instid0(VALU_DEP_3) | instskip(SKIP_1) | instid1(VALU_DEP_3)
	v_dual_add_f32 v31, 0, v31 :: v_dual_mul_f32 v45, v141, v81
	v_dual_fmac_f32 v11, v131, v70 :: v_dual_fmac_f32 v13, v133, v72
	v_dual_fma_f32 v35, v130, v70, -v35 :: v_dual_add_f32 v7, v7, v9
	s_delay_alu instid0(VALU_DEP_3) | instskip(SKIP_2) | instid1(VALU_DEP_4)
	v_dual_add_f32 v9, v31, v33 :: v_dual_fma_f32 v33, v132, v72, -v37
	v_dual_mul_f32 v15, v134, v75 :: v_dual_mul_f32 v17, v136, v77
	v_dual_mul_f32 v39, v135, v75 :: v_dual_mul_f32 v41, v137, v77
	v_add_f32_e32 v7, v7, v11
	s_delay_alu instid0(VALU_DEP_3) | instskip(NEXT) | instid1(VALU_DEP_3)
	v_dual_add_f32 v9, v9, v35 :: v_dual_fmac_f32 v15, v135, v74
	v_fma_f32 v35, v134, v74, -v39
	v_dual_mul_f32 v19, v138, v79 :: v_dual_mul_f32 v21, v140, v81
	s_delay_alu instid0(VALU_DEP_4) | instskip(SKIP_2) | instid1(VALU_DEP_2)
	v_dual_add_f32 v7, v7, v13 :: v_dual_fmac_f32 v17, v137, v76
	s_wait_loadcnt_dscnt 0x601
	v_dual_add_f32 v9, v9, v33 :: v_dual_mul_f32 v13, v147, v87
	v_dual_fma_f32 v33, v136, v76, -v41 :: v_dual_add_f32 v7, v7, v15
	v_mul_f32_e32 v15, v149, v89
	s_delay_alu instid0(VALU_DEP_3) | instskip(NEXT) | instid1(VALU_DEP_3)
	v_dual_add_f32 v9, v9, v35 :: v_dual_fmac_f32 v19, v139, v78
	v_dual_fma_f32 v35, v138, v78, -v43 :: v_dual_add_f32 v7, v7, v17
	v_fmac_f32_e32 v21, v141, v80
	s_wait_loadcnt_dscnt 0x500
	s_delay_alu instid0(VALU_DEP_3) | instskip(SKIP_3) | instid1(VALU_DEP_3)
	v_dual_add_f32 v9, v9, v33 :: v_dual_mul_f32 v17, v151, v91
	v_dual_mul_f32 v23, v142, v83 :: v_dual_mul_f32 v25, v144, v85
	v_dual_mul_f32 v31, v143, v83 :: v_dual_mul_f32 v11, v145, v85
	v_dual_fma_f32 v33, v140, v80, -v45 :: v_dual_add_f32 v7, v7, v19
	v_dual_add_f32 v9, v9, v35 :: v_dual_fmac_f32 v23, v143, v82
	s_delay_alu instid0(VALU_DEP_3) | instskip(NEXT) | instid1(VALU_DEP_3)
	v_dual_mul_f32 v19, v153, v93 :: v_dual_fma_f32 v31, v142, v82, -v31
	v_dual_add_f32 v7, v7, v21 :: v_dual_fmac_f32 v25, v145, v84
	s_delay_alu instid0(VALU_DEP_3) | instskip(SKIP_2) | instid1(VALU_DEP_3)
	v_dual_add_f32 v9, v9, v33 :: v_dual_fma_f32 v11, v144, v84, -v11
	v_dual_mul_f32 v27, v146, v87 :: v_dual_mul_f32 v29, v148, v89
	s_wait_loadcnt 0x4
	v_dual_add_f32 v7, v7, v23 :: v_dual_mov_b32 v68, v97
	s_delay_alu instid0(VALU_DEP_2) | instskip(NEXT) | instid1(VALU_DEP_2)
	v_dual_add_f32 v9, v9, v31 :: v_dual_fmac_f32 v27, v147, v86
	v_dual_fma_f32 v13, v146, v86, -v13 :: v_dual_add_f32 v7, v7, v25
	v_dual_mul_f32 v165, v150, v91 :: v_dual_mul_f32 v167, v152, v93
	s_delay_alu instid0(VALU_DEP_3) | instskip(NEXT) | instid1(VALU_DEP_3)
	v_dual_add_f32 v9, v9, v11 :: v_dual_fma_f32 v11, v148, v88, -v15
	v_dual_fmac_f32 v29, v149, v88 :: v_dual_add_f32 v7, v7, v27
	v_pk_mul_f32 v[66:67], v[110:111], v[94:95] op_sel:[1,1] op_sel_hi:[0,1]
	s_delay_alu instid0(VALU_DEP_3) | instskip(SKIP_2) | instid1(VALU_DEP_2)
	v_dual_add_f32 v9, v9, v13 :: v_dual_fmac_f32 v165, v151, v90
	s_wait_loadcnt 0x3
	v_dual_mov_b32 v72, v101 :: v_dual_fma_f32 v164, v150, v90, -v17
	v_dual_add_f32 v75, v7, v29 :: v_dual_add_f32 v74, v9, v11
	v_fmac_f32_e32 v167, v153, v92
	v_pk_fma_f32 v[76:77], v[110:111], v[94:95], v[66:67] op_sel_hi:[1,0,1]
	v_fma_f32 v166, v152, v92, -v19
	v_pk_mul_f32 v[68:69], v[156:157], v[68:69] op_sel_hi:[1,0]
	v_pk_add_f32 v[74:75], v[74:75], v[164:165]
	v_pk_fma_f32 v[66:67], v[110:111], v[94:95], v[66:67] neg_lo:[0,0,1] neg_hi:[0,0,1]
	v_pk_mul_f32 v[70:71], v[114:115], v[98:99] op_sel:[1,1] op_sel_hi:[0,1]
	v_mov_b32_e32 v67, v77
	v_pk_fma_f32 v[76:77], v[112:113], v[96:97], v[68:69] op_sel_hi:[1,0,1]
	v_pk_add_f32 v[74:75], v[74:75], v[166:167]
	v_pk_fma_f32 v[68:69], v[112:113], v[96:97], v[68:69] neg_lo:[0,0,1] neg_hi:[0,0,1]
	v_pk_fma_f32 v[80:81], v[114:115], v[98:99], v[70:71] op_sel_hi:[1,0,1]
	v_pk_mul_f32 v[72:73], v[158:159], v[72:73] op_sel_hi:[1,0]
	v_mov_b32_e32 v69, v77
	v_pk_add_f32 v[66:67], v[74:75], v[66:67]
	s_wait_loadcnt 0x2
	v_pk_mul_f32 v[78:79], v[118:119], v[102:103] op_sel:[1,1] op_sel_hi:[0,1]
	v_mov_b32_e32 v74, v105
	v_pk_fma_f32 v[70:71], v[114:115], v[98:99], v[70:71] neg_lo:[0,0,1] neg_hi:[0,0,1]
	v_pk_fma_f32 v[76:77], v[116:117], v[100:101], v[72:73] op_sel_hi:[1,0,1]
	v_mov_b32_e32 v71, v81
	v_pk_add_f32 v[66:67], v[66:67], v[68:69]
	v_pk_fma_f32 v[68:69], v[118:119], v[102:103], v[78:79] op_sel_hi:[1,0,1]
	v_pk_mul_f32 v[74:75], v[160:161], v[74:75] op_sel_hi:[1,0]
	v_pk_fma_f32 v[72:73], v[116:117], v[100:101], v[72:73] neg_lo:[0,0,1] neg_hi:[0,0,1]
	v_mov_b32_e32 v73, v77
	v_pk_add_f32 v[66:67], v[66:67], v[70:71]
	v_pk_fma_f32 v[76:77], v[118:119], v[102:103], v[78:79] neg_lo:[0,0,1] neg_hi:[0,0,1]
	v_mov_b32_e32 v77, v69
	v_pk_fma_f32 v[68:69], v[120:121], v[104:105], v[74:75] op_sel_hi:[1,0,1]
	s_wait_loadcnt 0x1
	v_pk_mul_f32 v[70:71], v[122:123], v[106:107] op_sel:[1,1] op_sel_hi:[0,1]
	v_pk_add_f32 v[66:67], v[66:67], v[72:73]
	v_mov_b32_e32 v68, v109
	v_pk_fma_f32 v[74:75], v[120:121], v[104:105], v[74:75] neg_lo:[0,0,1] neg_hi:[0,0,1]
	s_delay_alu instid0(VALU_DEP_4)
	v_pk_fma_f32 v[72:73], v[122:123], v[106:107], v[70:71] op_sel_hi:[1,0,1]
	v_mov_b32_e32 v75, v69
	v_pk_add_f32 v[66:67], v[66:67], v[76:77]
	v_pk_mul_f32 v[68:69], v[162:163], v[68:69] op_sel_hi:[1,0]
	v_pk_fma_f32 v[70:71], v[122:123], v[106:107], v[70:71] neg_lo:[0,0,1] neg_hi:[0,0,1]
	v_mov_b32_e32 v71, v73
	s_delay_alu instid0(VALU_DEP_4) | instskip(NEXT) | instid1(VALU_DEP_4)
	v_pk_add_f32 v[66:67], v[66:67], v[74:75]
	v_pk_fma_f32 v[72:73], v[124:125], v[108:109], v[68:69] op_sel_hi:[1,0,1]
	v_pk_fma_f32 v[68:69], v[124:125], v[108:109], v[68:69] neg_lo:[0,0,1] neg_hi:[0,0,1]
	s_delay_alu instid0(VALU_DEP_3) | instskip(NEXT) | instid1(VALU_DEP_3)
	v_pk_add_f32 v[66:67], v[66:67], v[70:71]
	v_mov_b32_e32 v69, v73
	s_delay_alu instid0(VALU_DEP_1) | instskip(SKIP_1) | instid1(VALU_DEP_1)
	v_pk_add_f32 v[66:67], v[66:67], v[68:69]
	s_wait_loadcnt 0x0
	v_pk_add_f32 v[66:67], v[154:155], v[66:67] neg_lo:[0,1] neg_hi:[0,1]
	scratch_store_b64 off, v[66:67], off offset:72
	s_wait_xcnt 0x0
	v_cmpx_lt_u32_e32 8, v0
	s_cbranch_execz .LBB95_189
; %bb.188:
	scratch_load_b64 v[66:67], off, off offset:64
	v_mov_b64_e32 v[68:69], 0
	scratch_store_b64 off, v[68:69], off offset:64
	s_wait_loadcnt 0x0
	ds_store_b64 v1, v[66:67]
.LBB95_189:
	s_wait_xcnt 0x0
	s_or_b32 exec_lo, exec_lo, s0
	s_wait_storecnt_dscnt 0x0
	s_barrier_signal -1
	s_barrier_wait -1
	s_clause 0xc
	scratch_load_b128 v[66:69], off, off offset:72
	scratch_load_b128 v[70:73], off, off offset:88
	scratch_load_b128 v[74:77], off, off offset:104
	scratch_load_b128 v[78:81], off, off offset:120
	scratch_load_b128 v[82:85], off, off offset:136
	scratch_load_b128 v[86:89], off, off offset:152
	scratch_load_b128 v[90:93], off, off offset:168
	scratch_load_b128 v[94:97], off, off offset:184
	scratch_load_b128 v[98:101], off, off offset:200
	scratch_load_b128 v[102:105], off, off offset:216
	scratch_load_b128 v[106:109], off, off offset:232
	scratch_load_b64 v[154:155], off, off offset:248
	scratch_load_b64 v[156:157], off, off offset:64
	v_mov_b32_e32 v7, 0
	ds_load_2addr_b64 v[110:113], v7 offset0:55 offset1:56
	ds_load_2addr_b64 v[114:117], v7 offset0:57 offset1:58
	;; [unrolled: 1-line block ×11, first 2 shown]
	ds_load_b64 v[158:159], v7 offset:504
	s_mov_b32 s0, exec_lo
	s_wait_dscnt 0xb
	v_dual_mov_b32 v160, v113 :: v_dual_mov_b32 v161, v112
	s_wait_dscnt 0x8
	v_dual_mov_b32 v162, v117 :: v_dual_mov_b32 v167, v124
	v_dual_mov_b32 v163, v116 :: v_dual_mov_b32 v164, v121
	;; [unrolled: 1-line block ×3, first 2 shown]
	s_wait_loadcnt_dscnt 0xc07
	v_dual_mul_f32 v9, v126, v67 :: v_dual_mul_f32 v35, v127, v67
	v_dual_mul_f32 v37, v129, v69 :: v_dual_mul_f32 v11, v128, v69
	s_wait_loadcnt_dscnt 0xb06
	v_mul_f32_e32 v13, v130, v71
	s_wait_loadcnt_dscnt 0x904
	v_dual_mul_f32 v47, v139, v79 :: v_dual_fma_f32 v35, v126, v66, -v35
	v_dual_fmac_f32 v9, v127, v66 :: v_dual_mul_f32 v49, v141, v81
	v_dual_mul_f32 v39, v131, v71 :: v_dual_mul_f32 v41, v133, v73
	v_dual_fmac_f32 v11, v129, v68 :: v_dual_fma_f32 v37, v128, v68, -v37
	s_delay_alu instid0(VALU_DEP_3) | instskip(SKIP_3) | instid1(VALU_DEP_3)
	v_dual_add_f32 v9, 0, v9 :: v_dual_add_f32 v35, 0, v35
	v_dual_mul_f32 v15, v132, v73 :: v_dual_mul_f32 v17, v134, v75
	s_wait_loadcnt_dscnt 0x803
	v_dual_mul_f32 v51, v143, v83 :: v_dual_fma_f32 v39, v130, v70, -v39
	v_dual_fmac_f32 v13, v131, v70 :: v_dual_add_f32 v9, v9, v11
	s_delay_alu instid0(VALU_DEP_3) | instskip(SKIP_2) | instid1(VALU_DEP_3)
	v_dual_add_f32 v11, v35, v37 :: v_dual_fmac_f32 v15, v133, v72
	v_dual_mul_f32 v43, v135, v75 :: v_dual_mul_f32 v45, v137, v77
	v_dual_mul_f32 v35, v145, v85 :: v_dual_fma_f32 v37, v132, v72, -v41
	v_dual_add_f32 v9, v9, v13 :: v_dual_add_f32 v11, v11, v39
	v_dual_mul_f32 v19, v136, v77 :: v_dual_mul_f32 v21, v138, v79
	s_wait_loadcnt_dscnt 0x701
	v_dual_mul_f32 v13, v151, v87 :: v_dual_fma_f32 v39, v134, v74, -v43
	s_delay_alu instid0(VALU_DEP_3) | instskip(NEXT) | instid1(VALU_DEP_3)
	v_dual_fmac_f32 v17, v135, v74 :: v_dual_add_f32 v9, v9, v15
	v_dual_add_f32 v11, v11, v37 :: v_dual_fmac_f32 v19, v137, v76
	v_dual_mul_f32 v15, v153, v89 :: v_dual_fma_f32 v37, v136, v76, -v45
	s_delay_alu instid0(VALU_DEP_2) | instskip(SKIP_3) | instid1(VALU_DEP_3)
	v_dual_add_f32 v9, v9, v17 :: v_dual_add_f32 v11, v11, v39
	v_dual_mul_f32 v23, v140, v81 :: v_dual_mul_f32 v25, v142, v83
	s_wait_loadcnt 0x6
	v_dual_mul_f32 v17, v147, v91 :: v_dual_fma_f32 v39, v138, v78, -v47
	v_dual_fmac_f32 v21, v139, v78 :: v_dual_add_f32 v9, v9, v19
	s_delay_alu instid0(VALU_DEP_3) | instskip(SKIP_1) | instid1(VALU_DEP_2)
	v_dual_add_f32 v11, v11, v37 :: v_dual_fmac_f32 v23, v141, v80
	v_dual_mul_f32 v19, v149, v93 :: v_dual_fma_f32 v37, v140, v80, -v49
	v_dual_add_f32 v9, v9, v21 :: v_dual_add_f32 v11, v11, v39
	v_dual_mul_f32 v27, v144, v85 :: v_dual_mul_f32 v29, v150, v87
	s_wait_loadcnt 0x5
	v_dual_mul_f32 v21, v111, v95 :: v_dual_fma_f32 v39, v142, v82, -v51
	s_delay_alu instid0(VALU_DEP_3) | instskip(SKIP_2) | instid1(VALU_DEP_3)
	v_dual_fmac_f32 v25, v143, v82 :: v_dual_add_f32 v9, v9, v23
	v_dual_add_f32 v11, v11, v37 :: v_dual_mov_b32 v66, v97
	v_fmac_f32_e32 v27, v145, v84
	v_dual_fma_f32 v23, v144, v84, -v35 :: v_dual_add_f32 v9, v9, v25
	s_delay_alu instid0(VALU_DEP_3) | instskip(SKIP_1) | instid1(VALU_DEP_3)
	v_dual_add_f32 v11, v11, v39 :: v_dual_mul_f32 v31, v152, v89
	v_dual_mul_f32 v33, v146, v91 :: v_dual_fmac_f32 v29, v151, v86
	v_dual_add_f32 v9, v9, v27 :: v_dual_fma_f32 v13, v150, v86, -v13
	s_wait_loadcnt 0x4
	s_delay_alu instid0(VALU_DEP_3) | instskip(SKIP_3) | instid1(VALU_DEP_4)
	v_dual_add_f32 v11, v11, v23 :: v_dual_mov_b32 v70, v101
	v_fma_f32 v15, v152, v88, -v15
	v_fmac_f32_e32 v31, v153, v88
	v_dual_add_f32 v9, v9, v29 :: v_dual_fmac_f32 v33, v147, v90
	v_add_f32_e32 v11, v11, v13
	v_dual_mul_f32 v169, v148, v93 :: v_dual_mul_f32 v171, v110, v95
	s_delay_alu instid0(VALU_DEP_3) | instskip(NEXT) | instid1(VALU_DEP_2)
	v_dual_fma_f32 v13, v146, v90, -v17 :: v_dual_add_f32 v9, v9, v31
	v_dual_add_f32 v11, v11, v15 :: v_dual_fmac_f32 v169, v149, v92
	v_fma_f32 v168, v148, v92, -v19
	v_pk_mul_f32 v[66:67], v[160:161], v[66:67] op_sel_hi:[1,0]
	s_delay_alu instid0(VALU_DEP_4)
	v_add_f32_e32 v75, v9, v33
	s_wait_loadcnt 0x3
	v_dual_add_f32 v74, v11, v13 :: v_dual_mov_b32 v76, v105
	v_pk_mul_f32 v[68:69], v[114:115], v[98:99] op_sel:[1,1] op_sel_hi:[0,1]
	v_dual_fmac_f32 v171, v111, v94 :: v_dual_fma_f32 v170, v110, v94, -v21
	v_pk_fma_f32 v[78:79], v[112:113], v[96:97], v[66:67] op_sel_hi:[1,0,1]
	s_delay_alu instid0(VALU_DEP_4)
	v_pk_add_f32 v[74:75], v[74:75], v[168:169]
	v_pk_fma_f32 v[66:67], v[112:113], v[96:97], v[66:67] neg_lo:[0,0,1] neg_hi:[0,0,1]
	v_pk_fma_f32 v[80:81], v[114:115], v[98:99], v[68:69] op_sel_hi:[1,0,1]
	v_pk_mul_f32 v[70:71], v[162:163], v[70:71] op_sel_hi:[1,0]
	v_mov_b32_e32 v67, v79
	v_pk_add_f32 v[74:75], v[74:75], v[170:171]
	v_pk_fma_f32 v[68:69], v[114:115], v[98:99], v[68:69] neg_lo:[0,0,1] neg_hi:[0,0,1]
	v_pk_mul_f32 v[72:73], v[118:119], v[102:103] op_sel:[1,1] op_sel_hi:[0,1]
	v_mov_b32_e32 v69, v81
	v_pk_fma_f32 v[80:81], v[116:117], v[100:101], v[70:71] op_sel_hi:[1,0,1]
	v_pk_add_f32 v[66:67], v[74:75], v[66:67]
	v_pk_fma_f32 v[70:71], v[116:117], v[100:101], v[70:71] neg_lo:[0,0,1] neg_hi:[0,0,1]
	v_pk_fma_f32 v[74:75], v[118:119], v[102:103], v[72:73] op_sel_hi:[1,0,1]
	v_pk_mul_f32 v[76:77], v[164:165], v[76:77] op_sel_hi:[1,0]
	v_mov_b32_e32 v71, v81
	v_pk_add_f32 v[66:67], v[66:67], v[68:69]
	v_pk_fma_f32 v[72:73], v[118:119], v[102:103], v[72:73] neg_lo:[0,0,1] neg_hi:[0,0,1]
	s_wait_loadcnt 0x2
	v_pk_mul_f32 v[78:79], v[122:123], v[106:107] op_sel:[1,1] op_sel_hi:[0,1]
	v_dual_mov_b32 v68, v109 :: v_dual_mov_b32 v73, v75
	v_pk_fma_f32 v[74:75], v[120:121], v[104:105], v[76:77] op_sel_hi:[1,0,1]
	v_pk_add_f32 v[66:67], v[66:67], v[70:71]
	v_pk_fma_f32 v[76:77], v[120:121], v[104:105], v[76:77] neg_lo:[0,0,1] neg_hi:[0,0,1]
	v_pk_fma_f32 v[70:71], v[122:123], v[106:107], v[78:79] op_sel_hi:[1,0,1]
	v_pk_mul_f32 v[68:69], v[166:167], v[68:69] op_sel_hi:[1,0]
	v_mov_b32_e32 v77, v75
	v_pk_add_f32 v[66:67], v[66:67], v[72:73]
	v_pk_fma_f32 v[72:73], v[122:123], v[106:107], v[78:79] neg_lo:[0,0,1] neg_hi:[0,0,1]
	v_mov_b32_e32 v73, v71
	v_pk_fma_f32 v[70:71], v[124:125], v[108:109], v[68:69] op_sel_hi:[1,0,1]
	s_wait_loadcnt_dscnt 0x100
	v_pk_mul_f32 v[74:75], v[158:159], v[154:155] op_sel:[1,1] op_sel_hi:[0,1]
	v_pk_add_f32 v[66:67], v[66:67], v[76:77]
	v_pk_fma_f32 v[68:69], v[124:125], v[108:109], v[68:69] neg_lo:[0,0,1] neg_hi:[0,0,1]
	v_mov_b32_e32 v69, v71
	s_delay_alu instid0(VALU_DEP_4) | instskip(NEXT) | instid1(VALU_DEP_4)
	v_pk_fma_f32 v[70:71], v[158:159], v[154:155], v[74:75] op_sel_hi:[1,0,1]
	v_pk_add_f32 v[66:67], v[66:67], v[72:73]
	v_pk_fma_f32 v[72:73], v[158:159], v[154:155], v[74:75] neg_lo:[0,0,1] neg_hi:[0,0,1]
	s_delay_alu instid0(VALU_DEP_3) | instskip(NEXT) | instid1(VALU_DEP_3)
	v_mov_b32_e32 v73, v71
	v_pk_add_f32 v[66:67], v[66:67], v[68:69]
	s_delay_alu instid0(VALU_DEP_1) | instskip(SKIP_1) | instid1(VALU_DEP_1)
	v_pk_add_f32 v[66:67], v[66:67], v[72:73]
	s_wait_loadcnt 0x0
	v_pk_add_f32 v[66:67], v[156:157], v[66:67] neg_lo:[0,1] neg_hi:[0,1]
	scratch_store_b64 off, v[66:67], off offset:64
	s_wait_xcnt 0x0
	v_cmpx_lt_u32_e32 7, v0
	s_cbranch_execz .LBB95_191
; %bb.190:
	scratch_load_b64 v[66:67], off, off offset:56
	v_mov_b64_e32 v[68:69], 0
	scratch_store_b64 off, v[68:69], off offset:56
	s_wait_loadcnt 0x0
	ds_store_b64 v1, v[66:67]
.LBB95_191:
	s_wait_xcnt 0x0
	s_or_b32 exec_lo, exec_lo, s0
	s_wait_storecnt_dscnt 0x0
	s_barrier_signal -1
	s_barrier_wait -1
	s_clause 0xc
	scratch_load_b128 v[66:69], off, off offset:64
	scratch_load_b128 v[70:73], off, off offset:80
	;; [unrolled: 1-line block ×12, first 2 shown]
	scratch_load_b64 v[162:163], off, off offset:56
	ds_load_b128 v[114:117], v7 offset:448
	ds_load_b128 v[118:121], v7 offset:464
	;; [unrolled: 1-line block ×12, first 2 shown]
	s_mov_b32 s0, exec_lo
	s_wait_dscnt 0xb
	v_dual_mov_b32 v164, v117 :: v_dual_mov_b32 v165, v116
	s_wait_dscnt 0xa
	v_dual_mov_b32 v166, v121 :: v_dual_mov_b32 v167, v120
	;; [unrolled: 2-line block ×4, first 2 shown]
	s_wait_loadcnt_dscnt 0xc07
	v_dual_mul_f32 v7, v130, v67 :: v_dual_mul_f32 v9, v132, v69
	v_dual_mul_f32 v35, v131, v67 :: v_dual_mul_f32 v37, v133, v69
	s_wait_loadcnt_dscnt 0xb06
	v_dual_mul_f32 v11, v134, v71 :: v_dual_mul_f32 v13, v136, v73
	s_delay_alu instid0(VALU_DEP_3) | instskip(SKIP_3) | instid1(VALU_DEP_3)
	v_dual_fmac_f32 v7, v131, v66 :: v_dual_fmac_f32 v9, v133, v68
	s_wait_loadcnt_dscnt 0x904
	v_dual_fma_f32 v35, v130, v66, -v35 :: v_dual_mul_f32 v47, v143, v79
	v_dual_mul_f32 v39, v135, v71 :: v_dual_mul_f32 v41, v137, v73
	v_dual_fma_f32 v37, v132, v68, -v37 :: v_dual_add_f32 v7, 0, v7
	s_delay_alu instid0(VALU_DEP_3) | instskip(SKIP_1) | instid1(VALU_DEP_3)
	v_dual_add_f32 v35, 0, v35 :: v_dual_mul_f32 v49, v145, v81
	v_dual_fmac_f32 v11, v135, v70 :: v_dual_fmac_f32 v13, v137, v72
	v_dual_fma_f32 v39, v134, v70, -v39 :: v_dual_add_f32 v7, v7, v9
	s_delay_alu instid0(VALU_DEP_3) | instskip(SKIP_2) | instid1(VALU_DEP_4)
	v_dual_add_f32 v9, v35, v37 :: v_dual_fma_f32 v37, v136, v72, -v41
	v_dual_mul_f32 v15, v138, v75 :: v_dual_mul_f32 v17, v140, v77
	v_dual_mul_f32 v43, v139, v75 :: v_dual_mul_f32 v45, v141, v77
	v_add_f32_e32 v7, v7, v11
	s_delay_alu instid0(VALU_DEP_3) | instskip(NEXT) | instid1(VALU_DEP_3)
	v_dual_add_f32 v9, v9, v39 :: v_dual_fmac_f32 v15, v139, v74
	v_fma_f32 v39, v138, v74, -v43
	v_dual_mul_f32 v19, v142, v79 :: v_dual_mul_f32 v21, v144, v81
	s_delay_alu instid0(VALU_DEP_4) | instskip(SKIP_2) | instid1(VALU_DEP_2)
	v_dual_add_f32 v7, v7, v13 :: v_dual_fmac_f32 v17, v141, v76
	s_wait_loadcnt_dscnt 0x702
	v_dual_add_f32 v9, v9, v37 :: v_dual_mul_f32 v13, v151, v87
	v_dual_fma_f32 v37, v140, v76, -v45 :: v_dual_add_f32 v7, v7, v15
	v_mul_f32_e32 v15, v153, v89
	s_delay_alu instid0(VALU_DEP_3) | instskip(NEXT) | instid1(VALU_DEP_3)
	v_dual_add_f32 v9, v9, v39 :: v_dual_fmac_f32 v19, v143, v78
	v_dual_fma_f32 v39, v142, v78, -v47 :: v_dual_add_f32 v7, v7, v17
	v_fmac_f32_e32 v21, v145, v80
	s_wait_loadcnt_dscnt 0x601
	s_delay_alu instid0(VALU_DEP_3) | instskip(SKIP_3) | instid1(VALU_DEP_3)
	v_dual_add_f32 v9, v9, v37 :: v_dual_mul_f32 v17, v155, v91
	v_dual_mul_f32 v23, v146, v83 :: v_dual_mul_f32 v25, v148, v85
	v_dual_mul_f32 v35, v147, v83 :: v_dual_mul_f32 v11, v149, v85
	v_dual_fma_f32 v37, v144, v80, -v49 :: v_dual_add_f32 v7, v7, v19
	v_dual_add_f32 v9, v9, v39 :: v_dual_fmac_f32 v23, v147, v82
	s_delay_alu instid0(VALU_DEP_3) | instskip(NEXT) | instid1(VALU_DEP_3)
	v_dual_mul_f32 v19, v157, v93 :: v_dual_fma_f32 v35, v146, v82, -v35
	v_dual_add_f32 v7, v7, v21 :: v_dual_fmac_f32 v25, v149, v84
	s_wait_loadcnt_dscnt 0x500
	s_delay_alu instid0(VALU_DEP_3) | instskip(SKIP_1) | instid1(VALU_DEP_3)
	v_dual_add_f32 v9, v9, v37 :: v_dual_mul_f32 v21, v159, v95
	v_dual_mul_f32 v27, v150, v87 :: v_dual_mul_f32 v29, v152, v89
	v_dual_fma_f32 v11, v148, v84, -v11 :: v_dual_add_f32 v7, v7, v23
	s_delay_alu instid0(VALU_DEP_2) | instskip(SKIP_1) | instid1(VALU_DEP_2)
	v_dual_add_f32 v9, v9, v35 :: v_dual_fmac_f32 v27, v151, v86
	v_dual_mul_f32 v23, v161, v97 :: v_dual_fma_f32 v13, v150, v86, -v13
	v_dual_add_f32 v7, v7, v25 :: v_dual_add_f32 v9, v9, v11
	v_dual_mul_f32 v31, v154, v91 :: v_dual_mul_f32 v33, v156, v93
	v_dual_fmac_f32 v29, v153, v88 :: v_dual_fma_f32 v11, v152, v88, -v15
	s_delay_alu instid0(VALU_DEP_3) | instskip(SKIP_1) | instid1(VALU_DEP_3)
	v_dual_add_f32 v7, v7, v27 :: v_dual_add_f32 v9, v9, v13
	s_wait_loadcnt 0x4
	v_dual_mov_b32 v68, v101 :: v_dual_fmac_f32 v31, v155, v90
	s_delay_alu instid0(VALU_DEP_2) | instskip(NEXT) | instid1(VALU_DEP_3)
	v_dual_fma_f32 v13, v154, v90, -v17 :: v_dual_add_f32 v7, v7, v29
	v_dual_add_f32 v9, v9, v11 :: v_dual_fma_f32 v11, v156, v92, -v19
	v_dual_mul_f32 v173, v158, v95 :: v_dual_mul_f32 v175, v160, v97
	s_delay_alu instid0(VALU_DEP_3) | instskip(NEXT) | instid1(VALU_DEP_2)
	v_dual_fmac_f32 v33, v157, v92 :: v_dual_add_f32 v7, v7, v31
	v_dual_add_f32 v9, v9, v13 :: v_dual_fmac_f32 v173, v159, v94
	v_pk_mul_f32 v[66:67], v[114:115], v[98:99] op_sel:[1,1] op_sel_hi:[0,1]
	s_wait_loadcnt 0x3
	v_dual_mov_b32 v72, v105 :: v_dual_fma_f32 v172, v158, v94, -v21
	s_delay_alu instid0(VALU_DEP_3)
	v_dual_add_f32 v75, v7, v33 :: v_dual_add_f32 v74, v9, v11
	v_fmac_f32_e32 v175, v161, v96
	v_pk_fma_f32 v[76:77], v[114:115], v[98:99], v[66:67] op_sel_hi:[1,0,1]
	v_fma_f32 v174, v160, v96, -v23
	v_pk_mul_f32 v[68:69], v[164:165], v[68:69] op_sel_hi:[1,0]
	v_pk_add_f32 v[74:75], v[74:75], v[172:173]
	v_pk_fma_f32 v[66:67], v[114:115], v[98:99], v[66:67] neg_lo:[0,0,1] neg_hi:[0,0,1]
	v_pk_mul_f32 v[70:71], v[118:119], v[102:103] op_sel:[1,1] op_sel_hi:[0,1]
	v_mov_b32_e32 v67, v77
	v_pk_fma_f32 v[76:77], v[116:117], v[100:101], v[68:69] op_sel_hi:[1,0,1]
	v_pk_add_f32 v[74:75], v[74:75], v[174:175]
	v_pk_fma_f32 v[68:69], v[116:117], v[100:101], v[68:69] neg_lo:[0,0,1] neg_hi:[0,0,1]
	v_pk_fma_f32 v[80:81], v[118:119], v[102:103], v[70:71] op_sel_hi:[1,0,1]
	v_pk_mul_f32 v[72:73], v[166:167], v[72:73] op_sel_hi:[1,0]
	v_mov_b32_e32 v69, v77
	v_pk_add_f32 v[66:67], v[74:75], v[66:67]
	s_wait_loadcnt 0x2
	v_pk_mul_f32 v[78:79], v[122:123], v[106:107] op_sel:[1,1] op_sel_hi:[0,1]
	v_mov_b32_e32 v74, v109
	v_pk_fma_f32 v[70:71], v[118:119], v[102:103], v[70:71] neg_lo:[0,0,1] neg_hi:[0,0,1]
	v_pk_fma_f32 v[76:77], v[120:121], v[104:105], v[72:73] op_sel_hi:[1,0,1]
	v_mov_b32_e32 v71, v81
	v_pk_add_f32 v[66:67], v[66:67], v[68:69]
	v_pk_fma_f32 v[68:69], v[122:123], v[106:107], v[78:79] op_sel_hi:[1,0,1]
	v_pk_mul_f32 v[74:75], v[168:169], v[74:75] op_sel_hi:[1,0]
	v_pk_fma_f32 v[72:73], v[120:121], v[104:105], v[72:73] neg_lo:[0,0,1] neg_hi:[0,0,1]
	v_mov_b32_e32 v73, v77
	v_pk_add_f32 v[66:67], v[66:67], v[70:71]
	v_pk_fma_f32 v[76:77], v[122:123], v[106:107], v[78:79] neg_lo:[0,0,1] neg_hi:[0,0,1]
	v_mov_b32_e32 v77, v69
	v_pk_fma_f32 v[68:69], v[124:125], v[108:109], v[74:75] op_sel_hi:[1,0,1]
	s_wait_loadcnt 0x1
	v_pk_mul_f32 v[70:71], v[126:127], v[110:111] op_sel:[1,1] op_sel_hi:[0,1]
	v_pk_add_f32 v[66:67], v[66:67], v[72:73]
	v_mov_b32_e32 v68, v113
	v_pk_fma_f32 v[74:75], v[124:125], v[108:109], v[74:75] neg_lo:[0,0,1] neg_hi:[0,0,1]
	s_delay_alu instid0(VALU_DEP_4)
	v_pk_fma_f32 v[72:73], v[126:127], v[110:111], v[70:71] op_sel_hi:[1,0,1]
	v_mov_b32_e32 v75, v69
	v_pk_add_f32 v[66:67], v[66:67], v[76:77]
	v_pk_mul_f32 v[68:69], v[170:171], v[68:69] op_sel_hi:[1,0]
	v_pk_fma_f32 v[70:71], v[126:127], v[110:111], v[70:71] neg_lo:[0,0,1] neg_hi:[0,0,1]
	v_mov_b32_e32 v71, v73
	s_delay_alu instid0(VALU_DEP_4) | instskip(NEXT) | instid1(VALU_DEP_4)
	v_pk_add_f32 v[66:67], v[66:67], v[74:75]
	v_pk_fma_f32 v[72:73], v[128:129], v[112:113], v[68:69] op_sel_hi:[1,0,1]
	v_pk_fma_f32 v[68:69], v[128:129], v[112:113], v[68:69] neg_lo:[0,0,1] neg_hi:[0,0,1]
	s_delay_alu instid0(VALU_DEP_3) | instskip(NEXT) | instid1(VALU_DEP_3)
	v_pk_add_f32 v[66:67], v[66:67], v[70:71]
	v_mov_b32_e32 v69, v73
	s_delay_alu instid0(VALU_DEP_1) | instskip(SKIP_1) | instid1(VALU_DEP_1)
	v_pk_add_f32 v[66:67], v[66:67], v[68:69]
	s_wait_loadcnt 0x0
	v_pk_add_f32 v[66:67], v[162:163], v[66:67] neg_lo:[0,1] neg_hi:[0,1]
	scratch_store_b64 off, v[66:67], off offset:56
	s_wait_xcnt 0x0
	v_cmpx_lt_u32_e32 6, v0
	s_cbranch_execz .LBB95_193
; %bb.192:
	scratch_load_b64 v[66:67], off, off offset:48
	v_mov_b64_e32 v[68:69], 0
	scratch_store_b64 off, v[68:69], off offset:48
	s_wait_loadcnt 0x0
	ds_store_b64 v1, v[66:67]
.LBB95_193:
	s_wait_xcnt 0x0
	s_or_b32 exec_lo, exec_lo, s0
	s_wait_storecnt_dscnt 0x0
	s_barrier_signal -1
	s_barrier_wait -1
	s_clause 0xd
	scratch_load_b128 v[66:69], off, off offset:56
	scratch_load_b128 v[70:73], off, off offset:72
	;; [unrolled: 1-line block ×12, first 2 shown]
	scratch_load_b64 v[162:163], off, off offset:248
	scratch_load_b64 v[164:165], off, off offset:48
	v_mov_b32_e32 v7, 0
	ds_load_2addr_b64 v[114:117], v7 offset0:55 offset1:56
	ds_load_2addr_b64 v[118:121], v7 offset0:57 offset1:58
	;; [unrolled: 1-line block ×12, first 2 shown]
	ds_load_b64 v[166:167], v7 offset:504
	s_mov_b32 s0, exec_lo
	s_wait_dscnt 0xc
	v_dual_mov_b32 v168, v117 :: v_dual_mov_b32 v169, v116
	s_wait_dscnt 0x9
	v_dual_mov_b32 v170, v121 :: v_dual_mov_b32 v175, v128
	v_dual_mov_b32 v171, v120 :: v_dual_mov_b32 v172, v125
	v_dual_mov_b32 v173, v124 :: v_dual_mov_b32 v174, v129
	s_wait_loadcnt_dscnt 0xd08
	v_dual_mul_f32 v9, v130, v67 :: v_dual_mul_f32 v39, v131, v67
	v_dual_mul_f32 v41, v133, v69 :: v_dual_mul_f32 v11, v132, v69
	s_wait_loadcnt_dscnt 0xc07
	v_mul_f32_e32 v13, v134, v71
	s_wait_loadcnt_dscnt 0xa05
	v_dual_mul_f32 v51, v143, v79 :: v_dual_fma_f32 v39, v130, v66, -v39
	v_dual_fmac_f32 v9, v131, v66 :: v_dual_mul_f32 v53, v145, v81
	v_dual_mul_f32 v43, v135, v71 :: v_dual_mul_f32 v45, v137, v73
	v_dual_fmac_f32 v11, v133, v68 :: v_dual_fma_f32 v41, v132, v68, -v41
	s_delay_alu instid0(VALU_DEP_3) | instskip(SKIP_3) | instid1(VALU_DEP_3)
	v_dual_add_f32 v9, 0, v9 :: v_dual_add_f32 v39, 0, v39
	v_dual_mul_f32 v15, v136, v73 :: v_dual_mul_f32 v17, v138, v75
	s_wait_loadcnt_dscnt 0x904
	v_dual_mul_f32 v55, v147, v83 :: v_dual_fma_f32 v43, v134, v70, -v43
	v_dual_fmac_f32 v13, v135, v70 :: v_dual_add_f32 v9, v9, v11
	s_delay_alu instid0(VALU_DEP_3) | instskip(SKIP_2) | instid1(VALU_DEP_3)
	v_dual_add_f32 v11, v39, v41 :: v_dual_fmac_f32 v15, v137, v72
	v_dual_mul_f32 v47, v139, v75 :: v_dual_mul_f32 v49, v141, v77
	v_dual_mul_f32 v39, v149, v85 :: v_dual_fma_f32 v41, v136, v72, -v45
	v_dual_add_f32 v9, v9, v13 :: v_dual_add_f32 v11, v11, v43
	v_dual_mul_f32 v19, v140, v77 :: v_dual_mul_f32 v21, v142, v79
	s_wait_loadcnt_dscnt 0x803
	v_dual_mul_f32 v13, v151, v87 :: v_dual_fma_f32 v43, v138, v74, -v47
	s_delay_alu instid0(VALU_DEP_3) | instskip(NEXT) | instid1(VALU_DEP_3)
	v_dual_fmac_f32 v17, v139, v74 :: v_dual_add_f32 v9, v9, v15
	v_dual_add_f32 v11, v11, v41 :: v_dual_fmac_f32 v19, v141, v76
	v_dual_mul_f32 v15, v153, v89 :: v_dual_fma_f32 v41, v140, v76, -v49
	s_delay_alu instid0(VALU_DEP_2) | instskip(SKIP_3) | instid1(VALU_DEP_3)
	v_dual_add_f32 v9, v9, v17 :: v_dual_add_f32 v11, v11, v43
	v_dual_mul_f32 v23, v144, v81 :: v_dual_mul_f32 v25, v146, v83
	s_wait_loadcnt_dscnt 0x702
	v_dual_mul_f32 v17, v155, v91 :: v_dual_fma_f32 v43, v142, v78, -v51
	v_dual_fmac_f32 v21, v143, v78 :: v_dual_add_f32 v9, v9, v19
	s_delay_alu instid0(VALU_DEP_3) | instskip(SKIP_1) | instid1(VALU_DEP_2)
	v_dual_add_f32 v11, v11, v41 :: v_dual_fmac_f32 v23, v145, v80
	v_dual_mul_f32 v19, v157, v93 :: v_dual_fma_f32 v41, v144, v80, -v53
	v_dual_add_f32 v9, v9, v21 :: v_dual_add_f32 v11, v11, v43
	v_dual_mul_f32 v27, v148, v85 :: v_dual_mul_f32 v29, v150, v87
	s_wait_loadcnt_dscnt 0x601
	v_dual_mul_f32 v21, v159, v95 :: v_dual_fma_f32 v43, v146, v82, -v55
	s_delay_alu instid0(VALU_DEP_3) | instskip(NEXT) | instid1(VALU_DEP_3)
	v_dual_fmac_f32 v25, v147, v82 :: v_dual_add_f32 v9, v9, v23
	v_dual_add_f32 v11, v11, v41 :: v_dual_fmac_f32 v27, v149, v84
	v_dual_mul_f32 v23, v161, v97 :: v_dual_fma_f32 v39, v148, v84, -v39
	s_delay_alu instid0(VALU_DEP_2) | instskip(SKIP_3) | instid1(VALU_DEP_3)
	v_dual_add_f32 v9, v9, v25 :: v_dual_add_f32 v11, v11, v43
	v_dual_mul_f32 v31, v152, v89 :: v_dual_mul_f32 v33, v154, v91
	s_wait_loadcnt 0x5
	v_dual_mul_f32 v25, v115, v99 :: v_dual_fma_f32 v13, v150, v86, -v13
	v_dual_fmac_f32 v29, v151, v86 :: v_dual_add_f32 v9, v9, v27
	v_dual_add_f32 v11, v11, v39 :: v_dual_mov_b32 v66, v101
	v_fmac_f32_e32 v31, v153, v88
	s_delay_alu instid0(VALU_DEP_3) | instskip(NEXT) | instid1(VALU_DEP_3)
	v_dual_fma_f32 v15, v152, v88, -v15 :: v_dual_add_f32 v9, v9, v29
	v_add_f32_e32 v11, v11, v13
	v_dual_mul_f32 v35, v156, v93 :: v_dual_mul_f32 v37, v158, v95
	s_delay_alu instid0(VALU_DEP_3) | instskip(NEXT) | instid1(VALU_DEP_3)
	v_dual_fmac_f32 v33, v155, v90 :: v_dual_add_f32 v9, v9, v31
	v_dual_fma_f32 v13, v154, v90, -v17 :: v_dual_add_f32 v11, v11, v15
	s_wait_loadcnt 0x4
	v_dual_mov_b32 v70, v105 :: v_dual_fma_f32 v15, v156, v92, -v19
	v_fmac_f32_e32 v35, v157, v92
	v_dual_add_f32 v9, v9, v33 :: v_dual_fmac_f32 v37, v159, v94
	v_add_f32_e32 v11, v11, v13
	v_dual_mul_f32 v177, v160, v97 :: v_dual_mul_f32 v179, v114, v99
	s_delay_alu instid0(VALU_DEP_3) | instskip(NEXT) | instid1(VALU_DEP_2)
	v_dual_fma_f32 v13, v158, v94, -v21 :: v_dual_add_f32 v9, v9, v35
	v_dual_add_f32 v11, v11, v15 :: v_dual_fmac_f32 v177, v161, v96
	v_fma_f32 v176, v160, v96, -v23
	v_pk_mul_f32 v[66:67], v[168:169], v[66:67] op_sel_hi:[1,0]
	s_delay_alu instid0(VALU_DEP_4)
	v_add_f32_e32 v75, v9, v37
	s_wait_loadcnt 0x3
	v_dual_add_f32 v74, v11, v13 :: v_dual_mov_b32 v76, v109
	v_pk_mul_f32 v[68:69], v[118:119], v[102:103] op_sel:[1,1] op_sel_hi:[0,1]
	v_dual_fmac_f32 v179, v115, v98 :: v_dual_fma_f32 v178, v114, v98, -v25
	v_pk_fma_f32 v[78:79], v[116:117], v[100:101], v[66:67] op_sel_hi:[1,0,1]
	s_delay_alu instid0(VALU_DEP_4)
	v_pk_add_f32 v[74:75], v[74:75], v[176:177]
	v_pk_fma_f32 v[66:67], v[116:117], v[100:101], v[66:67] neg_lo:[0,0,1] neg_hi:[0,0,1]
	v_pk_fma_f32 v[80:81], v[118:119], v[102:103], v[68:69] op_sel_hi:[1,0,1]
	v_pk_mul_f32 v[70:71], v[170:171], v[70:71] op_sel_hi:[1,0]
	v_mov_b32_e32 v67, v79
	v_pk_add_f32 v[74:75], v[74:75], v[178:179]
	v_pk_fma_f32 v[68:69], v[118:119], v[102:103], v[68:69] neg_lo:[0,0,1] neg_hi:[0,0,1]
	v_pk_mul_f32 v[72:73], v[122:123], v[106:107] op_sel:[1,1] op_sel_hi:[0,1]
	v_mov_b32_e32 v69, v81
	v_pk_fma_f32 v[80:81], v[120:121], v[104:105], v[70:71] op_sel_hi:[1,0,1]
	v_pk_add_f32 v[66:67], v[74:75], v[66:67]
	v_pk_fma_f32 v[70:71], v[120:121], v[104:105], v[70:71] neg_lo:[0,0,1] neg_hi:[0,0,1]
	v_pk_fma_f32 v[74:75], v[122:123], v[106:107], v[72:73] op_sel_hi:[1,0,1]
	v_pk_mul_f32 v[76:77], v[172:173], v[76:77] op_sel_hi:[1,0]
	v_mov_b32_e32 v71, v81
	v_pk_add_f32 v[66:67], v[66:67], v[68:69]
	v_pk_fma_f32 v[72:73], v[122:123], v[106:107], v[72:73] neg_lo:[0,0,1] neg_hi:[0,0,1]
	s_wait_loadcnt 0x2
	v_pk_mul_f32 v[78:79], v[126:127], v[110:111] op_sel:[1,1] op_sel_hi:[0,1]
	v_dual_mov_b32 v68, v113 :: v_dual_mov_b32 v73, v75
	v_pk_fma_f32 v[74:75], v[124:125], v[108:109], v[76:77] op_sel_hi:[1,0,1]
	v_pk_add_f32 v[66:67], v[66:67], v[70:71]
	v_pk_fma_f32 v[76:77], v[124:125], v[108:109], v[76:77] neg_lo:[0,0,1] neg_hi:[0,0,1]
	v_pk_fma_f32 v[70:71], v[126:127], v[110:111], v[78:79] op_sel_hi:[1,0,1]
	v_pk_mul_f32 v[68:69], v[174:175], v[68:69] op_sel_hi:[1,0]
	v_mov_b32_e32 v77, v75
	v_pk_add_f32 v[66:67], v[66:67], v[72:73]
	v_pk_fma_f32 v[72:73], v[126:127], v[110:111], v[78:79] neg_lo:[0,0,1] neg_hi:[0,0,1]
	v_mov_b32_e32 v73, v71
	v_pk_fma_f32 v[70:71], v[128:129], v[112:113], v[68:69] op_sel_hi:[1,0,1]
	s_wait_loadcnt_dscnt 0x100
	v_pk_mul_f32 v[74:75], v[166:167], v[162:163] op_sel:[1,1] op_sel_hi:[0,1]
	v_pk_add_f32 v[66:67], v[66:67], v[76:77]
	v_pk_fma_f32 v[68:69], v[128:129], v[112:113], v[68:69] neg_lo:[0,0,1] neg_hi:[0,0,1]
	v_mov_b32_e32 v69, v71
	s_delay_alu instid0(VALU_DEP_4) | instskip(NEXT) | instid1(VALU_DEP_4)
	v_pk_fma_f32 v[70:71], v[166:167], v[162:163], v[74:75] op_sel_hi:[1,0,1]
	v_pk_add_f32 v[66:67], v[66:67], v[72:73]
	v_pk_fma_f32 v[72:73], v[166:167], v[162:163], v[74:75] neg_lo:[0,0,1] neg_hi:[0,0,1]
	s_delay_alu instid0(VALU_DEP_3) | instskip(NEXT) | instid1(VALU_DEP_3)
	v_mov_b32_e32 v73, v71
	v_pk_add_f32 v[66:67], v[66:67], v[68:69]
	s_delay_alu instid0(VALU_DEP_1) | instskip(SKIP_1) | instid1(VALU_DEP_1)
	v_pk_add_f32 v[66:67], v[66:67], v[72:73]
	s_wait_loadcnt 0x0
	v_pk_add_f32 v[66:67], v[164:165], v[66:67] neg_lo:[0,1] neg_hi:[0,1]
	scratch_store_b64 off, v[66:67], off offset:48
	s_wait_xcnt 0x0
	v_cmpx_lt_u32_e32 5, v0
	s_cbranch_execz .LBB95_195
; %bb.194:
	scratch_load_b64 v[66:67], off, off offset:40
	v_mov_b64_e32 v[68:69], 0
	scratch_store_b64 off, v[68:69], off offset:40
	s_wait_loadcnt 0x0
	ds_store_b64 v1, v[66:67]
.LBB95_195:
	s_wait_xcnt 0x0
	s_or_b32 exec_lo, exec_lo, s0
	s_wait_storecnt_dscnt 0x0
	s_barrier_signal -1
	s_barrier_wait -1
	s_clause 0xd
	scratch_load_b128 v[66:69], off, off offset:48
	scratch_load_b128 v[70:73], off, off offset:64
	;; [unrolled: 1-line block ×13, first 2 shown]
	scratch_load_b64 v[170:171], off, off offset:40
	ds_load_b128 v[118:121], v7 offset:448
	ds_load_b128 v[122:125], v7 offset:464
	;; [unrolled: 1-line block ×13, first 2 shown]
	s_mov_b32 s0, exec_lo
	s_wait_dscnt 0xc
	v_dual_mov_b32 v172, v121 :: v_dual_mov_b32 v173, v120
	s_wait_dscnt 0xb
	v_dual_mov_b32 v174, v125 :: v_dual_mov_b32 v175, v124
	;; [unrolled: 2-line block ×4, first 2 shown]
	s_wait_loadcnt_dscnt 0xd08
	v_dual_mul_f32 v7, v134, v67 :: v_dual_mul_f32 v9, v136, v69
	v_dual_mul_f32 v39, v135, v67 :: v_dual_mul_f32 v41, v137, v69
	s_wait_loadcnt_dscnt 0xc07
	v_dual_mul_f32 v11, v138, v71 :: v_dual_mul_f32 v13, v140, v73
	s_delay_alu instid0(VALU_DEP_3) | instskip(SKIP_3) | instid1(VALU_DEP_3)
	v_dual_fmac_f32 v7, v135, v66 :: v_dual_fmac_f32 v9, v137, v68
	s_wait_loadcnt_dscnt 0xa05
	v_dual_fma_f32 v39, v134, v66, -v39 :: v_dual_mul_f32 v51, v147, v79
	v_dual_mul_f32 v43, v139, v71 :: v_dual_mul_f32 v45, v141, v73
	v_dual_fma_f32 v41, v136, v68, -v41 :: v_dual_add_f32 v7, 0, v7
	s_delay_alu instid0(VALU_DEP_3) | instskip(SKIP_1) | instid1(VALU_DEP_3)
	v_dual_add_f32 v39, 0, v39 :: v_dual_mul_f32 v53, v149, v81
	v_dual_fmac_f32 v11, v139, v70 :: v_dual_fmac_f32 v13, v141, v72
	v_dual_fma_f32 v43, v138, v70, -v43 :: v_dual_add_f32 v7, v7, v9
	s_delay_alu instid0(VALU_DEP_3) | instskip(SKIP_2) | instid1(VALU_DEP_4)
	v_dual_add_f32 v9, v39, v41 :: v_dual_fma_f32 v41, v140, v72, -v45
	v_dual_mul_f32 v15, v142, v75 :: v_dual_mul_f32 v17, v144, v77
	v_dual_mul_f32 v47, v143, v75 :: v_dual_mul_f32 v49, v145, v77
	v_add_f32_e32 v7, v7, v11
	s_delay_alu instid0(VALU_DEP_3) | instskip(NEXT) | instid1(VALU_DEP_3)
	v_dual_add_f32 v9, v9, v43 :: v_dual_fmac_f32 v15, v143, v74
	v_fma_f32 v43, v142, v74, -v47
	v_dual_mul_f32 v19, v146, v79 :: v_dual_mul_f32 v21, v148, v81
	s_delay_alu instid0(VALU_DEP_4) | instskip(SKIP_2) | instid1(VALU_DEP_2)
	v_dual_add_f32 v7, v7, v13 :: v_dual_fmac_f32 v17, v145, v76
	s_wait_loadcnt_dscnt 0x802
	v_dual_add_f32 v9, v9, v41 :: v_dual_mul_f32 v13, v159, v87
	v_dual_fma_f32 v41, v144, v76, -v49 :: v_dual_add_f32 v7, v7, v15
	v_mul_f32_e32 v15, v161, v89
	s_delay_alu instid0(VALU_DEP_3) | instskip(NEXT) | instid1(VALU_DEP_3)
	v_dual_add_f32 v9, v9, v43 :: v_dual_fmac_f32 v19, v147, v78
	v_dual_fma_f32 v43, v146, v78, -v51 :: v_dual_add_f32 v7, v7, v17
	v_fmac_f32_e32 v21, v149, v80
	s_wait_loadcnt_dscnt 0x701
	s_delay_alu instid0(VALU_DEP_3) | instskip(SKIP_3) | instid1(VALU_DEP_3)
	v_dual_add_f32 v9, v9, v41 :: v_dual_mul_f32 v17, v163, v91
	v_dual_mul_f32 v23, v154, v83 :: v_dual_mul_f32 v25, v156, v85
	v_dual_mul_f32 v39, v155, v83 :: v_dual_mul_f32 v11, v157, v85
	v_dual_fma_f32 v41, v148, v80, -v53 :: v_dual_add_f32 v7, v7, v19
	v_dual_add_f32 v9, v9, v43 :: v_dual_fmac_f32 v23, v155, v82
	s_delay_alu instid0(VALU_DEP_3) | instskip(NEXT) | instid1(VALU_DEP_3)
	v_dual_mul_f32 v19, v165, v93 :: v_dual_fma_f32 v39, v154, v82, -v39
	v_dual_add_f32 v7, v7, v21 :: v_dual_fmac_f32 v25, v157, v84
	s_wait_loadcnt_dscnt 0x600
	s_delay_alu instid0(VALU_DEP_3) | instskip(SKIP_1) | instid1(VALU_DEP_3)
	v_dual_add_f32 v9, v9, v41 :: v_dual_mul_f32 v21, v167, v95
	v_dual_mul_f32 v27, v158, v87 :: v_dual_mul_f32 v29, v160, v89
	v_dual_fma_f32 v11, v156, v84, -v11 :: v_dual_add_f32 v7, v7, v23
	s_delay_alu instid0(VALU_DEP_2) | instskip(SKIP_1) | instid1(VALU_DEP_2)
	v_dual_add_f32 v9, v9, v39 :: v_dual_fmac_f32 v27, v159, v86
	v_dual_mul_f32 v23, v169, v97 :: v_dual_fma_f32 v13, v158, v86, -v13
	v_dual_add_f32 v7, v7, v25 :: v_dual_add_f32 v9, v9, v11
	v_dual_mul_f32 v31, v162, v91 :: v_dual_mul_f32 v33, v164, v93
	s_wait_loadcnt 0x5
	v_dual_mul_f32 v11, v151, v99 :: v_dual_fmac_f32 v29, v161, v88
	s_delay_alu instid0(VALU_DEP_3) | instskip(NEXT) | instid1(VALU_DEP_3)
	v_dual_fma_f32 v15, v160, v88, -v15 :: v_dual_add_f32 v7, v7, v27
	v_dual_add_f32 v9, v9, v13 :: v_dual_fmac_f32 v31, v163, v90
	v_dual_mul_f32 v13, v153, v101 :: v_dual_fma_f32 v17, v162, v90, -v17
	s_delay_alu instid0(VALU_DEP_2) | instskip(SKIP_2) | instid1(VALU_DEP_3)
	v_dual_add_f32 v7, v7, v29 :: v_dual_add_f32 v9, v9, v15
	v_dual_mul_f32 v35, v166, v95 :: v_dual_mul_f32 v37, v168, v97
	v_dual_fmac_f32 v33, v165, v92 :: v_dual_fma_f32 v15, v164, v92, -v19
	v_dual_add_f32 v7, v7, v31 :: v_dual_add_f32 v9, v9, v17
	s_wait_loadcnt 0x4
	s_delay_alu instid0(VALU_DEP_3) | instskip(NEXT) | instid1(VALU_DEP_2)
	v_dual_mov_b32 v68, v105 :: v_dual_fmac_f32 v35, v167, v94
	v_dual_fma_f32 v17, v166, v94, -v21 :: v_dual_add_f32 v7, v7, v33
	s_delay_alu instid0(VALU_DEP_3) | instskip(SKIP_1) | instid1(VALU_DEP_3)
	v_dual_add_f32 v9, v9, v15 :: v_dual_fma_f32 v15, v168, v96, -v23
	v_dual_mul_f32 v181, v150, v99 :: v_dual_mul_f32 v183, v152, v101
	v_dual_fmac_f32 v37, v169, v96 :: v_dual_add_f32 v7, v7, v35
	s_delay_alu instid0(VALU_DEP_2) | instskip(SKIP_3) | instid1(VALU_DEP_3)
	v_dual_add_f32 v9, v9, v17 :: v_dual_fmac_f32 v181, v151, v98
	v_pk_mul_f32 v[66:67], v[118:119], v[102:103] op_sel:[1,1] op_sel_hi:[0,1]
	s_wait_loadcnt 0x3
	v_dual_mov_b32 v72, v109 :: v_dual_fma_f32 v180, v150, v98, -v11
	v_dual_add_f32 v75, v7, v37 :: v_dual_add_f32 v74, v9, v15
	v_dual_fmac_f32 v183, v153, v100 :: v_dual_fma_f32 v182, v152, v100, -v13
	v_pk_fma_f32 v[76:77], v[118:119], v[102:103], v[66:67] op_sel_hi:[1,0,1]
	v_pk_mul_f32 v[68:69], v[172:173], v[68:69] op_sel_hi:[1,0]
	s_delay_alu instid0(VALU_DEP_4)
	v_pk_add_f32 v[74:75], v[74:75], v[180:181]
	v_pk_fma_f32 v[66:67], v[118:119], v[102:103], v[66:67] neg_lo:[0,0,1] neg_hi:[0,0,1]
	v_pk_mul_f32 v[70:71], v[122:123], v[106:107] op_sel:[1,1] op_sel_hi:[0,1]
	v_mov_b32_e32 v67, v77
	v_pk_fma_f32 v[76:77], v[120:121], v[104:105], v[68:69] op_sel_hi:[1,0,1]
	v_pk_add_f32 v[74:75], v[74:75], v[182:183]
	v_pk_fma_f32 v[68:69], v[120:121], v[104:105], v[68:69] neg_lo:[0,0,1] neg_hi:[0,0,1]
	v_pk_fma_f32 v[80:81], v[122:123], v[106:107], v[70:71] op_sel_hi:[1,0,1]
	v_pk_mul_f32 v[72:73], v[174:175], v[72:73] op_sel_hi:[1,0]
	v_mov_b32_e32 v69, v77
	v_pk_add_f32 v[66:67], v[74:75], v[66:67]
	s_wait_loadcnt 0x2
	v_pk_mul_f32 v[78:79], v[126:127], v[110:111] op_sel:[1,1] op_sel_hi:[0,1]
	v_mov_b32_e32 v74, v113
	v_pk_fma_f32 v[70:71], v[122:123], v[106:107], v[70:71] neg_lo:[0,0,1] neg_hi:[0,0,1]
	v_mov_b32_e32 v71, v81
	v_pk_fma_f32 v[76:77], v[124:125], v[108:109], v[72:73] op_sel_hi:[1,0,1]
	v_pk_add_f32 v[66:67], v[66:67], v[68:69]
	v_pk_fma_f32 v[68:69], v[126:127], v[110:111], v[78:79] op_sel_hi:[1,0,1]
	v_pk_mul_f32 v[74:75], v[176:177], v[74:75] op_sel_hi:[1,0]
	v_pk_fma_f32 v[72:73], v[124:125], v[108:109], v[72:73] neg_lo:[0,0,1] neg_hi:[0,0,1]
	v_mov_b32_e32 v73, v77
	v_pk_add_f32 v[66:67], v[66:67], v[70:71]
	v_pk_fma_f32 v[76:77], v[126:127], v[110:111], v[78:79] neg_lo:[0,0,1] neg_hi:[0,0,1]
	v_mov_b32_e32 v77, v69
	v_pk_fma_f32 v[68:69], v[128:129], v[112:113], v[74:75] op_sel_hi:[1,0,1]
	s_wait_loadcnt 0x1
	v_pk_mul_f32 v[70:71], v[130:131], v[114:115] op_sel:[1,1] op_sel_hi:[0,1]
	v_pk_add_f32 v[66:67], v[66:67], v[72:73]
	v_mov_b32_e32 v68, v117
	v_pk_fma_f32 v[74:75], v[128:129], v[112:113], v[74:75] neg_lo:[0,0,1] neg_hi:[0,0,1]
	v_mov_b32_e32 v75, v69
	v_pk_fma_f32 v[72:73], v[130:131], v[114:115], v[70:71] op_sel_hi:[1,0,1]
	v_pk_add_f32 v[66:67], v[66:67], v[76:77]
	v_pk_mul_f32 v[68:69], v[178:179], v[68:69] op_sel_hi:[1,0]
	v_pk_fma_f32 v[70:71], v[130:131], v[114:115], v[70:71] neg_lo:[0,0,1] neg_hi:[0,0,1]
	s_delay_alu instid0(VALU_DEP_4) | instskip(NEXT) | instid1(VALU_DEP_4)
	v_mov_b32_e32 v71, v73
	v_pk_add_f32 v[66:67], v[66:67], v[74:75]
	s_delay_alu instid0(VALU_DEP_4) | instskip(SKIP_1) | instid1(VALU_DEP_2)
	v_pk_fma_f32 v[72:73], v[132:133], v[116:117], v[68:69] op_sel_hi:[1,0,1]
	v_pk_fma_f32 v[68:69], v[132:133], v[116:117], v[68:69] neg_lo:[0,0,1] neg_hi:[0,0,1]
	v_mov_b32_e32 v69, v73
	s_delay_alu instid0(VALU_DEP_4) | instskip(NEXT) | instid1(VALU_DEP_1)
	v_pk_add_f32 v[66:67], v[66:67], v[70:71]
	v_pk_add_f32 v[66:67], v[66:67], v[68:69]
	s_wait_loadcnt 0x0
	s_delay_alu instid0(VALU_DEP_1)
	v_pk_add_f32 v[66:67], v[170:171], v[66:67] neg_lo:[0,1] neg_hi:[0,1]
	scratch_store_b64 off, v[66:67], off offset:40
	s_wait_xcnt 0x0
	v_cmpx_lt_u32_e32 4, v0
	s_cbranch_execz .LBB95_197
; %bb.196:
	scratch_load_b64 v[66:67], off, off offset:32
	v_mov_b64_e32 v[68:69], 0
	scratch_store_b64 off, v[68:69], off offset:32
	s_wait_loadcnt 0x0
	ds_store_b64 v1, v[66:67]
.LBB95_197:
	s_wait_xcnt 0x0
	s_or_b32 exec_lo, exec_lo, s0
	s_wait_storecnt_dscnt 0x0
	s_barrier_signal -1
	s_barrier_wait -1
	s_clause 0xe
	scratch_load_b128 v[66:69], off, off offset:40
	scratch_load_b128 v[70:73], off, off offset:56
	;; [unrolled: 1-line block ×13, first 2 shown]
	scratch_load_b64 v[170:171], off, off offset:248
	scratch_load_b64 v[172:173], off, off offset:32
	v_mov_b32_e32 v7, 0
	ds_load_2addr_b64 v[118:121], v7 offset0:55 offset1:56
	ds_load_2addr_b64 v[122:125], v7 offset0:57 offset1:58
	;; [unrolled: 1-line block ×13, first 2 shown]
	ds_load_b64 v[174:175], v7 offset:504
	s_mov_b32 s0, exec_lo
	s_wait_dscnt 0xd
	v_dual_mov_b32 v176, v121 :: v_dual_mov_b32 v177, v120
	s_wait_dscnt 0xa
	v_dual_mov_b32 v178, v125 :: v_dual_mov_b32 v183, v132
	v_dual_mov_b32 v179, v124 :: v_dual_mov_b32 v180, v129
	;; [unrolled: 1-line block ×3, first 2 shown]
	s_wait_loadcnt_dscnt 0xe09
	v_dual_mul_f32 v9, v134, v67 :: v_dual_mul_f32 v43, v135, v67
	v_dual_mul_f32 v45, v137, v69 :: v_dual_mul_f32 v11, v136, v69
	s_wait_loadcnt_dscnt 0xd08
	v_mul_f32_e32 v13, v138, v71
	s_wait_loadcnt_dscnt 0xb05
	v_dual_mul_f32 v55, v151, v79 :: v_dual_fma_f32 v43, v134, v66, -v43
	v_dual_fmac_f32 v9, v135, v66 :: v_dual_mul_f32 v57, v153, v81
	v_dual_mul_f32 v47, v139, v71 :: v_dual_mul_f32 v49, v141, v73
	v_dual_fmac_f32 v11, v137, v68 :: v_dual_fma_f32 v45, v136, v68, -v45
	s_delay_alu instid0(VALU_DEP_3) | instskip(SKIP_3) | instid1(VALU_DEP_3)
	v_dual_add_f32 v9, 0, v9 :: v_dual_add_f32 v43, 0, v43
	v_dual_mul_f32 v15, v140, v73 :: v_dual_mul_f32 v17, v142, v75
	s_wait_loadcnt_dscnt 0xa04
	v_dual_mul_f32 v59, v155, v83 :: v_dual_fma_f32 v47, v138, v70, -v47
	v_dual_fmac_f32 v13, v139, v70 :: v_dual_add_f32 v9, v9, v11
	s_delay_alu instid0(VALU_DEP_3) | instskip(SKIP_2) | instid1(VALU_DEP_3)
	v_dual_add_f32 v11, v43, v45 :: v_dual_fmac_f32 v15, v141, v72
	v_dual_mul_f32 v51, v143, v75 :: v_dual_mul_f32 v53, v145, v77
	v_dual_mul_f32 v43, v157, v85 :: v_dual_fma_f32 v45, v140, v72, -v49
	v_dual_add_f32 v9, v9, v13 :: v_dual_add_f32 v11, v11, v47
	v_dual_mul_f32 v19, v144, v77 :: v_dual_mul_f32 v21, v150, v79
	s_wait_loadcnt_dscnt 0x903
	v_dual_mul_f32 v13, v159, v87 :: v_dual_fma_f32 v47, v142, v74, -v51
	s_delay_alu instid0(VALU_DEP_3) | instskip(NEXT) | instid1(VALU_DEP_3)
	v_dual_fmac_f32 v17, v143, v74 :: v_dual_add_f32 v9, v9, v15
	v_dual_add_f32 v11, v11, v45 :: v_dual_fmac_f32 v19, v145, v76
	v_dual_mul_f32 v15, v161, v89 :: v_dual_fma_f32 v45, v144, v76, -v53
	s_delay_alu instid0(VALU_DEP_2) | instskip(SKIP_3) | instid1(VALU_DEP_3)
	v_dual_add_f32 v9, v9, v17 :: v_dual_add_f32 v11, v11, v47
	v_dual_mul_f32 v23, v152, v81 :: v_dual_mul_f32 v25, v154, v83
	s_wait_loadcnt_dscnt 0x802
	v_dual_mul_f32 v17, v163, v91 :: v_dual_fma_f32 v47, v150, v78, -v55
	v_dual_fmac_f32 v21, v151, v78 :: v_dual_add_f32 v9, v9, v19
	s_delay_alu instid0(VALU_DEP_3) | instskip(SKIP_1) | instid1(VALU_DEP_2)
	v_dual_add_f32 v11, v11, v45 :: v_dual_fmac_f32 v23, v153, v80
	v_dual_mul_f32 v19, v165, v93 :: v_dual_fma_f32 v45, v152, v80, -v57
	v_dual_add_f32 v9, v9, v21 :: v_dual_add_f32 v11, v11, v47
	v_dual_mul_f32 v27, v156, v85 :: v_dual_mul_f32 v29, v158, v87
	s_wait_loadcnt_dscnt 0x701
	v_dual_mul_f32 v21, v167, v95 :: v_dual_fma_f32 v47, v154, v82, -v59
	s_delay_alu instid0(VALU_DEP_3) | instskip(NEXT) | instid1(VALU_DEP_3)
	v_dual_fmac_f32 v25, v155, v82 :: v_dual_add_f32 v9, v9, v23
	v_dual_add_f32 v11, v11, v45 :: v_dual_fmac_f32 v27, v157, v84
	v_dual_mul_f32 v23, v169, v97 :: v_dual_fma_f32 v43, v156, v84, -v43
	s_delay_alu instid0(VALU_DEP_2) | instskip(SKIP_3) | instid1(VALU_DEP_3)
	v_dual_add_f32 v9, v9, v25 :: v_dual_add_f32 v11, v11, v47
	v_dual_mul_f32 v31, v160, v89 :: v_dual_mul_f32 v33, v162, v91
	s_wait_loadcnt 0x6
	v_dual_mul_f32 v25, v147, v99 :: v_dual_fma_f32 v13, v158, v86, -v13
	v_dual_fmac_f32 v29, v159, v86 :: v_dual_add_f32 v9, v9, v27
	v_dual_add_f32 v11, v11, v43 :: v_dual_mul_f32 v27, v149, v101
	v_fmac_f32_e32 v31, v161, v88
	s_delay_alu instid0(VALU_DEP_3) | instskip(NEXT) | instid1(VALU_DEP_3)
	v_dual_fma_f32 v15, v160, v88, -v15 :: v_dual_add_f32 v9, v9, v29
	v_add_f32_e32 v11, v11, v13
	v_dual_mul_f32 v35, v164, v93 :: v_dual_mul_f32 v37, v166, v95
	s_wait_loadcnt 0x5
	v_dual_mul_f32 v13, v119, v103 :: v_dual_fma_f32 v17, v162, v90, -v17
	v_dual_fmac_f32 v33, v163, v90 :: v_dual_add_f32 v9, v9, v31
	v_dual_add_f32 v11, v11, v15 :: v_dual_mov_b32 v66, v105
	v_fmac_f32_e32 v35, v165, v92
	s_delay_alu instid0(VALU_DEP_3) | instskip(NEXT) | instid1(VALU_DEP_3)
	v_dual_fma_f32 v15, v164, v92, -v19 :: v_dual_add_f32 v9, v9, v33
	v_add_f32_e32 v11, v11, v17
	v_dual_mul_f32 v39, v168, v97 :: v_dual_mul_f32 v41, v146, v99
	s_delay_alu instid0(VALU_DEP_3) | instskip(NEXT) | instid1(VALU_DEP_3)
	v_dual_fmac_f32 v37, v167, v94 :: v_dual_add_f32 v9, v9, v35
	v_dual_fma_f32 v17, v166, v94, -v21 :: v_dual_add_f32 v11, v11, v15
	s_wait_loadcnt 0x4
	v_dual_mov_b32 v70, v109 :: v_dual_fma_f32 v15, v168, v96, -v23
	v_fmac_f32_e32 v39, v169, v96
	v_dual_add_f32 v9, v9, v37 :: v_dual_fmac_f32 v41, v147, v98
	v_add_f32_e32 v11, v11, v17
	v_dual_mul_f32 v185, v148, v101 :: v_dual_mul_f32 v187, v118, v103
	s_delay_alu instid0(VALU_DEP_3) | instskip(NEXT) | instid1(VALU_DEP_2)
	v_dual_fma_f32 v17, v146, v98, -v25 :: v_dual_add_f32 v9, v9, v39
	v_dual_add_f32 v11, v11, v15 :: v_dual_fmac_f32 v185, v149, v100
	v_fma_f32 v184, v148, v100, -v27
	v_pk_mul_f32 v[66:67], v[176:177], v[66:67] op_sel_hi:[1,0]
	s_delay_alu instid0(VALU_DEP_4)
	v_add_f32_e32 v75, v9, v41
	s_wait_loadcnt 0x3
	v_dual_add_f32 v74, v11, v17 :: v_dual_mov_b32 v76, v113
	v_pk_mul_f32 v[68:69], v[122:123], v[106:107] op_sel:[1,1] op_sel_hi:[0,1]
	v_dual_fmac_f32 v187, v119, v102 :: v_dual_fma_f32 v186, v118, v102, -v13
	v_pk_fma_f32 v[78:79], v[120:121], v[104:105], v[66:67] op_sel_hi:[1,0,1]
	s_delay_alu instid0(VALU_DEP_4)
	v_pk_add_f32 v[74:75], v[74:75], v[184:185]
	v_pk_fma_f32 v[66:67], v[120:121], v[104:105], v[66:67] neg_lo:[0,0,1] neg_hi:[0,0,1]
	v_pk_fma_f32 v[80:81], v[122:123], v[106:107], v[68:69] op_sel_hi:[1,0,1]
	v_pk_mul_f32 v[70:71], v[178:179], v[70:71] op_sel_hi:[1,0]
	v_mov_b32_e32 v67, v79
	v_pk_add_f32 v[74:75], v[74:75], v[186:187]
	v_pk_fma_f32 v[68:69], v[122:123], v[106:107], v[68:69] neg_lo:[0,0,1] neg_hi:[0,0,1]
	v_pk_mul_f32 v[72:73], v[126:127], v[110:111] op_sel:[1,1] op_sel_hi:[0,1]
	v_mov_b32_e32 v69, v81
	v_pk_fma_f32 v[80:81], v[124:125], v[108:109], v[70:71] op_sel_hi:[1,0,1]
	v_pk_add_f32 v[66:67], v[74:75], v[66:67]
	v_pk_fma_f32 v[70:71], v[124:125], v[108:109], v[70:71] neg_lo:[0,0,1] neg_hi:[0,0,1]
	v_pk_fma_f32 v[74:75], v[126:127], v[110:111], v[72:73] op_sel_hi:[1,0,1]
	v_pk_mul_f32 v[76:77], v[180:181], v[76:77] op_sel_hi:[1,0]
	v_mov_b32_e32 v71, v81
	v_pk_add_f32 v[66:67], v[66:67], v[68:69]
	v_pk_fma_f32 v[72:73], v[126:127], v[110:111], v[72:73] neg_lo:[0,0,1] neg_hi:[0,0,1]
	s_wait_loadcnt 0x2
	v_pk_mul_f32 v[78:79], v[130:131], v[114:115] op_sel:[1,1] op_sel_hi:[0,1]
	v_dual_mov_b32 v68, v117 :: v_dual_mov_b32 v73, v75
	v_pk_fma_f32 v[74:75], v[128:129], v[112:113], v[76:77] op_sel_hi:[1,0,1]
	v_pk_add_f32 v[66:67], v[66:67], v[70:71]
	v_pk_fma_f32 v[76:77], v[128:129], v[112:113], v[76:77] neg_lo:[0,0,1] neg_hi:[0,0,1]
	v_pk_fma_f32 v[70:71], v[130:131], v[114:115], v[78:79] op_sel_hi:[1,0,1]
	v_pk_mul_f32 v[68:69], v[182:183], v[68:69] op_sel_hi:[1,0]
	v_mov_b32_e32 v77, v75
	v_pk_add_f32 v[66:67], v[66:67], v[72:73]
	v_pk_fma_f32 v[72:73], v[130:131], v[114:115], v[78:79] neg_lo:[0,0,1] neg_hi:[0,0,1]
	v_mov_b32_e32 v73, v71
	v_pk_fma_f32 v[70:71], v[132:133], v[116:117], v[68:69] op_sel_hi:[1,0,1]
	s_wait_loadcnt_dscnt 0x100
	v_pk_mul_f32 v[74:75], v[174:175], v[170:171] op_sel:[1,1] op_sel_hi:[0,1]
	v_pk_add_f32 v[66:67], v[66:67], v[76:77]
	v_pk_fma_f32 v[68:69], v[132:133], v[116:117], v[68:69] neg_lo:[0,0,1] neg_hi:[0,0,1]
	v_mov_b32_e32 v69, v71
	s_delay_alu instid0(VALU_DEP_4) | instskip(NEXT) | instid1(VALU_DEP_4)
	v_pk_fma_f32 v[70:71], v[174:175], v[170:171], v[74:75] op_sel_hi:[1,0,1]
	v_pk_add_f32 v[66:67], v[66:67], v[72:73]
	v_pk_fma_f32 v[72:73], v[174:175], v[170:171], v[74:75] neg_lo:[0,0,1] neg_hi:[0,0,1]
	s_delay_alu instid0(VALU_DEP_3) | instskip(NEXT) | instid1(VALU_DEP_3)
	v_mov_b32_e32 v73, v71
	v_pk_add_f32 v[66:67], v[66:67], v[68:69]
	s_delay_alu instid0(VALU_DEP_1) | instskip(SKIP_1) | instid1(VALU_DEP_1)
	v_pk_add_f32 v[66:67], v[66:67], v[72:73]
	s_wait_loadcnt 0x0
	v_pk_add_f32 v[66:67], v[172:173], v[66:67] neg_lo:[0,1] neg_hi:[0,1]
	scratch_store_b64 off, v[66:67], off offset:32
	s_wait_xcnt 0x0
	v_cmpx_lt_u32_e32 3, v0
	s_cbranch_execz .LBB95_199
; %bb.198:
	scratch_load_b64 v[66:67], off, off offset:24
	v_mov_b64_e32 v[68:69], 0
	scratch_store_b64 off, v[68:69], off offset:24
	s_wait_loadcnt 0x0
	ds_store_b64 v1, v[66:67]
.LBB95_199:
	s_wait_xcnt 0x0
	s_or_b32 exec_lo, exec_lo, s0
	s_wait_storecnt_dscnt 0x0
	s_barrier_signal -1
	s_barrier_wait -1
	s_clause 0xe
	scratch_load_b128 v[66:69], off, off offset:32
	scratch_load_b128 v[70:73], off, off offset:48
	;; [unrolled: 1-line block ×14, first 2 shown]
	scratch_load_b64 v[178:179], off, off offset:24
	ds_load_b128 v[122:125], v7 offset:448
	ds_load_b128 v[126:129], v7 offset:464
	;; [unrolled: 1-line block ×14, first 2 shown]
	s_mov_b32 s0, exec_lo
	s_wait_dscnt 0xd
	v_dual_mov_b32 v180, v125 :: v_dual_mov_b32 v181, v124
	s_wait_dscnt 0xc
	v_dual_mov_b32 v182, v129 :: v_dual_mov_b32 v183, v128
	;; [unrolled: 2-line block ×4, first 2 shown]
	s_wait_loadcnt_dscnt 0xe09
	v_dual_mul_f32 v7, v138, v67 :: v_dual_mul_f32 v9, v140, v69
	v_dual_mul_f32 v43, v139, v67 :: v_dual_mul_f32 v45, v141, v69
	s_wait_loadcnt_dscnt 0xd08
	v_dual_mul_f32 v11, v142, v71 :: v_dual_mul_f32 v13, v144, v73
	s_delay_alu instid0(VALU_DEP_3) | instskip(SKIP_3) | instid1(VALU_DEP_3)
	v_dual_fmac_f32 v7, v139, v66 :: v_dual_fmac_f32 v9, v141, v68
	s_wait_loadcnt_dscnt 0xb06
	v_dual_fma_f32 v43, v138, v66, -v43 :: v_dual_mul_f32 v55, v151, v79
	v_dual_mul_f32 v47, v143, v71 :: v_dual_mul_f32 v49, v145, v73
	v_dual_fma_f32 v45, v140, v68, -v45 :: v_dual_add_f32 v7, 0, v7
	s_delay_alu instid0(VALU_DEP_3) | instskip(SKIP_1) | instid1(VALU_DEP_3)
	v_dual_add_f32 v43, 0, v43 :: v_dual_mul_f32 v57, v153, v81
	v_dual_fmac_f32 v11, v143, v70 :: v_dual_fmac_f32 v13, v145, v72
	v_dual_fma_f32 v47, v142, v70, -v47 :: v_dual_add_f32 v7, v7, v9
	s_delay_alu instid0(VALU_DEP_3) | instskip(SKIP_2) | instid1(VALU_DEP_4)
	v_dual_add_f32 v9, v43, v45 :: v_dual_fma_f32 v45, v144, v72, -v49
	v_dual_mul_f32 v15, v146, v75 :: v_dual_mul_f32 v17, v148, v77
	v_dual_mul_f32 v51, v147, v75 :: v_dual_mul_f32 v53, v149, v77
	v_add_f32_e32 v7, v7, v11
	s_delay_alu instid0(VALU_DEP_3) | instskip(NEXT) | instid1(VALU_DEP_3)
	v_dual_add_f32 v9, v9, v47 :: v_dual_fmac_f32 v15, v147, v74
	v_fma_f32 v47, v146, v74, -v51
	v_dual_mul_f32 v19, v150, v79 :: v_dual_mul_f32 v21, v152, v81
	s_delay_alu instid0(VALU_DEP_4) | instskip(SKIP_2) | instid1(VALU_DEP_2)
	v_dual_add_f32 v7, v7, v13 :: v_dual_fmac_f32 v17, v149, v76
	s_wait_loadcnt_dscnt 0x904
	v_dual_add_f32 v9, v9, v45 :: v_dual_mul_f32 v13, v159, v87
	v_dual_fma_f32 v45, v148, v76, -v53 :: v_dual_add_f32 v7, v7, v15
	v_mul_f32_e32 v15, v161, v89
	s_delay_alu instid0(VALU_DEP_3) | instskip(NEXT) | instid1(VALU_DEP_3)
	v_dual_add_f32 v9, v9, v47 :: v_dual_fmac_f32 v19, v151, v78
	v_dual_fma_f32 v47, v150, v78, -v55 :: v_dual_add_f32 v7, v7, v17
	v_fmac_f32_e32 v21, v153, v80
	s_wait_loadcnt_dscnt 0x803
	s_delay_alu instid0(VALU_DEP_3) | instskip(SKIP_3) | instid1(VALU_DEP_3)
	v_dual_add_f32 v9, v9, v45 :: v_dual_mul_f32 v17, v163, v91
	v_dual_mul_f32 v23, v154, v83 :: v_dual_mul_f32 v25, v156, v85
	v_dual_mul_f32 v43, v155, v83 :: v_dual_mul_f32 v11, v157, v85
	v_dual_fma_f32 v45, v152, v80, -v57 :: v_dual_add_f32 v7, v7, v19
	v_dual_add_f32 v9, v9, v47 :: v_dual_fmac_f32 v23, v155, v82
	s_delay_alu instid0(VALU_DEP_3) | instskip(NEXT) | instid1(VALU_DEP_3)
	v_dual_mul_f32 v19, v165, v93 :: v_dual_fma_f32 v43, v154, v82, -v43
	v_dual_add_f32 v7, v7, v21 :: v_dual_fmac_f32 v25, v157, v84
	s_wait_loadcnt_dscnt 0x702
	s_delay_alu instid0(VALU_DEP_3) | instskip(SKIP_1) | instid1(VALU_DEP_3)
	v_dual_add_f32 v9, v9, v45 :: v_dual_mul_f32 v21, v167, v95
	v_dual_mul_f32 v27, v158, v87 :: v_dual_mul_f32 v29, v160, v89
	v_dual_fma_f32 v11, v156, v84, -v11 :: v_dual_add_f32 v7, v7, v23
	s_delay_alu instid0(VALU_DEP_2) | instskip(SKIP_1) | instid1(VALU_DEP_2)
	v_dual_add_f32 v9, v9, v43 :: v_dual_fmac_f32 v27, v159, v86
	v_dual_mul_f32 v23, v169, v97 :: v_dual_fma_f32 v13, v158, v86, -v13
	v_dual_add_f32 v7, v7, v25 :: v_dual_add_f32 v9, v9, v11
	v_dual_mul_f32 v31, v162, v91 :: v_dual_mul_f32 v33, v164, v93
	s_wait_loadcnt_dscnt 0x601
	v_dual_mul_f32 v11, v171, v99 :: v_dual_fmac_f32 v29, v161, v88
	s_delay_alu instid0(VALU_DEP_3) | instskip(NEXT) | instid1(VALU_DEP_3)
	v_dual_fma_f32 v15, v160, v88, -v15 :: v_dual_add_f32 v7, v7, v27
	v_dual_add_f32 v9, v9, v13 :: v_dual_fmac_f32 v31, v163, v90
	v_dual_mul_f32 v13, v173, v101 :: v_dual_fma_f32 v17, v162, v90, -v17
	s_delay_alu instid0(VALU_DEP_2) | instskip(SKIP_3) | instid1(VALU_DEP_3)
	v_dual_add_f32 v7, v7, v29 :: v_dual_add_f32 v9, v9, v15
	v_dual_mul_f32 v35, v166, v95 :: v_dual_mul_f32 v37, v168, v97
	s_wait_loadcnt_dscnt 0x500
	v_dual_mul_f32 v15, v175, v103 :: v_dual_fmac_f32 v33, v165, v92
	v_dual_fma_f32 v19, v164, v92, -v19 :: v_dual_add_f32 v7, v7, v31
	s_delay_alu instid0(VALU_DEP_3) | instskip(SKIP_1) | instid1(VALU_DEP_2)
	v_dual_add_f32 v9, v9, v17 :: v_dual_fmac_f32 v35, v167, v94
	v_dual_mul_f32 v17, v177, v105 :: v_dual_fma_f32 v21, v166, v94, -v21
	v_dual_add_f32 v7, v7, v33 :: v_dual_add_f32 v9, v9, v19
	v_dual_mul_f32 v39, v170, v99 :: v_dual_mul_f32 v41, v172, v101
	v_dual_fmac_f32 v37, v169, v96 :: v_dual_fma_f32 v19, v168, v96, -v23
	s_delay_alu instid0(VALU_DEP_3) | instskip(SKIP_1) | instid1(VALU_DEP_3)
	v_dual_add_f32 v7, v7, v35 :: v_dual_add_f32 v9, v9, v21
	s_wait_loadcnt 0x4
	v_dual_mov_b32 v68, v109 :: v_dual_fmac_f32 v39, v171, v98
	s_delay_alu instid0(VALU_DEP_2) | instskip(NEXT) | instid1(VALU_DEP_3)
	v_dual_fma_f32 v11, v170, v98, -v11 :: v_dual_add_f32 v7, v7, v37
	v_dual_add_f32 v9, v9, v19 :: v_dual_fma_f32 v13, v172, v100, -v13
	v_dual_mul_f32 v189, v174, v103 :: v_dual_mul_f32 v191, v176, v105
	s_delay_alu instid0(VALU_DEP_3) | instskip(NEXT) | instid1(VALU_DEP_2)
	v_dual_fmac_f32 v41, v173, v100 :: v_dual_add_f32 v7, v7, v39
	v_dual_add_f32 v9, v9, v11 :: v_dual_fmac_f32 v189, v175, v102
	v_pk_mul_f32 v[66:67], v[122:123], v[106:107] op_sel:[1,1] op_sel_hi:[0,1]
	s_wait_loadcnt 0x3
	v_dual_mov_b32 v72, v113 :: v_dual_fma_f32 v188, v174, v102, -v15
	v_dual_add_f32 v75, v7, v41 :: v_dual_fmac_f32 v191, v177, v104
	v_dual_add_f32 v74, v9, v13 :: v_dual_fma_f32 v190, v176, v104, -v17
	v_pk_fma_f32 v[76:77], v[122:123], v[106:107], v[66:67] op_sel_hi:[1,0,1]
	v_pk_mul_f32 v[68:69], v[180:181], v[68:69] op_sel_hi:[1,0]
	v_pk_fma_f32 v[66:67], v[122:123], v[106:107], v[66:67] neg_lo:[0,0,1] neg_hi:[0,0,1]
	s_delay_alu instid0(VALU_DEP_4)
	v_pk_add_f32 v[74:75], v[74:75], v[188:189]
	v_pk_mul_f32 v[70:71], v[126:127], v[110:111] op_sel:[1,1] op_sel_hi:[0,1]
	v_mov_b32_e32 v67, v77
	v_pk_fma_f32 v[76:77], v[124:125], v[108:109], v[68:69] op_sel_hi:[1,0,1]
	v_pk_fma_f32 v[68:69], v[124:125], v[108:109], v[68:69] neg_lo:[0,0,1] neg_hi:[0,0,1]
	v_pk_add_f32 v[74:75], v[74:75], v[190:191]
	v_pk_fma_f32 v[80:81], v[126:127], v[110:111], v[70:71] op_sel_hi:[1,0,1]
	v_pk_mul_f32 v[72:73], v[182:183], v[72:73] op_sel_hi:[1,0]
	v_mov_b32_e32 v69, v77
	s_wait_loadcnt 0x2
	v_pk_mul_f32 v[78:79], v[130:131], v[114:115] op_sel:[1,1] op_sel_hi:[0,1]
	v_pk_add_f32 v[66:67], v[74:75], v[66:67]
	v_mov_b32_e32 v74, v117
	v_pk_fma_f32 v[70:71], v[126:127], v[110:111], v[70:71] neg_lo:[0,0,1] neg_hi:[0,0,1]
	v_mov_b32_e32 v71, v81
	v_pk_fma_f32 v[76:77], v[128:129], v[112:113], v[72:73] op_sel_hi:[1,0,1]
	v_pk_add_f32 v[66:67], v[66:67], v[68:69]
	v_pk_fma_f32 v[68:69], v[130:131], v[114:115], v[78:79] op_sel_hi:[1,0,1]
	v_pk_mul_f32 v[74:75], v[184:185], v[74:75] op_sel_hi:[1,0]
	v_pk_fma_f32 v[72:73], v[128:129], v[112:113], v[72:73] neg_lo:[0,0,1] neg_hi:[0,0,1]
	v_mov_b32_e32 v73, v77
	v_pk_add_f32 v[66:67], v[66:67], v[70:71]
	v_pk_fma_f32 v[76:77], v[130:131], v[114:115], v[78:79] neg_lo:[0,0,1] neg_hi:[0,0,1]
	v_mov_b32_e32 v77, v69
	v_pk_fma_f32 v[68:69], v[132:133], v[116:117], v[74:75] op_sel_hi:[1,0,1]
	s_wait_loadcnt 0x1
	v_pk_mul_f32 v[70:71], v[134:135], v[118:119] op_sel:[1,1] op_sel_hi:[0,1]
	v_pk_add_f32 v[66:67], v[66:67], v[72:73]
	v_mov_b32_e32 v68, v121
	v_pk_fma_f32 v[74:75], v[132:133], v[116:117], v[74:75] neg_lo:[0,0,1] neg_hi:[0,0,1]
	v_mov_b32_e32 v75, v69
	v_pk_fma_f32 v[72:73], v[134:135], v[118:119], v[70:71] op_sel_hi:[1,0,1]
	v_pk_add_f32 v[66:67], v[66:67], v[76:77]
	v_pk_mul_f32 v[68:69], v[186:187], v[68:69] op_sel_hi:[1,0]
	v_pk_fma_f32 v[70:71], v[134:135], v[118:119], v[70:71] neg_lo:[0,0,1] neg_hi:[0,0,1]
	s_delay_alu instid0(VALU_DEP_4) | instskip(NEXT) | instid1(VALU_DEP_4)
	v_mov_b32_e32 v71, v73
	v_pk_add_f32 v[66:67], v[66:67], v[74:75]
	s_delay_alu instid0(VALU_DEP_4) | instskip(SKIP_1) | instid1(VALU_DEP_2)
	v_pk_fma_f32 v[72:73], v[136:137], v[120:121], v[68:69] op_sel_hi:[1,0,1]
	v_pk_fma_f32 v[68:69], v[136:137], v[120:121], v[68:69] neg_lo:[0,0,1] neg_hi:[0,0,1]
	v_mov_b32_e32 v69, v73
	s_delay_alu instid0(VALU_DEP_4) | instskip(NEXT) | instid1(VALU_DEP_1)
	v_pk_add_f32 v[66:67], v[66:67], v[70:71]
	v_pk_add_f32 v[66:67], v[66:67], v[68:69]
	s_wait_loadcnt 0x0
	s_delay_alu instid0(VALU_DEP_1)
	v_pk_add_f32 v[66:67], v[178:179], v[66:67] neg_lo:[0,1] neg_hi:[0,1]
	scratch_store_b64 off, v[66:67], off offset:24
	s_wait_xcnt 0x0
	v_cmpx_lt_u32_e32 2, v0
	s_cbranch_execz .LBB95_201
; %bb.200:
	scratch_load_b64 v[66:67], off, off offset:16
	v_mov_b64_e32 v[68:69], 0
	scratch_store_b64 off, v[68:69], off offset:16
	s_wait_loadcnt 0x0
	ds_store_b64 v1, v[66:67]
.LBB95_201:
	s_wait_xcnt 0x0
	s_or_b32 exec_lo, exec_lo, s0
	s_wait_storecnt_dscnt 0x0
	s_barrier_signal -1
	s_barrier_wait -1
	s_clause 0xf
	scratch_load_b128 v[66:69], off, off offset:24
	scratch_load_b128 v[70:73], off, off offset:40
	scratch_load_b128 v[74:77], off, off offset:56
	scratch_load_b128 v[78:81], off, off offset:72
	scratch_load_b128 v[82:85], off, off offset:88
	scratch_load_b128 v[86:89], off, off offset:104
	scratch_load_b128 v[90:93], off, off offset:120
	scratch_load_b128 v[94:97], off, off offset:136
	scratch_load_b128 v[98:101], off, off offset:152
	scratch_load_b128 v[102:105], off, off offset:168
	scratch_load_b128 v[106:109], off, off offset:184
	scratch_load_b128 v[110:113], off, off offset:200
	scratch_load_b128 v[114:117], off, off offset:216
	scratch_load_b128 v[118:121], off, off offset:232
	scratch_load_b64 v[178:179], off, off offset:248
	scratch_load_b64 v[180:181], off, off offset:16
	v_mov_b32_e32 v45, 0
	ds_load_2addr_b64 v[122:125], v45 offset0:55 offset1:56
	ds_load_2addr_b64 v[126:129], v45 offset0:57 offset1:58
	;; [unrolled: 1-line block ×14, first 2 shown]
	ds_load_b64 v[182:183], v45 offset:504
	s_mov_b32 s0, exec_lo
	s_wait_dscnt 0xe
	v_dual_mov_b32 v184, v125 :: v_dual_mov_b32 v185, v124
	s_wait_dscnt 0xb
	v_dual_mov_b32 v186, v129 :: v_dual_mov_b32 v191, v136
	v_dual_mov_b32 v187, v128 :: v_dual_mov_b32 v188, v133
	;; [unrolled: 1-line block ×3, first 2 shown]
	s_wait_loadcnt_dscnt 0xf0a
	v_dual_mul_f32 v7, v138, v67 :: v_dual_mul_f32 v47, v139, v67
	v_dual_mul_f32 v49, v141, v69 :: v_dual_mul_f32 v9, v140, v69
	s_wait_loadcnt_dscnt 0xe09
	v_mul_f32_e32 v11, v142, v71
	s_wait_loadcnt_dscnt 0xc07
	v_dual_mul_f32 v59, v151, v79 :: v_dual_fma_f32 v47, v138, v66, -v47
	v_dual_fmac_f32 v7, v139, v66 :: v_dual_mul_f32 v61, v153, v81
	v_dual_mul_f32 v51, v143, v71 :: v_dual_mul_f32 v53, v145, v73
	s_delay_alu instid0(VALU_DEP_2) | instskip(NEXT) | instid1(VALU_DEP_4)
	v_dual_fmac_f32 v9, v141, v68 :: v_dual_add_f32 v7, 0, v7
	v_dual_fma_f32 v49, v140, v68, -v49 :: v_dual_add_f32 v47, 0, v47
	v_dual_mul_f32 v13, v144, v73 :: v_dual_mul_f32 v15, v146, v75
	s_wait_loadcnt_dscnt 0xb06
	v_dual_mul_f32 v63, v155, v83 :: v_dual_fma_f32 v51, v142, v70, -v51
	v_fmac_f32_e32 v11, v143, v70
	s_delay_alu instid0(VALU_DEP_3) | instskip(SKIP_2) | instid1(VALU_DEP_3)
	v_dual_add_f32 v7, v7, v9 :: v_dual_fmac_f32 v13, v145, v72
	v_dual_add_f32 v9, v47, v49 :: v_dual_fma_f32 v49, v144, v72, -v53
	v_dual_mul_f32 v55, v147, v75 :: v_dual_mul_f32 v57, v149, v77
	v_dual_mul_f32 v47, v157, v85 :: v_dual_add_f32 v7, v7, v11
	s_delay_alu instid0(VALU_DEP_3) | instskip(SKIP_2) | instid1(VALU_DEP_2)
	v_dual_add_f32 v9, v9, v51 :: v_dual_fmac_f32 v15, v147, v74
	v_dual_mul_f32 v17, v148, v77 :: v_dual_mul_f32 v19, v150, v79
	s_wait_loadcnt_dscnt 0xa05
	v_dual_mul_f32 v11, v159, v87 :: v_dual_add_f32 v9, v9, v49
	v_dual_fma_f32 v51, v146, v74, -v55 :: v_dual_add_f32 v7, v7, v13
	s_delay_alu instid0(VALU_DEP_3) | instskip(SKIP_1) | instid1(VALU_DEP_3)
	v_fmac_f32_e32 v17, v149, v76
	v_dual_mul_f32 v13, v161, v89 :: v_dual_fma_f32 v49, v148, v76, -v57
	v_dual_add_f32 v9, v9, v51 :: v_dual_fmac_f32 v19, v151, v78
	s_delay_alu instid0(VALU_DEP_4) | instskip(SKIP_2) | instid1(VALU_DEP_3)
	v_dual_add_f32 v7, v7, v15 :: v_dual_fma_f32 v51, v150, v78, -v59
	v_dual_mul_f32 v21, v152, v81 :: v_dual_mul_f32 v23, v154, v83
	s_wait_loadcnt_dscnt 0x904
	v_dual_mul_f32 v15, v163, v91 :: v_dual_add_f32 v9, v9, v49
	s_delay_alu instid0(VALU_DEP_2) | instskip(SKIP_1) | instid1(VALU_DEP_3)
	v_dual_add_f32 v7, v7, v17 :: v_dual_fmac_f32 v21, v153, v80
	v_dual_mul_f32 v17, v165, v93 :: v_dual_fma_f32 v49, v152, v80, -v61
	v_dual_add_f32 v9, v9, v51 :: v_dual_fmac_f32 v23, v155, v82
	s_delay_alu instid0(VALU_DEP_3) | instskip(SKIP_2) | instid1(VALU_DEP_3)
	v_dual_add_f32 v7, v7, v19 :: v_dual_fma_f32 v51, v154, v82, -v63
	v_dual_mul_f32 v25, v156, v85 :: v_dual_mul_f32 v27, v158, v87
	s_wait_loadcnt_dscnt 0x803
	v_dual_mul_f32 v19, v167, v95 :: v_dual_add_f32 v9, v9, v49
	s_delay_alu instid0(VALU_DEP_2) | instskip(SKIP_1) | instid1(VALU_DEP_3)
	v_dual_add_f32 v7, v7, v21 :: v_dual_fmac_f32 v25, v157, v84
	v_dual_mul_f32 v21, v169, v97 :: v_dual_fma_f32 v47, v156, v84, -v47
	v_dual_add_f32 v9, v9, v51 :: v_dual_fmac_f32 v27, v159, v86
	s_delay_alu instid0(VALU_DEP_3) | instskip(SKIP_1) | instid1(VALU_DEP_2)
	v_dual_add_f32 v7, v7, v23 :: v_dual_fma_f32 v11, v158, v86, -v11
	v_dual_mul_f32 v29, v160, v89 :: v_dual_mul_f32 v31, v162, v91
	v_dual_add_f32 v9, v9, v47 :: v_dual_add_f32 v7, v7, v25
	v_fma_f32 v13, v160, v88, -v13
	s_delay_alu instid0(VALU_DEP_3) | instskip(SKIP_1) | instid1(VALU_DEP_4)
	v_dual_fmac_f32 v29, v161, v88 :: v_dual_mul_f32 v33, v164, v93
	v_mul_f32_e32 v35, v166, v95
	v_add_f32_e32 v7, v7, v27
	v_add_f32_e32 v9, v9, v11
	s_wait_loadcnt_dscnt 0x601
	v_dual_mul_f32 v11, v175, v103 :: v_dual_fma_f32 v15, v162, v90, -v15
	v_fmac_f32_e32 v31, v163, v90
	v_dual_add_f32 v7, v7, v29 :: v_dual_fmac_f32 v33, v165, v92
	v_add_f32_e32 v9, v9, v13
	v_dual_mul_f32 v13, v177, v105 :: v_dual_fma_f32 v17, v164, v92, -v17
	s_delay_alu instid0(VALU_DEP_3) | instskip(NEXT) | instid1(VALU_DEP_3)
	v_dual_add_f32 v7, v7, v31 :: v_dual_fma_f32 v19, v166, v94, -v19
	v_dual_add_f32 v9, v9, v15 :: v_dual_fmac_f32 v35, v167, v94
	v_dual_mul_f32 v37, v168, v97 :: v_dual_mul_f32 v39, v170, v99
	s_wait_loadcnt 0x5
	s_delay_alu instid0(VALU_DEP_2) | instskip(SKIP_2) | instid1(VALU_DEP_2)
	v_dual_mul_f32 v15, v123, v107 :: v_dual_add_f32 v9, v9, v17
	v_dual_add_f32 v7, v7, v33 :: v_dual_mov_b32 v66, v109
	v_dual_mul_f32 v23, v171, v99 :: v_dual_mul_f32 v25, v173, v101
	v_dual_fmac_f32 v37, v169, v96 :: v_dual_add_f32 v7, v7, v35
	s_delay_alu instid0(VALU_DEP_4) | instskip(SKIP_2) | instid1(VALU_DEP_4)
	v_dual_fma_f32 v17, v168, v96, -v21 :: v_dual_add_f32 v9, v9, v19
	v_dual_mul_f32 v41, v172, v101 :: v_dual_mul_f32 v43, v174, v103
	v_fmac_f32_e32 v39, v171, v98
	v_dual_fma_f32 v19, v170, v98, -v23 :: v_dual_add_f32 v7, v7, v37
	s_delay_alu instid0(VALU_DEP_4) | instskip(SKIP_2) | instid1(VALU_DEP_3)
	v_add_f32_e32 v9, v9, v17
	s_wait_loadcnt 0x4
	v_dual_mov_b32 v70, v113 :: v_dual_fma_f32 v17, v172, v100, -v25
	v_dual_fmac_f32 v41, v173, v100 :: v_dual_add_f32 v7, v7, v39
	s_delay_alu instid0(VALU_DEP_3) | instskip(SKIP_1) | instid1(VALU_DEP_3)
	v_dual_add_f32 v9, v9, v19 :: v_dual_fmac_f32 v43, v175, v102
	v_dual_mul_f32 v193, v176, v105 :: v_dual_mul_f32 v195, v122, v107
	v_dual_fma_f32 v11, v174, v102, -v11 :: v_dual_add_f32 v7, v7, v41
	s_delay_alu instid0(VALU_DEP_3) | instskip(NEXT) | instid1(VALU_DEP_3)
	v_dual_add_f32 v9, v9, v17 :: v_dual_fma_f32 v192, v176, v104, -v13
	v_fmac_f32_e32 v193, v177, v104
	v_pk_mul_f32 v[66:67], v[184:185], v[66:67] op_sel_hi:[1,0]
	s_delay_alu instid0(VALU_DEP_4) | instskip(NEXT) | instid1(VALU_DEP_4)
	v_add_f32_e32 v75, v7, v43
	v_dual_add_f32 v74, v9, v11 :: v_dual_fmac_f32 v195, v123, v106
	v_pk_mul_f32 v[68:69], v[126:127], v[110:111] op_sel:[1,1] op_sel_hi:[0,1]
	s_wait_loadcnt 0x3
	v_dual_mov_b32 v76, v117 :: v_dual_fma_f32 v194, v122, v106, -v15
	v_pk_fma_f32 v[78:79], v[124:125], v[108:109], v[66:67] op_sel_hi:[1,0,1]
	v_pk_add_f32 v[74:75], v[74:75], v[192:193]
	v_pk_fma_f32 v[66:67], v[124:125], v[108:109], v[66:67] neg_lo:[0,0,1] neg_hi:[0,0,1]
	v_pk_fma_f32 v[80:81], v[126:127], v[110:111], v[68:69] op_sel_hi:[1,0,1]
	v_pk_mul_f32 v[70:71], v[186:187], v[70:71] op_sel_hi:[1,0]
	v_mov_b32_e32 v67, v79
	v_pk_add_f32 v[74:75], v[74:75], v[194:195]
	v_pk_fma_f32 v[68:69], v[126:127], v[110:111], v[68:69] neg_lo:[0,0,1] neg_hi:[0,0,1]
	v_pk_mul_f32 v[72:73], v[130:131], v[114:115] op_sel:[1,1] op_sel_hi:[0,1]
	v_mov_b32_e32 v69, v81
	v_pk_fma_f32 v[80:81], v[128:129], v[112:113], v[70:71] op_sel_hi:[1,0,1]
	v_pk_add_f32 v[66:67], v[74:75], v[66:67]
	v_pk_fma_f32 v[70:71], v[128:129], v[112:113], v[70:71] neg_lo:[0,0,1] neg_hi:[0,0,1]
	v_pk_fma_f32 v[74:75], v[130:131], v[114:115], v[72:73] op_sel_hi:[1,0,1]
	v_pk_mul_f32 v[76:77], v[188:189], v[76:77] op_sel_hi:[1,0]
	v_mov_b32_e32 v71, v81
	v_pk_add_f32 v[66:67], v[66:67], v[68:69]
	v_pk_fma_f32 v[72:73], v[130:131], v[114:115], v[72:73] neg_lo:[0,0,1] neg_hi:[0,0,1]
	s_wait_loadcnt 0x2
	v_pk_mul_f32 v[78:79], v[134:135], v[118:119] op_sel:[1,1] op_sel_hi:[0,1]
	v_dual_mov_b32 v68, v121 :: v_dual_mov_b32 v73, v75
	v_pk_fma_f32 v[74:75], v[132:133], v[116:117], v[76:77] op_sel_hi:[1,0,1]
	v_pk_add_f32 v[66:67], v[66:67], v[70:71]
	v_pk_fma_f32 v[76:77], v[132:133], v[116:117], v[76:77] neg_lo:[0,0,1] neg_hi:[0,0,1]
	v_pk_fma_f32 v[70:71], v[134:135], v[118:119], v[78:79] op_sel_hi:[1,0,1]
	v_pk_mul_f32 v[68:69], v[190:191], v[68:69] op_sel_hi:[1,0]
	v_mov_b32_e32 v77, v75
	v_pk_add_f32 v[66:67], v[66:67], v[72:73]
	v_pk_fma_f32 v[72:73], v[134:135], v[118:119], v[78:79] neg_lo:[0,0,1] neg_hi:[0,0,1]
	v_mov_b32_e32 v73, v71
	v_pk_fma_f32 v[70:71], v[136:137], v[120:121], v[68:69] op_sel_hi:[1,0,1]
	s_wait_loadcnt_dscnt 0x100
	v_pk_mul_f32 v[74:75], v[182:183], v[178:179] op_sel:[1,1] op_sel_hi:[0,1]
	v_pk_add_f32 v[66:67], v[66:67], v[76:77]
	v_pk_fma_f32 v[68:69], v[136:137], v[120:121], v[68:69] neg_lo:[0,0,1] neg_hi:[0,0,1]
	v_mov_b32_e32 v69, v71
	s_delay_alu instid0(VALU_DEP_4) | instskip(NEXT) | instid1(VALU_DEP_4)
	v_pk_fma_f32 v[70:71], v[182:183], v[178:179], v[74:75] op_sel_hi:[1,0,1]
	v_pk_add_f32 v[66:67], v[66:67], v[72:73]
	v_pk_fma_f32 v[72:73], v[182:183], v[178:179], v[74:75] neg_lo:[0,0,1] neg_hi:[0,0,1]
	s_delay_alu instid0(VALU_DEP_3) | instskip(NEXT) | instid1(VALU_DEP_3)
	v_mov_b32_e32 v73, v71
	v_pk_add_f32 v[66:67], v[66:67], v[68:69]
	s_delay_alu instid0(VALU_DEP_1) | instskip(SKIP_1) | instid1(VALU_DEP_1)
	v_pk_add_f32 v[66:67], v[66:67], v[72:73]
	s_wait_loadcnt 0x0
	v_pk_add_f32 v[66:67], v[180:181], v[66:67] neg_lo:[0,1] neg_hi:[0,1]
	scratch_store_b64 off, v[66:67], off offset:16
	s_wait_xcnt 0x0
	v_cmpx_lt_u32_e32 1, v0
	s_cbranch_execz .LBB95_203
; %bb.202:
	scratch_load_b64 v[66:67], off, off offset:8
	v_mov_b64_e32 v[68:69], 0
	scratch_store_b64 off, v[68:69], off offset:8
	s_wait_loadcnt 0x0
	ds_store_b64 v1, v[66:67]
.LBB95_203:
	s_wait_xcnt 0x0
	s_or_b32 exec_lo, exec_lo, s0
	s_wait_storecnt_dscnt 0x0
	s_barrier_signal -1
	s_barrier_wait -1
	s_clause 0xf
	scratch_load_b128 v[66:69], off, off offset:16
	scratch_load_b128 v[70:73], off, off offset:32
	;; [unrolled: 1-line block ×15, first 2 shown]
	scratch_load_b64 v[186:187], off, off offset:8
	ds_load_b128 v[126:129], v45 offset:272
	ds_load_b128 v[130:133], v45 offset:432
	;; [unrolled: 1-line block ×15, first 2 shown]
	v_ashrrev_i32_e32 v43, 31, v42
	v_dual_ashrrev_i32 v7, 31, v6 :: v_dual_ashrrev_i32 v9, 31, v8
	v_dual_ashrrev_i32 v11, 31, v10 :: v_dual_ashrrev_i32 v13, 31, v12
	;; [unrolled: 1-line block ×7, first 2 shown]
	s_wait_dscnt 0xb
	v_dual_mov_b32 v188, v137 :: v_dual_mov_b32 v195, v148
	s_wait_dscnt 0xa
	v_dual_mov_b32 v189, v136 :: v_dual_mov_b32 v190, v141
	;; [unrolled: 2-line block ×3, first 2 shown]
	v_dual_mov_b32 v193, v144 :: v_dual_mov_b32 v194, v149
	v_dual_ashrrev_i32 v35, 31, v34 :: v_dual_ashrrev_i32 v37, 31, v36
	v_dual_ashrrev_i32 v39, 31, v38 :: v_dual_ashrrev_i32 v41, 31, v40
	s_mov_b32 s0, exec_lo
	s_wait_loadcnt 0xf
	v_dual_mul_f32 v45, v126, v67 :: v_dual_mul_f32 v47, v128, v69
	v_dual_mul_f32 v49, v127, v67 :: v_dual_mul_f32 v51, v129, v69
	s_wait_loadcnt_dscnt 0xe08
	s_delay_alu instid0(VALU_DEP_2) | instskip(SKIP_1) | instid1(VALU_DEP_3)
	v_dual_mul_f32 v53, v150, v71 :: v_dual_fmac_f32 v45, v127, v66
	v_dual_mul_f32 v55, v152, v73 :: v_dual_mul_f32 v57, v151, v71
	v_dual_fma_f32 v49, v126, v66, -v49 :: v_dual_fmac_f32 v47, v129, v68
	s_wait_loadcnt_dscnt 0x500
	v_dual_mul_f32 v206, v184, v105 :: v_dual_mul_f32 v67, v130, v107
	v_dual_fma_f32 v51, v128, v68, -v51 :: v_dual_add_f32 v45, 0, v45
	s_delay_alu instid0(VALU_DEP_3) | instskip(SKIP_2) | instid1(VALU_DEP_4)
	v_dual_fmac_f32 v53, v151, v70 :: v_dual_add_f32 v49, 0, v49
	v_dual_fma_f32 v57, v150, v70, -v57 :: v_dual_mul_f32 v59, v153, v73
	v_dual_mul_f32 v61, v154, v75 :: v_dual_mul_f32 v69, v132, v109
	v_add_f32_e32 v45, v45, v47
	s_delay_alu instid0(VALU_DEP_3) | instskip(SKIP_2) | instid1(VALU_DEP_4)
	v_dual_add_f32 v47, v49, v51 :: v_dual_fma_f32 v51, v152, v72, -v59
	v_dual_mul_f32 v63, v156, v77 :: v_dual_mul_f32 v65, v155, v75
	v_dual_mul_f32 v49, v163, v83 :: v_dual_fmac_f32 v55, v153, v72
	v_dual_add_f32 v45, v45, v53 :: v_dual_fmac_f32 v61, v155, v74
	s_delay_alu instid0(VALU_DEP_3) | instskip(SKIP_1) | instid1(VALU_DEP_2)
	v_dual_add_f32 v47, v47, v57 :: v_dual_fma_f32 v57, v154, v74, -v65
	v_dual_mul_f32 v71, v157, v77 :: v_dual_mul_f32 v73, v158, v79
	v_dual_mul_f32 v53, v165, v85 :: v_dual_add_f32 v47, v47, v51
	s_delay_alu instid0(VALU_DEP_2) | instskip(SKIP_2) | instid1(VALU_DEP_3)
	v_dual_add_f32 v45, v45, v55 :: v_dual_fma_f32 v55, v156, v76, -v71
	v_dual_mul_f32 v204, v180, v101 :: v_dual_mul_f32 v79, v159, v79
	v_dual_mul_f32 v51, v167, v87 :: v_dual_fmac_f32 v63, v157, v76
	v_dual_add_f32 v45, v45, v61 :: v_dual_fmac_f32 v73, v159, v78
	s_delay_alu instid0(VALU_DEP_3) | instskip(SKIP_2) | instid1(VALU_DEP_3)
	v_dual_add_f32 v47, v47, v57 :: v_dual_fma_f32 v59, v158, v78, -v79
	v_dual_mul_f32 v75, v160, v81 :: v_dual_mul_f32 v77, v162, v83
	v_dual_mul_f32 v81, v161, v81 :: v_dual_mul_f32 v205, v182, v103
	v_dual_mul_f32 v57, v169, v89 :: v_dual_add_f32 v47, v47, v55
	s_delay_alu instid0(VALU_DEP_2) | instskip(NEXT) | instid1(VALU_DEP_4)
	v_dual_add_f32 v45, v45, v63 :: v_dual_fma_f32 v61, v160, v80, -v81
	v_dual_mul_f32 v55, v171, v91 :: v_dual_fmac_f32 v75, v161, v80
	s_delay_alu instid0(VALU_DEP_2) | instskip(SKIP_2) | instid1(VALU_DEP_3)
	v_dual_add_f32 v47, v47, v59 :: v_dual_add_f32 v45, v45, v73
	v_dual_mul_f32 v196, v164, v85 :: v_dual_mul_f32 v197, v166, v87
	v_dual_mul_f32 v59, v173, v93 :: v_dual_fmac_f32 v77, v163, v82
	v_dual_fma_f32 v49, v162, v82, -v49 :: v_dual_add_f32 v45, v45, v75
	s_delay_alu instid0(VALU_DEP_3) | instskip(SKIP_1) | instid1(VALU_DEP_3)
	v_dual_add_f32 v47, v47, v61 :: v_dual_fmac_f32 v196, v165, v84
	v_dual_mul_f32 v61, v175, v95 :: v_dual_fma_f32 v53, v164, v84, -v53
	v_dual_add_f32 v45, v45, v77 :: v_dual_fmac_f32 v197, v167, v86
	s_delay_alu instid0(VALU_DEP_3) | instskip(SKIP_1) | instid1(VALU_DEP_2)
	v_dual_add_f32 v47, v47, v49 :: v_dual_fma_f32 v51, v166, v86, -v51
	v_dual_mul_f32 v198, v168, v89 :: v_dual_mul_f32 v199, v170, v91
	v_dual_add_f32 v45, v45, v196 :: v_dual_add_f32 v47, v47, v53
	s_delay_alu instid0(VALU_DEP_2) | instskip(SKIP_1) | instid1(VALU_DEP_3)
	v_dual_fma_f32 v57, v168, v88, -v57 :: v_dual_fmac_f32 v198, v169, v88
	v_dual_mul_f32 v200, v172, v93 :: v_dual_mul_f32 v201, v174, v95
	v_dual_add_f32 v45, v45, v197 :: v_dual_add_f32 v47, v47, v51
	v_dual_mul_f32 v51, v181, v101 :: v_dual_fmac_f32 v199, v171, v90
	v_fma_f32 v55, v170, v90, -v55
	s_delay_alu instid0(VALU_DEP_3) | instskip(SKIP_1) | instid1(VALU_DEP_2)
	v_dual_add_f32 v45, v45, v198 :: v_dual_add_f32 v47, v47, v57
	v_dual_mul_f32 v57, v183, v103 :: v_dual_fmac_f32 v200, v173, v92
	v_dual_fma_f32 v59, v172, v92, -v59 :: v_dual_add_f32 v45, v45, v199
	v_fmac_f32_e32 v201, v175, v94
	s_delay_alu instid0(VALU_DEP_4) | instskip(SKIP_3) | instid1(VALU_DEP_3)
	v_dual_add_f32 v47, v47, v55 :: v_dual_mul_f32 v55, v185, v105
	v_dual_mul_f32 v202, v176, v97 :: v_dual_mul_f32 v203, v178, v99
	v_dual_mul_f32 v49, v177, v97 :: v_dual_mul_f32 v53, v179, v99
	v_dual_fma_f32 v61, v174, v94, -v61 :: v_dual_add_f32 v45, v45, v200
	v_dual_add_f32 v47, v47, v59 :: v_dual_fmac_f32 v202, v177, v96
	s_delay_alu instid0(VALU_DEP_3) | instskip(NEXT) | instid1(VALU_DEP_3)
	v_dual_mul_f32 v59, v131, v107 :: v_dual_fma_f32 v49, v176, v96, -v49
	v_dual_add_f32 v45, v45, v201 :: v_dual_fmac_f32 v203, v179, v98
	s_delay_alu instid0(VALU_DEP_3) | instskip(SKIP_1) | instid1(VALU_DEP_3)
	v_dual_add_f32 v47, v47, v61 :: v_dual_fma_f32 v53, v178, v98, -v53
	v_mul_f32_e32 v61, v133, v109
	v_add_f32_e32 v45, v45, v202
	s_wait_loadcnt 0x4
	s_delay_alu instid0(VALU_DEP_3) | instskip(SKIP_1) | instid1(VALU_DEP_3)
	v_dual_mov_b32 v72, v113 :: v_dual_add_f32 v47, v47, v49
	v_dual_fmac_f32 v204, v181, v100 :: v_dual_fma_f32 v49, v180, v100, -v51
	v_dual_add_f32 v45, v45, v203 :: v_dual_fmac_f32 v205, v183, v102
	s_delay_alu instid0(VALU_DEP_3) | instskip(SKIP_1) | instid1(VALU_DEP_3)
	v_dual_add_f32 v47, v47, v53 :: v_dual_fma_f32 v51, v182, v102, -v57
	v_fmac_f32_e32 v206, v185, v104
	v_add_f32_e32 v45, v45, v204
	v_pk_mul_f32 v[70:71], v[134:135], v[110:111] op_sel:[1,1] op_sel_hi:[0,1]
	s_delay_alu instid0(VALU_DEP_4) | instskip(SKIP_2) | instid1(VALU_DEP_2)
	v_dual_add_f32 v47, v47, v49 :: v_dual_fma_f32 v49, v184, v104, -v55
	s_wait_loadcnt 0x3
	v_dual_mov_b32 v76, v117 :: v_dual_fmac_f32 v67, v131, v106
	v_dual_add_f32 v45, v45, v205 :: v_dual_add_f32 v47, v47, v51
	v_dual_fma_f32 v66, v130, v106, -v59 :: v_dual_fmac_f32 v69, v133, v108
	s_delay_alu instid0(VALU_DEP_2) | instskip(NEXT) | instid1(VALU_DEP_3)
	v_dual_fma_f32 v68, v132, v108, -v61 :: v_dual_add_f32 v79, v45, v206
	v_add_f32_e32 v78, v47, v49
	v_pk_fma_f32 v[80:81], v[134:135], v[110:111], v[70:71] op_sel_hi:[1,0,1]
	v_pk_mul_f32 v[72:73], v[188:189], v[72:73] op_sel_hi:[1,0]
	v_pk_fma_f32 v[70:71], v[134:135], v[110:111], v[70:71] neg_lo:[0,0,1] neg_hi:[0,0,1]
	v_pk_mul_f32 v[74:75], v[138:139], v[114:115] op_sel:[1,1] op_sel_hi:[0,1]
	v_pk_add_f32 v[66:67], v[78:79], v[66:67]
	v_mov_b32_e32 v71, v81
	v_pk_fma_f32 v[80:81], v[136:137], v[112:113], v[72:73] op_sel_hi:[1,0,1]
	v_pk_fma_f32 v[72:73], v[136:137], v[112:113], v[72:73] neg_lo:[0,0,1] neg_hi:[0,0,1]
	v_pk_mul_f32 v[76:77], v[190:191], v[76:77] op_sel_hi:[1,0]
	v_pk_add_f32 v[66:67], v[66:67], v[68:69]
	v_pk_fma_f32 v[68:69], v[138:139], v[114:115], v[74:75] op_sel_hi:[1,0,1]
	v_mov_b32_e32 v73, v81
	s_wait_loadcnt 0x2
	v_pk_mul_f32 v[78:79], v[142:143], v[118:119] op_sel:[1,1] op_sel_hi:[0,1]
	v_mov_b32_e32 v68, v121
	v_pk_add_f32 v[66:67], v[66:67], v[70:71]
	v_pk_fma_f32 v[70:71], v[138:139], v[114:115], v[74:75] neg_lo:[0,0,1] neg_hi:[0,0,1]
	v_mov_b32_e32 v71, v69
	v_pk_fma_f32 v[74:75], v[140:141], v[116:117], v[76:77] op_sel_hi:[1,0,1]
	v_pk_mul_f32 v[68:69], v[192:193], v[68:69] op_sel_hi:[1,0]
	v_pk_add_f32 v[66:67], v[66:67], v[72:73]
	v_pk_fma_f32 v[72:73], v[142:143], v[118:119], v[78:79] op_sel_hi:[1,0,1]
	v_pk_fma_f32 v[76:77], v[140:141], v[116:117], v[76:77] neg_lo:[0,0,1] neg_hi:[0,0,1]
	v_mov_b32_e32 v77, v75
	v_pk_fma_f32 v[74:75], v[142:143], v[118:119], v[78:79] neg_lo:[0,0,1] neg_hi:[0,0,1]
	v_pk_add_f32 v[66:67], v[66:67], v[70:71]
	v_mov_b32_e32 v75, v73
	v_pk_fma_f32 v[72:73], v[144:145], v[120:121], v[68:69] op_sel_hi:[1,0,1]
	s_wait_loadcnt 0x1
	v_pk_mul_f32 v[70:71], v[146:147], v[122:123] op_sel:[1,1] op_sel_hi:[0,1]
	v_mov_b32_e32 v72, v125
	v_pk_add_f32 v[66:67], v[66:67], v[76:77]
	v_pk_fma_f32 v[68:69], v[144:145], v[120:121], v[68:69] neg_lo:[0,0,1] neg_hi:[0,0,1]
	v_dual_mov_b32 v69, v73 :: v_dual_ashrrev_i32 v45, 31, v44
	v_pk_fma_f32 v[76:77], v[146:147], v[122:123], v[70:71] op_sel_hi:[1,0,1]
	s_delay_alu instid0(VALU_DEP_4) | instskip(SKIP_2) | instid1(VALU_DEP_4)
	v_pk_add_f32 v[66:67], v[66:67], v[74:75]
	v_pk_mul_f32 v[72:73], v[194:195], v[72:73] op_sel_hi:[1,0]
	v_pk_fma_f32 v[70:71], v[146:147], v[122:123], v[70:71] neg_lo:[0,0,1] neg_hi:[0,0,1]
	v_dual_ashrrev_i32 v47, 31, v46 :: v_dual_mov_b32 v71, v77
	s_delay_alu instid0(VALU_DEP_4) | instskip(NEXT) | instid1(VALU_DEP_4)
	v_pk_add_f32 v[66:67], v[66:67], v[68:69]
	v_pk_fma_f32 v[68:69], v[148:149], v[124:125], v[72:73] op_sel_hi:[1,0,1]
	v_pk_fma_f32 v[72:73], v[148:149], v[124:125], v[72:73] neg_lo:[0,0,1] neg_hi:[0,0,1]
	v_dual_ashrrev_i32 v49, 31, v48 :: v_dual_ashrrev_i32 v51, 31, v50
	v_ashrrev_i32_e32 v53, 31, v52
	v_pk_add_f32 v[66:67], v[66:67], v[70:71]
	v_dual_mov_b32 v73, v69 :: v_dual_ashrrev_i32 v55, 31, v54
	v_dual_ashrrev_i32 v57, 31, v56 :: v_dual_ashrrev_i32 v59, 31, v58
	v_ashrrev_i32_e32 v61, 31, v60
	s_delay_alu instid0(VALU_DEP_3) | instskip(SKIP_2) | instid1(VALU_DEP_2)
	v_pk_add_f32 v[66:67], v[66:67], v[72:73]
	v_dual_ashrrev_i32 v63, 31, v62 :: v_dual_ashrrev_i32 v65, 31, v64
	s_wait_loadcnt 0x0
	v_pk_add_f32 v[66:67], v[186:187], v[66:67] neg_lo:[0,1] neg_hi:[0,1]
	scratch_store_b64 off, v[66:67], off offset:8
	s_wait_xcnt 0x0
	v_cmpx_ne_u32_e32 0, v0
	s_cbranch_execz .LBB95_205
; %bb.204:
	scratch_load_b64 v[66:67], off, off
	v_mov_b64_e32 v[68:69], 0
	scratch_store_b64 off, v[68:69], off
	s_wait_loadcnt 0x0
	ds_store_b64 v1, v[66:67]
.LBB95_205:
	s_wait_xcnt 0x0
	s_or_b32 exec_lo, exec_lo, s0
	s_wait_storecnt_dscnt 0x0
	s_barrier_signal -1
	s_barrier_wait -1
	s_clause 0x10
	scratch_load_b128 v[66:69], off, off offset:8
	scratch_load_b128 v[70:73], off, off offset:24
	;; [unrolled: 1-line block ×15, first 2 shown]
	scratch_load_b64 v[186:187], off, off offset:248
	scratch_load_b64 v[188:189], off, off
	v_mov_b32_e32 v0, 0
	ds_load_2addr_b64 v[126:129], v0 offset0:55 offset1:56
	ds_load_2addr_b64 v[130:133], v0 offset0:57 offset1:58
	;; [unrolled: 1-line block ×15, first 2 shown]
	ds_load_b64 v[190:191], v0 offset:504
	s_and_b32 vcc_lo, exec_lo, s12
	s_wait_dscnt 0xf
	v_dual_mov_b32 v192, v129 :: v_dual_mov_b32 v193, v128
	s_wait_dscnt 0xc
	v_dual_mov_b32 v194, v133 :: v_dual_mov_b32 v199, v140
	v_dual_mov_b32 v195, v132 :: v_dual_mov_b32 v196, v137
	;; [unrolled: 1-line block ×3, first 2 shown]
	s_wait_loadcnt_dscnt 0x100b
	v_dual_mul_f32 v1, v142, v67 :: v_dual_mul_f32 v67, v143, v67
	s_wait_loadcnt_dscnt 0xf09
	v_dual_mul_f32 v200, v144, v69 :: v_dual_mul_f32 v202, v150, v71
	;; [unrolled: 2-line block ×3, first 2 shown]
	v_dual_mul_f32 v69, v145, v69 :: v_dual_mul_f32 v79, v159, v79
	v_dual_fmac_f32 v1, v143, v66 :: v_dual_fma_f32 v66, v142, v66, -v67
	v_dual_mul_f32 v71, v151, v71 :: v_dual_mul_f32 v67, v161, v81
	s_delay_alu instid0(VALU_DEP_3) | instskip(NEXT) | instid1(VALU_DEP_3)
	v_dual_fmac_f32 v200, v145, v68 :: v_dual_fma_f32 v68, v144, v68, -v69
	v_dual_add_f32 v1, 0, v1 :: v_dual_add_f32 v66, 0, v66
	v_dual_mul_f32 v204, v152, v73 :: v_dual_mul_f32 v205, v154, v75
	s_wait_loadcnt_dscnt 0xc06
	v_dual_mul_f32 v73, v153, v73 :: v_dual_mul_f32 v69, v163, v83
	s_delay_alu instid0(VALU_DEP_3)
	v_dual_fmac_f32 v202, v151, v70 :: v_dual_add_f32 v1, v1, v200
	v_fma_f32 v70, v150, v70, -v71
	v_dual_add_f32 v66, v66, v68 :: v_dual_mul_f32 v68, v165, v85
	v_dual_mul_f32 v75, v155, v75 :: v_dual_mul_f32 v77, v157, v77
	v_dual_fmac_f32 v204, v153, v72 :: v_dual_fma_f32 v71, v152, v72, -v73
	v_add_f32_e32 v1, v1, v202
	s_wait_loadcnt_dscnt 0xb05
	v_dual_add_f32 v66, v66, v70 :: v_dual_mul_f32 v70, v167, v87
	v_dual_fmac_f32 v205, v155, v74 :: v_dual_fma_f32 v72, v154, v74, -v75
	s_delay_alu instid0(VALU_DEP_2) | instskip(SKIP_2) | instid1(VALU_DEP_3)
	v_dual_add_f32 v1, v1, v204 :: v_dual_add_f32 v66, v66, v71
	v_mul_f32_e32 v71, v169, v89
	v_dual_fmac_f32 v206, v157, v76 :: v_dual_fma_f32 v73, v156, v76, -v77
	v_dual_add_f32 v1, v1, v205 :: v_dual_add_f32 v66, v66, v72
	v_dual_mul_f32 v208, v160, v81 :: v_dual_mul_f32 v209, v162, v83
	s_wait_loadcnt_dscnt 0xa04
	v_dual_mul_f32 v72, v171, v91 :: v_dual_fma_f32 v74, v158, v78, -v79
	s_delay_alu instid0(VALU_DEP_3) | instskip(SKIP_2) | instid1(VALU_DEP_3)
	v_dual_fmac_f32 v207, v159, v78 :: v_dual_add_f32 v66, v66, v73
	v_dual_add_f32 v1, v1, v206 :: v_dual_fma_f32 v67, v160, v80, -v67
	v_mul_f32_e32 v73, v173, v93
	v_dual_fmac_f32 v208, v161, v80 :: v_dual_add_f32 v66, v66, v74
	s_delay_alu instid0(VALU_DEP_3) | instskip(SKIP_3) | instid1(VALU_DEP_3)
	v_dual_add_f32 v1, v1, v207 :: v_dual_fmac_f32 v209, v163, v82
	v_dual_mul_f32 v210, v164, v85 :: v_dual_mul_f32 v211, v166, v87
	s_wait_loadcnt_dscnt 0x903
	v_dual_mul_f32 v74, v175, v95 :: v_dual_fma_f32 v69, v162, v82, -v69
	v_dual_add_f32 v1, v1, v208 :: v_dual_add_f32 v66, v66, v67
	v_mul_f32_e32 v67, v177, v97
	v_dual_fmac_f32 v210, v165, v84 :: v_dual_fma_f32 v68, v164, v84, -v68
	s_delay_alu instid0(VALU_DEP_3) | instskip(NEXT) | instid1(VALU_DEP_4)
	v_add_f32_e32 v1, v1, v209
	v_dual_add_f32 v66, v66, v69 :: v_dual_fmac_f32 v211, v167, v86
	v_dual_mul_f32 v212, v168, v89 :: v_dual_mul_f32 v213, v170, v91
	s_wait_loadcnt_dscnt 0x802
	v_dual_mul_f32 v69, v179, v99 :: v_dual_fma_f32 v70, v166, v86, -v70
	s_delay_alu instid0(VALU_DEP_3) | instskip(SKIP_2) | instid1(VALU_DEP_3)
	v_dual_add_f32 v1, v1, v210 :: v_dual_add_f32 v66, v66, v68
	v_mul_f32_e32 v68, v181, v101
	v_dual_fmac_f32 v212, v169, v88 :: v_dual_fma_f32 v71, v168, v88, -v71
	v_dual_add_f32 v1, v1, v211 :: v_dual_add_f32 v66, v66, v70
	v_dual_mul_f32 v214, v172, v93 :: v_dual_mul_f32 v215, v174, v95
	s_wait_loadcnt_dscnt 0x701
	v_dual_mul_f32 v70, v183, v103 :: v_dual_fma_f32 v72, v170, v90, -v72
	s_delay_alu instid0(VALU_DEP_3) | instskip(SKIP_2) | instid1(VALU_DEP_2)
	v_dual_fmac_f32 v213, v171, v90 :: v_dual_add_f32 v1, v1, v212
	v_dual_add_f32 v66, v66, v71 :: v_dual_mul_f32 v71, v185, v105
	v_dual_fmac_f32 v214, v173, v92 :: v_dual_fma_f32 v73, v172, v92, -v73
	v_dual_add_f32 v1, v1, v213 :: v_dual_add_f32 v66, v66, v72
	v_dual_mul_f32 v216, v176, v97 :: v_dual_mul_f32 v217, v178, v99
	s_wait_loadcnt 0x6
	v_dual_mul_f32 v75, v147, v107 :: v_dual_fma_f32 v72, v174, v94, -v74
	s_delay_alu instid0(VALU_DEP_3) | instskip(SKIP_4) | instid1(VALU_DEP_3)
	v_dual_fmac_f32 v215, v175, v94 :: v_dual_add_f32 v66, v66, v73
	v_dual_add_f32 v1, v1, v214 :: v_dual_fma_f32 v67, v176, v96, -v67
	v_mul_f32_e32 v74, v149, v109
	s_wait_loadcnt 0x5
	v_dual_fmac_f32 v216, v177, v96 :: v_dual_mul_f32 v77, v127, v111
	v_dual_add_f32 v1, v1, v215 :: v_dual_fmac_f32 v217, v179, v98
	v_dual_add_f32 v66, v66, v72 :: v_dual_mul_f32 v218, v180, v101
	v_mul_f32_e32 v219, v182, v103
	s_delay_alu instid0(VALU_DEP_3) | instskip(NEXT) | instid1(VALU_DEP_3)
	v_dual_fma_f32 v69, v178, v98, -v69 :: v_dual_add_f32 v1, v1, v216
	v_dual_add_f32 v67, v66, v67 :: v_dual_mov_b32 v66, v113
	s_delay_alu instid0(VALU_DEP_4) | instskip(NEXT) | instid1(VALU_DEP_3)
	v_dual_fmac_f32 v218, v181, v100 :: v_dual_fma_f32 v72, v180, v100, -v68
	v_dual_add_f32 v1, v1, v217 :: v_dual_fmac_f32 v219, v183, v102
	s_delay_alu instid0(VALU_DEP_3) | instskip(SKIP_1) | instid1(VALU_DEP_2)
	v_dual_add_f32 v67, v67, v69 :: v_dual_fma_f32 v73, v182, v102, -v70
	v_dual_mul_f32 v220, v184, v105 :: v_dual_mul_f32 v221, v146, v107
	v_dual_add_f32 v1, v1, v218 :: v_dual_add_f32 v67, v67, v72
	s_wait_loadcnt 0x4
	v_dual_mov_b32 v70, v117 :: v_dual_fma_f32 v71, v184, v104, -v71
	s_delay_alu instid0(VALU_DEP_3) | instskip(NEXT) | instid1(VALU_DEP_3)
	v_fmac_f32_e32 v220, v185, v104
	v_dual_add_f32 v1, v1, v219 :: v_dual_fmac_f32 v221, v147, v106
	v_add_f32_e32 v67, v67, v73
	v_dual_mul_f32 v201, v148, v109 :: v_dual_mul_f32 v203, v126, v111
	s_delay_alu instid0(VALU_DEP_3) | instskip(NEXT) | instid1(VALU_DEP_2)
	v_dual_fma_f32 v76, v146, v106, -v75 :: v_dual_add_f32 v1, v1, v220
	v_dual_add_f32 v71, v67, v71 :: v_dual_fmac_f32 v201, v149, v108
	v_fma_f32 v200, v148, v108, -v74
	v_pk_mul_f32 v[66:67], v[192:193], v[66:67] op_sel_hi:[1,0]
	s_delay_alu instid0(VALU_DEP_3)
	v_dual_add_f32 v75, v1, v221 :: v_dual_add_f32 v74, v71, v76
	s_wait_loadcnt 0x3
	v_mov_b32_e32 v76, v121
	v_pk_mul_f32 v[68:69], v[130:131], v[114:115] op_sel:[1,1] op_sel_hi:[0,1]
	v_dual_fmac_f32 v203, v127, v110 :: v_dual_fma_f32 v202, v126, v110, -v77
	v_pk_fma_f32 v[78:79], v[128:129], v[112:113], v[66:67] op_sel_hi:[1,0,1]
	v_pk_add_f32 v[74:75], v[74:75], v[200:201]
	v_pk_fma_f32 v[66:67], v[128:129], v[112:113], v[66:67] neg_lo:[0,0,1] neg_hi:[0,0,1]
	v_pk_fma_f32 v[80:81], v[130:131], v[114:115], v[68:69] op_sel_hi:[1,0,1]
	v_pk_mul_f32 v[70:71], v[194:195], v[70:71] op_sel_hi:[1,0]
	v_mov_b32_e32 v67, v79
	v_pk_add_f32 v[74:75], v[74:75], v[202:203]
	v_pk_fma_f32 v[68:69], v[130:131], v[114:115], v[68:69] neg_lo:[0,0,1] neg_hi:[0,0,1]
	v_pk_mul_f32 v[72:73], v[134:135], v[118:119] op_sel:[1,1] op_sel_hi:[0,1]
	v_mov_b32_e32 v69, v81
	v_pk_fma_f32 v[80:81], v[132:133], v[116:117], v[70:71] op_sel_hi:[1,0,1]
	v_pk_add_f32 v[66:67], v[74:75], v[66:67]
	v_pk_fma_f32 v[70:71], v[132:133], v[116:117], v[70:71] neg_lo:[0,0,1] neg_hi:[0,0,1]
	v_pk_fma_f32 v[74:75], v[134:135], v[118:119], v[72:73] op_sel_hi:[1,0,1]
	v_pk_mul_f32 v[76:77], v[196:197], v[76:77] op_sel_hi:[1,0]
	v_mov_b32_e32 v71, v81
	v_pk_add_f32 v[66:67], v[66:67], v[68:69]
	v_pk_fma_f32 v[72:73], v[134:135], v[118:119], v[72:73] neg_lo:[0,0,1] neg_hi:[0,0,1]
	s_wait_loadcnt 0x2
	v_pk_mul_f32 v[78:79], v[138:139], v[122:123] op_sel:[1,1] op_sel_hi:[0,1]
	v_dual_mov_b32 v68, v125 :: v_dual_mov_b32 v73, v75
	v_pk_fma_f32 v[74:75], v[136:137], v[120:121], v[76:77] op_sel_hi:[1,0,1]
	v_pk_add_f32 v[66:67], v[66:67], v[70:71]
	v_pk_fma_f32 v[76:77], v[136:137], v[120:121], v[76:77] neg_lo:[0,0,1] neg_hi:[0,0,1]
	v_pk_fma_f32 v[70:71], v[138:139], v[122:123], v[78:79] op_sel_hi:[1,0,1]
	v_pk_mul_f32 v[68:69], v[198:199], v[68:69] op_sel_hi:[1,0]
	v_mov_b32_e32 v77, v75
	v_pk_add_f32 v[66:67], v[66:67], v[72:73]
	v_pk_fma_f32 v[74:75], v[138:139], v[122:123], v[78:79] neg_lo:[0,0,1] neg_hi:[0,0,1]
	s_wait_loadcnt_dscnt 0x100
	v_pk_mul_f32 v[72:73], v[190:191], v[186:187] op_sel:[1,1] op_sel_hi:[0,1]
	v_mov_b32_e32 v75, v71
	v_pk_fma_f32 v[70:71], v[140:141], v[124:125], v[68:69] op_sel_hi:[1,0,1]
	v_pk_add_f32 v[66:67], v[66:67], v[76:77]
	v_pk_fma_f32 v[68:69], v[140:141], v[124:125], v[68:69] neg_lo:[0,0,1] neg_hi:[0,0,1]
	v_pk_fma_f32 v[76:77], v[190:191], v[186:187], v[72:73] op_sel_hi:[1,0,1]
	s_delay_alu instid0(VALU_DEP_4) | instskip(NEXT) | instid1(VALU_DEP_4)
	v_mov_b32_e32 v69, v71
	v_pk_add_f32 v[66:67], v[66:67], v[74:75]
	v_pk_fma_f32 v[70:71], v[190:191], v[186:187], v[72:73] neg_lo:[0,0,1] neg_hi:[0,0,1]
	s_delay_alu instid0(VALU_DEP_4) | instskip(NEXT) | instid1(VALU_DEP_3)
	v_mov_b32_e32 v71, v77
	v_pk_add_f32 v[66:67], v[66:67], v[68:69]
	s_delay_alu instid0(VALU_DEP_1) | instskip(SKIP_1) | instid1(VALU_DEP_1)
	v_pk_add_f32 v[66:67], v[66:67], v[70:71]
	s_wait_loadcnt 0x0
	v_pk_add_f32 v[66:67], v[188:189], v[66:67] neg_lo:[0,1] neg_hi:[0,1]
	scratch_store_b64 off, v[66:67], off
	s_cbranch_vccz .LBB95_268
; %bb.206:
	global_load_b32 v0, v0, s[8:9] offset:120
	s_wait_loadcnt 0x0
	v_cmp_ne_u32_e32 vcc_lo, 31, v0
	s_cbranch_vccz .LBB95_208
; %bb.207:
	s_wait_xcnt 0x0
	v_lshlrev_b32_e32 v0, 3, v0
	s_delay_alu instid0(VALU_DEP_1)
	v_mov_b32_e32 v68, v0
	scratch_load_b64 v[0:1], v68, off offset:-8
	scratch_load_b64 v[66:67], off, off offset:240
	s_wait_loadcnt 0x1
	scratch_store_b64 off, v[0:1], off offset:240
	s_wait_loadcnt 0x0
	scratch_store_b64 v68, v[66:67], off offset:-8
.LBB95_208:
	s_wait_xcnt 0x0
	v_mov_b32_e32 v0, 0
	global_load_b32 v1, v0, s[8:9] offset:116
	s_wait_loadcnt 0x0
	v_cmp_eq_u32_e32 vcc_lo, 30, v1
	s_cbranch_vccnz .LBB95_210
; %bb.209:
	v_lshlrev_b32_e32 v1, 3, v1
	scratch_load_b64 v[66:67], v1, off offset:-8
	scratch_load_b64 v[68:69], off, off offset:232
	s_wait_loadcnt 0x1
	scratch_store_b64 off, v[66:67], off offset:232
	s_wait_loadcnt 0x0
	scratch_store_b64 v1, v[68:69], off offset:-8
.LBB95_210:
	global_load_b32 v0, v0, s[8:9] offset:112
	s_wait_loadcnt 0x0
	v_cmp_eq_u32_e32 vcc_lo, 29, v0
	s_cbranch_vccnz .LBB95_212
; %bb.211:
	s_wait_xcnt 0x0
	v_lshlrev_b32_e32 v0, 3, v0
	s_delay_alu instid0(VALU_DEP_1)
	v_mov_b32_e32 v68, v0
	scratch_load_b64 v[0:1], v68, off offset:-8
	scratch_load_b64 v[66:67], off, off offset:224
	s_wait_loadcnt 0x1
	scratch_store_b64 off, v[0:1], off offset:224
	s_wait_loadcnt 0x0
	scratch_store_b64 v68, v[66:67], off offset:-8
.LBB95_212:
	s_wait_xcnt 0x0
	v_mov_b32_e32 v0, 0
	global_load_b32 v1, v0, s[8:9] offset:108
	s_wait_loadcnt 0x0
	v_cmp_eq_u32_e32 vcc_lo, 28, v1
	s_cbranch_vccnz .LBB95_214
; %bb.213:
	v_lshlrev_b32_e32 v1, 3, v1
	scratch_load_b64 v[66:67], v1, off offset:-8
	scratch_load_b64 v[68:69], off, off offset:216
	s_wait_loadcnt 0x1
	scratch_store_b64 off, v[66:67], off offset:216
	s_wait_loadcnt 0x0
	scratch_store_b64 v1, v[68:69], off offset:-8
.LBB95_214:
	global_load_b32 v0, v0, s[8:9] offset:104
	s_wait_loadcnt 0x0
	v_cmp_eq_u32_e32 vcc_lo, 27, v0
	s_cbranch_vccnz .LBB95_216
; %bb.215:
	s_wait_xcnt 0x0
	v_lshlrev_b32_e32 v0, 3, v0
	s_delay_alu instid0(VALU_DEP_1)
	v_mov_b32_e32 v68, v0
	scratch_load_b64 v[0:1], v68, off offset:-8
	scratch_load_b64 v[66:67], off, off offset:208
	s_wait_loadcnt 0x1
	scratch_store_b64 off, v[0:1], off offset:208
	s_wait_loadcnt 0x0
	scratch_store_b64 v68, v[66:67], off offset:-8
.LBB95_216:
	;; [unrolled: 31-line block ×14, first 2 shown]
	s_wait_xcnt 0x0
	v_mov_b32_e32 v0, 0
	global_load_b32 v1, v0, s[8:9] offset:4
	s_wait_loadcnt 0x0
	v_cmp_eq_u32_e32 vcc_lo, 2, v1
	s_cbranch_vccnz .LBB95_266
; %bb.265:
	v_lshlrev_b32_e32 v1, 3, v1
	scratch_load_b64 v[66:67], v1, off offset:-8
	scratch_load_b64 v[68:69], off, off offset:8
	s_wait_loadcnt 0x1
	scratch_store_b64 off, v[66:67], off offset:8
	s_wait_loadcnt 0x0
	scratch_store_b64 v1, v[68:69], off offset:-8
.LBB95_266:
	global_load_b32 v0, v0, s[8:9]
	scratch_load_b64 v[66:67], off, off
	s_wait_loadcnt 0x1
	v_cmp_eq_u32_e32 vcc_lo, 1, v0
	s_cbranch_vccnz .LBB95_268
; %bb.267:
	s_wait_xcnt 0x1
	v_lshlrev_b32_e32 v0, 3, v0
	s_delay_alu instid0(VALU_DEP_1)
	v_mov_b32_e32 v68, v0
	scratch_load_b64 v[0:1], v68, off offset:-8
	s_wait_loadcnt 0x0
	scratch_store_b64 off, v[0:1], off
	scratch_store_b64 v68, v[66:67], off offset:-8
	scratch_load_b64 v[66:67], off, off
.LBB95_268:
	s_wait_loadcnt 0x0
	flat_store_b64 v[2:3], v[66:67]
	scratch_load_b64 v[2:3], off, off offset:8
	v_lshl_add_u64 v[94:95], v[6:7], 3, s[2:3]
	v_lshl_add_u64 v[92:93], v[8:9], 3, s[2:3]
	;; [unrolled: 1-line block ×30, first 2 shown]
	s_wait_loadcnt 0x0
	flat_store_b64 v[4:5], v[2:3]
	scratch_load_b64 v[2:3], off, off offset:16
	s_wait_loadcnt 0x0
	flat_store_b64 v[94:95], v[2:3]
	scratch_load_b64 v[2:3], off, off offset:24
	;; [unrolled: 3-line block ×30, first 2 shown]
	s_wait_loadcnt 0x0
	flat_store_b64 v[0:1], v[2:3]
	s_sendmsg sendmsg(MSG_DEALLOC_VGPRS)
	s_endpgm
	.section	.rodata,"a",@progbits
	.p2align	6, 0x0
	.amdhsa_kernel _ZN9rocsolver6v33100L18getri_kernel_smallILi32E19rocblas_complex_numIfEPKPS3_EEvT1_iilPiilS8_bb
		.amdhsa_group_segment_fixed_size 516
		.amdhsa_private_segment_fixed_size 272
		.amdhsa_kernarg_size 60
		.amdhsa_user_sgpr_count 2
		.amdhsa_user_sgpr_dispatch_ptr 0
		.amdhsa_user_sgpr_queue_ptr 0
		.amdhsa_user_sgpr_kernarg_segment_ptr 1
		.amdhsa_user_sgpr_dispatch_id 0
		.amdhsa_user_sgpr_kernarg_preload_length 0
		.amdhsa_user_sgpr_kernarg_preload_offset 0
		.amdhsa_user_sgpr_private_segment_size 0
		.amdhsa_wavefront_size32 1
		.amdhsa_uses_dynamic_stack 0
		.amdhsa_enable_private_segment 1
		.amdhsa_system_sgpr_workgroup_id_x 1
		.amdhsa_system_sgpr_workgroup_id_y 0
		.amdhsa_system_sgpr_workgroup_id_z 0
		.amdhsa_system_sgpr_workgroup_info 0
		.amdhsa_system_vgpr_workitem_id 0
		.amdhsa_next_free_vgpr 222
		.amdhsa_next_free_sgpr 19
		.amdhsa_named_barrier_count 0
		.amdhsa_reserve_vcc 1
		.amdhsa_float_round_mode_32 0
		.amdhsa_float_round_mode_16_64 0
		.amdhsa_float_denorm_mode_32 3
		.amdhsa_float_denorm_mode_16_64 3
		.amdhsa_fp16_overflow 0
		.amdhsa_memory_ordered 1
		.amdhsa_forward_progress 1
		.amdhsa_inst_pref_size 255
		.amdhsa_round_robin_scheduling 0
		.amdhsa_exception_fp_ieee_invalid_op 0
		.amdhsa_exception_fp_denorm_src 0
		.amdhsa_exception_fp_ieee_div_zero 0
		.amdhsa_exception_fp_ieee_overflow 0
		.amdhsa_exception_fp_ieee_underflow 0
		.amdhsa_exception_fp_ieee_inexact 0
		.amdhsa_exception_int_div_zero 0
	.end_amdhsa_kernel
	.section	.text._ZN9rocsolver6v33100L18getri_kernel_smallILi32E19rocblas_complex_numIfEPKPS3_EEvT1_iilPiilS8_bb,"axG",@progbits,_ZN9rocsolver6v33100L18getri_kernel_smallILi32E19rocblas_complex_numIfEPKPS3_EEvT1_iilPiilS8_bb,comdat
.Lfunc_end95:
	.size	_ZN9rocsolver6v33100L18getri_kernel_smallILi32E19rocblas_complex_numIfEPKPS3_EEvT1_iilPiilS8_bb, .Lfunc_end95-_ZN9rocsolver6v33100L18getri_kernel_smallILi32E19rocblas_complex_numIfEPKPS3_EEvT1_iilPiilS8_bb
                                        ; -- End function
	.set _ZN9rocsolver6v33100L18getri_kernel_smallILi32E19rocblas_complex_numIfEPKPS3_EEvT1_iilPiilS8_bb.num_vgpr, 222
	.set _ZN9rocsolver6v33100L18getri_kernel_smallILi32E19rocblas_complex_numIfEPKPS3_EEvT1_iilPiilS8_bb.num_agpr, 0
	.set _ZN9rocsolver6v33100L18getri_kernel_smallILi32E19rocblas_complex_numIfEPKPS3_EEvT1_iilPiilS8_bb.numbered_sgpr, 19
	.set _ZN9rocsolver6v33100L18getri_kernel_smallILi32E19rocblas_complex_numIfEPKPS3_EEvT1_iilPiilS8_bb.num_named_barrier, 0
	.set _ZN9rocsolver6v33100L18getri_kernel_smallILi32E19rocblas_complex_numIfEPKPS3_EEvT1_iilPiilS8_bb.private_seg_size, 272
	.set _ZN9rocsolver6v33100L18getri_kernel_smallILi32E19rocblas_complex_numIfEPKPS3_EEvT1_iilPiilS8_bb.uses_vcc, 1
	.set _ZN9rocsolver6v33100L18getri_kernel_smallILi32E19rocblas_complex_numIfEPKPS3_EEvT1_iilPiilS8_bb.uses_flat_scratch, 1
	.set _ZN9rocsolver6v33100L18getri_kernel_smallILi32E19rocblas_complex_numIfEPKPS3_EEvT1_iilPiilS8_bb.has_dyn_sized_stack, 0
	.set _ZN9rocsolver6v33100L18getri_kernel_smallILi32E19rocblas_complex_numIfEPKPS3_EEvT1_iilPiilS8_bb.has_recursion, 0
	.set _ZN9rocsolver6v33100L18getri_kernel_smallILi32E19rocblas_complex_numIfEPKPS3_EEvT1_iilPiilS8_bb.has_indirect_call, 0
	.section	.AMDGPU.csdata,"",@progbits
; Kernel info:
; codeLenInByte = 44944
; TotalNumSgprs: 21
; NumVgprs: 222
; ScratchSize: 272
; MemoryBound: 0
; FloatMode: 240
; IeeeMode: 1
; LDSByteSize: 516 bytes/workgroup (compile time only)
; SGPRBlocks: 0
; VGPRBlocks: 13
; NumSGPRsForWavesPerEU: 21
; NumVGPRsForWavesPerEU: 222
; NamedBarCnt: 0
; Occupancy: 4
; WaveLimiterHint : 1
; COMPUTE_PGM_RSRC2:SCRATCH_EN: 1
; COMPUTE_PGM_RSRC2:USER_SGPR: 2
; COMPUTE_PGM_RSRC2:TRAP_HANDLER: 0
; COMPUTE_PGM_RSRC2:TGID_X_EN: 1
; COMPUTE_PGM_RSRC2:TGID_Y_EN: 0
; COMPUTE_PGM_RSRC2:TGID_Z_EN: 0
; COMPUTE_PGM_RSRC2:TIDIG_COMP_CNT: 0
	.section	.text._ZN9rocsolver6v33100L18getri_kernel_smallILi33E19rocblas_complex_numIfEPKPS3_EEvT1_iilPiilS8_bb,"axG",@progbits,_ZN9rocsolver6v33100L18getri_kernel_smallILi33E19rocblas_complex_numIfEPKPS3_EEvT1_iilPiilS8_bb,comdat
	.globl	_ZN9rocsolver6v33100L18getri_kernel_smallILi33E19rocblas_complex_numIfEPKPS3_EEvT1_iilPiilS8_bb ; -- Begin function _ZN9rocsolver6v33100L18getri_kernel_smallILi33E19rocblas_complex_numIfEPKPS3_EEvT1_iilPiilS8_bb
	.p2align	8
	.type	_ZN9rocsolver6v33100L18getri_kernel_smallILi33E19rocblas_complex_numIfEPKPS3_EEvT1_iilPiilS8_bb,@function
_ZN9rocsolver6v33100L18getri_kernel_smallILi33E19rocblas_complex_numIfEPKPS3_EEvT1_iilPiilS8_bb: ; @_ZN9rocsolver6v33100L18getri_kernel_smallILi33E19rocblas_complex_numIfEPKPS3_EEvT1_iilPiilS8_bb
; %bb.0:
	s_mov_b32 s2, exec_lo
	v_cmpx_gt_u32_e32 33, v0
	s_cbranch_execz .LBB96_146
; %bb.1:
	s_clause 0x1
	s_load_b32 s13, s[0:1], 0x38
	s_load_b64 s[2:3], s[0:1], 0x0
	s_getreg_b32 s6, hwreg(HW_REG_IB_STS2, 6, 4)
	s_wait_kmcnt 0x0
	s_bitcmp1_b32 s13, 8
	s_cselect_b32 s12, -1, 0
	s_bfe_u32 s4, ttmp6, 0x4000c
	s_and_b32 s5, ttmp6, 15
	s_add_co_i32 s4, s4, 1
	s_delay_alu instid0(SALU_CYCLE_1) | instskip(NEXT) | instid1(SALU_CYCLE_1)
	s_mul_i32 s4, ttmp9, s4
	s_add_co_i32 s5, s5, s4
	s_cmp_eq_u32 s6, 0
	s_cselect_b32 s10, ttmp9, s5
	s_load_b128 s[4:7], s[0:1], 0x28
	s_ashr_i32 s11, s10, 31
	s_delay_alu instid0(SALU_CYCLE_1) | instskip(NEXT) | instid1(SALU_CYCLE_1)
	s_lshl_b64 s[8:9], s[10:11], 3
	s_add_nc_u64 s[2:3], s[2:3], s[8:9]
	s_bfe_u32 s8, s13, 0x10008
	s_load_b64 s[2:3], s[2:3], 0x0
	s_cmp_eq_u32 s8, 0
                                        ; implicit-def: $sgpr8_sgpr9
	s_cbranch_scc1 .LBB96_3
; %bb.2:
	s_load_b96 s[16:18], s[0:1], 0x18
	s_wait_kmcnt 0x0
	s_mul_u64 s[4:5], s[4:5], s[10:11]
	s_delay_alu instid0(SALU_CYCLE_1) | instskip(SKIP_4) | instid1(SALU_CYCLE_1)
	s_lshl_b64 s[4:5], s[4:5], 2
	s_ashr_i32 s9, s18, 31
	s_mov_b32 s8, s18
	s_add_nc_u64 s[4:5], s[16:17], s[4:5]
	s_lshl_b64 s[8:9], s[8:9], 2
	s_add_nc_u64 s[8:9], s[4:5], s[8:9]
.LBB96_3:
	s_wait_kmcnt 0x0
	s_clause 0x1
	s_load_b64 s[4:5], s[0:1], 0x8
	s_load_b32 s13, s[0:1], 0x38
	v_dual_mov_b32 v69, 0 :: v_dual_lshlrev_b32 v68, 3, v0
	s_wait_kmcnt 0x0
	s_ashr_i32 s1, s4, 31
	s_mov_b32 s0, s4
	s_delay_alu instid0(SALU_CYCLE_1) | instskip(NEXT) | instid1(SALU_CYCLE_1)
	s_lshl_b64 s[0:1], s[0:1], 3
	s_add_nc_u64 s[2:3], s[2:3], s[0:1]
	s_ashr_i32 s1, s5, 31
	flat_load_b64 v[6:7], v0, s[2:3] scale_offset
	v_add_nc_u64_e32 v[2:3], s[2:3], v[68:69]
	s_mov_b32 s0, s5
	s_bitcmp0_b32 s13, 0
	s_delay_alu instid0(VALU_DEP_1)
	v_lshl_add_u64 v[4:5], s[0:1], 3, v[2:3]
	s_mov_b32 s1, -1
	s_wait_loadcnt_dscnt 0x0
	scratch_store_b64 off, v[6:7], off
	flat_load_b64 v[8:9], v[4:5]
	s_wait_xcnt 0x1
	v_add3_u32 v6, s5, s5, v0
	s_wait_loadcnt_dscnt 0x0
	scratch_store_b64 off, v[8:9], off offset:8
	flat_load_b64 v[10:11], v6, s[2:3] scale_offset
	s_wait_xcnt 0x1
	v_add_nc_u32_e32 v8, s5, v6
	s_wait_loadcnt_dscnt 0x0
	scratch_store_b64 off, v[10:11], off offset:16
	flat_load_b64 v[12:13], v8, s[2:3] scale_offset
	s_wait_xcnt 0x1
	v_add_nc_u32_e32 v10, s5, v8
	;; [unrolled: 5-line block ×30, first 2 shown]
	s_wait_loadcnt_dscnt 0x0
	scratch_store_b64 off, v[70:71], off offset:248
	flat_load_b64 v[70:71], v66, s[2:3] scale_offset
	s_wait_loadcnt_dscnt 0x0
	scratch_store_b64 off, v[70:71], off offset:256
	s_cbranch_scc1 .LBB96_144
; %bb.4:
	v_cmp_eq_u32_e64 s0, 0, v0
	s_wait_xcnt 0x0
	s_and_saveexec_b32 s1, s0
; %bb.5:
	v_mov_b32_e32 v1, 0
	ds_store_b32 v1, v1 offset:264
; %bb.6:
	s_or_b32 exec_lo, exec_lo, s1
	s_wait_storecnt_dscnt 0x0
	s_barrier_signal -1
	s_barrier_wait -1
	scratch_load_b64 v[70:71], v0, off scale_offset
	s_wait_loadcnt 0x0
	v_cmp_eq_f32_e32 vcc_lo, 0, v70
	v_cmp_eq_f32_e64 s1, 0, v71
	s_and_b32 s1, vcc_lo, s1
	s_delay_alu instid0(SALU_CYCLE_1)
	s_and_saveexec_b32 s4, s1
	s_cbranch_execz .LBB96_10
; %bb.7:
	v_mov_b32_e32 v1, 0
	s_mov_b32 s5, 0
	ds_load_b32 v7, v1 offset:264
	s_wait_dscnt 0x0
	v_readfirstlane_b32 s1, v7
	v_add_nc_u32_e32 v7, 1, v0
	s_cmp_eq_u32 s1, 0
	s_delay_alu instid0(VALU_DEP_1) | instskip(SKIP_1) | instid1(SALU_CYCLE_1)
	v_cmp_gt_i32_e32 vcc_lo, s1, v7
	s_cselect_b32 s13, -1, 0
	s_or_b32 s13, s13, vcc_lo
	s_delay_alu instid0(SALU_CYCLE_1)
	s_and_b32 exec_lo, exec_lo, s13
	s_cbranch_execz .LBB96_10
; %bb.8:
	v_mov_b32_e32 v9, s1
.LBB96_9:                               ; =>This Inner Loop Header: Depth=1
	ds_cmpstore_rtn_b32 v9, v1, v7, v9 offset:264
	s_wait_dscnt 0x0
	v_cmp_ne_u32_e32 vcc_lo, 0, v9
	v_cmp_le_i32_e64 s1, v9, v7
	s_and_b32 s1, vcc_lo, s1
	s_delay_alu instid0(SALU_CYCLE_1) | instskip(NEXT) | instid1(SALU_CYCLE_1)
	s_and_b32 s1, exec_lo, s1
	s_or_b32 s5, s1, s5
	s_delay_alu instid0(SALU_CYCLE_1)
	s_and_not1_b32 exec_lo, exec_lo, s5
	s_cbranch_execnz .LBB96_9
.LBB96_10:
	s_or_b32 exec_lo, exec_lo, s4
	v_mov_b32_e32 v1, 0
	s_barrier_signal -1
	s_barrier_wait -1
	ds_load_b32 v7, v1 offset:264
	s_and_saveexec_b32 s1, s0
	s_cbranch_execz .LBB96_12
; %bb.11:
	s_lshl_b64 s[4:5], s[10:11], 2
	s_delay_alu instid0(SALU_CYCLE_1)
	s_add_nc_u64 s[4:5], s[6:7], s[4:5]
	s_wait_dscnt 0x0
	global_store_b32 v1, v7, s[4:5]
.LBB96_12:
	s_wait_xcnt 0x0
	s_or_b32 exec_lo, exec_lo, s1
	s_wait_dscnt 0x0
	v_cmp_ne_u32_e32 vcc_lo, 0, v7
	s_mov_b32 s1, 0
	s_cbranch_vccnz .LBB96_144
; %bb.13:
	v_lshl_add_u32 v7, v0, 3, 0
                                        ; implicit-def: $vgpr73
                                        ; implicit-def: $vgpr74
	scratch_load_b64 v[70:71], v7, off
	s_wait_loadcnt 0x0
	v_cmp_ngt_f32_e64 s1, |v70|, |v71|
	s_wait_xcnt 0x0
	s_and_saveexec_b32 s4, s1
	s_delay_alu instid0(SALU_CYCLE_1)
	s_xor_b32 s1, exec_lo, s4
	s_cbranch_execz .LBB96_15
; %bb.14:
	v_div_scale_f32 v1, null, v71, v71, v70
	v_div_scale_f32 v13, vcc_lo, v70, v71, v70
	s_delay_alu instid0(VALU_DEP_2) | instskip(SKIP_1) | instid1(TRANS32_DEP_1)
	v_rcp_f32_e32 v9, v1
	v_nop
	v_fma_f32 v11, -v1, v9, 1.0
	s_delay_alu instid0(VALU_DEP_1) | instskip(NEXT) | instid1(VALU_DEP_1)
	v_fmac_f32_e32 v9, v11, v9
	v_mul_f32_e32 v11, v13, v9
	s_delay_alu instid0(VALU_DEP_1) | instskip(NEXT) | instid1(VALU_DEP_1)
	v_fma_f32 v15, -v1, v11, v13
	v_fmac_f32_e32 v11, v15, v9
	s_delay_alu instid0(VALU_DEP_1) | instskip(NEXT) | instid1(VALU_DEP_1)
	v_fma_f32 v1, -v1, v11, v13
	v_div_fmas_f32 v1, v1, v9, v11
	s_delay_alu instid0(VALU_DEP_1) | instskip(NEXT) | instid1(VALU_DEP_1)
	v_div_fixup_f32 v1, v1, v71, v70
	v_fmac_f32_e32 v71, v70, v1
	s_delay_alu instid0(VALU_DEP_1) | instskip(NEXT) | instid1(VALU_DEP_1)
	v_div_scale_f32 v9, null, v71, v71, -1.0
	v_rcp_f32_e32 v11, v9
	v_nop
	s_delay_alu instid0(TRANS32_DEP_1) | instskip(NEXT) | instid1(VALU_DEP_1)
	v_fma_f32 v13, -v9, v11, 1.0
	v_fmac_f32_e32 v11, v13, v11
	v_div_scale_f32 v13, vcc_lo, -1.0, v71, -1.0
	s_delay_alu instid0(VALU_DEP_1) | instskip(NEXT) | instid1(VALU_DEP_1)
	v_mul_f32_e32 v15, v13, v11
	v_fma_f32 v17, -v9, v15, v13
	s_delay_alu instid0(VALU_DEP_1) | instskip(NEXT) | instid1(VALU_DEP_1)
	v_fmac_f32_e32 v15, v17, v11
	v_fma_f32 v9, -v9, v15, v13
	s_delay_alu instid0(VALU_DEP_1) | instskip(NEXT) | instid1(VALU_DEP_1)
	v_div_fmas_f32 v9, v9, v11, v15
	v_div_fixup_f32 v73, v9, v71, -1.0
                                        ; implicit-def: $vgpr70_vgpr71
	s_delay_alu instid0(VALU_DEP_1) | instskip(NEXT) | instid1(VALU_DEP_1)
	v_mul_f32_e32 v74, v1, v73
	v_xor_b32_e32 v72, 0x80000000, v74
.LBB96_15:
	s_and_not1_saveexec_b32 s1, s1
	s_cbranch_execz .LBB96_17
; %bb.16:
	v_div_scale_f32 v1, null, v70, v70, v71
	v_div_scale_f32 v13, vcc_lo, v71, v70, v71
	s_delay_alu instid0(VALU_DEP_2) | instskip(SKIP_1) | instid1(TRANS32_DEP_1)
	v_rcp_f32_e32 v9, v1
	v_nop
	v_fma_f32 v11, -v1, v9, 1.0
	s_delay_alu instid0(VALU_DEP_1) | instskip(NEXT) | instid1(VALU_DEP_1)
	v_fmac_f32_e32 v9, v11, v9
	v_mul_f32_e32 v11, v13, v9
	s_delay_alu instid0(VALU_DEP_1) | instskip(NEXT) | instid1(VALU_DEP_1)
	v_fma_f32 v15, -v1, v11, v13
	v_fmac_f32_e32 v11, v15, v9
	s_delay_alu instid0(VALU_DEP_1) | instskip(NEXT) | instid1(VALU_DEP_1)
	v_fma_f32 v1, -v1, v11, v13
	v_div_fmas_f32 v1, v1, v9, v11
	s_delay_alu instid0(VALU_DEP_1) | instskip(NEXT) | instid1(VALU_DEP_1)
	v_div_fixup_f32 v1, v1, v70, v71
	v_fmac_f32_e32 v70, v71, v1
	s_delay_alu instid0(VALU_DEP_1) | instskip(SKIP_1) | instid1(VALU_DEP_2)
	v_div_scale_f32 v9, null, v70, v70, 1.0
	v_div_scale_f32 v15, vcc_lo, 1.0, v70, 1.0
	v_rcp_f32_e32 v11, v9
	v_nop
	s_delay_alu instid0(TRANS32_DEP_1) | instskip(NEXT) | instid1(VALU_DEP_1)
	v_fma_f32 v13, -v9, v11, 1.0
	v_fmac_f32_e32 v11, v13, v11
	s_delay_alu instid0(VALU_DEP_1) | instskip(NEXT) | instid1(VALU_DEP_1)
	v_mul_f32_e32 v13, v15, v11
	v_fma_f32 v17, -v9, v13, v15
	s_delay_alu instid0(VALU_DEP_1) | instskip(NEXT) | instid1(VALU_DEP_1)
	v_fmac_f32_e32 v13, v17, v11
	v_fma_f32 v9, -v9, v13, v15
	s_delay_alu instid0(VALU_DEP_1) | instskip(NEXT) | instid1(VALU_DEP_1)
	v_div_fmas_f32 v9, v9, v11, v13
	v_div_fixup_f32 v72, v9, v70, 1.0
	s_delay_alu instid0(VALU_DEP_1)
	v_xor_b32_e32 v74, 0x80000000, v72
	v_mul_f32_e64 v73, v1, -v72
.LBB96_17:
	s_or_b32 exec_lo, exec_lo, s1
	scratch_store_b64 v7, v[72:73], off
	scratch_load_b64 v[70:71], off, off offset:8
	v_xor_b32_e32 v75, 0x80000000, v73
	v_add_nc_u32_e32 v1, 0x110, v68
	s_wait_loadcnt 0x0
	ds_store_2addr_b64 v68, v[74:75], v[70:71] offset1:34
	s_wait_storecnt_dscnt 0x0
	s_barrier_signal -1
	s_barrier_wait -1
	s_wait_xcnt 0x0
	s_and_saveexec_b32 s1, s0
	s_cbranch_execz .LBB96_19
; %bb.18:
	scratch_load_b64 v[70:71], v7, off
	ds_load_b64 v[72:73], v1
	s_wait_loadcnt_dscnt 0x0
	v_pk_mul_f32 v[76:77], v[72:73], v[70:71] op_sel:[1,1] op_sel_hi:[0,1]
	s_delay_alu instid0(VALU_DEP_1) | instskip(SKIP_2) | instid1(VALU_DEP_3)
	v_pk_fma_f32 v[78:79], v[72:73], v[70:71], v[76:77] op_sel_hi:[1,0,1]
	v_mov_b32_e32 v9, 0
	v_pk_fma_f32 v[70:71], v[72:73], v[70:71], v[76:77] neg_lo:[0,0,1] neg_hi:[0,0,1]
	v_mov_b32_e32 v71, v79
	ds_load_b64 v[74:75], v9 offset:8
	v_pk_add_f32 v[70:71], v[70:71], 0 op_sel_hi:[1,0]
	s_wait_dscnt 0x0
	s_delay_alu instid0(VALU_DEP_1) | instskip(NEXT) | instid1(VALU_DEP_1)
	v_pk_mul_f32 v[72:73], v[70:71], v[74:75] op_sel:[1,1] op_sel_hi:[0,1]
	v_pk_fma_f32 v[76:77], v[70:71], v[74:75], v[72:73] op_sel_hi:[1,0,1]
	v_pk_fma_f32 v[70:71], v[70:71], v[74:75], v[72:73] neg_lo:[0,0,1] neg_hi:[0,0,1]
	s_delay_alu instid0(VALU_DEP_2)
	v_mov_b32_e32 v71, v77
	scratch_store_b64 off, v[70:71], off offset:8
.LBB96_19:
	s_wait_xcnt 0x0
	s_or_b32 exec_lo, exec_lo, s1
	s_wait_storecnt 0x0
	s_barrier_signal -1
	s_barrier_wait -1
	scratch_load_b64 v[70:71], off, off offset:16
	s_mov_b32 s1, exec_lo
	s_wait_loadcnt 0x0
	ds_store_b64 v1, v[70:71]
	s_wait_dscnt 0x0
	s_barrier_signal -1
	s_barrier_wait -1
	v_cmpx_gt_u32_e32 2, v0
	s_cbranch_execz .LBB96_23
; %bb.20:
	scratch_load_b64 v[70:71], v7, off
	ds_load_b64 v[72:73], v1
	s_wait_loadcnt_dscnt 0x0
	v_pk_mul_f32 v[74:75], v[72:73], v[70:71] op_sel:[1,1] op_sel_hi:[0,1]
	s_delay_alu instid0(VALU_DEP_1) | instskip(SKIP_1) | instid1(VALU_DEP_2)
	v_pk_fma_f32 v[76:77], v[72:73], v[70:71], v[74:75] op_sel_hi:[1,0,1]
	v_pk_fma_f32 v[70:71], v[72:73], v[70:71], v[74:75] neg_lo:[0,0,1] neg_hi:[0,0,1]
	v_mov_b32_e32 v71, v77
	s_delay_alu instid0(VALU_DEP_1)
	v_pk_add_f32 v[70:71], v[70:71], 0 op_sel_hi:[1,0]
	s_and_saveexec_b32 s4, s0
	s_cbranch_execz .LBB96_22
; %bb.21:
	scratch_load_b64 v[72:73], off, off offset:8
	v_mov_b32_e32 v7, 0
	ds_load_b64 v[74:75], v7 offset:280
	s_wait_loadcnt_dscnt 0x0
	v_pk_mul_f32 v[76:77], v[74:75], v[72:73] op_sel:[1,1] op_sel_hi:[0,1]
	s_delay_alu instid0(VALU_DEP_1) | instskip(SKIP_1) | instid1(VALU_DEP_2)
	v_pk_fma_f32 v[78:79], v[74:75], v[72:73], v[76:77] op_sel_hi:[1,0,1]
	v_pk_fma_f32 v[72:73], v[74:75], v[72:73], v[76:77] neg_lo:[0,0,1] neg_hi:[0,0,1]
	v_mov_b32_e32 v73, v79
	s_delay_alu instid0(VALU_DEP_1)
	v_pk_add_f32 v[70:71], v[70:71], v[72:73]
.LBB96_22:
	s_or_b32 exec_lo, exec_lo, s4
	v_mov_b32_e32 v7, 0
	ds_load_b64 v[72:73], v7 offset:16
	s_wait_dscnt 0x0
	v_pk_mul_f32 v[74:75], v[70:71], v[72:73] op_sel:[1,1] op_sel_hi:[0,1]
	s_delay_alu instid0(VALU_DEP_1) | instskip(SKIP_1) | instid1(VALU_DEP_2)
	v_pk_fma_f32 v[76:77], v[70:71], v[72:73], v[74:75] op_sel_hi:[1,0,1]
	v_pk_fma_f32 v[70:71], v[70:71], v[72:73], v[74:75] neg_lo:[0,0,1] neg_hi:[0,0,1]
	v_mov_b32_e32 v71, v77
	scratch_store_b64 off, v[70:71], off offset:16
.LBB96_23:
	s_wait_xcnt 0x0
	s_or_b32 exec_lo, exec_lo, s1
	s_wait_storecnt 0x0
	s_barrier_signal -1
	s_barrier_wait -1
	scratch_load_b64 v[70:71], off, off offset:24
	v_add_nc_u32_e32 v7, -1, v0
	s_mov_b32 s0, exec_lo
	s_wait_loadcnt 0x0
	ds_store_b64 v1, v[70:71]
	s_wait_dscnt 0x0
	s_barrier_signal -1
	s_barrier_wait -1
	v_cmpx_gt_u32_e32 3, v0
	s_cbranch_execz .LBB96_27
; %bb.24:
	v_dual_mov_b32 v70, 0 :: v_dual_add_nc_u32 v9, -1, v0
	v_add_nc_u32_e32 v11, 0x110, v68
	v_mov_b32_e32 v13, v68
	s_mov_b32 s1, 0
	s_delay_alu instid0(VALU_DEP_3)
	v_mov_b32_e32 v71, v70
.LBB96_25:                              ; =>This Inner Loop Header: Depth=1
	scratch_load_b64 v[72:73], v13, off
	ds_load_b64 v[74:75], v11
	s_wait_xcnt 0x0
	v_dual_add_nc_u32 v11, 8, v11 :: v_dual_add_nc_u32 v13, 8, v13
	s_wait_loadcnt_dscnt 0x0
	v_pk_mul_f32 v[76:77], v[74:75], v[72:73] op_sel:[1,1] op_sel_hi:[0,1]
	s_delay_alu instid0(VALU_DEP_1) | instskip(SKIP_2) | instid1(VALU_DEP_3)
	v_pk_fma_f32 v[78:79], v[74:75], v[72:73], v[76:77] op_sel_hi:[1,0,1]
	v_add_nc_u32_e32 v9, 1, v9
	v_pk_fma_f32 v[72:73], v[74:75], v[72:73], v[76:77] neg_lo:[0,0,1] neg_hi:[0,0,1]
	v_mov_b32_e32 v73, v79
	s_delay_alu instid0(VALU_DEP_3) | instskip(NEXT) | instid1(VALU_DEP_2)
	v_cmp_lt_u32_e32 vcc_lo, 1, v9
	v_pk_add_f32 v[70:71], v[70:71], v[72:73]
	s_or_b32 s1, vcc_lo, s1
	s_delay_alu instid0(SALU_CYCLE_1)
	s_and_not1_b32 exec_lo, exec_lo, s1
	s_cbranch_execnz .LBB96_25
; %bb.26:
	s_or_b32 exec_lo, exec_lo, s1
	v_mov_b32_e32 v9, 0
	ds_load_b64 v[72:73], v9 offset:24
	s_wait_dscnt 0x0
	v_pk_mul_f32 v[74:75], v[70:71], v[72:73] op_sel:[1,1] op_sel_hi:[0,1]
	s_delay_alu instid0(VALU_DEP_1) | instskip(SKIP_1) | instid1(VALU_DEP_2)
	v_pk_fma_f32 v[76:77], v[70:71], v[72:73], v[74:75] op_sel_hi:[1,0,1]
	v_pk_fma_f32 v[70:71], v[70:71], v[72:73], v[74:75] neg_lo:[0,0,1] neg_hi:[0,0,1]
	v_mov_b32_e32 v71, v77
	scratch_store_b64 off, v[70:71], off offset:24
.LBB96_27:
	s_wait_xcnt 0x0
	s_or_b32 exec_lo, exec_lo, s0
	s_wait_storecnt 0x0
	s_barrier_signal -1
	s_barrier_wait -1
	scratch_load_b64 v[70:71], off, off offset:32
	s_mov_b32 s0, exec_lo
	s_wait_loadcnt 0x0
	ds_store_b64 v1, v[70:71]
	s_wait_dscnt 0x0
	s_barrier_signal -1
	s_barrier_wait -1
	v_cmpx_gt_u32_e32 4, v0
	s_cbranch_execz .LBB96_31
; %bb.28:
	v_dual_mov_b32 v70, 0 :: v_dual_add_nc_u32 v9, -1, v0
	v_add_nc_u32_e32 v11, 0x110, v68
	v_mov_b32_e32 v13, v68
	s_mov_b32 s1, 0
	s_delay_alu instid0(VALU_DEP_3)
	v_mov_b32_e32 v71, v70
.LBB96_29:                              ; =>This Inner Loop Header: Depth=1
	scratch_load_b64 v[72:73], v13, off
	ds_load_b64 v[74:75], v11
	s_wait_xcnt 0x0
	v_dual_add_nc_u32 v11, 8, v11 :: v_dual_add_nc_u32 v13, 8, v13
	s_wait_loadcnt_dscnt 0x0
	v_pk_mul_f32 v[76:77], v[74:75], v[72:73] op_sel:[1,1] op_sel_hi:[0,1]
	s_delay_alu instid0(VALU_DEP_1) | instskip(SKIP_2) | instid1(VALU_DEP_3)
	v_pk_fma_f32 v[78:79], v[74:75], v[72:73], v[76:77] op_sel_hi:[1,0,1]
	v_add_nc_u32_e32 v9, 1, v9
	v_pk_fma_f32 v[72:73], v[74:75], v[72:73], v[76:77] neg_lo:[0,0,1] neg_hi:[0,0,1]
	v_mov_b32_e32 v73, v79
	s_delay_alu instid0(VALU_DEP_3) | instskip(NEXT) | instid1(VALU_DEP_2)
	v_cmp_lt_u32_e32 vcc_lo, 2, v9
	v_pk_add_f32 v[70:71], v[70:71], v[72:73]
	s_or_b32 s1, vcc_lo, s1
	s_delay_alu instid0(SALU_CYCLE_1)
	s_and_not1_b32 exec_lo, exec_lo, s1
	s_cbranch_execnz .LBB96_29
; %bb.30:
	s_or_b32 exec_lo, exec_lo, s1
	v_mov_b32_e32 v9, 0
	ds_load_b64 v[72:73], v9 offset:32
	s_wait_dscnt 0x0
	v_pk_mul_f32 v[74:75], v[70:71], v[72:73] op_sel:[1,1] op_sel_hi:[0,1]
	s_delay_alu instid0(VALU_DEP_1) | instskip(SKIP_1) | instid1(VALU_DEP_2)
	v_pk_fma_f32 v[76:77], v[70:71], v[72:73], v[74:75] op_sel_hi:[1,0,1]
	v_pk_fma_f32 v[70:71], v[70:71], v[72:73], v[74:75] neg_lo:[0,0,1] neg_hi:[0,0,1]
	v_mov_b32_e32 v71, v77
	scratch_store_b64 off, v[70:71], off offset:32
.LBB96_31:
	s_wait_xcnt 0x0
	s_or_b32 exec_lo, exec_lo, s0
	s_wait_storecnt 0x0
	s_barrier_signal -1
	s_barrier_wait -1
	scratch_load_b64 v[70:71], off, off offset:40
	;; [unrolled: 52-line block ×19, first 2 shown]
	s_mov_b32 s0, exec_lo
	s_wait_loadcnt 0x0
	ds_store_b64 v1, v[70:71]
	s_wait_dscnt 0x0
	s_barrier_signal -1
	s_barrier_wait -1
	v_cmpx_gt_u32_e32 22, v0
	s_cbranch_execz .LBB96_103
; %bb.100:
	v_dual_mov_b32 v70, 0 :: v_dual_add_nc_u32 v9, -1, v0
	v_add_nc_u32_e32 v11, 0x110, v68
	v_mov_b32_e32 v13, v68
	s_mov_b32 s1, 0
	s_delay_alu instid0(VALU_DEP_3)
	v_mov_b32_e32 v71, v70
.LBB96_101:                             ; =>This Inner Loop Header: Depth=1
	scratch_load_b64 v[72:73], v13, off
	ds_load_b64 v[74:75], v11
	s_wait_xcnt 0x0
	v_dual_add_nc_u32 v11, 8, v11 :: v_dual_add_nc_u32 v13, 8, v13
	s_wait_loadcnt_dscnt 0x0
	v_pk_mul_f32 v[76:77], v[74:75], v[72:73] op_sel:[1,1] op_sel_hi:[0,1]
	s_delay_alu instid0(VALU_DEP_1) | instskip(SKIP_2) | instid1(VALU_DEP_3)
	v_pk_fma_f32 v[78:79], v[74:75], v[72:73], v[76:77] op_sel_hi:[1,0,1]
	v_add_nc_u32_e32 v9, 1, v9
	v_pk_fma_f32 v[72:73], v[74:75], v[72:73], v[76:77] neg_lo:[0,0,1] neg_hi:[0,0,1]
	v_mov_b32_e32 v73, v79
	s_delay_alu instid0(VALU_DEP_3) | instskip(NEXT) | instid1(VALU_DEP_2)
	v_cmp_lt_u32_e32 vcc_lo, 20, v9
	v_pk_add_f32 v[70:71], v[70:71], v[72:73]
	s_or_b32 s1, vcc_lo, s1
	s_delay_alu instid0(SALU_CYCLE_1)
	s_and_not1_b32 exec_lo, exec_lo, s1
	s_cbranch_execnz .LBB96_101
; %bb.102:
	s_or_b32 exec_lo, exec_lo, s1
	v_mov_b32_e32 v9, 0
	ds_load_b64 v[72:73], v9 offset:176
	s_wait_dscnt 0x0
	v_pk_mul_f32 v[74:75], v[70:71], v[72:73] op_sel:[1,1] op_sel_hi:[0,1]
	s_delay_alu instid0(VALU_DEP_1) | instskip(SKIP_1) | instid1(VALU_DEP_2)
	v_pk_fma_f32 v[76:77], v[70:71], v[72:73], v[74:75] op_sel_hi:[1,0,1]
	v_pk_fma_f32 v[70:71], v[70:71], v[72:73], v[74:75] neg_lo:[0,0,1] neg_hi:[0,0,1]
	v_mov_b32_e32 v71, v77
	scratch_store_b64 off, v[70:71], off offset:176
.LBB96_103:
	s_wait_xcnt 0x0
	s_or_b32 exec_lo, exec_lo, s0
	s_wait_storecnt 0x0
	s_barrier_signal -1
	s_barrier_wait -1
	scratch_load_b64 v[70:71], off, off offset:184
	s_mov_b32 s0, exec_lo
	s_wait_loadcnt 0x0
	ds_store_b64 v1, v[70:71]
	s_wait_dscnt 0x0
	s_barrier_signal -1
	s_barrier_wait -1
	v_cmpx_gt_u32_e32 23, v0
	s_cbranch_execz .LBB96_107
; %bb.104:
	v_dual_mov_b32 v70, 0 :: v_dual_add_nc_u32 v9, -1, v0
	v_add_nc_u32_e32 v11, 0x110, v68
	v_mov_b32_e32 v13, v68
	s_mov_b32 s1, 0
	s_delay_alu instid0(VALU_DEP_3)
	v_mov_b32_e32 v71, v70
.LBB96_105:                             ; =>This Inner Loop Header: Depth=1
	scratch_load_b64 v[72:73], v13, off
	ds_load_b64 v[74:75], v11
	s_wait_xcnt 0x0
	v_dual_add_nc_u32 v11, 8, v11 :: v_dual_add_nc_u32 v13, 8, v13
	s_wait_loadcnt_dscnt 0x0
	v_pk_mul_f32 v[76:77], v[74:75], v[72:73] op_sel:[1,1] op_sel_hi:[0,1]
	s_delay_alu instid0(VALU_DEP_1) | instskip(SKIP_2) | instid1(VALU_DEP_3)
	v_pk_fma_f32 v[78:79], v[74:75], v[72:73], v[76:77] op_sel_hi:[1,0,1]
	v_add_nc_u32_e32 v9, 1, v9
	v_pk_fma_f32 v[72:73], v[74:75], v[72:73], v[76:77] neg_lo:[0,0,1] neg_hi:[0,0,1]
	v_mov_b32_e32 v73, v79
	s_delay_alu instid0(VALU_DEP_3) | instskip(NEXT) | instid1(VALU_DEP_2)
	v_cmp_lt_u32_e32 vcc_lo, 21, v9
	v_pk_add_f32 v[70:71], v[70:71], v[72:73]
	s_or_b32 s1, vcc_lo, s1
	s_delay_alu instid0(SALU_CYCLE_1)
	s_and_not1_b32 exec_lo, exec_lo, s1
	s_cbranch_execnz .LBB96_105
; %bb.106:
	s_or_b32 exec_lo, exec_lo, s1
	v_mov_b32_e32 v9, 0
	ds_load_b64 v[72:73], v9 offset:184
	s_wait_dscnt 0x0
	v_pk_mul_f32 v[74:75], v[70:71], v[72:73] op_sel:[1,1] op_sel_hi:[0,1]
	s_delay_alu instid0(VALU_DEP_1) | instskip(SKIP_1) | instid1(VALU_DEP_2)
	v_pk_fma_f32 v[76:77], v[70:71], v[72:73], v[74:75] op_sel_hi:[1,0,1]
	v_pk_fma_f32 v[70:71], v[70:71], v[72:73], v[74:75] neg_lo:[0,0,1] neg_hi:[0,0,1]
	v_mov_b32_e32 v71, v77
	scratch_store_b64 off, v[70:71], off offset:184
.LBB96_107:
	s_wait_xcnt 0x0
	s_or_b32 exec_lo, exec_lo, s0
	s_wait_storecnt 0x0
	s_barrier_signal -1
	s_barrier_wait -1
	scratch_load_b64 v[70:71], off, off offset:192
	;; [unrolled: 52-line block ×10, first 2 shown]
	s_mov_b32 s0, exec_lo
	s_wait_loadcnt 0x0
	ds_store_b64 v1, v[70:71]
	s_wait_dscnt 0x0
	s_barrier_signal -1
	s_barrier_wait -1
	v_cmpx_ne_u32_e32 32, v0
	s_cbranch_execz .LBB96_143
; %bb.140:
	v_dual_mov_b32 v70, 0 :: v_dual_mov_b32 v9, v68
	s_mov_b32 s1, 0
	s_delay_alu instid0(VALU_DEP_1)
	v_mov_b32_e32 v71, v70
.LBB96_141:                             ; =>This Inner Loop Header: Depth=1
	scratch_load_b64 v[68:69], v9, off
	ds_load_b64 v[72:73], v1
	v_add_nc_u32_e32 v1, 8, v1
	s_wait_xcnt 0x0
	v_add_nc_u32_e32 v9, 8, v9
	s_wait_loadcnt_dscnt 0x0
	v_pk_mul_f32 v[74:75], v[72:73], v[68:69] op_sel:[1,1] op_sel_hi:[0,1]
	s_delay_alu instid0(VALU_DEP_1) | instskip(SKIP_2) | instid1(VALU_DEP_3)
	v_pk_fma_f32 v[76:77], v[72:73], v[68:69], v[74:75] op_sel_hi:[1,0,1]
	v_add_nc_u32_e32 v7, 1, v7
	v_pk_fma_f32 v[68:69], v[72:73], v[68:69], v[74:75] neg_lo:[0,0,1] neg_hi:[0,0,1]
	v_mov_b32_e32 v69, v77
	s_delay_alu instid0(VALU_DEP_3) | instskip(NEXT) | instid1(VALU_DEP_2)
	v_cmp_lt_u32_e32 vcc_lo, 30, v7
	v_pk_add_f32 v[70:71], v[70:71], v[68:69]
	s_or_b32 s1, vcc_lo, s1
	s_delay_alu instid0(SALU_CYCLE_1)
	s_and_not1_b32 exec_lo, exec_lo, s1
	s_cbranch_execnz .LBB96_141
; %bb.142:
	s_or_b32 exec_lo, exec_lo, s1
	v_mov_b32_e32 v1, 0
	ds_load_b64 v[68:69], v1 offset:256
	s_wait_dscnt 0x0
	v_pk_mul_f32 v[72:73], v[70:71], v[68:69] op_sel:[1,1] op_sel_hi:[0,1]
	s_delay_alu instid0(VALU_DEP_1) | instskip(SKIP_1) | instid1(VALU_DEP_2)
	v_pk_fma_f32 v[74:75], v[70:71], v[68:69], v[72:73] op_sel_hi:[1,0,1]
	v_pk_fma_f32 v[68:69], v[70:71], v[68:69], v[72:73] neg_lo:[0,0,1] neg_hi:[0,0,1]
	v_mov_b32_e32 v69, v75
	scratch_store_b64 off, v[68:69], off offset:256
.LBB96_143:
	s_wait_xcnt 0x0
	s_or_b32 exec_lo, exec_lo, s0
	s_mov_b32 s1, -1
	s_wait_storecnt 0x0
	s_barrier_signal -1
	s_barrier_wait -1
.LBB96_144:
	s_and_b32 vcc_lo, exec_lo, s1
	s_cbranch_vccz .LBB96_146
; %bb.145:
	v_mov_b32_e32 v1, 0
	s_lshl_b64 s[0:1], s[10:11], 2
	s_delay_alu instid0(SALU_CYCLE_1)
	s_add_nc_u64 s[0:1], s[6:7], s[0:1]
	global_load_b32 v1, v1, s[0:1]
	s_wait_loadcnt 0x0
	v_cmp_ne_u32_e32 vcc_lo, 0, v1
	s_cbranch_vccz .LBB96_147
.LBB96_146:
	s_sendmsg sendmsg(MSG_DEALLOC_VGPRS)
	s_endpgm
.LBB96_147:
	s_wait_xcnt 0x0
	v_lshl_add_u32 v1, v0, 3, 0x110
	s_mov_b32 s0, exec_lo
	v_cmpx_eq_u32_e32 32, v0
	s_cbranch_execz .LBB96_149
; %bb.148:
	scratch_load_b64 v[68:69], off, off offset:248
	v_mov_b64_e32 v[70:71], 0
	scratch_store_b64 off, v[70:71], off offset:248
	s_wait_loadcnt 0x0
	ds_store_b64 v1, v[68:69]
.LBB96_149:
	s_wait_xcnt 0x0
	s_or_b32 exec_lo, exec_lo, s0
	s_wait_storecnt_dscnt 0x0
	s_barrier_signal -1
	s_barrier_wait -1
	s_clause 0x1
	scratch_load_b64 v[68:69], off, off offset:256
	scratch_load_b64 v[70:71], off, off offset:248
	v_mov_b32_e32 v7, 0
	s_mov_b32 s0, exec_lo
	ds_load_b64 v[72:73], v7 offset:528
	s_wait_loadcnt_dscnt 0x100
	v_pk_mul_f32 v[74:75], v[72:73], v[68:69] op_sel:[1,1] op_sel_hi:[0,1]
	s_delay_alu instid0(VALU_DEP_1) | instskip(SKIP_1) | instid1(VALU_DEP_2)
	v_pk_fma_f32 v[76:77], v[72:73], v[68:69], v[74:75] op_sel_hi:[1,0,1]
	v_pk_fma_f32 v[68:69], v[72:73], v[68:69], v[74:75] neg_lo:[0,0,1] neg_hi:[0,0,1]
	v_mov_b32_e32 v69, v77
	s_delay_alu instid0(VALU_DEP_1) | instskip(SKIP_1) | instid1(VALU_DEP_1)
	v_pk_add_f32 v[68:69], v[68:69], 0 op_sel_hi:[1,0]
	s_wait_loadcnt 0x0
	v_pk_add_f32 v[68:69], v[70:71], v[68:69] neg_lo:[0,1] neg_hi:[0,1]
	scratch_store_b64 off, v[68:69], off offset:248
	s_wait_xcnt 0x0
	v_cmpx_lt_u32_e32 30, v0
	s_cbranch_execz .LBB96_151
; %bb.150:
	scratch_load_b64 v[68:69], off, off offset:240
	v_mov_b64_e32 v[70:71], 0
	scratch_store_b64 off, v[70:71], off offset:240
	s_wait_loadcnt 0x0
	ds_store_b64 v1, v[68:69]
.LBB96_151:
	s_wait_xcnt 0x0
	s_or_b32 exec_lo, exec_lo, s0
	s_wait_storecnt_dscnt 0x0
	s_barrier_signal -1
	s_barrier_wait -1
	s_clause 0x1
	scratch_load_b128 v[68:71], off, off offset:248
	scratch_load_b64 v[76:77], off, off offset:240
	ds_load_2addr_b64 v[72:75], v7 offset0:65 offset1:66
	s_mov_b32 s0, exec_lo
	s_wait_dscnt 0x0
	v_dual_mov_b32 v78, v75 :: v_dual_mov_b32 v79, v74
	s_wait_loadcnt 0x1
	v_pk_mul_f32 v[80:81], v[72:73], v[68:69] op_sel:[1,1] op_sel_hi:[0,1]
	s_delay_alu instid0(VALU_DEP_1) | instskip(SKIP_2) | instid1(VALU_DEP_3)
	v_pk_fma_f32 v[84:85], v[72:73], v[68:69], v[80:81] op_sel_hi:[1,0,1]
	v_mov_b32_e32 v82, v71
	v_pk_fma_f32 v[68:69], v[72:73], v[68:69], v[80:81] neg_lo:[0,0,1] neg_hi:[0,0,1]
	v_mov_b32_e32 v69, v85
	s_delay_alu instid0(VALU_DEP_3) | instskip(NEXT) | instid1(VALU_DEP_2)
	v_pk_mul_f32 v[78:79], v[78:79], v[82:83] op_sel_hi:[1,0]
	v_pk_add_f32 v[68:69], v[68:69], 0 op_sel_hi:[1,0]
	s_delay_alu instid0(VALU_DEP_2) | instskip(SKIP_1) | instid1(VALU_DEP_2)
	v_pk_fma_f32 v[72:73], v[74:75], v[70:71], v[78:79] op_sel_hi:[1,0,1]
	v_pk_fma_f32 v[70:71], v[74:75], v[70:71], v[78:79] neg_lo:[0,0,1] neg_hi:[0,0,1]
	v_mov_b32_e32 v71, v73
	s_delay_alu instid0(VALU_DEP_1) | instskip(SKIP_1) | instid1(VALU_DEP_1)
	v_pk_add_f32 v[68:69], v[68:69], v[70:71]
	s_wait_loadcnt 0x0
	v_pk_add_f32 v[68:69], v[76:77], v[68:69] neg_lo:[0,1] neg_hi:[0,1]
	scratch_store_b64 off, v[68:69], off offset:240
	s_wait_xcnt 0x0
	v_cmpx_lt_u32_e32 29, v0
	s_cbranch_execz .LBB96_153
; %bb.152:
	scratch_load_b64 v[68:69], off, off offset:232
	v_mov_b64_e32 v[70:71], 0
	scratch_store_b64 off, v[70:71], off offset:232
	s_wait_loadcnt 0x0
	ds_store_b64 v1, v[68:69]
.LBB96_153:
	s_wait_xcnt 0x0
	s_or_b32 exec_lo, exec_lo, s0
	s_wait_storecnt_dscnt 0x0
	s_barrier_signal -1
	s_barrier_wait -1
	s_clause 0x2
	scratch_load_b128 v[68:71], off, off offset:240
	scratch_load_b64 v[76:77], off, off offset:256
	scratch_load_b64 v[78:79], off, off offset:232
	v_mov_b32_e32 v7, 0
	ds_load_b128 v[72:75], v7 offset:512
	ds_load_b64 v[80:81], v7 offset:528
	s_mov_b32 s0, exec_lo
	s_wait_dscnt 0x1
	v_dual_mov_b32 v82, v75 :: v_dual_mov_b32 v83, v74
	s_wait_loadcnt 0x2
	v_mov_b32_e32 v86, v71
	v_pk_mul_f32 v[84:85], v[72:73], v[68:69] op_sel:[1,1] op_sel_hi:[0,1]
	s_delay_alu instid0(VALU_DEP_2) | instskip(NEXT) | instid1(VALU_DEP_2)
	v_pk_mul_f32 v[82:83], v[82:83], v[86:87] op_sel_hi:[1,0]
	v_pk_fma_f32 v[88:89], v[72:73], v[68:69], v[84:85] op_sel_hi:[1,0,1]
	v_pk_fma_f32 v[68:69], v[72:73], v[68:69], v[84:85] neg_lo:[0,0,1] neg_hi:[0,0,1]
	s_wait_loadcnt_dscnt 0x100
	v_pk_mul_f32 v[84:85], v[80:81], v[76:77] op_sel:[1,1] op_sel_hi:[0,1]
	v_pk_fma_f32 v[72:73], v[74:75], v[70:71], v[82:83] op_sel_hi:[1,0,1]
	v_mov_b32_e32 v69, v89
	v_pk_fma_f32 v[70:71], v[74:75], v[70:71], v[82:83] neg_lo:[0,0,1] neg_hi:[0,0,1]
	s_delay_alu instid0(VALU_DEP_4) | instskip(NEXT) | instid1(VALU_DEP_4)
	v_pk_fma_f32 v[74:75], v[80:81], v[76:77], v[84:85] neg_lo:[0,0,1] neg_hi:[0,0,1]
	v_mov_b32_e32 v71, v73
	s_delay_alu instid0(VALU_DEP_4) | instskip(SKIP_1) | instid1(VALU_DEP_2)
	v_pk_add_f32 v[68:69], v[68:69], 0 op_sel_hi:[1,0]
	v_pk_fma_f32 v[72:73], v[80:81], v[76:77], v[84:85] op_sel_hi:[1,0,1]
	v_pk_add_f32 v[68:69], v[68:69], v[70:71]
	s_delay_alu instid0(VALU_DEP_2) | instskip(NEXT) | instid1(VALU_DEP_1)
	v_mov_b32_e32 v75, v73
	v_pk_add_f32 v[68:69], v[68:69], v[74:75]
	s_wait_loadcnt 0x0
	s_delay_alu instid0(VALU_DEP_1)
	v_pk_add_f32 v[68:69], v[78:79], v[68:69] neg_lo:[0,1] neg_hi:[0,1]
	scratch_store_b64 off, v[68:69], off offset:232
	s_wait_xcnt 0x0
	v_cmpx_lt_u32_e32 28, v0
	s_cbranch_execz .LBB96_155
; %bb.154:
	scratch_load_b64 v[68:69], off, off offset:224
	v_mov_b64_e32 v[70:71], 0
	scratch_store_b64 off, v[70:71], off offset:224
	s_wait_loadcnt 0x0
	ds_store_b64 v1, v[68:69]
.LBB96_155:
	s_wait_xcnt 0x0
	s_or_b32 exec_lo, exec_lo, s0
	s_wait_storecnt_dscnt 0x0
	s_barrier_signal -1
	s_barrier_wait -1
	s_clause 0x2
	scratch_load_b128 v[68:71], off, off offset:232
	scratch_load_b128 v[72:75], off, off offset:248
	scratch_load_b64 v[84:85], off, off offset:224
	ds_load_2addr_b64 v[76:79], v7 offset0:63 offset1:64
	ds_load_2addr_b64 v[80:83], v7 offset0:65 offset1:66
	s_mov_b32 s0, exec_lo
	s_wait_dscnt 0x1
	v_dual_mov_b32 v86, v79 :: v_dual_mov_b32 v87, v78
	s_wait_loadcnt_dscnt 0x200
	v_dual_mov_b32 v92, v83 :: v_dual_mov_b32 v90, v71
	v_pk_mul_f32 v[88:89], v[76:77], v[68:69] op_sel:[1,1] op_sel_hi:[0,1]
	s_delay_alu instid0(VALU_DEP_2) | instskip(NEXT) | instid1(VALU_DEP_2)
	v_pk_mul_f32 v[86:87], v[86:87], v[90:91] op_sel_hi:[1,0]
	v_pk_fma_f32 v[94:95], v[76:77], v[68:69], v[88:89] op_sel_hi:[1,0,1]
	v_pk_fma_f32 v[68:69], v[76:77], v[68:69], v[88:89] neg_lo:[0,0,1] neg_hi:[0,0,1]
	v_mov_b32_e32 v93, v82
	s_wait_loadcnt 0x1
	v_pk_mul_f32 v[90:91], v[80:81], v[72:73] op_sel:[1,1] op_sel_hi:[0,1]
	v_pk_fma_f32 v[76:77], v[78:79], v[70:71], v[86:87] op_sel_hi:[1,0,1]
	v_dual_mov_b32 v69, v95 :: v_dual_mov_b32 v76, v75
	v_pk_fma_f32 v[70:71], v[78:79], v[70:71], v[86:87] neg_lo:[0,0,1] neg_hi:[0,0,1]
	s_delay_alu instid0(VALU_DEP_4) | instskip(NEXT) | instid1(VALU_DEP_4)
	v_pk_fma_f32 v[88:89], v[80:81], v[72:73], v[90:91] op_sel_hi:[1,0,1]
	v_mov_b32_e32 v71, v77
	s_delay_alu instid0(VALU_DEP_4) | instskip(SKIP_2) | instid1(VALU_DEP_3)
	v_pk_add_f32 v[68:69], v[68:69], 0 op_sel_hi:[1,0]
	v_pk_mul_f32 v[76:77], v[92:93], v[76:77] op_sel_hi:[1,0]
	v_pk_fma_f32 v[72:73], v[80:81], v[72:73], v[90:91] neg_lo:[0,0,1] neg_hi:[0,0,1]
	v_pk_add_f32 v[68:69], v[68:69], v[70:71]
	s_delay_alu instid0(VALU_DEP_3) | instskip(SKIP_2) | instid1(VALU_DEP_3)
	v_pk_fma_f32 v[70:71], v[82:83], v[74:75], v[76:77] op_sel_hi:[1,0,1]
	v_mov_b32_e32 v73, v89
	v_pk_fma_f32 v[74:75], v[82:83], v[74:75], v[76:77] neg_lo:[0,0,1] neg_hi:[0,0,1]
	v_mov_b32_e32 v75, v71
	s_delay_alu instid0(VALU_DEP_3) | instskip(NEXT) | instid1(VALU_DEP_1)
	v_pk_add_f32 v[68:69], v[68:69], v[72:73]
	v_pk_add_f32 v[68:69], v[68:69], v[74:75]
	s_wait_loadcnt 0x0
	s_delay_alu instid0(VALU_DEP_1)
	v_pk_add_f32 v[68:69], v[84:85], v[68:69] neg_lo:[0,1] neg_hi:[0,1]
	scratch_store_b64 off, v[68:69], off offset:224
	s_wait_xcnt 0x0
	v_cmpx_lt_u32_e32 27, v0
	s_cbranch_execz .LBB96_157
; %bb.156:
	scratch_load_b64 v[68:69], off, off offset:216
	v_mov_b64_e32 v[70:71], 0
	scratch_store_b64 off, v[70:71], off offset:216
	s_wait_loadcnt 0x0
	ds_store_b64 v1, v[68:69]
.LBB96_157:
	s_wait_xcnt 0x0
	s_or_b32 exec_lo, exec_lo, s0
	s_wait_storecnt_dscnt 0x0
	s_barrier_signal -1
	s_barrier_wait -1
	s_clause 0x3
	scratch_load_b128 v[68:71], off, off offset:224
	scratch_load_b128 v[72:75], off, off offset:240
	scratch_load_b64 v[84:85], off, off offset:256
	scratch_load_b64 v[86:87], off, off offset:216
	v_mov_b32_e32 v7, 0
	ds_load_b128 v[76:79], v7 offset:496
	ds_load_b128 v[80:83], v7 offset:512
	s_mov_b32 s0, exec_lo
	s_wait_dscnt 0x1
	v_dual_mov_b32 v88, v79 :: v_dual_mov_b32 v89, v78
	ds_load_b64 v[94:95], v7 offset:528
	s_wait_dscnt 0x1
	v_dual_mov_b32 v96, v83 :: v_dual_mov_b32 v97, v82
	s_wait_loadcnt 0x3
	v_pk_mul_f32 v[90:91], v[76:77], v[68:69] op_sel:[1,1] op_sel_hi:[0,1]
	v_mov_b32_e32 v92, v71
	s_delay_alu instid0(VALU_DEP_2) | instskip(NEXT) | instid1(VALU_DEP_2)
	v_pk_fma_f32 v[98:99], v[76:77], v[68:69], v[90:91] op_sel_hi:[1,0,1]
	v_pk_mul_f32 v[88:89], v[88:89], v[92:93] op_sel_hi:[1,0]
	v_pk_fma_f32 v[68:69], v[76:77], v[68:69], v[90:91] neg_lo:[0,0,1] neg_hi:[0,0,1]
	s_wait_loadcnt 0x2
	v_pk_mul_f32 v[92:93], v[80:81], v[72:73] op_sel:[1,1] op_sel_hi:[0,1]
	v_dual_mov_b32 v98, v75 :: v_dual_mov_b32 v69, v99
	v_pk_fma_f32 v[76:77], v[78:79], v[70:71], v[88:89] op_sel_hi:[1,0,1]
	v_pk_fma_f32 v[70:71], v[78:79], v[70:71], v[88:89] neg_lo:[0,0,1] neg_hi:[0,0,1]
	s_delay_alu instid0(VALU_DEP_4) | instskip(NEXT) | instid1(VALU_DEP_4)
	v_pk_fma_f32 v[90:91], v[80:81], v[72:73], v[92:93] op_sel_hi:[1,0,1]
	v_pk_mul_f32 v[96:97], v[96:97], v[98:99] op_sel_hi:[1,0]
	v_pk_add_f32 v[68:69], v[68:69], 0 op_sel_hi:[1,0]
	v_mov_b32_e32 v71, v77
	v_pk_fma_f32 v[72:73], v[80:81], v[72:73], v[92:93] neg_lo:[0,0,1] neg_hi:[0,0,1]
	v_mov_b32_e32 v73, v91
	v_pk_fma_f32 v[76:77], v[82:83], v[74:75], v[96:97] op_sel_hi:[1,0,1]
	v_pk_fma_f32 v[74:75], v[82:83], v[74:75], v[96:97] neg_lo:[0,0,1] neg_hi:[0,0,1]
	v_pk_add_f32 v[68:69], v[68:69], v[70:71]
	s_wait_loadcnt_dscnt 0x100
	v_pk_mul_f32 v[70:71], v[94:95], v[84:85] op_sel:[1,1] op_sel_hi:[0,1]
	s_delay_alu instid0(VALU_DEP_2) | instskip(NEXT) | instid1(VALU_DEP_2)
	v_pk_add_f32 v[68:69], v[68:69], v[72:73]
	v_pk_fma_f32 v[72:73], v[94:95], v[84:85], v[70:71] op_sel_hi:[1,0,1]
	v_mov_b32_e32 v75, v77
	v_pk_fma_f32 v[70:71], v[94:95], v[84:85], v[70:71] neg_lo:[0,0,1] neg_hi:[0,0,1]
	s_delay_alu instid0(VALU_DEP_3) | instskip(NEXT) | instid1(VALU_DEP_3)
	v_mov_b32_e32 v71, v73
	v_pk_add_f32 v[68:69], v[68:69], v[74:75]
	s_delay_alu instid0(VALU_DEP_1) | instskip(SKIP_1) | instid1(VALU_DEP_1)
	v_pk_add_f32 v[68:69], v[68:69], v[70:71]
	s_wait_loadcnt 0x0
	v_pk_add_f32 v[68:69], v[86:87], v[68:69] neg_lo:[0,1] neg_hi:[0,1]
	scratch_store_b64 off, v[68:69], off offset:216
	s_wait_xcnt 0x0
	v_cmpx_lt_u32_e32 26, v0
	s_cbranch_execz .LBB96_159
; %bb.158:
	scratch_load_b64 v[68:69], off, off offset:208
	v_mov_b64_e32 v[70:71], 0
	scratch_store_b64 off, v[70:71], off offset:208
	s_wait_loadcnt 0x0
	ds_store_b64 v1, v[68:69]
.LBB96_159:
	s_wait_xcnt 0x0
	s_or_b32 exec_lo, exec_lo, s0
	s_wait_storecnt_dscnt 0x0
	s_barrier_signal -1
	s_barrier_wait -1
	s_clause 0x3
	scratch_load_b128 v[68:71], off, off offset:216
	scratch_load_b128 v[72:75], off, off offset:232
	;; [unrolled: 1-line block ×3, first 2 shown]
	scratch_load_b64 v[92:93], off, off offset:208
	ds_load_2addr_b64 v[80:83], v7 offset0:61 offset1:62
	ds_load_2addr_b64 v[84:87], v7 offset0:63 offset1:64
	;; [unrolled: 1-line block ×3, first 2 shown]
	s_mov_b32 s0, exec_lo
	s_wait_dscnt 0x2
	v_dual_mov_b32 v94, v83 :: v_dual_mov_b32 v95, v82
	s_wait_dscnt 0x1
	v_dual_mov_b32 v96, v87 :: v_dual_mov_b32 v97, v86
	;; [unrolled: 2-line block ×3, first 2 shown]
	s_wait_loadcnt 0x3
	v_pk_mul_f32 v[98:99], v[80:81], v[68:69] op_sel:[1,1] op_sel_hi:[0,1]
	v_mov_b32_e32 v100, v71
	s_delay_alu instid0(VALU_DEP_2) | instskip(NEXT) | instid1(VALU_DEP_2)
	v_pk_fma_f32 v[104:105], v[80:81], v[68:69], v[98:99] op_sel_hi:[1,0,1]
	v_pk_mul_f32 v[94:95], v[94:95], v[100:101] op_sel_hi:[1,0]
	v_pk_fma_f32 v[68:69], v[80:81], v[68:69], v[98:99] neg_lo:[0,0,1] neg_hi:[0,0,1]
	s_wait_loadcnt 0x2
	v_pk_mul_f32 v[100:101], v[84:85], v[72:73] op_sel:[1,1] op_sel_hi:[0,1]
	v_mov_b32_e32 v104, v75
	v_pk_fma_f32 v[80:81], v[82:83], v[70:71], v[94:95] op_sel_hi:[1,0,1]
	v_mov_b32_e32 v69, v105
	v_pk_fma_f32 v[70:71], v[82:83], v[70:71], v[94:95] neg_lo:[0,0,1] neg_hi:[0,0,1]
	v_pk_fma_f32 v[98:99], v[84:85], v[72:73], v[100:101] op_sel_hi:[1,0,1]
	v_pk_mul_f32 v[96:97], v[96:97], v[104:105] op_sel_hi:[1,0]
	v_mov_b32_e32 v71, v81
	v_pk_add_f32 v[68:69], v[68:69], 0 op_sel_hi:[1,0]
	v_pk_fma_f32 v[72:73], v[84:85], v[72:73], v[100:101] neg_lo:[0,0,1] neg_hi:[0,0,1]
	s_wait_loadcnt 0x1
	v_pk_mul_f32 v[80:81], v[88:89], v[76:77] op_sel:[1,1] op_sel_hi:[0,1]
	v_mov_b32_e32 v73, v99
	v_pk_fma_f32 v[82:83], v[86:87], v[74:75], v[96:97] op_sel_hi:[1,0,1]
	v_pk_add_f32 v[68:69], v[68:69], v[70:71]
	v_mov_b32_e32 v70, v79
	v_pk_fma_f32 v[74:75], v[86:87], v[74:75], v[96:97] neg_lo:[0,0,1] neg_hi:[0,0,1]
	v_pk_fma_f32 v[84:85], v[88:89], v[76:77], v[80:81] op_sel_hi:[1,0,1]
	v_mov_b32_e32 v75, v83
	v_pk_add_f32 v[68:69], v[68:69], v[72:73]
	v_pk_mul_f32 v[70:71], v[102:103], v[70:71] op_sel_hi:[1,0]
	v_pk_fma_f32 v[72:73], v[88:89], v[76:77], v[80:81] neg_lo:[0,0,1] neg_hi:[0,0,1]
	v_mov_b32_e32 v73, v85
	s_delay_alu instid0(VALU_DEP_4) | instskip(NEXT) | instid1(VALU_DEP_4)
	v_pk_add_f32 v[68:69], v[68:69], v[74:75]
	v_pk_fma_f32 v[74:75], v[90:91], v[78:79], v[70:71] op_sel_hi:[1,0,1]
	v_pk_fma_f32 v[70:71], v[90:91], v[78:79], v[70:71] neg_lo:[0,0,1] neg_hi:[0,0,1]
	s_delay_alu instid0(VALU_DEP_3) | instskip(NEXT) | instid1(VALU_DEP_3)
	v_pk_add_f32 v[68:69], v[68:69], v[72:73]
	v_mov_b32_e32 v71, v75
	s_delay_alu instid0(VALU_DEP_1) | instskip(SKIP_1) | instid1(VALU_DEP_1)
	v_pk_add_f32 v[68:69], v[68:69], v[70:71]
	s_wait_loadcnt 0x0
	v_pk_add_f32 v[68:69], v[92:93], v[68:69] neg_lo:[0,1] neg_hi:[0,1]
	scratch_store_b64 off, v[68:69], off offset:208
	s_wait_xcnt 0x0
	v_cmpx_lt_u32_e32 25, v0
	s_cbranch_execz .LBB96_161
; %bb.160:
	scratch_load_b64 v[68:69], off, off offset:200
	v_mov_b64_e32 v[70:71], 0
	scratch_store_b64 off, v[70:71], off offset:200
	s_wait_loadcnt 0x0
	ds_store_b64 v1, v[68:69]
.LBB96_161:
	s_wait_xcnt 0x0
	s_or_b32 exec_lo, exec_lo, s0
	s_wait_storecnt_dscnt 0x0
	s_barrier_signal -1
	s_barrier_wait -1
	s_clause 0x4
	scratch_load_b128 v[68:71], off, off offset:208
	scratch_load_b128 v[72:75], off, off offset:224
	;; [unrolled: 1-line block ×3, first 2 shown]
	scratch_load_b64 v[92:93], off, off offset:256
	scratch_load_b64 v[94:95], off, off offset:200
	v_mov_b32_e32 v7, 0
	ds_load_b128 v[80:83], v7 offset:480
	ds_load_b128 v[84:87], v7 offset:496
	;; [unrolled: 1-line block ×3, first 2 shown]
	ds_load_b64 v[96:97], v7 offset:528
	s_mov_b32 s0, exec_lo
	s_wait_dscnt 0x3
	v_dual_mov_b32 v98, v83 :: v_dual_mov_b32 v99, v82
	s_wait_dscnt 0x2
	v_dual_mov_b32 v100, v87 :: v_dual_mov_b32 v101, v86
	;; [unrolled: 2-line block ×3, first 2 shown]
	s_wait_loadcnt 0x4
	v_pk_mul_f32 v[102:103], v[80:81], v[68:69] op_sel:[1,1] op_sel_hi:[0,1]
	v_mov_b32_e32 v104, v71
	s_wait_loadcnt 0x3
	v_pk_mul_f32 v[108:109], v[84:85], v[72:73] op_sel:[1,1] op_sel_hi:[0,1]
	s_wait_loadcnt 0x2
	v_pk_mul_f32 v[112:113], v[88:89], v[76:77] op_sel:[1,1] op_sel_hi:[0,1]
	v_pk_fma_f32 v[110:111], v[80:81], v[68:69], v[102:103] op_sel_hi:[1,0,1]
	v_pk_mul_f32 v[98:99], v[98:99], v[104:105] op_sel_hi:[1,0]
	v_pk_fma_f32 v[68:69], v[80:81], v[68:69], v[102:103] neg_lo:[0,0,1] neg_hi:[0,0,1]
	v_mov_b32_e32 v104, v75
	v_pk_fma_f32 v[102:103], v[84:85], v[72:73], v[108:109] op_sel_hi:[1,0,1]
	v_mov_b32_e32 v69, v111
	v_pk_fma_f32 v[80:81], v[82:83], v[70:71], v[98:99] op_sel_hi:[1,0,1]
	v_pk_fma_f32 v[70:71], v[82:83], v[70:71], v[98:99] neg_lo:[0,0,1] neg_hi:[0,0,1]
	v_pk_mul_f32 v[100:101], v[100:101], v[104:105] op_sel_hi:[1,0]
	v_pk_fma_f32 v[72:73], v[84:85], v[72:73], v[108:109] neg_lo:[0,0,1] neg_hi:[0,0,1]
	v_pk_add_f32 v[68:69], v[68:69], 0 op_sel_hi:[1,0]
	v_dual_mov_b32 v71, v81 :: v_dual_mov_b32 v80, v79
	s_delay_alu instid0(VALU_DEP_4) | instskip(SKIP_2) | instid1(VALU_DEP_4)
	v_pk_fma_f32 v[82:83], v[86:87], v[74:75], v[100:101] op_sel_hi:[1,0,1]
	v_mov_b32_e32 v73, v103
	v_pk_fma_f32 v[74:75], v[86:87], v[74:75], v[100:101] neg_lo:[0,0,1] neg_hi:[0,0,1]
	v_pk_add_f32 v[68:69], v[68:69], v[70:71]
	v_pk_fma_f32 v[70:71], v[88:89], v[76:77], v[112:113] op_sel_hi:[1,0,1]
	v_pk_mul_f32 v[80:81], v[106:107], v[80:81] op_sel_hi:[1,0]
	v_mov_b32_e32 v75, v83
	s_delay_alu instid0(VALU_DEP_4)
	v_pk_add_f32 v[68:69], v[68:69], v[72:73]
	v_pk_fma_f32 v[72:73], v[88:89], v[76:77], v[112:113] neg_lo:[0,0,1] neg_hi:[0,0,1]
	v_mov_b32_e32 v73, v71
	v_pk_fma_f32 v[70:71], v[90:91], v[78:79], v[80:81] op_sel_hi:[1,0,1]
	v_pk_fma_f32 v[76:77], v[90:91], v[78:79], v[80:81] neg_lo:[0,0,1] neg_hi:[0,0,1]
	v_pk_add_f32 v[68:69], v[68:69], v[74:75]
	s_wait_loadcnt_dscnt 0x100
	v_pk_mul_f32 v[74:75], v[96:97], v[92:93] op_sel:[1,1] op_sel_hi:[0,1]
	v_mov_b32_e32 v77, v71
	s_delay_alu instid0(VALU_DEP_3) | instskip(NEXT) | instid1(VALU_DEP_3)
	v_pk_add_f32 v[68:69], v[68:69], v[72:73]
	v_pk_fma_f32 v[70:71], v[96:97], v[92:93], v[74:75] op_sel_hi:[1,0,1]
	v_pk_fma_f32 v[72:73], v[96:97], v[92:93], v[74:75] neg_lo:[0,0,1] neg_hi:[0,0,1]
	s_delay_alu instid0(VALU_DEP_3) | instskip(NEXT) | instid1(VALU_DEP_3)
	v_pk_add_f32 v[68:69], v[68:69], v[76:77]
	v_mov_b32_e32 v73, v71
	s_delay_alu instid0(VALU_DEP_1) | instskip(SKIP_1) | instid1(VALU_DEP_1)
	v_pk_add_f32 v[68:69], v[68:69], v[72:73]
	s_wait_loadcnt 0x0
	v_pk_add_f32 v[68:69], v[94:95], v[68:69] neg_lo:[0,1] neg_hi:[0,1]
	scratch_store_b64 off, v[68:69], off offset:200
	s_wait_xcnt 0x0
	v_cmpx_lt_u32_e32 24, v0
	s_cbranch_execz .LBB96_163
; %bb.162:
	scratch_load_b64 v[68:69], off, off offset:192
	v_mov_b64_e32 v[70:71], 0
	scratch_store_b64 off, v[70:71], off offset:192
	s_wait_loadcnt 0x0
	ds_store_b64 v1, v[68:69]
.LBB96_163:
	s_wait_xcnt 0x0
	s_or_b32 exec_lo, exec_lo, s0
	s_wait_storecnt_dscnt 0x0
	s_barrier_signal -1
	s_barrier_wait -1
	s_clause 0x4
	scratch_load_b128 v[68:71], off, off offset:200
	scratch_load_b128 v[72:75], off, off offset:216
	;; [unrolled: 1-line block ×4, first 2 shown]
	scratch_load_b64 v[100:101], off, off offset:192
	ds_load_2addr_b64 v[84:87], v7 offset0:59 offset1:60
	ds_load_2addr_b64 v[88:91], v7 offset0:61 offset1:62
	;; [unrolled: 1-line block ×4, first 2 shown]
	s_mov_b32 s0, exec_lo
	s_wait_dscnt 0x3
	v_dual_mov_b32 v102, v87 :: v_dual_mov_b32 v103, v86
	s_wait_dscnt 0x2
	v_dual_mov_b32 v104, v91 :: v_dual_mov_b32 v105, v90
	;; [unrolled: 2-line block ×3, first 2 shown]
	v_dual_mov_b32 v107, v94 :: v_dual_mov_b32 v112, v99
	s_wait_loadcnt 0x4
	v_mov_b32_e32 v110, v71
	v_pk_mul_f32 v[108:109], v[84:85], v[68:69] op_sel:[1,1] op_sel_hi:[0,1]
	s_wait_loadcnt 0x3
	v_pk_mul_f32 v[114:115], v[88:89], v[72:73] op_sel:[1,1] op_sel_hi:[0,1]
	s_wait_loadcnt 0x2
	v_pk_mul_f32 v[118:119], v[92:93], v[76:77] op_sel:[1,1] op_sel_hi:[0,1]
	v_pk_mul_f32 v[102:103], v[102:103], v[110:111] op_sel_hi:[1,0]
	v_pk_fma_f32 v[116:117], v[84:85], v[68:69], v[108:109] op_sel_hi:[1,0,1]
	v_pk_fma_f32 v[68:69], v[84:85], v[68:69], v[108:109] neg_lo:[0,0,1] neg_hi:[0,0,1]
	v_mov_b32_e32 v110, v75
	v_pk_fma_f32 v[108:109], v[88:89], v[72:73], v[114:115] op_sel_hi:[1,0,1]
	v_pk_fma_f32 v[84:85], v[86:87], v[70:71], v[102:103] op_sel_hi:[1,0,1]
	v_mov_b32_e32 v69, v117
	v_pk_fma_f32 v[70:71], v[86:87], v[70:71], v[102:103] neg_lo:[0,0,1] neg_hi:[0,0,1]
	v_pk_mul_f32 v[104:105], v[104:105], v[110:111] op_sel_hi:[1,0]
	s_delay_alu instid0(VALU_DEP_4) | instskip(NEXT) | instid1(VALU_DEP_4)
	v_dual_mov_b32 v84, v79 :: v_dual_mov_b32 v71, v85
	v_pk_add_f32 v[68:69], v[68:69], 0 op_sel_hi:[1,0]
	v_pk_fma_f32 v[72:73], v[88:89], v[72:73], v[114:115] neg_lo:[0,0,1] neg_hi:[0,0,1]
	v_mov_b32_e32 v73, v109
	v_pk_fma_f32 v[86:87], v[90:91], v[74:75], v[104:105] op_sel_hi:[1,0,1]
	v_pk_mul_f32 v[84:85], v[106:107], v[84:85] op_sel_hi:[1,0]
	v_pk_add_f32 v[68:69], v[68:69], v[70:71]
	v_pk_fma_f32 v[70:71], v[92:93], v[76:77], v[118:119] op_sel_hi:[1,0,1]
	v_pk_fma_f32 v[74:75], v[90:91], v[74:75], v[104:105] neg_lo:[0,0,1] neg_hi:[0,0,1]
	v_mov_b32_e32 v75, v87
	v_pk_fma_f32 v[76:77], v[92:93], v[76:77], v[118:119] neg_lo:[0,0,1] neg_hi:[0,0,1]
	v_pk_add_f32 v[68:69], v[68:69], v[72:73]
	v_mov_b32_e32 v77, v71
	v_pk_fma_f32 v[70:71], v[94:95], v[78:79], v[84:85] op_sel_hi:[1,0,1]
	s_wait_loadcnt 0x1
	v_pk_mul_f32 v[72:73], v[96:97], v[80:81] op_sel:[1,1] op_sel_hi:[0,1]
	v_mov_b32_e32 v70, v83
	v_pk_add_f32 v[68:69], v[68:69], v[74:75]
	v_pk_fma_f32 v[78:79], v[94:95], v[78:79], v[84:85] neg_lo:[0,0,1] neg_hi:[0,0,1]
	v_mov_b32_e32 v79, v71
	v_pk_fma_f32 v[74:75], v[96:97], v[80:81], v[72:73] op_sel_hi:[1,0,1]
	v_pk_mul_f32 v[70:71], v[112:113], v[70:71] op_sel_hi:[1,0]
	v_pk_add_f32 v[68:69], v[68:69], v[76:77]
	v_pk_fma_f32 v[72:73], v[96:97], v[80:81], v[72:73] neg_lo:[0,0,1] neg_hi:[0,0,1]
	s_delay_alu instid0(VALU_DEP_4) | instskip(NEXT) | instid1(VALU_DEP_4)
	v_mov_b32_e32 v73, v75
	v_pk_fma_f32 v[74:75], v[98:99], v[82:83], v[70:71] op_sel_hi:[1,0,1]
	s_delay_alu instid0(VALU_DEP_4) | instskip(SKIP_1) | instid1(VALU_DEP_3)
	v_pk_add_f32 v[68:69], v[68:69], v[78:79]
	v_pk_fma_f32 v[70:71], v[98:99], v[82:83], v[70:71] neg_lo:[0,0,1] neg_hi:[0,0,1]
	v_mov_b32_e32 v71, v75
	s_delay_alu instid0(VALU_DEP_3) | instskip(NEXT) | instid1(VALU_DEP_1)
	v_pk_add_f32 v[68:69], v[68:69], v[72:73]
	v_pk_add_f32 v[68:69], v[68:69], v[70:71]
	s_wait_loadcnt 0x0
	s_delay_alu instid0(VALU_DEP_1)
	v_pk_add_f32 v[68:69], v[100:101], v[68:69] neg_lo:[0,1] neg_hi:[0,1]
	scratch_store_b64 off, v[68:69], off offset:192
	s_wait_xcnt 0x0
	v_cmpx_lt_u32_e32 23, v0
	s_cbranch_execz .LBB96_165
; %bb.164:
	scratch_load_b64 v[68:69], off, off offset:184
	v_mov_b64_e32 v[70:71], 0
	scratch_store_b64 off, v[70:71], off offset:184
	s_wait_loadcnt 0x0
	ds_store_b64 v1, v[68:69]
.LBB96_165:
	s_wait_xcnt 0x0
	s_or_b32 exec_lo, exec_lo, s0
	s_wait_storecnt_dscnt 0x0
	s_barrier_signal -1
	s_barrier_wait -1
	s_clause 0x5
	scratch_load_b128 v[68:71], off, off offset:192
	scratch_load_b128 v[72:75], off, off offset:208
	;; [unrolled: 1-line block ×4, first 2 shown]
	scratch_load_b64 v[100:101], off, off offset:256
	scratch_load_b64 v[102:103], off, off offset:184
	v_mov_b32_e32 v7, 0
	ds_load_b128 v[84:87], v7 offset:464
	ds_load_b128 v[88:91], v7 offset:480
	;; [unrolled: 1-line block ×4, first 2 shown]
	ds_load_b64 v[104:105], v7 offset:528
	s_mov_b32 s0, exec_lo
	s_wait_dscnt 0x4
	v_dual_mov_b32 v106, v87 :: v_dual_mov_b32 v107, v86
	s_wait_dscnt 0x1
	v_dual_mov_b32 v108, v91 :: v_dual_mov_b32 v113, v98
	v_dual_mov_b32 v109, v90 :: v_dual_mov_b32 v110, v95
	;; [unrolled: 1-line block ×3, first 2 shown]
	s_wait_loadcnt 0x5
	v_dual_mov_b32 v114, v71 :: v_dual_mul_f32 v115, v84, v69
	v_mul_f32_e32 v9, v85, v69
	s_wait_loadcnt 0x4
	v_pk_mul_f32 v[116:117], v[88:89], v[72:73] op_sel:[1,1] op_sel_hi:[0,1]
	v_mov_b32_e32 v118, v75
	s_wait_loadcnt 0x3
	v_pk_mul_f32 v[120:121], v[92:93], v[76:77] op_sel:[1,1] op_sel_hi:[0,1]
	v_pk_mul_f32 v[106:107], v[106:107], v[114:115] op_sel_hi:[1,0]
	v_dual_fmac_f32 v115, v85, v68 :: v_dual_fma_f32 v114, v84, v68, -v9
	v_mov_b32_e32 v68, v79
	v_pk_fma_f32 v[122:123], v[88:89], v[72:73], v[116:117] op_sel_hi:[1,0,1]
	s_delay_alu instid0(VALU_DEP_4)
	v_pk_fma_f32 v[84:85], v[86:87], v[70:71], v[106:107] op_sel_hi:[1,0,1]
	v_pk_fma_f32 v[70:71], v[86:87], v[70:71], v[106:107] neg_lo:[0,0,1] neg_hi:[0,0,1]
	v_pk_mul_f32 v[108:109], v[108:109], v[118:119] op_sel_hi:[1,0]
	v_pk_add_f32 v[114:115], v[114:115], 0 op_sel_hi:[1,0]
	v_pk_fma_f32 v[72:73], v[88:89], v[72:73], v[116:117] neg_lo:[0,0,1] neg_hi:[0,0,1]
	v_dual_mov_b32 v71, v85 :: v_dual_mov_b32 v73, v123
	s_delay_alu instid0(VALU_DEP_4) | instskip(SKIP_2) | instid1(VALU_DEP_4)
	v_pk_fma_f32 v[86:87], v[90:91], v[74:75], v[108:109] op_sel_hi:[1,0,1]
	v_pk_fma_f32 v[74:75], v[90:91], v[74:75], v[108:109] neg_lo:[0,0,1] neg_hi:[0,0,1]
	v_pk_fma_f32 v[88:89], v[92:93], v[76:77], v[120:121] op_sel_hi:[1,0,1]
	v_pk_add_f32 v[70:71], v[114:115], v[70:71]
	v_pk_mul_f32 v[68:69], v[110:111], v[68:69] op_sel_hi:[1,0]
	v_mov_b32_e32 v75, v87
	v_pk_fma_f32 v[76:77], v[92:93], v[76:77], v[120:121] neg_lo:[0,0,1] neg_hi:[0,0,1]
	s_wait_loadcnt 0x2
	v_pk_mul_f32 v[84:85], v[96:97], v[80:81] op_sel:[1,1] op_sel_hi:[0,1]
	v_pk_add_f32 v[70:71], v[70:71], v[72:73]
	v_mov_b32_e32 v72, v83
	v_pk_fma_f32 v[86:87], v[94:95], v[78:79], v[68:69] op_sel_hi:[1,0,1]
	v_mov_b32_e32 v77, v89
	v_pk_fma_f32 v[68:69], v[94:95], v[78:79], v[68:69] neg_lo:[0,0,1] neg_hi:[0,0,1]
	v_pk_add_f32 v[70:71], v[70:71], v[74:75]
	v_pk_fma_f32 v[74:75], v[96:97], v[80:81], v[84:85] op_sel_hi:[1,0,1]
	v_pk_mul_f32 v[72:73], v[112:113], v[72:73] op_sel_hi:[1,0]
	v_mov_b32_e32 v69, v87
	s_delay_alu instid0(VALU_DEP_4)
	v_pk_add_f32 v[70:71], v[70:71], v[76:77]
	v_pk_fma_f32 v[76:77], v[96:97], v[80:81], v[84:85] neg_lo:[0,0,1] neg_hi:[0,0,1]
	v_mov_b32_e32 v77, v75
	v_pk_fma_f32 v[74:75], v[98:99], v[82:83], v[72:73] op_sel_hi:[1,0,1]
	v_pk_fma_f32 v[72:73], v[98:99], v[82:83], v[72:73] neg_lo:[0,0,1] neg_hi:[0,0,1]
	v_pk_add_f32 v[68:69], v[70:71], v[68:69]
	s_wait_loadcnt_dscnt 0x100
	v_pk_mul_f32 v[70:71], v[104:105], v[100:101] op_sel:[1,1] op_sel_hi:[0,1]
	v_mov_b32_e32 v73, v75
	s_delay_alu instid0(VALU_DEP_3) | instskip(NEXT) | instid1(VALU_DEP_3)
	v_pk_add_f32 v[68:69], v[68:69], v[76:77]
	v_pk_fma_f32 v[74:75], v[104:105], v[100:101], v[70:71] op_sel_hi:[1,0,1]
	v_pk_fma_f32 v[70:71], v[104:105], v[100:101], v[70:71] neg_lo:[0,0,1] neg_hi:[0,0,1]
	s_delay_alu instid0(VALU_DEP_3) | instskip(NEXT) | instid1(VALU_DEP_3)
	v_pk_add_f32 v[68:69], v[68:69], v[72:73]
	v_mov_b32_e32 v71, v75
	s_delay_alu instid0(VALU_DEP_1) | instskip(SKIP_1) | instid1(VALU_DEP_1)
	v_pk_add_f32 v[68:69], v[68:69], v[70:71]
	s_wait_loadcnt 0x0
	v_pk_add_f32 v[68:69], v[102:103], v[68:69] neg_lo:[0,1] neg_hi:[0,1]
	scratch_store_b64 off, v[68:69], off offset:184
	s_wait_xcnt 0x0
	v_cmpx_lt_u32_e32 22, v0
	s_cbranch_execz .LBB96_167
; %bb.166:
	scratch_load_b64 v[68:69], off, off offset:176
	v_mov_b64_e32 v[70:71], 0
	scratch_store_b64 off, v[70:71], off offset:176
	s_wait_loadcnt 0x0
	ds_store_b64 v1, v[68:69]
.LBB96_167:
	s_wait_xcnt 0x0
	s_or_b32 exec_lo, exec_lo, s0
	s_wait_storecnt_dscnt 0x0
	s_barrier_signal -1
	s_barrier_wait -1
	s_clause 0x5
	scratch_load_b128 v[68:71], off, off offset:184
	scratch_load_b128 v[72:75], off, off offset:200
	;; [unrolled: 1-line block ×5, first 2 shown]
	scratch_load_b64 v[108:109], off, off offset:176
	ds_load_2addr_b64 v[88:91], v7 offset0:59 offset1:60
	ds_load_2addr_b64 v[92:95], v7 offset0:61 offset1:62
	;; [unrolled: 1-line block ×5, first 2 shown]
	s_mov_b32 s0, exec_lo
	s_wait_dscnt 0x4
	v_dual_mov_b32 v110, v91 :: v_dual_mov_b32 v111, v90
	s_wait_dscnt 0x3
	v_dual_mov_b32 v112, v95 :: v_dual_mov_b32 v113, v94
	;; [unrolled: 2-line block ×4, first 2 shown]
	s_wait_loadcnt_dscnt 0x500
	v_dual_mul_f32 v119, v104, v69 :: v_dual_mul_f32 v121, v106, v71
	v_dual_mul_f32 v7, v105, v69 :: v_dual_mul_f32 v9, v107, v71
	s_wait_loadcnt 0x4
	v_pk_mul_f32 v[122:123], v[88:89], v[72:73] op_sel:[1,1] op_sel_hi:[0,1]
	s_wait_loadcnt 0x3
	v_dual_mov_b32 v124, v75 :: v_dual_mov_b32 v128, v79
	v_dual_fmac_f32 v119, v105, v68 :: v_dual_fmac_f32 v121, v107, v70
	v_dual_fma_f32 v118, v104, v68, -v7 :: v_dual_fma_f32 v120, v106, v70, -v9
	v_pk_fma_f32 v[68:69], v[88:89], v[72:73], v[122:123] op_sel_hi:[1,0,1]
	s_delay_alu instid0(VALU_DEP_4) | instskip(SKIP_1) | instid1(VALU_DEP_4)
	v_pk_mul_f32 v[70:71], v[110:111], v[124:125] op_sel_hi:[1,0]
	v_pk_fma_f32 v[72:73], v[88:89], v[72:73], v[122:123] neg_lo:[0,0,1] neg_hi:[0,0,1]
	v_pk_add_f32 v[104:105], v[118:119], 0 op_sel_hi:[1,0]
	v_pk_mul_f32 v[126:127], v[92:93], v[76:77] op_sel:[1,1] op_sel_hi:[0,1]
	v_mov_b32_e32 v73, v69
	v_pk_fma_f32 v[68:69], v[90:91], v[74:75], v[70:71] op_sel_hi:[1,0,1]
	v_pk_fma_f32 v[70:71], v[90:91], v[74:75], v[70:71] neg_lo:[0,0,1] neg_hi:[0,0,1]
	v_pk_add_f32 v[88:89], v[104:105], v[120:121]
	v_pk_fma_f32 v[104:105], v[92:93], v[76:77], v[126:127] op_sel_hi:[1,0,1]
	v_pk_mul_f32 v[110:111], v[112:113], v[128:129] op_sel_hi:[1,0]
	v_mov_b32_e32 v71, v69
	s_wait_loadcnt 0x2
	v_pk_mul_f32 v[106:107], v[96:97], v[80:81] op_sel:[1,1] op_sel_hi:[0,1]
	v_pk_add_f32 v[68:69], v[88:89], v[72:73]
	v_mov_b32_e32 v72, v83
	v_pk_fma_f32 v[74:75], v[92:93], v[76:77], v[126:127] neg_lo:[0,0,1] neg_hi:[0,0,1]
	v_mov_b32_e32 v75, v105
	v_pk_fma_f32 v[76:77], v[94:95], v[78:79], v[110:111] op_sel_hi:[1,0,1]
	v_pk_add_f32 v[68:69], v[68:69], v[70:71]
	v_pk_fma_f32 v[70:71], v[96:97], v[80:81], v[106:107] op_sel_hi:[1,0,1]
	v_pk_mul_f32 v[72:73], v[114:115], v[72:73] op_sel_hi:[1,0]
	v_pk_fma_f32 v[78:79], v[94:95], v[78:79], v[110:111] neg_lo:[0,0,1] neg_hi:[0,0,1]
	v_mov_b32_e32 v79, v77
	v_pk_add_f32 v[68:69], v[68:69], v[74:75]
	v_pk_fma_f32 v[76:77], v[96:97], v[80:81], v[106:107] neg_lo:[0,0,1] neg_hi:[0,0,1]
	v_mov_b32_e32 v77, v71
	v_pk_fma_f32 v[70:71], v[98:99], v[82:83], v[72:73] op_sel_hi:[1,0,1]
	s_wait_loadcnt 0x1
	v_pk_mul_f32 v[74:75], v[100:101], v[84:85] op_sel:[1,1] op_sel_hi:[0,1]
	v_pk_add_f32 v[68:69], v[68:69], v[78:79]
	v_mov_b32_e32 v70, v87
	v_pk_fma_f32 v[72:73], v[98:99], v[82:83], v[72:73] neg_lo:[0,0,1] neg_hi:[0,0,1]
	v_mov_b32_e32 v73, v71
	v_pk_fma_f32 v[78:79], v[100:101], v[84:85], v[74:75] op_sel_hi:[1,0,1]
	v_pk_add_f32 v[68:69], v[68:69], v[76:77]
	v_pk_mul_f32 v[70:71], v[116:117], v[70:71] op_sel_hi:[1,0]
	v_pk_fma_f32 v[74:75], v[100:101], v[84:85], v[74:75] neg_lo:[0,0,1] neg_hi:[0,0,1]
	s_delay_alu instid0(VALU_DEP_3) | instskip(NEXT) | instid1(VALU_DEP_3)
	v_pk_add_f32 v[68:69], v[68:69], v[72:73]
	v_pk_fma_f32 v[72:73], v[102:103], v[86:87], v[70:71] op_sel_hi:[1,0,1]
	v_mov_b32_e32 v75, v79
	v_pk_fma_f32 v[70:71], v[102:103], v[86:87], v[70:71] neg_lo:[0,0,1] neg_hi:[0,0,1]
	s_delay_alu instid0(VALU_DEP_3) | instskip(NEXT) | instid1(VALU_DEP_3)
	v_mov_b32_e32 v71, v73
	v_pk_add_f32 v[68:69], v[68:69], v[74:75]
	s_delay_alu instid0(VALU_DEP_1) | instskip(SKIP_1) | instid1(VALU_DEP_1)
	v_pk_add_f32 v[68:69], v[68:69], v[70:71]
	s_wait_loadcnt 0x0
	v_pk_add_f32 v[68:69], v[108:109], v[68:69] neg_lo:[0,1] neg_hi:[0,1]
	scratch_store_b64 off, v[68:69], off offset:176
	s_wait_xcnt 0x0
	v_cmpx_lt_u32_e32 21, v0
	s_cbranch_execz .LBB96_169
; %bb.168:
	scratch_load_b64 v[68:69], off, off offset:168
	v_mov_b64_e32 v[70:71], 0
	scratch_store_b64 off, v[70:71], off offset:168
	s_wait_loadcnt 0x0
	ds_store_b64 v1, v[68:69]
.LBB96_169:
	s_wait_xcnt 0x0
	s_or_b32 exec_lo, exec_lo, s0
	s_wait_storecnt_dscnt 0x0
	s_barrier_signal -1
	s_barrier_wait -1
	s_clause 0x6
	scratch_load_b128 v[68:71], off, off offset:176
	scratch_load_b128 v[72:75], off, off offset:192
	;; [unrolled: 1-line block ×5, first 2 shown]
	scratch_load_b64 v[108:109], off, off offset:256
	scratch_load_b64 v[110:111], off, off offset:168
	v_mov_b32_e32 v7, 0
	ds_load_b128 v[88:91], v7 offset:464
	ds_load_b128 v[92:95], v7 offset:480
	ds_load_b128 v[96:99], v7 offset:496
	ds_load_b128 v[100:103], v7 offset:512
	ds_load_b128 v[104:107], v7 offset:448
	ds_load_b64 v[112:113], v7 offset:528
	s_mov_b32 s0, exec_lo
	s_wait_dscnt 0x5
	v_dual_mov_b32 v114, v91 :: v_dual_mov_b32 v115, v90
	s_wait_dscnt 0x2
	v_dual_mov_b32 v116, v95 :: v_dual_mov_b32 v121, v102
	v_dual_mov_b32 v117, v94 :: v_dual_mov_b32 v118, v99
	v_dual_mov_b32 v119, v98 :: v_dual_mov_b32 v120, v103
	s_wait_loadcnt_dscnt 0x601
	v_dual_mul_f32 v9, v104, v69 :: v_dual_mul_f32 v11, v105, v69
	v_dual_mul_f32 v13, v107, v71 :: v_dual_mul_f32 v123, v106, v71
	s_wait_loadcnt 0x5
	v_dual_mul_f32 v125, v88, v73 :: v_dual_mul_f32 v15, v89, v73
	s_wait_loadcnt 0x4
	v_dual_mov_b32 v124, v75 :: v_dual_mov_b32 v128, v79
	v_dual_fmac_f32 v9, v105, v68 :: v_dual_fma_f32 v11, v104, v68, -v11
	v_dual_fma_f32 v122, v106, v70, -v13 :: v_dual_fmac_f32 v123, v107, v70
	s_delay_alu instid0(VALU_DEP_3) | instskip(NEXT) | instid1(VALU_DEP_3)
	v_pk_mul_f32 v[68:69], v[114:115], v[124:125] op_sel_hi:[1,0]
	v_dual_add_f32 v71, 0, v9 :: v_dual_add_f32 v70, 0, v11
	s_wait_loadcnt 0x3
	v_mov_b32_e32 v104, v83
	v_pk_mul_f32 v[126:127], v[92:93], v[76:77] op_sel:[1,1] op_sel_hi:[0,1]
	v_dual_fmac_f32 v125, v89, v72 :: v_dual_fma_f32 v124, v88, v72, -v15
	v_pk_fma_f32 v[72:73], v[90:91], v[74:75], v[68:69] op_sel_hi:[1,0,1]
	v_pk_add_f32 v[70:71], v[70:71], v[122:123]
	v_pk_fma_f32 v[68:69], v[90:91], v[74:75], v[68:69] neg_lo:[0,0,1] neg_hi:[0,0,1]
	v_pk_fma_f32 v[88:89], v[92:93], v[76:77], v[126:127] op_sel_hi:[1,0,1]
	v_pk_mul_f32 v[106:107], v[116:117], v[128:129] op_sel_hi:[1,0]
	v_mov_b32_e32 v69, v73
	v_pk_add_f32 v[70:71], v[70:71], v[124:125]
	v_pk_fma_f32 v[74:75], v[92:93], v[76:77], v[126:127] neg_lo:[0,0,1] neg_hi:[0,0,1]
	v_pk_mul_f32 v[130:131], v[96:97], v[80:81] op_sel:[1,1] op_sel_hi:[0,1]
	v_mov_b32_e32 v75, v89
	v_pk_fma_f32 v[76:77], v[94:95], v[78:79], v[106:107] op_sel_hi:[1,0,1]
	v_pk_add_f32 v[68:69], v[70:71], v[68:69]
	v_pk_fma_f32 v[78:79], v[94:95], v[78:79], v[106:107] neg_lo:[0,0,1] neg_hi:[0,0,1]
	v_pk_fma_f32 v[70:71], v[96:97], v[80:81], v[130:131] op_sel_hi:[1,0,1]
	v_pk_mul_f32 v[88:89], v[118:119], v[104:105] op_sel_hi:[1,0]
	s_wait_loadcnt 0x2
	v_dual_mov_b32 v79, v77 :: v_dual_mov_b32 v70, v87
	v_pk_add_f32 v[68:69], v[68:69], v[74:75]
	v_pk_fma_f32 v[74:75], v[96:97], v[80:81], v[130:131] neg_lo:[0,0,1] neg_hi:[0,0,1]
	v_pk_mul_f32 v[72:73], v[100:101], v[84:85] op_sel:[1,1] op_sel_hi:[0,1]
	v_pk_fma_f32 v[76:77], v[98:99], v[82:83], v[88:89] op_sel_hi:[1,0,1]
	v_mov_b32_e32 v75, v71
	v_pk_add_f32 v[68:69], v[68:69], v[78:79]
	v_pk_fma_f32 v[80:81], v[98:99], v[82:83], v[88:89] neg_lo:[0,0,1] neg_hi:[0,0,1]
	v_pk_fma_f32 v[78:79], v[100:101], v[84:85], v[72:73] op_sel_hi:[1,0,1]
	v_pk_mul_f32 v[70:71], v[120:121], v[70:71] op_sel_hi:[1,0]
	v_mov_b32_e32 v81, v77
	v_pk_add_f32 v[68:69], v[68:69], v[74:75]
	v_pk_fma_f32 v[72:73], v[100:101], v[84:85], v[72:73] neg_lo:[0,0,1] neg_hi:[0,0,1]
	s_wait_loadcnt_dscnt 0x100
	v_pk_mul_f32 v[76:77], v[112:113], v[108:109] op_sel:[1,1] op_sel_hi:[0,1]
	v_pk_fma_f32 v[74:75], v[102:103], v[86:87], v[70:71] op_sel_hi:[1,0,1]
	v_mov_b32_e32 v73, v79
	v_pk_add_f32 v[68:69], v[68:69], v[80:81]
	v_pk_fma_f32 v[70:71], v[102:103], v[86:87], v[70:71] neg_lo:[0,0,1] neg_hi:[0,0,1]
	s_delay_alu instid0(VALU_DEP_4) | instskip(SKIP_1) | instid1(VALU_DEP_4)
	v_mov_b32_e32 v71, v75
	v_pk_fma_f32 v[74:75], v[112:113], v[108:109], v[76:77] neg_lo:[0,0,1] neg_hi:[0,0,1]
	v_pk_add_f32 v[68:69], v[68:69], v[72:73]
	v_pk_fma_f32 v[72:73], v[112:113], v[108:109], v[76:77] op_sel_hi:[1,0,1]
	s_delay_alu instid0(VALU_DEP_2) | instskip(NEXT) | instid1(VALU_DEP_2)
	v_pk_add_f32 v[68:69], v[68:69], v[70:71]
	v_mov_b32_e32 v75, v73
	s_delay_alu instid0(VALU_DEP_1) | instskip(SKIP_1) | instid1(VALU_DEP_1)
	v_pk_add_f32 v[68:69], v[68:69], v[74:75]
	s_wait_loadcnt 0x0
	v_pk_add_f32 v[68:69], v[110:111], v[68:69] neg_lo:[0,1] neg_hi:[0,1]
	scratch_store_b64 off, v[68:69], off offset:168
	s_wait_xcnt 0x0
	v_cmpx_lt_u32_e32 20, v0
	s_cbranch_execz .LBB96_171
; %bb.170:
	scratch_load_b64 v[68:69], off, off offset:160
	v_mov_b64_e32 v[70:71], 0
	scratch_store_b64 off, v[70:71], off offset:160
	s_wait_loadcnt 0x0
	ds_store_b64 v1, v[68:69]
.LBB96_171:
	s_wait_xcnt 0x0
	s_or_b32 exec_lo, exec_lo, s0
	s_wait_storecnt_dscnt 0x0
	s_barrier_signal -1
	s_barrier_wait -1
	s_clause 0x6
	scratch_load_b128 v[68:71], off, off offset:168
	scratch_load_b128 v[72:75], off, off offset:184
	;; [unrolled: 1-line block ×6, first 2 shown]
	scratch_load_b64 v[116:117], off, off offset:160
	ds_load_2addr_b64 v[92:95], v7 offset0:59 offset1:60
	ds_load_2addr_b64 v[96:99], v7 offset0:61 offset1:62
	;; [unrolled: 1-line block ×6, first 2 shown]
	s_mov_b32 s0, exec_lo
	s_wait_dscnt 0x5
	v_dual_mov_b32 v118, v95 :: v_dual_mov_b32 v119, v94
	s_wait_dscnt 0x4
	v_dual_mov_b32 v120, v99 :: v_dual_mov_b32 v121, v98
	;; [unrolled: 2-line block ×4, first 2 shown]
	s_wait_loadcnt_dscnt 0x601
	v_dual_mul_f32 v7, v108, v69 :: v_dual_mul_f32 v9, v110, v71
	v_dual_mul_f32 v11, v109, v69 :: v_dual_mul_f32 v13, v111, v71
	s_wait_loadcnt 0x4
	s_delay_alu instid0(VALU_DEP_2)
	v_dual_mov_b32 v132, v79 :: v_dual_fmac_f32 v7, v109, v68
	s_wait_dscnt 0x0
	v_dual_mul_f32 v127, v112, v73 :: v_dual_mul_f32 v129, v114, v75
	v_dual_fma_f32 v11, v108, v68, -v11 :: v_dual_fmac_f32 v9, v111, v70
	v_dual_mul_f32 v15, v113, v73 :: v_dual_mul_f32 v17, v115, v75
	v_dual_fma_f32 v13, v110, v70, -v13 :: v_dual_add_f32 v7, 0, v7
	s_wait_loadcnt 0x3
	s_delay_alu instid0(VALU_DEP_3) | instskip(SKIP_3) | instid1(VALU_DEP_4)
	v_dual_add_f32 v11, 0, v11 :: v_dual_mov_b32 v70, v83
	v_pk_mul_f32 v[130:131], v[92:93], v[76:77] op_sel:[1,1] op_sel_hi:[0,1]
	v_pk_mul_f32 v[68:69], v[96:97], v[80:81] op_sel:[1,1] op_sel_hi:[0,1]
	v_dual_fmac_f32 v127, v113, v72 :: v_dual_add_f32 v73, v7, v9
	v_dual_fma_f32 v126, v112, v72, -v15 :: v_dual_add_f32 v72, v11, v13
	v_fmac_f32_e32 v129, v115, v74
	v_fma_f32 v128, v114, v74, -v17
	v_pk_fma_f32 v[74:75], v[92:93], v[76:77], v[130:131] op_sel_hi:[1,0,1]
	v_pk_mul_f32 v[108:109], v[118:119], v[132:133] op_sel_hi:[1,0]
	v_pk_add_f32 v[72:73], v[72:73], v[126:127]
	v_pk_fma_f32 v[76:77], v[92:93], v[76:77], v[130:131] neg_lo:[0,0,1] neg_hi:[0,0,1]
	v_pk_fma_f32 v[92:93], v[96:97], v[80:81], v[68:69] op_sel_hi:[1,0,1]
	v_pk_fma_f32 v[68:69], v[96:97], v[80:81], v[68:69] neg_lo:[0,0,1] neg_hi:[0,0,1]
	v_mov_b32_e32 v77, v75
	v_pk_fma_f32 v[74:75], v[94:95], v[78:79], v[108:109] op_sel_hi:[1,0,1]
	v_pk_fma_f32 v[78:79], v[94:95], v[78:79], v[108:109] neg_lo:[0,0,1] neg_hi:[0,0,1]
	v_mov_b32_e32 v69, v93
	v_pk_add_f32 v[72:73], v[72:73], v[128:129]
	v_pk_mul_f32 v[70:71], v[120:121], v[70:71] op_sel_hi:[1,0]
	s_wait_loadcnt 0x2
	v_dual_mov_b32 v79, v75 :: v_dual_mov_b32 v74, v87
	v_pk_mul_f32 v[110:111], v[100:101], v[84:85] op_sel:[1,1] op_sel_hi:[0,1]
	v_pk_add_f32 v[72:73], v[72:73], v[76:77]
	v_pk_fma_f32 v[76:77], v[98:99], v[82:83], v[70:71] op_sel_hi:[1,0,1]
	v_pk_fma_f32 v[70:71], v[98:99], v[82:83], v[70:71] neg_lo:[0,0,1] neg_hi:[0,0,1]
	v_pk_mul_f32 v[74:75], v[122:123], v[74:75] op_sel_hi:[1,0]
	s_delay_alu instid0(VALU_DEP_4) | instskip(SKIP_3) | instid1(VALU_DEP_4)
	v_pk_add_f32 v[72:73], v[72:73], v[78:79]
	v_pk_fma_f32 v[78:79], v[100:101], v[84:85], v[110:111] op_sel_hi:[1,0,1]
	v_mov_b32_e32 v71, v77
	v_pk_fma_f32 v[76:77], v[100:101], v[84:85], v[110:111] neg_lo:[0,0,1] neg_hi:[0,0,1]
	v_pk_add_f32 v[68:69], v[72:73], v[68:69]
	s_wait_loadcnt 0x1
	v_pk_mul_f32 v[72:73], v[104:105], v[88:89] op_sel:[1,1] op_sel_hi:[0,1]
	v_mov_b32_e32 v77, v79
	v_pk_fma_f32 v[78:79], v[102:103], v[86:87], v[74:75] op_sel_hi:[1,0,1]
	v_pk_fma_f32 v[74:75], v[102:103], v[86:87], v[74:75] neg_lo:[0,0,1] neg_hi:[0,0,1]
	v_pk_add_f32 v[68:69], v[68:69], v[70:71]
	v_mov_b32_e32 v70, v91
	v_pk_fma_f32 v[80:81], v[104:105], v[88:89], v[72:73] op_sel_hi:[1,0,1]
	v_mov_b32_e32 v75, v79
	v_pk_fma_f32 v[72:73], v[104:105], v[88:89], v[72:73] neg_lo:[0,0,1] neg_hi:[0,0,1]
	v_pk_add_f32 v[68:69], v[68:69], v[76:77]
	v_pk_mul_f32 v[70:71], v[124:125], v[70:71] op_sel_hi:[1,0]
	s_delay_alu instid0(VALU_DEP_2) | instskip(NEXT) | instid1(VALU_DEP_2)
	v_pk_add_f32 v[68:69], v[68:69], v[74:75]
	v_pk_fma_f32 v[74:75], v[106:107], v[90:91], v[70:71] op_sel_hi:[1,0,1]
	v_mov_b32_e32 v73, v81
	v_pk_fma_f32 v[70:71], v[106:107], v[90:91], v[70:71] neg_lo:[0,0,1] neg_hi:[0,0,1]
	s_delay_alu instid0(VALU_DEP_3) | instskip(NEXT) | instid1(VALU_DEP_3)
	v_mov_b32_e32 v71, v75
	v_pk_add_f32 v[68:69], v[68:69], v[72:73]
	s_delay_alu instid0(VALU_DEP_1) | instskip(SKIP_1) | instid1(VALU_DEP_1)
	v_pk_add_f32 v[68:69], v[68:69], v[70:71]
	s_wait_loadcnt 0x0
	v_pk_add_f32 v[68:69], v[116:117], v[68:69] neg_lo:[0,1] neg_hi:[0,1]
	scratch_store_b64 off, v[68:69], off offset:160
	s_wait_xcnt 0x0
	v_cmpx_lt_u32_e32 19, v0
	s_cbranch_execz .LBB96_173
; %bb.172:
	scratch_load_b64 v[68:69], off, off offset:152
	v_mov_b64_e32 v[70:71], 0
	scratch_store_b64 off, v[70:71], off offset:152
	s_wait_loadcnt 0x0
	ds_store_b64 v1, v[68:69]
.LBB96_173:
	s_wait_xcnt 0x0
	s_or_b32 exec_lo, exec_lo, s0
	s_wait_storecnt_dscnt 0x0
	s_barrier_signal -1
	s_barrier_wait -1
	s_clause 0x7
	scratch_load_b128 v[68:71], off, off offset:160
	scratch_load_b128 v[72:75], off, off offset:176
	;; [unrolled: 1-line block ×6, first 2 shown]
	scratch_load_b64 v[116:117], off, off offset:256
	scratch_load_b64 v[118:119], off, off offset:152
	v_mov_b32_e32 v7, 0
	ds_load_b128 v[92:95], v7 offset:464
	ds_load_b128 v[96:99], v7 offset:480
	;; [unrolled: 1-line block ×6, first 2 shown]
	ds_load_b64 v[120:121], v7 offset:528
	s_mov_b32 s0, exec_lo
	s_wait_dscnt 0x6
	v_dual_mov_b32 v122, v95 :: v_dual_mov_b32 v123, v94
	s_wait_dscnt 0x3
	v_dual_mov_b32 v124, v99 :: v_dual_mov_b32 v129, v106
	v_dual_mov_b32 v125, v98 :: v_dual_mov_b32 v126, v103
	;; [unrolled: 1-line block ×3, first 2 shown]
	s_wait_loadcnt_dscnt 0x702
	v_dual_mul_f32 v9, v108, v69 :: v_dual_mul_f32 v15, v109, v69
	v_dual_mul_f32 v17, v111, v71 :: v_dual_mul_f32 v11, v110, v71
	s_wait_loadcnt_dscnt 0x601
	s_delay_alu instid0(VALU_DEP_2) | instskip(NEXT) | instid1(VALU_DEP_3)
	v_dual_mul_f32 v13, v112, v73 :: v_dual_fmac_f32 v9, v109, v68
	v_dual_fma_f32 v15, v108, v68, -v15 :: v_dual_mul_f32 v19, v113, v73
	v_mul_f32_e32 v21, v115, v75
	s_wait_loadcnt 0x4
	v_dual_mov_b32 v68, v83 :: v_dual_fma_f32 v17, v110, v70, -v17
	v_dual_fmac_f32 v11, v111, v70 :: v_dual_add_f32 v9, 0, v9
	v_dual_add_f32 v15, 0, v15 :: v_dual_fmac_f32 v13, v113, v72
	v_dual_mul_f32 v131, v114, v75 :: v_dual_mul_f32 v133, v92, v77
	v_dual_mul_f32 v23, v93, v77 :: v_dual_mov_b32 v132, v79
	s_delay_alu instid0(VALU_DEP_4) | instskip(NEXT) | instid1(VALU_DEP_4)
	v_dual_fma_f32 v19, v112, v72, -v19 :: v_dual_add_f32 v9, v9, v11
	v_dual_add_f32 v11, v15, v17 :: v_dual_fma_f32 v130, v114, v74, -v21
	s_delay_alu instid0(VALU_DEP_4) | instskip(NEXT) | instid1(VALU_DEP_4)
	v_fmac_f32_e32 v131, v115, v74
	v_pk_mul_f32 v[72:73], v[122:123], v[132:133] op_sel_hi:[1,0]
	s_delay_alu instid0(VALU_DEP_3)
	v_dual_add_f32 v75, v9, v13 :: v_dual_add_f32 v74, v11, v19
	v_fmac_f32_e32 v133, v93, v76
	v_pk_mul_f32 v[134:135], v[96:97], v[80:81] op_sel:[1,1] op_sel_hi:[0,1]
	s_wait_loadcnt 0x3
	v_dual_mov_b32 v108, v87 :: v_dual_fma_f32 v132, v92, v76, -v23
	v_pk_fma_f32 v[76:77], v[94:95], v[78:79], v[72:73] op_sel_hi:[1,0,1]
	v_pk_add_f32 v[74:75], v[74:75], v[130:131]
	v_pk_fma_f32 v[72:73], v[94:95], v[78:79], v[72:73] neg_lo:[0,0,1] neg_hi:[0,0,1]
	v_pk_fma_f32 v[92:93], v[96:97], v[80:81], v[134:135] op_sel_hi:[1,0,1]
	v_pk_mul_f32 v[68:69], v[124:125], v[68:69] op_sel_hi:[1,0]
	v_mov_b32_e32 v73, v77
	v_pk_add_f32 v[74:75], v[74:75], v[132:133]
	v_pk_fma_f32 v[78:79], v[96:97], v[80:81], v[134:135] neg_lo:[0,0,1] neg_hi:[0,0,1]
	v_pk_mul_f32 v[70:71], v[100:101], v[84:85] op_sel:[1,1] op_sel_hi:[0,1]
	v_mov_b32_e32 v79, v93
	v_pk_fma_f32 v[80:81], v[98:99], v[82:83], v[68:69] op_sel_hi:[1,0,1]
	v_pk_add_f32 v[72:73], v[74:75], v[72:73]
	v_pk_fma_f32 v[68:69], v[98:99], v[82:83], v[68:69] neg_lo:[0,0,1] neg_hi:[0,0,1]
	v_pk_fma_f32 v[74:75], v[100:101], v[84:85], v[70:71] op_sel_hi:[1,0,1]
	v_pk_mul_f32 v[92:93], v[126:127], v[108:109] op_sel_hi:[1,0]
	s_wait_loadcnt 0x2
	v_dual_mov_b32 v69, v81 :: v_dual_mov_b32 v74, v91
	v_pk_add_f32 v[72:73], v[72:73], v[78:79]
	v_pk_fma_f32 v[70:71], v[100:101], v[84:85], v[70:71] neg_lo:[0,0,1] neg_hi:[0,0,1]
	v_pk_mul_f32 v[76:77], v[104:105], v[88:89] op_sel:[1,1] op_sel_hi:[0,1]
	v_pk_fma_f32 v[78:79], v[102:103], v[86:87], v[92:93] op_sel_hi:[1,0,1]
	v_mov_b32_e32 v71, v75
	v_pk_add_f32 v[68:69], v[72:73], v[68:69]
	v_pk_fma_f32 v[80:81], v[102:103], v[86:87], v[92:93] neg_lo:[0,0,1] neg_hi:[0,0,1]
	v_pk_fma_f32 v[72:73], v[104:105], v[88:89], v[76:77] op_sel_hi:[1,0,1]
	v_pk_mul_f32 v[74:75], v[128:129], v[74:75] op_sel_hi:[1,0]
	v_mov_b32_e32 v81, v79
	v_pk_add_f32 v[68:69], v[68:69], v[70:71]
	v_pk_fma_f32 v[70:71], v[104:105], v[88:89], v[76:77] neg_lo:[0,0,1] neg_hi:[0,0,1]
	v_mov_b32_e32 v71, v73
	v_pk_fma_f32 v[72:73], v[106:107], v[90:91], v[74:75] op_sel_hi:[1,0,1]
	s_wait_loadcnt_dscnt 0x100
	v_pk_mul_f32 v[76:77], v[120:121], v[116:117] op_sel:[1,1] op_sel_hi:[0,1]
	v_pk_add_f32 v[68:69], v[68:69], v[80:81]
	v_pk_fma_f32 v[74:75], v[106:107], v[90:91], v[74:75] neg_lo:[0,0,1] neg_hi:[0,0,1]
	v_mov_b32_e32 v75, v73
	s_delay_alu instid0(VALU_DEP_4) | instskip(NEXT) | instid1(VALU_DEP_4)
	v_pk_fma_f32 v[72:73], v[120:121], v[116:117], v[76:77] neg_lo:[0,0,1] neg_hi:[0,0,1]
	v_pk_add_f32 v[68:69], v[68:69], v[70:71]
	v_pk_fma_f32 v[70:71], v[120:121], v[116:117], v[76:77] op_sel_hi:[1,0,1]
	s_delay_alu instid0(VALU_DEP_2) | instskip(NEXT) | instid1(VALU_DEP_2)
	v_pk_add_f32 v[68:69], v[68:69], v[74:75]
	v_mov_b32_e32 v73, v71
	s_delay_alu instid0(VALU_DEP_1) | instskip(SKIP_1) | instid1(VALU_DEP_1)
	v_pk_add_f32 v[68:69], v[68:69], v[72:73]
	s_wait_loadcnt 0x0
	v_pk_add_f32 v[68:69], v[118:119], v[68:69] neg_lo:[0,1] neg_hi:[0,1]
	scratch_store_b64 off, v[68:69], off offset:152
	s_wait_xcnt 0x0
	v_cmpx_lt_u32_e32 18, v0
	s_cbranch_execz .LBB96_175
; %bb.174:
	scratch_load_b64 v[68:69], off, off offset:144
	v_mov_b64_e32 v[70:71], 0
	scratch_store_b64 off, v[70:71], off offset:144
	s_wait_loadcnt 0x0
	ds_store_b64 v1, v[68:69]
.LBB96_175:
	s_wait_xcnt 0x0
	s_or_b32 exec_lo, exec_lo, s0
	s_wait_storecnt_dscnt 0x0
	s_barrier_signal -1
	s_barrier_wait -1
	s_clause 0x7
	scratch_load_b128 v[68:71], off, off offset:152
	scratch_load_b128 v[72:75], off, off offset:168
	;; [unrolled: 1-line block ×7, first 2 shown]
	scratch_load_b64 v[124:125], off, off offset:144
	ds_load_2addr_b64 v[96:99], v7 offset0:59 offset1:60
	ds_load_2addr_b64 v[100:103], v7 offset0:61 offset1:62
	;; [unrolled: 1-line block ×7, first 2 shown]
	s_mov_b32 s0, exec_lo
	s_wait_dscnt 0x6
	v_dual_mov_b32 v126, v99 :: v_dual_mov_b32 v127, v98
	s_wait_dscnt 0x5
	v_dual_mov_b32 v128, v103 :: v_dual_mov_b32 v129, v102
	;; [unrolled: 2-line block ×4, first 2 shown]
	s_wait_loadcnt_dscnt 0x702
	v_dual_mul_f32 v7, v112, v69 :: v_dual_mul_f32 v9, v114, v71
	v_dual_mul_f32 v15, v113, v69 :: v_dual_mul_f32 v17, v115, v71
	s_wait_loadcnt_dscnt 0x601
	v_dual_mul_f32 v11, v116, v73 :: v_dual_mul_f32 v13, v118, v75
	s_delay_alu instid0(VALU_DEP_3) | instskip(NEXT) | instid1(VALU_DEP_3)
	v_dual_fmac_f32 v7, v113, v68 :: v_dual_fmac_f32 v9, v115, v70
	v_dual_fma_f32 v15, v112, v68, -v15 :: v_dual_fma_f32 v17, v114, v70, -v17
	v_dual_mul_f32 v19, v117, v73 :: v_dual_mul_f32 v21, v119, v75
	s_wait_loadcnt 0x4
	s_delay_alu instid0(VALU_DEP_3) | instskip(NEXT) | instid1(VALU_DEP_3)
	v_dual_add_f32 v7, 0, v7 :: v_dual_mov_b32 v70, v83
	v_dual_add_f32 v15, 0, v15 :: v_dual_fmac_f32 v11, v117, v72
	s_delay_alu instid0(VALU_DEP_2) | instskip(SKIP_2) | instid1(VALU_DEP_3)
	v_dual_fma_f32 v19, v116, v72, -v19 :: v_dual_add_f32 v7, v7, v9
	s_wait_dscnt 0x0
	v_dual_mul_f32 v135, v120, v77 :: v_dual_mul_f32 v137, v122, v79
	v_dual_add_f32 v9, v15, v17 :: v_dual_fma_f32 v15, v118, v74, -v21
	v_dual_mul_f32 v23, v121, v77 :: v_dual_mul_f32 v25, v123, v79
	s_delay_alu instid0(VALU_DEP_2) | instskip(NEXT) | instid1(VALU_DEP_4)
	v_dual_fmac_f32 v13, v119, v74 :: v_dual_add_f32 v9, v9, v19
	v_dual_add_f32 v7, v7, v11 :: v_dual_fmac_f32 v135, v121, v76
	v_pk_mul_f32 v[68:69], v[96:97], v[80:81] op_sel:[1,1] op_sel_hi:[0,1]
	s_wait_loadcnt 0x3
	v_pk_mul_f32 v[72:73], v[100:101], v[84:85] op_sel:[1,1] op_sel_hi:[0,1]
	v_dual_mov_b32 v74, v87 :: v_dual_fma_f32 v134, v120, v76, -v23
	v_dual_add_f32 v77, v7, v13 :: v_dual_add_f32 v76, v9, v15
	v_fmac_f32_e32 v137, v123, v78
	v_fma_f32 v136, v122, v78, -v25
	v_pk_fma_f32 v[78:79], v[96:97], v[80:81], v[68:69] op_sel_hi:[1,0,1]
	v_pk_mul_f32 v[70:71], v[126:127], v[70:71] op_sel_hi:[1,0]
	v_pk_add_f32 v[76:77], v[76:77], v[134:135]
	v_pk_fma_f32 v[68:69], v[96:97], v[80:81], v[68:69] neg_lo:[0,0,1] neg_hi:[0,0,1]
	v_pk_fma_f32 v[80:81], v[100:101], v[84:85], v[72:73] op_sel_hi:[1,0,1]
	v_pk_fma_f32 v[72:73], v[100:101], v[84:85], v[72:73] neg_lo:[0,0,1] neg_hi:[0,0,1]
	v_mov_b32_e32 v69, v79
	v_pk_fma_f32 v[78:79], v[98:99], v[82:83], v[70:71] op_sel_hi:[1,0,1]
	v_pk_fma_f32 v[70:71], v[98:99], v[82:83], v[70:71] neg_lo:[0,0,1] neg_hi:[0,0,1]
	v_mov_b32_e32 v73, v81
	v_pk_add_f32 v[76:77], v[76:77], v[136:137]
	v_pk_mul_f32 v[74:75], v[128:129], v[74:75] op_sel_hi:[1,0]
	v_mov_b32_e32 v71, v79
	s_wait_loadcnt 0x2
	v_pk_mul_f32 v[112:113], v[104:105], v[88:89] op_sel:[1,1] op_sel_hi:[0,1]
	v_pk_add_f32 v[68:69], v[76:77], v[68:69]
	v_mov_b32_e32 v76, v91
	v_pk_fma_f32 v[78:79], v[102:103], v[86:87], v[74:75] op_sel_hi:[1,0,1]
	v_pk_fma_f32 v[74:75], v[102:103], v[86:87], v[74:75] neg_lo:[0,0,1] neg_hi:[0,0,1]
	s_delay_alu instid0(VALU_DEP_4)
	v_pk_add_f32 v[68:69], v[68:69], v[70:71]
	v_pk_fma_f32 v[70:71], v[104:105], v[88:89], v[112:113] op_sel_hi:[1,0,1]
	v_pk_mul_f32 v[76:77], v[130:131], v[76:77] op_sel_hi:[1,0]
	v_mov_b32_e32 v75, v79
	v_pk_fma_f32 v[78:79], v[104:105], v[88:89], v[112:113] neg_lo:[0,0,1] neg_hi:[0,0,1]
	v_pk_add_f32 v[68:69], v[68:69], v[72:73]
	v_mov_b32_e32 v79, v71
	v_pk_fma_f32 v[70:71], v[106:107], v[90:91], v[76:77] op_sel_hi:[1,0,1]
	s_wait_loadcnt 0x1
	v_pk_mul_f32 v[72:73], v[108:109], v[92:93] op_sel:[1,1] op_sel_hi:[0,1]
	v_mov_b32_e32 v70, v95
	v_pk_add_f32 v[68:69], v[68:69], v[74:75]
	v_pk_fma_f32 v[76:77], v[106:107], v[90:91], v[76:77] neg_lo:[0,0,1] neg_hi:[0,0,1]
	v_mov_b32_e32 v77, v71
	v_pk_fma_f32 v[74:75], v[108:109], v[92:93], v[72:73] op_sel_hi:[1,0,1]
	v_pk_mul_f32 v[70:71], v[132:133], v[70:71] op_sel_hi:[1,0]
	v_pk_add_f32 v[68:69], v[68:69], v[78:79]
	v_pk_fma_f32 v[72:73], v[108:109], v[92:93], v[72:73] neg_lo:[0,0,1] neg_hi:[0,0,1]
	s_delay_alu instid0(VALU_DEP_4) | instskip(NEXT) | instid1(VALU_DEP_4)
	v_mov_b32_e32 v73, v75
	v_pk_fma_f32 v[74:75], v[110:111], v[94:95], v[70:71] op_sel_hi:[1,0,1]
	s_delay_alu instid0(VALU_DEP_4) | instskip(SKIP_1) | instid1(VALU_DEP_3)
	v_pk_add_f32 v[68:69], v[68:69], v[76:77]
	v_pk_fma_f32 v[70:71], v[110:111], v[94:95], v[70:71] neg_lo:[0,0,1] neg_hi:[0,0,1]
	v_mov_b32_e32 v71, v75
	s_delay_alu instid0(VALU_DEP_3) | instskip(NEXT) | instid1(VALU_DEP_1)
	v_pk_add_f32 v[68:69], v[68:69], v[72:73]
	v_pk_add_f32 v[68:69], v[68:69], v[70:71]
	s_wait_loadcnt 0x0
	s_delay_alu instid0(VALU_DEP_1)
	v_pk_add_f32 v[68:69], v[124:125], v[68:69] neg_lo:[0,1] neg_hi:[0,1]
	scratch_store_b64 off, v[68:69], off offset:144
	s_wait_xcnt 0x0
	v_cmpx_lt_u32_e32 17, v0
	s_cbranch_execz .LBB96_177
; %bb.176:
	scratch_load_b64 v[68:69], off, off offset:136
	v_mov_b64_e32 v[70:71], 0
	scratch_store_b64 off, v[70:71], off offset:136
	s_wait_loadcnt 0x0
	ds_store_b64 v1, v[68:69]
.LBB96_177:
	s_wait_xcnt 0x0
	s_or_b32 exec_lo, exec_lo, s0
	s_wait_storecnt_dscnt 0x0
	s_barrier_signal -1
	s_barrier_wait -1
	s_clause 0x8
	scratch_load_b128 v[68:71], off, off offset:144
	scratch_load_b128 v[72:75], off, off offset:160
	;; [unrolled: 1-line block ×7, first 2 shown]
	scratch_load_b64 v[124:125], off, off offset:256
	scratch_load_b64 v[126:127], off, off offset:136
	v_mov_b32_e32 v7, 0
	ds_load_b128 v[96:99], v7 offset:464
	ds_load_b128 v[100:103], v7 offset:480
	;; [unrolled: 1-line block ×7, first 2 shown]
	ds_load_b64 v[128:129], v7 offset:528
	s_mov_b32 s0, exec_lo
	s_wait_dscnt 0x7
	v_dual_mov_b32 v130, v99 :: v_dual_mov_b32 v131, v98
	s_wait_dscnt 0x4
	v_dual_mov_b32 v132, v103 :: v_dual_mov_b32 v137, v110
	v_dual_mov_b32 v133, v102 :: v_dual_mov_b32 v134, v107
	;; [unrolled: 1-line block ×3, first 2 shown]
	s_wait_loadcnt_dscnt 0x803
	v_dual_mul_f32 v9, v112, v69 :: v_dual_mul_f32 v19, v113, v69
	v_dual_mul_f32 v21, v115, v71 :: v_dual_mul_f32 v11, v114, v71
	s_wait_loadcnt_dscnt 0x702
	v_mul_f32_e32 v13, v116, v73
	s_wait_loadcnt 0x5
	v_dual_mul_f32 v31, v97, v81 :: v_dual_fma_f32 v19, v112, v68, -v19
	v_dual_fmac_f32 v9, v113, v68 :: v_dual_mov_b32 v68, v83
	v_dual_mul_f32 v23, v117, v73 :: v_dual_mul_f32 v25, v119, v75
	v_dual_fmac_f32 v11, v115, v70 :: v_dual_fma_f32 v21, v114, v70, -v21
	s_delay_alu instid0(VALU_DEP_3) | instskip(SKIP_3) | instid1(VALU_DEP_3)
	v_dual_add_f32 v9, 0, v9 :: v_dual_add_f32 v19, 0, v19
	s_wait_dscnt 0x1
	v_dual_mul_f32 v15, v118, v75 :: v_dual_mul_f32 v17, v120, v77
	v_dual_fmac_f32 v13, v117, v72 :: v_dual_fma_f32 v23, v116, v72, -v23
	v_dual_add_f32 v9, v9, v11 :: v_dual_add_f32 v11, v19, v21
	v_dual_mul_f32 v27, v121, v77 :: v_dual_mul_f32 v29, v123, v79
	s_wait_loadcnt 0x4
	v_dual_mov_b32 v72, v87 :: v_dual_fma_f32 v19, v118, v74, -v25
	s_delay_alu instid0(VALU_DEP_3) | instskip(SKIP_2) | instid1(VALU_DEP_3)
	v_dual_fmac_f32 v15, v119, v74 :: v_dual_add_f32 v9, v9, v13
	v_dual_add_f32 v11, v11, v23 :: v_dual_fmac_f32 v17, v121, v76
	v_dual_mul_f32 v139, v122, v79 :: v_dual_mul_f32 v141, v96, v81
	v_dual_fma_f32 v13, v120, v76, -v27 :: v_dual_add_f32 v9, v9, v15
	s_delay_alu instid0(VALU_DEP_3) | instskip(NEXT) | instid1(VALU_DEP_3)
	v_dual_add_f32 v11, v11, v19 :: v_dual_fma_f32 v138, v122, v78, -v29
	v_fmac_f32_e32 v139, v123, v78
	v_pk_mul_f32 v[68:69], v[130:131], v[68:69] op_sel_hi:[1,0]
	s_delay_alu instid0(VALU_DEP_4) | instskip(NEXT) | instid1(VALU_DEP_4)
	v_add_f32_e32 v77, v9, v17
	v_dual_add_f32 v76, v11, v13 :: v_dual_fmac_f32 v141, v97, v80
	v_pk_mul_f32 v[70:71], v[100:101], v[84:85] op_sel:[1,1] op_sel_hi:[0,1]
	s_wait_loadcnt 0x3
	v_dual_mov_b32 v78, v91 :: v_dual_fma_f32 v140, v96, v80, -v31
	v_pk_fma_f32 v[80:81], v[98:99], v[82:83], v[68:69] op_sel_hi:[1,0,1]
	v_pk_add_f32 v[76:77], v[76:77], v[138:139]
	v_pk_fma_f32 v[68:69], v[98:99], v[82:83], v[68:69] neg_lo:[0,0,1] neg_hi:[0,0,1]
	v_pk_fma_f32 v[96:97], v[100:101], v[84:85], v[70:71] op_sel_hi:[1,0,1]
	v_pk_mul_f32 v[72:73], v[132:133], v[72:73] op_sel_hi:[1,0]
	v_mov_b32_e32 v69, v81
	v_pk_add_f32 v[76:77], v[76:77], v[140:141]
	v_pk_fma_f32 v[70:71], v[100:101], v[84:85], v[70:71] neg_lo:[0,0,1] neg_hi:[0,0,1]
	v_pk_mul_f32 v[74:75], v[104:105], v[88:89] op_sel:[1,1] op_sel_hi:[0,1]
	v_mov_b32_e32 v71, v97
	v_pk_fma_f32 v[82:83], v[102:103], v[86:87], v[72:73] op_sel_hi:[1,0,1]
	v_pk_add_f32 v[68:69], v[76:77], v[68:69]
	v_pk_fma_f32 v[72:73], v[102:103], v[86:87], v[72:73] neg_lo:[0,0,1] neg_hi:[0,0,1]
	v_pk_fma_f32 v[76:77], v[104:105], v[88:89], v[74:75] op_sel_hi:[1,0,1]
	v_pk_mul_f32 v[78:79], v[134:135], v[78:79] op_sel_hi:[1,0]
	v_mov_b32_e32 v73, v83
	v_pk_add_f32 v[68:69], v[68:69], v[70:71]
	v_pk_fma_f32 v[74:75], v[104:105], v[88:89], v[74:75] neg_lo:[0,0,1] neg_hi:[0,0,1]
	s_wait_loadcnt 0x2
	v_pk_mul_f32 v[80:81], v[108:109], v[92:93] op_sel:[1,1] op_sel_hi:[0,1]
	v_dual_mov_b32 v70, v95 :: v_dual_mov_b32 v75, v77
	v_pk_fma_f32 v[76:77], v[106:107], v[90:91], v[78:79] op_sel_hi:[1,0,1]
	v_pk_add_f32 v[68:69], v[68:69], v[72:73]
	v_pk_fma_f32 v[78:79], v[106:107], v[90:91], v[78:79] neg_lo:[0,0,1] neg_hi:[0,0,1]
	v_pk_fma_f32 v[72:73], v[108:109], v[92:93], v[80:81] op_sel_hi:[1,0,1]
	v_pk_mul_f32 v[70:71], v[136:137], v[70:71] op_sel_hi:[1,0]
	v_mov_b32_e32 v79, v77
	v_pk_add_f32 v[68:69], v[68:69], v[74:75]
	v_pk_fma_f32 v[74:75], v[108:109], v[92:93], v[80:81] neg_lo:[0,0,1] neg_hi:[0,0,1]
	v_mov_b32_e32 v75, v73
	v_pk_fma_f32 v[72:73], v[110:111], v[94:95], v[70:71] op_sel_hi:[1,0,1]
	s_wait_loadcnt_dscnt 0x100
	v_pk_mul_f32 v[76:77], v[128:129], v[124:125] op_sel:[1,1] op_sel_hi:[0,1]
	v_pk_add_f32 v[68:69], v[68:69], v[78:79]
	v_pk_fma_f32 v[70:71], v[110:111], v[94:95], v[70:71] neg_lo:[0,0,1] neg_hi:[0,0,1]
	v_mov_b32_e32 v71, v73
	s_delay_alu instid0(VALU_DEP_4) | instskip(NEXT) | instid1(VALU_DEP_4)
	v_pk_fma_f32 v[72:73], v[128:129], v[124:125], v[76:77] op_sel_hi:[1,0,1]
	v_pk_add_f32 v[68:69], v[68:69], v[74:75]
	v_pk_fma_f32 v[74:75], v[128:129], v[124:125], v[76:77] neg_lo:[0,0,1] neg_hi:[0,0,1]
	s_delay_alu instid0(VALU_DEP_3) | instskip(NEXT) | instid1(VALU_DEP_3)
	v_mov_b32_e32 v75, v73
	v_pk_add_f32 v[68:69], v[68:69], v[70:71]
	s_delay_alu instid0(VALU_DEP_1) | instskip(SKIP_1) | instid1(VALU_DEP_1)
	v_pk_add_f32 v[68:69], v[68:69], v[74:75]
	s_wait_loadcnt 0x0
	v_pk_add_f32 v[68:69], v[126:127], v[68:69] neg_lo:[0,1] neg_hi:[0,1]
	scratch_store_b64 off, v[68:69], off offset:136
	s_wait_xcnt 0x0
	v_cmpx_lt_u32_e32 16, v0
	s_cbranch_execz .LBB96_179
; %bb.178:
	scratch_load_b64 v[68:69], off, off offset:128
	v_mov_b64_e32 v[70:71], 0
	scratch_store_b64 off, v[70:71], off offset:128
	s_wait_loadcnt 0x0
	ds_store_b64 v1, v[68:69]
.LBB96_179:
	s_wait_xcnt 0x0
	s_or_b32 exec_lo, exec_lo, s0
	s_wait_storecnt_dscnt 0x0
	s_barrier_signal -1
	s_barrier_wait -1
	s_clause 0x8
	scratch_load_b128 v[68:71], off, off offset:136
	scratch_load_b128 v[72:75], off, off offset:152
	;; [unrolled: 1-line block ×8, first 2 shown]
	scratch_load_b64 v[132:133], off, off offset:128
	ds_load_2addr_b64 v[100:103], v7 offset0:59 offset1:60
	ds_load_2addr_b64 v[104:107], v7 offset0:61 offset1:62
	;; [unrolled: 1-line block ×8, first 2 shown]
	s_mov_b32 s0, exec_lo
	s_wait_dscnt 0x7
	v_dual_mov_b32 v134, v103 :: v_dual_mov_b32 v135, v102
	s_wait_dscnt 0x6
	v_dual_mov_b32 v136, v107 :: v_dual_mov_b32 v137, v106
	;; [unrolled: 2-line block ×4, first 2 shown]
	s_wait_loadcnt_dscnt 0x803
	v_dual_mul_f32 v7, v116, v69 :: v_dual_mul_f32 v9, v118, v71
	v_dual_mul_f32 v19, v117, v69 :: v_dual_mul_f32 v21, v119, v71
	s_wait_loadcnt_dscnt 0x702
	v_dual_mul_f32 v11, v120, v73 :: v_dual_mul_f32 v13, v122, v75
	s_delay_alu instid0(VALU_DEP_3) | instskip(SKIP_3) | instid1(VALU_DEP_3)
	v_dual_fmac_f32 v7, v117, v68 :: v_dual_fmac_f32 v9, v119, v70
	s_wait_loadcnt_dscnt 0x500
	v_dual_fma_f32 v19, v116, v68, -v19 :: v_dual_mul_f32 v31, v129, v81
	v_dual_mul_f32 v23, v121, v73 :: v_dual_mul_f32 v25, v123, v75
	v_dual_fma_f32 v21, v118, v70, -v21 :: v_dual_add_f32 v7, 0, v7
	s_delay_alu instid0(VALU_DEP_3) | instskip(SKIP_1) | instid1(VALU_DEP_4)
	v_dual_add_f32 v19, 0, v19 :: v_dual_fmac_f32 v11, v121, v72
	v_dual_mul_f32 v15, v124, v77 :: v_dual_mul_f32 v17, v126, v79
	v_dual_mul_f32 v33, v131, v83 :: v_dual_fma_f32 v23, v120, v72, -v23
	s_delay_alu instid0(VALU_DEP_4) | instskip(NEXT) | instid1(VALU_DEP_3)
	v_add_f32_e32 v7, v7, v9
	v_dual_add_f32 v9, v19, v21 :: v_dual_fmac_f32 v15, v125, v76
	v_dual_mul_f32 v27, v125, v77 :: v_dual_mul_f32 v29, v127, v79
	s_delay_alu instid0(VALU_DEP_2) | instskip(NEXT) | instid1(VALU_DEP_4)
	v_dual_fmac_f32 v13, v123, v74 :: v_dual_add_f32 v9, v9, v23
	v_dual_fma_f32 v19, v122, v74, -v25 :: v_dual_add_f32 v7, v7, v11
	s_wait_loadcnt 0x4
	s_delay_alu instid0(VALU_DEP_3) | instskip(SKIP_1) | instid1(VALU_DEP_3)
	v_dual_fma_f32 v11, v124, v76, -v27 :: v_dual_mov_b32 v70, v87
	v_dual_mul_f32 v143, v128, v81 :: v_dual_mul_f32 v145, v130, v83
	v_dual_add_f32 v7, v7, v13 :: v_dual_fma_f32 v13, v126, v78, -v29
	v_dual_add_f32 v9, v9, v19 :: v_dual_fmac_f32 v17, v127, v78
	v_pk_mul_f32 v[68:69], v[100:101], v[84:85] op_sel:[1,1] op_sel_hi:[0,1]
	s_delay_alu instid0(VALU_DEP_3) | instskip(SKIP_1) | instid1(VALU_DEP_3)
	v_dual_add_f32 v7, v7, v15 :: v_dual_fmac_f32 v143, v129, v80
	s_wait_loadcnt 0x3
	v_dual_add_f32 v9, v9, v11 :: v_dual_mov_b32 v74, v91
	s_delay_alu instid0(VALU_DEP_2) | instskip(NEXT) | instid1(VALU_DEP_2)
	v_dual_fma_f32 v142, v128, v80, -v31 :: v_dual_add_f32 v77, v7, v17
	v_dual_fma_f32 v144, v130, v82, -v33 :: v_dual_add_f32 v76, v9, v13
	v_fmac_f32_e32 v145, v131, v82
	v_pk_fma_f32 v[78:79], v[100:101], v[84:85], v[68:69] op_sel_hi:[1,0,1]
	v_pk_mul_f32 v[70:71], v[134:135], v[70:71] op_sel_hi:[1,0]
	v_pk_fma_f32 v[68:69], v[100:101], v[84:85], v[68:69] neg_lo:[0,0,1] neg_hi:[0,0,1]
	v_pk_add_f32 v[76:77], v[76:77], v[142:143]
	v_pk_mul_f32 v[72:73], v[104:105], v[88:89] op_sel:[1,1] op_sel_hi:[0,1]
	v_mov_b32_e32 v69, v79
	v_pk_fma_f32 v[78:79], v[102:103], v[86:87], v[70:71] op_sel_hi:[1,0,1]
	v_pk_fma_f32 v[70:71], v[102:103], v[86:87], v[70:71] neg_lo:[0,0,1] neg_hi:[0,0,1]
	v_pk_add_f32 v[76:77], v[76:77], v[144:145]
	v_pk_fma_f32 v[82:83], v[104:105], v[88:89], v[72:73] op_sel_hi:[1,0,1]
	v_pk_mul_f32 v[74:75], v[136:137], v[74:75] op_sel_hi:[1,0]
	v_mov_b32_e32 v71, v79
	s_wait_loadcnt 0x2
	v_pk_mul_f32 v[80:81], v[108:109], v[92:93] op_sel:[1,1] op_sel_hi:[0,1]
	v_pk_add_f32 v[68:69], v[76:77], v[68:69]
	v_mov_b32_e32 v76, v95
	v_pk_fma_f32 v[72:73], v[104:105], v[88:89], v[72:73] neg_lo:[0,0,1] neg_hi:[0,0,1]
	v_mov_b32_e32 v73, v83
	v_pk_fma_f32 v[78:79], v[106:107], v[90:91], v[74:75] op_sel_hi:[1,0,1]
	v_pk_add_f32 v[68:69], v[68:69], v[70:71]
	v_pk_fma_f32 v[70:71], v[108:109], v[92:93], v[80:81] op_sel_hi:[1,0,1]
	v_pk_mul_f32 v[76:77], v[138:139], v[76:77] op_sel_hi:[1,0]
	v_pk_fma_f32 v[74:75], v[106:107], v[90:91], v[74:75] neg_lo:[0,0,1] neg_hi:[0,0,1]
	v_mov_b32_e32 v75, v79
	v_pk_add_f32 v[68:69], v[68:69], v[72:73]
	v_pk_fma_f32 v[78:79], v[108:109], v[92:93], v[80:81] neg_lo:[0,0,1] neg_hi:[0,0,1]
	v_mov_b32_e32 v79, v71
	v_pk_fma_f32 v[70:71], v[110:111], v[94:95], v[76:77] op_sel_hi:[1,0,1]
	s_wait_loadcnt 0x1
	v_pk_mul_f32 v[72:73], v[112:113], v[96:97] op_sel:[1,1] op_sel_hi:[0,1]
	v_pk_add_f32 v[68:69], v[68:69], v[74:75]
	v_mov_b32_e32 v70, v99
	v_pk_fma_f32 v[76:77], v[110:111], v[94:95], v[76:77] neg_lo:[0,0,1] neg_hi:[0,0,1]
	v_mov_b32_e32 v77, v71
	v_pk_fma_f32 v[74:75], v[112:113], v[96:97], v[72:73] op_sel_hi:[1,0,1]
	v_pk_add_f32 v[68:69], v[68:69], v[78:79]
	v_pk_mul_f32 v[70:71], v[140:141], v[70:71] op_sel_hi:[1,0]
	v_pk_fma_f32 v[72:73], v[112:113], v[96:97], v[72:73] neg_lo:[0,0,1] neg_hi:[0,0,1]
	s_delay_alu instid0(VALU_DEP_4) | instskip(NEXT) | instid1(VALU_DEP_4)
	v_mov_b32_e32 v73, v75
	v_pk_add_f32 v[68:69], v[68:69], v[76:77]
	s_delay_alu instid0(VALU_DEP_4) | instskip(SKIP_1) | instid1(VALU_DEP_2)
	v_pk_fma_f32 v[74:75], v[114:115], v[98:99], v[70:71] op_sel_hi:[1,0,1]
	v_pk_fma_f32 v[70:71], v[114:115], v[98:99], v[70:71] neg_lo:[0,0,1] neg_hi:[0,0,1]
	v_mov_b32_e32 v71, v75
	s_delay_alu instid0(VALU_DEP_4) | instskip(NEXT) | instid1(VALU_DEP_1)
	v_pk_add_f32 v[68:69], v[68:69], v[72:73]
	v_pk_add_f32 v[68:69], v[68:69], v[70:71]
	s_wait_loadcnt 0x0
	s_delay_alu instid0(VALU_DEP_1)
	v_pk_add_f32 v[68:69], v[132:133], v[68:69] neg_lo:[0,1] neg_hi:[0,1]
	scratch_store_b64 off, v[68:69], off offset:128
	s_wait_xcnt 0x0
	v_cmpx_lt_u32_e32 15, v0
	s_cbranch_execz .LBB96_181
; %bb.180:
	scratch_load_b64 v[68:69], off, off offset:120
	v_mov_b64_e32 v[70:71], 0
	scratch_store_b64 off, v[70:71], off offset:120
	s_wait_loadcnt 0x0
	ds_store_b64 v1, v[68:69]
.LBB96_181:
	s_wait_xcnt 0x0
	s_or_b32 exec_lo, exec_lo, s0
	s_wait_storecnt_dscnt 0x0
	s_barrier_signal -1
	s_barrier_wait -1
	s_clause 0x9
	scratch_load_b128 v[68:71], off, off offset:128
	scratch_load_b128 v[72:75], off, off offset:144
	;; [unrolled: 1-line block ×8, first 2 shown]
	scratch_load_b64 v[132:133], off, off offset:256
	scratch_load_b64 v[134:135], off, off offset:120
	v_mov_b32_e32 v7, 0
	ds_load_b128 v[100:103], v7 offset:464
	ds_load_b128 v[104:107], v7 offset:480
	;; [unrolled: 1-line block ×8, first 2 shown]
	ds_load_b64 v[136:137], v7 offset:528
	s_mov_b32 s0, exec_lo
	s_wait_dscnt 0x8
	v_dual_mov_b32 v138, v103 :: v_dual_mov_b32 v139, v102
	s_wait_dscnt 0x5
	v_dual_mov_b32 v140, v107 :: v_dual_mov_b32 v145, v114
	v_dual_mov_b32 v141, v106 :: v_dual_mov_b32 v142, v111
	;; [unrolled: 1-line block ×3, first 2 shown]
	s_wait_loadcnt_dscnt 0x904
	v_dual_mul_f32 v9, v116, v69 :: v_dual_mul_f32 v23, v117, v69
	v_dual_mul_f32 v25, v119, v71 :: v_dual_mul_f32 v11, v118, v71
	s_wait_loadcnt_dscnt 0x803
	v_mul_f32_e32 v13, v120, v73
	s_wait_loadcnt_dscnt 0x601
	v_dual_mul_f32 v35, v129, v81 :: v_dual_fma_f32 v23, v116, v68, -v23
	v_dual_fmac_f32 v9, v117, v68 :: v_dual_mul_f32 v37, v131, v83
	v_dual_mul_f32 v27, v121, v73 :: v_dual_mul_f32 v29, v123, v75
	v_dual_fmac_f32 v11, v119, v70 :: v_dual_fma_f32 v25, v118, v70, -v25
	s_delay_alu instid0(VALU_DEP_3)
	v_dual_add_f32 v9, 0, v9 :: v_dual_add_f32 v23, 0, v23
	v_dual_mul_f32 v15, v122, v75 :: v_dual_mul_f32 v17, v124, v77
	s_wait_loadcnt 0x5
	v_dual_mul_f32 v39, v101, v85 :: v_dual_fma_f32 v27, v120, v72, -v27
	v_fmac_f32_e32 v13, v121, v72
	v_dual_add_f32 v9, v9, v11 :: v_dual_mov_b32 v68, v87
	v_add_f32_e32 v11, v23, v25
	v_dual_mul_f32 v31, v125, v77 :: v_dual_mul_f32 v33, v127, v79
	v_dual_fmac_f32 v15, v123, v74 :: v_dual_fma_f32 v23, v122, v74, -v29
	s_delay_alu instid0(VALU_DEP_3) | instskip(SKIP_1) | instid1(VALU_DEP_4)
	v_dual_add_f32 v9, v9, v13 :: v_dual_add_f32 v11, v11, v27
	v_dual_mul_f32 v19, v126, v79 :: v_dual_mul_f32 v21, v128, v81
	v_dual_fmac_f32 v17, v125, v76 :: v_dual_fma_f32 v13, v124, v76, -v31
	s_wait_loadcnt 0x4
	s_delay_alu instid0(VALU_DEP_3) | instskip(SKIP_1) | instid1(VALU_DEP_2)
	v_dual_add_f32 v9, v9, v15 :: v_dual_mov_b32 v72, v91
	v_dual_add_f32 v11, v11, v23 :: v_dual_fma_f32 v15, v126, v78, -v33
	v_dual_fmac_f32 v19, v127, v78 :: v_dual_add_f32 v9, v9, v17
	v_dual_mul_f32 v147, v130, v83 :: v_dual_mul_f32 v149, v100, v85
	s_delay_alu instid0(VALU_DEP_3) | instskip(NEXT) | instid1(VALU_DEP_3)
	v_dual_add_f32 v11, v11, v13 :: v_dual_fmac_f32 v21, v129, v80
	v_dual_fma_f32 v13, v128, v80, -v35 :: v_dual_add_f32 v9, v9, v19
	s_delay_alu instid0(VALU_DEP_3) | instskip(NEXT) | instid1(VALU_DEP_3)
	v_fmac_f32_e32 v147, v131, v82
	v_dual_add_f32 v11, v11, v15 :: v_dual_fma_f32 v146, v130, v82, -v37
	v_pk_mul_f32 v[68:69], v[138:139], v[68:69] op_sel_hi:[1,0]
	s_delay_alu instid0(VALU_DEP_4) | instskip(SKIP_1) | instid1(VALU_DEP_4)
	v_add_f32_e32 v77, v9, v21
	v_pk_mul_f32 v[70:71], v[104:105], v[88:89] op_sel:[1,1] op_sel_hi:[0,1]
	v_dual_add_f32 v76, v11, v13 :: v_dual_fmac_f32 v149, v101, v84
	s_wait_loadcnt 0x3
	v_dual_mov_b32 v78, v95 :: v_dual_fma_f32 v148, v100, v84, -v39
	v_pk_fma_f32 v[80:81], v[102:103], v[86:87], v[68:69] op_sel_hi:[1,0,1]
	s_delay_alu instid0(VALU_DEP_3)
	v_pk_add_f32 v[76:77], v[76:77], v[146:147]
	v_pk_fma_f32 v[68:69], v[102:103], v[86:87], v[68:69] neg_lo:[0,0,1] neg_hi:[0,0,1]
	v_pk_fma_f32 v[82:83], v[104:105], v[88:89], v[70:71] op_sel_hi:[1,0,1]
	v_pk_mul_f32 v[72:73], v[140:141], v[72:73] op_sel_hi:[1,0]
	v_mov_b32_e32 v69, v81
	v_pk_add_f32 v[76:77], v[76:77], v[148:149]
	v_pk_fma_f32 v[70:71], v[104:105], v[88:89], v[70:71] neg_lo:[0,0,1] neg_hi:[0,0,1]
	v_pk_mul_f32 v[74:75], v[108:109], v[92:93] op_sel:[1,1] op_sel_hi:[0,1]
	v_mov_b32_e32 v71, v83
	v_pk_fma_f32 v[82:83], v[106:107], v[90:91], v[72:73] op_sel_hi:[1,0,1]
	v_pk_add_f32 v[68:69], v[76:77], v[68:69]
	v_pk_fma_f32 v[72:73], v[106:107], v[90:91], v[72:73] neg_lo:[0,0,1] neg_hi:[0,0,1]
	v_pk_fma_f32 v[76:77], v[108:109], v[92:93], v[74:75] op_sel_hi:[1,0,1]
	v_pk_mul_f32 v[78:79], v[142:143], v[78:79] op_sel_hi:[1,0]
	v_mov_b32_e32 v73, v83
	v_pk_add_f32 v[68:69], v[68:69], v[70:71]
	v_pk_fma_f32 v[74:75], v[108:109], v[92:93], v[74:75] neg_lo:[0,0,1] neg_hi:[0,0,1]
	s_wait_loadcnt 0x2
	v_pk_mul_f32 v[80:81], v[112:113], v[96:97] op_sel:[1,1] op_sel_hi:[0,1]
	v_dual_mov_b32 v70, v99 :: v_dual_mov_b32 v75, v77
	v_pk_fma_f32 v[76:77], v[110:111], v[94:95], v[78:79] op_sel_hi:[1,0,1]
	v_pk_add_f32 v[68:69], v[68:69], v[72:73]
	v_pk_fma_f32 v[78:79], v[110:111], v[94:95], v[78:79] neg_lo:[0,0,1] neg_hi:[0,0,1]
	v_pk_fma_f32 v[72:73], v[112:113], v[96:97], v[80:81] op_sel_hi:[1,0,1]
	v_pk_mul_f32 v[70:71], v[144:145], v[70:71] op_sel_hi:[1,0]
	v_mov_b32_e32 v79, v77
	v_pk_add_f32 v[68:69], v[68:69], v[74:75]
	v_pk_fma_f32 v[74:75], v[112:113], v[96:97], v[80:81] neg_lo:[0,0,1] neg_hi:[0,0,1]
	v_mov_b32_e32 v75, v73
	v_pk_fma_f32 v[72:73], v[114:115], v[98:99], v[70:71] op_sel_hi:[1,0,1]
	s_wait_loadcnt_dscnt 0x100
	v_pk_mul_f32 v[76:77], v[136:137], v[132:133] op_sel:[1,1] op_sel_hi:[0,1]
	v_pk_add_f32 v[68:69], v[68:69], v[78:79]
	v_pk_fma_f32 v[70:71], v[114:115], v[98:99], v[70:71] neg_lo:[0,0,1] neg_hi:[0,0,1]
	v_mov_b32_e32 v71, v73
	s_delay_alu instid0(VALU_DEP_4) | instskip(NEXT) | instid1(VALU_DEP_4)
	v_pk_fma_f32 v[72:73], v[136:137], v[132:133], v[76:77] op_sel_hi:[1,0,1]
	v_pk_add_f32 v[68:69], v[68:69], v[74:75]
	v_pk_fma_f32 v[74:75], v[136:137], v[132:133], v[76:77] neg_lo:[0,0,1] neg_hi:[0,0,1]
	s_delay_alu instid0(VALU_DEP_3) | instskip(NEXT) | instid1(VALU_DEP_3)
	v_mov_b32_e32 v75, v73
	v_pk_add_f32 v[68:69], v[68:69], v[70:71]
	s_delay_alu instid0(VALU_DEP_1) | instskip(SKIP_1) | instid1(VALU_DEP_1)
	v_pk_add_f32 v[68:69], v[68:69], v[74:75]
	s_wait_loadcnt 0x0
	v_pk_add_f32 v[68:69], v[134:135], v[68:69] neg_lo:[0,1] neg_hi:[0,1]
	scratch_store_b64 off, v[68:69], off offset:120
	s_wait_xcnt 0x0
	v_cmpx_lt_u32_e32 14, v0
	s_cbranch_execz .LBB96_183
; %bb.182:
	scratch_load_b64 v[68:69], off, off offset:112
	v_mov_b64_e32 v[70:71], 0
	scratch_store_b64 off, v[70:71], off offset:112
	s_wait_loadcnt 0x0
	ds_store_b64 v1, v[68:69]
.LBB96_183:
	s_wait_xcnt 0x0
	s_or_b32 exec_lo, exec_lo, s0
	s_wait_storecnt_dscnt 0x0
	s_barrier_signal -1
	s_barrier_wait -1
	s_clause 0x9
	scratch_load_b128 v[68:71], off, off offset:120
	scratch_load_b128 v[72:75], off, off offset:136
	;; [unrolled: 1-line block ×9, first 2 shown]
	scratch_load_b64 v[140:141], off, off offset:112
	ds_load_2addr_b64 v[104:107], v7 offset0:59 offset1:60
	ds_load_2addr_b64 v[108:111], v7 offset0:61 offset1:62
	ds_load_2addr_b64 v[112:115], v7 offset0:63 offset1:64
	ds_load_2addr_b64 v[116:119], v7 offset0:65 offset1:66
	ds_load_2addr_b64 v[120:123], v7 offset0:49 offset1:50
	ds_load_2addr_b64 v[124:127], v7 offset0:51 offset1:52
	ds_load_2addr_b64 v[128:131], v7 offset0:53 offset1:54
	ds_load_2addr_b64 v[132:135], v7 offset0:55 offset1:56
	ds_load_2addr_b64 v[136:139], v7 offset0:57 offset1:58
	s_mov_b32 s0, exec_lo
	s_wait_dscnt 0x8
	v_dual_mov_b32 v142, v107 :: v_dual_mov_b32 v143, v106
	s_wait_dscnt 0x7
	v_dual_mov_b32 v144, v111 :: v_dual_mov_b32 v145, v110
	;; [unrolled: 2-line block ×4, first 2 shown]
	s_wait_loadcnt_dscnt 0x904
	v_dual_mul_f32 v7, v120, v69 :: v_dual_mul_f32 v9, v122, v71
	v_dual_mul_f32 v23, v121, v69 :: v_dual_mul_f32 v25, v123, v71
	s_wait_loadcnt_dscnt 0x803
	v_dual_mul_f32 v11, v124, v73 :: v_dual_mul_f32 v13, v126, v75
	s_delay_alu instid0(VALU_DEP_3) | instskip(SKIP_3) | instid1(VALU_DEP_3)
	v_dual_fmac_f32 v7, v121, v68 :: v_dual_fmac_f32 v9, v123, v70
	s_wait_loadcnt_dscnt 0x601
	v_dual_fma_f32 v23, v120, v68, -v23 :: v_dual_mul_f32 v35, v133, v81
	v_dual_mul_f32 v27, v125, v73 :: v_dual_mul_f32 v29, v127, v75
	v_dual_fma_f32 v25, v122, v70, -v25 :: v_dual_add_f32 v7, 0, v7
	s_delay_alu instid0(VALU_DEP_3) | instskip(SKIP_1) | instid1(VALU_DEP_4)
	v_dual_add_f32 v23, 0, v23 :: v_dual_fmac_f32 v11, v125, v72
	v_dual_mul_f32 v15, v128, v77 :: v_dual_mul_f32 v17, v130, v79
	v_dual_mul_f32 v37, v135, v83 :: v_dual_fma_f32 v27, v124, v72, -v27
	s_delay_alu instid0(VALU_DEP_4) | instskip(NEXT) | instid1(VALU_DEP_3)
	v_add_f32_e32 v7, v7, v9
	v_dual_add_f32 v9, v23, v25 :: v_dual_fmac_f32 v15, v129, v76
	v_dual_mul_f32 v31, v129, v77 :: v_dual_mul_f32 v33, v131, v79
	s_wait_loadcnt_dscnt 0x500
	v_dual_mul_f32 v23, v137, v85 :: v_dual_fmac_f32 v13, v127, v74
	v_dual_fma_f32 v25, v126, v74, -v29 :: v_dual_add_f32 v7, v7, v11
	s_delay_alu instid0(VALU_DEP_3) | instskip(SKIP_1) | instid1(VALU_DEP_3)
	v_dual_add_f32 v9, v9, v27 :: v_dual_fma_f32 v27, v128, v76, -v31
	v_dual_mul_f32 v19, v132, v81 :: v_dual_mul_f32 v21, v134, v83
	v_add_f32_e32 v7, v7, v13
	s_delay_alu instid0(VALU_DEP_3) | instskip(SKIP_1) | instid1(VALU_DEP_3)
	v_dual_mul_f32 v11, v139, v87 :: v_dual_add_f32 v9, v9, v25
	v_fmac_f32_e32 v17, v131, v78
	v_dual_fma_f32 v13, v130, v78, -v33 :: v_dual_add_f32 v7, v7, v15
	s_wait_loadcnt 0x4
	v_dual_mov_b32 v70, v91 :: v_dual_fmac_f32 v19, v133, v80
	v_dual_add_f32 v9, v9, v27 :: v_dual_fma_f32 v15, v132, v80, -v35
	s_delay_alu instid0(VALU_DEP_3) | instskip(SKIP_1) | instid1(VALU_DEP_3)
	v_add_f32_e32 v7, v7, v17
	v_dual_mul_f32 v151, v136, v85 :: v_dual_mul_f32 v153, v138, v87
	v_dual_add_f32 v9, v9, v13 :: v_dual_fmac_f32 v21, v135, v82
	s_delay_alu instid0(VALU_DEP_3) | instskip(SKIP_2) | instid1(VALU_DEP_3)
	v_dual_fma_f32 v13, v134, v82, -v37 :: v_dual_add_f32 v7, v7, v19
	v_pk_mul_f32 v[68:69], v[104:105], v[88:89] op_sel:[1,1] op_sel_hi:[0,1]
	s_wait_loadcnt 0x3
	v_dual_add_f32 v9, v9, v15 :: v_dual_mov_b32 v74, v95
	s_delay_alu instid0(VALU_DEP_3) | instskip(NEXT) | instid1(VALU_DEP_2)
	v_dual_fmac_f32 v151, v137, v84 :: v_dual_add_f32 v77, v7, v21
	v_dual_fma_f32 v150, v136, v84, -v23 :: v_dual_add_f32 v76, v9, v13
	v_dual_fmac_f32 v153, v139, v86 :: v_dual_fma_f32 v152, v138, v86, -v11
	v_pk_fma_f32 v[78:79], v[104:105], v[88:89], v[68:69] op_sel_hi:[1,0,1]
	v_pk_mul_f32 v[70:71], v[142:143], v[70:71] op_sel_hi:[1,0]
	s_delay_alu instid0(VALU_DEP_4)
	v_pk_add_f32 v[76:77], v[76:77], v[150:151]
	v_pk_fma_f32 v[68:69], v[104:105], v[88:89], v[68:69] neg_lo:[0,0,1] neg_hi:[0,0,1]
	v_pk_mul_f32 v[72:73], v[108:109], v[92:93] op_sel:[1,1] op_sel_hi:[0,1]
	v_mov_b32_e32 v69, v79
	v_pk_fma_f32 v[78:79], v[106:107], v[90:91], v[70:71] op_sel_hi:[1,0,1]
	v_pk_add_f32 v[76:77], v[76:77], v[152:153]
	v_pk_fma_f32 v[70:71], v[106:107], v[90:91], v[70:71] neg_lo:[0,0,1] neg_hi:[0,0,1]
	v_pk_fma_f32 v[82:83], v[108:109], v[92:93], v[72:73] op_sel_hi:[1,0,1]
	v_pk_mul_f32 v[74:75], v[144:145], v[74:75] op_sel_hi:[1,0]
	v_mov_b32_e32 v71, v79
	v_pk_add_f32 v[68:69], v[76:77], v[68:69]
	s_wait_loadcnt 0x2
	v_pk_mul_f32 v[80:81], v[112:113], v[96:97] op_sel:[1,1] op_sel_hi:[0,1]
	v_mov_b32_e32 v76, v99
	v_pk_fma_f32 v[72:73], v[108:109], v[92:93], v[72:73] neg_lo:[0,0,1] neg_hi:[0,0,1]
	v_mov_b32_e32 v73, v83
	v_pk_fma_f32 v[78:79], v[110:111], v[94:95], v[74:75] op_sel_hi:[1,0,1]
	v_pk_add_f32 v[68:69], v[68:69], v[70:71]
	v_pk_fma_f32 v[70:71], v[112:113], v[96:97], v[80:81] op_sel_hi:[1,0,1]
	v_pk_mul_f32 v[76:77], v[146:147], v[76:77] op_sel_hi:[1,0]
	v_pk_fma_f32 v[74:75], v[110:111], v[94:95], v[74:75] neg_lo:[0,0,1] neg_hi:[0,0,1]
	v_mov_b32_e32 v75, v79
	v_pk_add_f32 v[68:69], v[68:69], v[72:73]
	v_pk_fma_f32 v[78:79], v[112:113], v[96:97], v[80:81] neg_lo:[0,0,1] neg_hi:[0,0,1]
	v_mov_b32_e32 v79, v71
	v_pk_fma_f32 v[70:71], v[114:115], v[98:99], v[76:77] op_sel_hi:[1,0,1]
	s_wait_loadcnt 0x1
	v_pk_mul_f32 v[72:73], v[116:117], v[100:101] op_sel:[1,1] op_sel_hi:[0,1]
	v_pk_add_f32 v[68:69], v[68:69], v[74:75]
	v_mov_b32_e32 v70, v103
	v_pk_fma_f32 v[76:77], v[114:115], v[98:99], v[76:77] neg_lo:[0,0,1] neg_hi:[0,0,1]
	v_mov_b32_e32 v77, v71
	v_pk_fma_f32 v[74:75], v[116:117], v[100:101], v[72:73] op_sel_hi:[1,0,1]
	v_pk_add_f32 v[68:69], v[68:69], v[78:79]
	v_pk_mul_f32 v[70:71], v[148:149], v[70:71] op_sel_hi:[1,0]
	v_pk_fma_f32 v[72:73], v[116:117], v[100:101], v[72:73] neg_lo:[0,0,1] neg_hi:[0,0,1]
	s_delay_alu instid0(VALU_DEP_4) | instskip(NEXT) | instid1(VALU_DEP_4)
	v_mov_b32_e32 v73, v75
	v_pk_add_f32 v[68:69], v[68:69], v[76:77]
	s_delay_alu instid0(VALU_DEP_4) | instskip(SKIP_1) | instid1(VALU_DEP_2)
	v_pk_fma_f32 v[74:75], v[118:119], v[102:103], v[70:71] op_sel_hi:[1,0,1]
	v_pk_fma_f32 v[70:71], v[118:119], v[102:103], v[70:71] neg_lo:[0,0,1] neg_hi:[0,0,1]
	v_mov_b32_e32 v71, v75
	s_delay_alu instid0(VALU_DEP_4) | instskip(NEXT) | instid1(VALU_DEP_1)
	v_pk_add_f32 v[68:69], v[68:69], v[72:73]
	v_pk_add_f32 v[68:69], v[68:69], v[70:71]
	s_wait_loadcnt 0x0
	s_delay_alu instid0(VALU_DEP_1)
	v_pk_add_f32 v[68:69], v[140:141], v[68:69] neg_lo:[0,1] neg_hi:[0,1]
	scratch_store_b64 off, v[68:69], off offset:112
	s_wait_xcnt 0x0
	v_cmpx_lt_u32_e32 13, v0
	s_cbranch_execz .LBB96_185
; %bb.184:
	scratch_load_b64 v[68:69], off, off offset:104
	v_mov_b64_e32 v[70:71], 0
	scratch_store_b64 off, v[70:71], off offset:104
	s_wait_loadcnt 0x0
	ds_store_b64 v1, v[68:69]
.LBB96_185:
	s_wait_xcnt 0x0
	s_or_b32 exec_lo, exec_lo, s0
	s_wait_storecnt_dscnt 0x0
	s_barrier_signal -1
	s_barrier_wait -1
	s_clause 0xa
	scratch_load_b128 v[68:71], off, off offset:112
	scratch_load_b128 v[72:75], off, off offset:128
	;; [unrolled: 1-line block ×9, first 2 shown]
	scratch_load_b64 v[140:141], off, off offset:256
	scratch_load_b64 v[142:143], off, off offset:104
	v_mov_b32_e32 v7, 0
	ds_load_b128 v[104:107], v7 offset:464
	ds_load_b128 v[108:111], v7 offset:480
	;; [unrolled: 1-line block ×9, first 2 shown]
	ds_load_b64 v[144:145], v7 offset:528
	s_mov_b32 s0, exec_lo
	s_wait_dscnt 0x9
	v_dual_mov_b32 v146, v107 :: v_dual_mov_b32 v147, v106
	s_wait_dscnt 0x6
	v_dual_mov_b32 v148, v111 :: v_dual_mov_b32 v153, v118
	v_dual_mov_b32 v149, v110 :: v_dual_mov_b32 v150, v115
	;; [unrolled: 1-line block ×3, first 2 shown]
	s_wait_loadcnt_dscnt 0xa05
	v_dual_mul_f32 v9, v120, v69 :: v_dual_mul_f32 v27, v121, v69
	v_dual_mul_f32 v29, v123, v71 :: v_dual_mul_f32 v11, v122, v71
	s_wait_loadcnt_dscnt 0x904
	v_mul_f32_e32 v13, v124, v73
	s_wait_loadcnt_dscnt 0x702
	v_dual_mul_f32 v39, v133, v81 :: v_dual_fma_f32 v27, v120, v68, -v27
	v_dual_fmac_f32 v9, v121, v68 :: v_dual_mul_f32 v41, v135, v83
	v_dual_mul_f32 v31, v125, v73 :: v_dual_mul_f32 v33, v127, v75
	v_dual_fmac_f32 v11, v123, v70 :: v_dual_fma_f32 v29, v122, v70, -v29
	s_delay_alu instid0(VALU_DEP_3) | instskip(SKIP_4) | instid1(VALU_DEP_3)
	v_dual_add_f32 v9, 0, v9 :: v_dual_add_f32 v27, 0, v27
	v_dual_mul_f32 v15, v126, v75 :: v_dual_mul_f32 v17, v128, v77
	s_wait_loadcnt_dscnt 0x601
	v_dual_mul_f32 v43, v137, v85 :: v_dual_fma_f32 v31, v124, v72, -v31
	v_fmac_f32_e32 v13, v125, v72
	v_dual_add_f32 v9, v9, v11 :: v_dual_fmac_f32 v15, v127, v74
	v_add_f32_e32 v11, v27, v29
	v_dual_mul_f32 v35, v129, v77 :: v_dual_mul_f32 v37, v131, v79
	v_dual_mul_f32 v27, v139, v87 :: v_dual_fma_f32 v29, v126, v74, -v33
	s_delay_alu instid0(VALU_DEP_3) | instskip(SKIP_3) | instid1(VALU_DEP_3)
	v_dual_add_f32 v9, v9, v13 :: v_dual_add_f32 v11, v11, v31
	v_dual_mul_f32 v19, v130, v79 :: v_dual_mul_f32 v21, v132, v81
	s_wait_loadcnt 0x5
	v_dual_mul_f32 v13, v105, v89 :: v_dual_fma_f32 v31, v128, v76, -v35
	v_dual_fmac_f32 v17, v129, v76 :: v_dual_add_f32 v11, v11, v29
	v_dual_add_f32 v9, v9, v15 :: v_dual_mov_b32 v68, v91
	v_dual_fmac_f32 v19, v131, v78 :: v_dual_fma_f32 v15, v130, v78, -v37
	s_delay_alu instid0(VALU_DEP_2) | instskip(SKIP_3) | instid1(VALU_DEP_3)
	v_dual_add_f32 v11, v11, v31 :: v_dual_add_f32 v9, v9, v17
	v_dual_mul_f32 v23, v134, v83 :: v_dual_mul_f32 v25, v136, v85
	v_dual_fmac_f32 v21, v133, v80 :: v_dual_fma_f32 v17, v132, v80, -v39
	s_wait_loadcnt 0x4
	v_dual_add_f32 v9, v9, v19 :: v_dual_mov_b32 v72, v95
	v_dual_add_f32 v11, v11, v15 :: v_dual_fma_f32 v15, v134, v82, -v41
	s_delay_alu instid0(VALU_DEP_2) | instskip(SKIP_1) | instid1(VALU_DEP_3)
	v_dual_fmac_f32 v23, v135, v82 :: v_dual_add_f32 v9, v9, v21
	v_dual_mul_f32 v155, v138, v87 :: v_dual_mul_f32 v157, v104, v89
	v_dual_add_f32 v11, v11, v17 :: v_dual_fmac_f32 v25, v137, v84
	s_delay_alu instid0(VALU_DEP_3) | instskip(NEXT) | instid1(VALU_DEP_3)
	v_dual_fma_f32 v17, v136, v84, -v43 :: v_dual_add_f32 v9, v9, v23
	v_fmac_f32_e32 v155, v139, v86
	s_delay_alu instid0(VALU_DEP_3) | instskip(SKIP_1) | instid1(VALU_DEP_4)
	v_dual_add_f32 v11, v11, v15 :: v_dual_fma_f32 v154, v138, v86, -v27
	v_pk_mul_f32 v[68:69], v[146:147], v[68:69] op_sel_hi:[1,0]
	v_add_f32_e32 v77, v9, v25
	v_pk_mul_f32 v[70:71], v[108:109], v[92:93] op_sel:[1,1] op_sel_hi:[0,1]
	s_delay_alu instid0(VALU_DEP_4) | instskip(SKIP_3) | instid1(VALU_DEP_3)
	v_dual_add_f32 v76, v11, v17 :: v_dual_fmac_f32 v157, v105, v88
	s_wait_loadcnt 0x3
	v_dual_mov_b32 v78, v99 :: v_dual_fma_f32 v156, v104, v88, -v13
	v_pk_fma_f32 v[80:81], v[106:107], v[90:91], v[68:69] op_sel_hi:[1,0,1]
	v_pk_add_f32 v[76:77], v[76:77], v[154:155]
	v_pk_fma_f32 v[68:69], v[106:107], v[90:91], v[68:69] neg_lo:[0,0,1] neg_hi:[0,0,1]
	v_pk_fma_f32 v[82:83], v[108:109], v[92:93], v[70:71] op_sel_hi:[1,0,1]
	v_pk_mul_f32 v[72:73], v[148:149], v[72:73] op_sel_hi:[1,0]
	v_mov_b32_e32 v69, v81
	v_pk_add_f32 v[76:77], v[76:77], v[156:157]
	v_pk_fma_f32 v[70:71], v[108:109], v[92:93], v[70:71] neg_lo:[0,0,1] neg_hi:[0,0,1]
	v_pk_mul_f32 v[74:75], v[112:113], v[96:97] op_sel:[1,1] op_sel_hi:[0,1]
	v_mov_b32_e32 v71, v83
	v_pk_fma_f32 v[82:83], v[110:111], v[94:95], v[72:73] op_sel_hi:[1,0,1]
	v_pk_add_f32 v[68:69], v[76:77], v[68:69]
	v_pk_fma_f32 v[72:73], v[110:111], v[94:95], v[72:73] neg_lo:[0,0,1] neg_hi:[0,0,1]
	v_pk_fma_f32 v[76:77], v[112:113], v[96:97], v[74:75] op_sel_hi:[1,0,1]
	v_pk_mul_f32 v[78:79], v[150:151], v[78:79] op_sel_hi:[1,0]
	v_mov_b32_e32 v73, v83
	v_pk_add_f32 v[68:69], v[68:69], v[70:71]
	v_pk_fma_f32 v[74:75], v[112:113], v[96:97], v[74:75] neg_lo:[0,0,1] neg_hi:[0,0,1]
	s_wait_loadcnt 0x2
	v_pk_mul_f32 v[80:81], v[116:117], v[100:101] op_sel:[1,1] op_sel_hi:[0,1]
	v_dual_mov_b32 v70, v103 :: v_dual_mov_b32 v75, v77
	v_pk_fma_f32 v[76:77], v[114:115], v[98:99], v[78:79] op_sel_hi:[1,0,1]
	v_pk_add_f32 v[68:69], v[68:69], v[72:73]
	v_pk_fma_f32 v[78:79], v[114:115], v[98:99], v[78:79] neg_lo:[0,0,1] neg_hi:[0,0,1]
	v_pk_fma_f32 v[72:73], v[116:117], v[100:101], v[80:81] op_sel_hi:[1,0,1]
	v_pk_mul_f32 v[70:71], v[152:153], v[70:71] op_sel_hi:[1,0]
	v_mov_b32_e32 v79, v77
	v_pk_add_f32 v[68:69], v[68:69], v[74:75]
	v_pk_fma_f32 v[74:75], v[116:117], v[100:101], v[80:81] neg_lo:[0,0,1] neg_hi:[0,0,1]
	v_mov_b32_e32 v75, v73
	v_pk_fma_f32 v[72:73], v[118:119], v[102:103], v[70:71] op_sel_hi:[1,0,1]
	s_wait_loadcnt_dscnt 0x100
	v_pk_mul_f32 v[76:77], v[144:145], v[140:141] op_sel:[1,1] op_sel_hi:[0,1]
	v_pk_add_f32 v[68:69], v[68:69], v[78:79]
	v_pk_fma_f32 v[70:71], v[118:119], v[102:103], v[70:71] neg_lo:[0,0,1] neg_hi:[0,0,1]
	v_mov_b32_e32 v71, v73
	s_delay_alu instid0(VALU_DEP_4) | instskip(NEXT) | instid1(VALU_DEP_4)
	v_pk_fma_f32 v[72:73], v[144:145], v[140:141], v[76:77] op_sel_hi:[1,0,1]
	v_pk_add_f32 v[68:69], v[68:69], v[74:75]
	v_pk_fma_f32 v[74:75], v[144:145], v[140:141], v[76:77] neg_lo:[0,0,1] neg_hi:[0,0,1]
	s_delay_alu instid0(VALU_DEP_3) | instskip(NEXT) | instid1(VALU_DEP_3)
	v_mov_b32_e32 v75, v73
	v_pk_add_f32 v[68:69], v[68:69], v[70:71]
	s_delay_alu instid0(VALU_DEP_1) | instskip(SKIP_1) | instid1(VALU_DEP_1)
	v_pk_add_f32 v[68:69], v[68:69], v[74:75]
	s_wait_loadcnt 0x0
	v_pk_add_f32 v[68:69], v[142:143], v[68:69] neg_lo:[0,1] neg_hi:[0,1]
	scratch_store_b64 off, v[68:69], off offset:104
	s_wait_xcnt 0x0
	v_cmpx_lt_u32_e32 12, v0
	s_cbranch_execz .LBB96_187
; %bb.186:
	scratch_load_b64 v[68:69], off, off offset:96
	v_mov_b64_e32 v[70:71], 0
	scratch_store_b64 off, v[70:71], off offset:96
	s_wait_loadcnt 0x0
	ds_store_b64 v1, v[68:69]
.LBB96_187:
	s_wait_xcnt 0x0
	s_or_b32 exec_lo, exec_lo, s0
	s_wait_storecnt_dscnt 0x0
	s_barrier_signal -1
	s_barrier_wait -1
	s_clause 0xa
	scratch_load_b128 v[68:71], off, off offset:104
	scratch_load_b128 v[72:75], off, off offset:120
	;; [unrolled: 1-line block ×10, first 2 shown]
	scratch_load_b64 v[148:149], off, off offset:96
	ds_load_2addr_b64 v[108:111], v7 offset0:59 offset1:60
	ds_load_2addr_b64 v[112:115], v7 offset0:61 offset1:62
	;; [unrolled: 1-line block ×10, first 2 shown]
	s_mov_b32 s0, exec_lo
	s_wait_dscnt 0x9
	v_dual_mov_b32 v150, v111 :: v_dual_mov_b32 v151, v110
	s_wait_dscnt 0x8
	v_dual_mov_b32 v152, v115 :: v_dual_mov_b32 v153, v114
	;; [unrolled: 2-line block ×4, first 2 shown]
	s_wait_loadcnt_dscnt 0xa05
	v_dual_mul_f32 v7, v124, v69 :: v_dual_mul_f32 v9, v126, v71
	v_dual_mul_f32 v27, v125, v69 :: v_dual_mul_f32 v29, v127, v71
	s_wait_loadcnt_dscnt 0x904
	v_dual_mul_f32 v11, v128, v73 :: v_dual_mul_f32 v13, v130, v75
	s_delay_alu instid0(VALU_DEP_3) | instskip(SKIP_3) | instid1(VALU_DEP_3)
	v_dual_fmac_f32 v7, v125, v68 :: v_dual_fmac_f32 v9, v127, v70
	s_wait_loadcnt_dscnt 0x702
	v_dual_fma_f32 v27, v124, v68, -v27 :: v_dual_mul_f32 v39, v137, v81
	v_dual_mul_f32 v31, v129, v73 :: v_dual_mul_f32 v33, v131, v75
	v_dual_fma_f32 v29, v126, v70, -v29 :: v_dual_add_f32 v7, 0, v7
	s_delay_alu instid0(VALU_DEP_3) | instskip(SKIP_1) | instid1(VALU_DEP_4)
	v_dual_add_f32 v27, 0, v27 :: v_dual_fmac_f32 v11, v129, v72
	v_dual_mul_f32 v15, v132, v77 :: v_dual_mul_f32 v17, v134, v79
	v_dual_mul_f32 v41, v139, v83 :: v_dual_fma_f32 v31, v128, v72, -v31
	s_delay_alu instid0(VALU_DEP_4) | instskip(NEXT) | instid1(VALU_DEP_3)
	v_add_f32_e32 v7, v7, v9
	v_dual_add_f32 v9, v27, v29 :: v_dual_fmac_f32 v15, v133, v76
	v_dual_mul_f32 v35, v133, v77 :: v_dual_mul_f32 v37, v135, v79
	s_wait_loadcnt_dscnt 0x601
	v_dual_mul_f32 v27, v141, v85 :: v_dual_fmac_f32 v13, v131, v74
	v_dual_fma_f32 v29, v130, v74, -v33 :: v_dual_add_f32 v7, v7, v11
	s_delay_alu instid0(VALU_DEP_3) | instskip(SKIP_1) | instid1(VALU_DEP_3)
	v_dual_add_f32 v9, v9, v31 :: v_dual_fma_f32 v31, v132, v76, -v35
	v_dual_mul_f32 v19, v136, v81 :: v_dual_mul_f32 v21, v138, v83
	v_add_f32_e32 v7, v7, v13
	s_delay_alu instid0(VALU_DEP_3) | instskip(SKIP_2) | instid1(VALU_DEP_3)
	v_dual_mul_f32 v11, v143, v87 :: v_dual_add_f32 v9, v9, v29
	s_wait_loadcnt_dscnt 0x500
	v_dual_mul_f32 v13, v145, v89 :: v_dual_fmac_f32 v17, v135, v78
	v_dual_fma_f32 v29, v134, v78, -v37 :: v_dual_add_f32 v7, v7, v15
	s_delay_alu instid0(VALU_DEP_3) | instskip(SKIP_1) | instid1(VALU_DEP_3)
	v_dual_add_f32 v9, v9, v31 :: v_dual_fma_f32 v31, v136, v80, -v39
	v_dual_mul_f32 v15, v147, v91 :: v_dual_fmac_f32 v19, v137, v80
	v_dual_add_f32 v7, v7, v17 :: v_dual_fma_f32 v17, v138, v82, -v41
	s_delay_alu instid0(VALU_DEP_3) | instskip(SKIP_1) | instid1(VALU_DEP_3)
	v_dual_add_f32 v9, v9, v29 :: v_dual_fmac_f32 v21, v139, v82
	v_dual_mul_f32 v23, v140, v85 :: v_dual_mul_f32 v25, v142, v87
	v_add_f32_e32 v7, v7, v19
	s_wait_loadcnt 0x4
	s_delay_alu instid0(VALU_DEP_3) | instskip(NEXT) | instid1(VALU_DEP_3)
	v_dual_add_f32 v9, v9, v31 :: v_dual_mov_b32 v70, v95
	v_fmac_f32_e32 v23, v141, v84
	s_delay_alu instid0(VALU_DEP_3) | instskip(NEXT) | instid1(VALU_DEP_3)
	v_dual_fma_f32 v19, v140, v84, -v27 :: v_dual_add_f32 v7, v7, v21
	v_dual_add_f32 v9, v9, v17 :: v_dual_fmac_f32 v25, v143, v86
	v_dual_mul_f32 v159, v144, v89 :: v_dual_mul_f32 v161, v146, v91
	s_delay_alu instid0(VALU_DEP_3) | instskip(SKIP_1) | instid1(VALU_DEP_3)
	v_dual_fma_f32 v11, v142, v86, -v11 :: v_dual_add_f32 v7, v7, v23
	s_wait_loadcnt 0x3
	v_dual_add_f32 v9, v9, v19 :: v_dual_mov_b32 v74, v99
	v_pk_mul_f32 v[68:69], v[108:109], v[92:93] op_sel:[1,1] op_sel_hi:[0,1]
	v_dual_fmac_f32 v159, v145, v88 :: v_dual_fma_f32 v158, v144, v88, -v13
	s_delay_alu instid0(VALU_DEP_3) | instskip(SKIP_1) | instid1(VALU_DEP_4)
	v_dual_add_f32 v77, v7, v25 :: v_dual_add_f32 v76, v9, v11
	v_dual_fmac_f32 v161, v147, v90 :: v_dual_fma_f32 v160, v146, v90, -v15
	v_pk_fma_f32 v[78:79], v[108:109], v[92:93], v[68:69] op_sel_hi:[1,0,1]
	v_pk_mul_f32 v[70:71], v[150:151], v[70:71] op_sel_hi:[1,0]
	s_delay_alu instid0(VALU_DEP_4)
	v_pk_add_f32 v[76:77], v[76:77], v[158:159]
	v_pk_fma_f32 v[68:69], v[108:109], v[92:93], v[68:69] neg_lo:[0,0,1] neg_hi:[0,0,1]
	v_pk_mul_f32 v[72:73], v[112:113], v[96:97] op_sel:[1,1] op_sel_hi:[0,1]
	v_mov_b32_e32 v69, v79
	v_pk_fma_f32 v[78:79], v[110:111], v[94:95], v[70:71] op_sel_hi:[1,0,1]
	v_pk_add_f32 v[76:77], v[76:77], v[160:161]
	v_pk_fma_f32 v[70:71], v[110:111], v[94:95], v[70:71] neg_lo:[0,0,1] neg_hi:[0,0,1]
	v_pk_fma_f32 v[82:83], v[112:113], v[96:97], v[72:73] op_sel_hi:[1,0,1]
	v_pk_mul_f32 v[74:75], v[152:153], v[74:75] op_sel_hi:[1,0]
	v_mov_b32_e32 v71, v79
	v_pk_add_f32 v[68:69], v[76:77], v[68:69]
	s_wait_loadcnt 0x2
	v_pk_mul_f32 v[80:81], v[116:117], v[100:101] op_sel:[1,1] op_sel_hi:[0,1]
	v_mov_b32_e32 v76, v103
	v_pk_fma_f32 v[72:73], v[112:113], v[96:97], v[72:73] neg_lo:[0,0,1] neg_hi:[0,0,1]
	v_mov_b32_e32 v73, v83
	v_pk_fma_f32 v[78:79], v[114:115], v[98:99], v[74:75] op_sel_hi:[1,0,1]
	v_pk_add_f32 v[68:69], v[68:69], v[70:71]
	v_pk_fma_f32 v[70:71], v[116:117], v[100:101], v[80:81] op_sel_hi:[1,0,1]
	v_pk_mul_f32 v[76:77], v[154:155], v[76:77] op_sel_hi:[1,0]
	v_pk_fma_f32 v[74:75], v[114:115], v[98:99], v[74:75] neg_lo:[0,0,1] neg_hi:[0,0,1]
	v_mov_b32_e32 v75, v79
	v_pk_add_f32 v[68:69], v[68:69], v[72:73]
	v_pk_fma_f32 v[78:79], v[116:117], v[100:101], v[80:81] neg_lo:[0,0,1] neg_hi:[0,0,1]
	v_mov_b32_e32 v79, v71
	v_pk_fma_f32 v[70:71], v[118:119], v[102:103], v[76:77] op_sel_hi:[1,0,1]
	s_wait_loadcnt 0x1
	v_pk_mul_f32 v[72:73], v[120:121], v[104:105] op_sel:[1,1] op_sel_hi:[0,1]
	v_pk_add_f32 v[68:69], v[68:69], v[74:75]
	v_mov_b32_e32 v70, v107
	v_pk_fma_f32 v[76:77], v[118:119], v[102:103], v[76:77] neg_lo:[0,0,1] neg_hi:[0,0,1]
	v_mov_b32_e32 v77, v71
	v_pk_fma_f32 v[74:75], v[120:121], v[104:105], v[72:73] op_sel_hi:[1,0,1]
	v_pk_add_f32 v[68:69], v[68:69], v[78:79]
	v_pk_mul_f32 v[70:71], v[156:157], v[70:71] op_sel_hi:[1,0]
	v_pk_fma_f32 v[72:73], v[120:121], v[104:105], v[72:73] neg_lo:[0,0,1] neg_hi:[0,0,1]
	s_delay_alu instid0(VALU_DEP_4) | instskip(NEXT) | instid1(VALU_DEP_4)
	v_mov_b32_e32 v73, v75
	v_pk_add_f32 v[68:69], v[68:69], v[76:77]
	s_delay_alu instid0(VALU_DEP_4) | instskip(SKIP_1) | instid1(VALU_DEP_2)
	v_pk_fma_f32 v[74:75], v[122:123], v[106:107], v[70:71] op_sel_hi:[1,0,1]
	v_pk_fma_f32 v[70:71], v[122:123], v[106:107], v[70:71] neg_lo:[0,0,1] neg_hi:[0,0,1]
	v_mov_b32_e32 v71, v75
	s_delay_alu instid0(VALU_DEP_4) | instskip(NEXT) | instid1(VALU_DEP_1)
	v_pk_add_f32 v[68:69], v[68:69], v[72:73]
	v_pk_add_f32 v[68:69], v[68:69], v[70:71]
	s_wait_loadcnt 0x0
	s_delay_alu instid0(VALU_DEP_1)
	v_pk_add_f32 v[68:69], v[148:149], v[68:69] neg_lo:[0,1] neg_hi:[0,1]
	scratch_store_b64 off, v[68:69], off offset:96
	s_wait_xcnt 0x0
	v_cmpx_lt_u32_e32 11, v0
	s_cbranch_execz .LBB96_189
; %bb.188:
	scratch_load_b64 v[68:69], off, off offset:88
	v_mov_b64_e32 v[70:71], 0
	scratch_store_b64 off, v[70:71], off offset:88
	s_wait_loadcnt 0x0
	ds_store_b64 v1, v[68:69]
.LBB96_189:
	s_wait_xcnt 0x0
	s_or_b32 exec_lo, exec_lo, s0
	s_wait_storecnt_dscnt 0x0
	s_barrier_signal -1
	s_barrier_wait -1
	s_clause 0xb
	scratch_load_b128 v[68:71], off, off offset:96
	scratch_load_b128 v[72:75], off, off offset:112
	;; [unrolled: 1-line block ×10, first 2 shown]
	scratch_load_b64 v[148:149], off, off offset:256
	scratch_load_b64 v[150:151], off, off offset:88
	v_mov_b32_e32 v7, 0
	ds_load_b128 v[108:111], v7 offset:464
	ds_load_b128 v[112:115], v7 offset:480
	;; [unrolled: 1-line block ×10, first 2 shown]
	ds_load_b64 v[152:153], v7 offset:528
	s_mov_b32 s0, exec_lo
	s_wait_dscnt 0xa
	v_dual_mov_b32 v154, v111 :: v_dual_mov_b32 v155, v110
	s_wait_dscnt 0x7
	v_dual_mov_b32 v156, v115 :: v_dual_mov_b32 v161, v122
	v_dual_mov_b32 v157, v114 :: v_dual_mov_b32 v158, v119
	;; [unrolled: 1-line block ×3, first 2 shown]
	s_wait_loadcnt_dscnt 0xb06
	v_dual_mul_f32 v9, v124, v69 :: v_dual_mul_f32 v31, v125, v69
	v_dual_mul_f32 v33, v127, v71 :: v_dual_mul_f32 v11, v126, v71
	s_wait_loadcnt_dscnt 0xa05
	v_mul_f32_e32 v13, v128, v73
	s_wait_loadcnt_dscnt 0x803
	v_dual_mul_f32 v43, v137, v81 :: v_dual_fma_f32 v31, v124, v68, -v31
	v_dual_fmac_f32 v9, v125, v68 :: v_dual_mul_f32 v45, v139, v83
	v_dual_mul_f32 v35, v129, v73 :: v_dual_mul_f32 v37, v131, v75
	v_dual_fmac_f32 v11, v127, v70 :: v_dual_fma_f32 v33, v126, v70, -v33
	s_delay_alu instid0(VALU_DEP_3) | instskip(SKIP_4) | instid1(VALU_DEP_3)
	v_dual_add_f32 v9, 0, v9 :: v_dual_add_f32 v31, 0, v31
	v_dual_mul_f32 v15, v130, v75 :: v_dual_mul_f32 v17, v132, v77
	s_wait_loadcnt_dscnt 0x702
	v_dual_mul_f32 v47, v141, v85 :: v_dual_fma_f32 v35, v128, v72, -v35
	v_fmac_f32_e32 v13, v129, v72
	v_dual_add_f32 v9, v9, v11 :: v_dual_fmac_f32 v15, v131, v74
	v_add_f32_e32 v11, v31, v33
	v_dual_mul_f32 v39, v133, v77 :: v_dual_mul_f32 v41, v135, v79
	v_dual_mul_f32 v31, v143, v87 :: v_dual_fma_f32 v33, v130, v74, -v37
	s_delay_alu instid0(VALU_DEP_3) | instskip(SKIP_3) | instid1(VALU_DEP_3)
	v_dual_add_f32 v9, v9, v13 :: v_dual_add_f32 v11, v11, v35
	v_dual_mul_f32 v19, v134, v79 :: v_dual_mul_f32 v21, v136, v81
	s_wait_loadcnt_dscnt 0x601
	v_dual_mul_f32 v13, v145, v89 :: v_dual_fma_f32 v35, v132, v76, -v39
	v_dual_fmac_f32 v17, v133, v76 :: v_dual_add_f32 v11, v11, v33
	s_delay_alu instid0(VALU_DEP_3) | instskip(SKIP_1) | instid1(VALU_DEP_2)
	v_dual_add_f32 v9, v9, v15 :: v_dual_fmac_f32 v19, v135, v78
	v_dual_mul_f32 v15, v147, v91 :: v_dual_fma_f32 v33, v134, v78, -v41
	v_dual_add_f32 v11, v11, v35 :: v_dual_add_f32 v9, v9, v17
	v_dual_mul_f32 v23, v138, v83 :: v_dual_mul_f32 v25, v140, v85
	s_wait_loadcnt 0x5
	v_dual_mul_f32 v17, v109, v93 :: v_dual_fma_f32 v35, v136, v80, -v43
	s_delay_alu instid0(VALU_DEP_3) | instskip(SKIP_2) | instid1(VALU_DEP_2)
	v_dual_fmac_f32 v21, v137, v80 :: v_dual_add_f32 v11, v11, v33
	v_dual_add_f32 v9, v9, v19 :: v_dual_mov_b32 v68, v95
	v_dual_fmac_f32 v23, v139, v82 :: v_dual_fma_f32 v19, v138, v82, -v45
	v_dual_add_f32 v11, v11, v35 :: v_dual_add_f32 v9, v9, v21
	v_dual_mul_f32 v27, v142, v87 :: v_dual_mul_f32 v29, v144, v89
	v_dual_fmac_f32 v25, v141, v84 :: v_dual_fma_f32 v21, v140, v84, -v47
	s_wait_loadcnt 0x4
	s_delay_alu instid0(VALU_DEP_3) | instskip(SKIP_1) | instid1(VALU_DEP_2)
	v_dual_add_f32 v9, v9, v23 :: v_dual_mov_b32 v72, v99
	v_dual_add_f32 v11, v11, v19 :: v_dual_fma_f32 v19, v142, v86, -v31
	v_dual_fmac_f32 v27, v143, v86 :: v_dual_add_f32 v9, v9, v25
	v_dual_mul_f32 v163, v146, v91 :: v_dual_mul_f32 v165, v108, v93
	s_delay_alu instid0(VALU_DEP_3) | instskip(NEXT) | instid1(VALU_DEP_3)
	v_dual_add_f32 v11, v11, v21 :: v_dual_fmac_f32 v29, v145, v88
	v_dual_fma_f32 v13, v144, v88, -v13 :: v_dual_add_f32 v9, v9, v27
	s_delay_alu instid0(VALU_DEP_3) | instskip(NEXT) | instid1(VALU_DEP_3)
	v_fmac_f32_e32 v163, v147, v90
	v_dual_add_f32 v11, v11, v19 :: v_dual_fma_f32 v162, v146, v90, -v15
	v_pk_mul_f32 v[68:69], v[154:155], v[68:69] op_sel_hi:[1,0]
	s_delay_alu instid0(VALU_DEP_4) | instskip(SKIP_1) | instid1(VALU_DEP_4)
	v_add_f32_e32 v77, v9, v29
	v_pk_mul_f32 v[70:71], v[112:113], v[96:97] op_sel:[1,1] op_sel_hi:[0,1]
	v_dual_add_f32 v76, v11, v13 :: v_dual_fmac_f32 v165, v109, v92
	s_wait_loadcnt 0x3
	v_dual_mov_b32 v78, v103 :: v_dual_fma_f32 v164, v108, v92, -v17
	v_pk_fma_f32 v[80:81], v[110:111], v[94:95], v[68:69] op_sel_hi:[1,0,1]
	s_delay_alu instid0(VALU_DEP_3)
	v_pk_add_f32 v[76:77], v[76:77], v[162:163]
	v_pk_fma_f32 v[68:69], v[110:111], v[94:95], v[68:69] neg_lo:[0,0,1] neg_hi:[0,0,1]
	v_pk_fma_f32 v[82:83], v[112:113], v[96:97], v[70:71] op_sel_hi:[1,0,1]
	v_pk_mul_f32 v[72:73], v[156:157], v[72:73] op_sel_hi:[1,0]
	v_mov_b32_e32 v69, v81
	v_pk_add_f32 v[76:77], v[76:77], v[164:165]
	v_pk_fma_f32 v[70:71], v[112:113], v[96:97], v[70:71] neg_lo:[0,0,1] neg_hi:[0,0,1]
	v_pk_mul_f32 v[74:75], v[116:117], v[100:101] op_sel:[1,1] op_sel_hi:[0,1]
	v_mov_b32_e32 v71, v83
	v_pk_fma_f32 v[82:83], v[114:115], v[98:99], v[72:73] op_sel_hi:[1,0,1]
	v_pk_add_f32 v[68:69], v[76:77], v[68:69]
	v_pk_fma_f32 v[72:73], v[114:115], v[98:99], v[72:73] neg_lo:[0,0,1] neg_hi:[0,0,1]
	v_pk_fma_f32 v[76:77], v[116:117], v[100:101], v[74:75] op_sel_hi:[1,0,1]
	v_pk_mul_f32 v[78:79], v[158:159], v[78:79] op_sel_hi:[1,0]
	v_mov_b32_e32 v73, v83
	v_pk_add_f32 v[68:69], v[68:69], v[70:71]
	v_pk_fma_f32 v[74:75], v[116:117], v[100:101], v[74:75] neg_lo:[0,0,1] neg_hi:[0,0,1]
	s_wait_loadcnt 0x2
	v_pk_mul_f32 v[80:81], v[120:121], v[104:105] op_sel:[1,1] op_sel_hi:[0,1]
	v_dual_mov_b32 v70, v107 :: v_dual_mov_b32 v75, v77
	v_pk_fma_f32 v[76:77], v[118:119], v[102:103], v[78:79] op_sel_hi:[1,0,1]
	v_pk_add_f32 v[68:69], v[68:69], v[72:73]
	v_pk_fma_f32 v[78:79], v[118:119], v[102:103], v[78:79] neg_lo:[0,0,1] neg_hi:[0,0,1]
	v_pk_fma_f32 v[72:73], v[120:121], v[104:105], v[80:81] op_sel_hi:[1,0,1]
	v_pk_mul_f32 v[70:71], v[160:161], v[70:71] op_sel_hi:[1,0]
	v_mov_b32_e32 v79, v77
	v_pk_add_f32 v[68:69], v[68:69], v[74:75]
	v_pk_fma_f32 v[74:75], v[120:121], v[104:105], v[80:81] neg_lo:[0,0,1] neg_hi:[0,0,1]
	v_mov_b32_e32 v75, v73
	v_pk_fma_f32 v[72:73], v[122:123], v[106:107], v[70:71] op_sel_hi:[1,0,1]
	s_wait_loadcnt_dscnt 0x100
	v_pk_mul_f32 v[76:77], v[152:153], v[148:149] op_sel:[1,1] op_sel_hi:[0,1]
	v_pk_add_f32 v[68:69], v[68:69], v[78:79]
	v_pk_fma_f32 v[70:71], v[122:123], v[106:107], v[70:71] neg_lo:[0,0,1] neg_hi:[0,0,1]
	v_mov_b32_e32 v71, v73
	s_delay_alu instid0(VALU_DEP_4) | instskip(NEXT) | instid1(VALU_DEP_4)
	v_pk_fma_f32 v[72:73], v[152:153], v[148:149], v[76:77] op_sel_hi:[1,0,1]
	v_pk_add_f32 v[68:69], v[68:69], v[74:75]
	v_pk_fma_f32 v[74:75], v[152:153], v[148:149], v[76:77] neg_lo:[0,0,1] neg_hi:[0,0,1]
	s_delay_alu instid0(VALU_DEP_3) | instskip(NEXT) | instid1(VALU_DEP_3)
	v_mov_b32_e32 v75, v73
	v_pk_add_f32 v[68:69], v[68:69], v[70:71]
	s_delay_alu instid0(VALU_DEP_1) | instskip(SKIP_1) | instid1(VALU_DEP_1)
	v_pk_add_f32 v[68:69], v[68:69], v[74:75]
	s_wait_loadcnt 0x0
	v_pk_add_f32 v[68:69], v[150:151], v[68:69] neg_lo:[0,1] neg_hi:[0,1]
	scratch_store_b64 off, v[68:69], off offset:88
	s_wait_xcnt 0x0
	v_cmpx_lt_u32_e32 10, v0
	s_cbranch_execz .LBB96_191
; %bb.190:
	scratch_load_b64 v[68:69], off, off offset:80
	v_mov_b64_e32 v[70:71], 0
	scratch_store_b64 off, v[70:71], off offset:80
	s_wait_loadcnt 0x0
	ds_store_b64 v1, v[68:69]
.LBB96_191:
	s_wait_xcnt 0x0
	s_or_b32 exec_lo, exec_lo, s0
	s_wait_storecnt_dscnt 0x0
	s_barrier_signal -1
	s_barrier_wait -1
	s_clause 0xb
	scratch_load_b128 v[68:71], off, off offset:88
	scratch_load_b128 v[72:75], off, off offset:104
	;; [unrolled: 1-line block ×11, first 2 shown]
	scratch_load_b64 v[156:157], off, off offset:80
	ds_load_2addr_b64 v[112:115], v7 offset0:59 offset1:60
	ds_load_2addr_b64 v[116:119], v7 offset0:61 offset1:62
	ds_load_2addr_b64 v[120:123], v7 offset0:63 offset1:64
	ds_load_2addr_b64 v[124:127], v7 offset0:65 offset1:66
	ds_load_2addr_b64 v[128:131], v7 offset0:45 offset1:46
	ds_load_2addr_b64 v[132:135], v7 offset0:47 offset1:48
	ds_load_2addr_b64 v[136:139], v7 offset0:49 offset1:50
	ds_load_2addr_b64 v[140:143], v7 offset0:51 offset1:52
	ds_load_2addr_b64 v[144:147], v7 offset0:53 offset1:54
	ds_load_2addr_b64 v[148:151], v7 offset0:55 offset1:56
	ds_load_2addr_b64 v[152:155], v7 offset0:57 offset1:58
	s_mov_b32 s0, exec_lo
	s_wait_dscnt 0xa
	v_dual_mov_b32 v158, v115 :: v_dual_mov_b32 v159, v114
	s_wait_dscnt 0x9
	v_dual_mov_b32 v160, v119 :: v_dual_mov_b32 v161, v118
	;; [unrolled: 2-line block ×4, first 2 shown]
	s_wait_loadcnt_dscnt 0xb06
	v_dual_mul_f32 v7, v128, v69 :: v_dual_mul_f32 v9, v130, v71
	v_dual_mul_f32 v31, v129, v69 :: v_dual_mul_f32 v33, v131, v71
	s_wait_loadcnt_dscnt 0xa05
	v_dual_mul_f32 v11, v132, v73 :: v_dual_mul_f32 v13, v134, v75
	s_delay_alu instid0(VALU_DEP_3) | instskip(SKIP_3) | instid1(VALU_DEP_3)
	v_dual_fmac_f32 v7, v129, v68 :: v_dual_fmac_f32 v9, v131, v70
	s_wait_loadcnt_dscnt 0x803
	v_dual_fma_f32 v31, v128, v68, -v31 :: v_dual_mul_f32 v43, v141, v81
	v_dual_mul_f32 v35, v133, v73 :: v_dual_mul_f32 v37, v135, v75
	v_dual_fma_f32 v33, v130, v70, -v33 :: v_dual_add_f32 v7, 0, v7
	s_delay_alu instid0(VALU_DEP_3) | instskip(SKIP_1) | instid1(VALU_DEP_4)
	v_dual_add_f32 v31, 0, v31 :: v_dual_fmac_f32 v11, v133, v72
	v_dual_mul_f32 v15, v136, v77 :: v_dual_mul_f32 v17, v138, v79
	v_dual_mul_f32 v45, v143, v83 :: v_dual_fma_f32 v35, v132, v72, -v35
	s_delay_alu instid0(VALU_DEP_4) | instskip(NEXT) | instid1(VALU_DEP_3)
	v_add_f32_e32 v7, v7, v9
	v_dual_add_f32 v9, v31, v33 :: v_dual_fmac_f32 v15, v137, v76
	v_dual_mul_f32 v39, v137, v77 :: v_dual_mul_f32 v41, v139, v79
	s_wait_loadcnt_dscnt 0x702
	v_dual_mul_f32 v31, v145, v85 :: v_dual_fmac_f32 v13, v135, v74
	v_dual_fma_f32 v33, v134, v74, -v37 :: v_dual_add_f32 v7, v7, v11
	s_delay_alu instid0(VALU_DEP_3) | instskip(SKIP_1) | instid1(VALU_DEP_3)
	v_dual_add_f32 v9, v9, v35 :: v_dual_fma_f32 v35, v136, v76, -v39
	v_dual_mul_f32 v19, v140, v81 :: v_dual_mul_f32 v21, v142, v83
	v_add_f32_e32 v7, v7, v13
	s_delay_alu instid0(VALU_DEP_3) | instskip(SKIP_2) | instid1(VALU_DEP_3)
	v_dual_mul_f32 v11, v147, v87 :: v_dual_add_f32 v9, v9, v33
	s_wait_loadcnt_dscnt 0x601
	v_dual_mul_f32 v13, v149, v89 :: v_dual_fmac_f32 v17, v139, v78
	v_dual_fma_f32 v33, v138, v78, -v41 :: v_dual_add_f32 v7, v7, v15
	s_delay_alu instid0(VALU_DEP_3) | instskip(SKIP_1) | instid1(VALU_DEP_3)
	v_dual_add_f32 v9, v9, v35 :: v_dual_fma_f32 v35, v140, v80, -v43
	v_dual_mul_f32 v15, v151, v91 :: v_dual_fmac_f32 v19, v141, v80
	v_add_f32_e32 v7, v7, v17
	s_delay_alu instid0(VALU_DEP_3)
	v_dual_add_f32 v9, v9, v33 :: v_dual_fmac_f32 v21, v143, v82
	v_dual_mul_f32 v23, v144, v85 :: v_dual_mul_f32 v25, v146, v87
	s_wait_loadcnt_dscnt 0x500
	v_dual_fma_f32 v33, v142, v82, -v45 :: v_dual_mul_f32 v17, v153, v93
	v_add_f32_e32 v7, v7, v19
	v_dual_add_f32 v9, v9, v35 :: v_dual_fma_f32 v31, v144, v84, -v31
	v_dual_mul_f32 v19, v155, v95 :: v_dual_fmac_f32 v23, v145, v84
	s_delay_alu instid0(VALU_DEP_3) | instskip(NEXT) | instid1(VALU_DEP_3)
	v_dual_add_f32 v7, v7, v21 :: v_dual_fma_f32 v11, v146, v86, -v11
	v_dual_add_f32 v9, v9, v33 :: v_dual_fmac_f32 v25, v147, v86
	v_dual_mul_f32 v27, v148, v89 :: v_dual_mul_f32 v29, v150, v91
	s_delay_alu instid0(VALU_DEP_3) | instskip(SKIP_1) | instid1(VALU_DEP_3)
	v_add_f32_e32 v7, v7, v23
	s_wait_loadcnt 0x4
	v_dual_add_f32 v9, v9, v31 :: v_dual_mov_b32 v70, v99
	s_delay_alu instid0(VALU_DEP_3) | instskip(NEXT) | instid1(VALU_DEP_2)
	v_dual_fmac_f32 v27, v149, v88 :: v_dual_fma_f32 v13, v148, v88, -v13
	v_dual_add_f32 v7, v7, v25 :: v_dual_add_f32 v9, v9, v11
	v_dual_fmac_f32 v29, v151, v90 :: v_dual_mul_f32 v167, v152, v93
	v_mul_f32_e32 v169, v154, v95
	s_delay_alu instid0(VALU_DEP_3) | instskip(SKIP_4) | instid1(VALU_DEP_3)
	v_dual_fma_f32 v11, v150, v90, -v15 :: v_dual_add_f32 v7, v7, v27
	s_wait_loadcnt 0x3
	v_dual_add_f32 v9, v9, v13 :: v_dual_mov_b32 v74, v103
	v_pk_mul_f32 v[68:69], v[112:113], v[96:97] op_sel:[1,1] op_sel_hi:[0,1]
	v_dual_fmac_f32 v167, v153, v92 :: v_dual_fma_f32 v166, v152, v92, -v17
	v_dual_add_f32 v77, v7, v29 :: v_dual_add_f32 v76, v9, v11
	v_dual_fmac_f32 v169, v155, v94 :: v_dual_fma_f32 v168, v154, v94, -v19
	s_delay_alu instid0(VALU_DEP_4) | instskip(SKIP_1) | instid1(VALU_DEP_4)
	v_pk_fma_f32 v[78:79], v[112:113], v[96:97], v[68:69] op_sel_hi:[1,0,1]
	v_pk_mul_f32 v[70:71], v[158:159], v[70:71] op_sel_hi:[1,0]
	v_pk_add_f32 v[76:77], v[76:77], v[166:167]
	v_pk_fma_f32 v[68:69], v[112:113], v[96:97], v[68:69] neg_lo:[0,0,1] neg_hi:[0,0,1]
	v_pk_mul_f32 v[72:73], v[116:117], v[100:101] op_sel:[1,1] op_sel_hi:[0,1]
	v_mov_b32_e32 v69, v79
	v_pk_fma_f32 v[78:79], v[114:115], v[98:99], v[70:71] op_sel_hi:[1,0,1]
	v_pk_add_f32 v[76:77], v[76:77], v[168:169]
	v_pk_fma_f32 v[70:71], v[114:115], v[98:99], v[70:71] neg_lo:[0,0,1] neg_hi:[0,0,1]
	v_pk_fma_f32 v[82:83], v[116:117], v[100:101], v[72:73] op_sel_hi:[1,0,1]
	v_pk_mul_f32 v[74:75], v[160:161], v[74:75] op_sel_hi:[1,0]
	v_mov_b32_e32 v71, v79
	v_pk_add_f32 v[68:69], v[76:77], v[68:69]
	s_wait_loadcnt 0x2
	v_pk_mul_f32 v[80:81], v[120:121], v[104:105] op_sel:[1,1] op_sel_hi:[0,1]
	v_mov_b32_e32 v76, v107
	v_pk_fma_f32 v[72:73], v[116:117], v[100:101], v[72:73] neg_lo:[0,0,1] neg_hi:[0,0,1]
	v_mov_b32_e32 v73, v83
	v_pk_fma_f32 v[78:79], v[118:119], v[102:103], v[74:75] op_sel_hi:[1,0,1]
	v_pk_add_f32 v[68:69], v[68:69], v[70:71]
	v_pk_fma_f32 v[70:71], v[120:121], v[104:105], v[80:81] op_sel_hi:[1,0,1]
	v_pk_mul_f32 v[76:77], v[162:163], v[76:77] op_sel_hi:[1,0]
	v_pk_fma_f32 v[74:75], v[118:119], v[102:103], v[74:75] neg_lo:[0,0,1] neg_hi:[0,0,1]
	v_mov_b32_e32 v75, v79
	v_pk_add_f32 v[68:69], v[68:69], v[72:73]
	v_pk_fma_f32 v[78:79], v[120:121], v[104:105], v[80:81] neg_lo:[0,0,1] neg_hi:[0,0,1]
	v_mov_b32_e32 v79, v71
	v_pk_fma_f32 v[70:71], v[122:123], v[106:107], v[76:77] op_sel_hi:[1,0,1]
	s_wait_loadcnt 0x1
	v_pk_mul_f32 v[72:73], v[124:125], v[108:109] op_sel:[1,1] op_sel_hi:[0,1]
	v_pk_add_f32 v[68:69], v[68:69], v[74:75]
	v_mov_b32_e32 v70, v111
	v_pk_fma_f32 v[76:77], v[122:123], v[106:107], v[76:77] neg_lo:[0,0,1] neg_hi:[0,0,1]
	v_mov_b32_e32 v77, v71
	v_pk_fma_f32 v[74:75], v[124:125], v[108:109], v[72:73] op_sel_hi:[1,0,1]
	v_pk_add_f32 v[68:69], v[68:69], v[78:79]
	v_pk_mul_f32 v[70:71], v[164:165], v[70:71] op_sel_hi:[1,0]
	v_pk_fma_f32 v[72:73], v[124:125], v[108:109], v[72:73] neg_lo:[0,0,1] neg_hi:[0,0,1]
	s_delay_alu instid0(VALU_DEP_4) | instskip(NEXT) | instid1(VALU_DEP_4)
	v_mov_b32_e32 v73, v75
	v_pk_add_f32 v[68:69], v[68:69], v[76:77]
	s_delay_alu instid0(VALU_DEP_4) | instskip(SKIP_1) | instid1(VALU_DEP_2)
	v_pk_fma_f32 v[74:75], v[126:127], v[110:111], v[70:71] op_sel_hi:[1,0,1]
	v_pk_fma_f32 v[70:71], v[126:127], v[110:111], v[70:71] neg_lo:[0,0,1] neg_hi:[0,0,1]
	v_mov_b32_e32 v71, v75
	s_delay_alu instid0(VALU_DEP_4) | instskip(NEXT) | instid1(VALU_DEP_1)
	v_pk_add_f32 v[68:69], v[68:69], v[72:73]
	v_pk_add_f32 v[68:69], v[68:69], v[70:71]
	s_wait_loadcnt 0x0
	s_delay_alu instid0(VALU_DEP_1)
	v_pk_add_f32 v[68:69], v[156:157], v[68:69] neg_lo:[0,1] neg_hi:[0,1]
	scratch_store_b64 off, v[68:69], off offset:80
	s_wait_xcnt 0x0
	v_cmpx_lt_u32_e32 9, v0
	s_cbranch_execz .LBB96_193
; %bb.192:
	scratch_load_b64 v[68:69], off, off offset:72
	v_mov_b64_e32 v[70:71], 0
	scratch_store_b64 off, v[70:71], off offset:72
	s_wait_loadcnt 0x0
	ds_store_b64 v1, v[68:69]
.LBB96_193:
	s_wait_xcnt 0x0
	s_or_b32 exec_lo, exec_lo, s0
	s_wait_storecnt_dscnt 0x0
	s_barrier_signal -1
	s_barrier_wait -1
	s_clause 0xc
	scratch_load_b128 v[68:71], off, off offset:80
	scratch_load_b128 v[72:75], off, off offset:96
	scratch_load_b128 v[76:79], off, off offset:112
	scratch_load_b128 v[80:83], off, off offset:128
	scratch_load_b128 v[84:87], off, off offset:144
	scratch_load_b128 v[88:91], off, off offset:160
	scratch_load_b128 v[92:95], off, off offset:176
	scratch_load_b128 v[96:99], off, off offset:192
	scratch_load_b128 v[100:103], off, off offset:208
	scratch_load_b128 v[104:107], off, off offset:224
	scratch_load_b128 v[108:111], off, off offset:240
	scratch_load_b64 v[156:157], off, off offset:256
	scratch_load_b64 v[158:159], off, off offset:72
	v_mov_b32_e32 v7, 0
	ds_load_b128 v[112:115], v7 offset:464
	ds_load_b128 v[116:119], v7 offset:480
	;; [unrolled: 1-line block ×11, first 2 shown]
	ds_load_b64 v[160:161], v7 offset:528
	s_mov_b32 s0, exec_lo
	s_wait_dscnt 0xb
	v_dual_mov_b32 v162, v115 :: v_dual_mov_b32 v163, v114
	s_wait_dscnt 0x8
	v_dual_mov_b32 v164, v119 :: v_dual_mov_b32 v169, v126
	v_dual_mov_b32 v165, v118 :: v_dual_mov_b32 v166, v123
	;; [unrolled: 1-line block ×3, first 2 shown]
	s_wait_loadcnt_dscnt 0xc07
	v_dual_mul_f32 v9, v128, v69 :: v_dual_mul_f32 v35, v129, v69
	v_dual_mul_f32 v37, v131, v71 :: v_dual_mul_f32 v11, v130, v71
	s_wait_loadcnt_dscnt 0xb06
	v_mul_f32_e32 v13, v132, v73
	s_wait_loadcnt_dscnt 0x904
	v_dual_mul_f32 v47, v141, v81 :: v_dual_fma_f32 v35, v128, v68, -v35
	v_dual_fmac_f32 v9, v129, v68 :: v_dual_mul_f32 v49, v143, v83
	v_dual_mul_f32 v39, v133, v73 :: v_dual_mul_f32 v41, v135, v75
	v_dual_fmac_f32 v11, v131, v70 :: v_dual_fma_f32 v37, v130, v70, -v37
	s_delay_alu instid0(VALU_DEP_3) | instskip(SKIP_4) | instid1(VALU_DEP_3)
	v_dual_add_f32 v9, 0, v9 :: v_dual_add_f32 v35, 0, v35
	v_dual_mul_f32 v15, v134, v75 :: v_dual_mul_f32 v17, v136, v77
	s_wait_loadcnt_dscnt 0x803
	v_dual_mul_f32 v51, v145, v85 :: v_dual_fma_f32 v39, v132, v72, -v39
	v_fmac_f32_e32 v13, v133, v72
	v_dual_add_f32 v9, v9, v11 :: v_dual_fmac_f32 v15, v135, v74
	v_add_f32_e32 v11, v35, v37
	v_dual_mul_f32 v43, v137, v77 :: v_dual_mul_f32 v45, v139, v79
	v_dual_mul_f32 v35, v147, v87 :: v_dual_fma_f32 v37, v134, v74, -v41
	s_delay_alu instid0(VALU_DEP_3) | instskip(SKIP_3) | instid1(VALU_DEP_3)
	v_dual_add_f32 v9, v9, v13 :: v_dual_add_f32 v11, v11, v39
	v_dual_mul_f32 v19, v138, v79 :: v_dual_mul_f32 v21, v140, v81
	s_wait_loadcnt_dscnt 0x701
	v_dual_mul_f32 v13, v153, v89 :: v_dual_fma_f32 v39, v136, v76, -v43
	v_dual_fmac_f32 v17, v137, v76 :: v_dual_add_f32 v11, v11, v37
	s_delay_alu instid0(VALU_DEP_3) | instskip(SKIP_1) | instid1(VALU_DEP_2)
	v_dual_add_f32 v9, v9, v15 :: v_dual_fmac_f32 v19, v139, v78
	v_dual_mul_f32 v15, v155, v91 :: v_dual_fma_f32 v37, v138, v78, -v45
	v_dual_add_f32 v11, v11, v39 :: v_dual_add_f32 v9, v9, v17
	v_dual_mul_f32 v23, v142, v83 :: v_dual_mul_f32 v25, v144, v85
	s_wait_loadcnt 0x6
	v_dual_mul_f32 v17, v149, v93 :: v_dual_fma_f32 v39, v140, v80, -v47
	s_delay_alu instid0(VALU_DEP_3) | instskip(NEXT) | instid1(VALU_DEP_3)
	v_dual_fmac_f32 v21, v141, v80 :: v_dual_add_f32 v11, v11, v37
	v_dual_add_f32 v9, v9, v19 :: v_dual_fmac_f32 v23, v143, v82
	v_dual_mul_f32 v19, v151, v95 :: v_dual_fma_f32 v37, v142, v82, -v49
	s_delay_alu instid0(VALU_DEP_2) | instskip(SKIP_3) | instid1(VALU_DEP_3)
	v_dual_add_f32 v11, v11, v39 :: v_dual_add_f32 v9, v9, v21
	v_dual_mul_f32 v27, v146, v87 :: v_dual_mul_f32 v29, v152, v89
	s_wait_loadcnt 0x5
	v_dual_mul_f32 v21, v113, v97 :: v_dual_fma_f32 v39, v144, v84, -v51
	v_dual_fmac_f32 v25, v145, v84 :: v_dual_add_f32 v11, v11, v37
	v_dual_add_f32 v9, v9, v23 :: v_dual_mov_b32 v68, v99
	v_fmac_f32_e32 v27, v147, v86
	s_delay_alu instid0(VALU_DEP_3) | instskip(NEXT) | instid1(VALU_DEP_3)
	v_dual_fma_f32 v23, v146, v86, -v35 :: v_dual_add_f32 v11, v11, v39
	v_dual_add_f32 v9, v9, v25 :: v_dual_mul_f32 v31, v154, v91
	v_dual_mul_f32 v33, v148, v93 :: v_dual_fmac_f32 v29, v153, v88
	s_delay_alu instid0(VALU_DEP_3) | instskip(SKIP_1) | instid1(VALU_DEP_3)
	v_dual_add_f32 v11, v11, v23 :: v_dual_fma_f32 v13, v152, v88, -v13
	s_wait_loadcnt 0x4
	v_dual_add_f32 v9, v9, v27 :: v_dual_mov_b32 v72, v103
	v_fma_f32 v15, v154, v90, -v15
	v_fmac_f32_e32 v31, v155, v90
	v_dual_add_f32 v11, v11, v13 :: v_dual_fmac_f32 v33, v149, v92
	s_delay_alu instid0(VALU_DEP_4) | instskip(SKIP_1) | instid1(VALU_DEP_3)
	v_dual_add_f32 v9, v9, v29 :: v_dual_mul_f32 v171, v150, v95
	v_mul_f32_e32 v173, v112, v97
	v_dual_fma_f32 v13, v148, v92, -v17 :: v_dual_add_f32 v11, v11, v15
	s_delay_alu instid0(VALU_DEP_3) | instskip(NEXT) | instid1(VALU_DEP_4)
	v_dual_fma_f32 v170, v150, v94, -v19 :: v_dual_add_f32 v9, v9, v31
	v_fmac_f32_e32 v171, v151, v94
	v_pk_mul_f32 v[68:69], v[162:163], v[68:69] op_sel_hi:[1,0]
	s_delay_alu instid0(VALU_DEP_4) | instskip(NEXT) | instid1(VALU_DEP_4)
	v_dual_add_f32 v76, v11, v13 :: v_dual_fmac_f32 v173, v113, v96
	v_add_f32_e32 v77, v9, v33
	v_pk_mul_f32 v[70:71], v[116:117], v[100:101] op_sel:[1,1] op_sel_hi:[0,1]
	s_wait_loadcnt 0x3
	v_dual_mov_b32 v78, v107 :: v_dual_fma_f32 v172, v112, v96, -v21
	v_pk_fma_f32 v[80:81], v[114:115], v[98:99], v[68:69] op_sel_hi:[1,0,1]
	v_pk_add_f32 v[76:77], v[76:77], v[170:171]
	v_pk_fma_f32 v[68:69], v[114:115], v[98:99], v[68:69] neg_lo:[0,0,1] neg_hi:[0,0,1]
	v_pk_fma_f32 v[82:83], v[116:117], v[100:101], v[70:71] op_sel_hi:[1,0,1]
	v_pk_mul_f32 v[72:73], v[164:165], v[72:73] op_sel_hi:[1,0]
	v_mov_b32_e32 v69, v81
	v_pk_add_f32 v[76:77], v[76:77], v[172:173]
	v_pk_fma_f32 v[70:71], v[116:117], v[100:101], v[70:71] neg_lo:[0,0,1] neg_hi:[0,0,1]
	v_pk_mul_f32 v[74:75], v[120:121], v[104:105] op_sel:[1,1] op_sel_hi:[0,1]
	v_mov_b32_e32 v71, v83
	v_pk_fma_f32 v[82:83], v[118:119], v[102:103], v[72:73] op_sel_hi:[1,0,1]
	v_pk_add_f32 v[68:69], v[76:77], v[68:69]
	v_pk_fma_f32 v[72:73], v[118:119], v[102:103], v[72:73] neg_lo:[0,0,1] neg_hi:[0,0,1]
	v_pk_fma_f32 v[76:77], v[120:121], v[104:105], v[74:75] op_sel_hi:[1,0,1]
	v_pk_mul_f32 v[78:79], v[166:167], v[78:79] op_sel_hi:[1,0]
	v_mov_b32_e32 v73, v83
	v_pk_add_f32 v[68:69], v[68:69], v[70:71]
	v_pk_fma_f32 v[74:75], v[120:121], v[104:105], v[74:75] neg_lo:[0,0,1] neg_hi:[0,0,1]
	s_wait_loadcnt 0x2
	v_pk_mul_f32 v[80:81], v[124:125], v[108:109] op_sel:[1,1] op_sel_hi:[0,1]
	v_dual_mov_b32 v70, v111 :: v_dual_mov_b32 v75, v77
	v_pk_fma_f32 v[76:77], v[122:123], v[106:107], v[78:79] op_sel_hi:[1,0,1]
	v_pk_add_f32 v[68:69], v[68:69], v[72:73]
	v_pk_fma_f32 v[78:79], v[122:123], v[106:107], v[78:79] neg_lo:[0,0,1] neg_hi:[0,0,1]
	v_pk_fma_f32 v[72:73], v[124:125], v[108:109], v[80:81] op_sel_hi:[1,0,1]
	v_pk_mul_f32 v[70:71], v[168:169], v[70:71] op_sel_hi:[1,0]
	v_mov_b32_e32 v79, v77
	v_pk_add_f32 v[68:69], v[68:69], v[74:75]
	v_pk_fma_f32 v[74:75], v[124:125], v[108:109], v[80:81] neg_lo:[0,0,1] neg_hi:[0,0,1]
	v_mov_b32_e32 v75, v73
	v_pk_fma_f32 v[72:73], v[126:127], v[110:111], v[70:71] op_sel_hi:[1,0,1]
	s_wait_loadcnt_dscnt 0x100
	v_pk_mul_f32 v[76:77], v[160:161], v[156:157] op_sel:[1,1] op_sel_hi:[0,1]
	v_pk_add_f32 v[68:69], v[68:69], v[78:79]
	v_pk_fma_f32 v[70:71], v[126:127], v[110:111], v[70:71] neg_lo:[0,0,1] neg_hi:[0,0,1]
	v_mov_b32_e32 v71, v73
	s_delay_alu instid0(VALU_DEP_4) | instskip(NEXT) | instid1(VALU_DEP_4)
	v_pk_fma_f32 v[72:73], v[160:161], v[156:157], v[76:77] op_sel_hi:[1,0,1]
	v_pk_add_f32 v[68:69], v[68:69], v[74:75]
	v_pk_fma_f32 v[74:75], v[160:161], v[156:157], v[76:77] neg_lo:[0,0,1] neg_hi:[0,0,1]
	s_delay_alu instid0(VALU_DEP_3) | instskip(NEXT) | instid1(VALU_DEP_3)
	v_mov_b32_e32 v75, v73
	v_pk_add_f32 v[68:69], v[68:69], v[70:71]
	s_delay_alu instid0(VALU_DEP_1) | instskip(SKIP_1) | instid1(VALU_DEP_1)
	v_pk_add_f32 v[68:69], v[68:69], v[74:75]
	s_wait_loadcnt 0x0
	v_pk_add_f32 v[68:69], v[158:159], v[68:69] neg_lo:[0,1] neg_hi:[0,1]
	scratch_store_b64 off, v[68:69], off offset:72
	s_wait_xcnt 0x0
	v_cmpx_lt_u32_e32 8, v0
	s_cbranch_execz .LBB96_195
; %bb.194:
	scratch_load_b64 v[68:69], off, off offset:64
	v_mov_b64_e32 v[70:71], 0
	scratch_store_b64 off, v[70:71], off offset:64
	s_wait_loadcnt 0x0
	ds_store_b64 v1, v[68:69]
.LBB96_195:
	s_wait_xcnt 0x0
	s_or_b32 exec_lo, exec_lo, s0
	s_wait_storecnt_dscnt 0x0
	s_barrier_signal -1
	s_barrier_wait -1
	s_clause 0xc
	scratch_load_b128 v[68:71], off, off offset:72
	scratch_load_b128 v[72:75], off, off offset:88
	scratch_load_b128 v[76:79], off, off offset:104
	scratch_load_b128 v[80:83], off, off offset:120
	scratch_load_b128 v[84:87], off, off offset:136
	scratch_load_b128 v[88:91], off, off offset:152
	scratch_load_b128 v[92:95], off, off offset:168
	scratch_load_b128 v[96:99], off, off offset:184
	scratch_load_b128 v[100:103], off, off offset:200
	scratch_load_b128 v[104:107], off, off offset:216
	scratch_load_b128 v[108:111], off, off offset:232
	scratch_load_b128 v[112:115], off, off offset:248
	scratch_load_b64 v[164:165], off, off offset:64
	ds_load_2addr_b64 v[116:119], v7 offset0:59 offset1:60
	ds_load_2addr_b64 v[120:123], v7 offset0:61 offset1:62
	;; [unrolled: 1-line block ×12, first 2 shown]
	s_mov_b32 s0, exec_lo
	s_wait_dscnt 0xb
	v_dual_mov_b32 v166, v119 :: v_dual_mov_b32 v167, v118
	s_wait_dscnt 0xa
	v_dual_mov_b32 v168, v123 :: v_dual_mov_b32 v169, v122
	;; [unrolled: 2-line block ×4, first 2 shown]
	s_wait_loadcnt_dscnt 0xc07
	v_dual_mul_f32 v7, v132, v69 :: v_dual_mul_f32 v9, v134, v71
	v_dual_mul_f32 v35, v133, v69 :: v_dual_mul_f32 v37, v135, v71
	s_wait_loadcnt_dscnt 0xb06
	v_dual_mul_f32 v11, v136, v73 :: v_dual_mul_f32 v13, v138, v75
	s_delay_alu instid0(VALU_DEP_3) | instskip(SKIP_3) | instid1(VALU_DEP_3)
	v_dual_fmac_f32 v7, v133, v68 :: v_dual_fmac_f32 v9, v135, v70
	s_wait_loadcnt_dscnt 0x904
	v_dual_fma_f32 v35, v132, v68, -v35 :: v_dual_mul_f32 v47, v145, v81
	v_dual_mul_f32 v39, v137, v73 :: v_dual_mul_f32 v41, v139, v75
	v_dual_fma_f32 v37, v134, v70, -v37 :: v_dual_add_f32 v7, 0, v7
	s_delay_alu instid0(VALU_DEP_3) | instskip(SKIP_1) | instid1(VALU_DEP_4)
	v_dual_add_f32 v35, 0, v35 :: v_dual_fmac_f32 v11, v137, v72
	v_dual_mul_f32 v15, v140, v77 :: v_dual_mul_f32 v17, v142, v79
	v_dual_mul_f32 v49, v147, v83 :: v_dual_fma_f32 v39, v136, v72, -v39
	s_delay_alu instid0(VALU_DEP_4) | instskip(NEXT) | instid1(VALU_DEP_3)
	v_add_f32_e32 v7, v7, v9
	v_dual_add_f32 v9, v35, v37 :: v_dual_fmac_f32 v15, v141, v76
	v_dual_mul_f32 v43, v141, v77 :: v_dual_mul_f32 v45, v143, v79
	s_wait_loadcnt_dscnt 0x803
	v_dual_mul_f32 v35, v149, v85 :: v_dual_fmac_f32 v13, v139, v74
	v_dual_fma_f32 v37, v138, v74, -v41 :: v_dual_add_f32 v7, v7, v11
	s_delay_alu instid0(VALU_DEP_3) | instskip(SKIP_1) | instid1(VALU_DEP_3)
	v_dual_add_f32 v9, v9, v39 :: v_dual_fma_f32 v39, v140, v76, -v43
	v_dual_mul_f32 v19, v144, v81 :: v_dual_mul_f32 v21, v146, v83
	v_add_f32_e32 v7, v7, v13
	s_delay_alu instid0(VALU_DEP_3) | instskip(SKIP_2) | instid1(VALU_DEP_3)
	v_dual_mul_f32 v11, v151, v87 :: v_dual_add_f32 v9, v9, v37
	s_wait_loadcnt_dscnt 0x702
	v_dual_mul_f32 v13, v153, v89 :: v_dual_fmac_f32 v17, v143, v78
	v_dual_fma_f32 v37, v142, v78, -v45 :: v_dual_add_f32 v7, v7, v15
	s_delay_alu instid0(VALU_DEP_3) | instskip(SKIP_1) | instid1(VALU_DEP_3)
	v_dual_add_f32 v9, v9, v39 :: v_dual_fma_f32 v39, v144, v80, -v47
	v_dual_mul_f32 v15, v155, v91 :: v_dual_fmac_f32 v19, v145, v80
	v_add_f32_e32 v7, v7, v17
	s_delay_alu instid0(VALU_DEP_3)
	v_dual_add_f32 v9, v9, v37 :: v_dual_fmac_f32 v21, v147, v82
	v_dual_mul_f32 v23, v148, v85 :: v_dual_mul_f32 v25, v150, v87
	s_wait_loadcnt_dscnt 0x601
	v_dual_fma_f32 v37, v146, v82, -v49 :: v_dual_mul_f32 v17, v157, v93
	v_add_f32_e32 v7, v7, v19
	v_dual_add_f32 v9, v9, v39 :: v_dual_fma_f32 v35, v148, v84, -v35
	v_dual_mul_f32 v19, v159, v95 :: v_dual_fmac_f32 v23, v149, v84
	s_delay_alu instid0(VALU_DEP_3) | instskip(NEXT) | instid1(VALU_DEP_3)
	v_dual_add_f32 v7, v7, v21 :: v_dual_fma_f32 v11, v150, v86, -v11
	v_dual_add_f32 v9, v9, v37 :: v_dual_fmac_f32 v25, v151, v86
	v_dual_mul_f32 v27, v152, v89 :: v_dual_mul_f32 v29, v154, v91
	s_wait_loadcnt_dscnt 0x500
	s_delay_alu instid0(VALU_DEP_3) | instskip(NEXT) | instid1(VALU_DEP_3)
	v_dual_mul_f32 v21, v161, v97 :: v_dual_add_f32 v7, v7, v23
	v_dual_add_f32 v9, v9, v35 :: v_dual_fma_f32 v13, v152, v88, -v13
	s_delay_alu instid0(VALU_DEP_3) | instskip(NEXT) | instid1(VALU_DEP_2)
	v_dual_mul_f32 v23, v163, v99 :: v_dual_fmac_f32 v27, v153, v88
	v_dual_add_f32 v7, v7, v25 :: v_dual_add_f32 v9, v9, v11
	v_dual_mul_f32 v31, v156, v93 :: v_dual_mul_f32 v33, v158, v95
	v_dual_fmac_f32 v29, v155, v90 :: v_dual_fma_f32 v11, v154, v90, -v15
	s_delay_alu instid0(VALU_DEP_3) | instskip(SKIP_1) | instid1(VALU_DEP_3)
	v_dual_add_f32 v7, v7, v27 :: v_dual_add_f32 v9, v9, v13
	s_wait_loadcnt 0x4
	v_dual_mov_b32 v70, v103 :: v_dual_fmac_f32 v31, v157, v92
	s_delay_alu instid0(VALU_DEP_2) | instskip(NEXT) | instid1(VALU_DEP_3)
	v_dual_fma_f32 v13, v156, v92, -v17 :: v_dual_add_f32 v7, v7, v29
	v_dual_add_f32 v9, v9, v11 :: v_dual_fmac_f32 v33, v159, v94
	v_dual_mul_f32 v175, v160, v97 :: v_dual_mul_f32 v177, v162, v99
	s_delay_alu instid0(VALU_DEP_3) | instskip(SKIP_1) | instid1(VALU_DEP_3)
	v_dual_fma_f32 v11, v158, v94, -v19 :: v_dual_add_f32 v7, v7, v31
	s_wait_loadcnt 0x3
	v_dual_add_f32 v9, v9, v13 :: v_dual_mov_b32 v74, v107
	v_pk_mul_f32 v[68:69], v[116:117], v[100:101] op_sel:[1,1] op_sel_hi:[0,1]
	v_dual_fmac_f32 v175, v161, v96 :: v_dual_fma_f32 v174, v160, v96, -v21
	s_delay_alu instid0(VALU_DEP_3) | instskip(SKIP_1) | instid1(VALU_DEP_4)
	v_dual_add_f32 v77, v7, v33 :: v_dual_add_f32 v76, v9, v11
	v_dual_fmac_f32 v177, v163, v98 :: v_dual_fma_f32 v176, v162, v98, -v23
	v_pk_fma_f32 v[78:79], v[116:117], v[100:101], v[68:69] op_sel_hi:[1,0,1]
	v_pk_mul_f32 v[70:71], v[166:167], v[70:71] op_sel_hi:[1,0]
	s_delay_alu instid0(VALU_DEP_4)
	v_pk_add_f32 v[76:77], v[76:77], v[174:175]
	v_pk_fma_f32 v[68:69], v[116:117], v[100:101], v[68:69] neg_lo:[0,0,1] neg_hi:[0,0,1]
	v_pk_mul_f32 v[72:73], v[120:121], v[104:105] op_sel:[1,1] op_sel_hi:[0,1]
	v_mov_b32_e32 v69, v79
	v_pk_fma_f32 v[78:79], v[118:119], v[102:103], v[70:71] op_sel_hi:[1,0,1]
	v_pk_add_f32 v[76:77], v[76:77], v[176:177]
	v_pk_fma_f32 v[70:71], v[118:119], v[102:103], v[70:71] neg_lo:[0,0,1] neg_hi:[0,0,1]
	v_pk_fma_f32 v[82:83], v[120:121], v[104:105], v[72:73] op_sel_hi:[1,0,1]
	v_pk_mul_f32 v[74:75], v[168:169], v[74:75] op_sel_hi:[1,0]
	v_mov_b32_e32 v71, v79
	v_pk_add_f32 v[68:69], v[76:77], v[68:69]
	s_wait_loadcnt 0x2
	v_pk_mul_f32 v[80:81], v[124:125], v[108:109] op_sel:[1,1] op_sel_hi:[0,1]
	v_mov_b32_e32 v76, v111
	v_pk_fma_f32 v[72:73], v[120:121], v[104:105], v[72:73] neg_lo:[0,0,1] neg_hi:[0,0,1]
	v_mov_b32_e32 v73, v83
	v_pk_fma_f32 v[78:79], v[122:123], v[106:107], v[74:75] op_sel_hi:[1,0,1]
	v_pk_add_f32 v[68:69], v[68:69], v[70:71]
	v_pk_fma_f32 v[70:71], v[124:125], v[108:109], v[80:81] op_sel_hi:[1,0,1]
	v_pk_mul_f32 v[76:77], v[170:171], v[76:77] op_sel_hi:[1,0]
	v_pk_fma_f32 v[74:75], v[122:123], v[106:107], v[74:75] neg_lo:[0,0,1] neg_hi:[0,0,1]
	v_mov_b32_e32 v75, v79
	v_pk_add_f32 v[68:69], v[68:69], v[72:73]
	v_pk_fma_f32 v[78:79], v[124:125], v[108:109], v[80:81] neg_lo:[0,0,1] neg_hi:[0,0,1]
	v_mov_b32_e32 v79, v71
	v_pk_fma_f32 v[70:71], v[126:127], v[110:111], v[76:77] op_sel_hi:[1,0,1]
	s_wait_loadcnt 0x1
	v_pk_mul_f32 v[72:73], v[128:129], v[112:113] op_sel:[1,1] op_sel_hi:[0,1]
	v_pk_add_f32 v[68:69], v[68:69], v[74:75]
	v_mov_b32_e32 v70, v115
	v_pk_fma_f32 v[76:77], v[126:127], v[110:111], v[76:77] neg_lo:[0,0,1] neg_hi:[0,0,1]
	v_mov_b32_e32 v77, v71
	v_pk_fma_f32 v[74:75], v[128:129], v[112:113], v[72:73] op_sel_hi:[1,0,1]
	v_pk_add_f32 v[68:69], v[68:69], v[78:79]
	v_pk_mul_f32 v[70:71], v[172:173], v[70:71] op_sel_hi:[1,0]
	v_pk_fma_f32 v[72:73], v[128:129], v[112:113], v[72:73] neg_lo:[0,0,1] neg_hi:[0,0,1]
	s_delay_alu instid0(VALU_DEP_4) | instskip(NEXT) | instid1(VALU_DEP_4)
	v_mov_b32_e32 v73, v75
	v_pk_add_f32 v[68:69], v[68:69], v[76:77]
	s_delay_alu instid0(VALU_DEP_4) | instskip(SKIP_1) | instid1(VALU_DEP_2)
	v_pk_fma_f32 v[74:75], v[130:131], v[114:115], v[70:71] op_sel_hi:[1,0,1]
	v_pk_fma_f32 v[70:71], v[130:131], v[114:115], v[70:71] neg_lo:[0,0,1] neg_hi:[0,0,1]
	v_mov_b32_e32 v71, v75
	s_delay_alu instid0(VALU_DEP_4) | instskip(NEXT) | instid1(VALU_DEP_1)
	v_pk_add_f32 v[68:69], v[68:69], v[72:73]
	v_pk_add_f32 v[68:69], v[68:69], v[70:71]
	s_wait_loadcnt 0x0
	s_delay_alu instid0(VALU_DEP_1)
	v_pk_add_f32 v[68:69], v[164:165], v[68:69] neg_lo:[0,1] neg_hi:[0,1]
	scratch_store_b64 off, v[68:69], off offset:64
	s_wait_xcnt 0x0
	v_cmpx_lt_u32_e32 7, v0
	s_cbranch_execz .LBB96_197
; %bb.196:
	scratch_load_b64 v[68:69], off, off offset:56
	v_mov_b64_e32 v[70:71], 0
	scratch_store_b64 off, v[70:71], off offset:56
	s_wait_loadcnt 0x0
	ds_store_b64 v1, v[68:69]
.LBB96_197:
	s_wait_xcnt 0x0
	s_or_b32 exec_lo, exec_lo, s0
	s_wait_storecnt_dscnt 0x0
	s_barrier_signal -1
	s_barrier_wait -1
	s_clause 0xd
	scratch_load_b128 v[68:71], off, off offset:64
	scratch_load_b128 v[72:75], off, off offset:80
	;; [unrolled: 1-line block ×12, first 2 shown]
	scratch_load_b64 v[164:165], off, off offset:256
	scratch_load_b64 v[166:167], off, off offset:56
	v_mov_b32_e32 v7, 0
	ds_load_b128 v[116:119], v7 offset:464
	ds_load_b128 v[120:123], v7 offset:480
	;; [unrolled: 1-line block ×12, first 2 shown]
	ds_load_b64 v[168:169], v7 offset:528
	s_mov_b32 s0, exec_lo
	s_wait_dscnt 0xc
	v_dual_mov_b32 v170, v119 :: v_dual_mov_b32 v171, v118
	s_wait_dscnt 0x9
	v_dual_mov_b32 v172, v123 :: v_dual_mov_b32 v177, v130
	v_dual_mov_b32 v173, v122 :: v_dual_mov_b32 v174, v127
	v_dual_mov_b32 v175, v126 :: v_dual_mov_b32 v176, v131
	s_wait_loadcnt_dscnt 0xd08
	v_dual_mul_f32 v9, v132, v69 :: v_dual_mul_f32 v39, v133, v69
	v_dual_mul_f32 v41, v135, v71 :: v_dual_mul_f32 v11, v134, v71
	s_wait_loadcnt_dscnt 0xc07
	v_mul_f32_e32 v13, v136, v73
	s_wait_loadcnt_dscnt 0xa05
	v_dual_mul_f32 v51, v145, v81 :: v_dual_fma_f32 v39, v132, v68, -v39
	v_dual_fmac_f32 v9, v133, v68 :: v_dual_mul_f32 v53, v147, v83
	v_dual_mul_f32 v43, v137, v73 :: v_dual_mul_f32 v45, v139, v75
	v_dual_fmac_f32 v11, v135, v70 :: v_dual_fma_f32 v41, v134, v70, -v41
	s_delay_alu instid0(VALU_DEP_3) | instskip(SKIP_4) | instid1(VALU_DEP_3)
	v_dual_add_f32 v9, 0, v9 :: v_dual_add_f32 v39, 0, v39
	v_dual_mul_f32 v15, v138, v75 :: v_dual_mul_f32 v17, v140, v77
	s_wait_loadcnt_dscnt 0x904
	v_dual_mul_f32 v55, v149, v85 :: v_dual_fma_f32 v43, v136, v72, -v43
	v_fmac_f32_e32 v13, v137, v72
	v_dual_add_f32 v9, v9, v11 :: v_dual_fmac_f32 v15, v139, v74
	v_add_f32_e32 v11, v39, v41
	v_dual_mul_f32 v47, v141, v77 :: v_dual_mul_f32 v49, v143, v79
	v_dual_mul_f32 v39, v151, v87 :: v_dual_fma_f32 v41, v138, v74, -v45
	s_delay_alu instid0(VALU_DEP_3) | instskip(SKIP_3) | instid1(VALU_DEP_3)
	v_dual_add_f32 v9, v9, v13 :: v_dual_add_f32 v11, v11, v43
	v_dual_mul_f32 v19, v142, v79 :: v_dual_mul_f32 v21, v144, v81
	s_wait_loadcnt_dscnt 0x803
	v_dual_mul_f32 v13, v153, v89 :: v_dual_fma_f32 v43, v140, v76, -v47
	v_dual_fmac_f32 v17, v141, v76 :: v_dual_add_f32 v11, v11, v41
	s_delay_alu instid0(VALU_DEP_3) | instskip(SKIP_1) | instid1(VALU_DEP_2)
	v_dual_add_f32 v9, v9, v15 :: v_dual_fmac_f32 v19, v143, v78
	v_dual_mul_f32 v15, v155, v91 :: v_dual_fma_f32 v41, v142, v78, -v49
	v_dual_add_f32 v11, v11, v43 :: v_dual_add_f32 v9, v9, v17
	v_dual_mul_f32 v23, v146, v83 :: v_dual_mul_f32 v25, v148, v85
	s_wait_loadcnt_dscnt 0x702
	v_dual_mul_f32 v17, v157, v93 :: v_dual_fma_f32 v43, v144, v80, -v51
	s_delay_alu instid0(VALU_DEP_3) | instskip(NEXT) | instid1(VALU_DEP_3)
	v_dual_fmac_f32 v21, v145, v80 :: v_dual_add_f32 v11, v11, v41
	v_dual_add_f32 v9, v9, v19 :: v_dual_fmac_f32 v23, v147, v82
	v_dual_mul_f32 v19, v159, v95 :: v_dual_fma_f32 v41, v146, v82, -v53
	s_delay_alu instid0(VALU_DEP_2) | instskip(SKIP_3) | instid1(VALU_DEP_3)
	v_dual_add_f32 v11, v11, v43 :: v_dual_add_f32 v9, v9, v21
	v_dual_mul_f32 v27, v150, v87 :: v_dual_mul_f32 v29, v152, v89
	s_wait_loadcnt_dscnt 0x601
	v_dual_mul_f32 v21, v161, v97 :: v_dual_fma_f32 v43, v148, v84, -v55
	v_dual_fmac_f32 v25, v149, v84 :: v_dual_add_f32 v11, v11, v41
	s_delay_alu instid0(VALU_DEP_3) | instskip(SKIP_1) | instid1(VALU_DEP_2)
	v_dual_add_f32 v9, v9, v23 :: v_dual_fmac_f32 v27, v151, v86
	v_dual_mul_f32 v23, v163, v99 :: v_dual_fma_f32 v39, v150, v86, -v39
	v_dual_add_f32 v11, v11, v43 :: v_dual_add_f32 v9, v9, v25
	v_dual_mul_f32 v31, v154, v91 :: v_dual_mul_f32 v33, v156, v93
	s_wait_loadcnt 0x5
	v_dual_mul_f32 v25, v117, v101 :: v_dual_fma_f32 v13, v152, v88, -v13
	s_delay_alu instid0(VALU_DEP_3) | instskip(SKIP_2) | instid1(VALU_DEP_3)
	v_dual_fmac_f32 v29, v153, v88 :: v_dual_add_f32 v11, v11, v39
	v_dual_add_f32 v9, v9, v27 :: v_dual_mov_b32 v68, v103
	v_fmac_f32_e32 v31, v155, v90
	v_dual_fma_f32 v15, v154, v90, -v15 :: v_dual_add_f32 v11, v11, v13
	s_delay_alu instid0(VALU_DEP_3) | instskip(SKIP_1) | instid1(VALU_DEP_3)
	v_dual_add_f32 v9, v9, v29 :: v_dual_mul_f32 v35, v158, v95
	v_dual_mul_f32 v37, v160, v97 :: v_dual_fmac_f32 v33, v157, v92
	v_dual_add_f32 v11, v11, v15 :: v_dual_fma_f32 v13, v156, v92, -v17
	s_wait_loadcnt 0x4
	s_delay_alu instid0(VALU_DEP_3) | instskip(SKIP_3) | instid1(VALU_DEP_4)
	v_dual_add_f32 v9, v9, v31 :: v_dual_mov_b32 v72, v107
	v_fma_f32 v15, v158, v94, -v19
	v_fmac_f32_e32 v35, v159, v94
	v_dual_add_f32 v11, v11, v13 :: v_dual_fmac_f32 v37, v161, v96
	v_dual_add_f32 v9, v9, v33 :: v_dual_mul_f32 v179, v162, v99
	v_mul_f32_e32 v181, v116, v101
	s_delay_alu instid0(VALU_DEP_3) | instskip(NEXT) | instid1(VALU_DEP_3)
	v_dual_fma_f32 v13, v160, v96, -v21 :: v_dual_add_f32 v11, v11, v15
	v_dual_fma_f32 v178, v162, v98, -v23 :: v_dual_add_f32 v9, v9, v35
	s_delay_alu instid0(VALU_DEP_4) | instskip(SKIP_1) | instid1(VALU_DEP_4)
	v_fmac_f32_e32 v179, v163, v98
	v_pk_mul_f32 v[68:69], v[170:171], v[68:69] op_sel_hi:[1,0]
	v_dual_add_f32 v76, v11, v13 :: v_dual_fmac_f32 v181, v117, v100
	s_delay_alu instid0(VALU_DEP_4)
	v_add_f32_e32 v77, v9, v37
	v_pk_mul_f32 v[70:71], v[120:121], v[104:105] op_sel:[1,1] op_sel_hi:[0,1]
	s_wait_loadcnt 0x3
	v_dual_mov_b32 v78, v111 :: v_dual_fma_f32 v180, v116, v100, -v25
	v_pk_fma_f32 v[80:81], v[118:119], v[102:103], v[68:69] op_sel_hi:[1,0,1]
	v_pk_add_f32 v[76:77], v[76:77], v[178:179]
	v_pk_fma_f32 v[68:69], v[118:119], v[102:103], v[68:69] neg_lo:[0,0,1] neg_hi:[0,0,1]
	v_pk_fma_f32 v[82:83], v[120:121], v[104:105], v[70:71] op_sel_hi:[1,0,1]
	v_pk_mul_f32 v[72:73], v[172:173], v[72:73] op_sel_hi:[1,0]
	v_mov_b32_e32 v69, v81
	v_pk_add_f32 v[76:77], v[76:77], v[180:181]
	v_pk_fma_f32 v[70:71], v[120:121], v[104:105], v[70:71] neg_lo:[0,0,1] neg_hi:[0,0,1]
	v_pk_mul_f32 v[74:75], v[124:125], v[108:109] op_sel:[1,1] op_sel_hi:[0,1]
	v_mov_b32_e32 v71, v83
	v_pk_fma_f32 v[82:83], v[122:123], v[106:107], v[72:73] op_sel_hi:[1,0,1]
	v_pk_add_f32 v[68:69], v[76:77], v[68:69]
	v_pk_fma_f32 v[72:73], v[122:123], v[106:107], v[72:73] neg_lo:[0,0,1] neg_hi:[0,0,1]
	v_pk_fma_f32 v[76:77], v[124:125], v[108:109], v[74:75] op_sel_hi:[1,0,1]
	v_pk_mul_f32 v[78:79], v[174:175], v[78:79] op_sel_hi:[1,0]
	v_mov_b32_e32 v73, v83
	v_pk_add_f32 v[68:69], v[68:69], v[70:71]
	v_pk_fma_f32 v[74:75], v[124:125], v[108:109], v[74:75] neg_lo:[0,0,1] neg_hi:[0,0,1]
	s_wait_loadcnt 0x2
	v_pk_mul_f32 v[80:81], v[128:129], v[112:113] op_sel:[1,1] op_sel_hi:[0,1]
	v_dual_mov_b32 v70, v115 :: v_dual_mov_b32 v75, v77
	v_pk_fma_f32 v[76:77], v[126:127], v[110:111], v[78:79] op_sel_hi:[1,0,1]
	v_pk_add_f32 v[68:69], v[68:69], v[72:73]
	v_pk_fma_f32 v[78:79], v[126:127], v[110:111], v[78:79] neg_lo:[0,0,1] neg_hi:[0,0,1]
	v_pk_fma_f32 v[72:73], v[128:129], v[112:113], v[80:81] op_sel_hi:[1,0,1]
	v_pk_mul_f32 v[70:71], v[176:177], v[70:71] op_sel_hi:[1,0]
	v_mov_b32_e32 v79, v77
	v_pk_add_f32 v[68:69], v[68:69], v[74:75]
	v_pk_fma_f32 v[74:75], v[128:129], v[112:113], v[80:81] neg_lo:[0,0,1] neg_hi:[0,0,1]
	v_mov_b32_e32 v75, v73
	v_pk_fma_f32 v[72:73], v[130:131], v[114:115], v[70:71] op_sel_hi:[1,0,1]
	s_wait_loadcnt_dscnt 0x100
	v_pk_mul_f32 v[76:77], v[168:169], v[164:165] op_sel:[1,1] op_sel_hi:[0,1]
	v_pk_add_f32 v[68:69], v[68:69], v[78:79]
	v_pk_fma_f32 v[70:71], v[130:131], v[114:115], v[70:71] neg_lo:[0,0,1] neg_hi:[0,0,1]
	v_mov_b32_e32 v71, v73
	s_delay_alu instid0(VALU_DEP_4) | instskip(NEXT) | instid1(VALU_DEP_4)
	v_pk_fma_f32 v[72:73], v[168:169], v[164:165], v[76:77] op_sel_hi:[1,0,1]
	v_pk_add_f32 v[68:69], v[68:69], v[74:75]
	v_pk_fma_f32 v[74:75], v[168:169], v[164:165], v[76:77] neg_lo:[0,0,1] neg_hi:[0,0,1]
	s_delay_alu instid0(VALU_DEP_3) | instskip(NEXT) | instid1(VALU_DEP_3)
	v_mov_b32_e32 v75, v73
	v_pk_add_f32 v[68:69], v[68:69], v[70:71]
	s_delay_alu instid0(VALU_DEP_1) | instskip(SKIP_1) | instid1(VALU_DEP_1)
	v_pk_add_f32 v[68:69], v[68:69], v[74:75]
	s_wait_loadcnt 0x0
	v_pk_add_f32 v[68:69], v[166:167], v[68:69] neg_lo:[0,1] neg_hi:[0,1]
	scratch_store_b64 off, v[68:69], off offset:56
	s_wait_xcnt 0x0
	v_cmpx_lt_u32_e32 6, v0
	s_cbranch_execz .LBB96_199
; %bb.198:
	scratch_load_b64 v[68:69], off, off offset:48
	v_mov_b64_e32 v[70:71], 0
	scratch_store_b64 off, v[70:71], off offset:48
	s_wait_loadcnt 0x0
	ds_store_b64 v1, v[68:69]
.LBB96_199:
	s_wait_xcnt 0x0
	s_or_b32 exec_lo, exec_lo, s0
	s_wait_storecnt_dscnt 0x0
	s_barrier_signal -1
	s_barrier_wait -1
	s_clause 0xd
	scratch_load_b128 v[68:71], off, off offset:56
	scratch_load_b128 v[72:75], off, off offset:72
	;; [unrolled: 1-line block ×13, first 2 shown]
	scratch_load_b64 v[172:173], off, off offset:48
	ds_load_2addr_b64 v[120:123], v7 offset0:59 offset1:60
	ds_load_2addr_b64 v[124:127], v7 offset0:61 offset1:62
	;; [unrolled: 1-line block ×13, first 2 shown]
	s_mov_b32 s0, exec_lo
	s_wait_dscnt 0xc
	v_dual_mov_b32 v174, v123 :: v_dual_mov_b32 v175, v122
	s_wait_dscnt 0xb
	v_dual_mov_b32 v176, v127 :: v_dual_mov_b32 v177, v126
	s_wait_dscnt 0xa
	v_dual_mov_b32 v178, v131 :: v_dual_mov_b32 v179, v130
	s_wait_dscnt 0x9
	v_dual_mov_b32 v180, v135 :: v_dual_mov_b32 v181, v134
	s_wait_loadcnt_dscnt 0xd08
	v_dual_mul_f32 v7, v136, v69 :: v_dual_mul_f32 v9, v138, v71
	v_dual_mul_f32 v39, v137, v69 :: v_dual_mul_f32 v41, v139, v71
	s_wait_loadcnt_dscnt 0xc07
	v_dual_mul_f32 v11, v140, v73 :: v_dual_mul_f32 v13, v142, v75
	s_delay_alu instid0(VALU_DEP_3) | instskip(SKIP_3) | instid1(VALU_DEP_3)
	v_dual_fmac_f32 v7, v137, v68 :: v_dual_fmac_f32 v9, v139, v70
	s_wait_loadcnt_dscnt 0xa05
	v_dual_fma_f32 v39, v136, v68, -v39 :: v_dual_mul_f32 v51, v149, v81
	v_dual_mul_f32 v43, v141, v73 :: v_dual_mul_f32 v45, v143, v75
	v_dual_fma_f32 v41, v138, v70, -v41 :: v_dual_add_f32 v7, 0, v7
	s_delay_alu instid0(VALU_DEP_3) | instskip(SKIP_1) | instid1(VALU_DEP_4)
	v_dual_add_f32 v39, 0, v39 :: v_dual_fmac_f32 v11, v141, v72
	v_dual_mul_f32 v15, v144, v77 :: v_dual_mul_f32 v17, v146, v79
	v_dual_mul_f32 v53, v151, v83 :: v_dual_fma_f32 v43, v140, v72, -v43
	s_delay_alu instid0(VALU_DEP_4) | instskip(NEXT) | instid1(VALU_DEP_3)
	v_add_f32_e32 v7, v7, v9
	v_dual_add_f32 v9, v39, v41 :: v_dual_fmac_f32 v15, v145, v76
	v_dual_mul_f32 v47, v145, v77 :: v_dual_mul_f32 v49, v147, v79
	s_wait_loadcnt_dscnt 0x903
	v_dual_mul_f32 v39, v157, v85 :: v_dual_fmac_f32 v13, v143, v74
	v_dual_fma_f32 v41, v142, v74, -v45 :: v_dual_add_f32 v7, v7, v11
	s_delay_alu instid0(VALU_DEP_3) | instskip(SKIP_1) | instid1(VALU_DEP_3)
	v_dual_add_f32 v9, v9, v43 :: v_dual_fma_f32 v43, v144, v76, -v47
	v_dual_mul_f32 v19, v148, v81 :: v_dual_mul_f32 v21, v150, v83
	v_add_f32_e32 v7, v7, v13
	s_delay_alu instid0(VALU_DEP_3) | instskip(SKIP_2) | instid1(VALU_DEP_3)
	v_dual_mul_f32 v11, v159, v87 :: v_dual_add_f32 v9, v9, v41
	s_wait_loadcnt_dscnt 0x802
	v_dual_mul_f32 v13, v161, v89 :: v_dual_fmac_f32 v17, v147, v78
	v_dual_fma_f32 v41, v146, v78, -v49 :: v_dual_add_f32 v7, v7, v15
	s_delay_alu instid0(VALU_DEP_3) | instskip(SKIP_1) | instid1(VALU_DEP_3)
	v_dual_add_f32 v9, v9, v43 :: v_dual_fma_f32 v43, v148, v80, -v51
	v_dual_mul_f32 v15, v163, v91 :: v_dual_fmac_f32 v19, v149, v80
	v_add_f32_e32 v7, v7, v17
	s_delay_alu instid0(VALU_DEP_3)
	v_dual_add_f32 v9, v9, v41 :: v_dual_fmac_f32 v21, v151, v82
	v_dual_mul_f32 v23, v156, v85 :: v_dual_mul_f32 v25, v158, v87
	s_wait_loadcnt_dscnt 0x701
	v_dual_fma_f32 v41, v150, v82, -v53 :: v_dual_mul_f32 v17, v165, v93
	v_add_f32_e32 v7, v7, v19
	v_dual_add_f32 v9, v9, v43 :: v_dual_fma_f32 v39, v156, v84, -v39
	v_dual_mul_f32 v19, v167, v95 :: v_dual_fmac_f32 v23, v157, v84
	s_delay_alu instid0(VALU_DEP_3) | instskip(NEXT) | instid1(VALU_DEP_3)
	v_dual_add_f32 v7, v7, v21 :: v_dual_fma_f32 v11, v158, v86, -v11
	v_dual_add_f32 v9, v9, v41 :: v_dual_fmac_f32 v25, v159, v86
	v_dual_mul_f32 v27, v160, v89 :: v_dual_mul_f32 v29, v162, v91
	s_wait_loadcnt_dscnt 0x600
	s_delay_alu instid0(VALU_DEP_3) | instskip(NEXT) | instid1(VALU_DEP_3)
	v_dual_mul_f32 v21, v169, v97 :: v_dual_add_f32 v7, v7, v23
	v_dual_add_f32 v9, v9, v39 :: v_dual_fma_f32 v13, v160, v88, -v13
	s_delay_alu instid0(VALU_DEP_3) | instskip(NEXT) | instid1(VALU_DEP_2)
	v_dual_mul_f32 v23, v171, v99 :: v_dual_fmac_f32 v27, v161, v88
	v_dual_add_f32 v7, v7, v25 :: v_dual_add_f32 v9, v9, v11
	v_dual_mul_f32 v31, v164, v93 :: v_dual_mul_f32 v33, v166, v95
	s_wait_loadcnt 0x5
	v_dual_mul_f32 v11, v153, v101 :: v_dual_fmac_f32 v29, v163, v90
	s_delay_alu instid0(VALU_DEP_3) | instskip(SKIP_2) | instid1(VALU_DEP_2)
	v_dual_fma_f32 v15, v162, v90, -v15 :: v_dual_add_f32 v7, v7, v27
	v_dual_add_f32 v9, v9, v13 :: v_dual_mul_f32 v13, v155, v103
	v_dual_fmac_f32 v31, v165, v92 :: v_dual_fma_f32 v17, v164, v92, -v17
	v_dual_add_f32 v7, v7, v29 :: v_dual_add_f32 v9, v9, v15
	v_dual_mul_f32 v35, v168, v97 :: v_dual_mul_f32 v37, v170, v99
	v_dual_fmac_f32 v33, v167, v94 :: v_dual_fma_f32 v15, v166, v94, -v19
	s_delay_alu instid0(VALU_DEP_3) | instskip(SKIP_1) | instid1(VALU_DEP_3)
	v_dual_add_f32 v7, v7, v31 :: v_dual_add_f32 v9, v9, v17
	s_wait_loadcnt 0x4
	v_dual_mov_b32 v70, v107 :: v_dual_fmac_f32 v35, v169, v96
	s_delay_alu instid0(VALU_DEP_2) | instskip(NEXT) | instid1(VALU_DEP_3)
	v_dual_fma_f32 v17, v168, v96, -v21 :: v_dual_add_f32 v7, v7, v33
	v_dual_add_f32 v9, v9, v15 :: v_dual_fmac_f32 v37, v171, v98
	v_dual_mul_f32 v183, v152, v101 :: v_dual_mul_f32 v185, v154, v103
	s_delay_alu instid0(VALU_DEP_3) | instskip(SKIP_1) | instid1(VALU_DEP_3)
	v_dual_fma_f32 v15, v170, v98, -v23 :: v_dual_add_f32 v7, v7, v35
	s_wait_loadcnt 0x3
	v_dual_add_f32 v9, v9, v17 :: v_dual_mov_b32 v74, v111
	v_pk_mul_f32 v[68:69], v[120:121], v[104:105] op_sel:[1,1] op_sel_hi:[0,1]
	s_delay_alu instid0(VALU_DEP_3) | instskip(NEXT) | instid1(VALU_DEP_3)
	v_dual_fmac_f32 v183, v153, v100 :: v_dual_add_f32 v77, v7, v37
	v_dual_fma_f32 v182, v152, v100, -v11 :: v_dual_add_f32 v76, v9, v15
	v_fmac_f32_e32 v185, v155, v102
	s_delay_alu instid0(VALU_DEP_4)
	v_pk_fma_f32 v[78:79], v[120:121], v[104:105], v[68:69] op_sel_hi:[1,0,1]
	v_fma_f32 v184, v154, v102, -v13
	v_pk_mul_f32 v[70:71], v[174:175], v[70:71] op_sel_hi:[1,0]
	v_pk_add_f32 v[76:77], v[76:77], v[182:183]
	v_pk_fma_f32 v[68:69], v[120:121], v[104:105], v[68:69] neg_lo:[0,0,1] neg_hi:[0,0,1]
	v_pk_mul_f32 v[72:73], v[124:125], v[108:109] op_sel:[1,1] op_sel_hi:[0,1]
	v_mov_b32_e32 v69, v79
	v_pk_fma_f32 v[78:79], v[122:123], v[106:107], v[70:71] op_sel_hi:[1,0,1]
	v_pk_add_f32 v[76:77], v[76:77], v[184:185]
	v_pk_fma_f32 v[70:71], v[122:123], v[106:107], v[70:71] neg_lo:[0,0,1] neg_hi:[0,0,1]
	v_pk_fma_f32 v[82:83], v[124:125], v[108:109], v[72:73] op_sel_hi:[1,0,1]
	v_pk_mul_f32 v[74:75], v[176:177], v[74:75] op_sel_hi:[1,0]
	v_mov_b32_e32 v71, v79
	v_pk_add_f32 v[68:69], v[76:77], v[68:69]
	s_wait_loadcnt 0x2
	v_pk_mul_f32 v[80:81], v[128:129], v[112:113] op_sel:[1,1] op_sel_hi:[0,1]
	v_mov_b32_e32 v76, v115
	v_pk_fma_f32 v[72:73], v[124:125], v[108:109], v[72:73] neg_lo:[0,0,1] neg_hi:[0,0,1]
	v_pk_fma_f32 v[78:79], v[126:127], v[110:111], v[74:75] op_sel_hi:[1,0,1]
	v_mov_b32_e32 v73, v83
	v_pk_add_f32 v[68:69], v[68:69], v[70:71]
	v_pk_fma_f32 v[70:71], v[128:129], v[112:113], v[80:81] op_sel_hi:[1,0,1]
	v_pk_mul_f32 v[76:77], v[178:179], v[76:77] op_sel_hi:[1,0]
	v_pk_fma_f32 v[74:75], v[126:127], v[110:111], v[74:75] neg_lo:[0,0,1] neg_hi:[0,0,1]
	v_mov_b32_e32 v75, v79
	v_pk_add_f32 v[68:69], v[68:69], v[72:73]
	v_pk_fma_f32 v[78:79], v[128:129], v[112:113], v[80:81] neg_lo:[0,0,1] neg_hi:[0,0,1]
	v_mov_b32_e32 v79, v71
	v_pk_fma_f32 v[70:71], v[130:131], v[114:115], v[76:77] op_sel_hi:[1,0,1]
	s_wait_loadcnt 0x1
	v_pk_mul_f32 v[72:73], v[132:133], v[116:117] op_sel:[1,1] op_sel_hi:[0,1]
	v_pk_add_f32 v[68:69], v[68:69], v[74:75]
	v_mov_b32_e32 v70, v119
	v_pk_fma_f32 v[76:77], v[130:131], v[114:115], v[76:77] neg_lo:[0,0,1] neg_hi:[0,0,1]
	s_delay_alu instid0(VALU_DEP_4)
	v_pk_fma_f32 v[74:75], v[132:133], v[116:117], v[72:73] op_sel_hi:[1,0,1]
	v_mov_b32_e32 v77, v71
	v_pk_add_f32 v[68:69], v[68:69], v[78:79]
	v_pk_mul_f32 v[70:71], v[180:181], v[70:71] op_sel_hi:[1,0]
	v_pk_fma_f32 v[72:73], v[132:133], v[116:117], v[72:73] neg_lo:[0,0,1] neg_hi:[0,0,1]
	v_mov_b32_e32 v73, v75
	s_delay_alu instid0(VALU_DEP_4) | instskip(NEXT) | instid1(VALU_DEP_4)
	v_pk_add_f32 v[68:69], v[68:69], v[76:77]
	v_pk_fma_f32 v[74:75], v[134:135], v[118:119], v[70:71] op_sel_hi:[1,0,1]
	v_pk_fma_f32 v[70:71], v[134:135], v[118:119], v[70:71] neg_lo:[0,0,1] neg_hi:[0,0,1]
	s_delay_alu instid0(VALU_DEP_3) | instskip(NEXT) | instid1(VALU_DEP_3)
	v_pk_add_f32 v[68:69], v[68:69], v[72:73]
	v_mov_b32_e32 v71, v75
	s_delay_alu instid0(VALU_DEP_1) | instskip(SKIP_1) | instid1(VALU_DEP_1)
	v_pk_add_f32 v[68:69], v[68:69], v[70:71]
	s_wait_loadcnt 0x0
	v_pk_add_f32 v[68:69], v[172:173], v[68:69] neg_lo:[0,1] neg_hi:[0,1]
	scratch_store_b64 off, v[68:69], off offset:48
	s_wait_xcnt 0x0
	v_cmpx_lt_u32_e32 5, v0
	s_cbranch_execz .LBB96_201
; %bb.200:
	scratch_load_b64 v[68:69], off, off offset:40
	v_mov_b64_e32 v[70:71], 0
	scratch_store_b64 off, v[70:71], off offset:40
	s_wait_loadcnt 0x0
	ds_store_b64 v1, v[68:69]
.LBB96_201:
	s_wait_xcnt 0x0
	s_or_b32 exec_lo, exec_lo, s0
	s_wait_storecnt_dscnt 0x0
	s_barrier_signal -1
	s_barrier_wait -1
	s_clause 0xe
	scratch_load_b128 v[68:71], off, off offset:48
	scratch_load_b128 v[72:75], off, off offset:64
	;; [unrolled: 1-line block ×13, first 2 shown]
	scratch_load_b64 v[172:173], off, off offset:256
	scratch_load_b64 v[174:175], off, off offset:40
	v_mov_b32_e32 v7, 0
	ds_load_b128 v[120:123], v7 offset:464
	ds_load_b128 v[124:127], v7 offset:480
	;; [unrolled: 1-line block ×13, first 2 shown]
	ds_load_b64 v[176:177], v7 offset:528
	s_mov_b32 s0, exec_lo
	s_wait_dscnt 0xd
	v_dual_mov_b32 v178, v123 :: v_dual_mov_b32 v179, v122
	s_wait_dscnt 0xa
	v_dual_mov_b32 v180, v127 :: v_dual_mov_b32 v185, v134
	v_dual_mov_b32 v181, v126 :: v_dual_mov_b32 v182, v131
	;; [unrolled: 1-line block ×3, first 2 shown]
	s_wait_loadcnt_dscnt 0xe09
	v_dual_mul_f32 v9, v136, v69 :: v_dual_mul_f32 v43, v137, v69
	v_dual_mul_f32 v45, v139, v71 :: v_dual_mul_f32 v11, v138, v71
	s_wait_loadcnt_dscnt 0xd08
	v_mul_f32_e32 v13, v140, v73
	s_wait_loadcnt_dscnt 0xb05
	v_dual_mul_f32 v55, v153, v81 :: v_dual_fma_f32 v43, v136, v68, -v43
	v_dual_fmac_f32 v9, v137, v68 :: v_dual_mul_f32 v57, v155, v83
	v_dual_mul_f32 v47, v141, v73 :: v_dual_mul_f32 v49, v143, v75
	v_dual_fmac_f32 v11, v139, v70 :: v_dual_fma_f32 v45, v138, v70, -v45
	s_delay_alu instid0(VALU_DEP_3) | instskip(SKIP_4) | instid1(VALU_DEP_3)
	v_dual_add_f32 v9, 0, v9 :: v_dual_add_f32 v43, 0, v43
	v_dual_mul_f32 v15, v142, v75 :: v_dual_mul_f32 v17, v144, v77
	s_wait_loadcnt_dscnt 0xa04
	v_dual_mul_f32 v59, v157, v85 :: v_dual_fma_f32 v47, v140, v72, -v47
	v_fmac_f32_e32 v13, v141, v72
	v_dual_add_f32 v9, v9, v11 :: v_dual_fmac_f32 v15, v143, v74
	v_add_f32_e32 v11, v43, v45
	v_dual_mul_f32 v51, v145, v77 :: v_dual_mul_f32 v53, v147, v79
	v_dual_mul_f32 v43, v159, v87 :: v_dual_fma_f32 v45, v142, v74, -v49
	s_delay_alu instid0(VALU_DEP_3) | instskip(SKIP_3) | instid1(VALU_DEP_3)
	v_dual_add_f32 v9, v9, v13 :: v_dual_add_f32 v11, v11, v47
	v_dual_mul_f32 v19, v146, v79 :: v_dual_mul_f32 v21, v152, v81
	s_wait_loadcnt_dscnt 0x903
	v_dual_mul_f32 v13, v161, v89 :: v_dual_fma_f32 v47, v144, v76, -v51
	v_dual_fmac_f32 v17, v145, v76 :: v_dual_add_f32 v11, v11, v45
	s_delay_alu instid0(VALU_DEP_3) | instskip(SKIP_1) | instid1(VALU_DEP_2)
	v_dual_add_f32 v9, v9, v15 :: v_dual_fmac_f32 v19, v147, v78
	v_dual_mul_f32 v15, v163, v91 :: v_dual_fma_f32 v45, v146, v78, -v53
	v_dual_add_f32 v11, v11, v47 :: v_dual_add_f32 v9, v9, v17
	v_dual_mul_f32 v23, v154, v83 :: v_dual_mul_f32 v25, v156, v85
	s_wait_loadcnt_dscnt 0x802
	v_dual_mul_f32 v17, v165, v93 :: v_dual_fma_f32 v47, v152, v80, -v55
	s_delay_alu instid0(VALU_DEP_3) | instskip(NEXT) | instid1(VALU_DEP_3)
	v_dual_fmac_f32 v21, v153, v80 :: v_dual_add_f32 v11, v11, v45
	v_dual_add_f32 v9, v9, v19 :: v_dual_fmac_f32 v23, v155, v82
	v_dual_mul_f32 v19, v167, v95 :: v_dual_fma_f32 v45, v154, v82, -v57
	s_delay_alu instid0(VALU_DEP_2) | instskip(SKIP_3) | instid1(VALU_DEP_3)
	v_dual_add_f32 v11, v11, v47 :: v_dual_add_f32 v9, v9, v21
	v_dual_mul_f32 v27, v158, v87 :: v_dual_mul_f32 v29, v160, v89
	s_wait_loadcnt_dscnt 0x701
	v_dual_mul_f32 v21, v169, v97 :: v_dual_fma_f32 v47, v156, v84, -v59
	v_dual_fmac_f32 v25, v157, v84 :: v_dual_add_f32 v11, v11, v45
	s_delay_alu instid0(VALU_DEP_3) | instskip(SKIP_1) | instid1(VALU_DEP_2)
	v_dual_add_f32 v9, v9, v23 :: v_dual_fmac_f32 v27, v159, v86
	v_dual_mul_f32 v23, v171, v99 :: v_dual_fma_f32 v43, v158, v86, -v43
	v_dual_add_f32 v11, v11, v47 :: v_dual_add_f32 v9, v9, v25
	v_dual_mul_f32 v31, v162, v91 :: v_dual_mul_f32 v33, v164, v93
	s_wait_loadcnt 0x6
	v_dual_mul_f32 v25, v149, v101 :: v_dual_fma_f32 v13, v160, v88, -v13
	s_delay_alu instid0(VALU_DEP_3) | instskip(NEXT) | instid1(VALU_DEP_3)
	v_dual_fmac_f32 v29, v161, v88 :: v_dual_add_f32 v11, v11, v43
	v_dual_add_f32 v9, v9, v27 :: v_dual_fmac_f32 v31, v163, v90
	v_dual_mul_f32 v27, v151, v103 :: v_dual_fma_f32 v15, v162, v90, -v15
	s_delay_alu instid0(VALU_DEP_3) | instskip(NEXT) | instid1(VALU_DEP_3)
	v_dual_add_f32 v11, v11, v13 :: v_dual_fmac_f32 v33, v165, v92
	v_dual_add_f32 v9, v9, v29 :: v_dual_fma_f32 v17, v164, v92, -v17
	v_dual_mul_f32 v35, v166, v95 :: v_dual_mul_f32 v37, v168, v97
	s_wait_loadcnt 0x5
	s_delay_alu instid0(VALU_DEP_3) | instskip(NEXT) | instid1(VALU_DEP_3)
	v_dual_mul_f32 v13, v121, v105 :: v_dual_add_f32 v11, v11, v15
	v_dual_add_f32 v9, v9, v31 :: v_dual_mov_b32 v68, v107
	s_delay_alu instid0(VALU_DEP_3) | instskip(NEXT) | instid1(VALU_DEP_3)
	v_fmac_f32_e32 v35, v167, v94
	v_dual_fma_f32 v15, v166, v94, -v19 :: v_dual_add_f32 v11, v11, v17
	s_delay_alu instid0(VALU_DEP_3) | instskip(SKIP_1) | instid1(VALU_DEP_3)
	v_dual_add_f32 v9, v9, v33 :: v_dual_mul_f32 v39, v170, v99
	v_dual_mul_f32 v41, v148, v101 :: v_dual_fmac_f32 v37, v169, v96
	v_dual_add_f32 v11, v11, v15 :: v_dual_fma_f32 v17, v168, v96, -v21
	s_wait_loadcnt 0x4
	s_delay_alu instid0(VALU_DEP_3) | instskip(SKIP_3) | instid1(VALU_DEP_4)
	v_dual_add_f32 v9, v9, v35 :: v_dual_mov_b32 v72, v111
	v_fma_f32 v15, v170, v98, -v23
	v_fmac_f32_e32 v39, v171, v98
	v_dual_add_f32 v11, v11, v17 :: v_dual_fmac_f32 v41, v149, v100
	v_dual_add_f32 v9, v9, v37 :: v_dual_mul_f32 v187, v150, v103
	v_mul_f32_e32 v189, v120, v105
	s_delay_alu instid0(VALU_DEP_3) | instskip(NEXT) | instid1(VALU_DEP_3)
	v_dual_fma_f32 v17, v148, v100, -v25 :: v_dual_add_f32 v11, v11, v15
	v_dual_fma_f32 v186, v150, v102, -v27 :: v_dual_add_f32 v9, v9, v39
	s_delay_alu instid0(VALU_DEP_4) | instskip(SKIP_1) | instid1(VALU_DEP_4)
	v_fmac_f32_e32 v187, v151, v102
	v_pk_mul_f32 v[68:69], v[178:179], v[68:69] op_sel_hi:[1,0]
	v_dual_add_f32 v76, v11, v17 :: v_dual_fmac_f32 v189, v121, v104
	s_delay_alu instid0(VALU_DEP_4)
	v_add_f32_e32 v77, v9, v41
	v_pk_mul_f32 v[70:71], v[124:125], v[108:109] op_sel:[1,1] op_sel_hi:[0,1]
	s_wait_loadcnt 0x3
	v_dual_mov_b32 v78, v115 :: v_dual_fma_f32 v188, v120, v104, -v13
	v_pk_fma_f32 v[80:81], v[122:123], v[106:107], v[68:69] op_sel_hi:[1,0,1]
	v_pk_add_f32 v[76:77], v[76:77], v[186:187]
	v_pk_fma_f32 v[68:69], v[122:123], v[106:107], v[68:69] neg_lo:[0,0,1] neg_hi:[0,0,1]
	v_pk_fma_f32 v[82:83], v[124:125], v[108:109], v[70:71] op_sel_hi:[1,0,1]
	v_pk_mul_f32 v[72:73], v[180:181], v[72:73] op_sel_hi:[1,0]
	v_mov_b32_e32 v69, v81
	v_pk_add_f32 v[76:77], v[76:77], v[188:189]
	v_pk_fma_f32 v[70:71], v[124:125], v[108:109], v[70:71] neg_lo:[0,0,1] neg_hi:[0,0,1]
	v_pk_mul_f32 v[74:75], v[128:129], v[112:113] op_sel:[1,1] op_sel_hi:[0,1]
	v_mov_b32_e32 v71, v83
	v_pk_fma_f32 v[82:83], v[126:127], v[110:111], v[72:73] op_sel_hi:[1,0,1]
	v_pk_add_f32 v[68:69], v[76:77], v[68:69]
	v_pk_fma_f32 v[72:73], v[126:127], v[110:111], v[72:73] neg_lo:[0,0,1] neg_hi:[0,0,1]
	v_pk_fma_f32 v[76:77], v[128:129], v[112:113], v[74:75] op_sel_hi:[1,0,1]
	v_pk_mul_f32 v[78:79], v[182:183], v[78:79] op_sel_hi:[1,0]
	v_mov_b32_e32 v73, v83
	v_pk_add_f32 v[68:69], v[68:69], v[70:71]
	v_pk_fma_f32 v[74:75], v[128:129], v[112:113], v[74:75] neg_lo:[0,0,1] neg_hi:[0,0,1]
	s_wait_loadcnt 0x2
	v_pk_mul_f32 v[80:81], v[132:133], v[116:117] op_sel:[1,1] op_sel_hi:[0,1]
	v_dual_mov_b32 v70, v119 :: v_dual_mov_b32 v75, v77
	v_pk_fma_f32 v[76:77], v[130:131], v[114:115], v[78:79] op_sel_hi:[1,0,1]
	v_pk_add_f32 v[68:69], v[68:69], v[72:73]
	v_pk_fma_f32 v[78:79], v[130:131], v[114:115], v[78:79] neg_lo:[0,0,1] neg_hi:[0,0,1]
	v_pk_fma_f32 v[72:73], v[132:133], v[116:117], v[80:81] op_sel_hi:[1,0,1]
	v_pk_mul_f32 v[70:71], v[184:185], v[70:71] op_sel_hi:[1,0]
	v_mov_b32_e32 v79, v77
	v_pk_add_f32 v[68:69], v[68:69], v[74:75]
	v_pk_fma_f32 v[74:75], v[132:133], v[116:117], v[80:81] neg_lo:[0,0,1] neg_hi:[0,0,1]
	v_mov_b32_e32 v75, v73
	v_pk_fma_f32 v[72:73], v[134:135], v[118:119], v[70:71] op_sel_hi:[1,0,1]
	s_wait_loadcnt_dscnt 0x100
	v_pk_mul_f32 v[76:77], v[176:177], v[172:173] op_sel:[1,1] op_sel_hi:[0,1]
	v_pk_add_f32 v[68:69], v[68:69], v[78:79]
	v_pk_fma_f32 v[70:71], v[134:135], v[118:119], v[70:71] neg_lo:[0,0,1] neg_hi:[0,0,1]
	v_mov_b32_e32 v71, v73
	s_delay_alu instid0(VALU_DEP_4) | instskip(NEXT) | instid1(VALU_DEP_4)
	v_pk_fma_f32 v[72:73], v[176:177], v[172:173], v[76:77] op_sel_hi:[1,0,1]
	v_pk_add_f32 v[68:69], v[68:69], v[74:75]
	v_pk_fma_f32 v[74:75], v[176:177], v[172:173], v[76:77] neg_lo:[0,0,1] neg_hi:[0,0,1]
	s_delay_alu instid0(VALU_DEP_3) | instskip(NEXT) | instid1(VALU_DEP_3)
	v_mov_b32_e32 v75, v73
	v_pk_add_f32 v[68:69], v[68:69], v[70:71]
	s_delay_alu instid0(VALU_DEP_1) | instskip(SKIP_1) | instid1(VALU_DEP_1)
	v_pk_add_f32 v[68:69], v[68:69], v[74:75]
	s_wait_loadcnt 0x0
	v_pk_add_f32 v[68:69], v[174:175], v[68:69] neg_lo:[0,1] neg_hi:[0,1]
	scratch_store_b64 off, v[68:69], off offset:40
	s_wait_xcnt 0x0
	v_cmpx_lt_u32_e32 4, v0
	s_cbranch_execz .LBB96_203
; %bb.202:
	scratch_load_b64 v[68:69], off, off offset:32
	v_mov_b64_e32 v[70:71], 0
	scratch_store_b64 off, v[70:71], off offset:32
	s_wait_loadcnt 0x0
	ds_store_b64 v1, v[68:69]
.LBB96_203:
	s_wait_xcnt 0x0
	s_or_b32 exec_lo, exec_lo, s0
	s_wait_storecnt_dscnt 0x0
	s_barrier_signal -1
	s_barrier_wait -1
	s_clause 0xe
	scratch_load_b128 v[68:71], off, off offset:40
	scratch_load_b128 v[72:75], off, off offset:56
	scratch_load_b128 v[76:79], off, off offset:72
	scratch_load_b128 v[80:83], off, off offset:88
	scratch_load_b128 v[84:87], off, off offset:104
	scratch_load_b128 v[88:91], off, off offset:120
	scratch_load_b128 v[92:95], off, off offset:136
	scratch_load_b128 v[96:99], off, off offset:152
	scratch_load_b128 v[100:103], off, off offset:168
	scratch_load_b128 v[104:107], off, off offset:184
	scratch_load_b128 v[108:111], off, off offset:200
	scratch_load_b128 v[112:115], off, off offset:216
	scratch_load_b128 v[116:119], off, off offset:232
	scratch_load_b128 v[120:123], off, off offset:248
	scratch_load_b64 v[180:181], off, off offset:32
	ds_load_2addr_b64 v[124:127], v7 offset0:59 offset1:60
	ds_load_2addr_b64 v[128:131], v7 offset0:61 offset1:62
	;; [unrolled: 1-line block ×14, first 2 shown]
	s_mov_b32 s0, exec_lo
	s_wait_dscnt 0xd
	v_dual_mov_b32 v182, v127 :: v_dual_mov_b32 v183, v126
	s_wait_dscnt 0xc
	v_dual_mov_b32 v184, v131 :: v_dual_mov_b32 v185, v130
	s_wait_dscnt 0xb
	v_dual_mov_b32 v186, v135 :: v_dual_mov_b32 v187, v134
	s_wait_dscnt 0xa
	v_dual_mov_b32 v188, v139 :: v_dual_mov_b32 v189, v138
	s_wait_loadcnt_dscnt 0xe09
	v_dual_mul_f32 v7, v140, v69 :: v_dual_mul_f32 v9, v142, v71
	v_dual_mul_f32 v43, v141, v69 :: v_dual_mul_f32 v45, v143, v71
	s_wait_loadcnt_dscnt 0xd08
	v_dual_mul_f32 v11, v144, v73 :: v_dual_mul_f32 v13, v146, v75
	s_delay_alu instid0(VALU_DEP_3) | instskip(SKIP_3) | instid1(VALU_DEP_3)
	v_dual_fmac_f32 v7, v141, v68 :: v_dual_fmac_f32 v9, v143, v70
	s_wait_loadcnt_dscnt 0xb06
	v_dual_fma_f32 v43, v140, v68, -v43 :: v_dual_mul_f32 v55, v153, v81
	v_dual_mul_f32 v47, v145, v73 :: v_dual_mul_f32 v49, v147, v75
	v_dual_fma_f32 v45, v142, v70, -v45 :: v_dual_add_f32 v7, 0, v7
	s_delay_alu instid0(VALU_DEP_3) | instskip(SKIP_1) | instid1(VALU_DEP_4)
	v_dual_add_f32 v43, 0, v43 :: v_dual_fmac_f32 v11, v145, v72
	v_dual_mul_f32 v15, v148, v77 :: v_dual_mul_f32 v17, v150, v79
	v_dual_mul_f32 v57, v155, v83 :: v_dual_fma_f32 v47, v144, v72, -v47
	s_delay_alu instid0(VALU_DEP_4) | instskip(NEXT) | instid1(VALU_DEP_3)
	v_add_f32_e32 v7, v7, v9
	v_dual_add_f32 v9, v43, v45 :: v_dual_fmac_f32 v15, v149, v76
	v_dual_mul_f32 v51, v149, v77 :: v_dual_mul_f32 v53, v151, v79
	s_wait_loadcnt_dscnt 0xa05
	v_dual_mul_f32 v43, v157, v85 :: v_dual_fmac_f32 v13, v147, v74
	v_dual_fma_f32 v45, v146, v74, -v49 :: v_dual_add_f32 v7, v7, v11
	s_delay_alu instid0(VALU_DEP_3) | instskip(SKIP_1) | instid1(VALU_DEP_3)
	v_dual_add_f32 v9, v9, v47 :: v_dual_fma_f32 v47, v148, v76, -v51
	v_dual_mul_f32 v19, v152, v81 :: v_dual_mul_f32 v21, v154, v83
	v_add_f32_e32 v7, v7, v13
	s_delay_alu instid0(VALU_DEP_3) | instskip(SKIP_2) | instid1(VALU_DEP_3)
	v_dual_mul_f32 v11, v159, v87 :: v_dual_add_f32 v9, v9, v45
	s_wait_loadcnt_dscnt 0x904
	v_dual_mul_f32 v13, v161, v89 :: v_dual_fmac_f32 v17, v151, v78
	v_dual_fma_f32 v45, v150, v78, -v53 :: v_dual_add_f32 v7, v7, v15
	s_delay_alu instid0(VALU_DEP_3) | instskip(SKIP_1) | instid1(VALU_DEP_3)
	v_dual_add_f32 v9, v9, v47 :: v_dual_fma_f32 v47, v152, v80, -v55
	v_dual_mul_f32 v15, v163, v91 :: v_dual_fmac_f32 v19, v153, v80
	v_add_f32_e32 v7, v7, v17
	s_delay_alu instid0(VALU_DEP_3)
	v_dual_add_f32 v9, v9, v45 :: v_dual_fmac_f32 v21, v155, v82
	v_dual_mul_f32 v23, v156, v85 :: v_dual_mul_f32 v25, v158, v87
	s_wait_loadcnt_dscnt 0x803
	v_dual_fma_f32 v45, v154, v82, -v57 :: v_dual_mul_f32 v17, v165, v93
	v_add_f32_e32 v7, v7, v19
	v_dual_add_f32 v9, v9, v47 :: v_dual_fma_f32 v43, v156, v84, -v43
	v_dual_mul_f32 v19, v167, v95 :: v_dual_fmac_f32 v23, v157, v84
	s_delay_alu instid0(VALU_DEP_3) | instskip(NEXT) | instid1(VALU_DEP_3)
	v_dual_add_f32 v7, v7, v21 :: v_dual_fma_f32 v11, v158, v86, -v11
	v_dual_add_f32 v9, v9, v45 :: v_dual_fmac_f32 v25, v159, v86
	v_dual_mul_f32 v27, v160, v89 :: v_dual_mul_f32 v29, v162, v91
	s_wait_loadcnt_dscnt 0x702
	s_delay_alu instid0(VALU_DEP_3) | instskip(NEXT) | instid1(VALU_DEP_3)
	v_dual_mul_f32 v21, v169, v97 :: v_dual_add_f32 v7, v7, v23
	v_dual_add_f32 v9, v9, v43 :: v_dual_fma_f32 v13, v160, v88, -v13
	s_delay_alu instid0(VALU_DEP_3) | instskip(NEXT) | instid1(VALU_DEP_2)
	v_dual_mul_f32 v23, v171, v99 :: v_dual_fmac_f32 v27, v161, v88
	v_dual_add_f32 v7, v7, v25 :: v_dual_add_f32 v9, v9, v11
	v_dual_mul_f32 v31, v164, v93 :: v_dual_mul_f32 v33, v166, v95
	s_wait_loadcnt_dscnt 0x601
	v_dual_mul_f32 v11, v173, v101 :: v_dual_fmac_f32 v29, v163, v90
	s_delay_alu instid0(VALU_DEP_3) | instskip(SKIP_2) | instid1(VALU_DEP_2)
	v_dual_fma_f32 v15, v162, v90, -v15 :: v_dual_add_f32 v7, v7, v27
	v_dual_add_f32 v9, v9, v13 :: v_dual_mul_f32 v13, v175, v103
	v_dual_fmac_f32 v31, v165, v92 :: v_dual_fma_f32 v17, v164, v92, -v17
	v_dual_add_f32 v7, v7, v29 :: v_dual_add_f32 v9, v9, v15
	v_dual_mul_f32 v35, v168, v97 :: v_dual_mul_f32 v37, v170, v99
	s_wait_loadcnt_dscnt 0x500
	v_dual_mul_f32 v15, v177, v105 :: v_dual_fmac_f32 v33, v167, v94
	s_delay_alu instid0(VALU_DEP_3) | instskip(SKIP_2) | instid1(VALU_DEP_2)
	v_dual_fma_f32 v19, v166, v94, -v19 :: v_dual_add_f32 v7, v7, v31
	v_dual_add_f32 v9, v9, v17 :: v_dual_mul_f32 v17, v179, v107
	v_dual_fmac_f32 v35, v169, v96 :: v_dual_fma_f32 v21, v168, v96, -v21
	v_dual_add_f32 v7, v7, v33 :: v_dual_add_f32 v9, v9, v19
	v_dual_mul_f32 v39, v172, v101 :: v_dual_mul_f32 v41, v174, v103
	v_dual_fmac_f32 v37, v171, v98 :: v_dual_fma_f32 v19, v170, v98, -v23
	s_delay_alu instid0(VALU_DEP_3) | instskip(SKIP_1) | instid1(VALU_DEP_3)
	v_dual_add_f32 v7, v7, v35 :: v_dual_add_f32 v9, v9, v21
	s_wait_loadcnt 0x4
	v_dual_mov_b32 v70, v111 :: v_dual_fmac_f32 v39, v173, v100
	s_delay_alu instid0(VALU_DEP_2) | instskip(NEXT) | instid1(VALU_DEP_3)
	v_dual_fma_f32 v11, v172, v100, -v11 :: v_dual_add_f32 v7, v7, v37
	v_dual_add_f32 v9, v9, v19 :: v_dual_fmac_f32 v41, v175, v102
	v_dual_mul_f32 v191, v176, v105 :: v_dual_mul_f32 v193, v178, v107
	s_delay_alu instid0(VALU_DEP_3) | instskip(SKIP_1) | instid1(VALU_DEP_3)
	v_dual_fma_f32 v13, v174, v102, -v13 :: v_dual_add_f32 v7, v7, v39
	s_wait_loadcnt 0x3
	v_dual_add_f32 v9, v9, v11 :: v_dual_mov_b32 v74, v115
	v_pk_mul_f32 v[68:69], v[124:125], v[108:109] op_sel:[1,1] op_sel_hi:[0,1]
	s_delay_alu instid0(VALU_DEP_3) | instskip(NEXT) | instid1(VALU_DEP_3)
	v_dual_fmac_f32 v191, v177, v104 :: v_dual_add_f32 v77, v7, v41
	v_dual_fma_f32 v190, v176, v104, -v15 :: v_dual_add_f32 v76, v9, v13
	v_fmac_f32_e32 v193, v179, v106
	s_delay_alu instid0(VALU_DEP_4)
	v_pk_fma_f32 v[78:79], v[124:125], v[108:109], v[68:69] op_sel_hi:[1,0,1]
	v_fma_f32 v192, v178, v106, -v17
	v_pk_mul_f32 v[70:71], v[182:183], v[70:71] op_sel_hi:[1,0]
	v_pk_add_f32 v[76:77], v[76:77], v[190:191]
	v_pk_fma_f32 v[68:69], v[124:125], v[108:109], v[68:69] neg_lo:[0,0,1] neg_hi:[0,0,1]
	v_pk_mul_f32 v[72:73], v[128:129], v[112:113] op_sel:[1,1] op_sel_hi:[0,1]
	v_mov_b32_e32 v69, v79
	v_pk_fma_f32 v[78:79], v[126:127], v[110:111], v[70:71] op_sel_hi:[1,0,1]
	v_pk_add_f32 v[76:77], v[76:77], v[192:193]
	v_pk_fma_f32 v[70:71], v[126:127], v[110:111], v[70:71] neg_lo:[0,0,1] neg_hi:[0,0,1]
	v_pk_fma_f32 v[82:83], v[128:129], v[112:113], v[72:73] op_sel_hi:[1,0,1]
	v_pk_mul_f32 v[74:75], v[184:185], v[74:75] op_sel_hi:[1,0]
	v_mov_b32_e32 v71, v79
	v_pk_add_f32 v[68:69], v[76:77], v[68:69]
	s_wait_loadcnt 0x2
	v_pk_mul_f32 v[80:81], v[132:133], v[116:117] op_sel:[1,1] op_sel_hi:[0,1]
	v_mov_b32_e32 v76, v119
	v_pk_fma_f32 v[72:73], v[128:129], v[112:113], v[72:73] neg_lo:[0,0,1] neg_hi:[0,0,1]
	v_pk_fma_f32 v[78:79], v[130:131], v[114:115], v[74:75] op_sel_hi:[1,0,1]
	v_mov_b32_e32 v73, v83
	v_pk_add_f32 v[68:69], v[68:69], v[70:71]
	v_pk_fma_f32 v[70:71], v[132:133], v[116:117], v[80:81] op_sel_hi:[1,0,1]
	v_pk_mul_f32 v[76:77], v[186:187], v[76:77] op_sel_hi:[1,0]
	v_pk_fma_f32 v[74:75], v[130:131], v[114:115], v[74:75] neg_lo:[0,0,1] neg_hi:[0,0,1]
	v_mov_b32_e32 v75, v79
	v_pk_add_f32 v[68:69], v[68:69], v[72:73]
	v_pk_fma_f32 v[78:79], v[132:133], v[116:117], v[80:81] neg_lo:[0,0,1] neg_hi:[0,0,1]
	v_mov_b32_e32 v79, v71
	v_pk_fma_f32 v[70:71], v[134:135], v[118:119], v[76:77] op_sel_hi:[1,0,1]
	s_wait_loadcnt 0x1
	v_pk_mul_f32 v[72:73], v[136:137], v[120:121] op_sel:[1,1] op_sel_hi:[0,1]
	v_pk_add_f32 v[68:69], v[68:69], v[74:75]
	v_mov_b32_e32 v70, v123
	v_pk_fma_f32 v[76:77], v[134:135], v[118:119], v[76:77] neg_lo:[0,0,1] neg_hi:[0,0,1]
	s_delay_alu instid0(VALU_DEP_4)
	v_pk_fma_f32 v[74:75], v[136:137], v[120:121], v[72:73] op_sel_hi:[1,0,1]
	v_mov_b32_e32 v77, v71
	v_pk_add_f32 v[68:69], v[68:69], v[78:79]
	v_pk_mul_f32 v[70:71], v[188:189], v[70:71] op_sel_hi:[1,0]
	v_pk_fma_f32 v[72:73], v[136:137], v[120:121], v[72:73] neg_lo:[0,0,1] neg_hi:[0,0,1]
	v_mov_b32_e32 v73, v75
	s_delay_alu instid0(VALU_DEP_4) | instskip(NEXT) | instid1(VALU_DEP_4)
	v_pk_add_f32 v[68:69], v[68:69], v[76:77]
	v_pk_fma_f32 v[74:75], v[138:139], v[122:123], v[70:71] op_sel_hi:[1,0,1]
	v_pk_fma_f32 v[70:71], v[138:139], v[122:123], v[70:71] neg_lo:[0,0,1] neg_hi:[0,0,1]
	s_delay_alu instid0(VALU_DEP_3) | instskip(NEXT) | instid1(VALU_DEP_3)
	v_pk_add_f32 v[68:69], v[68:69], v[72:73]
	v_mov_b32_e32 v71, v75
	s_delay_alu instid0(VALU_DEP_1) | instskip(SKIP_1) | instid1(VALU_DEP_1)
	v_pk_add_f32 v[68:69], v[68:69], v[70:71]
	s_wait_loadcnt 0x0
	v_pk_add_f32 v[68:69], v[180:181], v[68:69] neg_lo:[0,1] neg_hi:[0,1]
	scratch_store_b64 off, v[68:69], off offset:32
	s_wait_xcnt 0x0
	v_cmpx_lt_u32_e32 3, v0
	s_cbranch_execz .LBB96_205
; %bb.204:
	scratch_load_b64 v[68:69], off, off offset:24
	v_mov_b64_e32 v[70:71], 0
	scratch_store_b64 off, v[70:71], off offset:24
	s_wait_loadcnt 0x0
	ds_store_b64 v1, v[68:69]
.LBB96_205:
	s_wait_xcnt 0x0
	s_or_b32 exec_lo, exec_lo, s0
	s_wait_storecnt_dscnt 0x0
	s_barrier_signal -1
	s_barrier_wait -1
	s_clause 0xf
	scratch_load_b128 v[68:71], off, off offset:32
	scratch_load_b128 v[72:75], off, off offset:48
	;; [unrolled: 1-line block ×14, first 2 shown]
	scratch_load_b64 v[180:181], off, off offset:256
	scratch_load_b64 v[182:183], off, off offset:24
	v_mov_b32_e32 v7, 0
	ds_load_b128 v[124:127], v7 offset:464
	ds_load_b128 v[128:131], v7 offset:480
	;; [unrolled: 1-line block ×14, first 2 shown]
	ds_load_b64 v[184:185], v7 offset:528
	s_mov_b32 s0, exec_lo
	s_wait_dscnt 0xe
	v_dual_mov_b32 v186, v127 :: v_dual_mov_b32 v187, v126
	s_wait_dscnt 0xb
	v_dual_mov_b32 v188, v131 :: v_dual_mov_b32 v193, v138
	v_dual_mov_b32 v189, v130 :: v_dual_mov_b32 v190, v135
	;; [unrolled: 1-line block ×3, first 2 shown]
	s_wait_loadcnt_dscnt 0xf0a
	v_dual_mul_f32 v9, v140, v69 :: v_dual_mul_f32 v47, v141, v69
	v_dual_mul_f32 v49, v143, v71 :: v_dual_mul_f32 v11, v142, v71
	s_wait_loadcnt_dscnt 0xe09
	v_mul_f32_e32 v13, v144, v73
	s_wait_loadcnt_dscnt 0xc07
	v_dual_mul_f32 v59, v153, v81 :: v_dual_fma_f32 v47, v140, v68, -v47
	v_dual_fmac_f32 v9, v141, v68 :: v_dual_mul_f32 v61, v155, v83
	v_dual_mul_f32 v51, v145, v73 :: v_dual_mul_f32 v53, v147, v75
	v_dual_fmac_f32 v11, v143, v70 :: v_dual_fma_f32 v49, v142, v70, -v49
	s_delay_alu instid0(VALU_DEP_3) | instskip(SKIP_4) | instid1(VALU_DEP_3)
	v_dual_add_f32 v9, 0, v9 :: v_dual_add_f32 v47, 0, v47
	v_dual_mul_f32 v15, v146, v75 :: v_dual_mul_f32 v17, v148, v77
	s_wait_loadcnt_dscnt 0xb06
	v_dual_mul_f32 v63, v157, v85 :: v_dual_fma_f32 v51, v144, v72, -v51
	v_fmac_f32_e32 v13, v145, v72
	v_dual_add_f32 v9, v9, v11 :: v_dual_fmac_f32 v15, v147, v74
	v_add_f32_e32 v11, v47, v49
	v_dual_mul_f32 v55, v149, v77 :: v_dual_mul_f32 v57, v151, v79
	v_dual_mul_f32 v47, v159, v87 :: v_dual_fma_f32 v49, v146, v74, -v53
	s_delay_alu instid0(VALU_DEP_3) | instskip(SKIP_3) | instid1(VALU_DEP_3)
	v_dual_add_f32 v9, v9, v13 :: v_dual_add_f32 v11, v11, v51
	v_dual_mul_f32 v19, v150, v79 :: v_dual_mul_f32 v21, v152, v81
	s_wait_loadcnt_dscnt 0xa05
	v_dual_mul_f32 v13, v161, v89 :: v_dual_fma_f32 v51, v148, v76, -v55
	v_dual_fmac_f32 v17, v149, v76 :: v_dual_add_f32 v11, v11, v49
	s_delay_alu instid0(VALU_DEP_3) | instskip(SKIP_1) | instid1(VALU_DEP_2)
	v_dual_add_f32 v9, v9, v15 :: v_dual_fmac_f32 v19, v151, v78
	v_dual_mul_f32 v15, v163, v91 :: v_dual_fma_f32 v49, v150, v78, -v57
	v_dual_add_f32 v11, v11, v51 :: v_dual_add_f32 v9, v9, v17
	v_dual_mul_f32 v23, v154, v83 :: v_dual_mul_f32 v25, v156, v85
	s_wait_loadcnt_dscnt 0x904
	v_dual_mul_f32 v17, v165, v93 :: v_dual_fma_f32 v51, v152, v80, -v59
	s_delay_alu instid0(VALU_DEP_3) | instskip(NEXT) | instid1(VALU_DEP_3)
	v_dual_fmac_f32 v21, v153, v80 :: v_dual_add_f32 v11, v11, v49
	v_dual_add_f32 v9, v9, v19 :: v_dual_fmac_f32 v23, v155, v82
	v_dual_mul_f32 v19, v167, v95 :: v_dual_fma_f32 v49, v154, v82, -v61
	s_delay_alu instid0(VALU_DEP_2) | instskip(SKIP_3) | instid1(VALU_DEP_3)
	v_dual_add_f32 v11, v11, v51 :: v_dual_add_f32 v9, v9, v21
	v_dual_mul_f32 v27, v158, v87 :: v_dual_mul_f32 v29, v160, v89
	s_wait_loadcnt_dscnt 0x803
	v_dual_mul_f32 v21, v169, v97 :: v_dual_fma_f32 v51, v156, v84, -v63
	v_dual_fmac_f32 v25, v157, v84 :: v_dual_add_f32 v11, v11, v49
	s_delay_alu instid0(VALU_DEP_3) | instskip(SKIP_1) | instid1(VALU_DEP_2)
	v_dual_add_f32 v9, v9, v23 :: v_dual_fmac_f32 v27, v159, v86
	v_dual_mul_f32 v23, v171, v99 :: v_dual_fma_f32 v47, v158, v86, -v47
	v_dual_add_f32 v11, v11, v51 :: v_dual_add_f32 v9, v9, v25
	v_dual_mul_f32 v31, v162, v91 :: v_dual_mul_f32 v33, v164, v93
	s_wait_loadcnt_dscnt 0x702
	v_dual_mul_f32 v25, v173, v101 :: v_dual_fma_f32 v13, v160, v88, -v13
	s_delay_alu instid0(VALU_DEP_3) | instskip(NEXT) | instid1(VALU_DEP_3)
	v_dual_fmac_f32 v29, v161, v88 :: v_dual_add_f32 v11, v11, v47
	v_dual_add_f32 v9, v9, v27 :: v_dual_fmac_f32 v31, v163, v90
	v_dual_mul_f32 v27, v175, v103 :: v_dual_fma_f32 v15, v162, v90, -v15
	s_delay_alu instid0(VALU_DEP_3) | instskip(NEXT) | instid1(VALU_DEP_3)
	v_dual_add_f32 v11, v11, v13 :: v_dual_fmac_f32 v33, v165, v92
	v_dual_add_f32 v9, v9, v29 :: v_dual_fma_f32 v17, v164, v92, -v17
	v_dual_mul_f32 v35, v166, v95 :: v_dual_mul_f32 v37, v168, v97
	s_wait_loadcnt_dscnt 0x601
	s_delay_alu instid0(VALU_DEP_3) | instskip(NEXT) | instid1(VALU_DEP_2)
	v_dual_mul_f32 v13, v177, v105 :: v_dual_add_f32 v11, v11, v15
	v_dual_add_f32 v9, v9, v31 :: v_dual_fmac_f32 v35, v167, v94
	v_dual_mul_f32 v15, v179, v107 :: v_dual_fma_f32 v19, v166, v94, -v19
	s_delay_alu instid0(VALU_DEP_3) | instskip(NEXT) | instid1(VALU_DEP_3)
	v_dual_add_f32 v11, v11, v17 :: v_dual_fmac_f32 v37, v169, v96
	v_dual_add_f32 v9, v9, v33 :: v_dual_fma_f32 v21, v168, v96, -v21
	v_dual_mul_f32 v39, v170, v99 :: v_dual_mul_f32 v41, v172, v101
	s_wait_loadcnt 0x5
	s_delay_alu instid0(VALU_DEP_3) | instskip(NEXT) | instid1(VALU_DEP_3)
	v_dual_mul_f32 v17, v125, v109 :: v_dual_add_f32 v11, v11, v19
	v_dual_add_f32 v9, v9, v35 :: v_dual_mov_b32 v68, v111
	s_delay_alu instid0(VALU_DEP_3) | instskip(NEXT) | instid1(VALU_DEP_3)
	v_fmac_f32_e32 v39, v171, v98
	v_dual_fma_f32 v19, v170, v98, -v23 :: v_dual_add_f32 v11, v11, v21
	s_delay_alu instid0(VALU_DEP_3) | instskip(SKIP_1) | instid1(VALU_DEP_3)
	v_dual_add_f32 v9, v9, v37 :: v_dual_mul_f32 v43, v174, v103
	v_dual_mul_f32 v45, v176, v105 :: v_dual_fmac_f32 v41, v173, v100
	v_dual_add_f32 v11, v11, v19 :: v_dual_fma_f32 v21, v172, v100, -v25
	s_wait_loadcnt 0x4
	s_delay_alu instid0(VALU_DEP_3) | instskip(SKIP_3) | instid1(VALU_DEP_4)
	v_dual_add_f32 v9, v9, v39 :: v_dual_mov_b32 v72, v115
	v_fma_f32 v19, v174, v102, -v27
	v_fmac_f32_e32 v43, v175, v102
	v_dual_add_f32 v11, v11, v21 :: v_dual_fmac_f32 v45, v177, v104
	v_dual_add_f32 v9, v9, v41 :: v_dual_mul_f32 v195, v178, v107
	v_mul_f32_e32 v197, v124, v109
	s_delay_alu instid0(VALU_DEP_3) | instskip(NEXT) | instid1(VALU_DEP_3)
	v_dual_fma_f32 v13, v176, v104, -v13 :: v_dual_add_f32 v11, v11, v19
	v_dual_fma_f32 v194, v178, v106, -v15 :: v_dual_add_f32 v9, v9, v43
	s_delay_alu instid0(VALU_DEP_4) | instskip(SKIP_1) | instid1(VALU_DEP_4)
	v_fmac_f32_e32 v195, v179, v106
	v_pk_mul_f32 v[68:69], v[186:187], v[68:69] op_sel_hi:[1,0]
	v_dual_add_f32 v76, v11, v13 :: v_dual_fmac_f32 v197, v125, v108
	s_delay_alu instid0(VALU_DEP_4)
	v_add_f32_e32 v77, v9, v45
	v_pk_mul_f32 v[70:71], v[128:129], v[112:113] op_sel:[1,1] op_sel_hi:[0,1]
	s_wait_loadcnt 0x3
	v_dual_mov_b32 v78, v119 :: v_dual_fma_f32 v196, v124, v108, -v17
	v_pk_fma_f32 v[80:81], v[126:127], v[110:111], v[68:69] op_sel_hi:[1,0,1]
	v_pk_add_f32 v[76:77], v[76:77], v[194:195]
	v_pk_fma_f32 v[68:69], v[126:127], v[110:111], v[68:69] neg_lo:[0,0,1] neg_hi:[0,0,1]
	v_pk_fma_f32 v[82:83], v[128:129], v[112:113], v[70:71] op_sel_hi:[1,0,1]
	v_pk_mul_f32 v[72:73], v[188:189], v[72:73] op_sel_hi:[1,0]
	v_mov_b32_e32 v69, v81
	v_pk_add_f32 v[76:77], v[76:77], v[196:197]
	v_pk_fma_f32 v[70:71], v[128:129], v[112:113], v[70:71] neg_lo:[0,0,1] neg_hi:[0,0,1]
	v_pk_mul_f32 v[74:75], v[132:133], v[116:117] op_sel:[1,1] op_sel_hi:[0,1]
	v_mov_b32_e32 v71, v83
	v_pk_fma_f32 v[82:83], v[130:131], v[114:115], v[72:73] op_sel_hi:[1,0,1]
	v_pk_add_f32 v[68:69], v[76:77], v[68:69]
	v_pk_fma_f32 v[72:73], v[130:131], v[114:115], v[72:73] neg_lo:[0,0,1] neg_hi:[0,0,1]
	v_pk_fma_f32 v[76:77], v[132:133], v[116:117], v[74:75] op_sel_hi:[1,0,1]
	v_pk_mul_f32 v[78:79], v[190:191], v[78:79] op_sel_hi:[1,0]
	v_mov_b32_e32 v73, v83
	v_pk_add_f32 v[68:69], v[68:69], v[70:71]
	v_pk_fma_f32 v[74:75], v[132:133], v[116:117], v[74:75] neg_lo:[0,0,1] neg_hi:[0,0,1]
	s_wait_loadcnt 0x2
	v_pk_mul_f32 v[80:81], v[136:137], v[120:121] op_sel:[1,1] op_sel_hi:[0,1]
	v_dual_mov_b32 v70, v123 :: v_dual_mov_b32 v75, v77
	v_pk_fma_f32 v[76:77], v[134:135], v[118:119], v[78:79] op_sel_hi:[1,0,1]
	v_pk_add_f32 v[68:69], v[68:69], v[72:73]
	v_pk_fma_f32 v[78:79], v[134:135], v[118:119], v[78:79] neg_lo:[0,0,1] neg_hi:[0,0,1]
	v_pk_fma_f32 v[72:73], v[136:137], v[120:121], v[80:81] op_sel_hi:[1,0,1]
	v_pk_mul_f32 v[70:71], v[192:193], v[70:71] op_sel_hi:[1,0]
	v_mov_b32_e32 v79, v77
	v_pk_add_f32 v[68:69], v[68:69], v[74:75]
	v_pk_fma_f32 v[74:75], v[136:137], v[120:121], v[80:81] neg_lo:[0,0,1] neg_hi:[0,0,1]
	v_mov_b32_e32 v75, v73
	v_pk_fma_f32 v[72:73], v[138:139], v[122:123], v[70:71] op_sel_hi:[1,0,1]
	s_wait_loadcnt_dscnt 0x100
	v_pk_mul_f32 v[76:77], v[184:185], v[180:181] op_sel:[1,1] op_sel_hi:[0,1]
	v_pk_add_f32 v[68:69], v[68:69], v[78:79]
	v_pk_fma_f32 v[70:71], v[138:139], v[122:123], v[70:71] neg_lo:[0,0,1] neg_hi:[0,0,1]
	v_mov_b32_e32 v71, v73
	s_delay_alu instid0(VALU_DEP_4) | instskip(NEXT) | instid1(VALU_DEP_4)
	v_pk_fma_f32 v[72:73], v[184:185], v[180:181], v[76:77] op_sel_hi:[1,0,1]
	v_pk_add_f32 v[68:69], v[68:69], v[74:75]
	v_pk_fma_f32 v[74:75], v[184:185], v[180:181], v[76:77] neg_lo:[0,0,1] neg_hi:[0,0,1]
	s_delay_alu instid0(VALU_DEP_3) | instskip(NEXT) | instid1(VALU_DEP_3)
	v_mov_b32_e32 v75, v73
	v_pk_add_f32 v[68:69], v[68:69], v[70:71]
	s_delay_alu instid0(VALU_DEP_1) | instskip(SKIP_1) | instid1(VALU_DEP_1)
	v_pk_add_f32 v[68:69], v[68:69], v[74:75]
	s_wait_loadcnt 0x0
	v_pk_add_f32 v[68:69], v[182:183], v[68:69] neg_lo:[0,1] neg_hi:[0,1]
	scratch_store_b64 off, v[68:69], off offset:24
	s_wait_xcnt 0x0
	v_cmpx_lt_u32_e32 2, v0
	s_cbranch_execz .LBB96_207
; %bb.206:
	scratch_load_b64 v[68:69], off, off offset:16
	v_mov_b64_e32 v[70:71], 0
	scratch_store_b64 off, v[70:71], off offset:16
	s_wait_loadcnt 0x0
	ds_store_b64 v1, v[68:69]
.LBB96_207:
	s_wait_xcnt 0x0
	s_or_b32 exec_lo, exec_lo, s0
	s_wait_storecnt_dscnt 0x0
	s_barrier_signal -1
	s_barrier_wait -1
	s_clause 0xf
	scratch_load_b128 v[68:71], off, off offset:24
	scratch_load_b128 v[72:75], off, off offset:40
	;; [unrolled: 1-line block ×15, first 2 shown]
	scratch_load_b64 v[188:189], off, off offset:16
	ds_load_2addr_b64 v[128:131], v7 offset0:59 offset1:60
	ds_load_2addr_b64 v[132:135], v7 offset0:61 offset1:62
	;; [unrolled: 1-line block ×15, first 2 shown]
	s_mov_b32 s0, exec_lo
	s_wait_dscnt 0xe
	v_dual_mov_b32 v190, v131 :: v_dual_mov_b32 v191, v130
	s_wait_dscnt 0xd
	v_dual_mov_b32 v192, v135 :: v_dual_mov_b32 v193, v134
	;; [unrolled: 2-line block ×4, first 2 shown]
	s_wait_loadcnt_dscnt 0xf0a
	v_dual_mul_f32 v7, v144, v69 :: v_dual_mul_f32 v9, v146, v71
	v_dual_mul_f32 v47, v145, v69 :: v_dual_mul_f32 v49, v147, v71
	s_wait_loadcnt_dscnt 0xe09
	v_dual_mul_f32 v11, v148, v73 :: v_dual_mul_f32 v13, v150, v75
	s_delay_alu instid0(VALU_DEP_3) | instskip(SKIP_3) | instid1(VALU_DEP_3)
	v_dual_fmac_f32 v7, v145, v68 :: v_dual_fmac_f32 v9, v147, v70
	s_wait_loadcnt_dscnt 0xc06
	v_dual_fma_f32 v47, v144, v68, -v47 :: v_dual_mul_f32 v59, v161, v81
	v_dual_mul_f32 v51, v149, v73 :: v_dual_mul_f32 v53, v151, v75
	v_dual_fma_f32 v49, v146, v70, -v49 :: v_dual_add_f32 v7, 0, v7
	s_delay_alu instid0(VALU_DEP_3) | instskip(SKIP_1) | instid1(VALU_DEP_4)
	v_dual_add_f32 v47, 0, v47 :: v_dual_fmac_f32 v11, v149, v72
	v_dual_mul_f32 v15, v156, v77 :: v_dual_mul_f32 v17, v158, v79
	v_dual_mul_f32 v61, v163, v83 :: v_dual_fma_f32 v51, v148, v72, -v51
	s_delay_alu instid0(VALU_DEP_4) | instskip(NEXT) | instid1(VALU_DEP_3)
	v_add_f32_e32 v7, v7, v9
	v_dual_add_f32 v9, v47, v49 :: v_dual_fmac_f32 v15, v157, v76
	v_dual_mul_f32 v55, v157, v77 :: v_dual_mul_f32 v57, v159, v79
	s_wait_loadcnt_dscnt 0xb05
	v_dual_mul_f32 v47, v165, v85 :: v_dual_fmac_f32 v13, v151, v74
	v_dual_fma_f32 v49, v150, v74, -v53 :: v_dual_add_f32 v7, v7, v11
	s_delay_alu instid0(VALU_DEP_3) | instskip(SKIP_1) | instid1(VALU_DEP_3)
	v_dual_add_f32 v9, v9, v51 :: v_dual_fma_f32 v51, v156, v76, -v55
	v_dual_mul_f32 v19, v160, v81 :: v_dual_mul_f32 v21, v162, v83
	v_add_f32_e32 v7, v7, v13
	s_delay_alu instid0(VALU_DEP_3) | instskip(SKIP_2) | instid1(VALU_DEP_3)
	v_dual_mul_f32 v11, v167, v87 :: v_dual_add_f32 v9, v9, v49
	s_wait_loadcnt_dscnt 0xa04
	v_dual_mul_f32 v13, v169, v89 :: v_dual_fmac_f32 v17, v159, v78
	v_dual_fma_f32 v49, v158, v78, -v57 :: v_dual_add_f32 v7, v7, v15
	s_delay_alu instid0(VALU_DEP_3) | instskip(SKIP_1) | instid1(VALU_DEP_3)
	v_dual_add_f32 v9, v9, v51 :: v_dual_fma_f32 v51, v160, v80, -v59
	v_dual_mul_f32 v15, v171, v91 :: v_dual_fmac_f32 v19, v161, v80
	v_add_f32_e32 v7, v7, v17
	s_delay_alu instid0(VALU_DEP_3)
	v_dual_add_f32 v9, v9, v49 :: v_dual_fmac_f32 v21, v163, v82
	v_dual_mul_f32 v23, v164, v85 :: v_dual_mul_f32 v25, v166, v87
	s_wait_loadcnt_dscnt 0x903
	v_dual_fma_f32 v49, v162, v82, -v61 :: v_dual_mul_f32 v17, v173, v93
	v_add_f32_e32 v7, v7, v19
	v_dual_add_f32 v9, v9, v51 :: v_dual_fma_f32 v47, v164, v84, -v47
	v_dual_mul_f32 v19, v175, v95 :: v_dual_fmac_f32 v23, v165, v84
	s_delay_alu instid0(VALU_DEP_3) | instskip(NEXT) | instid1(VALU_DEP_3)
	v_dual_add_f32 v7, v7, v21 :: v_dual_fma_f32 v11, v166, v86, -v11
	v_dual_add_f32 v9, v9, v49 :: v_dual_fmac_f32 v25, v167, v86
	v_dual_mul_f32 v27, v168, v89 :: v_dual_mul_f32 v29, v170, v91
	s_wait_loadcnt_dscnt 0x802
	s_delay_alu instid0(VALU_DEP_3) | instskip(NEXT) | instid1(VALU_DEP_3)
	v_dual_mul_f32 v21, v177, v97 :: v_dual_add_f32 v7, v7, v23
	v_dual_add_f32 v9, v9, v47 :: v_dual_fma_f32 v13, v168, v88, -v13
	s_delay_alu instid0(VALU_DEP_3) | instskip(NEXT) | instid1(VALU_DEP_2)
	v_dual_mul_f32 v23, v179, v99 :: v_dual_fmac_f32 v27, v169, v88
	v_dual_add_f32 v7, v7, v25 :: v_dual_add_f32 v9, v9, v11
	v_dual_mul_f32 v31, v172, v93 :: v_dual_mul_f32 v33, v174, v95
	s_wait_loadcnt_dscnt 0x701
	v_dual_mul_f32 v11, v181, v101 :: v_dual_fmac_f32 v29, v171, v90
	s_delay_alu instid0(VALU_DEP_3) | instskip(SKIP_2) | instid1(VALU_DEP_2)
	v_dual_fma_f32 v15, v170, v90, -v15 :: v_dual_add_f32 v7, v7, v27
	v_dual_add_f32 v9, v9, v13 :: v_dual_mul_f32 v13, v183, v103
	v_dual_fmac_f32 v31, v173, v92 :: v_dual_fma_f32 v17, v172, v92, -v17
	v_dual_add_f32 v7, v7, v29 :: v_dual_add_f32 v9, v9, v15
	v_dual_mul_f32 v35, v176, v97 :: v_dual_mul_f32 v37, v178, v99
	s_wait_loadcnt_dscnt 0x600
	v_dual_mul_f32 v15, v185, v105 :: v_dual_fmac_f32 v33, v175, v94
	s_delay_alu instid0(VALU_DEP_3) | instskip(SKIP_2) | instid1(VALU_DEP_2)
	v_dual_fma_f32 v19, v174, v94, -v19 :: v_dual_add_f32 v7, v7, v31
	v_dual_add_f32 v9, v9, v17 :: v_dual_mul_f32 v17, v187, v107
	v_dual_fmac_f32 v35, v177, v96 :: v_dual_fma_f32 v21, v176, v96, -v21
	v_dual_add_f32 v7, v7, v33 :: v_dual_add_f32 v9, v9, v19
	v_dual_mul_f32 v39, v180, v101 :: v_dual_mul_f32 v41, v182, v103
	s_wait_loadcnt 0x5
	v_dual_mul_f32 v19, v153, v109 :: v_dual_fmac_f32 v37, v179, v98
	s_delay_alu instid0(VALU_DEP_3) | instskip(SKIP_2) | instid1(VALU_DEP_3)
	v_dual_fma_f32 v23, v178, v98, -v23 :: v_dual_add_f32 v7, v7, v35
	v_dual_add_f32 v9, v9, v21 :: v_dual_mul_f32 v21, v155, v111
	v_fmac_f32_e32 v39, v181, v100
	v_dual_fma_f32 v11, v180, v100, -v11 :: v_dual_add_f32 v7, v7, v37
	s_delay_alu instid0(VALU_DEP_3) | instskip(SKIP_1) | instid1(VALU_DEP_3)
	v_dual_add_f32 v9, v9, v23 :: v_dual_mul_f32 v43, v184, v105
	v_dual_mul_f32 v45, v186, v107 :: v_dual_fmac_f32 v41, v183, v102
	v_dual_fma_f32 v13, v182, v102, -v13 :: v_dual_add_f32 v7, v7, v39
	s_wait_loadcnt 0x4
	s_delay_alu instid0(VALU_DEP_3) | instskip(SKIP_1) | instid1(VALU_DEP_3)
	v_dual_add_f32 v9, v9, v11 :: v_dual_mov_b32 v70, v115
	v_fmac_f32_e32 v43, v185, v104
	v_dual_fma_f32 v11, v184, v104, -v15 :: v_dual_add_f32 v7, v7, v41
	s_delay_alu instid0(VALU_DEP_3) | instskip(SKIP_1) | instid1(VALU_DEP_3)
	v_dual_add_f32 v9, v9, v13 :: v_dual_fmac_f32 v45, v187, v106
	v_dual_mul_f32 v199, v152, v109 :: v_dual_mul_f32 v201, v154, v111
	v_dual_fma_f32 v13, v186, v106, -v17 :: v_dual_add_f32 v7, v7, v43
	s_wait_loadcnt 0x3
	s_delay_alu instid0(VALU_DEP_3) | instskip(SKIP_1) | instid1(VALU_DEP_3)
	v_dual_add_f32 v9, v9, v11 :: v_dual_mov_b32 v74, v119
	v_pk_mul_f32 v[68:69], v[128:129], v[112:113] op_sel:[1,1] op_sel_hi:[0,1]
	v_dual_fmac_f32 v199, v153, v108 :: v_dual_add_f32 v77, v7, v45
	s_delay_alu instid0(VALU_DEP_3) | instskip(SKIP_1) | instid1(VALU_DEP_4)
	v_dual_fma_f32 v198, v152, v108, -v19 :: v_dual_add_f32 v76, v9, v13
	v_fmac_f32_e32 v201, v155, v110
	v_pk_fma_f32 v[78:79], v[128:129], v[112:113], v[68:69] op_sel_hi:[1,0,1]
	v_fma_f32 v200, v154, v110, -v21
	v_pk_mul_f32 v[70:71], v[190:191], v[70:71] op_sel_hi:[1,0]
	v_pk_add_f32 v[76:77], v[76:77], v[198:199]
	v_pk_fma_f32 v[68:69], v[128:129], v[112:113], v[68:69] neg_lo:[0,0,1] neg_hi:[0,0,1]
	v_pk_mul_f32 v[72:73], v[132:133], v[116:117] op_sel:[1,1] op_sel_hi:[0,1]
	v_mov_b32_e32 v69, v79
	v_pk_fma_f32 v[78:79], v[130:131], v[114:115], v[70:71] op_sel_hi:[1,0,1]
	v_pk_add_f32 v[76:77], v[76:77], v[200:201]
	v_pk_fma_f32 v[70:71], v[130:131], v[114:115], v[70:71] neg_lo:[0,0,1] neg_hi:[0,0,1]
	v_pk_fma_f32 v[82:83], v[132:133], v[116:117], v[72:73] op_sel_hi:[1,0,1]
	v_pk_mul_f32 v[74:75], v[192:193], v[74:75] op_sel_hi:[1,0]
	v_mov_b32_e32 v71, v79
	v_pk_add_f32 v[68:69], v[76:77], v[68:69]
	s_wait_loadcnt 0x2
	v_pk_mul_f32 v[80:81], v[136:137], v[120:121] op_sel:[1,1] op_sel_hi:[0,1]
	v_mov_b32_e32 v76, v123
	v_pk_fma_f32 v[72:73], v[132:133], v[116:117], v[72:73] neg_lo:[0,0,1] neg_hi:[0,0,1]
	v_pk_fma_f32 v[78:79], v[134:135], v[118:119], v[74:75] op_sel_hi:[1,0,1]
	v_mov_b32_e32 v73, v83
	v_pk_add_f32 v[68:69], v[68:69], v[70:71]
	v_pk_fma_f32 v[70:71], v[136:137], v[120:121], v[80:81] op_sel_hi:[1,0,1]
	v_pk_mul_f32 v[76:77], v[194:195], v[76:77] op_sel_hi:[1,0]
	v_pk_fma_f32 v[74:75], v[134:135], v[118:119], v[74:75] neg_lo:[0,0,1] neg_hi:[0,0,1]
	v_mov_b32_e32 v75, v79
	v_pk_add_f32 v[68:69], v[68:69], v[72:73]
	v_pk_fma_f32 v[78:79], v[136:137], v[120:121], v[80:81] neg_lo:[0,0,1] neg_hi:[0,0,1]
	v_mov_b32_e32 v79, v71
	v_pk_fma_f32 v[70:71], v[138:139], v[122:123], v[76:77] op_sel_hi:[1,0,1]
	s_wait_loadcnt 0x1
	v_pk_mul_f32 v[72:73], v[140:141], v[124:125] op_sel:[1,1] op_sel_hi:[0,1]
	v_pk_add_f32 v[68:69], v[68:69], v[74:75]
	v_mov_b32_e32 v70, v127
	v_pk_fma_f32 v[76:77], v[138:139], v[122:123], v[76:77] neg_lo:[0,0,1] neg_hi:[0,0,1]
	s_delay_alu instid0(VALU_DEP_4)
	v_pk_fma_f32 v[74:75], v[140:141], v[124:125], v[72:73] op_sel_hi:[1,0,1]
	v_mov_b32_e32 v77, v71
	v_pk_add_f32 v[68:69], v[68:69], v[78:79]
	v_pk_mul_f32 v[70:71], v[196:197], v[70:71] op_sel_hi:[1,0]
	v_pk_fma_f32 v[72:73], v[140:141], v[124:125], v[72:73] neg_lo:[0,0,1] neg_hi:[0,0,1]
	v_mov_b32_e32 v73, v75
	s_delay_alu instid0(VALU_DEP_4) | instskip(NEXT) | instid1(VALU_DEP_4)
	v_pk_add_f32 v[68:69], v[68:69], v[76:77]
	v_pk_fma_f32 v[74:75], v[142:143], v[126:127], v[70:71] op_sel_hi:[1,0,1]
	v_pk_fma_f32 v[70:71], v[142:143], v[126:127], v[70:71] neg_lo:[0,0,1] neg_hi:[0,0,1]
	s_delay_alu instid0(VALU_DEP_3) | instskip(NEXT) | instid1(VALU_DEP_3)
	v_pk_add_f32 v[68:69], v[68:69], v[72:73]
	v_mov_b32_e32 v71, v75
	s_delay_alu instid0(VALU_DEP_1) | instskip(SKIP_1) | instid1(VALU_DEP_1)
	v_pk_add_f32 v[68:69], v[68:69], v[70:71]
	s_wait_loadcnt 0x0
	v_pk_add_f32 v[68:69], v[188:189], v[68:69] neg_lo:[0,1] neg_hi:[0,1]
	scratch_store_b64 off, v[68:69], off offset:16
	s_wait_xcnt 0x0
	v_cmpx_lt_u32_e32 1, v0
	s_cbranch_execz .LBB96_209
; %bb.208:
	scratch_load_b64 v[68:69], off, off offset:8
	v_mov_b64_e32 v[70:71], 0
	scratch_store_b64 off, v[70:71], off offset:8
	s_wait_loadcnt 0x0
	ds_store_b64 v1, v[68:69]
.LBB96_209:
	s_wait_xcnt 0x0
	s_or_b32 exec_lo, exec_lo, s0
	s_wait_storecnt_dscnt 0x0
	s_barrier_signal -1
	s_barrier_wait -1
	s_clause 0x10
	scratch_load_b128 v[70:73], off, off offset:16
	scratch_load_b128 v[74:77], off, off offset:32
	;; [unrolled: 1-line block ×15, first 2 shown]
	scratch_load_b64 v[190:191], off, off offset:256
	scratch_load_b64 v[192:193], off, off offset:8
	v_dual_mov_b32 v68, 0 :: v_dual_ashrrev_i32 v19, 31, v18
	ds_load_b128 v[130:133], v68 offset:448
	ds_load_b128 v[134:137], v68 offset:464
	;; [unrolled: 1-line block ×15, first 2 shown]
	ds_load_b64 v[194:195], v68 offset:528
	v_dual_ashrrev_i32 v7, 31, v6 :: v_dual_ashrrev_i32 v9, 31, v8
	v_dual_ashrrev_i32 v11, 31, v10 :: v_dual_ashrrev_i32 v13, 31, v12
	;; [unrolled: 1-line block ×7, first 2 shown]
	s_wait_dscnt 0xe
	v_dual_mov_b32 v196, v137 :: v_dual_mov_b32 v197, v136
	s_wait_dscnt 0xd
	v_dual_mov_b32 v198, v141 :: v_dual_mov_b32 v199, v140
	;; [unrolled: 2-line block ×4, first 2 shown]
	v_dual_ashrrev_i32 v37, 31, v36 :: v_dual_ashrrev_i32 v39, 31, v38
	v_dual_ashrrev_i32 v41, 31, v40 :: v_dual_ashrrev_i32 v43, 31, v42
	s_mov_b32 s0, exec_lo
	s_wait_loadcnt 0x10
	v_dual_mul_f32 v45, v150, v71 :: v_dual_mul_f32 v47, v152, v73
	v_dual_mul_f32 v53, v151, v71 :: v_dual_mul_f32 v55, v153, v73
	s_wait_loadcnt_dscnt 0xe08
	v_dual_mul_f32 v61, v158, v79 :: v_dual_mul_f32 v63, v160, v81
	v_dual_mul_f32 v65, v159, v79 :: v_dual_mul_f32 v67, v161, v81
	s_wait_loadcnt_dscnt 0xc06
	v_dual_mul_f32 v81, v166, v87 :: v_dual_mul_f32 v87, v167, v87
	v_fma_f32 v53, v150, v70, -v53
	s_wait_loadcnt 0x6
	v_dual_mul_f32 v213, v130, v111 :: v_dual_fmac_f32 v45, v151, v70
	v_dual_mul_f32 v49, v154, v75 :: v_dual_mul_f32 v51, v156, v77
	v_dual_mul_f32 v57, v155, v75 :: v_dual_mul_f32 v59, v157, v77
	v_dual_mul_f32 v70, v169, v89 :: v_dual_fma_f32 v55, v152, v72, -v55
	s_delay_alu instid0(VALU_DEP_4) | instskip(NEXT) | instid1(VALU_DEP_4)
	v_dual_fmac_f32 v47, v153, v72 :: v_dual_add_f32 v45, 0, v45
	v_dual_add_f32 v53, 0, v53 :: v_dual_fmac_f32 v49, v155, v74
	s_delay_alu instid0(VALU_DEP_4) | instskip(NEXT) | instid1(VALU_DEP_3)
	v_dual_mul_f32 v71, v132, v113 :: v_dual_fma_f32 v57, v154, v74, -v57
	v_add_f32_e32 v45, v45, v47
	s_delay_alu instid0(VALU_DEP_3) | instskip(SKIP_2) | instid1(VALU_DEP_3)
	v_dual_add_f32 v47, v53, v55 :: v_dual_fmac_f32 v61, v159, v78
	s_wait_loadcnt 0x5
	v_dual_mul_f32 v73, v134, v115 :: v_dual_fmac_f32 v51, v157, v76
	v_dual_fma_f32 v53, v156, v76, -v59 :: v_dual_add_f32 v45, v45, v49
	s_wait_dscnt 0x5
	v_mul_f32_e32 v49, v171, v91
	v_dual_add_f32 v47, v47, v57 :: v_dual_fma_f32 v55, v158, v78, -v65
	v_dual_mul_f32 v69, v162, v83 :: v_dual_mul_f32 v75, v164, v85
	s_delay_alu instid0(VALU_DEP_2) | instskip(SKIP_2) | instid1(VALU_DEP_3)
	v_dual_add_f32 v45, v45, v51 :: v_dual_add_f32 v47, v47, v53
	v_dual_mul_f32 v77, v163, v83 :: v_dual_mul_f32 v79, v165, v85
	v_dual_mul_f32 v51, v173, v93 :: v_dual_fma_f32 v53, v160, v80, -v67
	v_dual_fmac_f32 v63, v161, v80 :: v_dual_add_f32 v47, v47, v55
	s_wait_dscnt 0x4
	v_dual_add_f32 v45, v45, v61 :: v_dual_mul_f32 v55, v175, v95
	v_fmac_f32_e32 v69, v163, v82
	s_delay_alu instid0(VALU_DEP_3) | instskip(NEXT) | instid1(VALU_DEP_3)
	v_dual_fma_f32 v57, v162, v82, -v77 :: v_dual_add_f32 v47, v47, v53
	v_add_f32_e32 v45, v45, v63
	v_dual_mul_f32 v53, v177, v97 :: v_dual_fma_f32 v59, v164, v84, -v79
	s_delay_alu instid0(VALU_DEP_3) | instskip(SKIP_1) | instid1(VALU_DEP_3)
	v_dual_fmac_f32 v75, v165, v84 :: v_dual_add_f32 v47, v47, v57
	s_wait_dscnt 0x3
	v_dual_add_f32 v45, v45, v69 :: v_dual_mul_f32 v57, v179, v99
	v_dual_mul_f32 v83, v168, v89 :: v_dual_fmac_f32 v81, v167, v86
	s_delay_alu instid0(VALU_DEP_2) | instskip(SKIP_2) | instid1(VALU_DEP_4)
	v_dual_fma_f32 v61, v166, v86, -v87 :: v_dual_add_f32 v45, v45, v75
	v_dual_fma_f32 v63, v168, v88, -v70 :: v_dual_add_f32 v47, v47, v59
	v_dual_mul_f32 v59, v181, v101 :: v_dual_mul_f32 v85, v170, v91
	v_dual_mul_f32 v204, v172, v93 :: v_dual_fmac_f32 v83, v169, v88
	s_delay_alu instid0(VALU_DEP_3) | instskip(SKIP_3) | instid1(VALU_DEP_3)
	v_add_f32_e32 v47, v47, v61
	s_wait_dscnt 0x2
	v_dual_add_f32 v45, v45, v81 :: v_dual_mul_f32 v61, v183, v103
	v_fmac_f32_e32 v85, v171, v90
	v_dual_fma_f32 v49, v170, v90, -v49 :: v_dual_add_f32 v47, v47, v63
	s_delay_alu instid0(VALU_DEP_3) | instskip(SKIP_2) | instid1(VALU_DEP_4)
	v_add_f32_e32 v45, v45, v83
	v_dual_mul_f32 v205, v174, v95 :: v_dual_mul_f32 v206, v176, v97
	v_dual_mul_f32 v63, v185, v105 :: v_dual_fma_f32 v51, v172, v92, -v51
	v_dual_fmac_f32 v204, v173, v92 :: v_dual_add_f32 v47, v47, v49
	s_wait_dscnt 0x1
	v_dual_add_f32 v45, v45, v85 :: v_dual_mul_f32 v49, v187, v107
	v_dual_fmac_f32 v205, v175, v94 :: v_dual_fma_f32 v55, v174, v94, -v55
	s_delay_alu instid0(VALU_DEP_2) | instskip(SKIP_2) | instid1(VALU_DEP_3)
	v_dual_add_f32 v47, v47, v51 :: v_dual_add_f32 v45, v45, v204
	v_dual_mul_f32 v207, v178, v99 :: v_dual_mul_f32 v208, v180, v101
	v_dual_mul_f32 v51, v189, v109 :: v_dual_fma_f32 v53, v176, v96, -v53
	v_dual_fmac_f32 v206, v177, v96 :: v_dual_add_f32 v47, v47, v55
	s_delay_alu instid0(VALU_DEP_4) | instskip(NEXT) | instid1(VALU_DEP_4)
	v_dual_add_f32 v45, v45, v205 :: v_dual_mul_f32 v55, v131, v111
	v_dual_fmac_f32 v207, v179, v98 :: v_dual_fma_f32 v57, v178, v98, -v57
	s_delay_alu instid0(VALU_DEP_2) | instskip(SKIP_2) | instid1(VALU_DEP_3)
	v_dual_add_f32 v47, v47, v53 :: v_dual_add_f32 v45, v45, v206
	v_dual_mul_f32 v209, v182, v103 :: v_dual_mul_f32 v210, v184, v105
	v_dual_mul_f32 v53, v133, v113 :: v_dual_fma_f32 v59, v180, v100, -v59
	v_dual_fmac_f32 v208, v181, v100 :: v_dual_add_f32 v47, v47, v57
	s_delay_alu instid0(VALU_DEP_3) | instskip(SKIP_1) | instid1(VALU_DEP_2)
	v_dual_add_f32 v45, v45, v207 :: v_dual_fmac_f32 v209, v183, v102
	v_dual_mul_f32 v57, v135, v115 :: v_dual_fma_f32 v61, v182, v102, -v61
	v_dual_add_f32 v47, v47, v59 :: v_dual_add_f32 v45, v45, v208
	v_dual_mul_f32 v211, v186, v107 :: v_dual_mul_f32 v212, v188, v109
	v_dual_mov_b32 v72, v117 :: v_dual_fma_f32 v59, v184, v104, -v63
	s_delay_alu instid0(VALU_DEP_3) | instskip(NEXT) | instid1(VALU_DEP_3)
	v_dual_fmac_f32 v210, v185, v104 :: v_dual_add_f32 v47, v47, v61
	v_dual_add_f32 v45, v45, v209 :: v_dual_fmac_f32 v211, v187, v106
	s_delay_alu instid0(VALU_DEP_4) | instskip(SKIP_1) | instid1(VALU_DEP_3)
	v_dual_fma_f32 v49, v186, v106, -v49 :: v_dual_fmac_f32 v212, v189, v108
	v_fmac_f32_e32 v213, v131, v110
	v_dual_add_f32 v45, v45, v210 :: v_dual_fma_f32 v51, v188, v108, -v51
	s_wait_loadcnt 0x4
	v_dual_add_f32 v47, v47, v59 :: v_dual_mov_b32 v76, v121
	v_dual_fmac_f32 v71, v133, v112 :: v_dual_fma_f32 v70, v132, v112, -v53
	s_delay_alu instid0(VALU_DEP_2) | instskip(SKIP_3) | instid1(VALU_DEP_4)
	v_dual_add_f32 v45, v45, v211 :: v_dual_add_f32 v47, v47, v49
	v_fma_f32 v49, v130, v110, -v55
	v_pk_mul_f32 v[80:81], v[196:197], v[72:73] op_sel_hi:[1,0]
	v_pk_mul_f32 v[74:75], v[138:139], v[118:119] op_sel:[1,1] op_sel_hi:[0,1]
	v_dual_add_f32 v45, v45, v212 :: v_dual_add_f32 v47, v47, v51
	s_wait_loadcnt 0x3
	v_dual_mov_b32 v84, v125 :: v_dual_fmac_f32 v73, v135, v114
	v_pk_fma_f32 v[86:87], v[136:137], v[116:117], v[80:81] op_sel_hi:[1,0,1]
	s_delay_alu instid0(VALU_DEP_3) | instskip(SKIP_4) | instid1(VALU_DEP_4)
	v_add_f32_e32 v83, v45, v213
	v_dual_add_f32 v82, v47, v49 :: v_dual_fma_f32 v72, v134, v114, -v57
	v_pk_fma_f32 v[80:81], v[136:137], v[116:117], v[80:81] neg_lo:[0,0,1] neg_hi:[0,0,1]
	v_pk_mul_f32 v[76:77], v[198:199], v[76:77] op_sel_hi:[1,0]
	v_mov_b32_e32 v81, v87
	v_pk_add_f32 v[70:71], v[82:83], v[70:71]
	v_pk_fma_f32 v[82:83], v[138:139], v[118:119], v[74:75] op_sel_hi:[1,0,1]
	v_pk_fma_f32 v[74:75], v[138:139], v[118:119], v[74:75] neg_lo:[0,0,1] neg_hi:[0,0,1]
	v_pk_mul_f32 v[78:79], v[142:143], v[122:123] op_sel:[1,1] op_sel_hi:[0,1]
	v_pk_mul_f32 v[84:85], v[200:201], v[84:85] op_sel_hi:[1,0]
	v_pk_add_f32 v[70:71], v[70:71], v[72:73]
	v_mov_b32_e32 v75, v83
	v_pk_fma_f32 v[82:83], v[140:141], v[120:121], v[76:77] op_sel_hi:[1,0,1]
	v_pk_fma_f32 v[76:77], v[140:141], v[120:121], v[76:77] neg_lo:[0,0,1] neg_hi:[0,0,1]
	s_wait_loadcnt 0x2
	v_pk_mul_f32 v[72:73], v[146:147], v[126:127] op_sel:[1,1] op_sel_hi:[0,1]
	v_pk_add_f32 v[70:71], v[70:71], v[80:81]
	v_pk_fma_f32 v[80:81], v[142:143], v[122:123], v[78:79] op_sel_hi:[1,0,1]
	v_mov_b32_e32 v77, v83
	v_pk_fma_f32 v[78:79], v[142:143], v[122:123], v[78:79] neg_lo:[0,0,1] neg_hi:[0,0,1]
	v_pk_fma_f32 v[82:83], v[144:145], v[124:125], v[84:85] neg_lo:[0,0,1] neg_hi:[0,0,1]
	v_pk_add_f32 v[70:71], v[70:71], v[74:75]
	v_dual_mov_b32 v74, v129 :: v_dual_mov_b32 v79, v81
	v_pk_fma_f32 v[80:81], v[144:145], v[124:125], v[84:85] op_sel_hi:[1,0,1]
	v_ashrrev_i32_e32 v45, 31, v44
	s_delay_alu instid0(VALU_DEP_4)
	v_pk_add_f32 v[70:71], v[70:71], v[76:77]
	v_pk_fma_f32 v[76:77], v[146:147], v[126:127], v[72:73] op_sel_hi:[1,0,1]
	v_pk_mul_f32 v[74:75], v[202:203], v[74:75] op_sel_hi:[1,0]
	v_mov_b32_e32 v83, v81
	v_pk_fma_f32 v[72:73], v[146:147], v[126:127], v[72:73] neg_lo:[0,0,1] neg_hi:[0,0,1]
	v_pk_add_f32 v[70:71], v[70:71], v[78:79]
	v_dual_mov_b32 v73, v77 :: v_dual_ashrrev_i32 v47, 31, v46
	v_pk_fma_f32 v[76:77], v[148:149], v[128:129], v[74:75] op_sel_hi:[1,0,1]
	s_wait_loadcnt_dscnt 0x100
	v_pk_mul_f32 v[78:79], v[194:195], v[190:191] op_sel:[1,1] op_sel_hi:[0,1]
	v_pk_add_f32 v[70:71], v[70:71], v[82:83]
	v_pk_fma_f32 v[74:75], v[148:149], v[128:129], v[74:75] neg_lo:[0,0,1] neg_hi:[0,0,1]
	v_dual_ashrrev_i32 v49, 31, v48 :: v_dual_mov_b32 v75, v77
	s_delay_alu instid0(VALU_DEP_4) | instskip(NEXT) | instid1(VALU_DEP_4)
	v_pk_fma_f32 v[76:77], v[194:195], v[190:191], v[78:79] neg_lo:[0,0,1] neg_hi:[0,0,1]
	v_pk_add_f32 v[70:71], v[70:71], v[72:73]
	v_pk_fma_f32 v[72:73], v[194:195], v[190:191], v[78:79] op_sel_hi:[1,0,1]
	v_dual_ashrrev_i32 v51, 31, v50 :: v_dual_ashrrev_i32 v53, 31, v52
	v_ashrrev_i32_e32 v55, 31, v54
	s_delay_alu instid0(VALU_DEP_4) | instskip(NEXT) | instid1(VALU_DEP_4)
	v_pk_add_f32 v[70:71], v[70:71], v[74:75]
	v_dual_mov_b32 v77, v73 :: v_dual_ashrrev_i32 v57, 31, v56
	v_dual_ashrrev_i32 v59, 31, v58 :: v_dual_ashrrev_i32 v61, 31, v60
	v_ashrrev_i32_e32 v63, 31, v62
	s_delay_alu instid0(VALU_DEP_3) | instskip(SKIP_2) | instid1(VALU_DEP_2)
	v_pk_add_f32 v[70:71], v[70:71], v[76:77]
	v_dual_ashrrev_i32 v65, 31, v64 :: v_dual_ashrrev_i32 v67, 31, v66
	s_wait_loadcnt 0x0
	v_pk_add_f32 v[70:71], v[192:193], v[70:71] neg_lo:[0,1] neg_hi:[0,1]
	scratch_store_b64 off, v[70:71], off offset:8
	s_wait_xcnt 0x0
	v_cmpx_ne_u32_e32 0, v0
	s_cbranch_execz .LBB96_211
; %bb.210:
	scratch_load_b64 v[70:71], off, off
	v_mov_b64_e32 v[72:73], 0
	scratch_store_b64 off, v[72:73], off
	s_wait_loadcnt 0x0
	ds_store_b64 v1, v[70:71]
.LBB96_211:
	s_wait_xcnt 0x0
	s_or_b32 exec_lo, exec_lo, s0
	s_wait_storecnt_dscnt 0x0
	s_barrier_signal -1
	s_barrier_wait -1
	s_clause 0x10
	scratch_load_b128 v[70:73], off, off offset:8
	scratch_load_b128 v[74:77], off, off offset:24
	;; [unrolled: 1-line block ×16, first 2 shown]
	scratch_load_b64 v[0:1], off, off
	ds_load_2addr_b64 v[134:137], v68 offset0:59 offset1:60
	ds_load_2addr_b64 v[138:141], v68 offset0:61 offset1:62
	ds_load_2addr_b64 v[142:145], v68 offset0:63 offset1:64
	ds_load_2addr_b64 v[146:149], v68 offset0:65 offset1:66
	ds_load_2addr_b64 v[150:153], v68 offset0:35 offset1:36
	ds_load_2addr_b64 v[154:157], v68 offset0:37 offset1:38
	ds_load_2addr_b64 v[158:161], v68 offset0:39 offset1:40
	ds_load_2addr_b64 v[162:165], v68 offset0:41 offset1:42
	ds_load_2addr_b64 v[166:169], v68 offset0:43 offset1:44
	ds_load_2addr_b64 v[170:173], v68 offset0:45 offset1:46
	ds_load_2addr_b64 v[174:177], v68 offset0:47 offset1:48
	ds_load_2addr_b64 v[178:181], v68 offset0:49 offset1:50
	ds_load_2addr_b64 v[182:185], v68 offset0:51 offset1:52
	ds_load_2addr_b64 v[186:189], v68 offset0:53 offset1:54
	ds_load_2addr_b64 v[190:193], v68 offset0:55 offset1:56
	ds_load_2addr_b64 v[194:197], v68 offset0:57 offset1:58
	s_and_b32 vcc_lo, exec_lo, s12
	s_wait_dscnt 0xf
	v_dual_mov_b32 v68, v137 :: v_dual_mov_b32 v69, v136
	s_wait_dscnt 0xe
	v_dual_mov_b32 v198, v141 :: v_dual_mov_b32 v199, v140
	;; [unrolled: 2-line block ×4, first 2 shown]
	s_wait_loadcnt_dscnt 0x100b
	v_dual_mul_f32 v204, v150, v71 :: v_dual_mul_f32 v206, v152, v73
	v_dual_mul_f32 v71, v151, v71 :: v_dual_mul_f32 v73, v153, v73
	s_wait_loadcnt_dscnt 0xd08
	v_dual_mul_f32 v212, v162, v83 :: v_dual_mul_f32 v213, v164, v85
	v_mul_f32_e32 v83, v163, v83
	s_delay_alu instid0(VALU_DEP_3)
	v_dual_fmac_f32 v204, v151, v70 :: v_dual_fma_f32 v70, v150, v70, -v71
	v_dual_mul_f32 v208, v154, v75 :: v_dual_mul_f32 v209, v156, v77
	v_dual_mul_f32 v75, v155, v75 :: v_dual_mul_f32 v77, v157, v77
	v_mul_f32_e32 v71, v165, v85
	v_dual_fmac_f32 v206, v153, v72 :: v_dual_fma_f32 v72, v152, v72, -v73
	v_dual_add_f32 v73, 0, v204 :: v_dual_add_f32 v70, 0, v70
	s_wait_loadcnt_dscnt 0xc07
	v_mul_f32_e32 v85, v167, v87
	v_dual_fmac_f32 v208, v155, v74 :: v_dual_fma_f32 v74, v154, v74, -v75
	s_delay_alu instid0(VALU_DEP_3) | instskip(SKIP_3) | instid1(VALU_DEP_3)
	v_dual_add_f32 v73, v73, v206 :: v_dual_fma_f32 v75, v156, v76, -v77
	v_add_f32_e32 v70, v70, v72
	v_dual_mul_f32 v210, v158, v79 :: v_dual_mul_f32 v211, v160, v81
	v_dual_mul_f32 v79, v159, v79 :: v_dual_mul_f32 v81, v161, v81
	v_dual_mul_f32 v72, v169, v89 :: v_dual_add_f32 v70, v70, v74
	s_wait_loadcnt_dscnt 0xb06
	v_dual_fmac_f32 v209, v157, v76 :: v_dual_mul_f32 v74, v171, v91
	v_dual_add_f32 v73, v73, v208 :: v_dual_fmac_f32 v210, v159, v78
	v_fma_f32 v76, v158, v78, -v79
	v_dual_add_f32 v70, v70, v75 :: v_dual_mul_f32 v75, v173, v93
	s_delay_alu instid0(VALU_DEP_3) | instskip(SKIP_2) | instid1(VALU_DEP_3)
	v_add_f32_e32 v73, v73, v209
	v_dual_fmac_f32 v211, v161, v80 :: v_dual_fma_f32 v77, v160, v80, -v81
	s_wait_loadcnt_dscnt 0xa05
	v_dual_add_f32 v70, v70, v76 :: v_dual_mul_f32 v76, v175, v95
	v_fma_f32 v78, v162, v82, -v83
	v_add_f32_e32 v73, v73, v210
	s_delay_alu instid0(VALU_DEP_3) | instskip(SKIP_1) | instid1(VALU_DEP_3)
	v_dual_fmac_f32 v212, v163, v82 :: v_dual_add_f32 v70, v70, v77
	v_dual_fmac_f32 v213, v165, v84 :: v_dual_mul_f32 v214, v166, v87
	v_dual_mul_f32 v215, v168, v89 :: v_dual_add_f32 v73, v73, v211
	v_dual_mul_f32 v77, v177, v97 :: v_dual_fma_f32 v71, v164, v84, -v71
	s_wait_loadcnt_dscnt 0x904
	v_dual_add_f32 v70, v70, v78 :: v_dual_mul_f32 v78, v179, v99
	s_delay_alu instid0(VALU_DEP_3) | instskip(NEXT) | instid1(VALU_DEP_2)
	v_dual_fma_f32 v79, v166, v86, -v85 :: v_dual_add_f32 v73, v73, v212
	v_dual_fmac_f32 v214, v167, v86 :: v_dual_add_f32 v70, v70, v71
	v_dual_mul_f32 v71, v181, v101 :: v_dual_mul_f32 v216, v170, v91
	v_mul_f32_e32 v217, v172, v93
	s_delay_alu instid0(VALU_DEP_4)
	v_add_f32_e32 v73, v73, v213
	v_dual_fmac_f32 v215, v169, v88 :: v_dual_fma_f32 v72, v168, v88, -v72
	v_add_f32_e32 v70, v70, v79
	s_wait_loadcnt_dscnt 0x803
	v_dual_mul_f32 v79, v183, v103 :: v_dual_fma_f32 v74, v170, v90, -v74
	v_add_f32_e32 v73, v73, v214
	s_delay_alu instid0(VALU_DEP_3) | instskip(SKIP_1) | instid1(VALU_DEP_3)
	v_dual_fmac_f32 v216, v171, v90 :: v_dual_add_f32 v70, v70, v72
	v_dual_mul_f32 v72, v185, v105 :: v_dual_mul_f32 v218, v174, v95
	v_dual_mul_f32 v219, v176, v97 :: v_dual_add_f32 v73, v73, v215
	v_dual_fmac_f32 v217, v173, v92 :: v_dual_fma_f32 v75, v172, v92, -v75
	s_wait_loadcnt_dscnt 0x702
	v_dual_add_f32 v70, v70, v74 :: v_dual_mul_f32 v74, v187, v107
	s_delay_alu instid0(VALU_DEP_3) | instskip(NEXT) | instid1(VALU_DEP_2)
	v_dual_fma_f32 v76, v174, v94, -v76 :: v_dual_add_f32 v73, v73, v216
	v_dual_fmac_f32 v218, v175, v94 :: v_dual_add_f32 v70, v70, v75
	v_dual_mul_f32 v75, v189, v109 :: v_dual_mul_f32 v220, v178, v99
	v_mul_f32_e32 v221, v180, v101
	s_delay_alu instid0(VALU_DEP_4)
	v_add_f32_e32 v73, v73, v217
	v_dual_fmac_f32 v219, v177, v96 :: v_dual_fma_f32 v77, v176, v96, -v77
	s_wait_loadcnt_dscnt 0x601
	v_dual_add_f32 v70, v70, v76 :: v_dual_mul_f32 v76, v191, v111
	v_fma_f32 v78, v178, v98, -v78
	v_add_f32_e32 v73, v73, v218
	s_delay_alu instid0(VALU_DEP_3) | instskip(SKIP_1) | instid1(VALU_DEP_3)
	v_dual_fmac_f32 v220, v179, v98 :: v_dual_add_f32 v70, v70, v77
	v_dual_fmac_f32 v221, v181, v100 :: v_dual_mul_f32 v222, v182, v103
	v_dual_mul_f32 v223, v184, v105 :: v_dual_add_f32 v73, v73, v219
	v_dual_mul_f32 v77, v193, v113 :: v_dual_fma_f32 v71, v180, v100, -v71
	s_wait_loadcnt_dscnt 0x500
	v_dual_add_f32 v70, v70, v78 :: v_dual_mul_f32 v80, v195, v115
	s_delay_alu instid0(VALU_DEP_3) | instskip(NEXT) | instid1(VALU_DEP_2)
	v_dual_fma_f32 v78, v182, v102, -v79 :: v_dual_add_f32 v73, v73, v220
	v_dual_fmac_f32 v222, v183, v102 :: v_dual_add_f32 v70, v70, v71
	v_dual_mul_f32 v82, v197, v117 :: v_dual_mul_f32 v224, v186, v107
	v_mul_f32_e32 v225, v188, v109
	s_delay_alu instid0(VALU_DEP_4) | instskip(SKIP_3) | instid1(VALU_DEP_4)
	v_add_f32_e32 v73, v73, v221
	v_dual_fmac_f32 v223, v185, v104 :: v_dual_fma_f32 v72, v184, v104, -v72
	v_add_f32_e32 v78, v70, v78
	v_dual_fmac_f32 v224, v187, v106 :: v_dual_fma_f32 v74, v186, v106, -v74
	v_dual_add_f32 v73, v73, v222 :: v_dual_mul_f32 v226, v190, v111
	s_delay_alu instid0(VALU_DEP_3) | instskip(SKIP_2) | instid1(VALU_DEP_3)
	v_dual_mul_f32 v227, v192, v113 :: v_dual_add_f32 v78, v78, v72
	s_wait_loadcnt 0x4
	v_dual_mov_b32 v72, v121 :: v_dual_fma_f32 v79, v188, v108, -v75
	v_add_f32_e32 v73, v73, v223
	s_delay_alu instid0(VALU_DEP_3) | instskip(SKIP_1) | instid1(VALU_DEP_3)
	v_dual_fmac_f32 v225, v189, v108 :: v_dual_add_f32 v78, v78, v74
	v_dual_fmac_f32 v226, v191, v110 :: v_dual_mul_f32 v205, v194, v115
	v_dual_mul_f32 v207, v196, v117 :: v_dual_add_f32 v73, v73, v224
	v_fma_f32 v81, v190, v110, -v76
	s_wait_loadcnt 0x3
	v_dual_add_f32 v78, v78, v79 :: v_dual_mov_b32 v76, v125
	v_dual_fmac_f32 v227, v193, v112 :: v_dual_fma_f32 v77, v192, v112, -v77
	v_add_f32_e32 v73, v73, v225
	s_delay_alu instid0(VALU_DEP_3) | instskip(SKIP_2) | instid1(VALU_DEP_3)
	v_add_f32_e32 v83, v78, v81
	v_pk_mul_f32 v[70:71], v[134:135], v[118:119] op_sel:[1,1] op_sel_hi:[0,1]
	v_dual_fmac_f32 v205, v195, v114 :: v_dual_fma_f32 v204, v194, v114, -v80
	v_dual_add_f32 v73, v73, v226 :: v_dual_add_f32 v80, v83, v77
	v_dual_fmac_f32 v207, v197, v116 :: v_dual_fma_f32 v206, v196, v116, -v82
	s_delay_alu instid0(VALU_DEP_4) | instskip(NEXT) | instid1(VALU_DEP_3)
	v_pk_fma_f32 v[82:83], v[134:135], v[118:119], v[70:71] op_sel_hi:[1,0,1]
	v_add_f32_e32 v81, v73, v227
	v_pk_mul_f32 v[68:69], v[68:69], v[72:73] op_sel_hi:[1,0]
	v_pk_fma_f32 v[70:71], v[134:135], v[118:119], v[70:71] neg_lo:[0,0,1] neg_hi:[0,0,1]
	v_pk_mul_f32 v[74:75], v[138:139], v[122:123] op_sel:[1,1] op_sel_hi:[0,1]
	v_mov_b32_e32 v71, v83
	v_pk_add_f32 v[72:73], v[80:81], v[204:205]
	s_wait_loadcnt 0x2
	v_mov_b32_e32 v80, v129
	v_pk_fma_f32 v[82:83], v[136:137], v[120:121], v[68:69] op_sel_hi:[1,0,1]
	v_pk_fma_f32 v[68:69], v[136:137], v[120:121], v[68:69] neg_lo:[0,0,1] neg_hi:[0,0,1]
	v_pk_fma_f32 v[84:85], v[138:139], v[122:123], v[74:75] op_sel_hi:[1,0,1]
	v_pk_add_f32 v[72:73], v[72:73], v[206:207]
	v_pk_mul_f32 v[76:77], v[198:199], v[76:77] op_sel_hi:[1,0]
	v_mov_b32_e32 v69, v83
	v_pk_fma_f32 v[74:75], v[138:139], v[122:123], v[74:75] neg_lo:[0,0,1] neg_hi:[0,0,1]
	v_pk_mul_f32 v[78:79], v[142:143], v[126:127] op_sel:[1,1] op_sel_hi:[0,1]
	v_pk_add_f32 v[70:71], v[72:73], v[70:71]
	v_mov_b32_e32 v75, v85
	v_pk_fma_f32 v[82:83], v[140:141], v[124:125], v[76:77] op_sel_hi:[1,0,1]
	v_pk_fma_f32 v[76:77], v[140:141], v[124:125], v[76:77] neg_lo:[0,0,1] neg_hi:[0,0,1]
	v_pk_mul_f32 v[80:81], v[200:201], v[80:81] op_sel_hi:[1,0]
	v_pk_add_f32 v[68:69], v[70:71], v[68:69]
	v_pk_fma_f32 v[70:71], v[142:143], v[126:127], v[78:79] op_sel_hi:[1,0,1]
	s_wait_loadcnt 0x1
	v_dual_mov_b32 v77, v83 :: v_dual_mov_b32 v70, v133
	v_pk_mul_f32 v[72:73], v[146:147], v[130:131] op_sel:[1,1] op_sel_hi:[0,1]
	v_pk_add_f32 v[68:69], v[68:69], v[74:75]
	v_pk_fma_f32 v[74:75], v[142:143], v[126:127], v[78:79] neg_lo:[0,0,1] neg_hi:[0,0,1]
	v_pk_fma_f32 v[78:79], v[144:145], v[128:129], v[80:81] op_sel_hi:[1,0,1]
	v_mov_b32_e32 v75, v71
	v_pk_fma_f32 v[80:81], v[144:145], v[128:129], v[80:81] neg_lo:[0,0,1] neg_hi:[0,0,1]
	v_pk_add_f32 v[68:69], v[68:69], v[76:77]
	v_pk_fma_f32 v[76:77], v[146:147], v[130:131], v[72:73] op_sel_hi:[1,0,1]
	v_pk_mul_f32 v[70:71], v[202:203], v[70:71] op_sel_hi:[1,0]
	v_mov_b32_e32 v81, v79
	v_pk_fma_f32 v[72:73], v[146:147], v[130:131], v[72:73] neg_lo:[0,0,1] neg_hi:[0,0,1]
	v_pk_add_f32 v[68:69], v[68:69], v[74:75]
	s_delay_alu instid0(VALU_DEP_4) | instskip(SKIP_2) | instid1(VALU_DEP_4)
	v_pk_fma_f32 v[74:75], v[148:149], v[132:133], v[70:71] op_sel_hi:[1,0,1]
	v_mov_b32_e32 v73, v77
	v_pk_fma_f32 v[70:71], v[148:149], v[132:133], v[70:71] neg_lo:[0,0,1] neg_hi:[0,0,1]
	v_pk_add_f32 v[68:69], v[68:69], v[80:81]
	s_delay_alu instid0(VALU_DEP_4) | instskip(NEXT) | instid1(VALU_DEP_2)
	v_mov_b32_e32 v71, v75
	v_pk_add_f32 v[68:69], v[68:69], v[72:73]
	s_delay_alu instid0(VALU_DEP_1) | instskip(SKIP_1) | instid1(VALU_DEP_1)
	v_pk_add_f32 v[68:69], v[68:69], v[70:71]
	s_wait_loadcnt 0x0
	v_pk_add_f32 v[68:69], v[0:1], v[68:69] neg_lo:[0,1] neg_hi:[0,1]
	scratch_store_b64 off, v[68:69], off
	s_cbranch_vccz .LBB96_276
; %bb.212:
	v_mov_b32_e32 v0, 0
	global_load_b32 v1, v0, s[8:9] offset:124
	s_wait_loadcnt 0x0
	v_cmp_ne_u32_e32 vcc_lo, 32, v1
	s_cbranch_vccz .LBB96_214
; %bb.213:
	v_lshlrev_b32_e32 v1, 3, v1
	scratch_load_b64 v[68:69], v1, off offset:-8
	scratch_load_b64 v[70:71], off, off offset:248
	s_wait_loadcnt 0x1
	scratch_store_b64 off, v[68:69], off offset:248
	s_wait_loadcnt 0x0
	scratch_store_b64 v1, v[70:71], off offset:-8
.LBB96_214:
	global_load_b32 v0, v0, s[8:9] offset:120
	s_wait_loadcnt 0x0
	v_cmp_eq_u32_e32 vcc_lo, 31, v0
	s_cbranch_vccnz .LBB96_216
; %bb.215:
	s_wait_xcnt 0x0
	v_lshlrev_b32_e32 v0, 3, v0
	s_delay_alu instid0(VALU_DEP_1)
	v_mov_b32_e32 v70, v0
	scratch_load_b64 v[0:1], v70, off offset:-8
	scratch_load_b64 v[68:69], off, off offset:240
	s_wait_loadcnt 0x1
	scratch_store_b64 off, v[0:1], off offset:240
	s_wait_loadcnt 0x0
	scratch_store_b64 v70, v[68:69], off offset:-8
.LBB96_216:
	s_wait_xcnt 0x0
	v_mov_b32_e32 v0, 0
	global_load_b32 v1, v0, s[8:9] offset:116
	s_wait_loadcnt 0x0
	v_cmp_eq_u32_e32 vcc_lo, 30, v1
	s_cbranch_vccnz .LBB96_218
; %bb.217:
	v_lshlrev_b32_e32 v1, 3, v1
	scratch_load_b64 v[68:69], v1, off offset:-8
	scratch_load_b64 v[70:71], off, off offset:232
	s_wait_loadcnt 0x1
	scratch_store_b64 off, v[68:69], off offset:232
	s_wait_loadcnt 0x0
	scratch_store_b64 v1, v[70:71], off offset:-8
.LBB96_218:
	global_load_b32 v0, v0, s[8:9] offset:112
	s_wait_loadcnt 0x0
	v_cmp_eq_u32_e32 vcc_lo, 29, v0
	s_cbranch_vccnz .LBB96_220
; %bb.219:
	s_wait_xcnt 0x0
	v_lshlrev_b32_e32 v0, 3, v0
	s_delay_alu instid0(VALU_DEP_1)
	v_mov_b32_e32 v70, v0
	scratch_load_b64 v[0:1], v70, off offset:-8
	scratch_load_b64 v[68:69], off, off offset:224
	s_wait_loadcnt 0x1
	scratch_store_b64 off, v[0:1], off offset:224
	s_wait_loadcnt 0x0
	scratch_store_b64 v70, v[68:69], off offset:-8
.LBB96_220:
	s_wait_xcnt 0x0
	v_mov_b32_e32 v0, 0
	global_load_b32 v1, v0, s[8:9] offset:108
	s_wait_loadcnt 0x0
	v_cmp_eq_u32_e32 vcc_lo, 28, v1
	s_cbranch_vccnz .LBB96_222
; %bb.221:
	v_lshlrev_b32_e32 v1, 3, v1
	scratch_load_b64 v[68:69], v1, off offset:-8
	scratch_load_b64 v[70:71], off, off offset:216
	s_wait_loadcnt 0x1
	scratch_store_b64 off, v[68:69], off offset:216
	s_wait_loadcnt 0x0
	scratch_store_b64 v1, v[70:71], off offset:-8
.LBB96_222:
	;; [unrolled: 31-line block ×15, first 2 shown]
	global_load_b32 v0, v0, s[8:9]
	scratch_load_b64 v[68:69], off, off
	s_wait_loadcnt 0x1
	v_cmp_eq_u32_e32 vcc_lo, 1, v0
	s_cbranch_vccnz .LBB96_276
; %bb.275:
	s_wait_xcnt 0x1
	v_lshlrev_b32_e32 v0, 3, v0
	s_delay_alu instid0(VALU_DEP_1)
	v_mov_b32_e32 v70, v0
	scratch_load_b64 v[0:1], v70, off offset:-8
	s_wait_loadcnt 0x0
	scratch_store_b64 off, v[0:1], off
	scratch_store_b64 v70, v[68:69], off offset:-8
	scratch_load_b64 v[68:69], off, off
.LBB96_276:
	s_wait_loadcnt 0x0
	flat_store_b64 v[2:3], v[68:69]
	scratch_load_b64 v[2:3], off, off offset:8
	v_lshl_add_u64 v[98:99], v[6:7], 3, s[2:3]
	v_lshl_add_u64 v[96:97], v[8:9], 3, s[2:3]
	;; [unrolled: 1-line block ×31, first 2 shown]
	s_wait_loadcnt 0x0
	flat_store_b64 v[4:5], v[2:3]
	scratch_load_b64 v[2:3], off, off offset:16
	s_wait_loadcnt 0x0
	flat_store_b64 v[98:99], v[2:3]
	scratch_load_b64 v[2:3], off, off offset:24
	s_wait_loadcnt 0x0
	flat_store_b64 v[96:97], v[2:3]
	scratch_load_b64 v[2:3], off, off offset:32
	s_wait_loadcnt 0x0
	flat_store_b64 v[94:95], v[2:3]
	scratch_load_b64 v[2:3], off, off offset:40
	s_wait_loadcnt 0x0
	flat_store_b64 v[92:93], v[2:3]
	scratch_load_b64 v[2:3], off, off offset:48
	s_wait_loadcnt 0x0
	flat_store_b64 v[90:91], v[2:3]
	scratch_load_b64 v[2:3], off, off offset:56
	s_wait_loadcnt 0x0
	flat_store_b64 v[88:89], v[2:3]
	scratch_load_b64 v[2:3], off, off offset:64
	s_wait_loadcnt 0x0
	flat_store_b64 v[86:87], v[2:3]
	scratch_load_b64 v[2:3], off, off offset:72
	s_wait_loadcnt 0x0
	flat_store_b64 v[84:85], v[2:3]
	scratch_load_b64 v[2:3], off, off offset:80
	s_wait_loadcnt 0x0
	flat_store_b64 v[82:83], v[2:3]
	scratch_load_b64 v[2:3], off, off offset:88
	s_wait_loadcnt 0x0
	flat_store_b64 v[80:81], v[2:3]
	scratch_load_b64 v[2:3], off, off offset:96
	s_wait_loadcnt 0x0
	flat_store_b64 v[78:79], v[2:3]
	scratch_load_b64 v[2:3], off, off offset:104
	s_wait_loadcnt 0x0
	flat_store_b64 v[76:77], v[2:3]
	scratch_load_b64 v[2:3], off, off offset:112
	s_wait_loadcnt 0x0
	flat_store_b64 v[74:75], v[2:3]
	scratch_load_b64 v[2:3], off, off offset:120
	s_wait_loadcnt 0x0
	flat_store_b64 v[72:73], v[2:3]
	scratch_load_b64 v[2:3], off, off offset:128
	s_wait_loadcnt 0x0
	flat_store_b64 v[70:71], v[2:3]
	scratch_load_b64 v[2:3], off, off offset:136
	s_wait_loadcnt 0x0
	flat_store_b64 v[34:35], v[2:3]
	scratch_load_b64 v[2:3], off, off offset:144
	s_wait_loadcnt 0x0
	flat_store_b64 v[32:33], v[2:3]
	scratch_load_b64 v[2:3], off, off offset:152
	s_wait_loadcnt 0x0
	flat_store_b64 v[30:31], v[2:3]
	scratch_load_b64 v[2:3], off, off offset:160
	s_wait_loadcnt 0x0
	flat_store_b64 v[28:29], v[2:3]
	scratch_load_b64 v[2:3], off, off offset:168
	s_wait_loadcnt 0x0
	flat_store_b64 v[26:27], v[2:3]
	scratch_load_b64 v[2:3], off, off offset:176
	s_wait_loadcnt 0x0
	flat_store_b64 v[24:25], v[2:3]
	scratch_load_b64 v[2:3], off, off offset:184
	s_wait_loadcnt 0x0
	flat_store_b64 v[22:23], v[2:3]
	scratch_load_b64 v[2:3], off, off offset:192
	s_wait_loadcnt 0x0
	flat_store_b64 v[20:21], v[2:3]
	scratch_load_b64 v[2:3], off, off offset:200
	s_wait_loadcnt 0x0
	flat_store_b64 v[18:19], v[2:3]
	scratch_load_b64 v[2:3], off, off offset:208
	s_wait_loadcnt 0x0
	flat_store_b64 v[16:17], v[2:3]
	scratch_load_b64 v[2:3], off, off offset:216
	s_wait_loadcnt 0x0
	flat_store_b64 v[14:15], v[2:3]
	scratch_load_b64 v[2:3], off, off offset:224
	s_wait_loadcnt 0x0
	flat_store_b64 v[12:13], v[2:3]
	scratch_load_b64 v[2:3], off, off offset:232
	s_wait_loadcnt 0x0
	flat_store_b64 v[10:11], v[2:3]
	scratch_load_b64 v[2:3], off, off offset:240
	s_wait_loadcnt 0x0
	flat_store_b64 v[8:9], v[2:3]
	scratch_load_b64 v[2:3], off, off offset:248
	s_wait_loadcnt 0x0
	flat_store_b64 v[6:7], v[2:3]
	scratch_load_b64 v[2:3], off, off offset:256
	s_wait_loadcnt 0x0
	flat_store_b64 v[0:1], v[2:3]
	s_sendmsg sendmsg(MSG_DEALLOC_VGPRS)
	s_endpgm
	.section	.rodata,"a",@progbits
	.p2align	6, 0x0
	.amdhsa_kernel _ZN9rocsolver6v33100L18getri_kernel_smallILi33E19rocblas_complex_numIfEPKPS3_EEvT1_iilPiilS8_bb
		.amdhsa_group_segment_fixed_size 536
		.amdhsa_private_segment_fixed_size 272
		.amdhsa_kernarg_size 60
		.amdhsa_user_sgpr_count 2
		.amdhsa_user_sgpr_dispatch_ptr 0
		.amdhsa_user_sgpr_queue_ptr 0
		.amdhsa_user_sgpr_kernarg_segment_ptr 1
		.amdhsa_user_sgpr_dispatch_id 0
		.amdhsa_user_sgpr_kernarg_preload_length 0
		.amdhsa_user_sgpr_kernarg_preload_offset 0
		.amdhsa_user_sgpr_private_segment_size 0
		.amdhsa_wavefront_size32 1
		.amdhsa_uses_dynamic_stack 0
		.amdhsa_enable_private_segment 1
		.amdhsa_system_sgpr_workgroup_id_x 1
		.amdhsa_system_sgpr_workgroup_id_y 0
		.amdhsa_system_sgpr_workgroup_id_z 0
		.amdhsa_system_sgpr_workgroup_info 0
		.amdhsa_system_vgpr_workitem_id 0
		.amdhsa_next_free_vgpr 228
		.amdhsa_next_free_sgpr 19
		.amdhsa_named_barrier_count 0
		.amdhsa_reserve_vcc 1
		.amdhsa_float_round_mode_32 0
		.amdhsa_float_round_mode_16_64 0
		.amdhsa_float_denorm_mode_32 3
		.amdhsa_float_denorm_mode_16_64 3
		.amdhsa_fp16_overflow 0
		.amdhsa_memory_ordered 1
		.amdhsa_forward_progress 1
		.amdhsa_inst_pref_size 255
		.amdhsa_round_robin_scheduling 0
		.amdhsa_exception_fp_ieee_invalid_op 0
		.amdhsa_exception_fp_denorm_src 0
		.amdhsa_exception_fp_ieee_div_zero 0
		.amdhsa_exception_fp_ieee_overflow 0
		.amdhsa_exception_fp_ieee_underflow 0
		.amdhsa_exception_fp_ieee_inexact 0
		.amdhsa_exception_int_div_zero 0
	.end_amdhsa_kernel
	.section	.text._ZN9rocsolver6v33100L18getri_kernel_smallILi33E19rocblas_complex_numIfEPKPS3_EEvT1_iilPiilS8_bb,"axG",@progbits,_ZN9rocsolver6v33100L18getri_kernel_smallILi33E19rocblas_complex_numIfEPKPS3_EEvT1_iilPiilS8_bb,comdat
.Lfunc_end96:
	.size	_ZN9rocsolver6v33100L18getri_kernel_smallILi33E19rocblas_complex_numIfEPKPS3_EEvT1_iilPiilS8_bb, .Lfunc_end96-_ZN9rocsolver6v33100L18getri_kernel_smallILi33E19rocblas_complex_numIfEPKPS3_EEvT1_iilPiilS8_bb
                                        ; -- End function
	.set _ZN9rocsolver6v33100L18getri_kernel_smallILi33E19rocblas_complex_numIfEPKPS3_EEvT1_iilPiilS8_bb.num_vgpr, 228
	.set _ZN9rocsolver6v33100L18getri_kernel_smallILi33E19rocblas_complex_numIfEPKPS3_EEvT1_iilPiilS8_bb.num_agpr, 0
	.set _ZN9rocsolver6v33100L18getri_kernel_smallILi33E19rocblas_complex_numIfEPKPS3_EEvT1_iilPiilS8_bb.numbered_sgpr, 19
	.set _ZN9rocsolver6v33100L18getri_kernel_smallILi33E19rocblas_complex_numIfEPKPS3_EEvT1_iilPiilS8_bb.num_named_barrier, 0
	.set _ZN9rocsolver6v33100L18getri_kernel_smallILi33E19rocblas_complex_numIfEPKPS3_EEvT1_iilPiilS8_bb.private_seg_size, 272
	.set _ZN9rocsolver6v33100L18getri_kernel_smallILi33E19rocblas_complex_numIfEPKPS3_EEvT1_iilPiilS8_bb.uses_vcc, 1
	.set _ZN9rocsolver6v33100L18getri_kernel_smallILi33E19rocblas_complex_numIfEPKPS3_EEvT1_iilPiilS8_bb.uses_flat_scratch, 1
	.set _ZN9rocsolver6v33100L18getri_kernel_smallILi33E19rocblas_complex_numIfEPKPS3_EEvT1_iilPiilS8_bb.has_dyn_sized_stack, 0
	.set _ZN9rocsolver6v33100L18getri_kernel_smallILi33E19rocblas_complex_numIfEPKPS3_EEvT1_iilPiilS8_bb.has_recursion, 0
	.set _ZN9rocsolver6v33100L18getri_kernel_smallILi33E19rocblas_complex_numIfEPKPS3_EEvT1_iilPiilS8_bb.has_indirect_call, 0
	.section	.AMDGPU.csdata,"",@progbits
; Kernel info:
; codeLenInByte = 47084
; TotalNumSgprs: 21
; NumVgprs: 228
; ScratchSize: 272
; MemoryBound: 0
; FloatMode: 240
; IeeeMode: 1
; LDSByteSize: 536 bytes/workgroup (compile time only)
; SGPRBlocks: 0
; VGPRBlocks: 14
; NumSGPRsForWavesPerEU: 21
; NumVGPRsForWavesPerEU: 228
; NamedBarCnt: 0
; Occupancy: 4
; WaveLimiterHint : 1
; COMPUTE_PGM_RSRC2:SCRATCH_EN: 1
; COMPUTE_PGM_RSRC2:USER_SGPR: 2
; COMPUTE_PGM_RSRC2:TRAP_HANDLER: 0
; COMPUTE_PGM_RSRC2:TGID_X_EN: 1
; COMPUTE_PGM_RSRC2:TGID_Y_EN: 0
; COMPUTE_PGM_RSRC2:TGID_Z_EN: 0
; COMPUTE_PGM_RSRC2:TIDIG_COMP_CNT: 0
	.section	.text._ZN9rocsolver6v33100L18getri_kernel_smallILi34E19rocblas_complex_numIfEPKPS3_EEvT1_iilPiilS8_bb,"axG",@progbits,_ZN9rocsolver6v33100L18getri_kernel_smallILi34E19rocblas_complex_numIfEPKPS3_EEvT1_iilPiilS8_bb,comdat
	.globl	_ZN9rocsolver6v33100L18getri_kernel_smallILi34E19rocblas_complex_numIfEPKPS3_EEvT1_iilPiilS8_bb ; -- Begin function _ZN9rocsolver6v33100L18getri_kernel_smallILi34E19rocblas_complex_numIfEPKPS3_EEvT1_iilPiilS8_bb
	.p2align	8
	.type	_ZN9rocsolver6v33100L18getri_kernel_smallILi34E19rocblas_complex_numIfEPKPS3_EEvT1_iilPiilS8_bb,@function
_ZN9rocsolver6v33100L18getri_kernel_smallILi34E19rocblas_complex_numIfEPKPS3_EEvT1_iilPiilS8_bb: ; @_ZN9rocsolver6v33100L18getri_kernel_smallILi34E19rocblas_complex_numIfEPKPS3_EEvT1_iilPiilS8_bb
; %bb.0:
	s_mov_b32 s2, exec_lo
	v_cmpx_gt_u32_e32 34, v0
	s_cbranch_execz .LBB97_150
; %bb.1:
	s_clause 0x1
	s_load_b32 s13, s[0:1], 0x38
	s_load_b64 s[2:3], s[0:1], 0x0
	s_getreg_b32 s6, hwreg(HW_REG_IB_STS2, 6, 4)
	s_wait_kmcnt 0x0
	s_bitcmp1_b32 s13, 8
	s_cselect_b32 s12, -1, 0
	s_bfe_u32 s4, ttmp6, 0x4000c
	s_and_b32 s5, ttmp6, 15
	s_add_co_i32 s4, s4, 1
	s_delay_alu instid0(SALU_CYCLE_1) | instskip(NEXT) | instid1(SALU_CYCLE_1)
	s_mul_i32 s4, ttmp9, s4
	s_add_co_i32 s5, s5, s4
	s_cmp_eq_u32 s6, 0
	s_cselect_b32 s10, ttmp9, s5
	s_load_b128 s[4:7], s[0:1], 0x28
	s_ashr_i32 s11, s10, 31
	s_delay_alu instid0(SALU_CYCLE_1) | instskip(NEXT) | instid1(SALU_CYCLE_1)
	s_lshl_b64 s[8:9], s[10:11], 3
	s_add_nc_u64 s[2:3], s[2:3], s[8:9]
	s_bfe_u32 s8, s13, 0x10008
	s_load_b64 s[2:3], s[2:3], 0x0
	s_cmp_eq_u32 s8, 0
                                        ; implicit-def: $sgpr8_sgpr9
	s_cbranch_scc1 .LBB97_3
; %bb.2:
	s_load_b96 s[16:18], s[0:1], 0x18
	s_wait_kmcnt 0x0
	s_mul_u64 s[4:5], s[4:5], s[10:11]
	s_delay_alu instid0(SALU_CYCLE_1) | instskip(SKIP_4) | instid1(SALU_CYCLE_1)
	s_lshl_b64 s[4:5], s[4:5], 2
	s_ashr_i32 s9, s18, 31
	s_mov_b32 s8, s18
	s_add_nc_u64 s[4:5], s[16:17], s[4:5]
	s_lshl_b64 s[8:9], s[8:9], 2
	s_add_nc_u64 s[8:9], s[4:5], s[8:9]
.LBB97_3:
	s_wait_kmcnt 0x0
	s_clause 0x1
	s_load_b64 s[4:5], s[0:1], 0x8
	s_load_b32 s13, s[0:1], 0x38
	v_dual_mov_b32 v71, 0 :: v_dual_lshlrev_b32 v70, 3, v0
	s_wait_kmcnt 0x0
	s_ashr_i32 s1, s4, 31
	s_mov_b32 s0, s4
	s_delay_alu instid0(SALU_CYCLE_1) | instskip(NEXT) | instid1(SALU_CYCLE_1)
	s_lshl_b64 s[0:1], s[0:1], 3
	s_add_nc_u64 s[2:3], s[2:3], s[0:1]
	s_ashr_i32 s1, s5, 31
	flat_load_b64 v[6:7], v0, s[2:3] scale_offset
	v_add_nc_u64_e32 v[2:3], s[2:3], v[70:71]
	s_mov_b32 s0, s5
	s_bitcmp0_b32 s13, 0
	s_delay_alu instid0(VALU_DEP_1)
	v_lshl_add_u64 v[4:5], s[0:1], 3, v[2:3]
	s_mov_b32 s1, -1
	s_wait_loadcnt_dscnt 0x0
	scratch_store_b64 off, v[6:7], off
	flat_load_b64 v[8:9], v[4:5]
	s_wait_xcnt 0x1
	v_add3_u32 v6, s5, s5, v0
	s_wait_loadcnt_dscnt 0x0
	scratch_store_b64 off, v[8:9], off offset:8
	flat_load_b64 v[10:11], v6, s[2:3] scale_offset
	s_wait_xcnt 0x1
	v_add_nc_u32_e32 v8, s5, v6
	s_wait_loadcnt_dscnt 0x0
	scratch_store_b64 off, v[10:11], off offset:16
	flat_load_b64 v[12:13], v8, s[2:3] scale_offset
	s_wait_xcnt 0x1
	v_add_nc_u32_e32 v10, s5, v8
	;; [unrolled: 5-line block ×31, first 2 shown]
	s_wait_loadcnt_dscnt 0x0
	scratch_store_b64 off, v[72:73], off offset:256
	flat_load_b64 v[72:73], v68, s[2:3] scale_offset
	s_wait_loadcnt_dscnt 0x0
	scratch_store_b64 off, v[72:73], off offset:264
	s_cbranch_scc1 .LBB97_148
; %bb.4:
	v_cmp_eq_u32_e64 s0, 0, v0
	s_wait_xcnt 0x0
	s_and_saveexec_b32 s1, s0
; %bb.5:
	v_mov_b32_e32 v1, 0
	ds_store_b32 v1, v1 offset:544
; %bb.6:
	s_or_b32 exec_lo, exec_lo, s1
	s_wait_storecnt_dscnt 0x0
	s_barrier_signal -1
	s_barrier_wait -1
	scratch_load_b64 v[72:73], v0, off scale_offset
	s_wait_loadcnt 0x0
	v_cmp_eq_f32_e32 vcc_lo, 0, v72
	v_cmp_eq_f32_e64 s1, 0, v73
	s_and_b32 s1, vcc_lo, s1
	s_delay_alu instid0(SALU_CYCLE_1)
	s_and_saveexec_b32 s4, s1
	s_cbranch_execz .LBB97_10
; %bb.7:
	v_mov_b32_e32 v1, 0
	s_mov_b32 s5, 0
	ds_load_b32 v7, v1 offset:544
	s_wait_dscnt 0x0
	v_readfirstlane_b32 s1, v7
	v_add_nc_u32_e32 v7, 1, v0
	s_cmp_eq_u32 s1, 0
	s_delay_alu instid0(VALU_DEP_1) | instskip(SKIP_1) | instid1(SALU_CYCLE_1)
	v_cmp_gt_i32_e32 vcc_lo, s1, v7
	s_cselect_b32 s13, -1, 0
	s_or_b32 s13, s13, vcc_lo
	s_delay_alu instid0(SALU_CYCLE_1)
	s_and_b32 exec_lo, exec_lo, s13
	s_cbranch_execz .LBB97_10
; %bb.8:
	v_mov_b32_e32 v9, s1
.LBB97_9:                               ; =>This Inner Loop Header: Depth=1
	ds_cmpstore_rtn_b32 v9, v1, v7, v9 offset:544
	s_wait_dscnt 0x0
	v_cmp_ne_u32_e32 vcc_lo, 0, v9
	v_cmp_le_i32_e64 s1, v9, v7
	s_and_b32 s1, vcc_lo, s1
	s_delay_alu instid0(SALU_CYCLE_1) | instskip(NEXT) | instid1(SALU_CYCLE_1)
	s_and_b32 s1, exec_lo, s1
	s_or_b32 s5, s1, s5
	s_delay_alu instid0(SALU_CYCLE_1)
	s_and_not1_b32 exec_lo, exec_lo, s5
	s_cbranch_execnz .LBB97_9
.LBB97_10:
	s_or_b32 exec_lo, exec_lo, s4
	v_mov_b32_e32 v1, 0
	s_barrier_signal -1
	s_barrier_wait -1
	ds_load_b32 v7, v1 offset:544
	s_and_saveexec_b32 s1, s0
	s_cbranch_execz .LBB97_12
; %bb.11:
	s_lshl_b64 s[4:5], s[10:11], 2
	s_delay_alu instid0(SALU_CYCLE_1)
	s_add_nc_u64 s[4:5], s[6:7], s[4:5]
	s_wait_dscnt 0x0
	global_store_b32 v1, v7, s[4:5]
.LBB97_12:
	s_wait_xcnt 0x0
	s_or_b32 exec_lo, exec_lo, s1
	s_wait_dscnt 0x0
	v_cmp_ne_u32_e32 vcc_lo, 0, v7
	s_mov_b32 s1, 0
	s_cbranch_vccnz .LBB97_148
; %bb.13:
	v_lshl_add_u32 v7, v0, 3, 0
                                        ; implicit-def: $vgpr75
                                        ; implicit-def: $vgpr76
	scratch_load_b64 v[72:73], v7, off
	s_wait_loadcnt 0x0
	v_cmp_ngt_f32_e64 s1, |v72|, |v73|
	s_wait_xcnt 0x0
	s_and_saveexec_b32 s4, s1
	s_delay_alu instid0(SALU_CYCLE_1)
	s_xor_b32 s1, exec_lo, s4
	s_cbranch_execz .LBB97_15
; %bb.14:
	v_div_scale_f32 v1, null, v73, v73, v72
	v_div_scale_f32 v13, vcc_lo, v72, v73, v72
	s_delay_alu instid0(VALU_DEP_2) | instskip(SKIP_1) | instid1(TRANS32_DEP_1)
	v_rcp_f32_e32 v9, v1
	v_nop
	v_fma_f32 v11, -v1, v9, 1.0
	s_delay_alu instid0(VALU_DEP_1) | instskip(NEXT) | instid1(VALU_DEP_1)
	v_fmac_f32_e32 v9, v11, v9
	v_mul_f32_e32 v11, v13, v9
	s_delay_alu instid0(VALU_DEP_1) | instskip(NEXT) | instid1(VALU_DEP_1)
	v_fma_f32 v15, -v1, v11, v13
	v_fmac_f32_e32 v11, v15, v9
	s_delay_alu instid0(VALU_DEP_1) | instskip(NEXT) | instid1(VALU_DEP_1)
	v_fma_f32 v1, -v1, v11, v13
	v_div_fmas_f32 v1, v1, v9, v11
	s_delay_alu instid0(VALU_DEP_1) | instskip(NEXT) | instid1(VALU_DEP_1)
	v_div_fixup_f32 v1, v1, v73, v72
	v_fmac_f32_e32 v73, v72, v1
	s_delay_alu instid0(VALU_DEP_1) | instskip(NEXT) | instid1(VALU_DEP_1)
	v_div_scale_f32 v9, null, v73, v73, -1.0
	v_rcp_f32_e32 v11, v9
	v_nop
	s_delay_alu instid0(TRANS32_DEP_1) | instskip(NEXT) | instid1(VALU_DEP_1)
	v_fma_f32 v13, -v9, v11, 1.0
	v_fmac_f32_e32 v11, v13, v11
	v_div_scale_f32 v13, vcc_lo, -1.0, v73, -1.0
	s_delay_alu instid0(VALU_DEP_1) | instskip(NEXT) | instid1(VALU_DEP_1)
	v_mul_f32_e32 v15, v13, v11
	v_fma_f32 v17, -v9, v15, v13
	s_delay_alu instid0(VALU_DEP_1) | instskip(NEXT) | instid1(VALU_DEP_1)
	v_fmac_f32_e32 v15, v17, v11
	v_fma_f32 v9, -v9, v15, v13
	s_delay_alu instid0(VALU_DEP_1) | instskip(NEXT) | instid1(VALU_DEP_1)
	v_div_fmas_f32 v9, v9, v11, v15
	v_div_fixup_f32 v75, v9, v73, -1.0
                                        ; implicit-def: $vgpr72_vgpr73
	s_delay_alu instid0(VALU_DEP_1) | instskip(NEXT) | instid1(VALU_DEP_1)
	v_mul_f32_e32 v76, v1, v75
	v_xor_b32_e32 v74, 0x80000000, v76
.LBB97_15:
	s_and_not1_saveexec_b32 s1, s1
	s_cbranch_execz .LBB97_17
; %bb.16:
	v_div_scale_f32 v1, null, v72, v72, v73
	v_div_scale_f32 v13, vcc_lo, v73, v72, v73
	s_delay_alu instid0(VALU_DEP_2) | instskip(SKIP_1) | instid1(TRANS32_DEP_1)
	v_rcp_f32_e32 v9, v1
	v_nop
	v_fma_f32 v11, -v1, v9, 1.0
	s_delay_alu instid0(VALU_DEP_1) | instskip(NEXT) | instid1(VALU_DEP_1)
	v_fmac_f32_e32 v9, v11, v9
	v_mul_f32_e32 v11, v13, v9
	s_delay_alu instid0(VALU_DEP_1) | instskip(NEXT) | instid1(VALU_DEP_1)
	v_fma_f32 v15, -v1, v11, v13
	v_fmac_f32_e32 v11, v15, v9
	s_delay_alu instid0(VALU_DEP_1) | instskip(NEXT) | instid1(VALU_DEP_1)
	v_fma_f32 v1, -v1, v11, v13
	v_div_fmas_f32 v1, v1, v9, v11
	s_delay_alu instid0(VALU_DEP_1) | instskip(NEXT) | instid1(VALU_DEP_1)
	v_div_fixup_f32 v1, v1, v72, v73
	v_fmac_f32_e32 v72, v73, v1
	s_delay_alu instid0(VALU_DEP_1) | instskip(SKIP_1) | instid1(VALU_DEP_2)
	v_div_scale_f32 v9, null, v72, v72, 1.0
	v_div_scale_f32 v15, vcc_lo, 1.0, v72, 1.0
	v_rcp_f32_e32 v11, v9
	v_nop
	s_delay_alu instid0(TRANS32_DEP_1) | instskip(NEXT) | instid1(VALU_DEP_1)
	v_fma_f32 v13, -v9, v11, 1.0
	v_fmac_f32_e32 v11, v13, v11
	s_delay_alu instid0(VALU_DEP_1) | instskip(NEXT) | instid1(VALU_DEP_1)
	v_mul_f32_e32 v13, v15, v11
	v_fma_f32 v17, -v9, v13, v15
	s_delay_alu instid0(VALU_DEP_1) | instskip(NEXT) | instid1(VALU_DEP_1)
	v_fmac_f32_e32 v13, v17, v11
	v_fma_f32 v9, -v9, v13, v15
	s_delay_alu instid0(VALU_DEP_1) | instskip(NEXT) | instid1(VALU_DEP_1)
	v_div_fmas_f32 v9, v9, v11, v13
	v_div_fixup_f32 v74, v9, v72, 1.0
	s_delay_alu instid0(VALU_DEP_1)
	v_xor_b32_e32 v76, 0x80000000, v74
	v_mul_f32_e64 v75, v1, -v74
.LBB97_17:
	s_or_b32 exec_lo, exec_lo, s1
	scratch_store_b64 v7, v[74:75], off
	scratch_load_b64 v[72:73], off, off offset:8
	v_xor_b32_e32 v77, 0x80000000, v75
	v_add_nc_u32_e32 v1, 0x110, v70
	s_wait_loadcnt 0x0
	ds_store_2addr_b64 v70, v[76:77], v[72:73] offset1:34
	s_wait_storecnt_dscnt 0x0
	s_barrier_signal -1
	s_barrier_wait -1
	s_wait_xcnt 0x0
	s_and_saveexec_b32 s1, s0
	s_cbranch_execz .LBB97_19
; %bb.18:
	scratch_load_b64 v[72:73], v7, off
	ds_load_b64 v[74:75], v1
	s_wait_loadcnt_dscnt 0x0
	v_pk_mul_f32 v[78:79], v[74:75], v[72:73] op_sel:[1,1] op_sel_hi:[0,1]
	s_delay_alu instid0(VALU_DEP_1) | instskip(SKIP_2) | instid1(VALU_DEP_3)
	v_pk_fma_f32 v[80:81], v[74:75], v[72:73], v[78:79] op_sel_hi:[1,0,1]
	v_mov_b32_e32 v9, 0
	v_pk_fma_f32 v[72:73], v[74:75], v[72:73], v[78:79] neg_lo:[0,0,1] neg_hi:[0,0,1]
	v_mov_b32_e32 v73, v81
	ds_load_b64 v[76:77], v9 offset:8
	v_pk_add_f32 v[72:73], v[72:73], 0 op_sel_hi:[1,0]
	s_wait_dscnt 0x0
	s_delay_alu instid0(VALU_DEP_1) | instskip(NEXT) | instid1(VALU_DEP_1)
	v_pk_mul_f32 v[74:75], v[72:73], v[76:77] op_sel:[1,1] op_sel_hi:[0,1]
	v_pk_fma_f32 v[78:79], v[72:73], v[76:77], v[74:75] op_sel_hi:[1,0,1]
	v_pk_fma_f32 v[72:73], v[72:73], v[76:77], v[74:75] neg_lo:[0,0,1] neg_hi:[0,0,1]
	s_delay_alu instid0(VALU_DEP_2)
	v_mov_b32_e32 v73, v79
	scratch_store_b64 off, v[72:73], off offset:8
.LBB97_19:
	s_wait_xcnt 0x0
	s_or_b32 exec_lo, exec_lo, s1
	s_wait_storecnt 0x0
	s_barrier_signal -1
	s_barrier_wait -1
	scratch_load_b64 v[72:73], off, off offset:16
	s_mov_b32 s1, exec_lo
	s_wait_loadcnt 0x0
	ds_store_b64 v1, v[72:73]
	s_wait_dscnt 0x0
	s_barrier_signal -1
	s_barrier_wait -1
	v_cmpx_gt_u32_e32 2, v0
	s_cbranch_execz .LBB97_23
; %bb.20:
	scratch_load_b64 v[72:73], v7, off
	ds_load_b64 v[74:75], v1
	s_wait_loadcnt_dscnt 0x0
	v_pk_mul_f32 v[76:77], v[74:75], v[72:73] op_sel:[1,1] op_sel_hi:[0,1]
	s_delay_alu instid0(VALU_DEP_1) | instskip(SKIP_1) | instid1(VALU_DEP_2)
	v_pk_fma_f32 v[78:79], v[74:75], v[72:73], v[76:77] op_sel_hi:[1,0,1]
	v_pk_fma_f32 v[72:73], v[74:75], v[72:73], v[76:77] neg_lo:[0,0,1] neg_hi:[0,0,1]
	v_mov_b32_e32 v73, v79
	s_delay_alu instid0(VALU_DEP_1)
	v_pk_add_f32 v[72:73], v[72:73], 0 op_sel_hi:[1,0]
	s_and_saveexec_b32 s4, s0
	s_cbranch_execz .LBB97_22
; %bb.21:
	scratch_load_b64 v[74:75], off, off offset:8
	v_mov_b32_e32 v7, 0
	ds_load_b64 v[76:77], v7 offset:280
	s_wait_loadcnt_dscnt 0x0
	v_pk_mul_f32 v[78:79], v[76:77], v[74:75] op_sel:[1,1] op_sel_hi:[0,1]
	s_delay_alu instid0(VALU_DEP_1) | instskip(SKIP_1) | instid1(VALU_DEP_2)
	v_pk_fma_f32 v[80:81], v[76:77], v[74:75], v[78:79] op_sel_hi:[1,0,1]
	v_pk_fma_f32 v[74:75], v[76:77], v[74:75], v[78:79] neg_lo:[0,0,1] neg_hi:[0,0,1]
	v_mov_b32_e32 v75, v81
	s_delay_alu instid0(VALU_DEP_1)
	v_pk_add_f32 v[72:73], v[72:73], v[74:75]
.LBB97_22:
	s_or_b32 exec_lo, exec_lo, s4
	v_mov_b32_e32 v7, 0
	ds_load_b64 v[74:75], v7 offset:16
	s_wait_dscnt 0x0
	v_pk_mul_f32 v[76:77], v[72:73], v[74:75] op_sel:[1,1] op_sel_hi:[0,1]
	s_delay_alu instid0(VALU_DEP_1) | instskip(SKIP_1) | instid1(VALU_DEP_2)
	v_pk_fma_f32 v[78:79], v[72:73], v[74:75], v[76:77] op_sel_hi:[1,0,1]
	v_pk_fma_f32 v[72:73], v[72:73], v[74:75], v[76:77] neg_lo:[0,0,1] neg_hi:[0,0,1]
	v_mov_b32_e32 v73, v79
	scratch_store_b64 off, v[72:73], off offset:16
.LBB97_23:
	s_wait_xcnt 0x0
	s_or_b32 exec_lo, exec_lo, s1
	s_wait_storecnt 0x0
	s_barrier_signal -1
	s_barrier_wait -1
	scratch_load_b64 v[72:73], off, off offset:24
	v_add_nc_u32_e32 v7, -1, v0
	s_mov_b32 s0, exec_lo
	s_wait_loadcnt 0x0
	ds_store_b64 v1, v[72:73]
	s_wait_dscnt 0x0
	s_barrier_signal -1
	s_barrier_wait -1
	v_cmpx_gt_u32_e32 3, v0
	s_cbranch_execz .LBB97_27
; %bb.24:
	v_dual_mov_b32 v72, 0 :: v_dual_add_nc_u32 v9, -1, v0
	v_add_nc_u32_e32 v11, 0x110, v70
	v_mov_b32_e32 v13, v70
	s_mov_b32 s1, 0
	s_delay_alu instid0(VALU_DEP_3)
	v_mov_b32_e32 v73, v72
.LBB97_25:                              ; =>This Inner Loop Header: Depth=1
	scratch_load_b64 v[74:75], v13, off
	ds_load_b64 v[76:77], v11
	s_wait_xcnt 0x0
	v_dual_add_nc_u32 v11, 8, v11 :: v_dual_add_nc_u32 v13, 8, v13
	s_wait_loadcnt_dscnt 0x0
	v_pk_mul_f32 v[78:79], v[76:77], v[74:75] op_sel:[1,1] op_sel_hi:[0,1]
	s_delay_alu instid0(VALU_DEP_1) | instskip(SKIP_2) | instid1(VALU_DEP_3)
	v_pk_fma_f32 v[80:81], v[76:77], v[74:75], v[78:79] op_sel_hi:[1,0,1]
	v_add_nc_u32_e32 v9, 1, v9
	v_pk_fma_f32 v[74:75], v[76:77], v[74:75], v[78:79] neg_lo:[0,0,1] neg_hi:[0,0,1]
	v_mov_b32_e32 v75, v81
	s_delay_alu instid0(VALU_DEP_3) | instskip(NEXT) | instid1(VALU_DEP_2)
	v_cmp_lt_u32_e32 vcc_lo, 1, v9
	v_pk_add_f32 v[72:73], v[72:73], v[74:75]
	s_or_b32 s1, vcc_lo, s1
	s_delay_alu instid0(SALU_CYCLE_1)
	s_and_not1_b32 exec_lo, exec_lo, s1
	s_cbranch_execnz .LBB97_25
; %bb.26:
	s_or_b32 exec_lo, exec_lo, s1
	v_mov_b32_e32 v9, 0
	ds_load_b64 v[74:75], v9 offset:24
	s_wait_dscnt 0x0
	v_pk_mul_f32 v[76:77], v[72:73], v[74:75] op_sel:[1,1] op_sel_hi:[0,1]
	s_delay_alu instid0(VALU_DEP_1) | instskip(SKIP_1) | instid1(VALU_DEP_2)
	v_pk_fma_f32 v[78:79], v[72:73], v[74:75], v[76:77] op_sel_hi:[1,0,1]
	v_pk_fma_f32 v[72:73], v[72:73], v[74:75], v[76:77] neg_lo:[0,0,1] neg_hi:[0,0,1]
	v_mov_b32_e32 v73, v79
	scratch_store_b64 off, v[72:73], off offset:24
.LBB97_27:
	s_wait_xcnt 0x0
	s_or_b32 exec_lo, exec_lo, s0
	s_wait_storecnt 0x0
	s_barrier_signal -1
	s_barrier_wait -1
	scratch_load_b64 v[72:73], off, off offset:32
	s_mov_b32 s0, exec_lo
	s_wait_loadcnt 0x0
	ds_store_b64 v1, v[72:73]
	s_wait_dscnt 0x0
	s_barrier_signal -1
	s_barrier_wait -1
	v_cmpx_gt_u32_e32 4, v0
	s_cbranch_execz .LBB97_31
; %bb.28:
	v_dual_mov_b32 v72, 0 :: v_dual_add_nc_u32 v9, -1, v0
	v_add_nc_u32_e32 v11, 0x110, v70
	v_mov_b32_e32 v13, v70
	s_mov_b32 s1, 0
	s_delay_alu instid0(VALU_DEP_3)
	v_mov_b32_e32 v73, v72
.LBB97_29:                              ; =>This Inner Loop Header: Depth=1
	scratch_load_b64 v[74:75], v13, off
	ds_load_b64 v[76:77], v11
	s_wait_xcnt 0x0
	v_dual_add_nc_u32 v11, 8, v11 :: v_dual_add_nc_u32 v13, 8, v13
	s_wait_loadcnt_dscnt 0x0
	v_pk_mul_f32 v[78:79], v[76:77], v[74:75] op_sel:[1,1] op_sel_hi:[0,1]
	s_delay_alu instid0(VALU_DEP_1) | instskip(SKIP_2) | instid1(VALU_DEP_3)
	v_pk_fma_f32 v[80:81], v[76:77], v[74:75], v[78:79] op_sel_hi:[1,0,1]
	v_add_nc_u32_e32 v9, 1, v9
	v_pk_fma_f32 v[74:75], v[76:77], v[74:75], v[78:79] neg_lo:[0,0,1] neg_hi:[0,0,1]
	v_mov_b32_e32 v75, v81
	s_delay_alu instid0(VALU_DEP_3) | instskip(NEXT) | instid1(VALU_DEP_2)
	v_cmp_lt_u32_e32 vcc_lo, 2, v9
	v_pk_add_f32 v[72:73], v[72:73], v[74:75]
	s_or_b32 s1, vcc_lo, s1
	s_delay_alu instid0(SALU_CYCLE_1)
	s_and_not1_b32 exec_lo, exec_lo, s1
	s_cbranch_execnz .LBB97_29
; %bb.30:
	s_or_b32 exec_lo, exec_lo, s1
	v_mov_b32_e32 v9, 0
	ds_load_b64 v[74:75], v9 offset:32
	s_wait_dscnt 0x0
	v_pk_mul_f32 v[76:77], v[72:73], v[74:75] op_sel:[1,1] op_sel_hi:[0,1]
	s_delay_alu instid0(VALU_DEP_1) | instskip(SKIP_1) | instid1(VALU_DEP_2)
	v_pk_fma_f32 v[78:79], v[72:73], v[74:75], v[76:77] op_sel_hi:[1,0,1]
	v_pk_fma_f32 v[72:73], v[72:73], v[74:75], v[76:77] neg_lo:[0,0,1] neg_hi:[0,0,1]
	v_mov_b32_e32 v73, v79
	scratch_store_b64 off, v[72:73], off offset:32
.LBB97_31:
	s_wait_xcnt 0x0
	s_or_b32 exec_lo, exec_lo, s0
	s_wait_storecnt 0x0
	s_barrier_signal -1
	s_barrier_wait -1
	scratch_load_b64 v[72:73], off, off offset:40
	s_mov_b32 s0, exec_lo
	s_wait_loadcnt 0x0
	ds_store_b64 v1, v[72:73]
	s_wait_dscnt 0x0
	s_barrier_signal -1
	s_barrier_wait -1
	v_cmpx_gt_u32_e32 5, v0
	s_cbranch_execz .LBB97_35
; %bb.32:
	v_dual_mov_b32 v72, 0 :: v_dual_add_nc_u32 v9, -1, v0
	v_add_nc_u32_e32 v11, 0x110, v70
	v_mov_b32_e32 v13, v70
	s_mov_b32 s1, 0
	s_delay_alu instid0(VALU_DEP_3)
	v_mov_b32_e32 v73, v72
.LBB97_33:                              ; =>This Inner Loop Header: Depth=1
	scratch_load_b64 v[74:75], v13, off
	ds_load_b64 v[76:77], v11
	s_wait_xcnt 0x0
	v_dual_add_nc_u32 v11, 8, v11 :: v_dual_add_nc_u32 v13, 8, v13
	s_wait_loadcnt_dscnt 0x0
	v_pk_mul_f32 v[78:79], v[76:77], v[74:75] op_sel:[1,1] op_sel_hi:[0,1]
	s_delay_alu instid0(VALU_DEP_1) | instskip(SKIP_2) | instid1(VALU_DEP_3)
	v_pk_fma_f32 v[80:81], v[76:77], v[74:75], v[78:79] op_sel_hi:[1,0,1]
	v_add_nc_u32_e32 v9, 1, v9
	v_pk_fma_f32 v[74:75], v[76:77], v[74:75], v[78:79] neg_lo:[0,0,1] neg_hi:[0,0,1]
	v_mov_b32_e32 v75, v81
	s_delay_alu instid0(VALU_DEP_3) | instskip(NEXT) | instid1(VALU_DEP_2)
	v_cmp_lt_u32_e32 vcc_lo, 3, v9
	v_pk_add_f32 v[72:73], v[72:73], v[74:75]
	s_or_b32 s1, vcc_lo, s1
	s_delay_alu instid0(SALU_CYCLE_1)
	s_and_not1_b32 exec_lo, exec_lo, s1
	s_cbranch_execnz .LBB97_33
; %bb.34:
	s_or_b32 exec_lo, exec_lo, s1
	v_mov_b32_e32 v9, 0
	ds_load_b64 v[74:75], v9 offset:40
	s_wait_dscnt 0x0
	v_pk_mul_f32 v[76:77], v[72:73], v[74:75] op_sel:[1,1] op_sel_hi:[0,1]
	s_delay_alu instid0(VALU_DEP_1) | instskip(SKIP_1) | instid1(VALU_DEP_2)
	v_pk_fma_f32 v[78:79], v[72:73], v[74:75], v[76:77] op_sel_hi:[1,0,1]
	v_pk_fma_f32 v[72:73], v[72:73], v[74:75], v[76:77] neg_lo:[0,0,1] neg_hi:[0,0,1]
	v_mov_b32_e32 v73, v79
	scratch_store_b64 off, v[72:73], off offset:40
.LBB97_35:
	s_wait_xcnt 0x0
	s_or_b32 exec_lo, exec_lo, s0
	s_wait_storecnt 0x0
	s_barrier_signal -1
	s_barrier_wait -1
	scratch_load_b64 v[72:73], off, off offset:48
	s_mov_b32 s0, exec_lo
	s_wait_loadcnt 0x0
	ds_store_b64 v1, v[72:73]
	s_wait_dscnt 0x0
	s_barrier_signal -1
	s_barrier_wait -1
	v_cmpx_gt_u32_e32 6, v0
	s_cbranch_execz .LBB97_39
; %bb.36:
	v_dual_mov_b32 v72, 0 :: v_dual_add_nc_u32 v9, -1, v0
	v_add_nc_u32_e32 v11, 0x110, v70
	v_mov_b32_e32 v13, v70
	s_mov_b32 s1, 0
	s_delay_alu instid0(VALU_DEP_3)
	v_mov_b32_e32 v73, v72
.LBB97_37:                              ; =>This Inner Loop Header: Depth=1
	scratch_load_b64 v[74:75], v13, off
	ds_load_b64 v[76:77], v11
	s_wait_xcnt 0x0
	v_dual_add_nc_u32 v11, 8, v11 :: v_dual_add_nc_u32 v13, 8, v13
	s_wait_loadcnt_dscnt 0x0
	v_pk_mul_f32 v[78:79], v[76:77], v[74:75] op_sel:[1,1] op_sel_hi:[0,1]
	s_delay_alu instid0(VALU_DEP_1) | instskip(SKIP_2) | instid1(VALU_DEP_3)
	v_pk_fma_f32 v[80:81], v[76:77], v[74:75], v[78:79] op_sel_hi:[1,0,1]
	v_add_nc_u32_e32 v9, 1, v9
	v_pk_fma_f32 v[74:75], v[76:77], v[74:75], v[78:79] neg_lo:[0,0,1] neg_hi:[0,0,1]
	v_mov_b32_e32 v75, v81
	s_delay_alu instid0(VALU_DEP_3) | instskip(NEXT) | instid1(VALU_DEP_2)
	v_cmp_lt_u32_e32 vcc_lo, 4, v9
	v_pk_add_f32 v[72:73], v[72:73], v[74:75]
	s_or_b32 s1, vcc_lo, s1
	s_delay_alu instid0(SALU_CYCLE_1)
	s_and_not1_b32 exec_lo, exec_lo, s1
	s_cbranch_execnz .LBB97_37
; %bb.38:
	s_or_b32 exec_lo, exec_lo, s1
	v_mov_b32_e32 v9, 0
	ds_load_b64 v[74:75], v9 offset:48
	s_wait_dscnt 0x0
	v_pk_mul_f32 v[76:77], v[72:73], v[74:75] op_sel:[1,1] op_sel_hi:[0,1]
	s_delay_alu instid0(VALU_DEP_1) | instskip(SKIP_1) | instid1(VALU_DEP_2)
	v_pk_fma_f32 v[78:79], v[72:73], v[74:75], v[76:77] op_sel_hi:[1,0,1]
	v_pk_fma_f32 v[72:73], v[72:73], v[74:75], v[76:77] neg_lo:[0,0,1] neg_hi:[0,0,1]
	v_mov_b32_e32 v73, v79
	scratch_store_b64 off, v[72:73], off offset:48
.LBB97_39:
	s_wait_xcnt 0x0
	s_or_b32 exec_lo, exec_lo, s0
	s_wait_storecnt 0x0
	s_barrier_signal -1
	s_barrier_wait -1
	scratch_load_b64 v[72:73], off, off offset:56
	s_mov_b32 s0, exec_lo
	s_wait_loadcnt 0x0
	ds_store_b64 v1, v[72:73]
	s_wait_dscnt 0x0
	s_barrier_signal -1
	s_barrier_wait -1
	v_cmpx_gt_u32_e32 7, v0
	s_cbranch_execz .LBB97_43
; %bb.40:
	v_dual_mov_b32 v72, 0 :: v_dual_add_nc_u32 v9, -1, v0
	v_add_nc_u32_e32 v11, 0x110, v70
	v_mov_b32_e32 v13, v70
	s_mov_b32 s1, 0
	s_delay_alu instid0(VALU_DEP_3)
	v_mov_b32_e32 v73, v72
.LBB97_41:                              ; =>This Inner Loop Header: Depth=1
	scratch_load_b64 v[74:75], v13, off
	ds_load_b64 v[76:77], v11
	s_wait_xcnt 0x0
	v_dual_add_nc_u32 v11, 8, v11 :: v_dual_add_nc_u32 v13, 8, v13
	s_wait_loadcnt_dscnt 0x0
	v_pk_mul_f32 v[78:79], v[76:77], v[74:75] op_sel:[1,1] op_sel_hi:[0,1]
	s_delay_alu instid0(VALU_DEP_1) | instskip(SKIP_2) | instid1(VALU_DEP_3)
	v_pk_fma_f32 v[80:81], v[76:77], v[74:75], v[78:79] op_sel_hi:[1,0,1]
	v_add_nc_u32_e32 v9, 1, v9
	v_pk_fma_f32 v[74:75], v[76:77], v[74:75], v[78:79] neg_lo:[0,0,1] neg_hi:[0,0,1]
	v_mov_b32_e32 v75, v81
	s_delay_alu instid0(VALU_DEP_3) | instskip(NEXT) | instid1(VALU_DEP_2)
	v_cmp_lt_u32_e32 vcc_lo, 5, v9
	v_pk_add_f32 v[72:73], v[72:73], v[74:75]
	s_or_b32 s1, vcc_lo, s1
	s_delay_alu instid0(SALU_CYCLE_1)
	s_and_not1_b32 exec_lo, exec_lo, s1
	s_cbranch_execnz .LBB97_41
; %bb.42:
	s_or_b32 exec_lo, exec_lo, s1
	v_mov_b32_e32 v9, 0
	ds_load_b64 v[74:75], v9 offset:56
	s_wait_dscnt 0x0
	v_pk_mul_f32 v[76:77], v[72:73], v[74:75] op_sel:[1,1] op_sel_hi:[0,1]
	s_delay_alu instid0(VALU_DEP_1) | instskip(SKIP_1) | instid1(VALU_DEP_2)
	v_pk_fma_f32 v[78:79], v[72:73], v[74:75], v[76:77] op_sel_hi:[1,0,1]
	v_pk_fma_f32 v[72:73], v[72:73], v[74:75], v[76:77] neg_lo:[0,0,1] neg_hi:[0,0,1]
	v_mov_b32_e32 v73, v79
	scratch_store_b64 off, v[72:73], off offset:56
.LBB97_43:
	s_wait_xcnt 0x0
	s_or_b32 exec_lo, exec_lo, s0
	s_wait_storecnt 0x0
	s_barrier_signal -1
	s_barrier_wait -1
	scratch_load_b64 v[72:73], off, off offset:64
	s_mov_b32 s0, exec_lo
	s_wait_loadcnt 0x0
	ds_store_b64 v1, v[72:73]
	s_wait_dscnt 0x0
	s_barrier_signal -1
	s_barrier_wait -1
	v_cmpx_gt_u32_e32 8, v0
	s_cbranch_execz .LBB97_47
; %bb.44:
	v_dual_mov_b32 v72, 0 :: v_dual_add_nc_u32 v9, -1, v0
	v_add_nc_u32_e32 v11, 0x110, v70
	v_mov_b32_e32 v13, v70
	s_mov_b32 s1, 0
	s_delay_alu instid0(VALU_DEP_3)
	v_mov_b32_e32 v73, v72
.LBB97_45:                              ; =>This Inner Loop Header: Depth=1
	scratch_load_b64 v[74:75], v13, off
	ds_load_b64 v[76:77], v11
	s_wait_xcnt 0x0
	v_dual_add_nc_u32 v11, 8, v11 :: v_dual_add_nc_u32 v13, 8, v13
	s_wait_loadcnt_dscnt 0x0
	v_pk_mul_f32 v[78:79], v[76:77], v[74:75] op_sel:[1,1] op_sel_hi:[0,1]
	s_delay_alu instid0(VALU_DEP_1) | instskip(SKIP_2) | instid1(VALU_DEP_3)
	v_pk_fma_f32 v[80:81], v[76:77], v[74:75], v[78:79] op_sel_hi:[1,0,1]
	v_add_nc_u32_e32 v9, 1, v9
	v_pk_fma_f32 v[74:75], v[76:77], v[74:75], v[78:79] neg_lo:[0,0,1] neg_hi:[0,0,1]
	v_mov_b32_e32 v75, v81
	s_delay_alu instid0(VALU_DEP_3) | instskip(NEXT) | instid1(VALU_DEP_2)
	v_cmp_lt_u32_e32 vcc_lo, 6, v9
	v_pk_add_f32 v[72:73], v[72:73], v[74:75]
	s_or_b32 s1, vcc_lo, s1
	s_delay_alu instid0(SALU_CYCLE_1)
	s_and_not1_b32 exec_lo, exec_lo, s1
	s_cbranch_execnz .LBB97_45
; %bb.46:
	s_or_b32 exec_lo, exec_lo, s1
	v_mov_b32_e32 v9, 0
	ds_load_b64 v[74:75], v9 offset:64
	s_wait_dscnt 0x0
	v_pk_mul_f32 v[76:77], v[72:73], v[74:75] op_sel:[1,1] op_sel_hi:[0,1]
	s_delay_alu instid0(VALU_DEP_1) | instskip(SKIP_1) | instid1(VALU_DEP_2)
	v_pk_fma_f32 v[78:79], v[72:73], v[74:75], v[76:77] op_sel_hi:[1,0,1]
	v_pk_fma_f32 v[72:73], v[72:73], v[74:75], v[76:77] neg_lo:[0,0,1] neg_hi:[0,0,1]
	v_mov_b32_e32 v73, v79
	scratch_store_b64 off, v[72:73], off offset:64
.LBB97_47:
	s_wait_xcnt 0x0
	s_or_b32 exec_lo, exec_lo, s0
	s_wait_storecnt 0x0
	s_barrier_signal -1
	s_barrier_wait -1
	scratch_load_b64 v[72:73], off, off offset:72
	s_mov_b32 s0, exec_lo
	s_wait_loadcnt 0x0
	ds_store_b64 v1, v[72:73]
	s_wait_dscnt 0x0
	s_barrier_signal -1
	s_barrier_wait -1
	v_cmpx_gt_u32_e32 9, v0
	s_cbranch_execz .LBB97_51
; %bb.48:
	v_dual_mov_b32 v72, 0 :: v_dual_add_nc_u32 v9, -1, v0
	v_add_nc_u32_e32 v11, 0x110, v70
	v_mov_b32_e32 v13, v70
	s_mov_b32 s1, 0
	s_delay_alu instid0(VALU_DEP_3)
	v_mov_b32_e32 v73, v72
.LBB97_49:                              ; =>This Inner Loop Header: Depth=1
	scratch_load_b64 v[74:75], v13, off
	ds_load_b64 v[76:77], v11
	s_wait_xcnt 0x0
	v_dual_add_nc_u32 v11, 8, v11 :: v_dual_add_nc_u32 v13, 8, v13
	s_wait_loadcnt_dscnt 0x0
	v_pk_mul_f32 v[78:79], v[76:77], v[74:75] op_sel:[1,1] op_sel_hi:[0,1]
	s_delay_alu instid0(VALU_DEP_1) | instskip(SKIP_2) | instid1(VALU_DEP_3)
	v_pk_fma_f32 v[80:81], v[76:77], v[74:75], v[78:79] op_sel_hi:[1,0,1]
	v_add_nc_u32_e32 v9, 1, v9
	v_pk_fma_f32 v[74:75], v[76:77], v[74:75], v[78:79] neg_lo:[0,0,1] neg_hi:[0,0,1]
	v_mov_b32_e32 v75, v81
	s_delay_alu instid0(VALU_DEP_3) | instskip(NEXT) | instid1(VALU_DEP_2)
	v_cmp_lt_u32_e32 vcc_lo, 7, v9
	v_pk_add_f32 v[72:73], v[72:73], v[74:75]
	s_or_b32 s1, vcc_lo, s1
	s_delay_alu instid0(SALU_CYCLE_1)
	s_and_not1_b32 exec_lo, exec_lo, s1
	s_cbranch_execnz .LBB97_49
; %bb.50:
	s_or_b32 exec_lo, exec_lo, s1
	v_mov_b32_e32 v9, 0
	ds_load_b64 v[74:75], v9 offset:72
	s_wait_dscnt 0x0
	v_pk_mul_f32 v[76:77], v[72:73], v[74:75] op_sel:[1,1] op_sel_hi:[0,1]
	s_delay_alu instid0(VALU_DEP_1) | instskip(SKIP_1) | instid1(VALU_DEP_2)
	v_pk_fma_f32 v[78:79], v[72:73], v[74:75], v[76:77] op_sel_hi:[1,0,1]
	v_pk_fma_f32 v[72:73], v[72:73], v[74:75], v[76:77] neg_lo:[0,0,1] neg_hi:[0,0,1]
	v_mov_b32_e32 v73, v79
	scratch_store_b64 off, v[72:73], off offset:72
.LBB97_51:
	s_wait_xcnt 0x0
	s_or_b32 exec_lo, exec_lo, s0
	s_wait_storecnt 0x0
	s_barrier_signal -1
	s_barrier_wait -1
	scratch_load_b64 v[72:73], off, off offset:80
	s_mov_b32 s0, exec_lo
	s_wait_loadcnt 0x0
	ds_store_b64 v1, v[72:73]
	s_wait_dscnt 0x0
	s_barrier_signal -1
	s_barrier_wait -1
	v_cmpx_gt_u32_e32 10, v0
	s_cbranch_execz .LBB97_55
; %bb.52:
	v_dual_mov_b32 v72, 0 :: v_dual_add_nc_u32 v9, -1, v0
	v_add_nc_u32_e32 v11, 0x110, v70
	v_mov_b32_e32 v13, v70
	s_mov_b32 s1, 0
	s_delay_alu instid0(VALU_DEP_3)
	v_mov_b32_e32 v73, v72
.LBB97_53:                              ; =>This Inner Loop Header: Depth=1
	scratch_load_b64 v[74:75], v13, off
	ds_load_b64 v[76:77], v11
	s_wait_xcnt 0x0
	v_dual_add_nc_u32 v11, 8, v11 :: v_dual_add_nc_u32 v13, 8, v13
	s_wait_loadcnt_dscnt 0x0
	v_pk_mul_f32 v[78:79], v[76:77], v[74:75] op_sel:[1,1] op_sel_hi:[0,1]
	s_delay_alu instid0(VALU_DEP_1) | instskip(SKIP_2) | instid1(VALU_DEP_3)
	v_pk_fma_f32 v[80:81], v[76:77], v[74:75], v[78:79] op_sel_hi:[1,0,1]
	v_add_nc_u32_e32 v9, 1, v9
	v_pk_fma_f32 v[74:75], v[76:77], v[74:75], v[78:79] neg_lo:[0,0,1] neg_hi:[0,0,1]
	v_mov_b32_e32 v75, v81
	s_delay_alu instid0(VALU_DEP_3) | instskip(NEXT) | instid1(VALU_DEP_2)
	v_cmp_lt_u32_e32 vcc_lo, 8, v9
	v_pk_add_f32 v[72:73], v[72:73], v[74:75]
	s_or_b32 s1, vcc_lo, s1
	s_delay_alu instid0(SALU_CYCLE_1)
	s_and_not1_b32 exec_lo, exec_lo, s1
	s_cbranch_execnz .LBB97_53
; %bb.54:
	s_or_b32 exec_lo, exec_lo, s1
	v_mov_b32_e32 v9, 0
	ds_load_b64 v[74:75], v9 offset:80
	s_wait_dscnt 0x0
	v_pk_mul_f32 v[76:77], v[72:73], v[74:75] op_sel:[1,1] op_sel_hi:[0,1]
	s_delay_alu instid0(VALU_DEP_1) | instskip(SKIP_1) | instid1(VALU_DEP_2)
	v_pk_fma_f32 v[78:79], v[72:73], v[74:75], v[76:77] op_sel_hi:[1,0,1]
	v_pk_fma_f32 v[72:73], v[72:73], v[74:75], v[76:77] neg_lo:[0,0,1] neg_hi:[0,0,1]
	v_mov_b32_e32 v73, v79
	scratch_store_b64 off, v[72:73], off offset:80
.LBB97_55:
	s_wait_xcnt 0x0
	s_or_b32 exec_lo, exec_lo, s0
	s_wait_storecnt 0x0
	s_barrier_signal -1
	s_barrier_wait -1
	scratch_load_b64 v[72:73], off, off offset:88
	s_mov_b32 s0, exec_lo
	s_wait_loadcnt 0x0
	ds_store_b64 v1, v[72:73]
	s_wait_dscnt 0x0
	s_barrier_signal -1
	s_barrier_wait -1
	v_cmpx_gt_u32_e32 11, v0
	s_cbranch_execz .LBB97_59
; %bb.56:
	v_dual_mov_b32 v72, 0 :: v_dual_add_nc_u32 v9, -1, v0
	v_add_nc_u32_e32 v11, 0x110, v70
	v_mov_b32_e32 v13, v70
	s_mov_b32 s1, 0
	s_delay_alu instid0(VALU_DEP_3)
	v_mov_b32_e32 v73, v72
.LBB97_57:                              ; =>This Inner Loop Header: Depth=1
	scratch_load_b64 v[74:75], v13, off
	ds_load_b64 v[76:77], v11
	s_wait_xcnt 0x0
	v_dual_add_nc_u32 v11, 8, v11 :: v_dual_add_nc_u32 v13, 8, v13
	s_wait_loadcnt_dscnt 0x0
	v_pk_mul_f32 v[78:79], v[76:77], v[74:75] op_sel:[1,1] op_sel_hi:[0,1]
	s_delay_alu instid0(VALU_DEP_1) | instskip(SKIP_2) | instid1(VALU_DEP_3)
	v_pk_fma_f32 v[80:81], v[76:77], v[74:75], v[78:79] op_sel_hi:[1,0,1]
	v_add_nc_u32_e32 v9, 1, v9
	v_pk_fma_f32 v[74:75], v[76:77], v[74:75], v[78:79] neg_lo:[0,0,1] neg_hi:[0,0,1]
	v_mov_b32_e32 v75, v81
	s_delay_alu instid0(VALU_DEP_3) | instskip(NEXT) | instid1(VALU_DEP_2)
	v_cmp_lt_u32_e32 vcc_lo, 9, v9
	v_pk_add_f32 v[72:73], v[72:73], v[74:75]
	s_or_b32 s1, vcc_lo, s1
	s_delay_alu instid0(SALU_CYCLE_1)
	s_and_not1_b32 exec_lo, exec_lo, s1
	s_cbranch_execnz .LBB97_57
; %bb.58:
	s_or_b32 exec_lo, exec_lo, s1
	v_mov_b32_e32 v9, 0
	ds_load_b64 v[74:75], v9 offset:88
	s_wait_dscnt 0x0
	v_pk_mul_f32 v[76:77], v[72:73], v[74:75] op_sel:[1,1] op_sel_hi:[0,1]
	s_delay_alu instid0(VALU_DEP_1) | instskip(SKIP_1) | instid1(VALU_DEP_2)
	v_pk_fma_f32 v[78:79], v[72:73], v[74:75], v[76:77] op_sel_hi:[1,0,1]
	v_pk_fma_f32 v[72:73], v[72:73], v[74:75], v[76:77] neg_lo:[0,0,1] neg_hi:[0,0,1]
	v_mov_b32_e32 v73, v79
	scratch_store_b64 off, v[72:73], off offset:88
.LBB97_59:
	s_wait_xcnt 0x0
	s_or_b32 exec_lo, exec_lo, s0
	s_wait_storecnt 0x0
	s_barrier_signal -1
	s_barrier_wait -1
	scratch_load_b64 v[72:73], off, off offset:96
	s_mov_b32 s0, exec_lo
	s_wait_loadcnt 0x0
	ds_store_b64 v1, v[72:73]
	s_wait_dscnt 0x0
	s_barrier_signal -1
	s_barrier_wait -1
	v_cmpx_gt_u32_e32 12, v0
	s_cbranch_execz .LBB97_63
; %bb.60:
	v_dual_mov_b32 v72, 0 :: v_dual_add_nc_u32 v9, -1, v0
	v_add_nc_u32_e32 v11, 0x110, v70
	v_mov_b32_e32 v13, v70
	s_mov_b32 s1, 0
	s_delay_alu instid0(VALU_DEP_3)
	v_mov_b32_e32 v73, v72
.LBB97_61:                              ; =>This Inner Loop Header: Depth=1
	scratch_load_b64 v[74:75], v13, off
	ds_load_b64 v[76:77], v11
	s_wait_xcnt 0x0
	v_dual_add_nc_u32 v11, 8, v11 :: v_dual_add_nc_u32 v13, 8, v13
	s_wait_loadcnt_dscnt 0x0
	v_pk_mul_f32 v[78:79], v[76:77], v[74:75] op_sel:[1,1] op_sel_hi:[0,1]
	s_delay_alu instid0(VALU_DEP_1) | instskip(SKIP_2) | instid1(VALU_DEP_3)
	v_pk_fma_f32 v[80:81], v[76:77], v[74:75], v[78:79] op_sel_hi:[1,0,1]
	v_add_nc_u32_e32 v9, 1, v9
	v_pk_fma_f32 v[74:75], v[76:77], v[74:75], v[78:79] neg_lo:[0,0,1] neg_hi:[0,0,1]
	v_mov_b32_e32 v75, v81
	s_delay_alu instid0(VALU_DEP_3) | instskip(NEXT) | instid1(VALU_DEP_2)
	v_cmp_lt_u32_e32 vcc_lo, 10, v9
	v_pk_add_f32 v[72:73], v[72:73], v[74:75]
	s_or_b32 s1, vcc_lo, s1
	s_delay_alu instid0(SALU_CYCLE_1)
	s_and_not1_b32 exec_lo, exec_lo, s1
	s_cbranch_execnz .LBB97_61
; %bb.62:
	s_or_b32 exec_lo, exec_lo, s1
	v_mov_b32_e32 v9, 0
	ds_load_b64 v[74:75], v9 offset:96
	s_wait_dscnt 0x0
	v_pk_mul_f32 v[76:77], v[72:73], v[74:75] op_sel:[1,1] op_sel_hi:[0,1]
	s_delay_alu instid0(VALU_DEP_1) | instskip(SKIP_1) | instid1(VALU_DEP_2)
	v_pk_fma_f32 v[78:79], v[72:73], v[74:75], v[76:77] op_sel_hi:[1,0,1]
	v_pk_fma_f32 v[72:73], v[72:73], v[74:75], v[76:77] neg_lo:[0,0,1] neg_hi:[0,0,1]
	v_mov_b32_e32 v73, v79
	scratch_store_b64 off, v[72:73], off offset:96
.LBB97_63:
	s_wait_xcnt 0x0
	s_or_b32 exec_lo, exec_lo, s0
	s_wait_storecnt 0x0
	s_barrier_signal -1
	s_barrier_wait -1
	scratch_load_b64 v[72:73], off, off offset:104
	s_mov_b32 s0, exec_lo
	s_wait_loadcnt 0x0
	ds_store_b64 v1, v[72:73]
	s_wait_dscnt 0x0
	s_barrier_signal -1
	s_barrier_wait -1
	v_cmpx_gt_u32_e32 13, v0
	s_cbranch_execz .LBB97_67
; %bb.64:
	v_dual_mov_b32 v72, 0 :: v_dual_add_nc_u32 v9, -1, v0
	v_add_nc_u32_e32 v11, 0x110, v70
	v_mov_b32_e32 v13, v70
	s_mov_b32 s1, 0
	s_delay_alu instid0(VALU_DEP_3)
	v_mov_b32_e32 v73, v72
.LBB97_65:                              ; =>This Inner Loop Header: Depth=1
	scratch_load_b64 v[74:75], v13, off
	ds_load_b64 v[76:77], v11
	s_wait_xcnt 0x0
	v_dual_add_nc_u32 v11, 8, v11 :: v_dual_add_nc_u32 v13, 8, v13
	s_wait_loadcnt_dscnt 0x0
	v_pk_mul_f32 v[78:79], v[76:77], v[74:75] op_sel:[1,1] op_sel_hi:[0,1]
	s_delay_alu instid0(VALU_DEP_1) | instskip(SKIP_2) | instid1(VALU_DEP_3)
	v_pk_fma_f32 v[80:81], v[76:77], v[74:75], v[78:79] op_sel_hi:[1,0,1]
	v_add_nc_u32_e32 v9, 1, v9
	v_pk_fma_f32 v[74:75], v[76:77], v[74:75], v[78:79] neg_lo:[0,0,1] neg_hi:[0,0,1]
	v_mov_b32_e32 v75, v81
	s_delay_alu instid0(VALU_DEP_3) | instskip(NEXT) | instid1(VALU_DEP_2)
	v_cmp_lt_u32_e32 vcc_lo, 11, v9
	v_pk_add_f32 v[72:73], v[72:73], v[74:75]
	s_or_b32 s1, vcc_lo, s1
	s_delay_alu instid0(SALU_CYCLE_1)
	s_and_not1_b32 exec_lo, exec_lo, s1
	s_cbranch_execnz .LBB97_65
; %bb.66:
	s_or_b32 exec_lo, exec_lo, s1
	v_mov_b32_e32 v9, 0
	ds_load_b64 v[74:75], v9 offset:104
	s_wait_dscnt 0x0
	v_pk_mul_f32 v[76:77], v[72:73], v[74:75] op_sel:[1,1] op_sel_hi:[0,1]
	s_delay_alu instid0(VALU_DEP_1) | instskip(SKIP_1) | instid1(VALU_DEP_2)
	v_pk_fma_f32 v[78:79], v[72:73], v[74:75], v[76:77] op_sel_hi:[1,0,1]
	v_pk_fma_f32 v[72:73], v[72:73], v[74:75], v[76:77] neg_lo:[0,0,1] neg_hi:[0,0,1]
	v_mov_b32_e32 v73, v79
	scratch_store_b64 off, v[72:73], off offset:104
.LBB97_67:
	s_wait_xcnt 0x0
	s_or_b32 exec_lo, exec_lo, s0
	s_wait_storecnt 0x0
	s_barrier_signal -1
	s_barrier_wait -1
	scratch_load_b64 v[72:73], off, off offset:112
	s_mov_b32 s0, exec_lo
	s_wait_loadcnt 0x0
	ds_store_b64 v1, v[72:73]
	s_wait_dscnt 0x0
	s_barrier_signal -1
	s_barrier_wait -1
	v_cmpx_gt_u32_e32 14, v0
	s_cbranch_execz .LBB97_71
; %bb.68:
	v_dual_mov_b32 v72, 0 :: v_dual_add_nc_u32 v9, -1, v0
	v_add_nc_u32_e32 v11, 0x110, v70
	v_mov_b32_e32 v13, v70
	s_mov_b32 s1, 0
	s_delay_alu instid0(VALU_DEP_3)
	v_mov_b32_e32 v73, v72
.LBB97_69:                              ; =>This Inner Loop Header: Depth=1
	scratch_load_b64 v[74:75], v13, off
	ds_load_b64 v[76:77], v11
	s_wait_xcnt 0x0
	v_dual_add_nc_u32 v11, 8, v11 :: v_dual_add_nc_u32 v13, 8, v13
	s_wait_loadcnt_dscnt 0x0
	v_pk_mul_f32 v[78:79], v[76:77], v[74:75] op_sel:[1,1] op_sel_hi:[0,1]
	s_delay_alu instid0(VALU_DEP_1) | instskip(SKIP_2) | instid1(VALU_DEP_3)
	v_pk_fma_f32 v[80:81], v[76:77], v[74:75], v[78:79] op_sel_hi:[1,0,1]
	v_add_nc_u32_e32 v9, 1, v9
	v_pk_fma_f32 v[74:75], v[76:77], v[74:75], v[78:79] neg_lo:[0,0,1] neg_hi:[0,0,1]
	v_mov_b32_e32 v75, v81
	s_delay_alu instid0(VALU_DEP_3) | instskip(NEXT) | instid1(VALU_DEP_2)
	v_cmp_lt_u32_e32 vcc_lo, 12, v9
	v_pk_add_f32 v[72:73], v[72:73], v[74:75]
	s_or_b32 s1, vcc_lo, s1
	s_delay_alu instid0(SALU_CYCLE_1)
	s_and_not1_b32 exec_lo, exec_lo, s1
	s_cbranch_execnz .LBB97_69
; %bb.70:
	s_or_b32 exec_lo, exec_lo, s1
	v_mov_b32_e32 v9, 0
	ds_load_b64 v[74:75], v9 offset:112
	s_wait_dscnt 0x0
	v_pk_mul_f32 v[76:77], v[72:73], v[74:75] op_sel:[1,1] op_sel_hi:[0,1]
	s_delay_alu instid0(VALU_DEP_1) | instskip(SKIP_1) | instid1(VALU_DEP_2)
	v_pk_fma_f32 v[78:79], v[72:73], v[74:75], v[76:77] op_sel_hi:[1,0,1]
	v_pk_fma_f32 v[72:73], v[72:73], v[74:75], v[76:77] neg_lo:[0,0,1] neg_hi:[0,0,1]
	v_mov_b32_e32 v73, v79
	scratch_store_b64 off, v[72:73], off offset:112
.LBB97_71:
	s_wait_xcnt 0x0
	s_or_b32 exec_lo, exec_lo, s0
	s_wait_storecnt 0x0
	s_barrier_signal -1
	s_barrier_wait -1
	scratch_load_b64 v[72:73], off, off offset:120
	s_mov_b32 s0, exec_lo
	s_wait_loadcnt 0x0
	ds_store_b64 v1, v[72:73]
	s_wait_dscnt 0x0
	s_barrier_signal -1
	s_barrier_wait -1
	v_cmpx_gt_u32_e32 15, v0
	s_cbranch_execz .LBB97_75
; %bb.72:
	v_dual_mov_b32 v72, 0 :: v_dual_add_nc_u32 v9, -1, v0
	v_add_nc_u32_e32 v11, 0x110, v70
	v_mov_b32_e32 v13, v70
	s_mov_b32 s1, 0
	s_delay_alu instid0(VALU_DEP_3)
	v_mov_b32_e32 v73, v72
.LBB97_73:                              ; =>This Inner Loop Header: Depth=1
	scratch_load_b64 v[74:75], v13, off
	ds_load_b64 v[76:77], v11
	s_wait_xcnt 0x0
	v_dual_add_nc_u32 v11, 8, v11 :: v_dual_add_nc_u32 v13, 8, v13
	s_wait_loadcnt_dscnt 0x0
	v_pk_mul_f32 v[78:79], v[76:77], v[74:75] op_sel:[1,1] op_sel_hi:[0,1]
	s_delay_alu instid0(VALU_DEP_1) | instskip(SKIP_2) | instid1(VALU_DEP_3)
	v_pk_fma_f32 v[80:81], v[76:77], v[74:75], v[78:79] op_sel_hi:[1,0,1]
	v_add_nc_u32_e32 v9, 1, v9
	v_pk_fma_f32 v[74:75], v[76:77], v[74:75], v[78:79] neg_lo:[0,0,1] neg_hi:[0,0,1]
	v_mov_b32_e32 v75, v81
	s_delay_alu instid0(VALU_DEP_3) | instskip(NEXT) | instid1(VALU_DEP_2)
	v_cmp_lt_u32_e32 vcc_lo, 13, v9
	v_pk_add_f32 v[72:73], v[72:73], v[74:75]
	s_or_b32 s1, vcc_lo, s1
	s_delay_alu instid0(SALU_CYCLE_1)
	s_and_not1_b32 exec_lo, exec_lo, s1
	s_cbranch_execnz .LBB97_73
; %bb.74:
	s_or_b32 exec_lo, exec_lo, s1
	v_mov_b32_e32 v9, 0
	ds_load_b64 v[74:75], v9 offset:120
	s_wait_dscnt 0x0
	v_pk_mul_f32 v[76:77], v[72:73], v[74:75] op_sel:[1,1] op_sel_hi:[0,1]
	s_delay_alu instid0(VALU_DEP_1) | instskip(SKIP_1) | instid1(VALU_DEP_2)
	v_pk_fma_f32 v[78:79], v[72:73], v[74:75], v[76:77] op_sel_hi:[1,0,1]
	v_pk_fma_f32 v[72:73], v[72:73], v[74:75], v[76:77] neg_lo:[0,0,1] neg_hi:[0,0,1]
	v_mov_b32_e32 v73, v79
	scratch_store_b64 off, v[72:73], off offset:120
.LBB97_75:
	s_wait_xcnt 0x0
	s_or_b32 exec_lo, exec_lo, s0
	s_wait_storecnt 0x0
	s_barrier_signal -1
	s_barrier_wait -1
	scratch_load_b64 v[72:73], off, off offset:128
	s_mov_b32 s0, exec_lo
	s_wait_loadcnt 0x0
	ds_store_b64 v1, v[72:73]
	s_wait_dscnt 0x0
	s_barrier_signal -1
	s_barrier_wait -1
	v_cmpx_gt_u32_e32 16, v0
	s_cbranch_execz .LBB97_79
; %bb.76:
	v_dual_mov_b32 v72, 0 :: v_dual_add_nc_u32 v9, -1, v0
	v_add_nc_u32_e32 v11, 0x110, v70
	v_mov_b32_e32 v13, v70
	s_mov_b32 s1, 0
	s_delay_alu instid0(VALU_DEP_3)
	v_mov_b32_e32 v73, v72
.LBB97_77:                              ; =>This Inner Loop Header: Depth=1
	scratch_load_b64 v[74:75], v13, off
	ds_load_b64 v[76:77], v11
	s_wait_xcnt 0x0
	v_dual_add_nc_u32 v11, 8, v11 :: v_dual_add_nc_u32 v13, 8, v13
	s_wait_loadcnt_dscnt 0x0
	v_pk_mul_f32 v[78:79], v[76:77], v[74:75] op_sel:[1,1] op_sel_hi:[0,1]
	s_delay_alu instid0(VALU_DEP_1) | instskip(SKIP_2) | instid1(VALU_DEP_3)
	v_pk_fma_f32 v[80:81], v[76:77], v[74:75], v[78:79] op_sel_hi:[1,0,1]
	v_add_nc_u32_e32 v9, 1, v9
	v_pk_fma_f32 v[74:75], v[76:77], v[74:75], v[78:79] neg_lo:[0,0,1] neg_hi:[0,0,1]
	v_mov_b32_e32 v75, v81
	s_delay_alu instid0(VALU_DEP_3) | instskip(NEXT) | instid1(VALU_DEP_2)
	v_cmp_lt_u32_e32 vcc_lo, 14, v9
	v_pk_add_f32 v[72:73], v[72:73], v[74:75]
	s_or_b32 s1, vcc_lo, s1
	s_delay_alu instid0(SALU_CYCLE_1)
	s_and_not1_b32 exec_lo, exec_lo, s1
	s_cbranch_execnz .LBB97_77
; %bb.78:
	s_or_b32 exec_lo, exec_lo, s1
	v_mov_b32_e32 v9, 0
	ds_load_b64 v[74:75], v9 offset:128
	s_wait_dscnt 0x0
	v_pk_mul_f32 v[76:77], v[72:73], v[74:75] op_sel:[1,1] op_sel_hi:[0,1]
	s_delay_alu instid0(VALU_DEP_1) | instskip(SKIP_1) | instid1(VALU_DEP_2)
	v_pk_fma_f32 v[78:79], v[72:73], v[74:75], v[76:77] op_sel_hi:[1,0,1]
	v_pk_fma_f32 v[72:73], v[72:73], v[74:75], v[76:77] neg_lo:[0,0,1] neg_hi:[0,0,1]
	v_mov_b32_e32 v73, v79
	scratch_store_b64 off, v[72:73], off offset:128
.LBB97_79:
	s_wait_xcnt 0x0
	s_or_b32 exec_lo, exec_lo, s0
	s_wait_storecnt 0x0
	s_barrier_signal -1
	s_barrier_wait -1
	scratch_load_b64 v[72:73], off, off offset:136
	s_mov_b32 s0, exec_lo
	s_wait_loadcnt 0x0
	ds_store_b64 v1, v[72:73]
	s_wait_dscnt 0x0
	s_barrier_signal -1
	s_barrier_wait -1
	v_cmpx_gt_u32_e32 17, v0
	s_cbranch_execz .LBB97_83
; %bb.80:
	v_dual_mov_b32 v72, 0 :: v_dual_add_nc_u32 v9, -1, v0
	v_add_nc_u32_e32 v11, 0x110, v70
	v_mov_b32_e32 v13, v70
	s_mov_b32 s1, 0
	s_delay_alu instid0(VALU_DEP_3)
	v_mov_b32_e32 v73, v72
.LBB97_81:                              ; =>This Inner Loop Header: Depth=1
	scratch_load_b64 v[74:75], v13, off
	ds_load_b64 v[76:77], v11
	s_wait_xcnt 0x0
	v_dual_add_nc_u32 v11, 8, v11 :: v_dual_add_nc_u32 v13, 8, v13
	s_wait_loadcnt_dscnt 0x0
	v_pk_mul_f32 v[78:79], v[76:77], v[74:75] op_sel:[1,1] op_sel_hi:[0,1]
	s_delay_alu instid0(VALU_DEP_1) | instskip(SKIP_2) | instid1(VALU_DEP_3)
	v_pk_fma_f32 v[80:81], v[76:77], v[74:75], v[78:79] op_sel_hi:[1,0,1]
	v_add_nc_u32_e32 v9, 1, v9
	v_pk_fma_f32 v[74:75], v[76:77], v[74:75], v[78:79] neg_lo:[0,0,1] neg_hi:[0,0,1]
	v_mov_b32_e32 v75, v81
	s_delay_alu instid0(VALU_DEP_3) | instskip(NEXT) | instid1(VALU_DEP_2)
	v_cmp_lt_u32_e32 vcc_lo, 15, v9
	v_pk_add_f32 v[72:73], v[72:73], v[74:75]
	s_or_b32 s1, vcc_lo, s1
	s_delay_alu instid0(SALU_CYCLE_1)
	s_and_not1_b32 exec_lo, exec_lo, s1
	s_cbranch_execnz .LBB97_81
; %bb.82:
	s_or_b32 exec_lo, exec_lo, s1
	v_mov_b32_e32 v9, 0
	ds_load_b64 v[74:75], v9 offset:136
	s_wait_dscnt 0x0
	v_pk_mul_f32 v[76:77], v[72:73], v[74:75] op_sel:[1,1] op_sel_hi:[0,1]
	s_delay_alu instid0(VALU_DEP_1) | instskip(SKIP_1) | instid1(VALU_DEP_2)
	v_pk_fma_f32 v[78:79], v[72:73], v[74:75], v[76:77] op_sel_hi:[1,0,1]
	v_pk_fma_f32 v[72:73], v[72:73], v[74:75], v[76:77] neg_lo:[0,0,1] neg_hi:[0,0,1]
	v_mov_b32_e32 v73, v79
	scratch_store_b64 off, v[72:73], off offset:136
.LBB97_83:
	s_wait_xcnt 0x0
	s_or_b32 exec_lo, exec_lo, s0
	s_wait_storecnt 0x0
	s_barrier_signal -1
	s_barrier_wait -1
	scratch_load_b64 v[72:73], off, off offset:144
	s_mov_b32 s0, exec_lo
	s_wait_loadcnt 0x0
	ds_store_b64 v1, v[72:73]
	s_wait_dscnt 0x0
	s_barrier_signal -1
	s_barrier_wait -1
	v_cmpx_gt_u32_e32 18, v0
	s_cbranch_execz .LBB97_87
; %bb.84:
	v_dual_mov_b32 v72, 0 :: v_dual_add_nc_u32 v9, -1, v0
	v_add_nc_u32_e32 v11, 0x110, v70
	v_mov_b32_e32 v13, v70
	s_mov_b32 s1, 0
	s_delay_alu instid0(VALU_DEP_3)
	v_mov_b32_e32 v73, v72
.LBB97_85:                              ; =>This Inner Loop Header: Depth=1
	scratch_load_b64 v[74:75], v13, off
	ds_load_b64 v[76:77], v11
	s_wait_xcnt 0x0
	v_dual_add_nc_u32 v11, 8, v11 :: v_dual_add_nc_u32 v13, 8, v13
	s_wait_loadcnt_dscnt 0x0
	v_pk_mul_f32 v[78:79], v[76:77], v[74:75] op_sel:[1,1] op_sel_hi:[0,1]
	s_delay_alu instid0(VALU_DEP_1) | instskip(SKIP_2) | instid1(VALU_DEP_3)
	v_pk_fma_f32 v[80:81], v[76:77], v[74:75], v[78:79] op_sel_hi:[1,0,1]
	v_add_nc_u32_e32 v9, 1, v9
	v_pk_fma_f32 v[74:75], v[76:77], v[74:75], v[78:79] neg_lo:[0,0,1] neg_hi:[0,0,1]
	v_mov_b32_e32 v75, v81
	s_delay_alu instid0(VALU_DEP_3) | instskip(NEXT) | instid1(VALU_DEP_2)
	v_cmp_lt_u32_e32 vcc_lo, 16, v9
	v_pk_add_f32 v[72:73], v[72:73], v[74:75]
	s_or_b32 s1, vcc_lo, s1
	s_delay_alu instid0(SALU_CYCLE_1)
	s_and_not1_b32 exec_lo, exec_lo, s1
	s_cbranch_execnz .LBB97_85
; %bb.86:
	s_or_b32 exec_lo, exec_lo, s1
	v_mov_b32_e32 v9, 0
	ds_load_b64 v[74:75], v9 offset:144
	s_wait_dscnt 0x0
	v_pk_mul_f32 v[76:77], v[72:73], v[74:75] op_sel:[1,1] op_sel_hi:[0,1]
	s_delay_alu instid0(VALU_DEP_1) | instskip(SKIP_1) | instid1(VALU_DEP_2)
	v_pk_fma_f32 v[78:79], v[72:73], v[74:75], v[76:77] op_sel_hi:[1,0,1]
	v_pk_fma_f32 v[72:73], v[72:73], v[74:75], v[76:77] neg_lo:[0,0,1] neg_hi:[0,0,1]
	v_mov_b32_e32 v73, v79
	scratch_store_b64 off, v[72:73], off offset:144
.LBB97_87:
	s_wait_xcnt 0x0
	s_or_b32 exec_lo, exec_lo, s0
	s_wait_storecnt 0x0
	s_barrier_signal -1
	s_barrier_wait -1
	scratch_load_b64 v[72:73], off, off offset:152
	s_mov_b32 s0, exec_lo
	s_wait_loadcnt 0x0
	ds_store_b64 v1, v[72:73]
	s_wait_dscnt 0x0
	s_barrier_signal -1
	s_barrier_wait -1
	v_cmpx_gt_u32_e32 19, v0
	s_cbranch_execz .LBB97_91
; %bb.88:
	v_dual_mov_b32 v72, 0 :: v_dual_add_nc_u32 v9, -1, v0
	v_add_nc_u32_e32 v11, 0x110, v70
	v_mov_b32_e32 v13, v70
	s_mov_b32 s1, 0
	s_delay_alu instid0(VALU_DEP_3)
	v_mov_b32_e32 v73, v72
.LBB97_89:                              ; =>This Inner Loop Header: Depth=1
	scratch_load_b64 v[74:75], v13, off
	ds_load_b64 v[76:77], v11
	s_wait_xcnt 0x0
	v_dual_add_nc_u32 v11, 8, v11 :: v_dual_add_nc_u32 v13, 8, v13
	s_wait_loadcnt_dscnt 0x0
	v_pk_mul_f32 v[78:79], v[76:77], v[74:75] op_sel:[1,1] op_sel_hi:[0,1]
	s_delay_alu instid0(VALU_DEP_1) | instskip(SKIP_2) | instid1(VALU_DEP_3)
	v_pk_fma_f32 v[80:81], v[76:77], v[74:75], v[78:79] op_sel_hi:[1,0,1]
	v_add_nc_u32_e32 v9, 1, v9
	v_pk_fma_f32 v[74:75], v[76:77], v[74:75], v[78:79] neg_lo:[0,0,1] neg_hi:[0,0,1]
	v_mov_b32_e32 v75, v81
	s_delay_alu instid0(VALU_DEP_3) | instskip(NEXT) | instid1(VALU_DEP_2)
	v_cmp_lt_u32_e32 vcc_lo, 17, v9
	v_pk_add_f32 v[72:73], v[72:73], v[74:75]
	s_or_b32 s1, vcc_lo, s1
	s_delay_alu instid0(SALU_CYCLE_1)
	s_and_not1_b32 exec_lo, exec_lo, s1
	s_cbranch_execnz .LBB97_89
; %bb.90:
	s_or_b32 exec_lo, exec_lo, s1
	v_mov_b32_e32 v9, 0
	ds_load_b64 v[74:75], v9 offset:152
	s_wait_dscnt 0x0
	v_pk_mul_f32 v[76:77], v[72:73], v[74:75] op_sel:[1,1] op_sel_hi:[0,1]
	s_delay_alu instid0(VALU_DEP_1) | instskip(SKIP_1) | instid1(VALU_DEP_2)
	v_pk_fma_f32 v[78:79], v[72:73], v[74:75], v[76:77] op_sel_hi:[1,0,1]
	v_pk_fma_f32 v[72:73], v[72:73], v[74:75], v[76:77] neg_lo:[0,0,1] neg_hi:[0,0,1]
	v_mov_b32_e32 v73, v79
	scratch_store_b64 off, v[72:73], off offset:152
.LBB97_91:
	s_wait_xcnt 0x0
	s_or_b32 exec_lo, exec_lo, s0
	s_wait_storecnt 0x0
	s_barrier_signal -1
	s_barrier_wait -1
	scratch_load_b64 v[72:73], off, off offset:160
	s_mov_b32 s0, exec_lo
	s_wait_loadcnt 0x0
	ds_store_b64 v1, v[72:73]
	s_wait_dscnt 0x0
	s_barrier_signal -1
	s_barrier_wait -1
	v_cmpx_gt_u32_e32 20, v0
	s_cbranch_execz .LBB97_95
; %bb.92:
	v_dual_mov_b32 v72, 0 :: v_dual_add_nc_u32 v9, -1, v0
	v_add_nc_u32_e32 v11, 0x110, v70
	v_mov_b32_e32 v13, v70
	s_mov_b32 s1, 0
	s_delay_alu instid0(VALU_DEP_3)
	v_mov_b32_e32 v73, v72
.LBB97_93:                              ; =>This Inner Loop Header: Depth=1
	scratch_load_b64 v[74:75], v13, off
	ds_load_b64 v[76:77], v11
	s_wait_xcnt 0x0
	v_dual_add_nc_u32 v11, 8, v11 :: v_dual_add_nc_u32 v13, 8, v13
	s_wait_loadcnt_dscnt 0x0
	v_pk_mul_f32 v[78:79], v[76:77], v[74:75] op_sel:[1,1] op_sel_hi:[0,1]
	s_delay_alu instid0(VALU_DEP_1) | instskip(SKIP_2) | instid1(VALU_DEP_3)
	v_pk_fma_f32 v[80:81], v[76:77], v[74:75], v[78:79] op_sel_hi:[1,0,1]
	v_add_nc_u32_e32 v9, 1, v9
	v_pk_fma_f32 v[74:75], v[76:77], v[74:75], v[78:79] neg_lo:[0,0,1] neg_hi:[0,0,1]
	v_mov_b32_e32 v75, v81
	s_delay_alu instid0(VALU_DEP_3) | instskip(NEXT) | instid1(VALU_DEP_2)
	v_cmp_lt_u32_e32 vcc_lo, 18, v9
	v_pk_add_f32 v[72:73], v[72:73], v[74:75]
	s_or_b32 s1, vcc_lo, s1
	s_delay_alu instid0(SALU_CYCLE_1)
	s_and_not1_b32 exec_lo, exec_lo, s1
	s_cbranch_execnz .LBB97_93
; %bb.94:
	s_or_b32 exec_lo, exec_lo, s1
	v_mov_b32_e32 v9, 0
	ds_load_b64 v[74:75], v9 offset:160
	s_wait_dscnt 0x0
	v_pk_mul_f32 v[76:77], v[72:73], v[74:75] op_sel:[1,1] op_sel_hi:[0,1]
	s_delay_alu instid0(VALU_DEP_1) | instskip(SKIP_1) | instid1(VALU_DEP_2)
	v_pk_fma_f32 v[78:79], v[72:73], v[74:75], v[76:77] op_sel_hi:[1,0,1]
	v_pk_fma_f32 v[72:73], v[72:73], v[74:75], v[76:77] neg_lo:[0,0,1] neg_hi:[0,0,1]
	v_mov_b32_e32 v73, v79
	scratch_store_b64 off, v[72:73], off offset:160
.LBB97_95:
	s_wait_xcnt 0x0
	s_or_b32 exec_lo, exec_lo, s0
	s_wait_storecnt 0x0
	s_barrier_signal -1
	s_barrier_wait -1
	scratch_load_b64 v[72:73], off, off offset:168
	s_mov_b32 s0, exec_lo
	s_wait_loadcnt 0x0
	ds_store_b64 v1, v[72:73]
	s_wait_dscnt 0x0
	s_barrier_signal -1
	s_barrier_wait -1
	v_cmpx_gt_u32_e32 21, v0
	s_cbranch_execz .LBB97_99
; %bb.96:
	v_dual_mov_b32 v72, 0 :: v_dual_add_nc_u32 v9, -1, v0
	v_add_nc_u32_e32 v11, 0x110, v70
	v_mov_b32_e32 v13, v70
	s_mov_b32 s1, 0
	s_delay_alu instid0(VALU_DEP_3)
	v_mov_b32_e32 v73, v72
.LBB97_97:                              ; =>This Inner Loop Header: Depth=1
	scratch_load_b64 v[74:75], v13, off
	ds_load_b64 v[76:77], v11
	s_wait_xcnt 0x0
	v_dual_add_nc_u32 v11, 8, v11 :: v_dual_add_nc_u32 v13, 8, v13
	s_wait_loadcnt_dscnt 0x0
	v_pk_mul_f32 v[78:79], v[76:77], v[74:75] op_sel:[1,1] op_sel_hi:[0,1]
	s_delay_alu instid0(VALU_DEP_1) | instskip(SKIP_2) | instid1(VALU_DEP_3)
	v_pk_fma_f32 v[80:81], v[76:77], v[74:75], v[78:79] op_sel_hi:[1,0,1]
	v_add_nc_u32_e32 v9, 1, v9
	v_pk_fma_f32 v[74:75], v[76:77], v[74:75], v[78:79] neg_lo:[0,0,1] neg_hi:[0,0,1]
	v_mov_b32_e32 v75, v81
	s_delay_alu instid0(VALU_DEP_3) | instskip(NEXT) | instid1(VALU_DEP_2)
	v_cmp_lt_u32_e32 vcc_lo, 19, v9
	v_pk_add_f32 v[72:73], v[72:73], v[74:75]
	s_or_b32 s1, vcc_lo, s1
	s_delay_alu instid0(SALU_CYCLE_1)
	s_and_not1_b32 exec_lo, exec_lo, s1
	s_cbranch_execnz .LBB97_97
; %bb.98:
	s_or_b32 exec_lo, exec_lo, s1
	v_mov_b32_e32 v9, 0
	ds_load_b64 v[74:75], v9 offset:168
	s_wait_dscnt 0x0
	v_pk_mul_f32 v[76:77], v[72:73], v[74:75] op_sel:[1,1] op_sel_hi:[0,1]
	s_delay_alu instid0(VALU_DEP_1) | instskip(SKIP_1) | instid1(VALU_DEP_2)
	v_pk_fma_f32 v[78:79], v[72:73], v[74:75], v[76:77] op_sel_hi:[1,0,1]
	v_pk_fma_f32 v[72:73], v[72:73], v[74:75], v[76:77] neg_lo:[0,0,1] neg_hi:[0,0,1]
	v_mov_b32_e32 v73, v79
	scratch_store_b64 off, v[72:73], off offset:168
.LBB97_99:
	s_wait_xcnt 0x0
	s_or_b32 exec_lo, exec_lo, s0
	s_wait_storecnt 0x0
	s_barrier_signal -1
	s_barrier_wait -1
	scratch_load_b64 v[72:73], off, off offset:176
	s_mov_b32 s0, exec_lo
	s_wait_loadcnt 0x0
	ds_store_b64 v1, v[72:73]
	s_wait_dscnt 0x0
	s_barrier_signal -1
	s_barrier_wait -1
	v_cmpx_gt_u32_e32 22, v0
	s_cbranch_execz .LBB97_103
; %bb.100:
	v_dual_mov_b32 v72, 0 :: v_dual_add_nc_u32 v9, -1, v0
	v_add_nc_u32_e32 v11, 0x110, v70
	v_mov_b32_e32 v13, v70
	s_mov_b32 s1, 0
	s_delay_alu instid0(VALU_DEP_3)
	v_mov_b32_e32 v73, v72
.LBB97_101:                             ; =>This Inner Loop Header: Depth=1
	scratch_load_b64 v[74:75], v13, off
	ds_load_b64 v[76:77], v11
	s_wait_xcnt 0x0
	v_dual_add_nc_u32 v11, 8, v11 :: v_dual_add_nc_u32 v13, 8, v13
	s_wait_loadcnt_dscnt 0x0
	v_pk_mul_f32 v[78:79], v[76:77], v[74:75] op_sel:[1,1] op_sel_hi:[0,1]
	s_delay_alu instid0(VALU_DEP_1) | instskip(SKIP_2) | instid1(VALU_DEP_3)
	v_pk_fma_f32 v[80:81], v[76:77], v[74:75], v[78:79] op_sel_hi:[1,0,1]
	v_add_nc_u32_e32 v9, 1, v9
	v_pk_fma_f32 v[74:75], v[76:77], v[74:75], v[78:79] neg_lo:[0,0,1] neg_hi:[0,0,1]
	v_mov_b32_e32 v75, v81
	s_delay_alu instid0(VALU_DEP_3) | instskip(NEXT) | instid1(VALU_DEP_2)
	v_cmp_lt_u32_e32 vcc_lo, 20, v9
	v_pk_add_f32 v[72:73], v[72:73], v[74:75]
	s_or_b32 s1, vcc_lo, s1
	s_delay_alu instid0(SALU_CYCLE_1)
	s_and_not1_b32 exec_lo, exec_lo, s1
	s_cbranch_execnz .LBB97_101
; %bb.102:
	s_or_b32 exec_lo, exec_lo, s1
	v_mov_b32_e32 v9, 0
	ds_load_b64 v[74:75], v9 offset:176
	s_wait_dscnt 0x0
	v_pk_mul_f32 v[76:77], v[72:73], v[74:75] op_sel:[1,1] op_sel_hi:[0,1]
	s_delay_alu instid0(VALU_DEP_1) | instskip(SKIP_1) | instid1(VALU_DEP_2)
	v_pk_fma_f32 v[78:79], v[72:73], v[74:75], v[76:77] op_sel_hi:[1,0,1]
	v_pk_fma_f32 v[72:73], v[72:73], v[74:75], v[76:77] neg_lo:[0,0,1] neg_hi:[0,0,1]
	v_mov_b32_e32 v73, v79
	scratch_store_b64 off, v[72:73], off offset:176
.LBB97_103:
	s_wait_xcnt 0x0
	s_or_b32 exec_lo, exec_lo, s0
	s_wait_storecnt 0x0
	s_barrier_signal -1
	s_barrier_wait -1
	scratch_load_b64 v[72:73], off, off offset:184
	s_mov_b32 s0, exec_lo
	s_wait_loadcnt 0x0
	ds_store_b64 v1, v[72:73]
	s_wait_dscnt 0x0
	s_barrier_signal -1
	s_barrier_wait -1
	v_cmpx_gt_u32_e32 23, v0
	s_cbranch_execz .LBB97_107
; %bb.104:
	v_dual_mov_b32 v72, 0 :: v_dual_add_nc_u32 v9, -1, v0
	v_add_nc_u32_e32 v11, 0x110, v70
	v_mov_b32_e32 v13, v70
	s_mov_b32 s1, 0
	s_delay_alu instid0(VALU_DEP_3)
	v_mov_b32_e32 v73, v72
.LBB97_105:                             ; =>This Inner Loop Header: Depth=1
	scratch_load_b64 v[74:75], v13, off
	ds_load_b64 v[76:77], v11
	s_wait_xcnt 0x0
	v_dual_add_nc_u32 v11, 8, v11 :: v_dual_add_nc_u32 v13, 8, v13
	s_wait_loadcnt_dscnt 0x0
	v_pk_mul_f32 v[78:79], v[76:77], v[74:75] op_sel:[1,1] op_sel_hi:[0,1]
	s_delay_alu instid0(VALU_DEP_1) | instskip(SKIP_2) | instid1(VALU_DEP_3)
	v_pk_fma_f32 v[80:81], v[76:77], v[74:75], v[78:79] op_sel_hi:[1,0,1]
	v_add_nc_u32_e32 v9, 1, v9
	v_pk_fma_f32 v[74:75], v[76:77], v[74:75], v[78:79] neg_lo:[0,0,1] neg_hi:[0,0,1]
	v_mov_b32_e32 v75, v81
	s_delay_alu instid0(VALU_DEP_3) | instskip(NEXT) | instid1(VALU_DEP_2)
	v_cmp_lt_u32_e32 vcc_lo, 21, v9
	v_pk_add_f32 v[72:73], v[72:73], v[74:75]
	s_or_b32 s1, vcc_lo, s1
	s_delay_alu instid0(SALU_CYCLE_1)
	s_and_not1_b32 exec_lo, exec_lo, s1
	s_cbranch_execnz .LBB97_105
; %bb.106:
	s_or_b32 exec_lo, exec_lo, s1
	v_mov_b32_e32 v9, 0
	ds_load_b64 v[74:75], v9 offset:184
	s_wait_dscnt 0x0
	v_pk_mul_f32 v[76:77], v[72:73], v[74:75] op_sel:[1,1] op_sel_hi:[0,1]
	s_delay_alu instid0(VALU_DEP_1) | instskip(SKIP_1) | instid1(VALU_DEP_2)
	v_pk_fma_f32 v[78:79], v[72:73], v[74:75], v[76:77] op_sel_hi:[1,0,1]
	v_pk_fma_f32 v[72:73], v[72:73], v[74:75], v[76:77] neg_lo:[0,0,1] neg_hi:[0,0,1]
	v_mov_b32_e32 v73, v79
	scratch_store_b64 off, v[72:73], off offset:184
.LBB97_107:
	s_wait_xcnt 0x0
	s_or_b32 exec_lo, exec_lo, s0
	s_wait_storecnt 0x0
	s_barrier_signal -1
	s_barrier_wait -1
	scratch_load_b64 v[72:73], off, off offset:192
	;; [unrolled: 52-line block ×11, first 2 shown]
	s_mov_b32 s0, exec_lo
	s_wait_loadcnt 0x0
	ds_store_b64 v1, v[72:73]
	s_wait_dscnt 0x0
	s_barrier_signal -1
	s_barrier_wait -1
	v_cmpx_ne_u32_e32 33, v0
	s_cbranch_execz .LBB97_147
; %bb.144:
	v_dual_mov_b32 v72, 0 :: v_dual_mov_b32 v9, v70
	s_mov_b32 s1, 0
	s_delay_alu instid0(VALU_DEP_1)
	v_mov_b32_e32 v73, v72
.LBB97_145:                             ; =>This Inner Loop Header: Depth=1
	scratch_load_b64 v[70:71], v9, off
	ds_load_b64 v[74:75], v1
	v_add_nc_u32_e32 v1, 8, v1
	s_wait_xcnt 0x0
	v_add_nc_u32_e32 v9, 8, v9
	s_wait_loadcnt_dscnt 0x0
	v_pk_mul_f32 v[76:77], v[74:75], v[70:71] op_sel:[1,1] op_sel_hi:[0,1]
	s_delay_alu instid0(VALU_DEP_1) | instskip(SKIP_2) | instid1(VALU_DEP_3)
	v_pk_fma_f32 v[78:79], v[74:75], v[70:71], v[76:77] op_sel_hi:[1,0,1]
	v_add_nc_u32_e32 v7, 1, v7
	v_pk_fma_f32 v[70:71], v[74:75], v[70:71], v[76:77] neg_lo:[0,0,1] neg_hi:[0,0,1]
	v_mov_b32_e32 v71, v79
	s_delay_alu instid0(VALU_DEP_3) | instskip(NEXT) | instid1(VALU_DEP_2)
	v_cmp_lt_u32_e32 vcc_lo, 31, v7
	v_pk_add_f32 v[72:73], v[72:73], v[70:71]
	s_or_b32 s1, vcc_lo, s1
	s_delay_alu instid0(SALU_CYCLE_1)
	s_and_not1_b32 exec_lo, exec_lo, s1
	s_cbranch_execnz .LBB97_145
; %bb.146:
	s_or_b32 exec_lo, exec_lo, s1
	v_mov_b32_e32 v1, 0
	ds_load_b64 v[70:71], v1 offset:264
	s_wait_dscnt 0x0
	v_pk_mul_f32 v[74:75], v[72:73], v[70:71] op_sel:[1,1] op_sel_hi:[0,1]
	s_delay_alu instid0(VALU_DEP_1) | instskip(SKIP_1) | instid1(VALU_DEP_2)
	v_pk_fma_f32 v[76:77], v[72:73], v[70:71], v[74:75] op_sel_hi:[1,0,1]
	v_pk_fma_f32 v[70:71], v[72:73], v[70:71], v[74:75] neg_lo:[0,0,1] neg_hi:[0,0,1]
	v_mov_b32_e32 v71, v77
	scratch_store_b64 off, v[70:71], off offset:264
.LBB97_147:
	s_wait_xcnt 0x0
	s_or_b32 exec_lo, exec_lo, s0
	s_mov_b32 s1, -1
	s_wait_storecnt 0x0
	s_barrier_signal -1
	s_barrier_wait -1
.LBB97_148:
	s_and_b32 vcc_lo, exec_lo, s1
	s_cbranch_vccz .LBB97_150
; %bb.149:
	v_mov_b32_e32 v1, 0
	s_lshl_b64 s[0:1], s[10:11], 2
	s_delay_alu instid0(SALU_CYCLE_1)
	s_add_nc_u64 s[0:1], s[6:7], s[0:1]
	global_load_b32 v1, v1, s[0:1]
	s_wait_loadcnt 0x0
	v_cmp_ne_u32_e32 vcc_lo, 0, v1
	s_cbranch_vccz .LBB97_151
.LBB97_150:
	s_sendmsg sendmsg(MSG_DEALLOC_VGPRS)
	s_endpgm
.LBB97_151:
	s_wait_xcnt 0x0
	v_lshl_add_u32 v1, v0, 3, 0x110
	s_mov_b32 s0, exec_lo
	v_cmpx_eq_u32_e32 33, v0
	s_cbranch_execz .LBB97_153
; %bb.152:
	scratch_load_b64 v[70:71], off, off offset:256
	v_mov_b64_e32 v[72:73], 0
	scratch_store_b64 off, v[72:73], off offset:256
	s_wait_loadcnt 0x0
	ds_store_b64 v1, v[70:71]
.LBB97_153:
	s_wait_xcnt 0x0
	s_or_b32 exec_lo, exec_lo, s0
	s_wait_storecnt_dscnt 0x0
	s_barrier_signal -1
	s_barrier_wait -1
	s_clause 0x1
	scratch_load_b64 v[70:71], off, off offset:264
	scratch_load_b64 v[72:73], off, off offset:256
	v_mov_b32_e32 v7, 0
	s_mov_b32 s0, exec_lo
	ds_load_b64 v[74:75], v7 offset:536
	s_wait_loadcnt_dscnt 0x100
	v_pk_mul_f32 v[76:77], v[74:75], v[70:71] op_sel:[1,1] op_sel_hi:[0,1]
	s_delay_alu instid0(VALU_DEP_1) | instskip(SKIP_1) | instid1(VALU_DEP_2)
	v_pk_fma_f32 v[78:79], v[74:75], v[70:71], v[76:77] op_sel_hi:[1,0,1]
	v_pk_fma_f32 v[70:71], v[74:75], v[70:71], v[76:77] neg_lo:[0,0,1] neg_hi:[0,0,1]
	v_mov_b32_e32 v71, v79
	s_delay_alu instid0(VALU_DEP_1) | instskip(SKIP_1) | instid1(VALU_DEP_1)
	v_pk_add_f32 v[70:71], v[70:71], 0 op_sel_hi:[1,0]
	s_wait_loadcnt 0x0
	v_pk_add_f32 v[70:71], v[72:73], v[70:71] neg_lo:[0,1] neg_hi:[0,1]
	scratch_store_b64 off, v[70:71], off offset:256
	s_wait_xcnt 0x0
	v_cmpx_lt_u32_e32 31, v0
	s_cbranch_execz .LBB97_155
; %bb.154:
	scratch_load_b64 v[70:71], off, off offset:248
	v_mov_b64_e32 v[72:73], 0
	scratch_store_b64 off, v[72:73], off offset:248
	s_wait_loadcnt 0x0
	ds_store_b64 v1, v[70:71]
.LBB97_155:
	s_wait_xcnt 0x0
	s_or_b32 exec_lo, exec_lo, s0
	s_wait_storecnt_dscnt 0x0
	s_barrier_signal -1
	s_barrier_wait -1
	s_clause 0x1
	scratch_load_b128 v[70:73], off, off offset:256
	scratch_load_b64 v[78:79], off, off offset:248
	ds_load_b128 v[74:77], v7 offset:528
	s_mov_b32 s0, exec_lo
	s_wait_dscnt 0x0
	v_dual_mov_b32 v80, v77 :: v_dual_mov_b32 v81, v76
	s_wait_loadcnt 0x1
	v_pk_mul_f32 v[82:83], v[74:75], v[70:71] op_sel:[1,1] op_sel_hi:[0,1]
	s_delay_alu instid0(VALU_DEP_1) | instskip(SKIP_2) | instid1(VALU_DEP_3)
	v_pk_fma_f32 v[86:87], v[74:75], v[70:71], v[82:83] op_sel_hi:[1,0,1]
	v_mov_b32_e32 v84, v73
	v_pk_fma_f32 v[70:71], v[74:75], v[70:71], v[82:83] neg_lo:[0,0,1] neg_hi:[0,0,1]
	v_mov_b32_e32 v71, v87
	s_delay_alu instid0(VALU_DEP_3) | instskip(NEXT) | instid1(VALU_DEP_2)
	v_pk_mul_f32 v[80:81], v[80:81], v[84:85] op_sel_hi:[1,0]
	v_pk_add_f32 v[70:71], v[70:71], 0 op_sel_hi:[1,0]
	s_delay_alu instid0(VALU_DEP_2) | instskip(SKIP_1) | instid1(VALU_DEP_2)
	v_pk_fma_f32 v[74:75], v[76:77], v[72:73], v[80:81] op_sel_hi:[1,0,1]
	v_pk_fma_f32 v[72:73], v[76:77], v[72:73], v[80:81] neg_lo:[0,0,1] neg_hi:[0,0,1]
	v_mov_b32_e32 v73, v75
	s_delay_alu instid0(VALU_DEP_1) | instskip(SKIP_1) | instid1(VALU_DEP_1)
	v_pk_add_f32 v[70:71], v[70:71], v[72:73]
	s_wait_loadcnt 0x0
	v_pk_add_f32 v[70:71], v[78:79], v[70:71] neg_lo:[0,1] neg_hi:[0,1]
	scratch_store_b64 off, v[70:71], off offset:248
	s_wait_xcnt 0x0
	v_cmpx_lt_u32_e32 30, v0
	s_cbranch_execz .LBB97_157
; %bb.156:
	scratch_load_b64 v[70:71], off, off offset:240
	v_mov_b64_e32 v[72:73], 0
	scratch_store_b64 off, v[72:73], off offset:240
	s_wait_loadcnt 0x0
	ds_store_b64 v1, v[70:71]
.LBB97_157:
	s_wait_xcnt 0x0
	s_or_b32 exec_lo, exec_lo, s0
	s_wait_storecnt_dscnt 0x0
	s_barrier_signal -1
	s_barrier_wait -1
	s_clause 0x2
	scratch_load_b128 v[70:73], off, off offset:248
	scratch_load_b64 v[78:79], off, off offset:264
	scratch_load_b64 v[80:81], off, off offset:240
	v_mov_b32_e32 v7, 0
	ds_load_2addr_b64 v[74:77], v7 offset0:65 offset1:66
	ds_load_b64 v[82:83], v7 offset:536
	s_mov_b32 s0, exec_lo
	s_wait_dscnt 0x1
	v_dual_mov_b32 v84, v77 :: v_dual_mov_b32 v85, v76
	s_wait_loadcnt 0x2
	v_mov_b32_e32 v88, v73
	v_pk_mul_f32 v[86:87], v[74:75], v[70:71] op_sel:[1,1] op_sel_hi:[0,1]
	s_delay_alu instid0(VALU_DEP_2) | instskip(NEXT) | instid1(VALU_DEP_2)
	v_pk_mul_f32 v[84:85], v[84:85], v[88:89] op_sel_hi:[1,0]
	v_pk_fma_f32 v[90:91], v[74:75], v[70:71], v[86:87] op_sel_hi:[1,0,1]
	v_pk_fma_f32 v[70:71], v[74:75], v[70:71], v[86:87] neg_lo:[0,0,1] neg_hi:[0,0,1]
	s_wait_loadcnt_dscnt 0x100
	v_pk_mul_f32 v[86:87], v[82:83], v[78:79] op_sel:[1,1] op_sel_hi:[0,1]
	v_pk_fma_f32 v[74:75], v[76:77], v[72:73], v[84:85] op_sel_hi:[1,0,1]
	v_mov_b32_e32 v71, v91
	v_pk_fma_f32 v[72:73], v[76:77], v[72:73], v[84:85] neg_lo:[0,0,1] neg_hi:[0,0,1]
	s_delay_alu instid0(VALU_DEP_4) | instskip(NEXT) | instid1(VALU_DEP_4)
	v_pk_fma_f32 v[76:77], v[82:83], v[78:79], v[86:87] neg_lo:[0,0,1] neg_hi:[0,0,1]
	v_mov_b32_e32 v73, v75
	s_delay_alu instid0(VALU_DEP_4) | instskip(SKIP_1) | instid1(VALU_DEP_2)
	v_pk_add_f32 v[70:71], v[70:71], 0 op_sel_hi:[1,0]
	v_pk_fma_f32 v[74:75], v[82:83], v[78:79], v[86:87] op_sel_hi:[1,0,1]
	v_pk_add_f32 v[70:71], v[70:71], v[72:73]
	s_delay_alu instid0(VALU_DEP_2) | instskip(NEXT) | instid1(VALU_DEP_1)
	v_mov_b32_e32 v77, v75
	v_pk_add_f32 v[70:71], v[70:71], v[76:77]
	s_wait_loadcnt 0x0
	s_delay_alu instid0(VALU_DEP_1)
	v_pk_add_f32 v[70:71], v[80:81], v[70:71] neg_lo:[0,1] neg_hi:[0,1]
	scratch_store_b64 off, v[70:71], off offset:240
	s_wait_xcnt 0x0
	v_cmpx_lt_u32_e32 29, v0
	s_cbranch_execz .LBB97_159
; %bb.158:
	scratch_load_b64 v[70:71], off, off offset:232
	v_mov_b64_e32 v[72:73], 0
	scratch_store_b64 off, v[72:73], off offset:232
	s_wait_loadcnt 0x0
	ds_store_b64 v1, v[70:71]
.LBB97_159:
	s_wait_xcnt 0x0
	s_or_b32 exec_lo, exec_lo, s0
	s_wait_storecnt_dscnt 0x0
	s_barrier_signal -1
	s_barrier_wait -1
	s_clause 0x2
	scratch_load_b128 v[70:73], off, off offset:240
	scratch_load_b128 v[74:77], off, off offset:256
	scratch_load_b64 v[86:87], off, off offset:232
	ds_load_b128 v[78:81], v7 offset:512
	ds_load_b128 v[82:85], v7 offset:528
	s_mov_b32 s0, exec_lo
	s_wait_dscnt 0x1
	v_dual_mov_b32 v88, v81 :: v_dual_mov_b32 v89, v80
	s_wait_loadcnt_dscnt 0x200
	v_dual_mov_b32 v94, v85 :: v_dual_mov_b32 v92, v73
	v_pk_mul_f32 v[90:91], v[78:79], v[70:71] op_sel:[1,1] op_sel_hi:[0,1]
	s_delay_alu instid0(VALU_DEP_2) | instskip(NEXT) | instid1(VALU_DEP_2)
	v_pk_mul_f32 v[88:89], v[88:89], v[92:93] op_sel_hi:[1,0]
	v_pk_fma_f32 v[96:97], v[78:79], v[70:71], v[90:91] op_sel_hi:[1,0,1]
	v_pk_fma_f32 v[70:71], v[78:79], v[70:71], v[90:91] neg_lo:[0,0,1] neg_hi:[0,0,1]
	v_mov_b32_e32 v95, v84
	s_wait_loadcnt 0x1
	v_pk_mul_f32 v[92:93], v[82:83], v[74:75] op_sel:[1,1] op_sel_hi:[0,1]
	v_pk_fma_f32 v[78:79], v[80:81], v[72:73], v[88:89] op_sel_hi:[1,0,1]
	v_dual_mov_b32 v71, v97 :: v_dual_mov_b32 v78, v77
	v_pk_fma_f32 v[72:73], v[80:81], v[72:73], v[88:89] neg_lo:[0,0,1] neg_hi:[0,0,1]
	s_delay_alu instid0(VALU_DEP_4) | instskip(NEXT) | instid1(VALU_DEP_4)
	v_pk_fma_f32 v[90:91], v[82:83], v[74:75], v[92:93] op_sel_hi:[1,0,1]
	v_mov_b32_e32 v73, v79
	s_delay_alu instid0(VALU_DEP_4) | instskip(SKIP_2) | instid1(VALU_DEP_3)
	v_pk_add_f32 v[70:71], v[70:71], 0 op_sel_hi:[1,0]
	v_pk_mul_f32 v[78:79], v[94:95], v[78:79] op_sel_hi:[1,0]
	v_pk_fma_f32 v[74:75], v[82:83], v[74:75], v[92:93] neg_lo:[0,0,1] neg_hi:[0,0,1]
	v_pk_add_f32 v[70:71], v[70:71], v[72:73]
	s_delay_alu instid0(VALU_DEP_3) | instskip(SKIP_2) | instid1(VALU_DEP_3)
	v_pk_fma_f32 v[72:73], v[84:85], v[76:77], v[78:79] op_sel_hi:[1,0,1]
	v_mov_b32_e32 v75, v91
	v_pk_fma_f32 v[76:77], v[84:85], v[76:77], v[78:79] neg_lo:[0,0,1] neg_hi:[0,0,1]
	v_mov_b32_e32 v77, v73
	s_delay_alu instid0(VALU_DEP_3) | instskip(NEXT) | instid1(VALU_DEP_1)
	v_pk_add_f32 v[70:71], v[70:71], v[74:75]
	v_pk_add_f32 v[70:71], v[70:71], v[76:77]
	s_wait_loadcnt 0x0
	s_delay_alu instid0(VALU_DEP_1)
	v_pk_add_f32 v[70:71], v[86:87], v[70:71] neg_lo:[0,1] neg_hi:[0,1]
	scratch_store_b64 off, v[70:71], off offset:232
	s_wait_xcnt 0x0
	v_cmpx_lt_u32_e32 28, v0
	s_cbranch_execz .LBB97_161
; %bb.160:
	scratch_load_b64 v[70:71], off, off offset:224
	v_mov_b64_e32 v[72:73], 0
	scratch_store_b64 off, v[72:73], off offset:224
	s_wait_loadcnt 0x0
	ds_store_b64 v1, v[70:71]
.LBB97_161:
	s_wait_xcnt 0x0
	s_or_b32 exec_lo, exec_lo, s0
	s_wait_storecnt_dscnt 0x0
	s_barrier_signal -1
	s_barrier_wait -1
	s_clause 0x3
	scratch_load_b128 v[70:73], off, off offset:232
	scratch_load_b128 v[74:77], off, off offset:248
	scratch_load_b64 v[86:87], off, off offset:264
	scratch_load_b64 v[88:89], off, off offset:224
	v_mov_b32_e32 v7, 0
	ds_load_2addr_b64 v[78:81], v7 offset0:63 offset1:64
	ds_load_2addr_b64 v[82:85], v7 offset0:65 offset1:66
	s_mov_b32 s0, exec_lo
	s_wait_dscnt 0x1
	v_dual_mov_b32 v90, v81 :: v_dual_mov_b32 v91, v80
	ds_load_b64 v[96:97], v7 offset:536
	s_wait_dscnt 0x1
	v_dual_mov_b32 v98, v85 :: v_dual_mov_b32 v99, v84
	s_wait_loadcnt 0x3
	v_pk_mul_f32 v[92:93], v[78:79], v[70:71] op_sel:[1,1] op_sel_hi:[0,1]
	v_mov_b32_e32 v94, v73
	s_delay_alu instid0(VALU_DEP_2) | instskip(NEXT) | instid1(VALU_DEP_2)
	v_pk_fma_f32 v[100:101], v[78:79], v[70:71], v[92:93] op_sel_hi:[1,0,1]
	v_pk_mul_f32 v[90:91], v[90:91], v[94:95] op_sel_hi:[1,0]
	v_pk_fma_f32 v[70:71], v[78:79], v[70:71], v[92:93] neg_lo:[0,0,1] neg_hi:[0,0,1]
	s_wait_loadcnt 0x2
	v_pk_mul_f32 v[94:95], v[82:83], v[74:75] op_sel:[1,1] op_sel_hi:[0,1]
	v_dual_mov_b32 v100, v77 :: v_dual_mov_b32 v71, v101
	v_pk_fma_f32 v[78:79], v[80:81], v[72:73], v[90:91] op_sel_hi:[1,0,1]
	v_pk_fma_f32 v[72:73], v[80:81], v[72:73], v[90:91] neg_lo:[0,0,1] neg_hi:[0,0,1]
	s_delay_alu instid0(VALU_DEP_4) | instskip(NEXT) | instid1(VALU_DEP_4)
	v_pk_fma_f32 v[92:93], v[82:83], v[74:75], v[94:95] op_sel_hi:[1,0,1]
	v_pk_mul_f32 v[98:99], v[98:99], v[100:101] op_sel_hi:[1,0]
	v_pk_add_f32 v[70:71], v[70:71], 0 op_sel_hi:[1,0]
	v_mov_b32_e32 v73, v79
	v_pk_fma_f32 v[74:75], v[82:83], v[74:75], v[94:95] neg_lo:[0,0,1] neg_hi:[0,0,1]
	v_mov_b32_e32 v75, v93
	v_pk_fma_f32 v[78:79], v[84:85], v[76:77], v[98:99] op_sel_hi:[1,0,1]
	v_pk_fma_f32 v[76:77], v[84:85], v[76:77], v[98:99] neg_lo:[0,0,1] neg_hi:[0,0,1]
	v_pk_add_f32 v[70:71], v[70:71], v[72:73]
	s_wait_loadcnt_dscnt 0x100
	v_pk_mul_f32 v[72:73], v[96:97], v[86:87] op_sel:[1,1] op_sel_hi:[0,1]
	s_delay_alu instid0(VALU_DEP_2) | instskip(NEXT) | instid1(VALU_DEP_2)
	v_pk_add_f32 v[70:71], v[70:71], v[74:75]
	v_pk_fma_f32 v[74:75], v[96:97], v[86:87], v[72:73] op_sel_hi:[1,0,1]
	v_mov_b32_e32 v77, v79
	v_pk_fma_f32 v[72:73], v[96:97], v[86:87], v[72:73] neg_lo:[0,0,1] neg_hi:[0,0,1]
	s_delay_alu instid0(VALU_DEP_3) | instskip(NEXT) | instid1(VALU_DEP_3)
	v_mov_b32_e32 v73, v75
	v_pk_add_f32 v[70:71], v[70:71], v[76:77]
	s_delay_alu instid0(VALU_DEP_1) | instskip(SKIP_1) | instid1(VALU_DEP_1)
	v_pk_add_f32 v[70:71], v[70:71], v[72:73]
	s_wait_loadcnt 0x0
	v_pk_add_f32 v[70:71], v[88:89], v[70:71] neg_lo:[0,1] neg_hi:[0,1]
	scratch_store_b64 off, v[70:71], off offset:224
	s_wait_xcnt 0x0
	v_cmpx_lt_u32_e32 27, v0
	s_cbranch_execz .LBB97_163
; %bb.162:
	scratch_load_b64 v[70:71], off, off offset:216
	v_mov_b64_e32 v[72:73], 0
	scratch_store_b64 off, v[72:73], off offset:216
	s_wait_loadcnt 0x0
	ds_store_b64 v1, v[70:71]
.LBB97_163:
	s_wait_xcnt 0x0
	s_or_b32 exec_lo, exec_lo, s0
	s_wait_storecnt_dscnt 0x0
	s_barrier_signal -1
	s_barrier_wait -1
	s_clause 0x3
	scratch_load_b128 v[70:73], off, off offset:224
	scratch_load_b128 v[74:77], off, off offset:240
	scratch_load_b128 v[78:81], off, off offset:256
	scratch_load_b64 v[94:95], off, off offset:216
	ds_load_b128 v[82:85], v7 offset:496
	ds_load_b128 v[86:89], v7 offset:512
	ds_load_b128 v[90:93], v7 offset:528
	s_mov_b32 s0, exec_lo
	s_wait_dscnt 0x2
	v_dual_mov_b32 v96, v85 :: v_dual_mov_b32 v97, v84
	s_wait_dscnt 0x1
	v_dual_mov_b32 v98, v89 :: v_dual_mov_b32 v99, v88
	;; [unrolled: 2-line block ×3, first 2 shown]
	s_wait_loadcnt 0x3
	v_pk_mul_f32 v[100:101], v[82:83], v[70:71] op_sel:[1,1] op_sel_hi:[0,1]
	v_mov_b32_e32 v102, v73
	s_delay_alu instid0(VALU_DEP_2) | instskip(NEXT) | instid1(VALU_DEP_2)
	v_pk_fma_f32 v[106:107], v[82:83], v[70:71], v[100:101] op_sel_hi:[1,0,1]
	v_pk_mul_f32 v[96:97], v[96:97], v[102:103] op_sel_hi:[1,0]
	v_pk_fma_f32 v[70:71], v[82:83], v[70:71], v[100:101] neg_lo:[0,0,1] neg_hi:[0,0,1]
	s_wait_loadcnt 0x2
	v_pk_mul_f32 v[102:103], v[86:87], v[74:75] op_sel:[1,1] op_sel_hi:[0,1]
	v_mov_b32_e32 v106, v77
	v_pk_fma_f32 v[82:83], v[84:85], v[72:73], v[96:97] op_sel_hi:[1,0,1]
	v_mov_b32_e32 v71, v107
	v_pk_fma_f32 v[72:73], v[84:85], v[72:73], v[96:97] neg_lo:[0,0,1] neg_hi:[0,0,1]
	v_pk_fma_f32 v[100:101], v[86:87], v[74:75], v[102:103] op_sel_hi:[1,0,1]
	v_pk_mul_f32 v[98:99], v[98:99], v[106:107] op_sel_hi:[1,0]
	v_mov_b32_e32 v73, v83
	v_pk_add_f32 v[70:71], v[70:71], 0 op_sel_hi:[1,0]
	v_pk_fma_f32 v[74:75], v[86:87], v[74:75], v[102:103] neg_lo:[0,0,1] neg_hi:[0,0,1]
	s_wait_loadcnt 0x1
	v_pk_mul_f32 v[82:83], v[90:91], v[78:79] op_sel:[1,1] op_sel_hi:[0,1]
	v_mov_b32_e32 v75, v101
	v_pk_fma_f32 v[84:85], v[88:89], v[76:77], v[98:99] op_sel_hi:[1,0,1]
	v_pk_add_f32 v[70:71], v[70:71], v[72:73]
	v_mov_b32_e32 v72, v81
	v_pk_fma_f32 v[76:77], v[88:89], v[76:77], v[98:99] neg_lo:[0,0,1] neg_hi:[0,0,1]
	v_pk_fma_f32 v[86:87], v[90:91], v[78:79], v[82:83] op_sel_hi:[1,0,1]
	v_mov_b32_e32 v77, v85
	v_pk_add_f32 v[70:71], v[70:71], v[74:75]
	v_pk_mul_f32 v[72:73], v[104:105], v[72:73] op_sel_hi:[1,0]
	v_pk_fma_f32 v[74:75], v[90:91], v[78:79], v[82:83] neg_lo:[0,0,1] neg_hi:[0,0,1]
	v_mov_b32_e32 v75, v87
	s_delay_alu instid0(VALU_DEP_4) | instskip(NEXT) | instid1(VALU_DEP_4)
	v_pk_add_f32 v[70:71], v[70:71], v[76:77]
	v_pk_fma_f32 v[76:77], v[92:93], v[80:81], v[72:73] op_sel_hi:[1,0,1]
	v_pk_fma_f32 v[72:73], v[92:93], v[80:81], v[72:73] neg_lo:[0,0,1] neg_hi:[0,0,1]
	s_delay_alu instid0(VALU_DEP_3) | instskip(NEXT) | instid1(VALU_DEP_3)
	v_pk_add_f32 v[70:71], v[70:71], v[74:75]
	v_mov_b32_e32 v73, v77
	s_delay_alu instid0(VALU_DEP_1) | instskip(SKIP_1) | instid1(VALU_DEP_1)
	v_pk_add_f32 v[70:71], v[70:71], v[72:73]
	s_wait_loadcnt 0x0
	v_pk_add_f32 v[70:71], v[94:95], v[70:71] neg_lo:[0,1] neg_hi:[0,1]
	scratch_store_b64 off, v[70:71], off offset:216
	s_wait_xcnt 0x0
	v_cmpx_lt_u32_e32 26, v0
	s_cbranch_execz .LBB97_165
; %bb.164:
	scratch_load_b64 v[70:71], off, off offset:208
	v_mov_b64_e32 v[72:73], 0
	scratch_store_b64 off, v[72:73], off offset:208
	s_wait_loadcnt 0x0
	ds_store_b64 v1, v[70:71]
.LBB97_165:
	s_wait_xcnt 0x0
	s_or_b32 exec_lo, exec_lo, s0
	s_wait_storecnt_dscnt 0x0
	s_barrier_signal -1
	s_barrier_wait -1
	s_clause 0x4
	scratch_load_b128 v[70:73], off, off offset:216
	scratch_load_b128 v[74:77], off, off offset:232
	;; [unrolled: 1-line block ×3, first 2 shown]
	scratch_load_b64 v[94:95], off, off offset:264
	scratch_load_b64 v[96:97], off, off offset:208
	v_mov_b32_e32 v7, 0
	ds_load_2addr_b64 v[82:85], v7 offset0:61 offset1:62
	ds_load_2addr_b64 v[86:89], v7 offset0:63 offset1:64
	;; [unrolled: 1-line block ×3, first 2 shown]
	ds_load_b64 v[98:99], v7 offset:536
	s_mov_b32 s0, exec_lo
	s_wait_dscnt 0x3
	v_dual_mov_b32 v100, v85 :: v_dual_mov_b32 v101, v84
	s_wait_dscnt 0x2
	v_dual_mov_b32 v102, v89 :: v_dual_mov_b32 v103, v88
	;; [unrolled: 2-line block ×3, first 2 shown]
	s_wait_loadcnt 0x4
	v_pk_mul_f32 v[104:105], v[82:83], v[70:71] op_sel:[1,1] op_sel_hi:[0,1]
	v_mov_b32_e32 v106, v73
	s_wait_loadcnt 0x3
	v_pk_mul_f32 v[110:111], v[86:87], v[74:75] op_sel:[1,1] op_sel_hi:[0,1]
	s_wait_loadcnt 0x2
	v_pk_mul_f32 v[114:115], v[90:91], v[78:79] op_sel:[1,1] op_sel_hi:[0,1]
	v_pk_fma_f32 v[112:113], v[82:83], v[70:71], v[104:105] op_sel_hi:[1,0,1]
	v_pk_mul_f32 v[100:101], v[100:101], v[106:107] op_sel_hi:[1,0]
	v_pk_fma_f32 v[70:71], v[82:83], v[70:71], v[104:105] neg_lo:[0,0,1] neg_hi:[0,0,1]
	v_mov_b32_e32 v106, v77
	v_pk_fma_f32 v[104:105], v[86:87], v[74:75], v[110:111] op_sel_hi:[1,0,1]
	v_mov_b32_e32 v71, v113
	v_pk_fma_f32 v[82:83], v[84:85], v[72:73], v[100:101] op_sel_hi:[1,0,1]
	v_pk_fma_f32 v[72:73], v[84:85], v[72:73], v[100:101] neg_lo:[0,0,1] neg_hi:[0,0,1]
	v_pk_mul_f32 v[102:103], v[102:103], v[106:107] op_sel_hi:[1,0]
	v_pk_fma_f32 v[74:75], v[86:87], v[74:75], v[110:111] neg_lo:[0,0,1] neg_hi:[0,0,1]
	v_pk_add_f32 v[70:71], v[70:71], 0 op_sel_hi:[1,0]
	v_dual_mov_b32 v73, v83 :: v_dual_mov_b32 v82, v81
	s_delay_alu instid0(VALU_DEP_4) | instskip(SKIP_2) | instid1(VALU_DEP_4)
	v_pk_fma_f32 v[84:85], v[88:89], v[76:77], v[102:103] op_sel_hi:[1,0,1]
	v_mov_b32_e32 v75, v105
	v_pk_fma_f32 v[76:77], v[88:89], v[76:77], v[102:103] neg_lo:[0,0,1] neg_hi:[0,0,1]
	v_pk_add_f32 v[70:71], v[70:71], v[72:73]
	v_pk_fma_f32 v[72:73], v[90:91], v[78:79], v[114:115] op_sel_hi:[1,0,1]
	v_pk_mul_f32 v[82:83], v[108:109], v[82:83] op_sel_hi:[1,0]
	v_mov_b32_e32 v77, v85
	s_delay_alu instid0(VALU_DEP_4)
	v_pk_add_f32 v[70:71], v[70:71], v[74:75]
	v_pk_fma_f32 v[74:75], v[90:91], v[78:79], v[114:115] neg_lo:[0,0,1] neg_hi:[0,0,1]
	v_mov_b32_e32 v75, v73
	v_pk_fma_f32 v[72:73], v[92:93], v[80:81], v[82:83] op_sel_hi:[1,0,1]
	v_pk_fma_f32 v[78:79], v[92:93], v[80:81], v[82:83] neg_lo:[0,0,1] neg_hi:[0,0,1]
	v_pk_add_f32 v[70:71], v[70:71], v[76:77]
	s_wait_loadcnt_dscnt 0x100
	v_pk_mul_f32 v[76:77], v[98:99], v[94:95] op_sel:[1,1] op_sel_hi:[0,1]
	v_mov_b32_e32 v79, v73
	s_delay_alu instid0(VALU_DEP_3) | instskip(NEXT) | instid1(VALU_DEP_3)
	v_pk_add_f32 v[70:71], v[70:71], v[74:75]
	v_pk_fma_f32 v[72:73], v[98:99], v[94:95], v[76:77] op_sel_hi:[1,0,1]
	v_pk_fma_f32 v[74:75], v[98:99], v[94:95], v[76:77] neg_lo:[0,0,1] neg_hi:[0,0,1]
	s_delay_alu instid0(VALU_DEP_3) | instskip(NEXT) | instid1(VALU_DEP_3)
	v_pk_add_f32 v[70:71], v[70:71], v[78:79]
	v_mov_b32_e32 v75, v73
	s_delay_alu instid0(VALU_DEP_1) | instskip(SKIP_1) | instid1(VALU_DEP_1)
	v_pk_add_f32 v[70:71], v[70:71], v[74:75]
	s_wait_loadcnt 0x0
	v_pk_add_f32 v[70:71], v[96:97], v[70:71] neg_lo:[0,1] neg_hi:[0,1]
	scratch_store_b64 off, v[70:71], off offset:208
	s_wait_xcnt 0x0
	v_cmpx_lt_u32_e32 25, v0
	s_cbranch_execz .LBB97_167
; %bb.166:
	scratch_load_b64 v[70:71], off, off offset:200
	v_mov_b64_e32 v[72:73], 0
	scratch_store_b64 off, v[72:73], off offset:200
	s_wait_loadcnt 0x0
	ds_store_b64 v1, v[70:71]
.LBB97_167:
	s_wait_xcnt 0x0
	s_or_b32 exec_lo, exec_lo, s0
	s_wait_storecnt_dscnt 0x0
	s_barrier_signal -1
	s_barrier_wait -1
	s_clause 0x4
	scratch_load_b128 v[70:73], off, off offset:208
	scratch_load_b128 v[74:77], off, off offset:224
	;; [unrolled: 1-line block ×4, first 2 shown]
	scratch_load_b64 v[102:103], off, off offset:200
	ds_load_b128 v[86:89], v7 offset:480
	ds_load_b128 v[90:93], v7 offset:496
	;; [unrolled: 1-line block ×4, first 2 shown]
	s_mov_b32 s0, exec_lo
	s_wait_dscnt 0x3
	v_dual_mov_b32 v104, v89 :: v_dual_mov_b32 v105, v88
	s_wait_dscnt 0x2
	v_dual_mov_b32 v106, v93 :: v_dual_mov_b32 v107, v92
	;; [unrolled: 2-line block ×3, first 2 shown]
	v_dual_mov_b32 v109, v96 :: v_dual_mov_b32 v114, v101
	s_wait_loadcnt 0x4
	v_mov_b32_e32 v112, v73
	v_pk_mul_f32 v[110:111], v[86:87], v[70:71] op_sel:[1,1] op_sel_hi:[0,1]
	s_wait_loadcnt 0x3
	v_pk_mul_f32 v[116:117], v[90:91], v[74:75] op_sel:[1,1] op_sel_hi:[0,1]
	s_wait_loadcnt 0x2
	v_pk_mul_f32 v[120:121], v[94:95], v[78:79] op_sel:[1,1] op_sel_hi:[0,1]
	v_pk_mul_f32 v[104:105], v[104:105], v[112:113] op_sel_hi:[1,0]
	v_pk_fma_f32 v[118:119], v[86:87], v[70:71], v[110:111] op_sel_hi:[1,0,1]
	v_pk_fma_f32 v[70:71], v[86:87], v[70:71], v[110:111] neg_lo:[0,0,1] neg_hi:[0,0,1]
	v_mov_b32_e32 v112, v77
	v_pk_fma_f32 v[110:111], v[90:91], v[74:75], v[116:117] op_sel_hi:[1,0,1]
	v_pk_fma_f32 v[86:87], v[88:89], v[72:73], v[104:105] op_sel_hi:[1,0,1]
	v_mov_b32_e32 v71, v119
	v_pk_fma_f32 v[72:73], v[88:89], v[72:73], v[104:105] neg_lo:[0,0,1] neg_hi:[0,0,1]
	v_pk_mul_f32 v[106:107], v[106:107], v[112:113] op_sel_hi:[1,0]
	s_delay_alu instid0(VALU_DEP_4) | instskip(NEXT) | instid1(VALU_DEP_4)
	v_dual_mov_b32 v86, v81 :: v_dual_mov_b32 v73, v87
	v_pk_add_f32 v[70:71], v[70:71], 0 op_sel_hi:[1,0]
	v_pk_fma_f32 v[74:75], v[90:91], v[74:75], v[116:117] neg_lo:[0,0,1] neg_hi:[0,0,1]
	v_mov_b32_e32 v75, v111
	v_pk_fma_f32 v[88:89], v[92:93], v[76:77], v[106:107] op_sel_hi:[1,0,1]
	v_pk_mul_f32 v[86:87], v[108:109], v[86:87] op_sel_hi:[1,0]
	v_pk_add_f32 v[70:71], v[70:71], v[72:73]
	v_pk_fma_f32 v[72:73], v[94:95], v[78:79], v[120:121] op_sel_hi:[1,0,1]
	v_pk_fma_f32 v[76:77], v[92:93], v[76:77], v[106:107] neg_lo:[0,0,1] neg_hi:[0,0,1]
	v_mov_b32_e32 v77, v89
	v_pk_fma_f32 v[78:79], v[94:95], v[78:79], v[120:121] neg_lo:[0,0,1] neg_hi:[0,0,1]
	v_pk_add_f32 v[70:71], v[70:71], v[74:75]
	v_mov_b32_e32 v79, v73
	v_pk_fma_f32 v[72:73], v[96:97], v[80:81], v[86:87] op_sel_hi:[1,0,1]
	s_wait_loadcnt 0x1
	v_pk_mul_f32 v[74:75], v[98:99], v[82:83] op_sel:[1,1] op_sel_hi:[0,1]
	v_mov_b32_e32 v72, v85
	v_pk_add_f32 v[70:71], v[70:71], v[76:77]
	v_pk_fma_f32 v[80:81], v[96:97], v[80:81], v[86:87] neg_lo:[0,0,1] neg_hi:[0,0,1]
	v_mov_b32_e32 v81, v73
	v_pk_fma_f32 v[76:77], v[98:99], v[82:83], v[74:75] op_sel_hi:[1,0,1]
	v_pk_mul_f32 v[72:73], v[114:115], v[72:73] op_sel_hi:[1,0]
	v_pk_add_f32 v[70:71], v[70:71], v[78:79]
	v_pk_fma_f32 v[74:75], v[98:99], v[82:83], v[74:75] neg_lo:[0,0,1] neg_hi:[0,0,1]
	s_delay_alu instid0(VALU_DEP_4) | instskip(NEXT) | instid1(VALU_DEP_4)
	v_mov_b32_e32 v75, v77
	v_pk_fma_f32 v[76:77], v[100:101], v[84:85], v[72:73] op_sel_hi:[1,0,1]
	s_delay_alu instid0(VALU_DEP_4) | instskip(SKIP_1) | instid1(VALU_DEP_3)
	v_pk_add_f32 v[70:71], v[70:71], v[80:81]
	v_pk_fma_f32 v[72:73], v[100:101], v[84:85], v[72:73] neg_lo:[0,0,1] neg_hi:[0,0,1]
	v_mov_b32_e32 v73, v77
	s_delay_alu instid0(VALU_DEP_3) | instskip(NEXT) | instid1(VALU_DEP_1)
	v_pk_add_f32 v[70:71], v[70:71], v[74:75]
	v_pk_add_f32 v[70:71], v[70:71], v[72:73]
	s_wait_loadcnt 0x0
	s_delay_alu instid0(VALU_DEP_1)
	v_pk_add_f32 v[70:71], v[102:103], v[70:71] neg_lo:[0,1] neg_hi:[0,1]
	scratch_store_b64 off, v[70:71], off offset:200
	s_wait_xcnt 0x0
	v_cmpx_lt_u32_e32 24, v0
	s_cbranch_execz .LBB97_169
; %bb.168:
	scratch_load_b64 v[70:71], off, off offset:192
	v_mov_b64_e32 v[72:73], 0
	scratch_store_b64 off, v[72:73], off offset:192
	s_wait_loadcnt 0x0
	ds_store_b64 v1, v[70:71]
.LBB97_169:
	s_wait_xcnt 0x0
	s_or_b32 exec_lo, exec_lo, s0
	s_wait_storecnt_dscnt 0x0
	s_barrier_signal -1
	s_barrier_wait -1
	s_clause 0x5
	scratch_load_b128 v[70:73], off, off offset:200
	scratch_load_b128 v[74:77], off, off offset:216
	;; [unrolled: 1-line block ×4, first 2 shown]
	scratch_load_b64 v[102:103], off, off offset:264
	scratch_load_b64 v[104:105], off, off offset:192
	v_mov_b32_e32 v7, 0
	ds_load_2addr_b64 v[86:89], v7 offset0:59 offset1:60
	ds_load_2addr_b64 v[90:93], v7 offset0:61 offset1:62
	;; [unrolled: 1-line block ×4, first 2 shown]
	ds_load_b64 v[106:107], v7 offset:536
	s_mov_b32 s0, exec_lo
	s_wait_dscnt 0x4
	v_dual_mov_b32 v108, v89 :: v_dual_mov_b32 v109, v88
	s_wait_dscnt 0x1
	v_dual_mov_b32 v110, v93 :: v_dual_mov_b32 v115, v100
	v_dual_mov_b32 v111, v92 :: v_dual_mov_b32 v112, v97
	;; [unrolled: 1-line block ×3, first 2 shown]
	s_wait_loadcnt 0x5
	v_dual_mov_b32 v116, v73 :: v_dual_mul_f32 v117, v86, v71
	v_mul_f32_e32 v9, v87, v71
	s_wait_loadcnt 0x4
	v_pk_mul_f32 v[118:119], v[90:91], v[74:75] op_sel:[1,1] op_sel_hi:[0,1]
	v_mov_b32_e32 v120, v77
	s_wait_loadcnt 0x3
	v_pk_mul_f32 v[122:123], v[94:95], v[78:79] op_sel:[1,1] op_sel_hi:[0,1]
	v_pk_mul_f32 v[108:109], v[108:109], v[116:117] op_sel_hi:[1,0]
	v_fmac_f32_e32 v117, v87, v70
	v_dual_fma_f32 v116, v86, v70, -v9 :: v_dual_mov_b32 v70, v81
	v_pk_fma_f32 v[124:125], v[90:91], v[74:75], v[118:119] op_sel_hi:[1,0,1]
	s_delay_alu instid0(VALU_DEP_4)
	v_pk_fma_f32 v[86:87], v[88:89], v[72:73], v[108:109] op_sel_hi:[1,0,1]
	v_pk_fma_f32 v[72:73], v[88:89], v[72:73], v[108:109] neg_lo:[0,0,1] neg_hi:[0,0,1]
	v_pk_mul_f32 v[110:111], v[110:111], v[120:121] op_sel_hi:[1,0]
	v_pk_add_f32 v[116:117], v[116:117], 0 op_sel_hi:[1,0]
	v_pk_fma_f32 v[74:75], v[90:91], v[74:75], v[118:119] neg_lo:[0,0,1] neg_hi:[0,0,1]
	v_dual_mov_b32 v73, v87 :: v_dual_mov_b32 v75, v125
	s_delay_alu instid0(VALU_DEP_4) | instskip(SKIP_2) | instid1(VALU_DEP_4)
	v_pk_fma_f32 v[88:89], v[92:93], v[76:77], v[110:111] op_sel_hi:[1,0,1]
	v_pk_fma_f32 v[76:77], v[92:93], v[76:77], v[110:111] neg_lo:[0,0,1] neg_hi:[0,0,1]
	v_pk_fma_f32 v[90:91], v[94:95], v[78:79], v[122:123] op_sel_hi:[1,0,1]
	v_pk_add_f32 v[72:73], v[116:117], v[72:73]
	v_pk_mul_f32 v[70:71], v[112:113], v[70:71] op_sel_hi:[1,0]
	v_mov_b32_e32 v77, v89
	v_pk_fma_f32 v[78:79], v[94:95], v[78:79], v[122:123] neg_lo:[0,0,1] neg_hi:[0,0,1]
	s_wait_loadcnt 0x2
	v_pk_mul_f32 v[86:87], v[98:99], v[82:83] op_sel:[1,1] op_sel_hi:[0,1]
	v_pk_add_f32 v[72:73], v[72:73], v[74:75]
	v_mov_b32_e32 v74, v85
	v_pk_fma_f32 v[88:89], v[96:97], v[80:81], v[70:71] op_sel_hi:[1,0,1]
	v_mov_b32_e32 v79, v91
	v_pk_fma_f32 v[70:71], v[96:97], v[80:81], v[70:71] neg_lo:[0,0,1] neg_hi:[0,0,1]
	v_pk_add_f32 v[72:73], v[72:73], v[76:77]
	v_pk_fma_f32 v[76:77], v[98:99], v[82:83], v[86:87] op_sel_hi:[1,0,1]
	v_pk_mul_f32 v[74:75], v[114:115], v[74:75] op_sel_hi:[1,0]
	v_mov_b32_e32 v71, v89
	s_delay_alu instid0(VALU_DEP_4)
	v_pk_add_f32 v[72:73], v[72:73], v[78:79]
	v_pk_fma_f32 v[78:79], v[98:99], v[82:83], v[86:87] neg_lo:[0,0,1] neg_hi:[0,0,1]
	v_mov_b32_e32 v79, v77
	v_pk_fma_f32 v[76:77], v[100:101], v[84:85], v[74:75] op_sel_hi:[1,0,1]
	v_pk_fma_f32 v[74:75], v[100:101], v[84:85], v[74:75] neg_lo:[0,0,1] neg_hi:[0,0,1]
	v_pk_add_f32 v[70:71], v[72:73], v[70:71]
	s_wait_loadcnt_dscnt 0x100
	v_pk_mul_f32 v[72:73], v[106:107], v[102:103] op_sel:[1,1] op_sel_hi:[0,1]
	v_mov_b32_e32 v75, v77
	s_delay_alu instid0(VALU_DEP_3) | instskip(NEXT) | instid1(VALU_DEP_3)
	v_pk_add_f32 v[70:71], v[70:71], v[78:79]
	v_pk_fma_f32 v[76:77], v[106:107], v[102:103], v[72:73] op_sel_hi:[1,0,1]
	v_pk_fma_f32 v[72:73], v[106:107], v[102:103], v[72:73] neg_lo:[0,0,1] neg_hi:[0,0,1]
	s_delay_alu instid0(VALU_DEP_3) | instskip(NEXT) | instid1(VALU_DEP_3)
	v_pk_add_f32 v[70:71], v[70:71], v[74:75]
	v_mov_b32_e32 v73, v77
	s_delay_alu instid0(VALU_DEP_1) | instskip(SKIP_1) | instid1(VALU_DEP_1)
	v_pk_add_f32 v[70:71], v[70:71], v[72:73]
	s_wait_loadcnt 0x0
	v_pk_add_f32 v[70:71], v[104:105], v[70:71] neg_lo:[0,1] neg_hi:[0,1]
	scratch_store_b64 off, v[70:71], off offset:192
	s_wait_xcnt 0x0
	v_cmpx_lt_u32_e32 23, v0
	s_cbranch_execz .LBB97_171
; %bb.170:
	scratch_load_b64 v[70:71], off, off offset:184
	v_mov_b64_e32 v[72:73], 0
	scratch_store_b64 off, v[72:73], off offset:184
	s_wait_loadcnt 0x0
	ds_store_b64 v1, v[70:71]
.LBB97_171:
	s_wait_xcnt 0x0
	s_or_b32 exec_lo, exec_lo, s0
	s_wait_storecnt_dscnt 0x0
	s_barrier_signal -1
	s_barrier_wait -1
	s_clause 0x5
	scratch_load_b128 v[70:73], off, off offset:192
	scratch_load_b128 v[74:77], off, off offset:208
	;; [unrolled: 1-line block ×5, first 2 shown]
	scratch_load_b64 v[110:111], off, off offset:184
	ds_load_b128 v[90:93], v7 offset:480
	ds_load_b128 v[94:97], v7 offset:496
	;; [unrolled: 1-line block ×5, first 2 shown]
	s_mov_b32 s0, exec_lo
	s_wait_dscnt 0x4
	v_dual_mov_b32 v112, v93 :: v_dual_mov_b32 v113, v92
	s_wait_dscnt 0x3
	v_dual_mov_b32 v114, v97 :: v_dual_mov_b32 v115, v96
	;; [unrolled: 2-line block ×4, first 2 shown]
	s_wait_loadcnt_dscnt 0x500
	v_dual_mul_f32 v121, v106, v71 :: v_dual_mul_f32 v123, v108, v73
	v_dual_mul_f32 v7, v107, v71 :: v_dual_mul_f32 v9, v109, v73
	s_wait_loadcnt 0x4
	v_pk_mul_f32 v[124:125], v[90:91], v[74:75] op_sel:[1,1] op_sel_hi:[0,1]
	s_wait_loadcnt 0x3
	v_dual_mov_b32 v126, v77 :: v_dual_mov_b32 v130, v81
	v_dual_fmac_f32 v121, v107, v70 :: v_dual_fma_f32 v120, v106, v70, -v7
	v_dual_fmac_f32 v123, v109, v72 :: v_dual_fma_f32 v122, v108, v72, -v9
	v_pk_fma_f32 v[70:71], v[90:91], v[74:75], v[124:125] op_sel_hi:[1,0,1]
	s_delay_alu instid0(VALU_DEP_4) | instskip(NEXT) | instid1(VALU_DEP_4)
	v_pk_mul_f32 v[72:73], v[112:113], v[126:127] op_sel_hi:[1,0]
	v_pk_add_f32 v[106:107], v[120:121], 0 op_sel_hi:[1,0]
	v_pk_fma_f32 v[74:75], v[90:91], v[74:75], v[124:125] neg_lo:[0,0,1] neg_hi:[0,0,1]
	v_pk_mul_f32 v[128:129], v[94:95], v[78:79] op_sel:[1,1] op_sel_hi:[0,1]
	v_mov_b32_e32 v75, v71
	v_pk_fma_f32 v[70:71], v[92:93], v[76:77], v[72:73] op_sel_hi:[1,0,1]
	v_pk_add_f32 v[90:91], v[106:107], v[122:123]
	v_pk_fma_f32 v[72:73], v[92:93], v[76:77], v[72:73] neg_lo:[0,0,1] neg_hi:[0,0,1]
	v_pk_fma_f32 v[106:107], v[94:95], v[78:79], v[128:129] op_sel_hi:[1,0,1]
	v_pk_mul_f32 v[112:113], v[114:115], v[130:131] op_sel_hi:[1,0]
	v_mov_b32_e32 v73, v71
	v_pk_add_f32 v[70:71], v[90:91], v[74:75]
	s_wait_loadcnt 0x2
	v_pk_mul_f32 v[108:109], v[98:99], v[82:83] op_sel:[1,1] op_sel_hi:[0,1]
	v_mov_b32_e32 v74, v85
	v_pk_fma_f32 v[76:77], v[94:95], v[78:79], v[128:129] neg_lo:[0,0,1] neg_hi:[0,0,1]
	v_mov_b32_e32 v77, v107
	v_pk_fma_f32 v[78:79], v[96:97], v[80:81], v[112:113] op_sel_hi:[1,0,1]
	v_pk_add_f32 v[70:71], v[70:71], v[72:73]
	v_pk_fma_f32 v[72:73], v[98:99], v[82:83], v[108:109] op_sel_hi:[1,0,1]
	v_pk_mul_f32 v[74:75], v[116:117], v[74:75] op_sel_hi:[1,0]
	v_pk_fma_f32 v[80:81], v[96:97], v[80:81], v[112:113] neg_lo:[0,0,1] neg_hi:[0,0,1]
	v_mov_b32_e32 v81, v79
	v_pk_add_f32 v[70:71], v[70:71], v[76:77]
	v_pk_fma_f32 v[78:79], v[98:99], v[82:83], v[108:109] neg_lo:[0,0,1] neg_hi:[0,0,1]
	v_mov_b32_e32 v79, v73
	v_pk_fma_f32 v[72:73], v[100:101], v[84:85], v[74:75] op_sel_hi:[1,0,1]
	s_wait_loadcnt 0x1
	v_pk_mul_f32 v[76:77], v[102:103], v[86:87] op_sel:[1,1] op_sel_hi:[0,1]
	v_pk_add_f32 v[70:71], v[70:71], v[80:81]
	v_mov_b32_e32 v72, v89
	v_pk_fma_f32 v[74:75], v[100:101], v[84:85], v[74:75] neg_lo:[0,0,1] neg_hi:[0,0,1]
	v_mov_b32_e32 v75, v73
	v_pk_fma_f32 v[80:81], v[102:103], v[86:87], v[76:77] op_sel_hi:[1,0,1]
	v_pk_add_f32 v[70:71], v[70:71], v[78:79]
	v_pk_mul_f32 v[72:73], v[118:119], v[72:73] op_sel_hi:[1,0]
	v_pk_fma_f32 v[76:77], v[102:103], v[86:87], v[76:77] neg_lo:[0,0,1] neg_hi:[0,0,1]
	s_delay_alu instid0(VALU_DEP_3) | instskip(NEXT) | instid1(VALU_DEP_3)
	v_pk_add_f32 v[70:71], v[70:71], v[74:75]
	v_pk_fma_f32 v[74:75], v[104:105], v[88:89], v[72:73] op_sel_hi:[1,0,1]
	v_mov_b32_e32 v77, v81
	v_pk_fma_f32 v[72:73], v[104:105], v[88:89], v[72:73] neg_lo:[0,0,1] neg_hi:[0,0,1]
	s_delay_alu instid0(VALU_DEP_3) | instskip(NEXT) | instid1(VALU_DEP_3)
	v_mov_b32_e32 v73, v75
	v_pk_add_f32 v[70:71], v[70:71], v[76:77]
	s_delay_alu instid0(VALU_DEP_1) | instskip(SKIP_1) | instid1(VALU_DEP_1)
	v_pk_add_f32 v[70:71], v[70:71], v[72:73]
	s_wait_loadcnt 0x0
	v_pk_add_f32 v[70:71], v[110:111], v[70:71] neg_lo:[0,1] neg_hi:[0,1]
	scratch_store_b64 off, v[70:71], off offset:184
	s_wait_xcnt 0x0
	v_cmpx_lt_u32_e32 22, v0
	s_cbranch_execz .LBB97_173
; %bb.172:
	scratch_load_b64 v[70:71], off, off offset:176
	v_mov_b64_e32 v[72:73], 0
	scratch_store_b64 off, v[72:73], off offset:176
	s_wait_loadcnt 0x0
	ds_store_b64 v1, v[70:71]
.LBB97_173:
	s_wait_xcnt 0x0
	s_or_b32 exec_lo, exec_lo, s0
	s_wait_storecnt_dscnt 0x0
	s_barrier_signal -1
	s_barrier_wait -1
	s_clause 0x6
	scratch_load_b128 v[70:73], off, off offset:184
	scratch_load_b128 v[74:77], off, off offset:200
	;; [unrolled: 1-line block ×5, first 2 shown]
	scratch_load_b64 v[110:111], off, off offset:264
	scratch_load_b64 v[112:113], off, off offset:176
	v_mov_b32_e32 v7, 0
	ds_load_2addr_b64 v[90:93], v7 offset0:59 offset1:60
	ds_load_2addr_b64 v[94:97], v7 offset0:61 offset1:62
	;; [unrolled: 1-line block ×5, first 2 shown]
	ds_load_b64 v[114:115], v7 offset:536
	s_mov_b32 s0, exec_lo
	s_wait_dscnt 0x5
	v_dual_mov_b32 v116, v93 :: v_dual_mov_b32 v117, v92
	s_wait_dscnt 0x2
	v_dual_mov_b32 v118, v97 :: v_dual_mov_b32 v123, v104
	v_dual_mov_b32 v119, v96 :: v_dual_mov_b32 v120, v101
	v_dual_mov_b32 v121, v100 :: v_dual_mov_b32 v122, v105
	s_wait_loadcnt_dscnt 0x601
	v_dual_mul_f32 v9, v106, v71 :: v_dual_mul_f32 v11, v107, v71
	v_dual_mul_f32 v13, v109, v73 :: v_dual_mul_f32 v125, v108, v73
	s_wait_loadcnt 0x5
	v_dual_mul_f32 v127, v90, v75 :: v_dual_mul_f32 v15, v91, v75
	s_wait_loadcnt 0x4
	v_dual_mov_b32 v126, v77 :: v_dual_mov_b32 v130, v81
	v_dual_fmac_f32 v9, v107, v70 :: v_dual_fma_f32 v11, v106, v70, -v11
	v_fmac_f32_e32 v125, v109, v72
	v_pk_mul_f32 v[128:129], v[94:95], v[78:79] op_sel:[1,1] op_sel_hi:[0,1]
	s_delay_alu instid0(VALU_DEP_3)
	v_dual_fma_f32 v124, v108, v72, -v13 :: v_dual_add_f32 v73, 0, v9
	v_pk_mul_f32 v[70:71], v[116:117], v[126:127] op_sel_hi:[1,0]
	s_wait_loadcnt 0x3
	v_dual_add_f32 v72, 0, v11 :: v_dual_mov_b32 v106, v85
	v_fmac_f32_e32 v127, v91, v74
	v_fma_f32 v126, v90, v74, -v15
	v_pk_fma_f32 v[74:75], v[92:93], v[76:77], v[70:71] op_sel_hi:[1,0,1]
	s_delay_alu instid0(VALU_DEP_4) | instskip(SKIP_4) | instid1(VALU_DEP_4)
	v_pk_add_f32 v[72:73], v[72:73], v[124:125]
	v_pk_fma_f32 v[90:91], v[94:95], v[78:79], v[128:129] op_sel_hi:[1,0,1]
	v_pk_fma_f32 v[70:71], v[92:93], v[76:77], v[70:71] neg_lo:[0,0,1] neg_hi:[0,0,1]
	v_pk_fma_f32 v[76:77], v[94:95], v[78:79], v[128:129] neg_lo:[0,0,1] neg_hi:[0,0,1]
	v_pk_mul_f32 v[108:109], v[118:119], v[130:131] op_sel_hi:[1,0]
	v_dual_mov_b32 v71, v75 :: v_dual_mov_b32 v77, v91
	v_pk_add_f32 v[72:73], v[72:73], v[126:127]
	v_pk_mul_f32 v[132:133], v[98:99], v[82:83] op_sel:[1,1] op_sel_hi:[0,1]
	s_delay_alu instid0(VALU_DEP_4)
	v_pk_fma_f32 v[78:79], v[96:97], v[80:81], v[108:109] op_sel_hi:[1,0,1]
	v_pk_fma_f32 v[80:81], v[96:97], v[80:81], v[108:109] neg_lo:[0,0,1] neg_hi:[0,0,1]
	v_pk_mul_f32 v[90:91], v[120:121], v[106:107] op_sel_hi:[1,0]
	v_pk_add_f32 v[70:71], v[72:73], v[70:71]
	v_pk_fma_f32 v[72:73], v[98:99], v[82:83], v[132:133] op_sel_hi:[1,0,1]
	s_wait_loadcnt 0x2
	v_dual_mov_b32 v81, v79 :: v_dual_mov_b32 v72, v89
	v_pk_mul_f32 v[74:75], v[102:103], v[86:87] op_sel:[1,1] op_sel_hi:[0,1]
	v_pk_add_f32 v[70:71], v[70:71], v[76:77]
	v_pk_fma_f32 v[76:77], v[98:99], v[82:83], v[132:133] neg_lo:[0,0,1] neg_hi:[0,0,1]
	v_pk_fma_f32 v[78:79], v[100:101], v[84:85], v[90:91] op_sel_hi:[1,0,1]
	v_mov_b32_e32 v77, v73
	v_pk_fma_f32 v[82:83], v[100:101], v[84:85], v[90:91] neg_lo:[0,0,1] neg_hi:[0,0,1]
	v_pk_add_f32 v[70:71], v[70:71], v[80:81]
	v_pk_fma_f32 v[80:81], v[102:103], v[86:87], v[74:75] op_sel_hi:[1,0,1]
	v_pk_mul_f32 v[72:73], v[122:123], v[72:73] op_sel_hi:[1,0]
	v_mov_b32_e32 v83, v79
	v_pk_fma_f32 v[74:75], v[102:103], v[86:87], v[74:75] neg_lo:[0,0,1] neg_hi:[0,0,1]
	v_pk_add_f32 v[70:71], v[70:71], v[76:77]
	s_wait_loadcnt_dscnt 0x100
	v_pk_mul_f32 v[78:79], v[114:115], v[110:111] op_sel:[1,1] op_sel_hi:[0,1]
	v_pk_fma_f32 v[76:77], v[104:105], v[88:89], v[72:73] op_sel_hi:[1,0,1]
	v_mov_b32_e32 v75, v81
	v_pk_fma_f32 v[72:73], v[104:105], v[88:89], v[72:73] neg_lo:[0,0,1] neg_hi:[0,0,1]
	v_pk_add_f32 v[70:71], v[70:71], v[82:83]
	s_delay_alu instid0(VALU_DEP_4) | instskip(SKIP_1) | instid1(VALU_DEP_3)
	v_mov_b32_e32 v73, v77
	v_pk_fma_f32 v[76:77], v[114:115], v[110:111], v[78:79] neg_lo:[0,0,1] neg_hi:[0,0,1]
	v_pk_add_f32 v[70:71], v[70:71], v[74:75]
	v_pk_fma_f32 v[74:75], v[114:115], v[110:111], v[78:79] op_sel_hi:[1,0,1]
	s_delay_alu instid0(VALU_DEP_2) | instskip(NEXT) | instid1(VALU_DEP_2)
	v_pk_add_f32 v[70:71], v[70:71], v[72:73]
	v_mov_b32_e32 v77, v75
	s_delay_alu instid0(VALU_DEP_1) | instskip(SKIP_1) | instid1(VALU_DEP_1)
	v_pk_add_f32 v[70:71], v[70:71], v[76:77]
	s_wait_loadcnt 0x0
	v_pk_add_f32 v[70:71], v[112:113], v[70:71] neg_lo:[0,1] neg_hi:[0,1]
	scratch_store_b64 off, v[70:71], off offset:176
	s_wait_xcnt 0x0
	v_cmpx_lt_u32_e32 21, v0
	s_cbranch_execz .LBB97_175
; %bb.174:
	scratch_load_b64 v[70:71], off, off offset:168
	v_mov_b64_e32 v[72:73], 0
	scratch_store_b64 off, v[72:73], off offset:168
	s_wait_loadcnt 0x0
	ds_store_b64 v1, v[70:71]
.LBB97_175:
	s_wait_xcnt 0x0
	s_or_b32 exec_lo, exec_lo, s0
	s_wait_storecnt_dscnt 0x0
	s_barrier_signal -1
	s_barrier_wait -1
	s_clause 0x6
	scratch_load_b128 v[70:73], off, off offset:176
	scratch_load_b128 v[74:77], off, off offset:192
	;; [unrolled: 1-line block ×6, first 2 shown]
	scratch_load_b64 v[118:119], off, off offset:168
	ds_load_b128 v[94:97], v7 offset:480
	ds_load_b128 v[98:101], v7 offset:496
	;; [unrolled: 1-line block ×6, first 2 shown]
	s_mov_b32 s0, exec_lo
	s_wait_dscnt 0x5
	v_dual_mov_b32 v120, v97 :: v_dual_mov_b32 v121, v96
	s_wait_dscnt 0x4
	v_dual_mov_b32 v122, v101 :: v_dual_mov_b32 v123, v100
	;; [unrolled: 2-line block ×4, first 2 shown]
	s_wait_loadcnt_dscnt 0x601
	v_dual_mul_f32 v7, v110, v71 :: v_dual_mul_f32 v9, v112, v73
	v_dual_mul_f32 v11, v111, v71 :: v_dual_mul_f32 v13, v113, v73
	s_wait_loadcnt 0x4
	s_delay_alu instid0(VALU_DEP_2)
	v_dual_mov_b32 v134, v81 :: v_dual_fmac_f32 v7, v111, v70
	s_wait_dscnt 0x0
	v_dual_mul_f32 v129, v114, v75 :: v_dual_mul_f32 v131, v116, v77
	v_dual_fma_f32 v11, v110, v70, -v11 :: v_dual_fmac_f32 v9, v113, v72
	v_dual_mul_f32 v15, v115, v75 :: v_dual_mul_f32 v17, v117, v77
	v_dual_fma_f32 v13, v112, v72, -v13 :: v_dual_add_f32 v7, 0, v7
	s_wait_loadcnt 0x3
	s_delay_alu instid0(VALU_DEP_3) | instskip(SKIP_3) | instid1(VALU_DEP_4)
	v_dual_add_f32 v11, 0, v11 :: v_dual_mov_b32 v72, v85
	v_pk_mul_f32 v[132:133], v[94:95], v[78:79] op_sel:[1,1] op_sel_hi:[0,1]
	v_dual_fmac_f32 v129, v115, v74 :: v_dual_fma_f32 v128, v114, v74, -v15
	v_dual_add_f32 v75, v7, v9 :: v_dual_fmac_f32 v131, v117, v76
	v_dual_add_f32 v74, v11, v13 :: v_dual_fma_f32 v130, v116, v76, -v17
	s_delay_alu instid0(VALU_DEP_4) | instskip(SKIP_2) | instid1(VALU_DEP_4)
	v_pk_fma_f32 v[76:77], v[94:95], v[78:79], v[132:133] op_sel_hi:[1,0,1]
	v_pk_mul_f32 v[110:111], v[120:121], v[134:135] op_sel_hi:[1,0]
	v_pk_fma_f32 v[78:79], v[94:95], v[78:79], v[132:133] neg_lo:[0,0,1] neg_hi:[0,0,1]
	v_pk_add_f32 v[74:75], v[74:75], v[128:129]
	v_pk_mul_f32 v[70:71], v[98:99], v[82:83] op_sel:[1,1] op_sel_hi:[0,1]
	v_mov_b32_e32 v79, v77
	v_pk_fma_f32 v[76:77], v[96:97], v[80:81], v[110:111] op_sel_hi:[1,0,1]
	v_pk_fma_f32 v[80:81], v[96:97], v[80:81], v[110:111] neg_lo:[0,0,1] neg_hi:[0,0,1]
	v_pk_add_f32 v[74:75], v[74:75], v[130:131]
	v_pk_fma_f32 v[94:95], v[98:99], v[82:83], v[70:71] op_sel_hi:[1,0,1]
	v_pk_mul_f32 v[72:73], v[122:123], v[72:73] op_sel_hi:[1,0]
	v_mov_b32_e32 v81, v77
	v_pk_fma_f32 v[70:71], v[98:99], v[82:83], v[70:71] neg_lo:[0,0,1] neg_hi:[0,0,1]
	v_pk_add_f32 v[74:75], v[74:75], v[78:79]
	s_wait_loadcnt 0x2
	v_pk_mul_f32 v[112:113], v[102:103], v[86:87] op_sel:[1,1] op_sel_hi:[0,1]
	v_dual_mov_b32 v76, v89 :: v_dual_mov_b32 v71, v95
	v_pk_fma_f32 v[78:79], v[100:101], v[84:85], v[72:73] op_sel_hi:[1,0,1]
	v_pk_add_f32 v[74:75], v[74:75], v[80:81]
	v_pk_fma_f32 v[72:73], v[100:101], v[84:85], v[72:73] neg_lo:[0,0,1] neg_hi:[0,0,1]
	v_pk_fma_f32 v[80:81], v[102:103], v[86:87], v[112:113] op_sel_hi:[1,0,1]
	v_pk_mul_f32 v[76:77], v[124:125], v[76:77] op_sel_hi:[1,0]
	v_mov_b32_e32 v73, v79
	v_pk_add_f32 v[70:71], v[74:75], v[70:71]
	v_pk_fma_f32 v[78:79], v[102:103], v[86:87], v[112:113] neg_lo:[0,0,1] neg_hi:[0,0,1]
	s_wait_loadcnt 0x1
	v_pk_mul_f32 v[74:75], v[106:107], v[90:91] op_sel:[1,1] op_sel_hi:[0,1]
	v_mov_b32_e32 v79, v81
	v_pk_fma_f32 v[80:81], v[104:105], v[88:89], v[76:77] op_sel_hi:[1,0,1]
	v_pk_add_f32 v[70:71], v[70:71], v[72:73]
	v_mov_b32_e32 v72, v93
	v_pk_fma_f32 v[76:77], v[104:105], v[88:89], v[76:77] neg_lo:[0,0,1] neg_hi:[0,0,1]
	v_pk_fma_f32 v[82:83], v[106:107], v[90:91], v[74:75] op_sel_hi:[1,0,1]
	v_mov_b32_e32 v77, v81
	v_pk_add_f32 v[70:71], v[70:71], v[78:79]
	v_pk_mul_f32 v[72:73], v[126:127], v[72:73] op_sel_hi:[1,0]
	v_pk_fma_f32 v[74:75], v[106:107], v[90:91], v[74:75] neg_lo:[0,0,1] neg_hi:[0,0,1]
	s_delay_alu instid0(VALU_DEP_3) | instskip(NEXT) | instid1(VALU_DEP_3)
	v_pk_add_f32 v[70:71], v[70:71], v[76:77]
	v_pk_fma_f32 v[76:77], v[108:109], v[92:93], v[72:73] op_sel_hi:[1,0,1]
	v_mov_b32_e32 v75, v83
	v_pk_fma_f32 v[72:73], v[108:109], v[92:93], v[72:73] neg_lo:[0,0,1] neg_hi:[0,0,1]
	s_delay_alu instid0(VALU_DEP_3) | instskip(NEXT) | instid1(VALU_DEP_3)
	v_mov_b32_e32 v73, v77
	v_pk_add_f32 v[70:71], v[70:71], v[74:75]
	s_delay_alu instid0(VALU_DEP_1) | instskip(SKIP_1) | instid1(VALU_DEP_1)
	v_pk_add_f32 v[70:71], v[70:71], v[72:73]
	s_wait_loadcnt 0x0
	v_pk_add_f32 v[70:71], v[118:119], v[70:71] neg_lo:[0,1] neg_hi:[0,1]
	scratch_store_b64 off, v[70:71], off offset:168
	s_wait_xcnt 0x0
	v_cmpx_lt_u32_e32 20, v0
	s_cbranch_execz .LBB97_177
; %bb.176:
	scratch_load_b64 v[70:71], off, off offset:160
	v_mov_b64_e32 v[72:73], 0
	scratch_store_b64 off, v[72:73], off offset:160
	s_wait_loadcnt 0x0
	ds_store_b64 v1, v[70:71]
.LBB97_177:
	s_wait_xcnt 0x0
	s_or_b32 exec_lo, exec_lo, s0
	s_wait_storecnt_dscnt 0x0
	s_barrier_signal -1
	s_barrier_wait -1
	s_clause 0x7
	scratch_load_b128 v[70:73], off, off offset:168
	scratch_load_b128 v[74:77], off, off offset:184
	;; [unrolled: 1-line block ×6, first 2 shown]
	scratch_load_b64 v[118:119], off, off offset:264
	scratch_load_b64 v[120:121], off, off offset:160
	v_mov_b32_e32 v7, 0
	ds_load_2addr_b64 v[94:97], v7 offset0:59 offset1:60
	ds_load_2addr_b64 v[98:101], v7 offset0:61 offset1:62
	;; [unrolled: 1-line block ×6, first 2 shown]
	ds_load_b64 v[122:123], v7 offset:536
	s_mov_b32 s0, exec_lo
	s_wait_dscnt 0x6
	v_dual_mov_b32 v124, v97 :: v_dual_mov_b32 v125, v96
	s_wait_dscnt 0x3
	v_dual_mov_b32 v126, v101 :: v_dual_mov_b32 v131, v108
	v_dual_mov_b32 v127, v100 :: v_dual_mov_b32 v128, v105
	;; [unrolled: 1-line block ×3, first 2 shown]
	s_wait_loadcnt_dscnt 0x702
	v_dual_mul_f32 v9, v110, v71 :: v_dual_mul_f32 v15, v111, v71
	v_dual_mul_f32 v17, v113, v73 :: v_dual_mul_f32 v11, v112, v73
	s_wait_loadcnt_dscnt 0x601
	s_delay_alu instid0(VALU_DEP_2) | instskip(NEXT) | instid1(VALU_DEP_3)
	v_dual_mul_f32 v13, v114, v75 :: v_dual_fmac_f32 v9, v111, v70
	v_dual_fma_f32 v15, v110, v70, -v15 :: v_dual_mul_f32 v19, v115, v75
	v_mul_f32_e32 v21, v117, v77
	s_wait_loadcnt 0x4
	v_dual_mov_b32 v70, v85 :: v_dual_fma_f32 v17, v112, v72, -v17
	v_dual_fmac_f32 v11, v113, v72 :: v_dual_add_f32 v9, 0, v9
	v_dual_add_f32 v15, 0, v15 :: v_dual_fmac_f32 v13, v115, v74
	v_dual_mul_f32 v133, v116, v77 :: v_dual_mul_f32 v135, v94, v79
	v_dual_mul_f32 v23, v95, v79 :: v_dual_mov_b32 v134, v81
	s_delay_alu instid0(VALU_DEP_4) | instskip(NEXT) | instid1(VALU_DEP_3)
	v_dual_fma_f32 v19, v114, v74, -v19 :: v_dual_add_f32 v9, v9, v11
	v_dual_add_f32 v11, v15, v17 :: v_dual_fmac_f32 v133, v117, v76
	v_pk_mul_f32 v[136:137], v[98:99], v[82:83] op_sel:[1,1] op_sel_hi:[0,1]
	s_delay_alu instid0(VALU_DEP_3)
	v_dual_fma_f32 v132, v116, v76, -v21 :: v_dual_add_f32 v77, v9, v13
	v_pk_mul_f32 v[74:75], v[124:125], v[134:135] op_sel_hi:[1,0]
	s_wait_loadcnt 0x3
	v_dual_add_f32 v76, v11, v19 :: v_dual_mov_b32 v110, v89
	v_fmac_f32_e32 v135, v95, v78
	v_fma_f32 v134, v94, v78, -v23
	v_pk_fma_f32 v[78:79], v[96:97], v[80:81], v[74:75] op_sel_hi:[1,0,1]
	s_delay_alu instid0(VALU_DEP_4) | instskip(SKIP_4) | instid1(VALU_DEP_4)
	v_pk_add_f32 v[76:77], v[76:77], v[132:133]
	v_pk_fma_f32 v[94:95], v[98:99], v[82:83], v[136:137] op_sel_hi:[1,0,1]
	v_pk_fma_f32 v[74:75], v[96:97], v[80:81], v[74:75] neg_lo:[0,0,1] neg_hi:[0,0,1]
	v_pk_fma_f32 v[80:81], v[98:99], v[82:83], v[136:137] neg_lo:[0,0,1] neg_hi:[0,0,1]
	v_pk_mul_f32 v[70:71], v[126:127], v[70:71] op_sel_hi:[1,0]
	v_dual_mov_b32 v75, v79 :: v_dual_mov_b32 v81, v95
	v_pk_add_f32 v[76:77], v[76:77], v[134:135]
	v_pk_mul_f32 v[72:73], v[102:103], v[86:87] op_sel:[1,1] op_sel_hi:[0,1]
	s_delay_alu instid0(VALU_DEP_4)
	v_pk_fma_f32 v[82:83], v[100:101], v[84:85], v[70:71] op_sel_hi:[1,0,1]
	v_pk_fma_f32 v[70:71], v[100:101], v[84:85], v[70:71] neg_lo:[0,0,1] neg_hi:[0,0,1]
	v_pk_mul_f32 v[94:95], v[128:129], v[110:111] op_sel_hi:[1,0]
	v_pk_add_f32 v[74:75], v[76:77], v[74:75]
	v_pk_fma_f32 v[76:77], v[102:103], v[86:87], v[72:73] op_sel_hi:[1,0,1]
	s_wait_loadcnt 0x2
	v_dual_mov_b32 v71, v83 :: v_dual_mov_b32 v76, v93
	v_pk_fma_f32 v[72:73], v[102:103], v[86:87], v[72:73] neg_lo:[0,0,1] neg_hi:[0,0,1]
	v_pk_add_f32 v[74:75], v[74:75], v[80:81]
	v_pk_mul_f32 v[78:79], v[106:107], v[90:91] op_sel:[1,1] op_sel_hi:[0,1]
	v_pk_fma_f32 v[80:81], v[104:105], v[88:89], v[94:95] op_sel_hi:[1,0,1]
	v_mov_b32_e32 v73, v77
	v_pk_fma_f32 v[82:83], v[104:105], v[88:89], v[94:95] neg_lo:[0,0,1] neg_hi:[0,0,1]
	v_pk_add_f32 v[70:71], v[74:75], v[70:71]
	v_pk_fma_f32 v[74:75], v[106:107], v[90:91], v[78:79] op_sel_hi:[1,0,1]
	v_pk_mul_f32 v[76:77], v[130:131], v[76:77] op_sel_hi:[1,0]
	v_mov_b32_e32 v83, v81
	s_delay_alu instid0(VALU_DEP_4)
	v_pk_add_f32 v[70:71], v[70:71], v[72:73]
	v_pk_fma_f32 v[72:73], v[106:107], v[90:91], v[78:79] neg_lo:[0,0,1] neg_hi:[0,0,1]
	v_mov_b32_e32 v73, v75
	v_pk_fma_f32 v[74:75], v[108:109], v[92:93], v[76:77] op_sel_hi:[1,0,1]
	s_wait_loadcnt_dscnt 0x100
	v_pk_mul_f32 v[78:79], v[122:123], v[118:119] op_sel:[1,1] op_sel_hi:[0,1]
	v_pk_add_f32 v[70:71], v[70:71], v[82:83]
	v_pk_fma_f32 v[76:77], v[108:109], v[92:93], v[76:77] neg_lo:[0,0,1] neg_hi:[0,0,1]
	v_mov_b32_e32 v77, v75
	s_delay_alu instid0(VALU_DEP_4) | instskip(NEXT) | instid1(VALU_DEP_4)
	v_pk_fma_f32 v[74:75], v[122:123], v[118:119], v[78:79] neg_lo:[0,0,1] neg_hi:[0,0,1]
	v_pk_add_f32 v[70:71], v[70:71], v[72:73]
	v_pk_fma_f32 v[72:73], v[122:123], v[118:119], v[78:79] op_sel_hi:[1,0,1]
	s_delay_alu instid0(VALU_DEP_2) | instskip(NEXT) | instid1(VALU_DEP_2)
	v_pk_add_f32 v[70:71], v[70:71], v[76:77]
	v_mov_b32_e32 v75, v73
	s_delay_alu instid0(VALU_DEP_1) | instskip(SKIP_1) | instid1(VALU_DEP_1)
	v_pk_add_f32 v[70:71], v[70:71], v[74:75]
	s_wait_loadcnt 0x0
	v_pk_add_f32 v[70:71], v[120:121], v[70:71] neg_lo:[0,1] neg_hi:[0,1]
	scratch_store_b64 off, v[70:71], off offset:160
	s_wait_xcnt 0x0
	v_cmpx_lt_u32_e32 19, v0
	s_cbranch_execz .LBB97_179
; %bb.178:
	scratch_load_b64 v[70:71], off, off offset:152
	v_mov_b64_e32 v[72:73], 0
	scratch_store_b64 off, v[72:73], off offset:152
	s_wait_loadcnt 0x0
	ds_store_b64 v1, v[70:71]
.LBB97_179:
	s_wait_xcnt 0x0
	s_or_b32 exec_lo, exec_lo, s0
	s_wait_storecnt_dscnt 0x0
	s_barrier_signal -1
	s_barrier_wait -1
	s_clause 0x7
	scratch_load_b128 v[70:73], off, off offset:160
	scratch_load_b128 v[74:77], off, off offset:176
	;; [unrolled: 1-line block ×7, first 2 shown]
	scratch_load_b64 v[126:127], off, off offset:152
	ds_load_b128 v[98:101], v7 offset:480
	ds_load_b128 v[102:105], v7 offset:496
	;; [unrolled: 1-line block ×7, first 2 shown]
	s_mov_b32 s0, exec_lo
	s_wait_dscnt 0x6
	v_dual_mov_b32 v128, v101 :: v_dual_mov_b32 v129, v100
	s_wait_dscnt 0x5
	v_dual_mov_b32 v130, v105 :: v_dual_mov_b32 v131, v104
	;; [unrolled: 2-line block ×4, first 2 shown]
	s_wait_loadcnt_dscnt 0x702
	v_dual_mul_f32 v7, v114, v71 :: v_dual_mul_f32 v9, v116, v73
	v_dual_mul_f32 v15, v115, v71 :: v_dual_mul_f32 v17, v117, v73
	s_wait_loadcnt_dscnt 0x601
	v_dual_mul_f32 v11, v118, v75 :: v_dual_mul_f32 v13, v120, v77
	s_delay_alu instid0(VALU_DEP_3) | instskip(NEXT) | instid1(VALU_DEP_3)
	v_dual_fmac_f32 v7, v115, v70 :: v_dual_fmac_f32 v9, v117, v72
	v_dual_fma_f32 v15, v114, v70, -v15 :: v_dual_fma_f32 v17, v116, v72, -v17
	v_dual_mul_f32 v19, v119, v75 :: v_dual_mul_f32 v21, v121, v77
	s_wait_loadcnt 0x4
	s_delay_alu instid0(VALU_DEP_3) | instskip(NEXT) | instid1(VALU_DEP_3)
	v_dual_add_f32 v7, 0, v7 :: v_dual_mov_b32 v72, v85
	v_dual_add_f32 v15, 0, v15 :: v_dual_fmac_f32 v11, v119, v74
	s_delay_alu instid0(VALU_DEP_2) | instskip(SKIP_2) | instid1(VALU_DEP_3)
	v_dual_fma_f32 v19, v118, v74, -v19 :: v_dual_add_f32 v7, v7, v9
	s_wait_dscnt 0x0
	v_dual_mul_f32 v137, v122, v79 :: v_dual_mul_f32 v139, v124, v81
	v_dual_add_f32 v9, v15, v17 :: v_dual_fmac_f32 v13, v121, v76
	v_dual_mul_f32 v23, v123, v79 :: v_dual_mul_f32 v25, v125, v81
	v_dual_fma_f32 v15, v120, v76, -v21 :: v_dual_add_f32 v7, v7, v11
	s_delay_alu instid0(VALU_DEP_3) | instskip(SKIP_3) | instid1(VALU_DEP_3)
	v_dual_add_f32 v9, v9, v19 :: v_dual_fmac_f32 v137, v123, v78
	v_pk_mul_f32 v[70:71], v[98:99], v[82:83] op_sel:[1,1] op_sel_hi:[0,1]
	s_wait_loadcnt 0x3
	v_dual_mov_b32 v76, v89 :: v_dual_fma_f32 v136, v122, v78, -v23
	v_dual_add_f32 v79, v7, v13 :: v_dual_add_f32 v78, v9, v15
	v_dual_fmac_f32 v139, v125, v80 :: v_dual_fma_f32 v138, v124, v80, -v25
	v_pk_fma_f32 v[80:81], v[98:99], v[82:83], v[70:71] op_sel_hi:[1,0,1]
	v_pk_mul_f32 v[72:73], v[128:129], v[72:73] op_sel_hi:[1,0]
	s_delay_alu instid0(VALU_DEP_4)
	v_pk_add_f32 v[78:79], v[78:79], v[136:137]
	v_pk_fma_f32 v[70:71], v[98:99], v[82:83], v[70:71] neg_lo:[0,0,1] neg_hi:[0,0,1]
	v_pk_mul_f32 v[74:75], v[102:103], v[86:87] op_sel:[1,1] op_sel_hi:[0,1]
	v_mov_b32_e32 v71, v81
	v_pk_fma_f32 v[80:81], v[100:101], v[84:85], v[72:73] op_sel_hi:[1,0,1]
	v_pk_add_f32 v[78:79], v[78:79], v[138:139]
	v_pk_fma_f32 v[72:73], v[100:101], v[84:85], v[72:73] neg_lo:[0,0,1] neg_hi:[0,0,1]
	v_pk_fma_f32 v[82:83], v[102:103], v[86:87], v[74:75] op_sel_hi:[1,0,1]
	v_pk_mul_f32 v[76:77], v[130:131], v[76:77] op_sel_hi:[1,0]
	v_mov_b32_e32 v73, v81
	v_pk_add_f32 v[70:71], v[78:79], v[70:71]
	s_wait_loadcnt 0x2
	v_pk_mul_f32 v[114:115], v[106:107], v[90:91] op_sel:[1,1] op_sel_hi:[0,1]
	v_mov_b32_e32 v78, v93
	v_pk_fma_f32 v[74:75], v[102:103], v[86:87], v[74:75] neg_lo:[0,0,1] neg_hi:[0,0,1]
	v_mov_b32_e32 v75, v83
	v_pk_fma_f32 v[80:81], v[104:105], v[88:89], v[76:77] op_sel_hi:[1,0,1]
	v_pk_add_f32 v[70:71], v[70:71], v[72:73]
	v_pk_fma_f32 v[72:73], v[106:107], v[90:91], v[114:115] op_sel_hi:[1,0,1]
	v_pk_mul_f32 v[78:79], v[132:133], v[78:79] op_sel_hi:[1,0]
	v_pk_fma_f32 v[76:77], v[104:105], v[88:89], v[76:77] neg_lo:[0,0,1] neg_hi:[0,0,1]
	v_mov_b32_e32 v77, v81
	v_pk_add_f32 v[70:71], v[70:71], v[74:75]
	v_pk_fma_f32 v[80:81], v[106:107], v[90:91], v[114:115] neg_lo:[0,0,1] neg_hi:[0,0,1]
	v_mov_b32_e32 v81, v73
	v_pk_fma_f32 v[72:73], v[108:109], v[92:93], v[78:79] op_sel_hi:[1,0,1]
	s_wait_loadcnt 0x1
	v_pk_mul_f32 v[74:75], v[110:111], v[94:95] op_sel:[1,1] op_sel_hi:[0,1]
	v_pk_add_f32 v[70:71], v[70:71], v[76:77]
	v_mov_b32_e32 v72, v97
	v_pk_fma_f32 v[78:79], v[108:109], v[92:93], v[78:79] neg_lo:[0,0,1] neg_hi:[0,0,1]
	v_mov_b32_e32 v79, v73
	v_pk_fma_f32 v[76:77], v[110:111], v[94:95], v[74:75] op_sel_hi:[1,0,1]
	v_pk_add_f32 v[70:71], v[70:71], v[80:81]
	v_pk_mul_f32 v[72:73], v[134:135], v[72:73] op_sel_hi:[1,0]
	v_pk_fma_f32 v[74:75], v[110:111], v[94:95], v[74:75] neg_lo:[0,0,1] neg_hi:[0,0,1]
	s_delay_alu instid0(VALU_DEP_4) | instskip(NEXT) | instid1(VALU_DEP_4)
	v_mov_b32_e32 v75, v77
	v_pk_add_f32 v[70:71], v[70:71], v[78:79]
	s_delay_alu instid0(VALU_DEP_4) | instskip(SKIP_1) | instid1(VALU_DEP_2)
	v_pk_fma_f32 v[76:77], v[112:113], v[96:97], v[72:73] op_sel_hi:[1,0,1]
	v_pk_fma_f32 v[72:73], v[112:113], v[96:97], v[72:73] neg_lo:[0,0,1] neg_hi:[0,0,1]
	v_mov_b32_e32 v73, v77
	s_delay_alu instid0(VALU_DEP_4) | instskip(NEXT) | instid1(VALU_DEP_1)
	v_pk_add_f32 v[70:71], v[70:71], v[74:75]
	v_pk_add_f32 v[70:71], v[70:71], v[72:73]
	s_wait_loadcnt 0x0
	s_delay_alu instid0(VALU_DEP_1)
	v_pk_add_f32 v[70:71], v[126:127], v[70:71] neg_lo:[0,1] neg_hi:[0,1]
	scratch_store_b64 off, v[70:71], off offset:152
	s_wait_xcnt 0x0
	v_cmpx_lt_u32_e32 18, v0
	s_cbranch_execz .LBB97_181
; %bb.180:
	scratch_load_b64 v[70:71], off, off offset:144
	v_mov_b64_e32 v[72:73], 0
	scratch_store_b64 off, v[72:73], off offset:144
	s_wait_loadcnt 0x0
	ds_store_b64 v1, v[70:71]
.LBB97_181:
	s_wait_xcnt 0x0
	s_or_b32 exec_lo, exec_lo, s0
	s_wait_storecnt_dscnt 0x0
	s_barrier_signal -1
	s_barrier_wait -1
	s_clause 0x8
	scratch_load_b128 v[70:73], off, off offset:152
	scratch_load_b128 v[74:77], off, off offset:168
	;; [unrolled: 1-line block ×7, first 2 shown]
	scratch_load_b64 v[126:127], off, off offset:264
	scratch_load_b64 v[128:129], off, off offset:144
	v_mov_b32_e32 v7, 0
	ds_load_2addr_b64 v[98:101], v7 offset0:59 offset1:60
	ds_load_2addr_b64 v[102:105], v7 offset0:61 offset1:62
	ds_load_2addr_b64 v[106:109], v7 offset0:63 offset1:64
	ds_load_2addr_b64 v[110:113], v7 offset0:65 offset1:66
	ds_load_2addr_b64 v[114:117], v7 offset0:53 offset1:54
	ds_load_2addr_b64 v[118:121], v7 offset0:55 offset1:56
	ds_load_2addr_b64 v[122:125], v7 offset0:57 offset1:58
	ds_load_b64 v[130:131], v7 offset:536
	s_mov_b32 s0, exec_lo
	s_wait_dscnt 0x7
	v_dual_mov_b32 v132, v101 :: v_dual_mov_b32 v133, v100
	s_wait_dscnt 0x4
	v_dual_mov_b32 v134, v105 :: v_dual_mov_b32 v139, v112
	v_dual_mov_b32 v135, v104 :: v_dual_mov_b32 v136, v109
	;; [unrolled: 1-line block ×3, first 2 shown]
	s_wait_loadcnt_dscnt 0x803
	v_dual_mul_f32 v9, v114, v71 :: v_dual_mul_f32 v19, v115, v71
	v_dual_mul_f32 v21, v117, v73 :: v_dual_mul_f32 v11, v116, v73
	s_wait_loadcnt_dscnt 0x702
	v_mul_f32_e32 v13, v118, v75
	s_wait_loadcnt 0x5
	v_dual_mul_f32 v31, v99, v83 :: v_dual_fma_f32 v19, v114, v70, -v19
	v_dual_fmac_f32 v9, v115, v70 :: v_dual_mov_b32 v70, v85
	v_dual_mul_f32 v23, v119, v75 :: v_dual_mul_f32 v25, v121, v77
	v_dual_fmac_f32 v11, v117, v72 :: v_dual_fma_f32 v21, v116, v72, -v21
	s_delay_alu instid0(VALU_DEP_3) | instskip(SKIP_3) | instid1(VALU_DEP_3)
	v_dual_add_f32 v9, 0, v9 :: v_dual_add_f32 v19, 0, v19
	s_wait_dscnt 0x1
	v_dual_mul_f32 v15, v120, v77 :: v_dual_mul_f32 v17, v122, v79
	v_dual_fmac_f32 v13, v119, v74 :: v_dual_fma_f32 v23, v118, v74, -v23
	v_dual_add_f32 v9, v9, v11 :: v_dual_add_f32 v11, v19, v21
	v_dual_mul_f32 v27, v123, v79 :: v_dual_mul_f32 v29, v125, v81
	s_wait_loadcnt 0x4
	v_dual_mov_b32 v74, v89 :: v_dual_fma_f32 v19, v120, v76, -v25
	s_delay_alu instid0(VALU_DEP_3) | instskip(SKIP_2) | instid1(VALU_DEP_2)
	v_dual_fmac_f32 v15, v121, v76 :: v_dual_add_f32 v11, v11, v23
	v_dual_add_f32 v9, v9, v13 :: v_dual_fmac_f32 v17, v123, v78
	v_dual_mul_f32 v141, v124, v81 :: v_dual_mul_f32 v143, v98, v83
	v_dual_fma_f32 v13, v122, v78, -v27 :: v_dual_add_f32 v9, v9, v15
	s_delay_alu instid0(VALU_DEP_2) | instskip(SKIP_1) | instid1(VALU_DEP_3)
	v_dual_add_f32 v11, v11, v19 :: v_dual_fmac_f32 v141, v125, v80
	v_pk_mul_f32 v[72:73], v[102:103], v[86:87] op_sel:[1,1] op_sel_hi:[0,1]
	v_dual_fma_f32 v140, v124, v80, -v29 :: v_dual_add_f32 v79, v9, v17
	v_pk_mul_f32 v[70:71], v[132:133], v[70:71] op_sel_hi:[1,0]
	s_wait_loadcnt 0x3
	v_dual_add_f32 v78, v11, v13 :: v_dual_mov_b32 v80, v93
	v_fmac_f32_e32 v143, v99, v82
	v_fma_f32 v142, v98, v82, -v31
	v_pk_fma_f32 v[82:83], v[100:101], v[84:85], v[70:71] op_sel_hi:[1,0,1]
	s_delay_alu instid0(VALU_DEP_4) | instskip(SKIP_4) | instid1(VALU_DEP_4)
	v_pk_add_f32 v[78:79], v[78:79], v[140:141]
	v_pk_fma_f32 v[98:99], v[102:103], v[86:87], v[72:73] op_sel_hi:[1,0,1]
	v_pk_fma_f32 v[70:71], v[100:101], v[84:85], v[70:71] neg_lo:[0,0,1] neg_hi:[0,0,1]
	v_pk_fma_f32 v[72:73], v[102:103], v[86:87], v[72:73] neg_lo:[0,0,1] neg_hi:[0,0,1]
	v_pk_mul_f32 v[74:75], v[134:135], v[74:75] op_sel_hi:[1,0]
	v_dual_mov_b32 v71, v83 :: v_dual_mov_b32 v73, v99
	v_pk_add_f32 v[78:79], v[78:79], v[142:143]
	v_pk_mul_f32 v[76:77], v[106:107], v[90:91] op_sel:[1,1] op_sel_hi:[0,1]
	s_delay_alu instid0(VALU_DEP_4)
	v_pk_fma_f32 v[84:85], v[104:105], v[88:89], v[74:75] op_sel_hi:[1,0,1]
	v_pk_fma_f32 v[74:75], v[104:105], v[88:89], v[74:75] neg_lo:[0,0,1] neg_hi:[0,0,1]
	v_pk_mul_f32 v[80:81], v[136:137], v[80:81] op_sel_hi:[1,0]
	v_pk_add_f32 v[70:71], v[78:79], v[70:71]
	v_pk_fma_f32 v[78:79], v[106:107], v[90:91], v[76:77] op_sel_hi:[1,0,1]
	v_mov_b32_e32 v75, v85
	v_pk_fma_f32 v[76:77], v[106:107], v[90:91], v[76:77] neg_lo:[0,0,1] neg_hi:[0,0,1]
	s_wait_loadcnt 0x2
	v_pk_mul_f32 v[82:83], v[110:111], v[94:95] op_sel:[1,1] op_sel_hi:[0,1]
	v_pk_add_f32 v[70:71], v[70:71], v[72:73]
	v_dual_mov_b32 v72, v97 :: v_dual_mov_b32 v77, v79
	v_pk_fma_f32 v[78:79], v[108:109], v[92:93], v[80:81] op_sel_hi:[1,0,1]
	v_pk_fma_f32 v[80:81], v[108:109], v[92:93], v[80:81] neg_lo:[0,0,1] neg_hi:[0,0,1]
	s_delay_alu instid0(VALU_DEP_4)
	v_pk_add_f32 v[70:71], v[70:71], v[74:75]
	v_pk_fma_f32 v[74:75], v[110:111], v[94:95], v[82:83] op_sel_hi:[1,0,1]
	v_pk_mul_f32 v[72:73], v[138:139], v[72:73] op_sel_hi:[1,0]
	v_mov_b32_e32 v81, v79
	s_wait_loadcnt_dscnt 0x100
	v_pk_mul_f32 v[78:79], v[130:131], v[126:127] op_sel:[1,1] op_sel_hi:[0,1]
	v_pk_add_f32 v[70:71], v[70:71], v[76:77]
	v_pk_fma_f32 v[76:77], v[110:111], v[94:95], v[82:83] neg_lo:[0,0,1] neg_hi:[0,0,1]
	v_mov_b32_e32 v77, v75
	v_pk_fma_f32 v[74:75], v[112:113], v[96:97], v[72:73] op_sel_hi:[1,0,1]
	v_pk_fma_f32 v[72:73], v[112:113], v[96:97], v[72:73] neg_lo:[0,0,1] neg_hi:[0,0,1]
	v_pk_add_f32 v[70:71], v[70:71], v[80:81]
	s_delay_alu instid0(VALU_DEP_3) | instskip(SKIP_1) | instid1(VALU_DEP_3)
	v_mov_b32_e32 v73, v75
	v_pk_fma_f32 v[74:75], v[130:131], v[126:127], v[78:79] op_sel_hi:[1,0,1]
	v_pk_add_f32 v[70:71], v[70:71], v[76:77]
	v_pk_fma_f32 v[76:77], v[130:131], v[126:127], v[78:79] neg_lo:[0,0,1] neg_hi:[0,0,1]
	s_delay_alu instid0(VALU_DEP_3) | instskip(NEXT) | instid1(VALU_DEP_3)
	v_mov_b32_e32 v77, v75
	v_pk_add_f32 v[70:71], v[70:71], v[72:73]
	s_delay_alu instid0(VALU_DEP_1) | instskip(SKIP_1) | instid1(VALU_DEP_1)
	v_pk_add_f32 v[70:71], v[70:71], v[76:77]
	s_wait_loadcnt 0x0
	v_pk_add_f32 v[70:71], v[128:129], v[70:71] neg_lo:[0,1] neg_hi:[0,1]
	scratch_store_b64 off, v[70:71], off offset:144
	s_wait_xcnt 0x0
	v_cmpx_lt_u32_e32 17, v0
	s_cbranch_execz .LBB97_183
; %bb.182:
	scratch_load_b64 v[70:71], off, off offset:136
	v_mov_b64_e32 v[72:73], 0
	scratch_store_b64 off, v[72:73], off offset:136
	s_wait_loadcnt 0x0
	ds_store_b64 v1, v[70:71]
.LBB97_183:
	s_wait_xcnt 0x0
	s_or_b32 exec_lo, exec_lo, s0
	s_wait_storecnt_dscnt 0x0
	s_barrier_signal -1
	s_barrier_wait -1
	s_clause 0x8
	scratch_load_b128 v[70:73], off, off offset:144
	scratch_load_b128 v[74:77], off, off offset:160
	;; [unrolled: 1-line block ×8, first 2 shown]
	scratch_load_b64 v[134:135], off, off offset:136
	ds_load_b128 v[102:105], v7 offset:480
	ds_load_b128 v[106:109], v7 offset:496
	;; [unrolled: 1-line block ×8, first 2 shown]
	s_mov_b32 s0, exec_lo
	s_wait_dscnt 0x7
	v_dual_mov_b32 v136, v105 :: v_dual_mov_b32 v137, v104
	s_wait_dscnt 0x6
	v_dual_mov_b32 v138, v109 :: v_dual_mov_b32 v139, v108
	;; [unrolled: 2-line block ×4, first 2 shown]
	s_wait_loadcnt_dscnt 0x803
	v_dual_mul_f32 v7, v118, v71 :: v_dual_mul_f32 v9, v120, v73
	v_dual_mul_f32 v19, v119, v71 :: v_dual_mul_f32 v21, v121, v73
	s_wait_loadcnt_dscnt 0x702
	v_dual_mul_f32 v11, v122, v75 :: v_dual_mul_f32 v13, v124, v77
	s_delay_alu instid0(VALU_DEP_3) | instskip(SKIP_3) | instid1(VALU_DEP_3)
	v_dual_fmac_f32 v7, v119, v70 :: v_dual_fmac_f32 v9, v121, v72
	s_wait_loadcnt_dscnt 0x500
	v_dual_fma_f32 v19, v118, v70, -v19 :: v_dual_mul_f32 v31, v131, v83
	v_dual_mul_f32 v23, v123, v75 :: v_dual_mul_f32 v25, v125, v77
	v_dual_fma_f32 v21, v120, v72, -v21 :: v_dual_add_f32 v7, 0, v7
	s_delay_alu instid0(VALU_DEP_3) | instskip(SKIP_1) | instid1(VALU_DEP_3)
	v_dual_add_f32 v19, 0, v19 :: v_dual_mul_f32 v33, v133, v85
	v_dual_fmac_f32 v11, v123, v74 :: v_dual_fmac_f32 v13, v125, v76
	v_dual_fma_f32 v23, v122, v74, -v23 :: v_dual_add_f32 v7, v7, v9
	s_delay_alu instid0(VALU_DEP_3) | instskip(SKIP_4) | instid1(VALU_DEP_3)
	v_dual_add_f32 v9, v19, v21 :: v_dual_fma_f32 v19, v124, v76, -v25
	v_dual_mul_f32 v15, v126, v79 :: v_dual_mul_f32 v17, v128, v81
	v_dual_mul_f32 v27, v127, v79 :: v_dual_mul_f32 v29, v129, v81
	s_wait_loadcnt 0x4
	v_dual_add_f32 v7, v7, v11 :: v_dual_mov_b32 v72, v89
	v_dual_add_f32 v9, v9, v23 :: v_dual_fmac_f32 v15, v127, v78
	s_delay_alu instid0(VALU_DEP_2) | instskip(SKIP_1) | instid1(VALU_DEP_3)
	v_dual_fma_f32 v11, v126, v78, -v27 :: v_dual_add_f32 v7, v7, v13
	v_dual_mul_f32 v145, v130, v83 :: v_dual_mul_f32 v147, v132, v85
	v_dual_add_f32 v9, v9, v19 :: v_dual_fma_f32 v13, v128, v80, -v29
	s_delay_alu instid0(VALU_DEP_3) | instskip(SKIP_1) | instid1(VALU_DEP_3)
	v_dual_fmac_f32 v17, v129, v80 :: v_dual_add_f32 v7, v7, v15
	v_pk_mul_f32 v[70:71], v[102:103], v[86:87] op_sel:[1,1] op_sel_hi:[0,1]
	v_dual_add_f32 v9, v9, v11 :: v_dual_fmac_f32 v145, v131, v82
	s_wait_loadcnt 0x3
	v_dual_mov_b32 v76, v93 :: v_dual_fma_f32 v144, v130, v82, -v31
	v_dual_add_f32 v79, v7, v17 :: v_dual_fmac_f32 v147, v133, v84
	s_delay_alu instid0(VALU_DEP_3) | instskip(SKIP_3) | instid1(VALU_DEP_4)
	v_dual_add_f32 v78, v9, v13 :: v_dual_fma_f32 v146, v132, v84, -v33
	v_pk_fma_f32 v[80:81], v[102:103], v[86:87], v[70:71] op_sel_hi:[1,0,1]
	v_pk_mul_f32 v[72:73], v[136:137], v[72:73] op_sel_hi:[1,0]
	v_pk_fma_f32 v[70:71], v[102:103], v[86:87], v[70:71] neg_lo:[0,0,1] neg_hi:[0,0,1]
	v_pk_add_f32 v[78:79], v[78:79], v[144:145]
	v_pk_mul_f32 v[74:75], v[106:107], v[90:91] op_sel:[1,1] op_sel_hi:[0,1]
	v_mov_b32_e32 v71, v81
	v_pk_fma_f32 v[80:81], v[104:105], v[88:89], v[72:73] op_sel_hi:[1,0,1]
	v_pk_fma_f32 v[72:73], v[104:105], v[88:89], v[72:73] neg_lo:[0,0,1] neg_hi:[0,0,1]
	v_pk_add_f32 v[78:79], v[78:79], v[146:147]
	v_pk_fma_f32 v[84:85], v[106:107], v[90:91], v[74:75] op_sel_hi:[1,0,1]
	v_pk_mul_f32 v[76:77], v[138:139], v[76:77] op_sel_hi:[1,0]
	v_mov_b32_e32 v73, v81
	s_wait_loadcnt 0x2
	v_pk_mul_f32 v[82:83], v[110:111], v[94:95] op_sel:[1,1] op_sel_hi:[0,1]
	v_pk_add_f32 v[70:71], v[78:79], v[70:71]
	v_mov_b32_e32 v78, v97
	v_pk_fma_f32 v[74:75], v[106:107], v[90:91], v[74:75] neg_lo:[0,0,1] neg_hi:[0,0,1]
	v_mov_b32_e32 v75, v85
	v_pk_fma_f32 v[80:81], v[108:109], v[92:93], v[76:77] op_sel_hi:[1,0,1]
	v_pk_add_f32 v[70:71], v[70:71], v[72:73]
	v_pk_fma_f32 v[72:73], v[110:111], v[94:95], v[82:83] op_sel_hi:[1,0,1]
	v_pk_mul_f32 v[78:79], v[140:141], v[78:79] op_sel_hi:[1,0]
	v_pk_fma_f32 v[76:77], v[108:109], v[92:93], v[76:77] neg_lo:[0,0,1] neg_hi:[0,0,1]
	v_mov_b32_e32 v77, v81
	v_pk_add_f32 v[70:71], v[70:71], v[74:75]
	v_pk_fma_f32 v[80:81], v[110:111], v[94:95], v[82:83] neg_lo:[0,0,1] neg_hi:[0,0,1]
	v_mov_b32_e32 v81, v73
	v_pk_fma_f32 v[72:73], v[112:113], v[96:97], v[78:79] op_sel_hi:[1,0,1]
	s_wait_loadcnt 0x1
	v_pk_mul_f32 v[74:75], v[114:115], v[98:99] op_sel:[1,1] op_sel_hi:[0,1]
	v_pk_add_f32 v[70:71], v[70:71], v[76:77]
	v_mov_b32_e32 v72, v101
	v_pk_fma_f32 v[78:79], v[112:113], v[96:97], v[78:79] neg_lo:[0,0,1] neg_hi:[0,0,1]
	v_mov_b32_e32 v79, v73
	v_pk_fma_f32 v[76:77], v[114:115], v[98:99], v[74:75] op_sel_hi:[1,0,1]
	v_pk_add_f32 v[70:71], v[70:71], v[80:81]
	v_pk_mul_f32 v[72:73], v[142:143], v[72:73] op_sel_hi:[1,0]
	v_pk_fma_f32 v[74:75], v[114:115], v[98:99], v[74:75] neg_lo:[0,0,1] neg_hi:[0,0,1]
	s_delay_alu instid0(VALU_DEP_4) | instskip(NEXT) | instid1(VALU_DEP_4)
	v_mov_b32_e32 v75, v77
	v_pk_add_f32 v[70:71], v[70:71], v[78:79]
	s_delay_alu instid0(VALU_DEP_4) | instskip(SKIP_1) | instid1(VALU_DEP_2)
	v_pk_fma_f32 v[76:77], v[116:117], v[100:101], v[72:73] op_sel_hi:[1,0,1]
	v_pk_fma_f32 v[72:73], v[116:117], v[100:101], v[72:73] neg_lo:[0,0,1] neg_hi:[0,0,1]
	v_mov_b32_e32 v73, v77
	s_delay_alu instid0(VALU_DEP_4) | instskip(NEXT) | instid1(VALU_DEP_1)
	v_pk_add_f32 v[70:71], v[70:71], v[74:75]
	v_pk_add_f32 v[70:71], v[70:71], v[72:73]
	s_wait_loadcnt 0x0
	s_delay_alu instid0(VALU_DEP_1)
	v_pk_add_f32 v[70:71], v[134:135], v[70:71] neg_lo:[0,1] neg_hi:[0,1]
	scratch_store_b64 off, v[70:71], off offset:136
	s_wait_xcnt 0x0
	v_cmpx_lt_u32_e32 16, v0
	s_cbranch_execz .LBB97_185
; %bb.184:
	scratch_load_b64 v[70:71], off, off offset:128
	v_mov_b64_e32 v[72:73], 0
	scratch_store_b64 off, v[72:73], off offset:128
	s_wait_loadcnt 0x0
	ds_store_b64 v1, v[70:71]
.LBB97_185:
	s_wait_xcnt 0x0
	s_or_b32 exec_lo, exec_lo, s0
	s_wait_storecnt_dscnt 0x0
	s_barrier_signal -1
	s_barrier_wait -1
	s_clause 0x9
	scratch_load_b128 v[70:73], off, off offset:136
	scratch_load_b128 v[74:77], off, off offset:152
	;; [unrolled: 1-line block ×8, first 2 shown]
	scratch_load_b64 v[134:135], off, off offset:264
	scratch_load_b64 v[136:137], off, off offset:128
	v_mov_b32_e32 v7, 0
	ds_load_2addr_b64 v[102:105], v7 offset0:59 offset1:60
	ds_load_2addr_b64 v[106:109], v7 offset0:61 offset1:62
	;; [unrolled: 1-line block ×8, first 2 shown]
	ds_load_b64 v[138:139], v7 offset:536
	s_mov_b32 s0, exec_lo
	s_wait_dscnt 0x8
	v_dual_mov_b32 v140, v105 :: v_dual_mov_b32 v141, v104
	s_wait_dscnt 0x5
	v_dual_mov_b32 v142, v109 :: v_dual_mov_b32 v147, v116
	v_dual_mov_b32 v143, v108 :: v_dual_mov_b32 v144, v113
	;; [unrolled: 1-line block ×3, first 2 shown]
	s_wait_loadcnt_dscnt 0x904
	v_dual_mul_f32 v9, v118, v71 :: v_dual_mul_f32 v23, v119, v71
	v_dual_mul_f32 v25, v121, v73 :: v_dual_mul_f32 v11, v120, v73
	s_wait_loadcnt_dscnt 0x803
	v_mul_f32_e32 v13, v122, v75
	s_wait_loadcnt_dscnt 0x601
	v_dual_mul_f32 v35, v131, v83 :: v_dual_fma_f32 v23, v118, v70, -v23
	v_dual_fmac_f32 v9, v119, v70 :: v_dual_mul_f32 v37, v133, v85
	v_dual_mul_f32 v27, v123, v75 :: v_dual_mul_f32 v29, v125, v77
	v_dual_fmac_f32 v11, v121, v72 :: v_dual_fma_f32 v25, v120, v72, -v25
	s_delay_alu instid0(VALU_DEP_3) | instskip(SKIP_3) | instid1(VALU_DEP_3)
	v_dual_add_f32 v9, 0, v9 :: v_dual_add_f32 v23, 0, v23
	v_dual_mul_f32 v15, v124, v77 :: v_dual_mul_f32 v17, v126, v79
	s_wait_loadcnt 0x5
	v_dual_mul_f32 v39, v103, v87 :: v_dual_fma_f32 v27, v122, v74, -v27
	v_dual_fmac_f32 v13, v123, v74 :: v_dual_add_f32 v9, v9, v11
	v_dual_add_f32 v11, v23, v25 :: v_dual_mov_b32 v70, v89
	v_dual_mul_f32 v31, v127, v79 :: v_dual_mul_f32 v33, v129, v81
	v_dual_fmac_f32 v15, v125, v76 :: v_dual_fma_f32 v23, v124, v76, -v29
	s_delay_alu instid0(VALU_DEP_3) | instskip(SKIP_1) | instid1(VALU_DEP_4)
	v_dual_add_f32 v9, v9, v13 :: v_dual_add_f32 v11, v11, v27
	v_dual_mul_f32 v19, v128, v81 :: v_dual_mul_f32 v21, v130, v83
	v_dual_fmac_f32 v17, v127, v78 :: v_dual_fma_f32 v13, v126, v78, -v31
	s_delay_alu instid0(VALU_DEP_3) | instskip(SKIP_3) | instid1(VALU_DEP_3)
	v_dual_add_f32 v9, v9, v15 :: v_dual_fma_f32 v15, v128, v80, -v33
	s_wait_loadcnt 0x4
	v_dual_add_f32 v11, v11, v23 :: v_dual_mov_b32 v74, v93
	v_fmac_f32_e32 v19, v129, v80
	v_dual_add_f32 v9, v9, v17 :: v_dual_fmac_f32 v21, v131, v82
	s_delay_alu instid0(VALU_DEP_3) | instskip(SKIP_1) | instid1(VALU_DEP_3)
	v_add_f32_e32 v11, v11, v13
	v_dual_mul_f32 v149, v132, v85 :: v_dual_mul_f32 v151, v102, v87
	v_dual_fma_f32 v13, v130, v82, -v35 :: v_dual_add_f32 v9, v9, v19
	s_delay_alu instid0(VALU_DEP_2) | instskip(SKIP_1) | instid1(VALU_DEP_3)
	v_dual_add_f32 v11, v11, v15 :: v_dual_fmac_f32 v149, v133, v84
	v_pk_mul_f32 v[72:73], v[106:107], v[90:91] op_sel:[1,1] op_sel_hi:[0,1]
	v_dual_fma_f32 v148, v132, v84, -v37 :: v_dual_add_f32 v79, v9, v21
	v_pk_mul_f32 v[70:71], v[140:141], v[70:71] op_sel_hi:[1,0]
	s_wait_loadcnt 0x3
	v_dual_add_f32 v78, v11, v13 :: v_dual_mov_b32 v80, v97
	v_pk_fma_f32 v[84:85], v[106:107], v[90:91], v[72:73] op_sel_hi:[1,0,1]
	v_fmac_f32_e32 v151, v103, v86
	v_pk_fma_f32 v[82:83], v[104:105], v[88:89], v[70:71] op_sel_hi:[1,0,1]
	v_fma_f32 v150, v102, v86, -v39
	v_pk_add_f32 v[78:79], v[78:79], v[148:149]
	v_pk_fma_f32 v[70:71], v[104:105], v[88:89], v[70:71] neg_lo:[0,0,1] neg_hi:[0,0,1]
	v_pk_fma_f32 v[72:73], v[106:107], v[90:91], v[72:73] neg_lo:[0,0,1] neg_hi:[0,0,1]
	v_pk_mul_f32 v[74:75], v[142:143], v[74:75] op_sel_hi:[1,0]
	v_dual_mov_b32 v71, v83 :: v_dual_mov_b32 v73, v85
	v_pk_add_f32 v[78:79], v[78:79], v[150:151]
	v_pk_mul_f32 v[76:77], v[110:111], v[94:95] op_sel:[1,1] op_sel_hi:[0,1]
	s_delay_alu instid0(VALU_DEP_4)
	v_pk_fma_f32 v[84:85], v[108:109], v[92:93], v[74:75] op_sel_hi:[1,0,1]
	v_pk_fma_f32 v[74:75], v[108:109], v[92:93], v[74:75] neg_lo:[0,0,1] neg_hi:[0,0,1]
	v_pk_mul_f32 v[80:81], v[144:145], v[80:81] op_sel_hi:[1,0]
	v_pk_add_f32 v[70:71], v[78:79], v[70:71]
	v_pk_fma_f32 v[78:79], v[110:111], v[94:95], v[76:77] op_sel_hi:[1,0,1]
	v_mov_b32_e32 v75, v85
	v_pk_fma_f32 v[76:77], v[110:111], v[94:95], v[76:77] neg_lo:[0,0,1] neg_hi:[0,0,1]
	s_wait_loadcnt 0x2
	v_pk_mul_f32 v[82:83], v[114:115], v[98:99] op_sel:[1,1] op_sel_hi:[0,1]
	v_pk_add_f32 v[70:71], v[70:71], v[72:73]
	v_dual_mov_b32 v72, v101 :: v_dual_mov_b32 v77, v79
	v_pk_fma_f32 v[78:79], v[112:113], v[96:97], v[80:81] op_sel_hi:[1,0,1]
	v_pk_fma_f32 v[80:81], v[112:113], v[96:97], v[80:81] neg_lo:[0,0,1] neg_hi:[0,0,1]
	s_delay_alu instid0(VALU_DEP_4)
	v_pk_add_f32 v[70:71], v[70:71], v[74:75]
	v_pk_fma_f32 v[74:75], v[114:115], v[98:99], v[82:83] op_sel_hi:[1,0,1]
	v_pk_mul_f32 v[72:73], v[146:147], v[72:73] op_sel_hi:[1,0]
	v_mov_b32_e32 v81, v79
	s_wait_loadcnt_dscnt 0x100
	v_pk_mul_f32 v[78:79], v[138:139], v[134:135] op_sel:[1,1] op_sel_hi:[0,1]
	v_pk_add_f32 v[70:71], v[70:71], v[76:77]
	v_pk_fma_f32 v[76:77], v[114:115], v[98:99], v[82:83] neg_lo:[0,0,1] neg_hi:[0,0,1]
	v_mov_b32_e32 v77, v75
	v_pk_fma_f32 v[74:75], v[116:117], v[100:101], v[72:73] op_sel_hi:[1,0,1]
	v_pk_fma_f32 v[72:73], v[116:117], v[100:101], v[72:73] neg_lo:[0,0,1] neg_hi:[0,0,1]
	v_pk_add_f32 v[70:71], v[70:71], v[80:81]
	s_delay_alu instid0(VALU_DEP_3) | instskip(SKIP_1) | instid1(VALU_DEP_3)
	v_mov_b32_e32 v73, v75
	v_pk_fma_f32 v[74:75], v[138:139], v[134:135], v[78:79] op_sel_hi:[1,0,1]
	v_pk_add_f32 v[70:71], v[70:71], v[76:77]
	v_pk_fma_f32 v[76:77], v[138:139], v[134:135], v[78:79] neg_lo:[0,0,1] neg_hi:[0,0,1]
	s_delay_alu instid0(VALU_DEP_3) | instskip(NEXT) | instid1(VALU_DEP_3)
	v_mov_b32_e32 v77, v75
	v_pk_add_f32 v[70:71], v[70:71], v[72:73]
	s_delay_alu instid0(VALU_DEP_1) | instskip(SKIP_1) | instid1(VALU_DEP_1)
	v_pk_add_f32 v[70:71], v[70:71], v[76:77]
	s_wait_loadcnt 0x0
	v_pk_add_f32 v[70:71], v[136:137], v[70:71] neg_lo:[0,1] neg_hi:[0,1]
	scratch_store_b64 off, v[70:71], off offset:128
	s_wait_xcnt 0x0
	v_cmpx_lt_u32_e32 15, v0
	s_cbranch_execz .LBB97_187
; %bb.186:
	scratch_load_b64 v[70:71], off, off offset:120
	v_mov_b64_e32 v[72:73], 0
	scratch_store_b64 off, v[72:73], off offset:120
	s_wait_loadcnt 0x0
	ds_store_b64 v1, v[70:71]
.LBB97_187:
	s_wait_xcnt 0x0
	s_or_b32 exec_lo, exec_lo, s0
	s_wait_storecnt_dscnt 0x0
	s_barrier_signal -1
	s_barrier_wait -1
	s_clause 0x9
	scratch_load_b128 v[70:73], off, off offset:128
	scratch_load_b128 v[74:77], off, off offset:144
	scratch_load_b128 v[78:81], off, off offset:160
	scratch_load_b128 v[82:85], off, off offset:176
	scratch_load_b128 v[86:89], off, off offset:192
	scratch_load_b128 v[90:93], off, off offset:208
	scratch_load_b128 v[94:97], off, off offset:224
	scratch_load_b128 v[98:101], off, off offset:240
	scratch_load_b128 v[102:105], off, off offset:256
	scratch_load_b64 v[142:143], off, off offset:120
	ds_load_b128 v[106:109], v7 offset:480
	ds_load_b128 v[110:113], v7 offset:496
	;; [unrolled: 1-line block ×9, first 2 shown]
	s_mov_b32 s0, exec_lo
	s_wait_dscnt 0x8
	v_dual_mov_b32 v144, v109 :: v_dual_mov_b32 v145, v108
	s_wait_dscnt 0x7
	v_dual_mov_b32 v146, v113 :: v_dual_mov_b32 v147, v112
	;; [unrolled: 2-line block ×4, first 2 shown]
	s_wait_loadcnt_dscnt 0x904
	v_dual_mul_f32 v7, v122, v71 :: v_dual_mul_f32 v9, v124, v73
	v_dual_mul_f32 v23, v123, v71 :: v_dual_mul_f32 v25, v125, v73
	s_wait_loadcnt_dscnt 0x803
	v_dual_mul_f32 v11, v126, v75 :: v_dual_mul_f32 v13, v128, v77
	s_delay_alu instid0(VALU_DEP_3) | instskip(SKIP_3) | instid1(VALU_DEP_3)
	v_dual_fmac_f32 v7, v123, v70 :: v_dual_fmac_f32 v9, v125, v72
	s_wait_loadcnt_dscnt 0x601
	v_dual_fma_f32 v23, v122, v70, -v23 :: v_dual_mul_f32 v35, v135, v83
	v_dual_mul_f32 v27, v127, v75 :: v_dual_mul_f32 v29, v129, v77
	v_dual_fma_f32 v25, v124, v72, -v25 :: v_dual_add_f32 v7, 0, v7
	s_delay_alu instid0(VALU_DEP_3) | instskip(SKIP_1) | instid1(VALU_DEP_3)
	v_dual_add_f32 v23, 0, v23 :: v_dual_mul_f32 v37, v137, v85
	v_dual_fmac_f32 v11, v127, v74 :: v_dual_fmac_f32 v13, v129, v76
	v_dual_fma_f32 v27, v126, v74, -v27 :: v_dual_add_f32 v7, v7, v9
	s_delay_alu instid0(VALU_DEP_3) | instskip(SKIP_2) | instid1(VALU_DEP_4)
	v_dual_add_f32 v9, v23, v25 :: v_dual_fma_f32 v25, v128, v76, -v29
	v_dual_mul_f32 v15, v130, v79 :: v_dual_mul_f32 v17, v132, v81
	v_dual_mul_f32 v31, v131, v79 :: v_dual_mul_f32 v33, v133, v81
	v_add_f32_e32 v7, v7, v11
	s_delay_alu instid0(VALU_DEP_3) | instskip(NEXT) | instid1(VALU_DEP_3)
	v_dual_add_f32 v9, v9, v27 :: v_dual_fmac_f32 v15, v131, v78
	v_fma_f32 v27, v130, v78, -v31
	v_dual_mul_f32 v19, v134, v83 :: v_dual_mul_f32 v21, v136, v85
	s_delay_alu instid0(VALU_DEP_4) | instskip(NEXT) | instid1(VALU_DEP_4)
	v_dual_add_f32 v7, v7, v13 :: v_dual_fmac_f32 v17, v133, v80
	v_dual_add_f32 v9, v9, v25 :: v_dual_fma_f32 v13, v132, v80, -v33
	s_wait_loadcnt 0x4
	s_delay_alu instid0(VALU_DEP_2) | instskip(NEXT) | instid1(VALU_DEP_2)
	v_dual_mov_b32 v72, v93 :: v_dual_add_f32 v7, v7, v15
	v_dual_fmac_f32 v19, v135, v82 :: v_dual_add_f32 v9, v9, v27
	v_fma_f32 v15, v134, v82, -v35
	s_wait_dscnt 0x0
	v_dual_mul_f32 v153, v138, v87 :: v_dual_mul_f32 v155, v140, v89
	v_add_f32_e32 v7, v7, v17
	v_dual_add_f32 v9, v9, v13 :: v_dual_fma_f32 v13, v136, v84, -v37
	v_dual_mul_f32 v23, v139, v87 :: v_dual_mul_f32 v11, v141, v89
	s_delay_alu instid0(VALU_DEP_3) | instskip(NEXT) | instid1(VALU_DEP_3)
	v_dual_fmac_f32 v21, v137, v84 :: v_dual_add_f32 v7, v7, v19
	v_dual_add_f32 v9, v9, v15 :: v_dual_fmac_f32 v153, v139, v86
	v_pk_mul_f32 v[70:71], v[106:107], v[90:91] op_sel:[1,1] op_sel_hi:[0,1]
	s_wait_loadcnt 0x3
	v_dual_mov_b32 v76, v97 :: v_dual_fma_f32 v152, v138, v86, -v23
	v_dual_add_f32 v79, v7, v21 :: v_dual_fmac_f32 v155, v141, v88
	v_dual_add_f32 v78, v9, v13 :: v_dual_fma_f32 v154, v140, v88, -v11
	v_pk_fma_f32 v[80:81], v[106:107], v[90:91], v[70:71] op_sel_hi:[1,0,1]
	v_pk_mul_f32 v[72:73], v[144:145], v[72:73] op_sel_hi:[1,0]
	v_pk_fma_f32 v[70:71], v[106:107], v[90:91], v[70:71] neg_lo:[0,0,1] neg_hi:[0,0,1]
	s_delay_alu instid0(VALU_DEP_4)
	v_pk_add_f32 v[78:79], v[78:79], v[152:153]
	v_pk_mul_f32 v[74:75], v[110:111], v[94:95] op_sel:[1,1] op_sel_hi:[0,1]
	v_mov_b32_e32 v71, v81
	v_pk_fma_f32 v[80:81], v[108:109], v[92:93], v[72:73] op_sel_hi:[1,0,1]
	v_pk_fma_f32 v[72:73], v[108:109], v[92:93], v[72:73] neg_lo:[0,0,1] neg_hi:[0,0,1]
	v_pk_add_f32 v[78:79], v[78:79], v[154:155]
	v_pk_fma_f32 v[84:85], v[110:111], v[94:95], v[74:75] op_sel_hi:[1,0,1]
	v_pk_mul_f32 v[76:77], v[146:147], v[76:77] op_sel_hi:[1,0]
	v_mov_b32_e32 v73, v81
	s_wait_loadcnt 0x2
	v_pk_mul_f32 v[82:83], v[114:115], v[98:99] op_sel:[1,1] op_sel_hi:[0,1]
	v_pk_add_f32 v[70:71], v[78:79], v[70:71]
	v_mov_b32_e32 v78, v101
	v_pk_fma_f32 v[74:75], v[110:111], v[94:95], v[74:75] neg_lo:[0,0,1] neg_hi:[0,0,1]
	v_mov_b32_e32 v75, v85
	v_pk_fma_f32 v[80:81], v[112:113], v[96:97], v[76:77] op_sel_hi:[1,0,1]
	v_pk_add_f32 v[70:71], v[70:71], v[72:73]
	v_pk_fma_f32 v[72:73], v[114:115], v[98:99], v[82:83] op_sel_hi:[1,0,1]
	v_pk_mul_f32 v[78:79], v[148:149], v[78:79] op_sel_hi:[1,0]
	v_pk_fma_f32 v[76:77], v[112:113], v[96:97], v[76:77] neg_lo:[0,0,1] neg_hi:[0,0,1]
	v_mov_b32_e32 v77, v81
	v_pk_add_f32 v[70:71], v[70:71], v[74:75]
	v_pk_fma_f32 v[80:81], v[114:115], v[98:99], v[82:83] neg_lo:[0,0,1] neg_hi:[0,0,1]
	v_mov_b32_e32 v81, v73
	v_pk_fma_f32 v[72:73], v[116:117], v[100:101], v[78:79] op_sel_hi:[1,0,1]
	s_wait_loadcnt 0x1
	v_pk_mul_f32 v[74:75], v[118:119], v[102:103] op_sel:[1,1] op_sel_hi:[0,1]
	v_pk_add_f32 v[70:71], v[70:71], v[76:77]
	v_mov_b32_e32 v72, v105
	v_pk_fma_f32 v[78:79], v[116:117], v[100:101], v[78:79] neg_lo:[0,0,1] neg_hi:[0,0,1]
	v_mov_b32_e32 v79, v73
	v_pk_fma_f32 v[76:77], v[118:119], v[102:103], v[74:75] op_sel_hi:[1,0,1]
	v_pk_add_f32 v[70:71], v[70:71], v[80:81]
	v_pk_mul_f32 v[72:73], v[150:151], v[72:73] op_sel_hi:[1,0]
	v_pk_fma_f32 v[74:75], v[118:119], v[102:103], v[74:75] neg_lo:[0,0,1] neg_hi:[0,0,1]
	s_delay_alu instid0(VALU_DEP_4) | instskip(NEXT) | instid1(VALU_DEP_4)
	v_mov_b32_e32 v75, v77
	v_pk_add_f32 v[70:71], v[70:71], v[78:79]
	s_delay_alu instid0(VALU_DEP_4) | instskip(SKIP_1) | instid1(VALU_DEP_2)
	v_pk_fma_f32 v[76:77], v[120:121], v[104:105], v[72:73] op_sel_hi:[1,0,1]
	v_pk_fma_f32 v[72:73], v[120:121], v[104:105], v[72:73] neg_lo:[0,0,1] neg_hi:[0,0,1]
	v_mov_b32_e32 v73, v77
	s_delay_alu instid0(VALU_DEP_4) | instskip(NEXT) | instid1(VALU_DEP_1)
	v_pk_add_f32 v[70:71], v[70:71], v[74:75]
	v_pk_add_f32 v[70:71], v[70:71], v[72:73]
	s_wait_loadcnt 0x0
	s_delay_alu instid0(VALU_DEP_1)
	v_pk_add_f32 v[70:71], v[142:143], v[70:71] neg_lo:[0,1] neg_hi:[0,1]
	scratch_store_b64 off, v[70:71], off offset:120
	s_wait_xcnt 0x0
	v_cmpx_lt_u32_e32 14, v0
	s_cbranch_execz .LBB97_189
; %bb.188:
	scratch_load_b64 v[70:71], off, off offset:112
	v_mov_b64_e32 v[72:73], 0
	scratch_store_b64 off, v[72:73], off offset:112
	s_wait_loadcnt 0x0
	ds_store_b64 v1, v[70:71]
.LBB97_189:
	s_wait_xcnt 0x0
	s_or_b32 exec_lo, exec_lo, s0
	s_wait_storecnt_dscnt 0x0
	s_barrier_signal -1
	s_barrier_wait -1
	s_clause 0xa
	scratch_load_b128 v[70:73], off, off offset:120
	scratch_load_b128 v[74:77], off, off offset:136
	;; [unrolled: 1-line block ×9, first 2 shown]
	scratch_load_b64 v[142:143], off, off offset:264
	scratch_load_b64 v[144:145], off, off offset:112
	v_mov_b32_e32 v7, 0
	ds_load_2addr_b64 v[106:109], v7 offset0:59 offset1:60
	ds_load_2addr_b64 v[110:113], v7 offset0:61 offset1:62
	;; [unrolled: 1-line block ×9, first 2 shown]
	ds_load_b64 v[146:147], v7 offset:536
	s_mov_b32 s0, exec_lo
	s_wait_dscnt 0x9
	v_dual_mov_b32 v148, v109 :: v_dual_mov_b32 v149, v108
	s_wait_dscnt 0x6
	v_dual_mov_b32 v150, v113 :: v_dual_mov_b32 v155, v120
	v_dual_mov_b32 v151, v112 :: v_dual_mov_b32 v152, v117
	;; [unrolled: 1-line block ×3, first 2 shown]
	s_wait_loadcnt_dscnt 0xa05
	v_dual_mul_f32 v9, v122, v71 :: v_dual_mul_f32 v27, v123, v71
	v_dual_mul_f32 v29, v125, v73 :: v_dual_mul_f32 v11, v124, v73
	s_wait_loadcnt_dscnt 0x904
	v_mul_f32_e32 v13, v126, v75
	s_wait_loadcnt_dscnt 0x702
	v_dual_mul_f32 v39, v135, v83 :: v_dual_fma_f32 v27, v122, v70, -v27
	v_dual_fmac_f32 v9, v123, v70 :: v_dual_mul_f32 v41, v137, v85
	v_dual_mul_f32 v31, v127, v75 :: v_dual_mul_f32 v33, v129, v77
	v_dual_fmac_f32 v11, v125, v72 :: v_dual_fma_f32 v29, v124, v72, -v29
	s_delay_alu instid0(VALU_DEP_3) | instskip(SKIP_3) | instid1(VALU_DEP_3)
	v_dual_add_f32 v9, 0, v9 :: v_dual_add_f32 v27, 0, v27
	v_dual_mul_f32 v15, v128, v77 :: v_dual_mul_f32 v17, v130, v79
	s_wait_loadcnt_dscnt 0x601
	v_dual_mul_f32 v43, v139, v87 :: v_dual_fma_f32 v31, v126, v74, -v31
	v_dual_fmac_f32 v13, v127, v74 :: v_dual_add_f32 v9, v9, v11
	s_delay_alu instid0(VALU_DEP_3) | instskip(SKIP_2) | instid1(VALU_DEP_3)
	v_dual_add_f32 v11, v27, v29 :: v_dual_fmac_f32 v15, v129, v76
	v_dual_mul_f32 v35, v131, v79 :: v_dual_mul_f32 v37, v133, v81
	v_dual_mul_f32 v27, v141, v89 :: v_dual_fma_f32 v29, v128, v76, -v33
	v_dual_add_f32 v9, v9, v13 :: v_dual_add_f32 v11, v11, v31
	v_dual_mul_f32 v19, v132, v81 :: v_dual_mul_f32 v21, v134, v83
	s_wait_loadcnt 0x5
	v_dual_mul_f32 v13, v107, v91 :: v_dual_fma_f32 v31, v130, v78, -v35
	s_delay_alu instid0(VALU_DEP_3) | instskip(SKIP_2) | instid1(VALU_DEP_2)
	v_dual_fmac_f32 v17, v131, v78 :: v_dual_add_f32 v9, v9, v15
	v_dual_add_f32 v11, v11, v29 :: v_dual_mov_b32 v70, v93
	v_dual_fmac_f32 v19, v133, v80 :: v_dual_fma_f32 v15, v132, v80, -v37
	v_dual_add_f32 v9, v9, v17 :: v_dual_add_f32 v11, v11, v31
	v_dual_mul_f32 v23, v136, v85 :: v_dual_mul_f32 v25, v138, v87
	v_dual_fmac_f32 v21, v135, v82 :: v_dual_fma_f32 v17, v134, v82, -v39
	s_delay_alu instid0(VALU_DEP_3) | instskip(SKIP_3) | instid1(VALU_DEP_3)
	v_add_f32_e32 v9, v9, v19
	s_wait_loadcnt 0x4
	v_dual_add_f32 v11, v11, v15 :: v_dual_mov_b32 v74, v97
	v_dual_fmac_f32 v23, v137, v84 :: v_dual_fma_f32 v15, v136, v84, -v41
	v_dual_add_f32 v9, v9, v21 :: v_dual_fmac_f32 v25, v139, v86
	s_delay_alu instid0(VALU_DEP_3) | instskip(SKIP_1) | instid1(VALU_DEP_3)
	v_add_f32_e32 v11, v11, v17
	v_dual_mul_f32 v157, v140, v89 :: v_dual_mul_f32 v159, v106, v91
	v_dual_fma_f32 v17, v138, v86, -v43 :: v_dual_add_f32 v9, v9, v23
	s_delay_alu instid0(VALU_DEP_2) | instskip(SKIP_2) | instid1(VALU_DEP_4)
	v_dual_add_f32 v11, v11, v15 :: v_dual_fmac_f32 v157, v141, v88
	v_fma_f32 v156, v140, v88, -v27
	v_pk_mul_f32 v[70:71], v[148:149], v[70:71] op_sel_hi:[1,0]
	v_add_f32_e32 v79, v9, v25
	s_wait_loadcnt 0x3
	v_dual_add_f32 v78, v11, v17 :: v_dual_mov_b32 v80, v101
	v_pk_mul_f32 v[72:73], v[110:111], v[94:95] op_sel:[1,1] op_sel_hi:[0,1]
	v_dual_fmac_f32 v159, v107, v90 :: v_dual_fma_f32 v158, v106, v90, -v13
	v_pk_fma_f32 v[82:83], v[108:109], v[92:93], v[70:71] op_sel_hi:[1,0,1]
	s_delay_alu instid0(VALU_DEP_4)
	v_pk_add_f32 v[78:79], v[78:79], v[156:157]
	v_pk_fma_f32 v[70:71], v[108:109], v[92:93], v[70:71] neg_lo:[0,0,1] neg_hi:[0,0,1]
	v_pk_fma_f32 v[84:85], v[110:111], v[94:95], v[72:73] op_sel_hi:[1,0,1]
	v_pk_mul_f32 v[74:75], v[150:151], v[74:75] op_sel_hi:[1,0]
	v_mov_b32_e32 v71, v83
	v_pk_add_f32 v[78:79], v[78:79], v[158:159]
	v_pk_fma_f32 v[72:73], v[110:111], v[94:95], v[72:73] neg_lo:[0,0,1] neg_hi:[0,0,1]
	v_pk_mul_f32 v[76:77], v[114:115], v[98:99] op_sel:[1,1] op_sel_hi:[0,1]
	v_mov_b32_e32 v73, v85
	v_pk_fma_f32 v[84:85], v[112:113], v[96:97], v[74:75] op_sel_hi:[1,0,1]
	v_pk_add_f32 v[70:71], v[78:79], v[70:71]
	v_pk_fma_f32 v[74:75], v[112:113], v[96:97], v[74:75] neg_lo:[0,0,1] neg_hi:[0,0,1]
	v_pk_fma_f32 v[78:79], v[114:115], v[98:99], v[76:77] op_sel_hi:[1,0,1]
	v_pk_mul_f32 v[80:81], v[152:153], v[80:81] op_sel_hi:[1,0]
	v_mov_b32_e32 v75, v85
	v_pk_add_f32 v[70:71], v[70:71], v[72:73]
	v_pk_fma_f32 v[76:77], v[114:115], v[98:99], v[76:77] neg_lo:[0,0,1] neg_hi:[0,0,1]
	s_wait_loadcnt 0x2
	v_pk_mul_f32 v[82:83], v[118:119], v[102:103] op_sel:[1,1] op_sel_hi:[0,1]
	v_dual_mov_b32 v72, v105 :: v_dual_mov_b32 v77, v79
	v_pk_fma_f32 v[78:79], v[116:117], v[100:101], v[80:81] op_sel_hi:[1,0,1]
	v_pk_add_f32 v[70:71], v[70:71], v[74:75]
	v_pk_fma_f32 v[80:81], v[116:117], v[100:101], v[80:81] neg_lo:[0,0,1] neg_hi:[0,0,1]
	v_pk_fma_f32 v[74:75], v[118:119], v[102:103], v[82:83] op_sel_hi:[1,0,1]
	v_pk_mul_f32 v[72:73], v[154:155], v[72:73] op_sel_hi:[1,0]
	v_mov_b32_e32 v81, v79
	v_pk_add_f32 v[70:71], v[70:71], v[76:77]
	v_pk_fma_f32 v[76:77], v[118:119], v[102:103], v[82:83] neg_lo:[0,0,1] neg_hi:[0,0,1]
	v_mov_b32_e32 v77, v75
	v_pk_fma_f32 v[74:75], v[120:121], v[104:105], v[72:73] op_sel_hi:[1,0,1]
	s_wait_loadcnt_dscnt 0x100
	v_pk_mul_f32 v[78:79], v[146:147], v[142:143] op_sel:[1,1] op_sel_hi:[0,1]
	v_pk_add_f32 v[70:71], v[70:71], v[80:81]
	v_pk_fma_f32 v[72:73], v[120:121], v[104:105], v[72:73] neg_lo:[0,0,1] neg_hi:[0,0,1]
	v_mov_b32_e32 v73, v75
	s_delay_alu instid0(VALU_DEP_4) | instskip(NEXT) | instid1(VALU_DEP_4)
	v_pk_fma_f32 v[74:75], v[146:147], v[142:143], v[78:79] op_sel_hi:[1,0,1]
	v_pk_add_f32 v[70:71], v[70:71], v[76:77]
	v_pk_fma_f32 v[76:77], v[146:147], v[142:143], v[78:79] neg_lo:[0,0,1] neg_hi:[0,0,1]
	s_delay_alu instid0(VALU_DEP_3) | instskip(NEXT) | instid1(VALU_DEP_3)
	v_mov_b32_e32 v77, v75
	v_pk_add_f32 v[70:71], v[70:71], v[72:73]
	s_delay_alu instid0(VALU_DEP_1) | instskip(SKIP_1) | instid1(VALU_DEP_1)
	v_pk_add_f32 v[70:71], v[70:71], v[76:77]
	s_wait_loadcnt 0x0
	v_pk_add_f32 v[70:71], v[144:145], v[70:71] neg_lo:[0,1] neg_hi:[0,1]
	scratch_store_b64 off, v[70:71], off offset:112
	s_wait_xcnt 0x0
	v_cmpx_lt_u32_e32 13, v0
	s_cbranch_execz .LBB97_191
; %bb.190:
	scratch_load_b64 v[70:71], off, off offset:104
	v_mov_b64_e32 v[72:73], 0
	scratch_store_b64 off, v[72:73], off offset:104
	s_wait_loadcnt 0x0
	ds_store_b64 v1, v[70:71]
.LBB97_191:
	s_wait_xcnt 0x0
	s_or_b32 exec_lo, exec_lo, s0
	s_wait_storecnt_dscnt 0x0
	s_barrier_signal -1
	s_barrier_wait -1
	s_clause 0xa
	scratch_load_b128 v[70:73], off, off offset:112
	scratch_load_b128 v[74:77], off, off offset:128
	;; [unrolled: 1-line block ×10, first 2 shown]
	scratch_load_b64 v[150:151], off, off offset:104
	ds_load_b128 v[110:113], v7 offset:480
	ds_load_b128 v[114:117], v7 offset:496
	;; [unrolled: 1-line block ×10, first 2 shown]
	s_mov_b32 s0, exec_lo
	s_wait_dscnt 0x9
	v_dual_mov_b32 v152, v113 :: v_dual_mov_b32 v153, v112
	s_wait_dscnt 0x8
	v_dual_mov_b32 v154, v117 :: v_dual_mov_b32 v155, v116
	;; [unrolled: 2-line block ×4, first 2 shown]
	s_wait_loadcnt_dscnt 0xa05
	v_dual_mul_f32 v7, v126, v71 :: v_dual_mul_f32 v9, v128, v73
	v_dual_mul_f32 v27, v127, v71 :: v_dual_mul_f32 v29, v129, v73
	s_wait_loadcnt_dscnt 0x904
	v_dual_mul_f32 v11, v130, v75 :: v_dual_mul_f32 v13, v132, v77
	s_delay_alu instid0(VALU_DEP_3) | instskip(SKIP_3) | instid1(VALU_DEP_3)
	v_dual_fmac_f32 v7, v127, v70 :: v_dual_fmac_f32 v9, v129, v72
	s_wait_loadcnt_dscnt 0x702
	v_dual_fma_f32 v27, v126, v70, -v27 :: v_dual_mul_f32 v39, v139, v83
	v_dual_mul_f32 v31, v131, v75 :: v_dual_mul_f32 v33, v133, v77
	v_dual_fma_f32 v29, v128, v72, -v29 :: v_dual_add_f32 v7, 0, v7
	s_delay_alu instid0(VALU_DEP_3) | instskip(SKIP_1) | instid1(VALU_DEP_3)
	v_dual_add_f32 v27, 0, v27 :: v_dual_mul_f32 v41, v141, v85
	v_dual_fmac_f32 v11, v131, v74 :: v_dual_fmac_f32 v13, v133, v76
	v_dual_fma_f32 v31, v130, v74, -v31 :: v_dual_add_f32 v7, v7, v9
	s_delay_alu instid0(VALU_DEP_3) | instskip(SKIP_2) | instid1(VALU_DEP_4)
	v_dual_add_f32 v9, v27, v29 :: v_dual_fma_f32 v29, v132, v76, -v33
	v_dual_mul_f32 v15, v134, v79 :: v_dual_mul_f32 v17, v136, v81
	v_dual_mul_f32 v35, v135, v79 :: v_dual_mul_f32 v37, v137, v81
	v_add_f32_e32 v7, v7, v11
	s_delay_alu instid0(VALU_DEP_3) | instskip(NEXT) | instid1(VALU_DEP_3)
	v_dual_add_f32 v9, v9, v31 :: v_dual_fmac_f32 v15, v135, v78
	v_fma_f32 v31, v134, v78, -v35
	v_dual_mul_f32 v19, v138, v83 :: v_dual_mul_f32 v21, v140, v85
	s_delay_alu instid0(VALU_DEP_4) | instskip(SKIP_2) | instid1(VALU_DEP_2)
	v_dual_add_f32 v7, v7, v13 :: v_dual_fmac_f32 v17, v137, v80
	s_wait_loadcnt_dscnt 0x500
	v_dual_add_f32 v9, v9, v29 :: v_dual_mul_f32 v13, v147, v91
	v_dual_fma_f32 v29, v136, v80, -v37 :: v_dual_add_f32 v7, v7, v15
	v_mul_f32_e32 v15, v149, v93
	s_delay_alu instid0(VALU_DEP_3) | instskip(NEXT) | instid1(VALU_DEP_3)
	v_dual_add_f32 v9, v9, v31 :: v_dual_fmac_f32 v19, v139, v82
	v_dual_fma_f32 v31, v138, v82, -v39 :: v_dual_add_f32 v7, v7, v17
	v_fmac_f32_e32 v21, v141, v84
	s_delay_alu instid0(VALU_DEP_3) | instskip(SKIP_4) | instid1(VALU_DEP_3)
	v_dual_add_f32 v9, v9, v29 :: v_dual_fma_f32 v17, v140, v84, -v41
	v_dual_mul_f32 v23, v142, v87 :: v_dual_mul_f32 v25, v144, v89
	v_dual_mul_f32 v27, v143, v87 :: v_dual_mul_f32 v11, v145, v89
	s_wait_loadcnt 0x4
	v_dual_add_f32 v7, v7, v19 :: v_dual_mov_b32 v72, v97
	v_dual_add_f32 v9, v9, v31 :: v_dual_fmac_f32 v23, v143, v86
	s_delay_alu instid0(VALU_DEP_2) | instskip(SKIP_1) | instid1(VALU_DEP_3)
	v_dual_fma_f32 v19, v142, v86, -v27 :: v_dual_add_f32 v7, v7, v21
	v_dual_mul_f32 v161, v146, v91 :: v_dual_mul_f32 v163, v148, v93
	v_dual_add_f32 v9, v9, v17 :: v_dual_fma_f32 v11, v144, v88, -v11
	s_delay_alu instid0(VALU_DEP_3) | instskip(SKIP_1) | instid1(VALU_DEP_3)
	v_dual_fmac_f32 v25, v145, v88 :: v_dual_add_f32 v7, v7, v23
	v_pk_mul_f32 v[70:71], v[110:111], v[94:95] op_sel:[1,1] op_sel_hi:[0,1]
	v_dual_add_f32 v9, v9, v19 :: v_dual_fmac_f32 v161, v147, v90
	s_wait_loadcnt 0x3
	v_dual_mov_b32 v76, v101 :: v_dual_fma_f32 v160, v146, v90, -v13
	s_delay_alu instid0(VALU_DEP_2)
	v_dual_add_f32 v79, v7, v25 :: v_dual_add_f32 v78, v9, v11
	v_fmac_f32_e32 v163, v149, v92
	v_pk_fma_f32 v[80:81], v[110:111], v[94:95], v[70:71] op_sel_hi:[1,0,1]
	v_fma_f32 v162, v148, v92, -v15
	v_pk_mul_f32 v[72:73], v[152:153], v[72:73] op_sel_hi:[1,0]
	v_pk_add_f32 v[78:79], v[78:79], v[160:161]
	v_pk_fma_f32 v[70:71], v[110:111], v[94:95], v[70:71] neg_lo:[0,0,1] neg_hi:[0,0,1]
	v_pk_mul_f32 v[74:75], v[114:115], v[98:99] op_sel:[1,1] op_sel_hi:[0,1]
	v_mov_b32_e32 v71, v81
	v_pk_fma_f32 v[80:81], v[112:113], v[96:97], v[72:73] op_sel_hi:[1,0,1]
	v_pk_add_f32 v[78:79], v[78:79], v[162:163]
	v_pk_fma_f32 v[72:73], v[112:113], v[96:97], v[72:73] neg_lo:[0,0,1] neg_hi:[0,0,1]
	v_pk_fma_f32 v[84:85], v[114:115], v[98:99], v[74:75] op_sel_hi:[1,0,1]
	v_pk_mul_f32 v[76:77], v[154:155], v[76:77] op_sel_hi:[1,0]
	v_mov_b32_e32 v73, v81
	v_pk_add_f32 v[70:71], v[78:79], v[70:71]
	s_wait_loadcnt 0x2
	v_pk_mul_f32 v[82:83], v[118:119], v[102:103] op_sel:[1,1] op_sel_hi:[0,1]
	v_mov_b32_e32 v78, v105
	v_pk_fma_f32 v[74:75], v[114:115], v[98:99], v[74:75] neg_lo:[0,0,1] neg_hi:[0,0,1]
	v_pk_fma_f32 v[80:81], v[116:117], v[100:101], v[76:77] op_sel_hi:[1,0,1]
	v_mov_b32_e32 v75, v85
	v_pk_add_f32 v[70:71], v[70:71], v[72:73]
	v_pk_fma_f32 v[72:73], v[118:119], v[102:103], v[82:83] op_sel_hi:[1,0,1]
	v_pk_mul_f32 v[78:79], v[156:157], v[78:79] op_sel_hi:[1,0]
	v_pk_fma_f32 v[76:77], v[116:117], v[100:101], v[76:77] neg_lo:[0,0,1] neg_hi:[0,0,1]
	v_mov_b32_e32 v77, v81
	v_pk_add_f32 v[70:71], v[70:71], v[74:75]
	v_pk_fma_f32 v[80:81], v[118:119], v[102:103], v[82:83] neg_lo:[0,0,1] neg_hi:[0,0,1]
	v_mov_b32_e32 v81, v73
	v_pk_fma_f32 v[72:73], v[120:121], v[104:105], v[78:79] op_sel_hi:[1,0,1]
	s_wait_loadcnt 0x1
	v_pk_mul_f32 v[74:75], v[122:123], v[106:107] op_sel:[1,1] op_sel_hi:[0,1]
	v_pk_add_f32 v[70:71], v[70:71], v[76:77]
	v_mov_b32_e32 v72, v109
	v_pk_fma_f32 v[78:79], v[120:121], v[104:105], v[78:79] neg_lo:[0,0,1] neg_hi:[0,0,1]
	s_delay_alu instid0(VALU_DEP_4)
	v_pk_fma_f32 v[76:77], v[122:123], v[106:107], v[74:75] op_sel_hi:[1,0,1]
	v_mov_b32_e32 v79, v73
	v_pk_add_f32 v[70:71], v[70:71], v[80:81]
	v_pk_mul_f32 v[72:73], v[158:159], v[72:73] op_sel_hi:[1,0]
	v_pk_fma_f32 v[74:75], v[122:123], v[106:107], v[74:75] neg_lo:[0,0,1] neg_hi:[0,0,1]
	v_mov_b32_e32 v75, v77
	s_delay_alu instid0(VALU_DEP_4) | instskip(NEXT) | instid1(VALU_DEP_4)
	v_pk_add_f32 v[70:71], v[70:71], v[78:79]
	v_pk_fma_f32 v[76:77], v[124:125], v[108:109], v[72:73] op_sel_hi:[1,0,1]
	v_pk_fma_f32 v[72:73], v[124:125], v[108:109], v[72:73] neg_lo:[0,0,1] neg_hi:[0,0,1]
	s_delay_alu instid0(VALU_DEP_3) | instskip(NEXT) | instid1(VALU_DEP_3)
	v_pk_add_f32 v[70:71], v[70:71], v[74:75]
	v_mov_b32_e32 v73, v77
	s_delay_alu instid0(VALU_DEP_1) | instskip(SKIP_1) | instid1(VALU_DEP_1)
	v_pk_add_f32 v[70:71], v[70:71], v[72:73]
	s_wait_loadcnt 0x0
	v_pk_add_f32 v[70:71], v[150:151], v[70:71] neg_lo:[0,1] neg_hi:[0,1]
	scratch_store_b64 off, v[70:71], off offset:104
	s_wait_xcnt 0x0
	v_cmpx_lt_u32_e32 12, v0
	s_cbranch_execz .LBB97_193
; %bb.192:
	scratch_load_b64 v[70:71], off, off offset:96
	v_mov_b64_e32 v[72:73], 0
	scratch_store_b64 off, v[72:73], off offset:96
	s_wait_loadcnt 0x0
	ds_store_b64 v1, v[70:71]
.LBB97_193:
	s_wait_xcnt 0x0
	s_or_b32 exec_lo, exec_lo, s0
	s_wait_storecnt_dscnt 0x0
	s_barrier_signal -1
	s_barrier_wait -1
	s_clause 0xb
	scratch_load_b128 v[70:73], off, off offset:104
	scratch_load_b128 v[74:77], off, off offset:120
	;; [unrolled: 1-line block ×10, first 2 shown]
	scratch_load_b64 v[150:151], off, off offset:264
	scratch_load_b64 v[152:153], off, off offset:96
	v_mov_b32_e32 v7, 0
	ds_load_2addr_b64 v[110:113], v7 offset0:59 offset1:60
	ds_load_2addr_b64 v[114:117], v7 offset0:61 offset1:62
	;; [unrolled: 1-line block ×10, first 2 shown]
	ds_load_b64 v[154:155], v7 offset:536
	s_mov_b32 s0, exec_lo
	s_wait_dscnt 0xa
	v_dual_mov_b32 v156, v113 :: v_dual_mov_b32 v157, v112
	s_wait_dscnt 0x7
	v_dual_mov_b32 v158, v117 :: v_dual_mov_b32 v163, v124
	v_dual_mov_b32 v159, v116 :: v_dual_mov_b32 v160, v121
	;; [unrolled: 1-line block ×3, first 2 shown]
	s_wait_loadcnt_dscnt 0xb06
	v_dual_mul_f32 v9, v126, v71 :: v_dual_mul_f32 v31, v127, v71
	v_dual_mul_f32 v33, v129, v73 :: v_dual_mul_f32 v11, v128, v73
	s_wait_loadcnt_dscnt 0xa05
	v_mul_f32_e32 v13, v130, v75
	s_wait_loadcnt_dscnt 0x803
	v_dual_mul_f32 v43, v139, v83 :: v_dual_fma_f32 v31, v126, v70, -v31
	v_dual_fmac_f32 v9, v127, v70 :: v_dual_mul_f32 v45, v141, v85
	v_dual_mul_f32 v35, v131, v75 :: v_dual_mul_f32 v37, v133, v77
	v_dual_fmac_f32 v11, v129, v72 :: v_dual_fma_f32 v33, v128, v72, -v33
	s_delay_alu instid0(VALU_DEP_3) | instskip(SKIP_3) | instid1(VALU_DEP_3)
	v_dual_add_f32 v9, 0, v9 :: v_dual_add_f32 v31, 0, v31
	v_dual_mul_f32 v15, v132, v77 :: v_dual_mul_f32 v17, v134, v79
	s_wait_loadcnt_dscnt 0x702
	v_dual_mul_f32 v47, v143, v87 :: v_dual_fma_f32 v35, v130, v74, -v35
	v_dual_fmac_f32 v13, v131, v74 :: v_dual_add_f32 v9, v9, v11
	s_delay_alu instid0(VALU_DEP_3) | instskip(SKIP_2) | instid1(VALU_DEP_3)
	v_dual_add_f32 v11, v31, v33 :: v_dual_fmac_f32 v15, v133, v76
	v_dual_mul_f32 v39, v135, v79 :: v_dual_mul_f32 v41, v137, v81
	v_dual_mul_f32 v31, v145, v89 :: v_dual_fma_f32 v33, v132, v76, -v37
	v_dual_add_f32 v9, v9, v13 :: v_dual_add_f32 v11, v11, v35
	v_dual_mul_f32 v19, v136, v81 :: v_dual_mul_f32 v21, v138, v83
	s_wait_loadcnt_dscnt 0x601
	v_dual_mul_f32 v13, v147, v91 :: v_dual_fma_f32 v35, v134, v78, -v39
	s_delay_alu instid0(VALU_DEP_3) | instskip(NEXT) | instid1(VALU_DEP_3)
	v_dual_fmac_f32 v17, v135, v78 :: v_dual_add_f32 v9, v9, v15
	v_dual_add_f32 v11, v11, v33 :: v_dual_fmac_f32 v19, v137, v80
	v_dual_mul_f32 v15, v149, v93 :: v_dual_fma_f32 v33, v136, v80, -v41
	s_delay_alu instid0(VALU_DEP_2) | instskip(SKIP_3) | instid1(VALU_DEP_3)
	v_dual_add_f32 v9, v9, v17 :: v_dual_add_f32 v11, v11, v35
	v_dual_mul_f32 v23, v140, v85 :: v_dual_mul_f32 v25, v142, v87
	s_wait_loadcnt 0x5
	v_dual_mul_f32 v17, v111, v95 :: v_dual_fma_f32 v35, v138, v82, -v43
	v_dual_fmac_f32 v21, v139, v82 :: v_dual_add_f32 v9, v9, v19
	v_dual_add_f32 v11, v11, v33 :: v_dual_mov_b32 v70, v97
	v_dual_fmac_f32 v23, v141, v84 :: v_dual_fma_f32 v19, v140, v84, -v45
	s_delay_alu instid0(VALU_DEP_2) | instskip(SKIP_2) | instid1(VALU_DEP_3)
	v_dual_add_f32 v9, v9, v21 :: v_dual_add_f32 v11, v11, v35
	v_dual_mul_f32 v27, v144, v89 :: v_dual_mul_f32 v29, v146, v91
	v_dual_fmac_f32 v25, v143, v86 :: v_dual_fma_f32 v21, v142, v86, -v47
	v_add_f32_e32 v9, v9, v23
	s_wait_loadcnt 0x4
	v_dual_add_f32 v11, v11, v19 :: v_dual_mov_b32 v74, v101
	v_fmac_f32_e32 v27, v145, v88
	s_delay_alu instid0(VALU_DEP_3) | instskip(SKIP_1) | instid1(VALU_DEP_4)
	v_dual_fma_f32 v19, v144, v88, -v31 :: v_dual_add_f32 v9, v9, v25
	v_fmac_f32_e32 v29, v147, v90
	v_add_f32_e32 v11, v11, v21
	v_dual_mul_f32 v165, v148, v93 :: v_dual_mul_f32 v167, v110, v95
	s_delay_alu instid0(VALU_DEP_4) | instskip(NEXT) | instid1(VALU_DEP_2)
	v_dual_fma_f32 v13, v146, v90, -v13 :: v_dual_add_f32 v9, v9, v27
	v_dual_add_f32 v11, v11, v19 :: v_dual_fmac_f32 v165, v149, v92
	v_fma_f32 v164, v148, v92, -v15
	v_pk_mul_f32 v[70:71], v[156:157], v[70:71] op_sel_hi:[1,0]
	s_delay_alu instid0(VALU_DEP_4)
	v_add_f32_e32 v79, v9, v29
	s_wait_loadcnt 0x3
	v_dual_add_f32 v78, v11, v13 :: v_dual_mov_b32 v80, v105
	v_pk_mul_f32 v[72:73], v[114:115], v[98:99] op_sel:[1,1] op_sel_hi:[0,1]
	v_dual_fmac_f32 v167, v111, v94 :: v_dual_fma_f32 v166, v110, v94, -v17
	v_pk_fma_f32 v[82:83], v[112:113], v[96:97], v[70:71] op_sel_hi:[1,0,1]
	s_delay_alu instid0(VALU_DEP_4)
	v_pk_add_f32 v[78:79], v[78:79], v[164:165]
	v_pk_fma_f32 v[70:71], v[112:113], v[96:97], v[70:71] neg_lo:[0,0,1] neg_hi:[0,0,1]
	v_pk_fma_f32 v[84:85], v[114:115], v[98:99], v[72:73] op_sel_hi:[1,0,1]
	v_pk_mul_f32 v[74:75], v[158:159], v[74:75] op_sel_hi:[1,0]
	v_mov_b32_e32 v71, v83
	v_pk_add_f32 v[78:79], v[78:79], v[166:167]
	v_pk_fma_f32 v[72:73], v[114:115], v[98:99], v[72:73] neg_lo:[0,0,1] neg_hi:[0,0,1]
	v_pk_mul_f32 v[76:77], v[118:119], v[102:103] op_sel:[1,1] op_sel_hi:[0,1]
	v_mov_b32_e32 v73, v85
	v_pk_fma_f32 v[84:85], v[116:117], v[100:101], v[74:75] op_sel_hi:[1,0,1]
	v_pk_add_f32 v[70:71], v[78:79], v[70:71]
	v_pk_fma_f32 v[74:75], v[116:117], v[100:101], v[74:75] neg_lo:[0,0,1] neg_hi:[0,0,1]
	v_pk_fma_f32 v[78:79], v[118:119], v[102:103], v[76:77] op_sel_hi:[1,0,1]
	v_pk_mul_f32 v[80:81], v[160:161], v[80:81] op_sel_hi:[1,0]
	v_mov_b32_e32 v75, v85
	v_pk_add_f32 v[70:71], v[70:71], v[72:73]
	v_pk_fma_f32 v[76:77], v[118:119], v[102:103], v[76:77] neg_lo:[0,0,1] neg_hi:[0,0,1]
	s_wait_loadcnt 0x2
	v_pk_mul_f32 v[82:83], v[122:123], v[106:107] op_sel:[1,1] op_sel_hi:[0,1]
	v_dual_mov_b32 v72, v109 :: v_dual_mov_b32 v77, v79
	v_pk_fma_f32 v[78:79], v[120:121], v[104:105], v[80:81] op_sel_hi:[1,0,1]
	v_pk_add_f32 v[70:71], v[70:71], v[74:75]
	v_pk_fma_f32 v[80:81], v[120:121], v[104:105], v[80:81] neg_lo:[0,0,1] neg_hi:[0,0,1]
	v_pk_fma_f32 v[74:75], v[122:123], v[106:107], v[82:83] op_sel_hi:[1,0,1]
	v_pk_mul_f32 v[72:73], v[162:163], v[72:73] op_sel_hi:[1,0]
	v_mov_b32_e32 v81, v79
	v_pk_add_f32 v[70:71], v[70:71], v[76:77]
	v_pk_fma_f32 v[76:77], v[122:123], v[106:107], v[82:83] neg_lo:[0,0,1] neg_hi:[0,0,1]
	v_mov_b32_e32 v77, v75
	v_pk_fma_f32 v[74:75], v[124:125], v[108:109], v[72:73] op_sel_hi:[1,0,1]
	s_wait_loadcnt_dscnt 0x100
	v_pk_mul_f32 v[78:79], v[154:155], v[150:151] op_sel:[1,1] op_sel_hi:[0,1]
	v_pk_add_f32 v[70:71], v[70:71], v[80:81]
	v_pk_fma_f32 v[72:73], v[124:125], v[108:109], v[72:73] neg_lo:[0,0,1] neg_hi:[0,0,1]
	v_mov_b32_e32 v73, v75
	s_delay_alu instid0(VALU_DEP_4) | instskip(NEXT) | instid1(VALU_DEP_4)
	v_pk_fma_f32 v[74:75], v[154:155], v[150:151], v[78:79] op_sel_hi:[1,0,1]
	v_pk_add_f32 v[70:71], v[70:71], v[76:77]
	v_pk_fma_f32 v[76:77], v[154:155], v[150:151], v[78:79] neg_lo:[0,0,1] neg_hi:[0,0,1]
	s_delay_alu instid0(VALU_DEP_3) | instskip(NEXT) | instid1(VALU_DEP_3)
	v_mov_b32_e32 v77, v75
	v_pk_add_f32 v[70:71], v[70:71], v[72:73]
	s_delay_alu instid0(VALU_DEP_1) | instskip(SKIP_1) | instid1(VALU_DEP_1)
	v_pk_add_f32 v[70:71], v[70:71], v[76:77]
	s_wait_loadcnt 0x0
	v_pk_add_f32 v[70:71], v[152:153], v[70:71] neg_lo:[0,1] neg_hi:[0,1]
	scratch_store_b64 off, v[70:71], off offset:96
	s_wait_xcnt 0x0
	v_cmpx_lt_u32_e32 11, v0
	s_cbranch_execz .LBB97_195
; %bb.194:
	scratch_load_b64 v[70:71], off, off offset:88
	v_mov_b64_e32 v[72:73], 0
	scratch_store_b64 off, v[72:73], off offset:88
	s_wait_loadcnt 0x0
	ds_store_b64 v1, v[70:71]
.LBB97_195:
	s_wait_xcnt 0x0
	s_or_b32 exec_lo, exec_lo, s0
	s_wait_storecnt_dscnt 0x0
	s_barrier_signal -1
	s_barrier_wait -1
	s_clause 0xb
	scratch_load_b128 v[70:73], off, off offset:96
	scratch_load_b128 v[74:77], off, off offset:112
	;; [unrolled: 1-line block ×11, first 2 shown]
	scratch_load_b64 v[158:159], off, off offset:88
	ds_load_b128 v[114:117], v7 offset:480
	ds_load_b128 v[118:121], v7 offset:496
	;; [unrolled: 1-line block ×11, first 2 shown]
	s_mov_b32 s0, exec_lo
	s_wait_dscnt 0xa
	v_dual_mov_b32 v160, v117 :: v_dual_mov_b32 v161, v116
	s_wait_dscnt 0x9
	v_dual_mov_b32 v162, v121 :: v_dual_mov_b32 v163, v120
	;; [unrolled: 2-line block ×4, first 2 shown]
	s_wait_loadcnt_dscnt 0xb06
	v_dual_mul_f32 v7, v130, v71 :: v_dual_mul_f32 v9, v132, v73
	v_dual_mul_f32 v31, v131, v71 :: v_dual_mul_f32 v33, v133, v73
	s_wait_loadcnt_dscnt 0xa05
	v_dual_mul_f32 v11, v134, v75 :: v_dual_mul_f32 v13, v136, v77
	s_delay_alu instid0(VALU_DEP_3) | instskip(SKIP_3) | instid1(VALU_DEP_3)
	v_dual_fmac_f32 v7, v131, v70 :: v_dual_fmac_f32 v9, v133, v72
	s_wait_loadcnt_dscnt 0x803
	v_dual_fma_f32 v31, v130, v70, -v31 :: v_dual_mul_f32 v43, v143, v83
	v_dual_mul_f32 v35, v135, v75 :: v_dual_mul_f32 v37, v137, v77
	v_dual_fma_f32 v33, v132, v72, -v33 :: v_dual_add_f32 v7, 0, v7
	s_delay_alu instid0(VALU_DEP_3) | instskip(SKIP_1) | instid1(VALU_DEP_3)
	v_dual_add_f32 v31, 0, v31 :: v_dual_mul_f32 v45, v145, v85
	v_dual_fmac_f32 v11, v135, v74 :: v_dual_fmac_f32 v13, v137, v76
	v_dual_fma_f32 v35, v134, v74, -v35 :: v_dual_add_f32 v7, v7, v9
	s_delay_alu instid0(VALU_DEP_3) | instskip(SKIP_2) | instid1(VALU_DEP_4)
	v_dual_add_f32 v9, v31, v33 :: v_dual_fma_f32 v33, v136, v76, -v37
	v_dual_mul_f32 v15, v138, v79 :: v_dual_mul_f32 v17, v140, v81
	v_dual_mul_f32 v39, v139, v79 :: v_dual_mul_f32 v41, v141, v81
	v_add_f32_e32 v7, v7, v11
	s_delay_alu instid0(VALU_DEP_3) | instskip(NEXT) | instid1(VALU_DEP_3)
	v_dual_add_f32 v9, v9, v35 :: v_dual_fmac_f32 v15, v139, v78
	v_fma_f32 v35, v138, v78, -v39
	v_dual_mul_f32 v19, v142, v83 :: v_dual_mul_f32 v21, v144, v85
	s_delay_alu instid0(VALU_DEP_4) | instskip(SKIP_2) | instid1(VALU_DEP_2)
	v_dual_add_f32 v7, v7, v13 :: v_dual_fmac_f32 v17, v141, v80
	s_wait_loadcnt_dscnt 0x601
	v_dual_add_f32 v9, v9, v33 :: v_dual_mul_f32 v13, v151, v91
	v_dual_fma_f32 v33, v140, v80, -v41 :: v_dual_add_f32 v7, v7, v15
	v_mul_f32_e32 v15, v153, v93
	s_delay_alu instid0(VALU_DEP_3) | instskip(NEXT) | instid1(VALU_DEP_3)
	v_dual_add_f32 v9, v9, v35 :: v_dual_fmac_f32 v19, v143, v82
	v_dual_fma_f32 v35, v142, v82, -v43 :: v_dual_add_f32 v7, v7, v17
	v_fmac_f32_e32 v21, v145, v84
	s_wait_loadcnt_dscnt 0x500
	s_delay_alu instid0(VALU_DEP_3) | instskip(SKIP_3) | instid1(VALU_DEP_3)
	v_dual_add_f32 v9, v9, v33 :: v_dual_mul_f32 v17, v155, v95
	v_dual_mul_f32 v23, v146, v87 :: v_dual_mul_f32 v25, v148, v89
	v_dual_mul_f32 v31, v147, v87 :: v_dual_mul_f32 v11, v149, v89
	v_dual_fma_f32 v33, v144, v84, -v45 :: v_dual_add_f32 v7, v7, v19
	v_dual_add_f32 v9, v9, v35 :: v_dual_fmac_f32 v23, v147, v86
	s_delay_alu instid0(VALU_DEP_3) | instskip(NEXT) | instid1(VALU_DEP_3)
	v_dual_mul_f32 v19, v157, v97 :: v_dual_fma_f32 v31, v146, v86, -v31
	v_dual_add_f32 v7, v7, v21 :: v_dual_fmac_f32 v25, v149, v88
	s_delay_alu instid0(VALU_DEP_3) | instskip(SKIP_2) | instid1(VALU_DEP_3)
	v_dual_add_f32 v9, v9, v33 :: v_dual_fma_f32 v11, v148, v88, -v11
	v_dual_mul_f32 v27, v150, v91 :: v_dual_mul_f32 v29, v152, v93
	s_wait_loadcnt 0x4
	v_dual_add_f32 v7, v7, v23 :: v_dual_mov_b32 v72, v101
	s_delay_alu instid0(VALU_DEP_2) | instskip(NEXT) | instid1(VALU_DEP_2)
	v_dual_add_f32 v9, v9, v31 :: v_dual_fmac_f32 v27, v151, v90
	v_dual_fma_f32 v13, v150, v90, -v13 :: v_dual_add_f32 v7, v7, v25
	v_dual_mul_f32 v169, v154, v95 :: v_dual_mul_f32 v171, v156, v97
	s_delay_alu instid0(VALU_DEP_3) | instskip(NEXT) | instid1(VALU_DEP_3)
	v_dual_add_f32 v9, v9, v11 :: v_dual_fma_f32 v11, v152, v92, -v15
	v_dual_fmac_f32 v29, v153, v92 :: v_dual_add_f32 v7, v7, v27
	v_pk_mul_f32 v[70:71], v[114:115], v[98:99] op_sel:[1,1] op_sel_hi:[0,1]
	s_delay_alu instid0(VALU_DEP_3) | instskip(SKIP_2) | instid1(VALU_DEP_2)
	v_dual_add_f32 v9, v9, v13 :: v_dual_fmac_f32 v169, v155, v94
	s_wait_loadcnt 0x3
	v_dual_mov_b32 v76, v105 :: v_dual_fma_f32 v168, v154, v94, -v17
	v_dual_add_f32 v79, v7, v29 :: v_dual_add_f32 v78, v9, v11
	v_fmac_f32_e32 v171, v157, v96
	v_pk_fma_f32 v[80:81], v[114:115], v[98:99], v[70:71] op_sel_hi:[1,0,1]
	v_fma_f32 v170, v156, v96, -v19
	v_pk_mul_f32 v[72:73], v[160:161], v[72:73] op_sel_hi:[1,0]
	v_pk_add_f32 v[78:79], v[78:79], v[168:169]
	v_pk_fma_f32 v[70:71], v[114:115], v[98:99], v[70:71] neg_lo:[0,0,1] neg_hi:[0,0,1]
	v_pk_mul_f32 v[74:75], v[118:119], v[102:103] op_sel:[1,1] op_sel_hi:[0,1]
	v_mov_b32_e32 v71, v81
	v_pk_fma_f32 v[80:81], v[116:117], v[100:101], v[72:73] op_sel_hi:[1,0,1]
	v_pk_add_f32 v[78:79], v[78:79], v[170:171]
	v_pk_fma_f32 v[72:73], v[116:117], v[100:101], v[72:73] neg_lo:[0,0,1] neg_hi:[0,0,1]
	v_pk_fma_f32 v[84:85], v[118:119], v[102:103], v[74:75] op_sel_hi:[1,0,1]
	v_pk_mul_f32 v[76:77], v[162:163], v[76:77] op_sel_hi:[1,0]
	v_mov_b32_e32 v73, v81
	v_pk_add_f32 v[70:71], v[78:79], v[70:71]
	s_wait_loadcnt 0x2
	v_pk_mul_f32 v[82:83], v[122:123], v[106:107] op_sel:[1,1] op_sel_hi:[0,1]
	v_mov_b32_e32 v78, v109
	v_pk_fma_f32 v[74:75], v[118:119], v[102:103], v[74:75] neg_lo:[0,0,1] neg_hi:[0,0,1]
	v_pk_fma_f32 v[80:81], v[120:121], v[104:105], v[76:77] op_sel_hi:[1,0,1]
	v_mov_b32_e32 v75, v85
	v_pk_add_f32 v[70:71], v[70:71], v[72:73]
	v_pk_fma_f32 v[72:73], v[122:123], v[106:107], v[82:83] op_sel_hi:[1,0,1]
	v_pk_mul_f32 v[78:79], v[164:165], v[78:79] op_sel_hi:[1,0]
	v_pk_fma_f32 v[76:77], v[120:121], v[104:105], v[76:77] neg_lo:[0,0,1] neg_hi:[0,0,1]
	v_mov_b32_e32 v77, v81
	v_pk_add_f32 v[70:71], v[70:71], v[74:75]
	v_pk_fma_f32 v[80:81], v[122:123], v[106:107], v[82:83] neg_lo:[0,0,1] neg_hi:[0,0,1]
	v_mov_b32_e32 v81, v73
	v_pk_fma_f32 v[72:73], v[124:125], v[108:109], v[78:79] op_sel_hi:[1,0,1]
	s_wait_loadcnt 0x1
	v_pk_mul_f32 v[74:75], v[126:127], v[110:111] op_sel:[1,1] op_sel_hi:[0,1]
	v_pk_add_f32 v[70:71], v[70:71], v[76:77]
	v_mov_b32_e32 v72, v113
	v_pk_fma_f32 v[78:79], v[124:125], v[108:109], v[78:79] neg_lo:[0,0,1] neg_hi:[0,0,1]
	s_delay_alu instid0(VALU_DEP_4)
	v_pk_fma_f32 v[76:77], v[126:127], v[110:111], v[74:75] op_sel_hi:[1,0,1]
	v_mov_b32_e32 v79, v73
	v_pk_add_f32 v[70:71], v[70:71], v[80:81]
	v_pk_mul_f32 v[72:73], v[166:167], v[72:73] op_sel_hi:[1,0]
	v_pk_fma_f32 v[74:75], v[126:127], v[110:111], v[74:75] neg_lo:[0,0,1] neg_hi:[0,0,1]
	v_mov_b32_e32 v75, v77
	s_delay_alu instid0(VALU_DEP_4) | instskip(NEXT) | instid1(VALU_DEP_4)
	v_pk_add_f32 v[70:71], v[70:71], v[78:79]
	v_pk_fma_f32 v[76:77], v[128:129], v[112:113], v[72:73] op_sel_hi:[1,0,1]
	v_pk_fma_f32 v[72:73], v[128:129], v[112:113], v[72:73] neg_lo:[0,0,1] neg_hi:[0,0,1]
	s_delay_alu instid0(VALU_DEP_3) | instskip(NEXT) | instid1(VALU_DEP_3)
	v_pk_add_f32 v[70:71], v[70:71], v[74:75]
	v_mov_b32_e32 v73, v77
	s_delay_alu instid0(VALU_DEP_1) | instskip(SKIP_1) | instid1(VALU_DEP_1)
	v_pk_add_f32 v[70:71], v[70:71], v[72:73]
	s_wait_loadcnt 0x0
	v_pk_add_f32 v[70:71], v[158:159], v[70:71] neg_lo:[0,1] neg_hi:[0,1]
	scratch_store_b64 off, v[70:71], off offset:88
	s_wait_xcnt 0x0
	v_cmpx_lt_u32_e32 10, v0
	s_cbranch_execz .LBB97_197
; %bb.196:
	scratch_load_b64 v[70:71], off, off offset:80
	v_mov_b64_e32 v[72:73], 0
	scratch_store_b64 off, v[72:73], off offset:80
	s_wait_loadcnt 0x0
	ds_store_b64 v1, v[70:71]
.LBB97_197:
	s_wait_xcnt 0x0
	s_or_b32 exec_lo, exec_lo, s0
	s_wait_storecnt_dscnt 0x0
	s_barrier_signal -1
	s_barrier_wait -1
	s_clause 0xc
	scratch_load_b128 v[70:73], off, off offset:88
	scratch_load_b128 v[74:77], off, off offset:104
	;; [unrolled: 1-line block ×11, first 2 shown]
	scratch_load_b64 v[158:159], off, off offset:264
	scratch_load_b64 v[160:161], off, off offset:80
	v_mov_b32_e32 v7, 0
	ds_load_2addr_b64 v[114:117], v7 offset0:59 offset1:60
	ds_load_2addr_b64 v[118:121], v7 offset0:61 offset1:62
	;; [unrolled: 1-line block ×11, first 2 shown]
	ds_load_b64 v[162:163], v7 offset:536
	s_mov_b32 s0, exec_lo
	s_wait_dscnt 0xb
	v_dual_mov_b32 v164, v117 :: v_dual_mov_b32 v165, v116
	s_wait_dscnt 0x8
	v_dual_mov_b32 v166, v121 :: v_dual_mov_b32 v171, v128
	v_dual_mov_b32 v167, v120 :: v_dual_mov_b32 v168, v125
	;; [unrolled: 1-line block ×3, first 2 shown]
	s_wait_loadcnt_dscnt 0xc07
	v_dual_mul_f32 v9, v130, v71 :: v_dual_mul_f32 v35, v131, v71
	v_dual_mul_f32 v37, v133, v73 :: v_dual_mul_f32 v11, v132, v73
	s_wait_loadcnt_dscnt 0xb06
	v_mul_f32_e32 v13, v134, v75
	s_wait_loadcnt_dscnt 0x904
	v_dual_mul_f32 v47, v143, v83 :: v_dual_fma_f32 v35, v130, v70, -v35
	v_dual_fmac_f32 v9, v131, v70 :: v_dual_mul_f32 v49, v145, v85
	v_dual_mul_f32 v39, v135, v75 :: v_dual_mul_f32 v41, v137, v77
	v_dual_fmac_f32 v11, v133, v72 :: v_dual_fma_f32 v37, v132, v72, -v37
	s_delay_alu instid0(VALU_DEP_3) | instskip(SKIP_3) | instid1(VALU_DEP_3)
	v_dual_add_f32 v9, 0, v9 :: v_dual_add_f32 v35, 0, v35
	v_dual_mul_f32 v15, v136, v77 :: v_dual_mul_f32 v17, v138, v79
	s_wait_loadcnt_dscnt 0x803
	v_dual_mul_f32 v51, v147, v87 :: v_dual_fma_f32 v39, v134, v74, -v39
	v_dual_fmac_f32 v13, v135, v74 :: v_dual_add_f32 v9, v9, v11
	s_delay_alu instid0(VALU_DEP_3) | instskip(SKIP_2) | instid1(VALU_DEP_3)
	v_dual_add_f32 v11, v35, v37 :: v_dual_fmac_f32 v15, v137, v76
	v_dual_mul_f32 v43, v139, v79 :: v_dual_mul_f32 v45, v141, v81
	v_dual_mul_f32 v35, v149, v89 :: v_dual_fma_f32 v37, v136, v76, -v41
	v_dual_add_f32 v9, v9, v13 :: v_dual_add_f32 v11, v11, v39
	v_dual_mul_f32 v19, v140, v81 :: v_dual_mul_f32 v21, v142, v83
	s_wait_loadcnt_dscnt 0x701
	v_dual_mul_f32 v13, v155, v91 :: v_dual_fma_f32 v39, v138, v78, -v43
	s_delay_alu instid0(VALU_DEP_3) | instskip(NEXT) | instid1(VALU_DEP_3)
	v_dual_fmac_f32 v17, v139, v78 :: v_dual_add_f32 v9, v9, v15
	v_dual_add_f32 v11, v11, v37 :: v_dual_fmac_f32 v19, v141, v80
	v_dual_mul_f32 v15, v157, v93 :: v_dual_fma_f32 v37, v140, v80, -v45
	s_delay_alu instid0(VALU_DEP_2) | instskip(SKIP_3) | instid1(VALU_DEP_3)
	v_dual_add_f32 v9, v9, v17 :: v_dual_add_f32 v11, v11, v39
	v_dual_mul_f32 v23, v144, v85 :: v_dual_mul_f32 v25, v146, v87
	s_wait_loadcnt 0x6
	v_dual_mul_f32 v17, v151, v95 :: v_dual_fma_f32 v39, v142, v82, -v47
	v_dual_fmac_f32 v21, v143, v82 :: v_dual_add_f32 v9, v9, v19
	s_delay_alu instid0(VALU_DEP_3) | instskip(SKIP_1) | instid1(VALU_DEP_2)
	v_dual_add_f32 v11, v11, v37 :: v_dual_fmac_f32 v23, v145, v84
	v_dual_mul_f32 v19, v153, v97 :: v_dual_fma_f32 v37, v144, v84, -v49
	v_dual_add_f32 v9, v9, v21 :: v_dual_add_f32 v11, v11, v39
	v_dual_mul_f32 v27, v148, v89 :: v_dual_mul_f32 v29, v154, v91
	s_wait_loadcnt 0x5
	v_dual_mul_f32 v21, v115, v99 :: v_dual_fma_f32 v39, v146, v86, -v51
	s_delay_alu instid0(VALU_DEP_3) | instskip(SKIP_2) | instid1(VALU_DEP_3)
	v_dual_fmac_f32 v25, v147, v86 :: v_dual_add_f32 v9, v9, v23
	v_dual_add_f32 v11, v11, v37 :: v_dual_mov_b32 v70, v101
	v_fmac_f32_e32 v27, v149, v88
	v_dual_fma_f32 v23, v148, v88, -v35 :: v_dual_add_f32 v9, v9, v25
	s_delay_alu instid0(VALU_DEP_3) | instskip(SKIP_1) | instid1(VALU_DEP_3)
	v_dual_add_f32 v11, v11, v39 :: v_dual_mul_f32 v31, v156, v93
	v_dual_mul_f32 v33, v150, v95 :: v_dual_fmac_f32 v29, v155, v90
	v_dual_add_f32 v9, v9, v27 :: v_dual_fma_f32 v13, v154, v90, -v13
	s_wait_loadcnt 0x4
	s_delay_alu instid0(VALU_DEP_3) | instskip(SKIP_3) | instid1(VALU_DEP_4)
	v_dual_add_f32 v11, v11, v23 :: v_dual_mov_b32 v74, v105
	v_fma_f32 v15, v156, v92, -v15
	v_fmac_f32_e32 v31, v157, v92
	v_dual_add_f32 v9, v9, v29 :: v_dual_fmac_f32 v33, v151, v94
	v_add_f32_e32 v11, v11, v13
	v_dual_mul_f32 v173, v152, v97 :: v_dual_mul_f32 v175, v114, v99
	s_delay_alu instid0(VALU_DEP_3) | instskip(NEXT) | instid1(VALU_DEP_2)
	v_dual_fma_f32 v13, v150, v94, -v17 :: v_dual_add_f32 v9, v9, v31
	v_dual_add_f32 v11, v11, v15 :: v_dual_fmac_f32 v173, v153, v96
	v_fma_f32 v172, v152, v96, -v19
	v_pk_mul_f32 v[70:71], v[164:165], v[70:71] op_sel_hi:[1,0]
	s_delay_alu instid0(VALU_DEP_4)
	v_add_f32_e32 v79, v9, v33
	s_wait_loadcnt 0x3
	v_dual_add_f32 v78, v11, v13 :: v_dual_mov_b32 v80, v109
	v_pk_mul_f32 v[72:73], v[118:119], v[102:103] op_sel:[1,1] op_sel_hi:[0,1]
	v_dual_fmac_f32 v175, v115, v98 :: v_dual_fma_f32 v174, v114, v98, -v21
	v_pk_fma_f32 v[82:83], v[116:117], v[100:101], v[70:71] op_sel_hi:[1,0,1]
	s_delay_alu instid0(VALU_DEP_4)
	v_pk_add_f32 v[78:79], v[78:79], v[172:173]
	v_pk_fma_f32 v[70:71], v[116:117], v[100:101], v[70:71] neg_lo:[0,0,1] neg_hi:[0,0,1]
	v_pk_fma_f32 v[84:85], v[118:119], v[102:103], v[72:73] op_sel_hi:[1,0,1]
	v_pk_mul_f32 v[74:75], v[166:167], v[74:75] op_sel_hi:[1,0]
	v_mov_b32_e32 v71, v83
	v_pk_add_f32 v[78:79], v[78:79], v[174:175]
	v_pk_fma_f32 v[72:73], v[118:119], v[102:103], v[72:73] neg_lo:[0,0,1] neg_hi:[0,0,1]
	v_pk_mul_f32 v[76:77], v[122:123], v[106:107] op_sel:[1,1] op_sel_hi:[0,1]
	v_mov_b32_e32 v73, v85
	v_pk_fma_f32 v[84:85], v[120:121], v[104:105], v[74:75] op_sel_hi:[1,0,1]
	v_pk_add_f32 v[70:71], v[78:79], v[70:71]
	v_pk_fma_f32 v[74:75], v[120:121], v[104:105], v[74:75] neg_lo:[0,0,1] neg_hi:[0,0,1]
	v_pk_fma_f32 v[78:79], v[122:123], v[106:107], v[76:77] op_sel_hi:[1,0,1]
	v_pk_mul_f32 v[80:81], v[168:169], v[80:81] op_sel_hi:[1,0]
	v_mov_b32_e32 v75, v85
	v_pk_add_f32 v[70:71], v[70:71], v[72:73]
	v_pk_fma_f32 v[76:77], v[122:123], v[106:107], v[76:77] neg_lo:[0,0,1] neg_hi:[0,0,1]
	s_wait_loadcnt 0x2
	v_pk_mul_f32 v[82:83], v[126:127], v[110:111] op_sel:[1,1] op_sel_hi:[0,1]
	v_dual_mov_b32 v72, v113 :: v_dual_mov_b32 v77, v79
	v_pk_fma_f32 v[78:79], v[124:125], v[108:109], v[80:81] op_sel_hi:[1,0,1]
	v_pk_add_f32 v[70:71], v[70:71], v[74:75]
	v_pk_fma_f32 v[80:81], v[124:125], v[108:109], v[80:81] neg_lo:[0,0,1] neg_hi:[0,0,1]
	v_pk_fma_f32 v[74:75], v[126:127], v[110:111], v[82:83] op_sel_hi:[1,0,1]
	v_pk_mul_f32 v[72:73], v[170:171], v[72:73] op_sel_hi:[1,0]
	v_mov_b32_e32 v81, v79
	v_pk_add_f32 v[70:71], v[70:71], v[76:77]
	v_pk_fma_f32 v[76:77], v[126:127], v[110:111], v[82:83] neg_lo:[0,0,1] neg_hi:[0,0,1]
	v_mov_b32_e32 v77, v75
	v_pk_fma_f32 v[74:75], v[128:129], v[112:113], v[72:73] op_sel_hi:[1,0,1]
	s_wait_loadcnt_dscnt 0x100
	v_pk_mul_f32 v[78:79], v[162:163], v[158:159] op_sel:[1,1] op_sel_hi:[0,1]
	v_pk_add_f32 v[70:71], v[70:71], v[80:81]
	v_pk_fma_f32 v[72:73], v[128:129], v[112:113], v[72:73] neg_lo:[0,0,1] neg_hi:[0,0,1]
	v_mov_b32_e32 v73, v75
	s_delay_alu instid0(VALU_DEP_4) | instskip(NEXT) | instid1(VALU_DEP_4)
	v_pk_fma_f32 v[74:75], v[162:163], v[158:159], v[78:79] op_sel_hi:[1,0,1]
	v_pk_add_f32 v[70:71], v[70:71], v[76:77]
	v_pk_fma_f32 v[76:77], v[162:163], v[158:159], v[78:79] neg_lo:[0,0,1] neg_hi:[0,0,1]
	s_delay_alu instid0(VALU_DEP_3) | instskip(NEXT) | instid1(VALU_DEP_3)
	v_mov_b32_e32 v77, v75
	v_pk_add_f32 v[70:71], v[70:71], v[72:73]
	s_delay_alu instid0(VALU_DEP_1) | instskip(SKIP_1) | instid1(VALU_DEP_1)
	v_pk_add_f32 v[70:71], v[70:71], v[76:77]
	s_wait_loadcnt 0x0
	v_pk_add_f32 v[70:71], v[160:161], v[70:71] neg_lo:[0,1] neg_hi:[0,1]
	scratch_store_b64 off, v[70:71], off offset:80
	s_wait_xcnt 0x0
	v_cmpx_lt_u32_e32 9, v0
	s_cbranch_execz .LBB97_199
; %bb.198:
	scratch_load_b64 v[70:71], off, off offset:72
	v_mov_b64_e32 v[72:73], 0
	scratch_store_b64 off, v[72:73], off offset:72
	s_wait_loadcnt 0x0
	ds_store_b64 v1, v[70:71]
.LBB97_199:
	s_wait_xcnt 0x0
	s_or_b32 exec_lo, exec_lo, s0
	s_wait_storecnt_dscnt 0x0
	s_barrier_signal -1
	s_barrier_wait -1
	s_clause 0xc
	scratch_load_b128 v[70:73], off, off offset:80
	scratch_load_b128 v[74:77], off, off offset:96
	;; [unrolled: 1-line block ×12, first 2 shown]
	scratch_load_b64 v[166:167], off, off offset:72
	ds_load_b128 v[118:121], v7 offset:480
	ds_load_b128 v[122:125], v7 offset:496
	;; [unrolled: 1-line block ×12, first 2 shown]
	s_mov_b32 s0, exec_lo
	s_wait_dscnt 0xb
	v_dual_mov_b32 v168, v121 :: v_dual_mov_b32 v169, v120
	s_wait_dscnt 0xa
	v_dual_mov_b32 v170, v125 :: v_dual_mov_b32 v171, v124
	;; [unrolled: 2-line block ×4, first 2 shown]
	s_wait_loadcnt_dscnt 0xc07
	v_dual_mul_f32 v7, v134, v71 :: v_dual_mul_f32 v9, v136, v73
	v_dual_mul_f32 v35, v135, v71 :: v_dual_mul_f32 v37, v137, v73
	s_wait_loadcnt_dscnt 0xb06
	v_dual_mul_f32 v11, v138, v75 :: v_dual_mul_f32 v13, v140, v77
	s_delay_alu instid0(VALU_DEP_3) | instskip(SKIP_3) | instid1(VALU_DEP_3)
	v_dual_fmac_f32 v7, v135, v70 :: v_dual_fmac_f32 v9, v137, v72
	s_wait_loadcnt_dscnt 0x904
	v_dual_fma_f32 v35, v134, v70, -v35 :: v_dual_mul_f32 v47, v147, v83
	v_dual_mul_f32 v39, v139, v75 :: v_dual_mul_f32 v41, v141, v77
	v_dual_fma_f32 v37, v136, v72, -v37 :: v_dual_add_f32 v7, 0, v7
	s_delay_alu instid0(VALU_DEP_3) | instskip(SKIP_1) | instid1(VALU_DEP_3)
	v_dual_add_f32 v35, 0, v35 :: v_dual_mul_f32 v49, v149, v85
	v_dual_fmac_f32 v11, v139, v74 :: v_dual_fmac_f32 v13, v141, v76
	v_dual_fma_f32 v39, v138, v74, -v39 :: v_dual_add_f32 v7, v7, v9
	s_delay_alu instid0(VALU_DEP_3) | instskip(SKIP_2) | instid1(VALU_DEP_4)
	v_dual_add_f32 v9, v35, v37 :: v_dual_fma_f32 v37, v140, v76, -v41
	v_dual_mul_f32 v15, v142, v79 :: v_dual_mul_f32 v17, v144, v81
	v_dual_mul_f32 v43, v143, v79 :: v_dual_mul_f32 v45, v145, v81
	v_add_f32_e32 v7, v7, v11
	s_delay_alu instid0(VALU_DEP_3) | instskip(NEXT) | instid1(VALU_DEP_3)
	v_dual_add_f32 v9, v9, v39 :: v_dual_fmac_f32 v15, v143, v78
	v_fma_f32 v39, v142, v78, -v43
	v_dual_mul_f32 v19, v146, v83 :: v_dual_mul_f32 v21, v148, v85
	s_delay_alu instid0(VALU_DEP_4) | instskip(SKIP_2) | instid1(VALU_DEP_2)
	v_dual_add_f32 v7, v7, v13 :: v_dual_fmac_f32 v17, v145, v80
	s_wait_loadcnt_dscnt 0x702
	v_dual_add_f32 v9, v9, v37 :: v_dual_mul_f32 v13, v155, v91
	v_dual_fma_f32 v37, v144, v80, -v45 :: v_dual_add_f32 v7, v7, v15
	v_mul_f32_e32 v15, v157, v93
	s_delay_alu instid0(VALU_DEP_3) | instskip(NEXT) | instid1(VALU_DEP_3)
	v_dual_add_f32 v9, v9, v39 :: v_dual_fmac_f32 v19, v147, v82
	v_dual_fma_f32 v39, v146, v82, -v47 :: v_dual_add_f32 v7, v7, v17
	v_fmac_f32_e32 v21, v149, v84
	s_wait_loadcnt_dscnt 0x601
	s_delay_alu instid0(VALU_DEP_3) | instskip(SKIP_3) | instid1(VALU_DEP_3)
	v_dual_add_f32 v9, v9, v37 :: v_dual_mul_f32 v17, v159, v95
	v_dual_mul_f32 v23, v150, v87 :: v_dual_mul_f32 v25, v152, v89
	v_dual_mul_f32 v35, v151, v87 :: v_dual_mul_f32 v11, v153, v89
	v_dual_fma_f32 v37, v148, v84, -v49 :: v_dual_add_f32 v7, v7, v19
	v_dual_add_f32 v9, v9, v39 :: v_dual_fmac_f32 v23, v151, v86
	s_delay_alu instid0(VALU_DEP_3) | instskip(NEXT) | instid1(VALU_DEP_3)
	v_dual_mul_f32 v19, v161, v97 :: v_dual_fma_f32 v35, v150, v86, -v35
	v_dual_add_f32 v7, v7, v21 :: v_dual_fmac_f32 v25, v153, v88
	s_wait_loadcnt_dscnt 0x500
	s_delay_alu instid0(VALU_DEP_3) | instskip(SKIP_1) | instid1(VALU_DEP_3)
	v_dual_add_f32 v9, v9, v37 :: v_dual_mul_f32 v21, v163, v99
	v_dual_mul_f32 v27, v154, v91 :: v_dual_mul_f32 v29, v156, v93
	v_dual_fma_f32 v11, v152, v88, -v11 :: v_dual_add_f32 v7, v7, v23
	s_delay_alu instid0(VALU_DEP_2) | instskip(SKIP_1) | instid1(VALU_DEP_2)
	v_dual_add_f32 v9, v9, v35 :: v_dual_fmac_f32 v27, v155, v90
	v_dual_mul_f32 v23, v165, v101 :: v_dual_fma_f32 v13, v154, v90, -v13
	v_dual_add_f32 v7, v7, v25 :: v_dual_add_f32 v9, v9, v11
	v_dual_mul_f32 v31, v158, v95 :: v_dual_mul_f32 v33, v160, v97
	v_dual_fmac_f32 v29, v157, v92 :: v_dual_fma_f32 v11, v156, v92, -v15
	s_delay_alu instid0(VALU_DEP_3) | instskip(SKIP_1) | instid1(VALU_DEP_3)
	v_dual_add_f32 v7, v7, v27 :: v_dual_add_f32 v9, v9, v13
	s_wait_loadcnt 0x4
	v_dual_mov_b32 v72, v105 :: v_dual_fmac_f32 v31, v159, v94
	s_delay_alu instid0(VALU_DEP_2) | instskip(NEXT) | instid1(VALU_DEP_3)
	v_dual_fma_f32 v13, v158, v94, -v17 :: v_dual_add_f32 v7, v7, v29
	v_dual_add_f32 v9, v9, v11 :: v_dual_fma_f32 v11, v160, v96, -v19
	v_dual_mul_f32 v177, v162, v99 :: v_dual_mul_f32 v179, v164, v101
	s_delay_alu instid0(VALU_DEP_3) | instskip(NEXT) | instid1(VALU_DEP_2)
	v_dual_fmac_f32 v33, v161, v96 :: v_dual_add_f32 v7, v7, v31
	v_dual_add_f32 v9, v9, v13 :: v_dual_fmac_f32 v177, v163, v98
	v_pk_mul_f32 v[70:71], v[118:119], v[102:103] op_sel:[1,1] op_sel_hi:[0,1]
	s_wait_loadcnt 0x3
	v_dual_mov_b32 v76, v109 :: v_dual_fma_f32 v176, v162, v98, -v21
	s_delay_alu instid0(VALU_DEP_3)
	v_dual_add_f32 v79, v7, v33 :: v_dual_add_f32 v78, v9, v11
	v_fmac_f32_e32 v179, v165, v100
	v_pk_fma_f32 v[80:81], v[118:119], v[102:103], v[70:71] op_sel_hi:[1,0,1]
	v_fma_f32 v178, v164, v100, -v23
	v_pk_mul_f32 v[72:73], v[168:169], v[72:73] op_sel_hi:[1,0]
	v_pk_add_f32 v[78:79], v[78:79], v[176:177]
	v_pk_fma_f32 v[70:71], v[118:119], v[102:103], v[70:71] neg_lo:[0,0,1] neg_hi:[0,0,1]
	v_pk_mul_f32 v[74:75], v[122:123], v[106:107] op_sel:[1,1] op_sel_hi:[0,1]
	v_mov_b32_e32 v71, v81
	v_pk_fma_f32 v[80:81], v[120:121], v[104:105], v[72:73] op_sel_hi:[1,0,1]
	v_pk_add_f32 v[78:79], v[78:79], v[178:179]
	v_pk_fma_f32 v[72:73], v[120:121], v[104:105], v[72:73] neg_lo:[0,0,1] neg_hi:[0,0,1]
	v_pk_fma_f32 v[84:85], v[122:123], v[106:107], v[74:75] op_sel_hi:[1,0,1]
	v_pk_mul_f32 v[76:77], v[170:171], v[76:77] op_sel_hi:[1,0]
	v_mov_b32_e32 v73, v81
	v_pk_add_f32 v[70:71], v[78:79], v[70:71]
	s_wait_loadcnt 0x2
	v_pk_mul_f32 v[82:83], v[126:127], v[110:111] op_sel:[1,1] op_sel_hi:[0,1]
	v_mov_b32_e32 v78, v113
	v_pk_fma_f32 v[74:75], v[122:123], v[106:107], v[74:75] neg_lo:[0,0,1] neg_hi:[0,0,1]
	v_pk_fma_f32 v[80:81], v[124:125], v[108:109], v[76:77] op_sel_hi:[1,0,1]
	v_mov_b32_e32 v75, v85
	v_pk_add_f32 v[70:71], v[70:71], v[72:73]
	v_pk_fma_f32 v[72:73], v[126:127], v[110:111], v[82:83] op_sel_hi:[1,0,1]
	v_pk_mul_f32 v[78:79], v[172:173], v[78:79] op_sel_hi:[1,0]
	v_pk_fma_f32 v[76:77], v[124:125], v[108:109], v[76:77] neg_lo:[0,0,1] neg_hi:[0,0,1]
	v_mov_b32_e32 v77, v81
	v_pk_add_f32 v[70:71], v[70:71], v[74:75]
	v_pk_fma_f32 v[80:81], v[126:127], v[110:111], v[82:83] neg_lo:[0,0,1] neg_hi:[0,0,1]
	v_mov_b32_e32 v81, v73
	v_pk_fma_f32 v[72:73], v[128:129], v[112:113], v[78:79] op_sel_hi:[1,0,1]
	s_wait_loadcnt 0x1
	v_pk_mul_f32 v[74:75], v[130:131], v[114:115] op_sel:[1,1] op_sel_hi:[0,1]
	v_pk_add_f32 v[70:71], v[70:71], v[76:77]
	v_mov_b32_e32 v72, v117
	v_pk_fma_f32 v[78:79], v[128:129], v[112:113], v[78:79] neg_lo:[0,0,1] neg_hi:[0,0,1]
	s_delay_alu instid0(VALU_DEP_4)
	v_pk_fma_f32 v[76:77], v[130:131], v[114:115], v[74:75] op_sel_hi:[1,0,1]
	v_mov_b32_e32 v79, v73
	v_pk_add_f32 v[70:71], v[70:71], v[80:81]
	v_pk_mul_f32 v[72:73], v[174:175], v[72:73] op_sel_hi:[1,0]
	v_pk_fma_f32 v[74:75], v[130:131], v[114:115], v[74:75] neg_lo:[0,0,1] neg_hi:[0,0,1]
	v_mov_b32_e32 v75, v77
	s_delay_alu instid0(VALU_DEP_4) | instskip(NEXT) | instid1(VALU_DEP_4)
	v_pk_add_f32 v[70:71], v[70:71], v[78:79]
	v_pk_fma_f32 v[76:77], v[132:133], v[116:117], v[72:73] op_sel_hi:[1,0,1]
	v_pk_fma_f32 v[72:73], v[132:133], v[116:117], v[72:73] neg_lo:[0,0,1] neg_hi:[0,0,1]
	s_delay_alu instid0(VALU_DEP_3) | instskip(NEXT) | instid1(VALU_DEP_3)
	v_pk_add_f32 v[70:71], v[70:71], v[74:75]
	v_mov_b32_e32 v73, v77
	s_delay_alu instid0(VALU_DEP_1) | instskip(SKIP_1) | instid1(VALU_DEP_1)
	v_pk_add_f32 v[70:71], v[70:71], v[72:73]
	s_wait_loadcnt 0x0
	v_pk_add_f32 v[70:71], v[166:167], v[70:71] neg_lo:[0,1] neg_hi:[0,1]
	scratch_store_b64 off, v[70:71], off offset:72
	s_wait_xcnt 0x0
	v_cmpx_lt_u32_e32 8, v0
	s_cbranch_execz .LBB97_201
; %bb.200:
	scratch_load_b64 v[70:71], off, off offset:64
	v_mov_b64_e32 v[72:73], 0
	scratch_store_b64 off, v[72:73], off offset:64
	s_wait_loadcnt 0x0
	ds_store_b64 v1, v[70:71]
.LBB97_201:
	s_wait_xcnt 0x0
	s_or_b32 exec_lo, exec_lo, s0
	s_wait_storecnt_dscnt 0x0
	s_barrier_signal -1
	s_barrier_wait -1
	s_clause 0xd
	scratch_load_b128 v[70:73], off, off offset:72
	scratch_load_b128 v[74:77], off, off offset:88
	;; [unrolled: 1-line block ×12, first 2 shown]
	scratch_load_b64 v[166:167], off, off offset:264
	scratch_load_b64 v[168:169], off, off offset:64
	v_mov_b32_e32 v7, 0
	ds_load_2addr_b64 v[118:121], v7 offset0:59 offset1:60
	ds_load_2addr_b64 v[122:125], v7 offset0:61 offset1:62
	;; [unrolled: 1-line block ×12, first 2 shown]
	ds_load_b64 v[170:171], v7 offset:536
	s_mov_b32 s0, exec_lo
	s_wait_dscnt 0xc
	v_dual_mov_b32 v172, v121 :: v_dual_mov_b32 v173, v120
	s_wait_dscnt 0x9
	v_dual_mov_b32 v174, v125 :: v_dual_mov_b32 v179, v132
	v_dual_mov_b32 v175, v124 :: v_dual_mov_b32 v176, v129
	;; [unrolled: 1-line block ×3, first 2 shown]
	s_wait_loadcnt_dscnt 0xd08
	v_dual_mul_f32 v9, v134, v71 :: v_dual_mul_f32 v39, v135, v71
	v_dual_mul_f32 v41, v137, v73 :: v_dual_mul_f32 v11, v136, v73
	s_wait_loadcnt_dscnt 0xc07
	v_mul_f32_e32 v13, v138, v75
	s_wait_loadcnt_dscnt 0xa05
	v_dual_mul_f32 v51, v147, v83 :: v_dual_fma_f32 v39, v134, v70, -v39
	v_dual_fmac_f32 v9, v135, v70 :: v_dual_mul_f32 v53, v149, v85
	v_dual_mul_f32 v43, v139, v75 :: v_dual_mul_f32 v45, v141, v77
	v_dual_fmac_f32 v11, v137, v72 :: v_dual_fma_f32 v41, v136, v72, -v41
	s_delay_alu instid0(VALU_DEP_3) | instskip(SKIP_3) | instid1(VALU_DEP_3)
	v_dual_add_f32 v9, 0, v9 :: v_dual_add_f32 v39, 0, v39
	v_dual_mul_f32 v15, v140, v77 :: v_dual_mul_f32 v17, v142, v79
	s_wait_loadcnt_dscnt 0x904
	v_dual_mul_f32 v55, v151, v87 :: v_dual_fma_f32 v43, v138, v74, -v43
	v_dual_fmac_f32 v13, v139, v74 :: v_dual_add_f32 v9, v9, v11
	s_delay_alu instid0(VALU_DEP_3) | instskip(SKIP_2) | instid1(VALU_DEP_3)
	v_dual_add_f32 v11, v39, v41 :: v_dual_fmac_f32 v15, v141, v76
	v_dual_mul_f32 v47, v143, v79 :: v_dual_mul_f32 v49, v145, v81
	v_dual_mul_f32 v39, v153, v89 :: v_dual_fma_f32 v41, v140, v76, -v45
	v_dual_add_f32 v9, v9, v13 :: v_dual_add_f32 v11, v11, v43
	v_dual_mul_f32 v19, v144, v81 :: v_dual_mul_f32 v21, v146, v83
	s_wait_loadcnt_dscnt 0x803
	v_dual_mul_f32 v13, v155, v91 :: v_dual_fma_f32 v43, v142, v78, -v47
	s_delay_alu instid0(VALU_DEP_3) | instskip(NEXT) | instid1(VALU_DEP_3)
	v_dual_fmac_f32 v17, v143, v78 :: v_dual_add_f32 v9, v9, v15
	v_dual_add_f32 v11, v11, v41 :: v_dual_fmac_f32 v19, v145, v80
	v_dual_mul_f32 v15, v157, v93 :: v_dual_fma_f32 v41, v144, v80, -v49
	s_delay_alu instid0(VALU_DEP_2) | instskip(SKIP_3) | instid1(VALU_DEP_3)
	v_dual_add_f32 v9, v9, v17 :: v_dual_add_f32 v11, v11, v43
	v_dual_mul_f32 v23, v148, v85 :: v_dual_mul_f32 v25, v150, v87
	s_wait_loadcnt_dscnt 0x702
	v_dual_mul_f32 v17, v159, v95 :: v_dual_fma_f32 v43, v146, v82, -v51
	v_dual_fmac_f32 v21, v147, v82 :: v_dual_add_f32 v9, v9, v19
	s_delay_alu instid0(VALU_DEP_3) | instskip(SKIP_1) | instid1(VALU_DEP_2)
	v_dual_add_f32 v11, v11, v41 :: v_dual_fmac_f32 v23, v149, v84
	v_dual_mul_f32 v19, v161, v97 :: v_dual_fma_f32 v41, v148, v84, -v53
	v_dual_add_f32 v9, v9, v21 :: v_dual_add_f32 v11, v11, v43
	v_dual_mul_f32 v27, v152, v89 :: v_dual_mul_f32 v29, v154, v91
	s_wait_loadcnt_dscnt 0x601
	v_dual_mul_f32 v21, v163, v99 :: v_dual_fma_f32 v43, v150, v86, -v55
	s_delay_alu instid0(VALU_DEP_3) | instskip(NEXT) | instid1(VALU_DEP_3)
	v_dual_fmac_f32 v25, v151, v86 :: v_dual_add_f32 v9, v9, v23
	v_dual_add_f32 v11, v11, v41 :: v_dual_fmac_f32 v27, v153, v88
	v_dual_mul_f32 v23, v165, v101 :: v_dual_fma_f32 v39, v152, v88, -v39
	s_delay_alu instid0(VALU_DEP_2) | instskip(SKIP_3) | instid1(VALU_DEP_3)
	v_dual_add_f32 v9, v9, v25 :: v_dual_add_f32 v11, v11, v43
	v_dual_mul_f32 v31, v156, v93 :: v_dual_mul_f32 v33, v158, v95
	s_wait_loadcnt 0x5
	v_dual_mul_f32 v25, v119, v103 :: v_dual_fma_f32 v13, v154, v90, -v13
	v_dual_fmac_f32 v29, v155, v90 :: v_dual_add_f32 v9, v9, v27
	v_dual_add_f32 v11, v11, v39 :: v_dual_mov_b32 v70, v105
	v_fmac_f32_e32 v31, v157, v92
	s_delay_alu instid0(VALU_DEP_3) | instskip(NEXT) | instid1(VALU_DEP_3)
	v_dual_fma_f32 v15, v156, v92, -v15 :: v_dual_add_f32 v9, v9, v29
	v_add_f32_e32 v11, v11, v13
	v_dual_mul_f32 v35, v160, v97 :: v_dual_mul_f32 v37, v162, v99
	s_delay_alu instid0(VALU_DEP_3) | instskip(NEXT) | instid1(VALU_DEP_3)
	v_dual_fmac_f32 v33, v159, v94 :: v_dual_add_f32 v9, v9, v31
	v_dual_fma_f32 v13, v158, v94, -v17 :: v_dual_add_f32 v11, v11, v15
	s_wait_loadcnt 0x4
	v_dual_mov_b32 v74, v109 :: v_dual_fma_f32 v15, v160, v96, -v19
	v_fmac_f32_e32 v35, v161, v96
	v_dual_add_f32 v9, v9, v33 :: v_dual_fmac_f32 v37, v163, v98
	v_add_f32_e32 v11, v11, v13
	v_dual_mul_f32 v181, v164, v101 :: v_dual_mul_f32 v183, v118, v103
	s_delay_alu instid0(VALU_DEP_3) | instskip(NEXT) | instid1(VALU_DEP_2)
	v_dual_fma_f32 v13, v162, v98, -v21 :: v_dual_add_f32 v9, v9, v35
	v_dual_add_f32 v11, v11, v15 :: v_dual_fmac_f32 v181, v165, v100
	v_fma_f32 v180, v164, v100, -v23
	v_pk_mul_f32 v[70:71], v[172:173], v[70:71] op_sel_hi:[1,0]
	s_delay_alu instid0(VALU_DEP_4)
	v_add_f32_e32 v79, v9, v37
	s_wait_loadcnt 0x3
	v_dual_add_f32 v78, v11, v13 :: v_dual_mov_b32 v80, v113
	v_pk_mul_f32 v[72:73], v[122:123], v[106:107] op_sel:[1,1] op_sel_hi:[0,1]
	v_dual_fmac_f32 v183, v119, v102 :: v_dual_fma_f32 v182, v118, v102, -v25
	v_pk_fma_f32 v[82:83], v[120:121], v[104:105], v[70:71] op_sel_hi:[1,0,1]
	s_delay_alu instid0(VALU_DEP_4)
	v_pk_add_f32 v[78:79], v[78:79], v[180:181]
	v_pk_fma_f32 v[70:71], v[120:121], v[104:105], v[70:71] neg_lo:[0,0,1] neg_hi:[0,0,1]
	v_pk_fma_f32 v[84:85], v[122:123], v[106:107], v[72:73] op_sel_hi:[1,0,1]
	v_pk_mul_f32 v[74:75], v[174:175], v[74:75] op_sel_hi:[1,0]
	v_mov_b32_e32 v71, v83
	v_pk_add_f32 v[78:79], v[78:79], v[182:183]
	v_pk_fma_f32 v[72:73], v[122:123], v[106:107], v[72:73] neg_lo:[0,0,1] neg_hi:[0,0,1]
	v_pk_mul_f32 v[76:77], v[126:127], v[110:111] op_sel:[1,1] op_sel_hi:[0,1]
	v_mov_b32_e32 v73, v85
	v_pk_fma_f32 v[84:85], v[124:125], v[108:109], v[74:75] op_sel_hi:[1,0,1]
	v_pk_add_f32 v[70:71], v[78:79], v[70:71]
	v_pk_fma_f32 v[74:75], v[124:125], v[108:109], v[74:75] neg_lo:[0,0,1] neg_hi:[0,0,1]
	v_pk_fma_f32 v[78:79], v[126:127], v[110:111], v[76:77] op_sel_hi:[1,0,1]
	v_pk_mul_f32 v[80:81], v[176:177], v[80:81] op_sel_hi:[1,0]
	v_mov_b32_e32 v75, v85
	v_pk_add_f32 v[70:71], v[70:71], v[72:73]
	v_pk_fma_f32 v[76:77], v[126:127], v[110:111], v[76:77] neg_lo:[0,0,1] neg_hi:[0,0,1]
	s_wait_loadcnt 0x2
	v_pk_mul_f32 v[82:83], v[130:131], v[114:115] op_sel:[1,1] op_sel_hi:[0,1]
	v_dual_mov_b32 v72, v117 :: v_dual_mov_b32 v77, v79
	v_pk_fma_f32 v[78:79], v[128:129], v[112:113], v[80:81] op_sel_hi:[1,0,1]
	v_pk_add_f32 v[70:71], v[70:71], v[74:75]
	v_pk_fma_f32 v[80:81], v[128:129], v[112:113], v[80:81] neg_lo:[0,0,1] neg_hi:[0,0,1]
	v_pk_fma_f32 v[74:75], v[130:131], v[114:115], v[82:83] op_sel_hi:[1,0,1]
	v_pk_mul_f32 v[72:73], v[178:179], v[72:73] op_sel_hi:[1,0]
	v_mov_b32_e32 v81, v79
	v_pk_add_f32 v[70:71], v[70:71], v[76:77]
	v_pk_fma_f32 v[76:77], v[130:131], v[114:115], v[82:83] neg_lo:[0,0,1] neg_hi:[0,0,1]
	v_mov_b32_e32 v77, v75
	v_pk_fma_f32 v[74:75], v[132:133], v[116:117], v[72:73] op_sel_hi:[1,0,1]
	s_wait_loadcnt_dscnt 0x100
	v_pk_mul_f32 v[78:79], v[170:171], v[166:167] op_sel:[1,1] op_sel_hi:[0,1]
	v_pk_add_f32 v[70:71], v[70:71], v[80:81]
	v_pk_fma_f32 v[72:73], v[132:133], v[116:117], v[72:73] neg_lo:[0,0,1] neg_hi:[0,0,1]
	v_mov_b32_e32 v73, v75
	s_delay_alu instid0(VALU_DEP_4) | instskip(NEXT) | instid1(VALU_DEP_4)
	v_pk_fma_f32 v[74:75], v[170:171], v[166:167], v[78:79] op_sel_hi:[1,0,1]
	v_pk_add_f32 v[70:71], v[70:71], v[76:77]
	v_pk_fma_f32 v[76:77], v[170:171], v[166:167], v[78:79] neg_lo:[0,0,1] neg_hi:[0,0,1]
	s_delay_alu instid0(VALU_DEP_3) | instskip(NEXT) | instid1(VALU_DEP_3)
	v_mov_b32_e32 v77, v75
	v_pk_add_f32 v[70:71], v[70:71], v[72:73]
	s_delay_alu instid0(VALU_DEP_1) | instskip(SKIP_1) | instid1(VALU_DEP_1)
	v_pk_add_f32 v[70:71], v[70:71], v[76:77]
	s_wait_loadcnt 0x0
	v_pk_add_f32 v[70:71], v[168:169], v[70:71] neg_lo:[0,1] neg_hi:[0,1]
	scratch_store_b64 off, v[70:71], off offset:64
	s_wait_xcnt 0x0
	v_cmpx_lt_u32_e32 7, v0
	s_cbranch_execz .LBB97_203
; %bb.202:
	scratch_load_b64 v[70:71], off, off offset:56
	v_mov_b64_e32 v[72:73], 0
	scratch_store_b64 off, v[72:73], off offset:56
	s_wait_loadcnt 0x0
	ds_store_b64 v1, v[70:71]
.LBB97_203:
	s_wait_xcnt 0x0
	s_or_b32 exec_lo, exec_lo, s0
	s_wait_storecnt_dscnt 0x0
	s_barrier_signal -1
	s_barrier_wait -1
	s_clause 0xd
	scratch_load_b128 v[70:73], off, off offset:64
	scratch_load_b128 v[74:77], off, off offset:80
	;; [unrolled: 1-line block ×13, first 2 shown]
	scratch_load_b64 v[174:175], off, off offset:56
	ds_load_b128 v[122:125], v7 offset:480
	ds_load_b128 v[126:129], v7 offset:496
	;; [unrolled: 1-line block ×13, first 2 shown]
	s_mov_b32 s0, exec_lo
	s_wait_dscnt 0xc
	v_dual_mov_b32 v176, v125 :: v_dual_mov_b32 v177, v124
	s_wait_dscnt 0xb
	v_dual_mov_b32 v178, v129 :: v_dual_mov_b32 v179, v128
	;; [unrolled: 2-line block ×4, first 2 shown]
	s_wait_loadcnt_dscnt 0xd08
	v_dual_mul_f32 v7, v138, v71 :: v_dual_mul_f32 v9, v140, v73
	v_dual_mul_f32 v39, v139, v71 :: v_dual_mul_f32 v41, v141, v73
	s_wait_loadcnt_dscnt 0xc07
	v_dual_mul_f32 v11, v142, v75 :: v_dual_mul_f32 v13, v144, v77
	s_delay_alu instid0(VALU_DEP_3) | instskip(SKIP_3) | instid1(VALU_DEP_3)
	v_dual_fmac_f32 v7, v139, v70 :: v_dual_fmac_f32 v9, v141, v72
	s_wait_loadcnt_dscnt 0xa05
	v_dual_fma_f32 v39, v138, v70, -v39 :: v_dual_mul_f32 v51, v151, v83
	v_dual_mul_f32 v43, v143, v75 :: v_dual_mul_f32 v45, v145, v77
	v_dual_fma_f32 v41, v140, v72, -v41 :: v_dual_add_f32 v7, 0, v7
	s_delay_alu instid0(VALU_DEP_3) | instskip(SKIP_1) | instid1(VALU_DEP_3)
	v_dual_add_f32 v39, 0, v39 :: v_dual_mul_f32 v53, v153, v85
	v_dual_fmac_f32 v11, v143, v74 :: v_dual_fmac_f32 v13, v145, v76
	v_dual_fma_f32 v43, v142, v74, -v43 :: v_dual_add_f32 v7, v7, v9
	s_delay_alu instid0(VALU_DEP_3) | instskip(SKIP_2) | instid1(VALU_DEP_4)
	v_dual_add_f32 v9, v39, v41 :: v_dual_fma_f32 v41, v144, v76, -v45
	v_dual_mul_f32 v15, v146, v79 :: v_dual_mul_f32 v17, v148, v81
	v_dual_mul_f32 v47, v147, v79 :: v_dual_mul_f32 v49, v149, v81
	v_add_f32_e32 v7, v7, v11
	s_delay_alu instid0(VALU_DEP_3) | instskip(NEXT) | instid1(VALU_DEP_3)
	v_dual_add_f32 v9, v9, v43 :: v_dual_fmac_f32 v15, v147, v78
	v_fma_f32 v43, v146, v78, -v47
	v_dual_mul_f32 v19, v150, v83 :: v_dual_mul_f32 v21, v152, v85
	s_delay_alu instid0(VALU_DEP_4) | instskip(SKIP_2) | instid1(VALU_DEP_2)
	v_dual_add_f32 v7, v7, v13 :: v_dual_fmac_f32 v17, v149, v80
	s_wait_loadcnt_dscnt 0x802
	v_dual_add_f32 v9, v9, v41 :: v_dual_mul_f32 v13, v163, v91
	v_dual_fma_f32 v41, v148, v80, -v49 :: v_dual_add_f32 v7, v7, v15
	v_mul_f32_e32 v15, v165, v93
	s_delay_alu instid0(VALU_DEP_3) | instskip(NEXT) | instid1(VALU_DEP_3)
	v_dual_add_f32 v9, v9, v43 :: v_dual_fmac_f32 v19, v151, v82
	v_dual_fma_f32 v43, v150, v82, -v51 :: v_dual_add_f32 v7, v7, v17
	v_fmac_f32_e32 v21, v153, v84
	s_wait_loadcnt_dscnt 0x701
	s_delay_alu instid0(VALU_DEP_3) | instskip(SKIP_3) | instid1(VALU_DEP_3)
	v_dual_add_f32 v9, v9, v41 :: v_dual_mul_f32 v17, v167, v95
	v_dual_mul_f32 v23, v158, v87 :: v_dual_mul_f32 v25, v160, v89
	v_dual_mul_f32 v39, v159, v87 :: v_dual_mul_f32 v11, v161, v89
	v_dual_fma_f32 v41, v152, v84, -v53 :: v_dual_add_f32 v7, v7, v19
	v_dual_add_f32 v9, v9, v43 :: v_dual_fmac_f32 v23, v159, v86
	s_delay_alu instid0(VALU_DEP_3) | instskip(NEXT) | instid1(VALU_DEP_3)
	v_dual_mul_f32 v19, v169, v97 :: v_dual_fma_f32 v39, v158, v86, -v39
	v_dual_add_f32 v7, v7, v21 :: v_dual_fmac_f32 v25, v161, v88
	s_wait_loadcnt_dscnt 0x600
	s_delay_alu instid0(VALU_DEP_3) | instskip(SKIP_1) | instid1(VALU_DEP_3)
	v_dual_add_f32 v9, v9, v41 :: v_dual_mul_f32 v21, v171, v99
	v_dual_mul_f32 v27, v162, v91 :: v_dual_mul_f32 v29, v164, v93
	v_dual_fma_f32 v11, v160, v88, -v11 :: v_dual_add_f32 v7, v7, v23
	s_delay_alu instid0(VALU_DEP_2) | instskip(SKIP_1) | instid1(VALU_DEP_2)
	v_dual_add_f32 v9, v9, v39 :: v_dual_fmac_f32 v27, v163, v90
	v_dual_mul_f32 v23, v173, v101 :: v_dual_fma_f32 v13, v162, v90, -v13
	v_dual_add_f32 v7, v7, v25 :: v_dual_add_f32 v9, v9, v11
	v_dual_mul_f32 v31, v166, v95 :: v_dual_mul_f32 v33, v168, v97
	s_wait_loadcnt 0x5
	v_dual_mul_f32 v11, v155, v103 :: v_dual_fmac_f32 v29, v165, v92
	s_delay_alu instid0(VALU_DEP_3) | instskip(NEXT) | instid1(VALU_DEP_3)
	v_dual_fma_f32 v15, v164, v92, -v15 :: v_dual_add_f32 v7, v7, v27
	v_dual_add_f32 v9, v9, v13 :: v_dual_fmac_f32 v31, v167, v94
	v_dual_mul_f32 v13, v157, v105 :: v_dual_fma_f32 v17, v166, v94, -v17
	s_delay_alu instid0(VALU_DEP_2) | instskip(SKIP_2) | instid1(VALU_DEP_3)
	v_dual_add_f32 v7, v7, v29 :: v_dual_add_f32 v9, v9, v15
	v_dual_mul_f32 v35, v170, v99 :: v_dual_mul_f32 v37, v172, v101
	v_dual_fmac_f32 v33, v169, v96 :: v_dual_fma_f32 v15, v168, v96, -v19
	v_dual_add_f32 v7, v7, v31 :: v_dual_add_f32 v9, v9, v17
	s_wait_loadcnt 0x4
	s_delay_alu instid0(VALU_DEP_3) | instskip(NEXT) | instid1(VALU_DEP_2)
	v_dual_mov_b32 v72, v109 :: v_dual_fmac_f32 v35, v171, v98
	v_dual_fma_f32 v17, v170, v98, -v21 :: v_dual_add_f32 v7, v7, v33
	s_delay_alu instid0(VALU_DEP_3) | instskip(SKIP_1) | instid1(VALU_DEP_3)
	v_dual_add_f32 v9, v9, v15 :: v_dual_fma_f32 v15, v172, v100, -v23
	v_dual_mul_f32 v185, v154, v103 :: v_dual_mul_f32 v187, v156, v105
	v_dual_fmac_f32 v37, v173, v100 :: v_dual_add_f32 v7, v7, v35
	s_delay_alu instid0(VALU_DEP_2) | instskip(SKIP_3) | instid1(VALU_DEP_3)
	v_dual_add_f32 v9, v9, v17 :: v_dual_fmac_f32 v185, v155, v102
	v_pk_mul_f32 v[70:71], v[122:123], v[106:107] op_sel:[1,1] op_sel_hi:[0,1]
	s_wait_loadcnt 0x3
	v_dual_mov_b32 v76, v113 :: v_dual_fma_f32 v184, v154, v102, -v11
	v_dual_add_f32 v79, v7, v37 :: v_dual_add_f32 v78, v9, v15
	v_dual_fmac_f32 v187, v157, v104 :: v_dual_fma_f32 v186, v156, v104, -v13
	v_pk_fma_f32 v[80:81], v[122:123], v[106:107], v[70:71] op_sel_hi:[1,0,1]
	v_pk_mul_f32 v[72:73], v[176:177], v[72:73] op_sel_hi:[1,0]
	s_delay_alu instid0(VALU_DEP_4)
	v_pk_add_f32 v[78:79], v[78:79], v[184:185]
	v_pk_fma_f32 v[70:71], v[122:123], v[106:107], v[70:71] neg_lo:[0,0,1] neg_hi:[0,0,1]
	v_pk_mul_f32 v[74:75], v[126:127], v[110:111] op_sel:[1,1] op_sel_hi:[0,1]
	v_mov_b32_e32 v71, v81
	v_pk_fma_f32 v[80:81], v[124:125], v[108:109], v[72:73] op_sel_hi:[1,0,1]
	v_pk_add_f32 v[78:79], v[78:79], v[186:187]
	v_pk_fma_f32 v[72:73], v[124:125], v[108:109], v[72:73] neg_lo:[0,0,1] neg_hi:[0,0,1]
	v_pk_fma_f32 v[84:85], v[126:127], v[110:111], v[74:75] op_sel_hi:[1,0,1]
	v_pk_mul_f32 v[76:77], v[178:179], v[76:77] op_sel_hi:[1,0]
	v_mov_b32_e32 v73, v81
	v_pk_add_f32 v[70:71], v[78:79], v[70:71]
	s_wait_loadcnt 0x2
	v_pk_mul_f32 v[82:83], v[130:131], v[114:115] op_sel:[1,1] op_sel_hi:[0,1]
	v_mov_b32_e32 v78, v117
	v_pk_fma_f32 v[74:75], v[126:127], v[110:111], v[74:75] neg_lo:[0,0,1] neg_hi:[0,0,1]
	v_mov_b32_e32 v75, v85
	v_pk_fma_f32 v[80:81], v[128:129], v[112:113], v[76:77] op_sel_hi:[1,0,1]
	v_pk_add_f32 v[70:71], v[70:71], v[72:73]
	v_pk_fma_f32 v[72:73], v[130:131], v[114:115], v[82:83] op_sel_hi:[1,0,1]
	v_pk_mul_f32 v[78:79], v[180:181], v[78:79] op_sel_hi:[1,0]
	v_pk_fma_f32 v[76:77], v[128:129], v[112:113], v[76:77] neg_lo:[0,0,1] neg_hi:[0,0,1]
	v_mov_b32_e32 v77, v81
	v_pk_add_f32 v[70:71], v[70:71], v[74:75]
	v_pk_fma_f32 v[80:81], v[130:131], v[114:115], v[82:83] neg_lo:[0,0,1] neg_hi:[0,0,1]
	v_mov_b32_e32 v81, v73
	v_pk_fma_f32 v[72:73], v[132:133], v[116:117], v[78:79] op_sel_hi:[1,0,1]
	s_wait_loadcnt 0x1
	v_pk_mul_f32 v[74:75], v[134:135], v[118:119] op_sel:[1,1] op_sel_hi:[0,1]
	v_pk_add_f32 v[70:71], v[70:71], v[76:77]
	v_mov_b32_e32 v72, v121
	v_pk_fma_f32 v[78:79], v[132:133], v[116:117], v[78:79] neg_lo:[0,0,1] neg_hi:[0,0,1]
	v_mov_b32_e32 v79, v73
	v_pk_fma_f32 v[76:77], v[134:135], v[118:119], v[74:75] op_sel_hi:[1,0,1]
	v_pk_add_f32 v[70:71], v[70:71], v[80:81]
	v_pk_mul_f32 v[72:73], v[182:183], v[72:73] op_sel_hi:[1,0]
	v_pk_fma_f32 v[74:75], v[134:135], v[118:119], v[74:75] neg_lo:[0,0,1] neg_hi:[0,0,1]
	s_delay_alu instid0(VALU_DEP_4) | instskip(NEXT) | instid1(VALU_DEP_4)
	v_mov_b32_e32 v75, v77
	v_pk_add_f32 v[70:71], v[70:71], v[78:79]
	s_delay_alu instid0(VALU_DEP_4) | instskip(SKIP_1) | instid1(VALU_DEP_2)
	v_pk_fma_f32 v[76:77], v[136:137], v[120:121], v[72:73] op_sel_hi:[1,0,1]
	v_pk_fma_f32 v[72:73], v[136:137], v[120:121], v[72:73] neg_lo:[0,0,1] neg_hi:[0,0,1]
	v_mov_b32_e32 v73, v77
	s_delay_alu instid0(VALU_DEP_4) | instskip(NEXT) | instid1(VALU_DEP_1)
	v_pk_add_f32 v[70:71], v[70:71], v[74:75]
	v_pk_add_f32 v[70:71], v[70:71], v[72:73]
	s_wait_loadcnt 0x0
	s_delay_alu instid0(VALU_DEP_1)
	v_pk_add_f32 v[70:71], v[174:175], v[70:71] neg_lo:[0,1] neg_hi:[0,1]
	scratch_store_b64 off, v[70:71], off offset:56
	s_wait_xcnt 0x0
	v_cmpx_lt_u32_e32 6, v0
	s_cbranch_execz .LBB97_205
; %bb.204:
	scratch_load_b64 v[70:71], off, off offset:48
	v_mov_b64_e32 v[72:73], 0
	scratch_store_b64 off, v[72:73], off offset:48
	s_wait_loadcnt 0x0
	ds_store_b64 v1, v[70:71]
.LBB97_205:
	s_wait_xcnt 0x0
	s_or_b32 exec_lo, exec_lo, s0
	s_wait_storecnt_dscnt 0x0
	s_barrier_signal -1
	s_barrier_wait -1
	s_clause 0xe
	scratch_load_b128 v[70:73], off, off offset:56
	scratch_load_b128 v[74:77], off, off offset:72
	;; [unrolled: 1-line block ×13, first 2 shown]
	scratch_load_b64 v[174:175], off, off offset:264
	scratch_load_b64 v[176:177], off, off offset:48
	v_mov_b32_e32 v7, 0
	ds_load_2addr_b64 v[122:125], v7 offset0:59 offset1:60
	ds_load_2addr_b64 v[126:129], v7 offset0:61 offset1:62
	;; [unrolled: 1-line block ×13, first 2 shown]
	ds_load_b64 v[178:179], v7 offset:536
	s_mov_b32 s0, exec_lo
	s_wait_dscnt 0xd
	v_dual_mov_b32 v180, v125 :: v_dual_mov_b32 v181, v124
	s_wait_dscnt 0xa
	v_dual_mov_b32 v182, v129 :: v_dual_mov_b32 v187, v136
	v_dual_mov_b32 v183, v128 :: v_dual_mov_b32 v184, v133
	;; [unrolled: 1-line block ×3, first 2 shown]
	s_wait_loadcnt_dscnt 0xe09
	v_dual_mul_f32 v9, v138, v71 :: v_dual_mul_f32 v43, v139, v71
	v_dual_mul_f32 v45, v141, v73 :: v_dual_mul_f32 v11, v140, v73
	s_wait_loadcnt_dscnt 0xd08
	v_mul_f32_e32 v13, v142, v75
	s_wait_loadcnt_dscnt 0xb05
	v_dual_mul_f32 v55, v155, v83 :: v_dual_fma_f32 v43, v138, v70, -v43
	v_dual_fmac_f32 v9, v139, v70 :: v_dual_mul_f32 v57, v157, v85
	v_dual_mul_f32 v47, v143, v75 :: v_dual_mul_f32 v49, v145, v77
	v_dual_fmac_f32 v11, v141, v72 :: v_dual_fma_f32 v45, v140, v72, -v45
	s_delay_alu instid0(VALU_DEP_3) | instskip(SKIP_3) | instid1(VALU_DEP_3)
	v_dual_add_f32 v9, 0, v9 :: v_dual_add_f32 v43, 0, v43
	v_dual_mul_f32 v15, v144, v77 :: v_dual_mul_f32 v17, v146, v79
	s_wait_loadcnt_dscnt 0xa04
	v_dual_mul_f32 v59, v159, v87 :: v_dual_fma_f32 v47, v142, v74, -v47
	v_dual_fmac_f32 v13, v143, v74 :: v_dual_add_f32 v9, v9, v11
	s_delay_alu instid0(VALU_DEP_3) | instskip(SKIP_2) | instid1(VALU_DEP_3)
	v_dual_add_f32 v11, v43, v45 :: v_dual_fmac_f32 v15, v145, v76
	v_dual_mul_f32 v51, v147, v79 :: v_dual_mul_f32 v53, v149, v81
	v_dual_mul_f32 v43, v161, v89 :: v_dual_fma_f32 v45, v144, v76, -v49
	v_dual_add_f32 v9, v9, v13 :: v_dual_add_f32 v11, v11, v47
	v_dual_mul_f32 v19, v148, v81 :: v_dual_mul_f32 v21, v154, v83
	s_wait_loadcnt_dscnt 0x903
	v_dual_mul_f32 v13, v163, v91 :: v_dual_fma_f32 v47, v146, v78, -v51
	s_delay_alu instid0(VALU_DEP_3) | instskip(NEXT) | instid1(VALU_DEP_3)
	v_dual_fmac_f32 v17, v147, v78 :: v_dual_add_f32 v9, v9, v15
	v_dual_add_f32 v11, v11, v45 :: v_dual_fmac_f32 v19, v149, v80
	v_dual_mul_f32 v15, v165, v93 :: v_dual_fma_f32 v45, v148, v80, -v53
	s_delay_alu instid0(VALU_DEP_2) | instskip(SKIP_3) | instid1(VALU_DEP_3)
	v_dual_add_f32 v9, v9, v17 :: v_dual_add_f32 v11, v11, v47
	v_dual_mul_f32 v23, v156, v85 :: v_dual_mul_f32 v25, v158, v87
	s_wait_loadcnt_dscnt 0x802
	v_dual_mul_f32 v17, v167, v95 :: v_dual_fma_f32 v47, v154, v82, -v55
	v_dual_fmac_f32 v21, v155, v82 :: v_dual_add_f32 v9, v9, v19
	s_delay_alu instid0(VALU_DEP_3) | instskip(SKIP_1) | instid1(VALU_DEP_2)
	v_dual_add_f32 v11, v11, v45 :: v_dual_fmac_f32 v23, v157, v84
	v_dual_mul_f32 v19, v169, v97 :: v_dual_fma_f32 v45, v156, v84, -v57
	v_dual_add_f32 v9, v9, v21 :: v_dual_add_f32 v11, v11, v47
	v_dual_mul_f32 v27, v160, v89 :: v_dual_mul_f32 v29, v162, v91
	s_wait_loadcnt_dscnt 0x701
	v_dual_mul_f32 v21, v171, v99 :: v_dual_fma_f32 v47, v158, v86, -v59
	s_delay_alu instid0(VALU_DEP_3) | instskip(NEXT) | instid1(VALU_DEP_3)
	v_dual_fmac_f32 v25, v159, v86 :: v_dual_add_f32 v9, v9, v23
	v_dual_add_f32 v11, v11, v45 :: v_dual_fmac_f32 v27, v161, v88
	v_dual_mul_f32 v23, v173, v101 :: v_dual_fma_f32 v43, v160, v88, -v43
	s_delay_alu instid0(VALU_DEP_2) | instskip(SKIP_3) | instid1(VALU_DEP_3)
	v_dual_add_f32 v9, v9, v25 :: v_dual_add_f32 v11, v11, v47
	v_dual_mul_f32 v31, v164, v93 :: v_dual_mul_f32 v33, v166, v95
	s_wait_loadcnt 0x6
	v_dual_mul_f32 v25, v151, v103 :: v_dual_fma_f32 v13, v162, v90, -v13
	v_dual_fmac_f32 v29, v163, v90 :: v_dual_add_f32 v9, v9, v27
	v_dual_add_f32 v11, v11, v43 :: v_dual_mul_f32 v27, v153, v105
	v_fmac_f32_e32 v31, v165, v92
	s_delay_alu instid0(VALU_DEP_3) | instskip(NEXT) | instid1(VALU_DEP_3)
	v_dual_fma_f32 v15, v164, v92, -v15 :: v_dual_add_f32 v9, v9, v29
	v_add_f32_e32 v11, v11, v13
	v_dual_mul_f32 v35, v168, v97 :: v_dual_mul_f32 v37, v170, v99
	s_wait_loadcnt 0x5
	v_dual_mul_f32 v13, v123, v107 :: v_dual_fma_f32 v17, v166, v94, -v17
	v_dual_fmac_f32 v33, v167, v94 :: v_dual_add_f32 v9, v9, v31
	v_dual_add_f32 v11, v11, v15 :: v_dual_mov_b32 v70, v109
	v_fmac_f32_e32 v35, v169, v96
	s_delay_alu instid0(VALU_DEP_3) | instskip(NEXT) | instid1(VALU_DEP_3)
	v_dual_fma_f32 v15, v168, v96, -v19 :: v_dual_add_f32 v9, v9, v33
	v_add_f32_e32 v11, v11, v17
	v_dual_mul_f32 v39, v172, v101 :: v_dual_mul_f32 v41, v150, v103
	s_delay_alu instid0(VALU_DEP_3) | instskip(NEXT) | instid1(VALU_DEP_3)
	v_dual_fmac_f32 v37, v171, v98 :: v_dual_add_f32 v9, v9, v35
	v_dual_fma_f32 v17, v170, v98, -v21 :: v_dual_add_f32 v11, v11, v15
	s_wait_loadcnt 0x4
	v_dual_mov_b32 v74, v113 :: v_dual_fma_f32 v15, v172, v100, -v23
	v_fmac_f32_e32 v39, v173, v100
	v_dual_add_f32 v9, v9, v37 :: v_dual_fmac_f32 v41, v151, v102
	v_add_f32_e32 v11, v11, v17
	v_dual_mul_f32 v189, v152, v105 :: v_dual_mul_f32 v191, v122, v107
	s_delay_alu instid0(VALU_DEP_3) | instskip(NEXT) | instid1(VALU_DEP_2)
	v_dual_fma_f32 v17, v150, v102, -v25 :: v_dual_add_f32 v9, v9, v39
	v_dual_add_f32 v11, v11, v15 :: v_dual_fmac_f32 v189, v153, v104
	v_fma_f32 v188, v152, v104, -v27
	v_pk_mul_f32 v[70:71], v[180:181], v[70:71] op_sel_hi:[1,0]
	s_delay_alu instid0(VALU_DEP_4)
	v_add_f32_e32 v79, v9, v41
	s_wait_loadcnt 0x3
	v_dual_add_f32 v78, v11, v17 :: v_dual_mov_b32 v80, v117
	v_pk_mul_f32 v[72:73], v[126:127], v[110:111] op_sel:[1,1] op_sel_hi:[0,1]
	v_dual_fmac_f32 v191, v123, v106 :: v_dual_fma_f32 v190, v122, v106, -v13
	v_pk_fma_f32 v[82:83], v[124:125], v[108:109], v[70:71] op_sel_hi:[1,0,1]
	s_delay_alu instid0(VALU_DEP_4)
	v_pk_add_f32 v[78:79], v[78:79], v[188:189]
	v_pk_fma_f32 v[70:71], v[124:125], v[108:109], v[70:71] neg_lo:[0,0,1] neg_hi:[0,0,1]
	v_pk_fma_f32 v[84:85], v[126:127], v[110:111], v[72:73] op_sel_hi:[1,0,1]
	v_pk_mul_f32 v[74:75], v[182:183], v[74:75] op_sel_hi:[1,0]
	v_mov_b32_e32 v71, v83
	v_pk_add_f32 v[78:79], v[78:79], v[190:191]
	v_pk_fma_f32 v[72:73], v[126:127], v[110:111], v[72:73] neg_lo:[0,0,1] neg_hi:[0,0,1]
	v_pk_mul_f32 v[76:77], v[130:131], v[114:115] op_sel:[1,1] op_sel_hi:[0,1]
	v_mov_b32_e32 v73, v85
	v_pk_fma_f32 v[84:85], v[128:129], v[112:113], v[74:75] op_sel_hi:[1,0,1]
	v_pk_add_f32 v[70:71], v[78:79], v[70:71]
	v_pk_fma_f32 v[74:75], v[128:129], v[112:113], v[74:75] neg_lo:[0,0,1] neg_hi:[0,0,1]
	v_pk_fma_f32 v[78:79], v[130:131], v[114:115], v[76:77] op_sel_hi:[1,0,1]
	v_pk_mul_f32 v[80:81], v[184:185], v[80:81] op_sel_hi:[1,0]
	v_mov_b32_e32 v75, v85
	v_pk_add_f32 v[70:71], v[70:71], v[72:73]
	v_pk_fma_f32 v[76:77], v[130:131], v[114:115], v[76:77] neg_lo:[0,0,1] neg_hi:[0,0,1]
	s_wait_loadcnt 0x2
	v_pk_mul_f32 v[82:83], v[134:135], v[118:119] op_sel:[1,1] op_sel_hi:[0,1]
	v_dual_mov_b32 v72, v121 :: v_dual_mov_b32 v77, v79
	v_pk_fma_f32 v[78:79], v[132:133], v[116:117], v[80:81] op_sel_hi:[1,0,1]
	v_pk_add_f32 v[70:71], v[70:71], v[74:75]
	v_pk_fma_f32 v[80:81], v[132:133], v[116:117], v[80:81] neg_lo:[0,0,1] neg_hi:[0,0,1]
	v_pk_fma_f32 v[74:75], v[134:135], v[118:119], v[82:83] op_sel_hi:[1,0,1]
	v_pk_mul_f32 v[72:73], v[186:187], v[72:73] op_sel_hi:[1,0]
	v_mov_b32_e32 v81, v79
	v_pk_add_f32 v[70:71], v[70:71], v[76:77]
	v_pk_fma_f32 v[76:77], v[134:135], v[118:119], v[82:83] neg_lo:[0,0,1] neg_hi:[0,0,1]
	v_mov_b32_e32 v77, v75
	v_pk_fma_f32 v[74:75], v[136:137], v[120:121], v[72:73] op_sel_hi:[1,0,1]
	s_wait_loadcnt_dscnt 0x100
	v_pk_mul_f32 v[78:79], v[178:179], v[174:175] op_sel:[1,1] op_sel_hi:[0,1]
	v_pk_add_f32 v[70:71], v[70:71], v[80:81]
	v_pk_fma_f32 v[72:73], v[136:137], v[120:121], v[72:73] neg_lo:[0,0,1] neg_hi:[0,0,1]
	v_mov_b32_e32 v73, v75
	s_delay_alu instid0(VALU_DEP_4) | instskip(NEXT) | instid1(VALU_DEP_4)
	v_pk_fma_f32 v[74:75], v[178:179], v[174:175], v[78:79] op_sel_hi:[1,0,1]
	v_pk_add_f32 v[70:71], v[70:71], v[76:77]
	v_pk_fma_f32 v[76:77], v[178:179], v[174:175], v[78:79] neg_lo:[0,0,1] neg_hi:[0,0,1]
	s_delay_alu instid0(VALU_DEP_3) | instskip(NEXT) | instid1(VALU_DEP_3)
	v_mov_b32_e32 v77, v75
	v_pk_add_f32 v[70:71], v[70:71], v[72:73]
	s_delay_alu instid0(VALU_DEP_1) | instskip(SKIP_1) | instid1(VALU_DEP_1)
	v_pk_add_f32 v[70:71], v[70:71], v[76:77]
	s_wait_loadcnt 0x0
	v_pk_add_f32 v[70:71], v[176:177], v[70:71] neg_lo:[0,1] neg_hi:[0,1]
	scratch_store_b64 off, v[70:71], off offset:48
	s_wait_xcnt 0x0
	v_cmpx_lt_u32_e32 5, v0
	s_cbranch_execz .LBB97_207
; %bb.206:
	scratch_load_b64 v[70:71], off, off offset:40
	v_mov_b64_e32 v[72:73], 0
	scratch_store_b64 off, v[72:73], off offset:40
	s_wait_loadcnt 0x0
	ds_store_b64 v1, v[70:71]
.LBB97_207:
	s_wait_xcnt 0x0
	s_or_b32 exec_lo, exec_lo, s0
	s_wait_storecnt_dscnt 0x0
	s_barrier_signal -1
	s_barrier_wait -1
	s_clause 0xe
	scratch_load_b128 v[70:73], off, off offset:48
	scratch_load_b128 v[74:77], off, off offset:64
	;; [unrolled: 1-line block ×14, first 2 shown]
	scratch_load_b64 v[182:183], off, off offset:40
	ds_load_b128 v[126:129], v7 offset:480
	ds_load_b128 v[130:133], v7 offset:496
	;; [unrolled: 1-line block ×14, first 2 shown]
	s_mov_b32 s0, exec_lo
	s_wait_dscnt 0xd
	v_dual_mov_b32 v184, v129 :: v_dual_mov_b32 v185, v128
	s_wait_dscnt 0xc
	v_dual_mov_b32 v186, v133 :: v_dual_mov_b32 v187, v132
	;; [unrolled: 2-line block ×4, first 2 shown]
	s_wait_loadcnt_dscnt 0xe09
	v_dual_mul_f32 v7, v142, v71 :: v_dual_mul_f32 v9, v144, v73
	v_dual_mul_f32 v43, v143, v71 :: v_dual_mul_f32 v45, v145, v73
	s_wait_loadcnt_dscnt 0xd08
	v_dual_mul_f32 v11, v146, v75 :: v_dual_mul_f32 v13, v148, v77
	s_delay_alu instid0(VALU_DEP_3) | instskip(SKIP_3) | instid1(VALU_DEP_3)
	v_dual_fmac_f32 v7, v143, v70 :: v_dual_fmac_f32 v9, v145, v72
	s_wait_loadcnt_dscnt 0xb06
	v_dual_fma_f32 v43, v142, v70, -v43 :: v_dual_mul_f32 v55, v155, v83
	v_dual_mul_f32 v47, v147, v75 :: v_dual_mul_f32 v49, v149, v77
	v_dual_fma_f32 v45, v144, v72, -v45 :: v_dual_add_f32 v7, 0, v7
	s_delay_alu instid0(VALU_DEP_3) | instskip(SKIP_1) | instid1(VALU_DEP_3)
	v_dual_add_f32 v43, 0, v43 :: v_dual_mul_f32 v57, v157, v85
	v_dual_fmac_f32 v11, v147, v74 :: v_dual_fmac_f32 v13, v149, v76
	v_dual_fma_f32 v47, v146, v74, -v47 :: v_dual_add_f32 v7, v7, v9
	s_delay_alu instid0(VALU_DEP_3) | instskip(SKIP_2) | instid1(VALU_DEP_4)
	v_dual_add_f32 v9, v43, v45 :: v_dual_fma_f32 v45, v148, v76, -v49
	v_dual_mul_f32 v15, v150, v79 :: v_dual_mul_f32 v17, v152, v81
	v_dual_mul_f32 v51, v151, v79 :: v_dual_mul_f32 v53, v153, v81
	v_add_f32_e32 v7, v7, v11
	s_delay_alu instid0(VALU_DEP_3) | instskip(NEXT) | instid1(VALU_DEP_3)
	v_dual_add_f32 v9, v9, v47 :: v_dual_fmac_f32 v15, v151, v78
	v_fma_f32 v47, v150, v78, -v51
	v_dual_mul_f32 v19, v154, v83 :: v_dual_mul_f32 v21, v156, v85
	s_delay_alu instid0(VALU_DEP_4) | instskip(SKIP_2) | instid1(VALU_DEP_2)
	v_dual_add_f32 v7, v7, v13 :: v_dual_fmac_f32 v17, v153, v80
	s_wait_loadcnt_dscnt 0x904
	v_dual_add_f32 v9, v9, v45 :: v_dual_mul_f32 v13, v163, v91
	v_dual_fma_f32 v45, v152, v80, -v53 :: v_dual_add_f32 v7, v7, v15
	v_mul_f32_e32 v15, v165, v93
	s_delay_alu instid0(VALU_DEP_3) | instskip(NEXT) | instid1(VALU_DEP_3)
	v_dual_add_f32 v9, v9, v47 :: v_dual_fmac_f32 v19, v155, v82
	v_dual_fma_f32 v47, v154, v82, -v55 :: v_dual_add_f32 v7, v7, v17
	v_fmac_f32_e32 v21, v157, v84
	s_wait_loadcnt_dscnt 0x803
	s_delay_alu instid0(VALU_DEP_3) | instskip(SKIP_3) | instid1(VALU_DEP_3)
	v_dual_add_f32 v9, v9, v45 :: v_dual_mul_f32 v17, v167, v95
	v_dual_mul_f32 v23, v158, v87 :: v_dual_mul_f32 v25, v160, v89
	v_dual_mul_f32 v43, v159, v87 :: v_dual_mul_f32 v11, v161, v89
	v_dual_fma_f32 v45, v156, v84, -v57 :: v_dual_add_f32 v7, v7, v19
	v_dual_add_f32 v9, v9, v47 :: v_dual_fmac_f32 v23, v159, v86
	s_delay_alu instid0(VALU_DEP_3) | instskip(NEXT) | instid1(VALU_DEP_3)
	v_dual_mul_f32 v19, v169, v97 :: v_dual_fma_f32 v43, v158, v86, -v43
	v_dual_add_f32 v7, v7, v21 :: v_dual_fmac_f32 v25, v161, v88
	s_wait_loadcnt_dscnt 0x702
	s_delay_alu instid0(VALU_DEP_3) | instskip(SKIP_1) | instid1(VALU_DEP_3)
	v_dual_add_f32 v9, v9, v45 :: v_dual_mul_f32 v21, v171, v99
	v_dual_mul_f32 v27, v162, v91 :: v_dual_mul_f32 v29, v164, v93
	v_dual_fma_f32 v11, v160, v88, -v11 :: v_dual_add_f32 v7, v7, v23
	s_delay_alu instid0(VALU_DEP_2) | instskip(SKIP_1) | instid1(VALU_DEP_2)
	v_dual_add_f32 v9, v9, v43 :: v_dual_fmac_f32 v27, v163, v90
	v_dual_mul_f32 v23, v173, v101 :: v_dual_fma_f32 v13, v162, v90, -v13
	v_dual_add_f32 v7, v7, v25 :: v_dual_add_f32 v9, v9, v11
	v_dual_mul_f32 v31, v166, v95 :: v_dual_mul_f32 v33, v168, v97
	s_wait_loadcnt_dscnt 0x601
	v_dual_mul_f32 v11, v175, v103 :: v_dual_fmac_f32 v29, v165, v92
	s_delay_alu instid0(VALU_DEP_3) | instskip(NEXT) | instid1(VALU_DEP_3)
	v_dual_fma_f32 v15, v164, v92, -v15 :: v_dual_add_f32 v7, v7, v27
	v_dual_add_f32 v9, v9, v13 :: v_dual_fmac_f32 v31, v167, v94
	v_dual_mul_f32 v13, v177, v105 :: v_dual_fma_f32 v17, v166, v94, -v17
	s_delay_alu instid0(VALU_DEP_2) | instskip(SKIP_3) | instid1(VALU_DEP_3)
	v_dual_add_f32 v7, v7, v29 :: v_dual_add_f32 v9, v9, v15
	v_dual_mul_f32 v35, v170, v99 :: v_dual_mul_f32 v37, v172, v101
	s_wait_loadcnt_dscnt 0x500
	v_dual_mul_f32 v15, v179, v107 :: v_dual_fmac_f32 v33, v169, v96
	v_dual_fma_f32 v19, v168, v96, -v19 :: v_dual_add_f32 v7, v7, v31
	s_delay_alu instid0(VALU_DEP_3) | instskip(SKIP_1) | instid1(VALU_DEP_2)
	v_dual_add_f32 v9, v9, v17 :: v_dual_fmac_f32 v35, v171, v98
	v_dual_mul_f32 v17, v181, v109 :: v_dual_fma_f32 v21, v170, v98, -v21
	v_dual_add_f32 v7, v7, v33 :: v_dual_add_f32 v9, v9, v19
	v_dual_mul_f32 v39, v174, v103 :: v_dual_mul_f32 v41, v176, v105
	v_dual_fmac_f32 v37, v173, v100 :: v_dual_fma_f32 v19, v172, v100, -v23
	s_delay_alu instid0(VALU_DEP_3) | instskip(SKIP_1) | instid1(VALU_DEP_3)
	v_dual_add_f32 v7, v7, v35 :: v_dual_add_f32 v9, v9, v21
	s_wait_loadcnt 0x4
	v_dual_mov_b32 v72, v113 :: v_dual_fmac_f32 v39, v175, v102
	s_delay_alu instid0(VALU_DEP_2) | instskip(NEXT) | instid1(VALU_DEP_3)
	v_dual_fma_f32 v11, v174, v102, -v11 :: v_dual_add_f32 v7, v7, v37
	v_dual_add_f32 v9, v9, v19 :: v_dual_fma_f32 v13, v176, v104, -v13
	v_dual_mul_f32 v193, v178, v107 :: v_dual_mul_f32 v195, v180, v109
	s_delay_alu instid0(VALU_DEP_3) | instskip(NEXT) | instid1(VALU_DEP_2)
	v_dual_fmac_f32 v41, v177, v104 :: v_dual_add_f32 v7, v7, v39
	v_dual_add_f32 v9, v9, v11 :: v_dual_fmac_f32 v193, v179, v106
	v_pk_mul_f32 v[70:71], v[126:127], v[110:111] op_sel:[1,1] op_sel_hi:[0,1]
	s_wait_loadcnt 0x3
	v_dual_mov_b32 v76, v117 :: v_dual_fma_f32 v192, v178, v106, -v15
	v_dual_add_f32 v79, v7, v41 :: v_dual_fmac_f32 v195, v181, v108
	v_dual_add_f32 v78, v9, v13 :: v_dual_fma_f32 v194, v180, v108, -v17
	v_pk_fma_f32 v[80:81], v[126:127], v[110:111], v[70:71] op_sel_hi:[1,0,1]
	v_pk_mul_f32 v[72:73], v[184:185], v[72:73] op_sel_hi:[1,0]
	v_pk_fma_f32 v[70:71], v[126:127], v[110:111], v[70:71] neg_lo:[0,0,1] neg_hi:[0,0,1]
	s_delay_alu instid0(VALU_DEP_4)
	v_pk_add_f32 v[78:79], v[78:79], v[192:193]
	v_pk_mul_f32 v[74:75], v[130:131], v[114:115] op_sel:[1,1] op_sel_hi:[0,1]
	v_mov_b32_e32 v71, v81
	v_pk_fma_f32 v[80:81], v[128:129], v[112:113], v[72:73] op_sel_hi:[1,0,1]
	v_pk_fma_f32 v[72:73], v[128:129], v[112:113], v[72:73] neg_lo:[0,0,1] neg_hi:[0,0,1]
	v_pk_add_f32 v[78:79], v[78:79], v[194:195]
	v_pk_fma_f32 v[84:85], v[130:131], v[114:115], v[74:75] op_sel_hi:[1,0,1]
	v_pk_mul_f32 v[76:77], v[186:187], v[76:77] op_sel_hi:[1,0]
	v_mov_b32_e32 v73, v81
	s_wait_loadcnt 0x2
	v_pk_mul_f32 v[82:83], v[134:135], v[118:119] op_sel:[1,1] op_sel_hi:[0,1]
	v_pk_add_f32 v[70:71], v[78:79], v[70:71]
	v_mov_b32_e32 v78, v121
	v_pk_fma_f32 v[74:75], v[130:131], v[114:115], v[74:75] neg_lo:[0,0,1] neg_hi:[0,0,1]
	v_mov_b32_e32 v75, v85
	v_pk_fma_f32 v[80:81], v[132:133], v[116:117], v[76:77] op_sel_hi:[1,0,1]
	v_pk_add_f32 v[70:71], v[70:71], v[72:73]
	v_pk_fma_f32 v[72:73], v[134:135], v[118:119], v[82:83] op_sel_hi:[1,0,1]
	v_pk_mul_f32 v[78:79], v[188:189], v[78:79] op_sel_hi:[1,0]
	v_pk_fma_f32 v[76:77], v[132:133], v[116:117], v[76:77] neg_lo:[0,0,1] neg_hi:[0,0,1]
	v_mov_b32_e32 v77, v81
	v_pk_add_f32 v[70:71], v[70:71], v[74:75]
	v_pk_fma_f32 v[80:81], v[134:135], v[118:119], v[82:83] neg_lo:[0,0,1] neg_hi:[0,0,1]
	v_mov_b32_e32 v81, v73
	v_pk_fma_f32 v[72:73], v[136:137], v[120:121], v[78:79] op_sel_hi:[1,0,1]
	s_wait_loadcnt 0x1
	v_pk_mul_f32 v[74:75], v[138:139], v[122:123] op_sel:[1,1] op_sel_hi:[0,1]
	v_pk_add_f32 v[70:71], v[70:71], v[76:77]
	v_mov_b32_e32 v72, v125
	v_pk_fma_f32 v[78:79], v[136:137], v[120:121], v[78:79] neg_lo:[0,0,1] neg_hi:[0,0,1]
	v_mov_b32_e32 v79, v73
	v_pk_fma_f32 v[76:77], v[138:139], v[122:123], v[74:75] op_sel_hi:[1,0,1]
	v_pk_add_f32 v[70:71], v[70:71], v[80:81]
	v_pk_mul_f32 v[72:73], v[190:191], v[72:73] op_sel_hi:[1,0]
	v_pk_fma_f32 v[74:75], v[138:139], v[122:123], v[74:75] neg_lo:[0,0,1] neg_hi:[0,0,1]
	s_delay_alu instid0(VALU_DEP_4) | instskip(NEXT) | instid1(VALU_DEP_4)
	v_mov_b32_e32 v75, v77
	v_pk_add_f32 v[70:71], v[70:71], v[78:79]
	s_delay_alu instid0(VALU_DEP_4) | instskip(SKIP_1) | instid1(VALU_DEP_2)
	v_pk_fma_f32 v[76:77], v[140:141], v[124:125], v[72:73] op_sel_hi:[1,0,1]
	v_pk_fma_f32 v[72:73], v[140:141], v[124:125], v[72:73] neg_lo:[0,0,1] neg_hi:[0,0,1]
	v_mov_b32_e32 v73, v77
	s_delay_alu instid0(VALU_DEP_4) | instskip(NEXT) | instid1(VALU_DEP_1)
	v_pk_add_f32 v[70:71], v[70:71], v[74:75]
	v_pk_add_f32 v[70:71], v[70:71], v[72:73]
	s_wait_loadcnt 0x0
	s_delay_alu instid0(VALU_DEP_1)
	v_pk_add_f32 v[70:71], v[182:183], v[70:71] neg_lo:[0,1] neg_hi:[0,1]
	scratch_store_b64 off, v[70:71], off offset:40
	s_wait_xcnt 0x0
	v_cmpx_lt_u32_e32 4, v0
	s_cbranch_execz .LBB97_209
; %bb.208:
	scratch_load_b64 v[70:71], off, off offset:32
	v_mov_b64_e32 v[72:73], 0
	scratch_store_b64 off, v[72:73], off offset:32
	s_wait_loadcnt 0x0
	ds_store_b64 v1, v[70:71]
.LBB97_209:
	s_wait_xcnt 0x0
	s_or_b32 exec_lo, exec_lo, s0
	s_wait_storecnt_dscnt 0x0
	s_barrier_signal -1
	s_barrier_wait -1
	s_clause 0xf
	scratch_load_b128 v[70:73], off, off offset:40
	scratch_load_b128 v[74:77], off, off offset:56
	;; [unrolled: 1-line block ×14, first 2 shown]
	scratch_load_b64 v[182:183], off, off offset:264
	scratch_load_b64 v[184:185], off, off offset:32
	v_mov_b32_e32 v7, 0
	ds_load_2addr_b64 v[126:129], v7 offset0:59 offset1:60
	ds_load_2addr_b64 v[130:133], v7 offset0:61 offset1:62
	;; [unrolled: 1-line block ×14, first 2 shown]
	ds_load_b64 v[186:187], v7 offset:536
	s_mov_b32 s0, exec_lo
	s_wait_dscnt 0xe
	v_dual_mov_b32 v188, v129 :: v_dual_mov_b32 v189, v128
	s_wait_dscnt 0xb
	v_dual_mov_b32 v190, v133 :: v_dual_mov_b32 v195, v140
	v_dual_mov_b32 v191, v132 :: v_dual_mov_b32 v192, v137
	v_dual_mov_b32 v193, v136 :: v_dual_mov_b32 v194, v141
	s_wait_loadcnt_dscnt 0xf0a
	v_dual_mul_f32 v9, v142, v71 :: v_dual_mul_f32 v47, v143, v71
	v_dual_mul_f32 v49, v145, v73 :: v_dual_mul_f32 v11, v144, v73
	s_wait_loadcnt_dscnt 0xe09
	v_mul_f32_e32 v13, v146, v75
	s_wait_loadcnt_dscnt 0xc07
	v_dual_mul_f32 v59, v155, v83 :: v_dual_fma_f32 v47, v142, v70, -v47
	v_dual_fmac_f32 v9, v143, v70 :: v_dual_mul_f32 v61, v157, v85
	v_dual_mul_f32 v51, v147, v75 :: v_dual_mul_f32 v53, v149, v77
	v_dual_fmac_f32 v11, v145, v72 :: v_dual_fma_f32 v49, v144, v72, -v49
	s_delay_alu instid0(VALU_DEP_3) | instskip(SKIP_3) | instid1(VALU_DEP_3)
	v_dual_add_f32 v9, 0, v9 :: v_dual_add_f32 v47, 0, v47
	v_dual_mul_f32 v15, v148, v77 :: v_dual_mul_f32 v17, v150, v79
	s_wait_loadcnt_dscnt 0xb06
	v_dual_mul_f32 v63, v159, v87 :: v_dual_fma_f32 v51, v146, v74, -v51
	v_dual_fmac_f32 v13, v147, v74 :: v_dual_add_f32 v9, v9, v11
	s_delay_alu instid0(VALU_DEP_3) | instskip(SKIP_2) | instid1(VALU_DEP_3)
	v_dual_add_f32 v11, v47, v49 :: v_dual_fmac_f32 v15, v149, v76
	v_dual_mul_f32 v55, v151, v79 :: v_dual_mul_f32 v57, v153, v81
	v_dual_mul_f32 v47, v161, v89 :: v_dual_fma_f32 v49, v148, v76, -v53
	v_dual_add_f32 v9, v9, v13 :: v_dual_add_f32 v11, v11, v51
	v_dual_mul_f32 v19, v152, v81 :: v_dual_mul_f32 v21, v154, v83
	s_wait_loadcnt_dscnt 0xa05
	v_dual_mul_f32 v13, v163, v91 :: v_dual_fma_f32 v51, v150, v78, -v55
	s_delay_alu instid0(VALU_DEP_3) | instskip(NEXT) | instid1(VALU_DEP_3)
	v_dual_fmac_f32 v17, v151, v78 :: v_dual_add_f32 v9, v9, v15
	v_dual_add_f32 v11, v11, v49 :: v_dual_fmac_f32 v19, v153, v80
	v_dual_mul_f32 v15, v165, v93 :: v_dual_fma_f32 v49, v152, v80, -v57
	s_delay_alu instid0(VALU_DEP_2) | instskip(SKIP_3) | instid1(VALU_DEP_3)
	v_dual_add_f32 v9, v9, v17 :: v_dual_add_f32 v11, v11, v51
	v_dual_mul_f32 v23, v156, v85 :: v_dual_mul_f32 v25, v158, v87
	s_wait_loadcnt_dscnt 0x904
	v_dual_mul_f32 v17, v167, v95 :: v_dual_fma_f32 v51, v154, v82, -v59
	v_dual_fmac_f32 v21, v155, v82 :: v_dual_add_f32 v9, v9, v19
	s_delay_alu instid0(VALU_DEP_3) | instskip(SKIP_1) | instid1(VALU_DEP_2)
	v_dual_add_f32 v11, v11, v49 :: v_dual_fmac_f32 v23, v157, v84
	v_dual_mul_f32 v19, v169, v97 :: v_dual_fma_f32 v49, v156, v84, -v61
	v_dual_add_f32 v9, v9, v21 :: v_dual_add_f32 v11, v11, v51
	v_dual_mul_f32 v27, v160, v89 :: v_dual_mul_f32 v29, v162, v91
	s_wait_loadcnt_dscnt 0x803
	v_dual_mul_f32 v21, v171, v99 :: v_dual_fma_f32 v51, v158, v86, -v63
	s_delay_alu instid0(VALU_DEP_3) | instskip(NEXT) | instid1(VALU_DEP_3)
	v_dual_fmac_f32 v25, v159, v86 :: v_dual_add_f32 v9, v9, v23
	v_dual_add_f32 v11, v11, v49 :: v_dual_fmac_f32 v27, v161, v88
	v_dual_mul_f32 v23, v173, v101 :: v_dual_fma_f32 v47, v160, v88, -v47
	s_delay_alu instid0(VALU_DEP_2) | instskip(SKIP_3) | instid1(VALU_DEP_3)
	v_dual_add_f32 v9, v9, v25 :: v_dual_add_f32 v11, v11, v51
	v_dual_mul_f32 v31, v164, v93 :: v_dual_mul_f32 v33, v166, v95
	s_wait_loadcnt_dscnt 0x702
	v_dual_mul_f32 v25, v175, v103 :: v_dual_fma_f32 v13, v162, v90, -v13
	v_dual_fmac_f32 v29, v163, v90 :: v_dual_add_f32 v9, v9, v27
	v_dual_add_f32 v11, v11, v47 :: v_dual_mul_f32 v27, v177, v105
	v_fmac_f32_e32 v31, v165, v92
	s_delay_alu instid0(VALU_DEP_3) | instskip(NEXT) | instid1(VALU_DEP_3)
	v_dual_fma_f32 v15, v164, v92, -v15 :: v_dual_add_f32 v9, v9, v29
	v_add_f32_e32 v11, v11, v13
	v_dual_mul_f32 v35, v168, v97 :: v_dual_mul_f32 v37, v170, v99
	s_wait_loadcnt_dscnt 0x601
	v_dual_mul_f32 v13, v179, v107 :: v_dual_fma_f32 v17, v166, v94, -v17
	v_dual_fmac_f32 v33, v167, v94 :: v_dual_add_f32 v9, v9, v31
	v_dual_add_f32 v11, v11, v15 :: v_dual_mul_f32 v15, v181, v109
	v_fmac_f32_e32 v35, v169, v96
	s_delay_alu instid0(VALU_DEP_3) | instskip(NEXT) | instid1(VALU_DEP_3)
	v_dual_fma_f32 v19, v168, v96, -v19 :: v_dual_add_f32 v9, v9, v33
	v_add_f32_e32 v11, v11, v17
	v_dual_mul_f32 v39, v172, v101 :: v_dual_mul_f32 v41, v174, v103
	s_wait_loadcnt 0x5
	v_dual_mul_f32 v17, v127, v111 :: v_dual_fma_f32 v21, v170, v98, -v21
	v_dual_fmac_f32 v37, v171, v98 :: v_dual_add_f32 v9, v9, v35
	v_dual_add_f32 v11, v11, v19 :: v_dual_mov_b32 v70, v113
	v_fmac_f32_e32 v39, v173, v100
	s_delay_alu instid0(VALU_DEP_3) | instskip(NEXT) | instid1(VALU_DEP_3)
	v_dual_fma_f32 v19, v172, v100, -v23 :: v_dual_add_f32 v9, v9, v37
	v_add_f32_e32 v11, v11, v21
	v_dual_mul_f32 v43, v176, v105 :: v_dual_mul_f32 v45, v178, v107
	s_delay_alu instid0(VALU_DEP_3) | instskip(NEXT) | instid1(VALU_DEP_3)
	v_dual_fmac_f32 v41, v175, v102 :: v_dual_add_f32 v9, v9, v39
	v_dual_fma_f32 v21, v174, v102, -v25 :: v_dual_add_f32 v11, v11, v19
	s_wait_loadcnt 0x4
	v_dual_mov_b32 v74, v117 :: v_dual_fma_f32 v19, v176, v104, -v27
	v_fmac_f32_e32 v43, v177, v104
	v_dual_add_f32 v9, v9, v41 :: v_dual_fmac_f32 v45, v179, v106
	v_add_f32_e32 v11, v11, v21
	v_dual_mul_f32 v197, v180, v109 :: v_dual_mul_f32 v199, v126, v111
	s_delay_alu instid0(VALU_DEP_3) | instskip(NEXT) | instid1(VALU_DEP_2)
	v_dual_fma_f32 v13, v178, v106, -v13 :: v_dual_add_f32 v9, v9, v43
	v_dual_add_f32 v11, v11, v19 :: v_dual_fmac_f32 v197, v181, v108
	v_fma_f32 v196, v180, v108, -v15
	v_pk_mul_f32 v[70:71], v[188:189], v[70:71] op_sel_hi:[1,0]
	s_delay_alu instid0(VALU_DEP_4)
	v_add_f32_e32 v79, v9, v45
	s_wait_loadcnt 0x3
	v_dual_add_f32 v78, v11, v13 :: v_dual_mov_b32 v80, v121
	v_pk_mul_f32 v[72:73], v[130:131], v[114:115] op_sel:[1,1] op_sel_hi:[0,1]
	v_dual_fmac_f32 v199, v127, v110 :: v_dual_fma_f32 v198, v126, v110, -v17
	v_pk_fma_f32 v[82:83], v[128:129], v[112:113], v[70:71] op_sel_hi:[1,0,1]
	s_delay_alu instid0(VALU_DEP_4)
	v_pk_add_f32 v[78:79], v[78:79], v[196:197]
	v_pk_fma_f32 v[70:71], v[128:129], v[112:113], v[70:71] neg_lo:[0,0,1] neg_hi:[0,0,1]
	v_pk_fma_f32 v[84:85], v[130:131], v[114:115], v[72:73] op_sel_hi:[1,0,1]
	v_pk_mul_f32 v[74:75], v[190:191], v[74:75] op_sel_hi:[1,0]
	v_mov_b32_e32 v71, v83
	v_pk_add_f32 v[78:79], v[78:79], v[198:199]
	v_pk_fma_f32 v[72:73], v[130:131], v[114:115], v[72:73] neg_lo:[0,0,1] neg_hi:[0,0,1]
	v_pk_mul_f32 v[76:77], v[134:135], v[118:119] op_sel:[1,1] op_sel_hi:[0,1]
	v_mov_b32_e32 v73, v85
	v_pk_fma_f32 v[84:85], v[132:133], v[116:117], v[74:75] op_sel_hi:[1,0,1]
	v_pk_add_f32 v[70:71], v[78:79], v[70:71]
	v_pk_fma_f32 v[74:75], v[132:133], v[116:117], v[74:75] neg_lo:[0,0,1] neg_hi:[0,0,1]
	v_pk_fma_f32 v[78:79], v[134:135], v[118:119], v[76:77] op_sel_hi:[1,0,1]
	v_pk_mul_f32 v[80:81], v[192:193], v[80:81] op_sel_hi:[1,0]
	v_mov_b32_e32 v75, v85
	v_pk_add_f32 v[70:71], v[70:71], v[72:73]
	v_pk_fma_f32 v[76:77], v[134:135], v[118:119], v[76:77] neg_lo:[0,0,1] neg_hi:[0,0,1]
	s_wait_loadcnt 0x2
	v_pk_mul_f32 v[82:83], v[138:139], v[122:123] op_sel:[1,1] op_sel_hi:[0,1]
	v_dual_mov_b32 v72, v125 :: v_dual_mov_b32 v77, v79
	v_pk_fma_f32 v[78:79], v[136:137], v[120:121], v[80:81] op_sel_hi:[1,0,1]
	v_pk_add_f32 v[70:71], v[70:71], v[74:75]
	v_pk_fma_f32 v[80:81], v[136:137], v[120:121], v[80:81] neg_lo:[0,0,1] neg_hi:[0,0,1]
	v_pk_fma_f32 v[74:75], v[138:139], v[122:123], v[82:83] op_sel_hi:[1,0,1]
	v_pk_mul_f32 v[72:73], v[194:195], v[72:73] op_sel_hi:[1,0]
	v_mov_b32_e32 v81, v79
	v_pk_add_f32 v[70:71], v[70:71], v[76:77]
	v_pk_fma_f32 v[76:77], v[138:139], v[122:123], v[82:83] neg_lo:[0,0,1] neg_hi:[0,0,1]
	v_mov_b32_e32 v77, v75
	v_pk_fma_f32 v[74:75], v[140:141], v[124:125], v[72:73] op_sel_hi:[1,0,1]
	s_wait_loadcnt_dscnt 0x100
	v_pk_mul_f32 v[78:79], v[186:187], v[182:183] op_sel:[1,1] op_sel_hi:[0,1]
	v_pk_add_f32 v[70:71], v[70:71], v[80:81]
	v_pk_fma_f32 v[72:73], v[140:141], v[124:125], v[72:73] neg_lo:[0,0,1] neg_hi:[0,0,1]
	v_mov_b32_e32 v73, v75
	s_delay_alu instid0(VALU_DEP_4) | instskip(NEXT) | instid1(VALU_DEP_4)
	v_pk_fma_f32 v[74:75], v[186:187], v[182:183], v[78:79] op_sel_hi:[1,0,1]
	v_pk_add_f32 v[70:71], v[70:71], v[76:77]
	v_pk_fma_f32 v[76:77], v[186:187], v[182:183], v[78:79] neg_lo:[0,0,1] neg_hi:[0,0,1]
	s_delay_alu instid0(VALU_DEP_3) | instskip(NEXT) | instid1(VALU_DEP_3)
	v_mov_b32_e32 v77, v75
	v_pk_add_f32 v[70:71], v[70:71], v[72:73]
	s_delay_alu instid0(VALU_DEP_1) | instskip(SKIP_1) | instid1(VALU_DEP_1)
	v_pk_add_f32 v[70:71], v[70:71], v[76:77]
	s_wait_loadcnt 0x0
	v_pk_add_f32 v[70:71], v[184:185], v[70:71] neg_lo:[0,1] neg_hi:[0,1]
	scratch_store_b64 off, v[70:71], off offset:32
	s_wait_xcnt 0x0
	v_cmpx_lt_u32_e32 3, v0
	s_cbranch_execz .LBB97_211
; %bb.210:
	scratch_load_b64 v[70:71], off, off offset:24
	v_mov_b64_e32 v[72:73], 0
	scratch_store_b64 off, v[72:73], off offset:24
	s_wait_loadcnt 0x0
	ds_store_b64 v1, v[70:71]
.LBB97_211:
	s_wait_xcnt 0x0
	s_or_b32 exec_lo, exec_lo, s0
	s_wait_storecnt_dscnt 0x0
	s_barrier_signal -1
	s_barrier_wait -1
	s_clause 0xf
	scratch_load_b128 v[70:73], off, off offset:32
	scratch_load_b128 v[74:77], off, off offset:48
	scratch_load_b128 v[78:81], off, off offset:64
	scratch_load_b128 v[82:85], off, off offset:80
	scratch_load_b128 v[86:89], off, off offset:96
	scratch_load_b128 v[90:93], off, off offset:112
	scratch_load_b128 v[94:97], off, off offset:128
	scratch_load_b128 v[98:101], off, off offset:144
	scratch_load_b128 v[102:105], off, off offset:160
	scratch_load_b128 v[106:109], off, off offset:176
	scratch_load_b128 v[110:113], off, off offset:192
	scratch_load_b128 v[114:117], off, off offset:208
	scratch_load_b128 v[118:121], off, off offset:224
	scratch_load_b128 v[122:125], off, off offset:240
	scratch_load_b128 v[126:129], off, off offset:256
	scratch_load_b64 v[190:191], off, off offset:24
	ds_load_b128 v[130:133], v7 offset:480
	ds_load_b128 v[134:137], v7 offset:496
	;; [unrolled: 1-line block ×15, first 2 shown]
	s_mov_b32 s0, exec_lo
	s_wait_dscnt 0xe
	v_dual_mov_b32 v192, v133 :: v_dual_mov_b32 v193, v132
	s_wait_dscnt 0xd
	v_dual_mov_b32 v194, v137 :: v_dual_mov_b32 v195, v136
	;; [unrolled: 2-line block ×4, first 2 shown]
	s_wait_loadcnt_dscnt 0xf0a
	v_dual_mul_f32 v7, v146, v71 :: v_dual_mul_f32 v9, v148, v73
	v_dual_mul_f32 v47, v147, v71 :: v_dual_mul_f32 v49, v149, v73
	s_wait_loadcnt_dscnt 0xe09
	v_dual_mul_f32 v11, v150, v75 :: v_dual_mul_f32 v13, v152, v77
	s_delay_alu instid0(VALU_DEP_3) | instskip(SKIP_3) | instid1(VALU_DEP_3)
	v_dual_fmac_f32 v7, v147, v70 :: v_dual_fmac_f32 v9, v149, v72
	s_wait_loadcnt_dscnt 0xc06
	v_dual_fma_f32 v47, v146, v70, -v47 :: v_dual_mul_f32 v59, v163, v83
	v_dual_mul_f32 v51, v151, v75 :: v_dual_mul_f32 v53, v153, v77
	v_dual_fma_f32 v49, v148, v72, -v49 :: v_dual_add_f32 v7, 0, v7
	s_delay_alu instid0(VALU_DEP_3) | instskip(SKIP_1) | instid1(VALU_DEP_3)
	v_dual_add_f32 v47, 0, v47 :: v_dual_mul_f32 v61, v165, v85
	v_dual_fmac_f32 v11, v151, v74 :: v_dual_fmac_f32 v13, v153, v76
	v_dual_fma_f32 v51, v150, v74, -v51 :: v_dual_add_f32 v7, v7, v9
	s_delay_alu instid0(VALU_DEP_3) | instskip(SKIP_2) | instid1(VALU_DEP_4)
	v_dual_add_f32 v9, v47, v49 :: v_dual_fma_f32 v49, v152, v76, -v53
	v_dual_mul_f32 v15, v158, v79 :: v_dual_mul_f32 v17, v160, v81
	v_dual_mul_f32 v55, v159, v79 :: v_dual_mul_f32 v57, v161, v81
	v_add_f32_e32 v7, v7, v11
	s_delay_alu instid0(VALU_DEP_3) | instskip(NEXT) | instid1(VALU_DEP_3)
	v_dual_add_f32 v9, v9, v51 :: v_dual_fmac_f32 v15, v159, v78
	v_fma_f32 v51, v158, v78, -v55
	v_dual_mul_f32 v19, v162, v83 :: v_dual_mul_f32 v21, v164, v85
	s_delay_alu instid0(VALU_DEP_4) | instskip(SKIP_2) | instid1(VALU_DEP_2)
	v_dual_add_f32 v7, v7, v13 :: v_dual_fmac_f32 v17, v161, v80
	s_wait_loadcnt_dscnt 0xa04
	v_dual_add_f32 v9, v9, v49 :: v_dual_mul_f32 v13, v171, v91
	v_dual_fma_f32 v49, v160, v80, -v57 :: v_dual_add_f32 v7, v7, v15
	v_mul_f32_e32 v15, v173, v93
	s_delay_alu instid0(VALU_DEP_3) | instskip(NEXT) | instid1(VALU_DEP_3)
	v_dual_add_f32 v9, v9, v51 :: v_dual_fmac_f32 v19, v163, v82
	v_dual_fma_f32 v51, v162, v82, -v59 :: v_dual_add_f32 v7, v7, v17
	v_fmac_f32_e32 v21, v165, v84
	s_wait_loadcnt_dscnt 0x903
	s_delay_alu instid0(VALU_DEP_3) | instskip(SKIP_3) | instid1(VALU_DEP_3)
	v_dual_add_f32 v9, v9, v49 :: v_dual_mul_f32 v17, v175, v95
	v_dual_mul_f32 v23, v166, v87 :: v_dual_mul_f32 v25, v168, v89
	v_dual_mul_f32 v47, v167, v87 :: v_dual_mul_f32 v11, v169, v89
	v_dual_fma_f32 v49, v164, v84, -v61 :: v_dual_add_f32 v7, v7, v19
	v_dual_add_f32 v9, v9, v51 :: v_dual_fmac_f32 v23, v167, v86
	s_delay_alu instid0(VALU_DEP_3) | instskip(NEXT) | instid1(VALU_DEP_3)
	v_dual_mul_f32 v19, v177, v97 :: v_dual_fma_f32 v47, v166, v86, -v47
	v_dual_add_f32 v7, v7, v21 :: v_dual_fmac_f32 v25, v169, v88
	s_wait_loadcnt_dscnt 0x802
	s_delay_alu instid0(VALU_DEP_3) | instskip(SKIP_1) | instid1(VALU_DEP_3)
	v_dual_add_f32 v9, v9, v49 :: v_dual_mul_f32 v21, v179, v99
	v_dual_mul_f32 v27, v170, v91 :: v_dual_mul_f32 v29, v172, v93
	v_dual_fma_f32 v11, v168, v88, -v11 :: v_dual_add_f32 v7, v7, v23
	s_delay_alu instid0(VALU_DEP_2) | instskip(SKIP_1) | instid1(VALU_DEP_2)
	v_dual_add_f32 v9, v9, v47 :: v_dual_fmac_f32 v27, v171, v90
	v_dual_mul_f32 v23, v181, v101 :: v_dual_fma_f32 v13, v170, v90, -v13
	v_dual_add_f32 v7, v7, v25 :: v_dual_add_f32 v9, v9, v11
	v_dual_mul_f32 v31, v174, v95 :: v_dual_mul_f32 v33, v176, v97
	s_wait_loadcnt_dscnt 0x701
	v_dual_mul_f32 v11, v183, v103 :: v_dual_fmac_f32 v29, v173, v92
	s_delay_alu instid0(VALU_DEP_3) | instskip(NEXT) | instid1(VALU_DEP_3)
	v_dual_fma_f32 v15, v172, v92, -v15 :: v_dual_add_f32 v7, v7, v27
	v_dual_add_f32 v9, v9, v13 :: v_dual_fmac_f32 v31, v175, v94
	v_dual_mul_f32 v13, v185, v105 :: v_dual_fma_f32 v17, v174, v94, -v17
	s_delay_alu instid0(VALU_DEP_2) | instskip(SKIP_3) | instid1(VALU_DEP_3)
	v_dual_add_f32 v7, v7, v29 :: v_dual_add_f32 v9, v9, v15
	v_dual_mul_f32 v35, v178, v99 :: v_dual_mul_f32 v37, v180, v101
	s_wait_loadcnt_dscnt 0x600
	v_dual_mul_f32 v15, v187, v107 :: v_dual_fmac_f32 v33, v177, v96
	v_dual_fma_f32 v19, v176, v96, -v19 :: v_dual_add_f32 v7, v7, v31
	s_delay_alu instid0(VALU_DEP_3) | instskip(SKIP_1) | instid1(VALU_DEP_2)
	v_dual_add_f32 v9, v9, v17 :: v_dual_fmac_f32 v35, v179, v98
	v_dual_mul_f32 v17, v189, v109 :: v_dual_fma_f32 v21, v178, v98, -v21
	v_dual_add_f32 v7, v7, v33 :: v_dual_add_f32 v9, v9, v19
	v_dual_mul_f32 v39, v182, v103 :: v_dual_mul_f32 v41, v184, v105
	s_wait_loadcnt 0x5
	v_dual_mul_f32 v19, v155, v111 :: v_dual_fmac_f32 v37, v181, v100
	s_delay_alu instid0(VALU_DEP_3) | instskip(NEXT) | instid1(VALU_DEP_3)
	v_dual_fma_f32 v23, v180, v100, -v23 :: v_dual_add_f32 v7, v7, v35
	v_dual_add_f32 v9, v9, v21 :: v_dual_fmac_f32 v39, v183, v102
	v_dual_mul_f32 v21, v157, v113 :: v_dual_fma_f32 v11, v182, v102, -v11
	s_delay_alu instid0(VALU_DEP_2) | instskip(SKIP_1) | instid1(VALU_DEP_2)
	v_dual_add_f32 v7, v7, v37 :: v_dual_add_f32 v9, v9, v23
	v_dual_mul_f32 v43, v186, v107 :: v_dual_mul_f32 v45, v188, v109
	v_dual_fmac_f32 v41, v185, v104 :: v_dual_add_f32 v7, v7, v39
	s_delay_alu instid0(VALU_DEP_3) | instskip(SKIP_1) | instid1(VALU_DEP_3)
	v_dual_fma_f32 v13, v184, v104, -v13 :: v_dual_add_f32 v9, v9, v11
	s_wait_loadcnt 0x4
	v_dual_mov_b32 v72, v117 :: v_dual_fmac_f32 v43, v187, v106
	s_delay_alu instid0(VALU_DEP_3) | instskip(NEXT) | instid1(VALU_DEP_3)
	v_dual_fma_f32 v11, v186, v106, -v15 :: v_dual_add_f32 v7, v7, v41
	v_dual_add_f32 v9, v9, v13 :: v_dual_fma_f32 v13, v188, v108, -v17
	v_dual_mul_f32 v201, v154, v111 :: v_dual_mul_f32 v203, v156, v113
	s_delay_alu instid0(VALU_DEP_3) | instskip(NEXT) | instid1(VALU_DEP_2)
	v_dual_fmac_f32 v45, v189, v108 :: v_dual_add_f32 v7, v7, v43
	v_dual_add_f32 v9, v9, v11 :: v_dual_fmac_f32 v201, v155, v110
	v_pk_mul_f32 v[70:71], v[130:131], v[114:115] op_sel:[1,1] op_sel_hi:[0,1]
	s_wait_loadcnt 0x3
	v_dual_mov_b32 v76, v121 :: v_dual_fma_f32 v200, v154, v110, -v19
	v_dual_add_f32 v79, v7, v45 :: v_dual_fmac_f32 v203, v157, v112
	v_dual_add_f32 v78, v9, v13 :: v_dual_fma_f32 v202, v156, v112, -v21
	v_pk_fma_f32 v[80:81], v[130:131], v[114:115], v[70:71] op_sel_hi:[1,0,1]
	v_pk_mul_f32 v[72:73], v[192:193], v[72:73] op_sel_hi:[1,0]
	v_pk_fma_f32 v[70:71], v[130:131], v[114:115], v[70:71] neg_lo:[0,0,1] neg_hi:[0,0,1]
	s_delay_alu instid0(VALU_DEP_4)
	v_pk_add_f32 v[78:79], v[78:79], v[200:201]
	v_pk_mul_f32 v[74:75], v[134:135], v[118:119] op_sel:[1,1] op_sel_hi:[0,1]
	v_mov_b32_e32 v71, v81
	v_pk_fma_f32 v[80:81], v[132:133], v[116:117], v[72:73] op_sel_hi:[1,0,1]
	v_pk_fma_f32 v[72:73], v[132:133], v[116:117], v[72:73] neg_lo:[0,0,1] neg_hi:[0,0,1]
	v_pk_add_f32 v[78:79], v[78:79], v[202:203]
	v_pk_fma_f32 v[84:85], v[134:135], v[118:119], v[74:75] op_sel_hi:[1,0,1]
	v_pk_mul_f32 v[76:77], v[194:195], v[76:77] op_sel_hi:[1,0]
	v_mov_b32_e32 v73, v81
	s_wait_loadcnt 0x2
	v_pk_mul_f32 v[82:83], v[138:139], v[122:123] op_sel:[1,1] op_sel_hi:[0,1]
	v_pk_add_f32 v[70:71], v[78:79], v[70:71]
	v_mov_b32_e32 v78, v125
	v_pk_fma_f32 v[74:75], v[134:135], v[118:119], v[74:75] neg_lo:[0,0,1] neg_hi:[0,0,1]
	v_mov_b32_e32 v75, v85
	v_pk_fma_f32 v[80:81], v[136:137], v[120:121], v[76:77] op_sel_hi:[1,0,1]
	v_pk_add_f32 v[70:71], v[70:71], v[72:73]
	v_pk_fma_f32 v[72:73], v[138:139], v[122:123], v[82:83] op_sel_hi:[1,0,1]
	v_pk_mul_f32 v[78:79], v[196:197], v[78:79] op_sel_hi:[1,0]
	v_pk_fma_f32 v[76:77], v[136:137], v[120:121], v[76:77] neg_lo:[0,0,1] neg_hi:[0,0,1]
	v_mov_b32_e32 v77, v81
	v_pk_add_f32 v[70:71], v[70:71], v[74:75]
	v_pk_fma_f32 v[80:81], v[138:139], v[122:123], v[82:83] neg_lo:[0,0,1] neg_hi:[0,0,1]
	v_mov_b32_e32 v81, v73
	v_pk_fma_f32 v[72:73], v[140:141], v[124:125], v[78:79] op_sel_hi:[1,0,1]
	s_wait_loadcnt 0x1
	v_pk_mul_f32 v[74:75], v[142:143], v[126:127] op_sel:[1,1] op_sel_hi:[0,1]
	v_pk_add_f32 v[70:71], v[70:71], v[76:77]
	v_mov_b32_e32 v72, v129
	v_pk_fma_f32 v[78:79], v[140:141], v[124:125], v[78:79] neg_lo:[0,0,1] neg_hi:[0,0,1]
	v_mov_b32_e32 v79, v73
	v_pk_fma_f32 v[76:77], v[142:143], v[126:127], v[74:75] op_sel_hi:[1,0,1]
	v_pk_add_f32 v[70:71], v[70:71], v[80:81]
	v_pk_mul_f32 v[72:73], v[198:199], v[72:73] op_sel_hi:[1,0]
	v_pk_fma_f32 v[74:75], v[142:143], v[126:127], v[74:75] neg_lo:[0,0,1] neg_hi:[0,0,1]
	s_delay_alu instid0(VALU_DEP_4) | instskip(NEXT) | instid1(VALU_DEP_4)
	v_mov_b32_e32 v75, v77
	v_pk_add_f32 v[70:71], v[70:71], v[78:79]
	s_delay_alu instid0(VALU_DEP_4) | instskip(SKIP_1) | instid1(VALU_DEP_2)
	v_pk_fma_f32 v[76:77], v[144:145], v[128:129], v[72:73] op_sel_hi:[1,0,1]
	v_pk_fma_f32 v[72:73], v[144:145], v[128:129], v[72:73] neg_lo:[0,0,1] neg_hi:[0,0,1]
	v_mov_b32_e32 v73, v77
	s_delay_alu instid0(VALU_DEP_4) | instskip(NEXT) | instid1(VALU_DEP_1)
	v_pk_add_f32 v[70:71], v[70:71], v[74:75]
	v_pk_add_f32 v[70:71], v[70:71], v[72:73]
	s_wait_loadcnt 0x0
	s_delay_alu instid0(VALU_DEP_1)
	v_pk_add_f32 v[70:71], v[190:191], v[70:71] neg_lo:[0,1] neg_hi:[0,1]
	scratch_store_b64 off, v[70:71], off offset:24
	s_wait_xcnt 0x0
	v_cmpx_lt_u32_e32 2, v0
	s_cbranch_execz .LBB97_213
; %bb.212:
	scratch_load_b64 v[70:71], off, off offset:16
	v_mov_b64_e32 v[72:73], 0
	scratch_store_b64 off, v[72:73], off offset:16
	s_wait_loadcnt 0x0
	ds_store_b64 v1, v[70:71]
.LBB97_213:
	s_wait_xcnt 0x0
	s_or_b32 exec_lo, exec_lo, s0
	s_wait_storecnt_dscnt 0x0
	s_barrier_signal -1
	s_barrier_wait -1
	s_clause 0x10
	scratch_load_b128 v[70:73], off, off offset:24
	scratch_load_b128 v[74:77], off, off offset:40
	;; [unrolled: 1-line block ×15, first 2 shown]
	scratch_load_b64 v[190:191], off, off offset:264
	scratch_load_b64 v[192:193], off, off offset:16
	v_mov_b32_e32 v49, 0
	ds_load_2addr_b64 v[130:133], v49 offset0:59 offset1:60
	ds_load_2addr_b64 v[134:137], v49 offset0:61 offset1:62
	;; [unrolled: 1-line block ×15, first 2 shown]
	ds_load_b64 v[194:195], v49 offset:536
	s_mov_b32 s0, exec_lo
	s_wait_dscnt 0xf
	v_dual_mov_b32 v196, v133 :: v_dual_mov_b32 v197, v132
	s_wait_dscnt 0xc
	v_dual_mov_b32 v198, v137 :: v_dual_mov_b32 v203, v144
	v_dual_mov_b32 v199, v136 :: v_dual_mov_b32 v200, v141
	;; [unrolled: 1-line block ×3, first 2 shown]
	s_wait_loadcnt_dscnt 0x100b
	v_dual_mul_f32 v7, v146, v71 :: v_dual_mul_f32 v51, v147, v71
	v_dual_mul_f32 v53, v149, v73 :: v_dual_mul_f32 v9, v148, v73
	s_wait_loadcnt_dscnt 0xf09
	v_mul_f32_e32 v11, v154, v75
	s_wait_loadcnt_dscnt 0xd07
	v_dual_mul_f32 v63, v163, v83 :: v_dual_fma_f32 v51, v146, v70, -v51
	v_dual_fmac_f32 v7, v147, v70 :: v_dual_mul_f32 v65, v165, v85
	v_dual_mul_f32 v55, v155, v75 :: v_dual_mul_f32 v57, v157, v77
	s_delay_alu instid0(VALU_DEP_2) | instskip(NEXT) | instid1(VALU_DEP_4)
	v_dual_fmac_f32 v9, v149, v72 :: v_dual_add_f32 v7, 0, v7
	v_dual_fma_f32 v53, v148, v72, -v53 :: v_dual_add_f32 v51, 0, v51
	v_dual_mul_f32 v13, v156, v77 :: v_dual_mul_f32 v15, v158, v79
	s_wait_loadcnt_dscnt 0xc06
	v_dual_mul_f32 v67, v167, v87 :: v_dual_fma_f32 v55, v154, v74, -v55
	v_fmac_f32_e32 v11, v155, v74
	s_delay_alu instid0(VALU_DEP_3) | instskip(SKIP_2) | instid1(VALU_DEP_3)
	v_dual_add_f32 v7, v7, v9 :: v_dual_fmac_f32 v13, v157, v76
	v_dual_add_f32 v9, v51, v53 :: v_dual_fma_f32 v53, v156, v76, -v57
	v_dual_mul_f32 v59, v159, v79 :: v_dual_mul_f32 v61, v161, v81
	v_dual_mul_f32 v51, v169, v89 :: v_dual_add_f32 v7, v7, v11
	s_delay_alu instid0(VALU_DEP_3) | instskip(SKIP_2) | instid1(VALU_DEP_2)
	v_dual_add_f32 v9, v9, v55 :: v_dual_fmac_f32 v15, v159, v78
	v_dual_mul_f32 v17, v160, v81 :: v_dual_mul_f32 v19, v162, v83
	s_wait_loadcnt_dscnt 0xb05
	v_dual_mul_f32 v11, v171, v91 :: v_dual_add_f32 v9, v9, v53
	v_dual_fma_f32 v55, v158, v78, -v59 :: v_dual_add_f32 v7, v7, v13
	s_delay_alu instid0(VALU_DEP_3) | instskip(SKIP_1) | instid1(VALU_DEP_3)
	v_fmac_f32_e32 v17, v161, v80
	v_dual_mul_f32 v13, v173, v93 :: v_dual_fma_f32 v53, v160, v80, -v61
	v_dual_add_f32 v9, v9, v55 :: v_dual_fmac_f32 v19, v163, v82
	s_delay_alu instid0(VALU_DEP_4) | instskip(SKIP_2) | instid1(VALU_DEP_3)
	v_dual_add_f32 v7, v7, v15 :: v_dual_fma_f32 v55, v162, v82, -v63
	v_dual_mul_f32 v21, v164, v85 :: v_dual_mul_f32 v23, v166, v87
	s_wait_loadcnt_dscnt 0xa04
	v_dual_mul_f32 v15, v175, v95 :: v_dual_add_f32 v9, v9, v53
	s_delay_alu instid0(VALU_DEP_2) | instskip(SKIP_1) | instid1(VALU_DEP_3)
	v_dual_add_f32 v7, v7, v17 :: v_dual_fmac_f32 v21, v165, v84
	v_dual_mul_f32 v17, v177, v97 :: v_dual_fma_f32 v53, v164, v84, -v65
	v_dual_add_f32 v9, v9, v55 :: v_dual_fmac_f32 v23, v167, v86
	s_delay_alu instid0(VALU_DEP_3) | instskip(SKIP_2) | instid1(VALU_DEP_3)
	v_dual_add_f32 v7, v7, v19 :: v_dual_fma_f32 v55, v166, v86, -v67
	v_dual_mul_f32 v25, v168, v89 :: v_dual_mul_f32 v27, v170, v91
	s_wait_loadcnt_dscnt 0x903
	v_dual_mul_f32 v19, v179, v99 :: v_dual_add_f32 v9, v9, v53
	s_delay_alu instid0(VALU_DEP_2) | instskip(SKIP_1) | instid1(VALU_DEP_3)
	v_dual_add_f32 v7, v7, v21 :: v_dual_fmac_f32 v25, v169, v88
	v_dual_mul_f32 v21, v181, v101 :: v_dual_fma_f32 v51, v168, v88, -v51
	v_dual_add_f32 v9, v9, v55 :: v_dual_fmac_f32 v27, v171, v90
	s_delay_alu instid0(VALU_DEP_3) | instskip(SKIP_1) | instid1(VALU_DEP_2)
	v_dual_add_f32 v7, v7, v23 :: v_dual_fma_f32 v11, v170, v90, -v11
	v_dual_mul_f32 v29, v172, v93 :: v_dual_mul_f32 v31, v174, v95
	v_dual_add_f32 v9, v9, v51 :: v_dual_add_f32 v7, v7, v25
	v_fma_f32 v13, v172, v92, -v13
	s_delay_alu instid0(VALU_DEP_3) | instskip(SKIP_1) | instid1(VALU_DEP_4)
	v_dual_fmac_f32 v29, v173, v92 :: v_dual_mul_f32 v33, v176, v97
	v_mul_f32_e32 v35, v178, v99
	v_add_f32_e32 v7, v7, v27
	v_add_f32_e32 v9, v9, v11
	s_wait_loadcnt_dscnt 0x701
	v_dual_mul_f32 v11, v187, v107 :: v_dual_fma_f32 v15, v174, v94, -v15
	v_fmac_f32_e32 v31, v175, v94
	v_dual_add_f32 v7, v7, v29 :: v_dual_fmac_f32 v33, v177, v96
	v_add_f32_e32 v9, v9, v13
	v_dual_mul_f32 v13, v189, v109 :: v_dual_fma_f32 v17, v176, v96, -v17
	s_delay_alu instid0(VALU_DEP_3) | instskip(NEXT) | instid1(VALU_DEP_3)
	v_dual_add_f32 v7, v7, v31 :: v_dual_fma_f32 v19, v178, v98, -v19
	v_dual_add_f32 v9, v9, v15 :: v_dual_fmac_f32 v35, v179, v98
	v_dual_mul_f32 v37, v180, v101 :: v_dual_mul_f32 v39, v182, v103
	s_wait_loadcnt 0x6
	s_delay_alu instid0(VALU_DEP_2) | instskip(NEXT) | instid1(VALU_DEP_2)
	v_dual_mul_f32 v15, v151, v111 :: v_dual_add_f32 v9, v9, v17
	v_dual_add_f32 v7, v7, v33 :: v_dual_fmac_f32 v37, v181, v100
	v_dual_mul_f32 v23, v183, v103 :: v_dual_mul_f32 v25, v185, v105
	v_dual_mul_f32 v17, v153, v113 :: v_dual_fma_f32 v21, v180, v100, -v21
	s_delay_alu instid0(VALU_DEP_2) | instskip(SKIP_3) | instid1(VALU_DEP_2)
	v_dual_add_f32 v7, v7, v35 :: v_dual_fma_f32 v23, v182, v102, -v23
	v_dual_add_f32 v9, v9, v19 :: v_dual_fmac_f32 v39, v183, v102
	v_dual_mul_f32 v41, v184, v105 :: v_dual_mul_f32 v43, v186, v107
	s_wait_loadcnt 0x5
	v_dual_mul_f32 v19, v131, v115 :: v_dual_add_f32 v9, v9, v21
	v_dual_add_f32 v7, v7, v37 :: v_dual_mov_b32 v70, v117
	s_delay_alu instid0(VALU_DEP_3) | instskip(NEXT) | instid1(VALU_DEP_3)
	v_fmac_f32_e32 v41, v185, v104
	v_dual_fma_f32 v21, v184, v104, -v25 :: v_dual_add_f32 v9, v9, v23
	s_delay_alu instid0(VALU_DEP_3) | instskip(SKIP_1) | instid1(VALU_DEP_3)
	v_dual_add_f32 v7, v7, v39 :: v_dual_mul_f32 v45, v188, v109
	v_dual_mul_f32 v47, v150, v111 :: v_dual_fmac_f32 v43, v187, v106
	v_dual_add_f32 v9, v9, v21 :: v_dual_fma_f32 v11, v186, v106, -v11
	s_wait_loadcnt 0x4
	s_delay_alu instid0(VALU_DEP_3) | instskip(SKIP_3) | instid1(VALU_DEP_4)
	v_dual_add_f32 v7, v7, v41 :: v_dual_mov_b32 v74, v121
	v_fma_f32 v13, v188, v108, -v13
	v_fmac_f32_e32 v45, v189, v108
	v_dual_add_f32 v9, v9, v11 :: v_dual_fmac_f32 v47, v151, v110
	v_dual_add_f32 v7, v7, v43 :: v_dual_mul_f32 v205, v152, v113
	v_mul_f32_e32 v207, v130, v115
	s_delay_alu instid0(VALU_DEP_3) | instskip(NEXT) | instid1(VALU_DEP_3)
	v_dual_fma_f32 v11, v150, v110, -v15 :: v_dual_add_f32 v9, v9, v13
	v_dual_fma_f32 v204, v152, v112, -v17 :: v_dual_add_f32 v7, v7, v45
	s_delay_alu instid0(VALU_DEP_4) | instskip(SKIP_1) | instid1(VALU_DEP_4)
	v_fmac_f32_e32 v205, v153, v112
	v_pk_mul_f32 v[70:71], v[196:197], v[70:71] op_sel_hi:[1,0]
	v_dual_add_f32 v78, v9, v11 :: v_dual_fmac_f32 v207, v131, v114
	s_delay_alu instid0(VALU_DEP_4)
	v_add_f32_e32 v79, v7, v47
	v_pk_mul_f32 v[72:73], v[134:135], v[118:119] op_sel:[1,1] op_sel_hi:[0,1]
	s_wait_loadcnt 0x3
	v_dual_mov_b32 v80, v125 :: v_dual_fma_f32 v206, v130, v114, -v19
	v_pk_fma_f32 v[82:83], v[132:133], v[116:117], v[70:71] op_sel_hi:[1,0,1]
	v_pk_add_f32 v[78:79], v[78:79], v[204:205]
	v_pk_fma_f32 v[70:71], v[132:133], v[116:117], v[70:71] neg_lo:[0,0,1] neg_hi:[0,0,1]
	v_pk_fma_f32 v[84:85], v[134:135], v[118:119], v[72:73] op_sel_hi:[1,0,1]
	v_pk_mul_f32 v[74:75], v[198:199], v[74:75] op_sel_hi:[1,0]
	v_mov_b32_e32 v71, v83
	v_pk_add_f32 v[78:79], v[78:79], v[206:207]
	v_pk_fma_f32 v[72:73], v[134:135], v[118:119], v[72:73] neg_lo:[0,0,1] neg_hi:[0,0,1]
	v_pk_mul_f32 v[76:77], v[138:139], v[122:123] op_sel:[1,1] op_sel_hi:[0,1]
	v_mov_b32_e32 v73, v85
	v_pk_fma_f32 v[84:85], v[136:137], v[120:121], v[74:75] op_sel_hi:[1,0,1]
	v_pk_add_f32 v[70:71], v[78:79], v[70:71]
	v_pk_fma_f32 v[74:75], v[136:137], v[120:121], v[74:75] neg_lo:[0,0,1] neg_hi:[0,0,1]
	v_pk_fma_f32 v[78:79], v[138:139], v[122:123], v[76:77] op_sel_hi:[1,0,1]
	v_pk_mul_f32 v[80:81], v[200:201], v[80:81] op_sel_hi:[1,0]
	v_mov_b32_e32 v75, v85
	v_pk_add_f32 v[70:71], v[70:71], v[72:73]
	v_pk_fma_f32 v[76:77], v[138:139], v[122:123], v[76:77] neg_lo:[0,0,1] neg_hi:[0,0,1]
	s_wait_loadcnt 0x2
	v_pk_mul_f32 v[82:83], v[142:143], v[126:127] op_sel:[1,1] op_sel_hi:[0,1]
	v_dual_mov_b32 v72, v129 :: v_dual_mov_b32 v77, v79
	v_pk_fma_f32 v[78:79], v[140:141], v[124:125], v[80:81] op_sel_hi:[1,0,1]
	v_pk_add_f32 v[70:71], v[70:71], v[74:75]
	v_pk_fma_f32 v[80:81], v[140:141], v[124:125], v[80:81] neg_lo:[0,0,1] neg_hi:[0,0,1]
	v_pk_fma_f32 v[74:75], v[142:143], v[126:127], v[82:83] op_sel_hi:[1,0,1]
	v_pk_mul_f32 v[72:73], v[202:203], v[72:73] op_sel_hi:[1,0]
	v_mov_b32_e32 v81, v79
	v_pk_add_f32 v[70:71], v[70:71], v[76:77]
	v_pk_fma_f32 v[76:77], v[142:143], v[126:127], v[82:83] neg_lo:[0,0,1] neg_hi:[0,0,1]
	v_mov_b32_e32 v77, v75
	v_pk_fma_f32 v[74:75], v[144:145], v[128:129], v[72:73] op_sel_hi:[1,0,1]
	s_wait_loadcnt_dscnt 0x100
	v_pk_mul_f32 v[78:79], v[194:195], v[190:191] op_sel:[1,1] op_sel_hi:[0,1]
	v_pk_add_f32 v[70:71], v[70:71], v[80:81]
	v_pk_fma_f32 v[72:73], v[144:145], v[128:129], v[72:73] neg_lo:[0,0,1] neg_hi:[0,0,1]
	v_mov_b32_e32 v73, v75
	s_delay_alu instid0(VALU_DEP_4) | instskip(NEXT) | instid1(VALU_DEP_4)
	v_pk_fma_f32 v[74:75], v[194:195], v[190:191], v[78:79] op_sel_hi:[1,0,1]
	v_pk_add_f32 v[70:71], v[70:71], v[76:77]
	v_pk_fma_f32 v[76:77], v[194:195], v[190:191], v[78:79] neg_lo:[0,0,1] neg_hi:[0,0,1]
	s_delay_alu instid0(VALU_DEP_3) | instskip(NEXT) | instid1(VALU_DEP_3)
	v_mov_b32_e32 v77, v75
	v_pk_add_f32 v[70:71], v[70:71], v[72:73]
	s_delay_alu instid0(VALU_DEP_1) | instskip(SKIP_1) | instid1(VALU_DEP_1)
	v_pk_add_f32 v[70:71], v[70:71], v[76:77]
	s_wait_loadcnt 0x0
	v_pk_add_f32 v[70:71], v[192:193], v[70:71] neg_lo:[0,1] neg_hi:[0,1]
	scratch_store_b64 off, v[70:71], off offset:16
	s_wait_xcnt 0x0
	v_cmpx_lt_u32_e32 1, v0
	s_cbranch_execz .LBB97_215
; %bb.214:
	scratch_load_b64 v[70:71], off, off offset:8
	v_mov_b64_e32 v[72:73], 0
	scratch_store_b64 off, v[72:73], off offset:8
	s_wait_loadcnt 0x0
	ds_store_b64 v1, v[70:71]
.LBB97_215:
	s_wait_xcnt 0x0
	s_or_b32 exec_lo, exec_lo, s0
	s_wait_storecnt_dscnt 0x0
	s_barrier_signal -1
	s_barrier_wait -1
	s_clause 0x10
	scratch_load_b128 v[70:73], off, off offset:16
	scratch_load_b128 v[74:77], off, off offset:32
	;; [unrolled: 1-line block ×16, first 2 shown]
	scratch_load_b64 v[198:199], off, off offset:8
	ds_load_b128 v[134:137], v49 offset:480
	ds_load_b128 v[138:141], v49 offset:496
	;; [unrolled: 1-line block ×16, first 2 shown]
	v_ashrrev_i32_e32 v47, 31, v46
	v_dual_ashrrev_i32 v7, 31, v6 :: v_dual_ashrrev_i32 v9, 31, v8
	v_dual_ashrrev_i32 v11, 31, v10 :: v_dual_ashrrev_i32 v13, 31, v12
	;; [unrolled: 1-line block ×7, first 2 shown]
	s_wait_dscnt 0xf
	v_dual_mov_b32 v200, v137 :: v_dual_mov_b32 v201, v136
	s_wait_dscnt 0xc
	v_dual_mov_b32 v202, v141 :: v_dual_mov_b32 v207, v148
	v_dual_mov_b32 v203, v140 :: v_dual_mov_b32 v204, v145
	;; [unrolled: 1-line block ×3, first 2 shown]
	v_dual_ashrrev_i32 v35, 31, v34 :: v_dual_ashrrev_i32 v37, 31, v36
	v_dual_ashrrev_i32 v39, 31, v38 :: v_dual_ashrrev_i32 v41, 31, v40
	;; [unrolled: 1-line block ×3, first 2 shown]
	s_mov_b32 s0, exec_lo
	s_wait_loadcnt_dscnt 0x100b
	v_dual_mul_f32 v49, v150, v71 :: v_dual_mul_f32 v51, v152, v73
	s_wait_loadcnt_dscnt 0xe09
	v_dual_mul_f32 v53, v154, v75 :: v_dual_mul_f32 v59, v160, v81
	s_wait_loadcnt_dscnt 0xd08
	v_dual_mul_f32 v61, v162, v83 :: v_dual_mul_f32 v73, v153, v73
	v_mul_f32_e32 v75, v155, v75
	v_dual_mul_f32 v71, v151, v71 :: v_dual_mul_f32 v81, v161, v81
	v_dual_fmac_f32 v49, v151, v70 :: v_dual_fmac_f32 v51, v153, v72
	s_delay_alu instid0(VALU_DEP_4) | instskip(SKIP_1) | instid1(VALU_DEP_3)
	v_fma_f32 v72, v152, v72, -v73
	s_wait_loadcnt_dscnt 0x500
	v_dual_mul_f32 v211, v196, v117 :: v_dual_fma_f32 v70, v150, v70, -v71
	s_delay_alu instid0(VALU_DEP_3) | instskip(SKIP_1) | instid1(VALU_DEP_3)
	v_dual_mul_f32 v71, v163, v83 :: v_dual_add_f32 v49, 0, v49
	v_dual_mul_f32 v55, v156, v77 :: v_dual_mul_f32 v57, v158, v79
	v_dual_add_f32 v70, 0, v70 :: v_dual_mul_f32 v77, v157, v77
	v_dual_mul_f32 v79, v159, v79 :: v_dual_mul_f32 v73, v165, v85
	v_dual_fmac_f32 v53, v155, v74 :: v_dual_fma_f32 v74, v154, v74, -v75
	s_delay_alu instid0(VALU_DEP_3) | instskip(SKIP_1) | instid1(VALU_DEP_2)
	v_dual_add_f32 v49, v49, v51 :: v_dual_add_f32 v51, v70, v72
	v_dual_mul_f32 v70, v167, v87 :: v_dual_fmac_f32 v55, v157, v76
	v_dual_fma_f32 v72, v156, v76, -v77 :: v_dual_add_f32 v49, v49, v53
	s_delay_alu instid0(VALU_DEP_3) | instskip(SKIP_1) | instid1(VALU_DEP_2)
	v_dual_add_f32 v51, v51, v74 :: v_dual_mul_f32 v53, v169, v89
	v_dual_fmac_f32 v57, v159, v78 :: v_dual_fma_f32 v74, v158, v78, -v79
	v_dual_add_f32 v49, v49, v55 :: v_dual_add_f32 v51, v51, v72
	v_dual_mul_f32 v55, v171, v91 :: v_dual_fmac_f32 v59, v161, v80
	v_dual_mul_f32 v63, v164, v85 :: v_dual_mul_f32 v65, v166, v87
	s_delay_alu instid0(VALU_DEP_3) | instskip(NEXT) | instid1(VALU_DEP_4)
	v_dual_add_f32 v49, v49, v57 :: v_dual_fma_f32 v72, v160, v80, -v81
	v_dual_add_f32 v51, v51, v74 :: v_dual_mul_f32 v57, v173, v93
	v_dual_fmac_f32 v61, v163, v82 :: v_dual_fma_f32 v71, v162, v82, -v71
	s_delay_alu instid0(VALU_DEP_2) | instskip(SKIP_2) | instid1(VALU_DEP_3)
	v_dual_add_f32 v49, v49, v59 :: v_dual_add_f32 v51, v51, v72
	v_dual_mul_f32 v59, v175, v95 :: v_dual_fmac_f32 v63, v165, v84
	v_dual_mul_f32 v67, v168, v89 :: v_dual_mul_f32 v69, v170, v91
	v_dual_add_f32 v49, v49, v61 :: v_dual_fma_f32 v72, v164, v84, -v73
	s_delay_alu instid0(VALU_DEP_4) | instskip(SKIP_1) | instid1(VALU_DEP_2)
	v_dual_add_f32 v51, v51, v71 :: v_dual_mul_f32 v61, v177, v97
	v_dual_fmac_f32 v65, v167, v86 :: v_dual_fma_f32 v70, v166, v86, -v70
	v_dual_add_f32 v49, v49, v63 :: v_dual_add_f32 v51, v51, v72
	v_dual_mul_f32 v63, v179, v99 :: v_dual_fmac_f32 v67, v169, v88
	v_dual_mul_f32 v208, v172, v93 :: v_dual_mul_f32 v210, v174, v95
	s_delay_alu instid0(VALU_DEP_3) | instskip(NEXT) | instid1(VALU_DEP_4)
	v_dual_add_f32 v49, v49, v65 :: v_dual_fma_f32 v53, v168, v88, -v53
	v_dual_add_f32 v51, v51, v70 :: v_dual_mul_f32 v65, v181, v101
	v_dual_fmac_f32 v69, v171, v90 :: v_dual_fma_f32 v55, v170, v90, -v55
	s_delay_alu instid0(VALU_DEP_2) | instskip(SKIP_1) | instid1(VALU_DEP_2)
	v_dual_add_f32 v49, v49, v67 :: v_dual_add_f32 v51, v51, v53
	v_dual_fmac_f32 v208, v173, v92 :: v_dual_mul_f32 v53, v183, v103
	v_dual_fma_f32 v57, v172, v92, -v57 :: v_dual_add_f32 v49, v49, v69
	s_delay_alu instid0(VALU_DEP_3) | instskip(SKIP_2) | instid1(VALU_DEP_3)
	v_dual_add_f32 v51, v51, v55 :: v_dual_mul_f32 v212, v176, v97
	v_dual_mul_f32 v213, v178, v99 :: v_dual_mul_f32 v55, v185, v105
	v_dual_fmac_f32 v210, v175, v94 :: v_dual_fma_f32 v59, v174, v94, -v59
	v_dual_add_f32 v49, v49, v208 :: v_dual_add_f32 v51, v51, v57
	s_delay_alu instid0(VALU_DEP_4) | instskip(NEXT) | instid1(VALU_DEP_2)
	v_dual_fmac_f32 v212, v177, v96 :: v_dual_mul_f32 v57, v187, v107
	v_dual_fma_f32 v61, v176, v96, -v61 :: v_dual_add_f32 v49, v49, v210
	s_delay_alu instid0(VALU_DEP_3) | instskip(SKIP_2) | instid1(VALU_DEP_3)
	v_dual_add_f32 v51, v51, v59 :: v_dual_mul_f32 v214, v180, v101
	v_dual_mul_f32 v215, v182, v103 :: v_dual_mul_f32 v59, v189, v109
	v_dual_fmac_f32 v213, v179, v98 :: v_dual_fma_f32 v63, v178, v98, -v63
	v_dual_add_f32 v49, v49, v212 :: v_dual_add_f32 v51, v51, v61
	s_delay_alu instid0(VALU_DEP_4) | instskip(NEXT) | instid1(VALU_DEP_2)
	;; [unrolled: 8-line block ×3, first 2 shown]
	v_dual_mul_f32 v65, v195, v115 :: v_dual_fmac_f32 v216, v185, v104
	v_dual_fma_f32 v55, v184, v104, -v55 :: v_dual_add_f32 v51, v51, v53
	s_delay_alu instid0(VALU_DEP_3) | instskip(SKIP_2) | instid1(VALU_DEP_3)
	v_dual_add_f32 v49, v49, v215 :: v_dual_mul_f32 v218, v188, v109
	v_dual_mul_f32 v219, v190, v111 :: v_dual_mul_f32 v53, v197, v117
	v_fmac_f32_e32 v217, v187, v106
	v_dual_fma_f32 v57, v186, v106, -v57 :: v_dual_add_f32 v49, v49, v216
	s_delay_alu instid0(VALU_DEP_4) | instskip(SKIP_2) | instid1(VALU_DEP_4)
	v_dual_add_f32 v51, v51, v55 :: v_dual_fmac_f32 v218, v189, v108
	v_fma_f32 v55, v188, v108, -v59
	v_dual_mul_f32 v220, v192, v113 :: v_dual_mul_f32 v209, v194, v115
	v_add_f32_e32 v49, v49, v217
	s_wait_loadcnt 0x4
	v_dual_add_f32 v51, v51, v57 :: v_dual_mov_b32 v72, v121
	v_dual_fmac_f32 v219, v191, v110 :: v_dual_fma_f32 v57, v190, v110, -v61
	s_delay_alu instid0(VALU_DEP_2) | instskip(SKIP_2) | instid1(VALU_DEP_3)
	v_dual_add_f32 v49, v49, v218 :: v_dual_add_f32 v51, v51, v55
	v_dual_fmac_f32 v220, v193, v112 :: v_dual_fma_f32 v55, v192, v112, -v63
	v_pk_mul_f32 v[70:71], v[134:135], v[118:119] op_sel:[1,1] op_sel_hi:[0,1]
	v_dual_add_f32 v49, v49, v219 :: v_dual_add_f32 v51, v51, v57
	s_wait_loadcnt 0x3
	v_dual_mov_b32 v76, v125 :: v_dual_fmac_f32 v209, v195, v114
	s_delay_alu instid0(VALU_DEP_2) | instskip(NEXT) | instid1(VALU_DEP_3)
	v_dual_fma_f32 v208, v194, v114, -v65 :: v_dual_add_f32 v79, v49, v220
	v_dual_add_f32 v78, v51, v55 :: v_dual_fmac_f32 v211, v197, v116
	v_pk_fma_f32 v[80:81], v[134:135], v[118:119], v[70:71] op_sel_hi:[1,0,1]
	v_fma_f32 v210, v196, v116, -v53
	v_pk_mul_f32 v[72:73], v[200:201], v[72:73] op_sel_hi:[1,0]
	s_delay_alu instid0(VALU_DEP_4)
	v_pk_add_f32 v[78:79], v[78:79], v[208:209]
	v_pk_fma_f32 v[70:71], v[134:135], v[118:119], v[70:71] neg_lo:[0,0,1] neg_hi:[0,0,1]
	v_pk_mul_f32 v[74:75], v[138:139], v[122:123] op_sel:[1,1] op_sel_hi:[0,1]
	v_mov_b32_e32 v71, v81
	v_pk_fma_f32 v[80:81], v[136:137], v[120:121], v[72:73] op_sel_hi:[1,0,1]
	v_pk_add_f32 v[78:79], v[78:79], v[210:211]
	v_pk_fma_f32 v[72:73], v[136:137], v[120:121], v[72:73] neg_lo:[0,0,1] neg_hi:[0,0,1]
	v_pk_fma_f32 v[84:85], v[138:139], v[122:123], v[74:75] op_sel_hi:[1,0,1]
	v_pk_mul_f32 v[76:77], v[202:203], v[76:77] op_sel_hi:[1,0]
	v_mov_b32_e32 v73, v81
	v_pk_add_f32 v[70:71], v[78:79], v[70:71]
	s_wait_loadcnt 0x2
	v_pk_mul_f32 v[82:83], v[142:143], v[126:127] op_sel:[1,1] op_sel_hi:[0,1]
	v_mov_b32_e32 v78, v129
	v_pk_fma_f32 v[74:75], v[138:139], v[122:123], v[74:75] neg_lo:[0,0,1] neg_hi:[0,0,1]
	v_pk_fma_f32 v[80:81], v[140:141], v[124:125], v[76:77] op_sel_hi:[1,0,1]
	v_mov_b32_e32 v75, v85
	v_pk_add_f32 v[70:71], v[70:71], v[72:73]
	v_pk_fma_f32 v[72:73], v[142:143], v[126:127], v[82:83] op_sel_hi:[1,0,1]
	v_pk_mul_f32 v[78:79], v[204:205], v[78:79] op_sel_hi:[1,0]
	v_pk_fma_f32 v[76:77], v[140:141], v[124:125], v[76:77] neg_lo:[0,0,1] neg_hi:[0,0,1]
	v_mov_b32_e32 v77, v81
	v_pk_add_f32 v[70:71], v[70:71], v[74:75]
	v_pk_fma_f32 v[80:81], v[142:143], v[126:127], v[82:83] neg_lo:[0,0,1] neg_hi:[0,0,1]
	v_mov_b32_e32 v81, v73
	v_pk_fma_f32 v[72:73], v[144:145], v[128:129], v[78:79] op_sel_hi:[1,0,1]
	s_wait_loadcnt 0x1
	v_pk_mul_f32 v[74:75], v[146:147], v[130:131] op_sel:[1,1] op_sel_hi:[0,1]
	v_pk_add_f32 v[70:71], v[70:71], v[76:77]
	v_mov_b32_e32 v72, v133
	v_pk_fma_f32 v[78:79], v[144:145], v[128:129], v[78:79] neg_lo:[0,0,1] neg_hi:[0,0,1]
	v_dual_mov_b32 v79, v73 :: v_dual_ashrrev_i32 v49, 31, v48
	v_pk_fma_f32 v[76:77], v[146:147], v[130:131], v[74:75] op_sel_hi:[1,0,1]
	v_pk_add_f32 v[70:71], v[70:71], v[80:81]
	v_pk_mul_f32 v[72:73], v[206:207], v[72:73] op_sel_hi:[1,0]
	v_pk_fma_f32 v[74:75], v[146:147], v[130:131], v[74:75] neg_lo:[0,0,1] neg_hi:[0,0,1]
	s_delay_alu instid0(VALU_DEP_4) | instskip(NEXT) | instid1(VALU_DEP_4)
	v_dual_ashrrev_i32 v51, 31, v50 :: v_dual_mov_b32 v75, v77
	v_pk_add_f32 v[70:71], v[70:71], v[78:79]
	s_delay_alu instid0(VALU_DEP_4)
	v_pk_fma_f32 v[76:77], v[148:149], v[132:133], v[72:73] op_sel_hi:[1,0,1]
	v_pk_fma_f32 v[72:73], v[148:149], v[132:133], v[72:73] neg_lo:[0,0,1] neg_hi:[0,0,1]
	v_dual_ashrrev_i32 v53, 31, v52 :: v_dual_ashrrev_i32 v55, 31, v54
	v_ashrrev_i32_e32 v57, 31, v56
	v_pk_add_f32 v[70:71], v[70:71], v[74:75]
	v_dual_mov_b32 v73, v77 :: v_dual_ashrrev_i32 v59, 31, v58
	v_dual_ashrrev_i32 v61, 31, v60 :: v_dual_ashrrev_i32 v63, 31, v62
	v_ashrrev_i32_e32 v65, 31, v64
	s_delay_alu instid0(VALU_DEP_3) | instskip(SKIP_2) | instid1(VALU_DEP_2)
	v_pk_add_f32 v[70:71], v[70:71], v[72:73]
	v_dual_ashrrev_i32 v67, 31, v66 :: v_dual_ashrrev_i32 v69, 31, v68
	s_wait_loadcnt 0x0
	v_pk_add_f32 v[70:71], v[198:199], v[70:71] neg_lo:[0,1] neg_hi:[0,1]
	scratch_store_b64 off, v[70:71], off offset:8
	s_wait_xcnt 0x0
	v_cmpx_ne_u32_e32 0, v0
	s_cbranch_execz .LBB97_217
; %bb.216:
	scratch_load_b64 v[70:71], off, off
	v_mov_b64_e32 v[72:73], 0
	scratch_store_b64 off, v[72:73], off
	s_wait_loadcnt 0x0
	ds_store_b64 v1, v[70:71]
.LBB97_217:
	s_wait_xcnt 0x0
	s_or_b32 exec_lo, exec_lo, s0
	s_wait_storecnt_dscnt 0x0
	s_barrier_signal -1
	s_barrier_wait -1
	s_clause 0x11
	scratch_load_b128 v[70:73], off, off offset:8
	scratch_load_b128 v[74:77], off, off offset:24
	;; [unrolled: 1-line block ×16, first 2 shown]
	scratch_load_b64 v[198:199], off, off offset:264
	scratch_load_b64 v[200:201], off, off
	v_mov_b32_e32 v0, 0
	ds_load_2addr_b64 v[134:137], v0 offset0:59 offset1:60
	ds_load_2addr_b64 v[138:141], v0 offset0:61 offset1:62
	;; [unrolled: 1-line block ×16, first 2 shown]
	ds_load_b64 v[202:203], v0 offset:536
	s_and_b32 vcc_lo, exec_lo, s12
	s_wait_dscnt 0x10
	v_dual_mov_b32 v204, v137 :: v_dual_mov_b32 v205, v136
	s_wait_dscnt 0xd
	v_dual_mov_b32 v206, v141 :: v_dual_mov_b32 v211, v148
	v_dual_mov_b32 v207, v140 :: v_dual_mov_b32 v208, v145
	;; [unrolled: 1-line block ×3, first 2 shown]
	s_wait_loadcnt_dscnt 0x110c
	v_dual_mul_f32 v1, v150, v71 :: v_dual_mul_f32 v71, v151, v71
	s_wait_loadcnt_dscnt 0x100b
	v_dual_mul_f32 v212, v152, v73 :: v_dual_mul_f32 v214, v154, v75
	s_wait_loadcnt_dscnt 0xe09
	v_dual_mul_f32 v218, v160, v81 :: v_dual_mul_f32 v219, v162, v83
	v_dual_mul_f32 v73, v153, v73 :: v_dual_mul_f32 v83, v163, v83
	v_dual_fmac_f32 v1, v151, v70 :: v_dual_fma_f32 v70, v150, v70, -v71
	v_dual_mul_f32 v75, v155, v75 :: v_dual_mul_f32 v71, v165, v85
	s_delay_alu instid0(VALU_DEP_3) | instskip(NEXT) | instid1(VALU_DEP_3)
	v_dual_fmac_f32 v212, v153, v72 :: v_dual_fma_f32 v72, v152, v72, -v73
	v_dual_add_f32 v1, 0, v1 :: v_dual_add_f32 v70, 0, v70
	v_dual_mul_f32 v216, v156, v77 :: v_dual_mul_f32 v217, v158, v79
	s_wait_loadcnt_dscnt 0xd08
	v_dual_mul_f32 v77, v157, v77 :: v_dual_mul_f32 v73, v167, v87
	s_delay_alu instid0(VALU_DEP_3)
	v_dual_fmac_f32 v214, v155, v74 :: v_dual_add_f32 v1, v1, v212
	v_fma_f32 v74, v154, v74, -v75
	v_dual_add_f32 v70, v70, v72 :: v_dual_mul_f32 v72, v169, v89
	v_dual_mul_f32 v79, v159, v79 :: v_dual_mul_f32 v81, v161, v81
	v_dual_fmac_f32 v216, v157, v76 :: v_dual_fma_f32 v75, v156, v76, -v77
	v_add_f32_e32 v1, v1, v214
	s_wait_loadcnt_dscnt 0xc07
	v_dual_add_f32 v70, v70, v74 :: v_dual_mul_f32 v74, v171, v91
	v_dual_fmac_f32 v217, v159, v78 :: v_dual_fma_f32 v76, v158, v78, -v79
	s_delay_alu instid0(VALU_DEP_2) | instskip(SKIP_2) | instid1(VALU_DEP_3)
	v_dual_add_f32 v1, v1, v216 :: v_dual_add_f32 v70, v70, v75
	v_mul_f32_e32 v75, v173, v93
	v_dual_fmac_f32 v218, v161, v80 :: v_dual_fma_f32 v77, v160, v80, -v81
	v_dual_add_f32 v1, v1, v217 :: v_dual_add_f32 v70, v70, v76
	v_dual_mul_f32 v220, v164, v85 :: v_dual_mul_f32 v221, v166, v87
	s_wait_loadcnt_dscnt 0xb06
	v_dual_mul_f32 v76, v175, v95 :: v_dual_fma_f32 v78, v162, v82, -v83
	s_delay_alu instid0(VALU_DEP_3) | instskip(SKIP_2) | instid1(VALU_DEP_3)
	v_dual_fmac_f32 v219, v163, v82 :: v_dual_add_f32 v70, v70, v77
	v_dual_add_f32 v1, v1, v218 :: v_dual_fma_f32 v71, v164, v84, -v71
	v_mul_f32_e32 v77, v177, v97
	v_dual_fmac_f32 v220, v165, v84 :: v_dual_add_f32 v70, v70, v78
	s_delay_alu instid0(VALU_DEP_3) | instskip(SKIP_3) | instid1(VALU_DEP_3)
	v_dual_add_f32 v1, v1, v219 :: v_dual_fmac_f32 v221, v167, v86
	v_dual_mul_f32 v222, v168, v89 :: v_dual_mul_f32 v223, v170, v91
	s_wait_loadcnt_dscnt 0xa05
	v_dual_mul_f32 v78, v179, v99 :: v_dual_fma_f32 v73, v166, v86, -v73
	v_dual_add_f32 v1, v1, v220 :: v_dual_add_f32 v70, v70, v71
	v_mul_f32_e32 v71, v181, v101
	v_dual_fmac_f32 v222, v169, v88 :: v_dual_fma_f32 v72, v168, v88, -v72
	s_delay_alu instid0(VALU_DEP_3) | instskip(NEXT) | instid1(VALU_DEP_4)
	v_add_f32_e32 v1, v1, v221
	v_dual_add_f32 v70, v70, v73 :: v_dual_fmac_f32 v223, v171, v90
	v_dual_mul_f32 v224, v172, v93 :: v_dual_mul_f32 v225, v174, v95
	s_wait_loadcnt_dscnt 0x904
	v_dual_mul_f32 v73, v183, v103 :: v_dual_fma_f32 v74, v170, v90, -v74
	s_delay_alu instid0(VALU_DEP_3) | instskip(SKIP_2) | instid1(VALU_DEP_3)
	v_dual_add_f32 v1, v1, v222 :: v_dual_add_f32 v70, v70, v72
	v_mul_f32_e32 v72, v185, v105
	v_dual_fmac_f32 v224, v173, v92 :: v_dual_fma_f32 v75, v172, v92, -v75
	v_dual_add_f32 v1, v1, v223 :: v_dual_add_f32 v70, v70, v74
	v_dual_mul_f32 v226, v176, v97 :: v_dual_mul_f32 v227, v178, v99
	s_wait_loadcnt_dscnt 0x803
	v_dual_mul_f32 v74, v187, v107 :: v_dual_fma_f32 v76, v174, v94, -v76
	s_delay_alu instid0(VALU_DEP_3) | instskip(SKIP_2) | instid1(VALU_DEP_2)
	v_dual_fmac_f32 v225, v175, v94 :: v_dual_add_f32 v1, v1, v224
	v_dual_add_f32 v70, v70, v75 :: v_dual_mul_f32 v75, v189, v109
	v_dual_fmac_f32 v226, v177, v96 :: v_dual_fma_f32 v77, v176, v96, -v77
	v_dual_add_f32 v1, v1, v225 :: v_dual_add_f32 v70, v70, v76
	v_dual_mul_f32 v228, v180, v101 :: v_dual_mul_f32 v229, v182, v103
	s_wait_loadcnt_dscnt 0x702
	v_dual_mul_f32 v76, v191, v111 :: v_dual_fma_f32 v78, v178, v98, -v78
	s_delay_alu instid0(VALU_DEP_3) | instskip(SKIP_2) | instid1(VALU_DEP_3)
	v_dual_fmac_f32 v227, v179, v98 :: v_dual_add_f32 v70, v70, v77
	v_dual_add_f32 v1, v1, v226 :: v_dual_fma_f32 v71, v180, v100, -v71
	v_mul_f32_e32 v77, v193, v113
	v_dual_fmac_f32 v228, v181, v100 :: v_dual_add_f32 v70, v70, v78
	s_delay_alu instid0(VALU_DEP_3) | instskip(SKIP_3) | instid1(VALU_DEP_3)
	v_dual_add_f32 v1, v1, v227 :: v_dual_fmac_f32 v229, v183, v102
	v_dual_mul_f32 v230, v184, v105 :: v_dual_mul_f32 v231, v186, v107
	s_wait_loadcnt_dscnt 0x601
	v_dual_mul_f32 v78, v195, v115 :: v_dual_fma_f32 v73, v182, v102, -v73
	v_dual_add_f32 v1, v1, v228 :: v_dual_add_f32 v70, v70, v71
	v_mul_f32_e32 v71, v197, v117
	v_dual_fmac_f32 v230, v185, v104 :: v_dual_fma_f32 v72, v184, v104, -v72
	s_wait_loadcnt 0x5
	s_delay_alu instid0(VALU_DEP_3) | instskip(SKIP_3) | instid1(VALU_DEP_3)
	v_dual_add_f32 v1, v1, v229 :: v_dual_mul_f32 v81, v135, v119
	v_dual_add_f32 v70, v70, v73 :: v_dual_fmac_f32 v231, v187, v106
	v_dual_mul_f32 v232, v188, v109 :: v_dual_mul_f32 v233, v190, v111
	v_fma_f32 v73, v186, v106, -v74
	v_dual_add_f32 v1, v1, v230 :: v_dual_add_f32 v72, v70, v72
	v_mov_b32_e32 v70, v121
	s_delay_alu instid0(VALU_DEP_4) | instskip(NEXT) | instid1(VALU_DEP_3)
	v_dual_fmac_f32 v232, v189, v108 :: v_dual_fma_f32 v74, v188, v108, -v75
	v_dual_add_f32 v1, v1, v231 :: v_dual_add_f32 v75, v72, v73
	v_dual_mul_f32 v234, v192, v113 :: v_dual_mul_f32 v235, v194, v115
	v_dual_fmac_f32 v233, v191, v110 :: v_dual_fma_f32 v76, v190, v110, -v76
	s_delay_alu instid0(VALU_DEP_3) | instskip(SKIP_3) | instid1(VALU_DEP_3)
	v_dual_add_f32 v1, v1, v232 :: v_dual_add_f32 v75, v75, v74
	s_wait_loadcnt 0x4
	v_dual_mov_b32 v74, v125 :: v_dual_fma_f32 v79, v192, v112, -v77
	v_dual_fmac_f32 v234, v193, v112 :: v_dual_fmac_f32 v235, v195, v114
	v_dual_add_f32 v1, v1, v233 :: v_dual_add_f32 v75, v75, v76
	v_dual_mul_f32 v213, v196, v117 :: v_dual_mul_f32 v215, v134, v119
	v_fma_f32 v78, v194, v114, -v78
	s_delay_alu instid0(VALU_DEP_3) | instskip(NEXT) | instid1(VALU_DEP_3)
	v_dual_add_f32 v1, v1, v234 :: v_dual_fma_f32 v212, v196, v116, -v71
	v_dual_add_f32 v75, v75, v79 :: v_dual_fmac_f32 v213, v197, v116
	v_pk_mul_f32 v[70:71], v[204:205], v[70:71] op_sel_hi:[1,0]
	s_delay_alu instid0(VALU_DEP_3) | instskip(NEXT) | instid1(VALU_DEP_3)
	v_dual_add_f32 v79, v1, v235 :: v_dual_fmac_f32 v215, v135, v118
	v_add_f32_e32 v78, v75, v78
	v_pk_mul_f32 v[72:73], v[138:139], v[122:123] op_sel:[1,1] op_sel_hi:[0,1]
	s_wait_loadcnt 0x3
	v_dual_mov_b32 v80, v129 :: v_dual_fma_f32 v214, v134, v118, -v81
	v_pk_fma_f32 v[82:83], v[136:137], v[120:121], v[70:71] op_sel_hi:[1,0,1]
	v_pk_add_f32 v[78:79], v[78:79], v[212:213]
	v_pk_fma_f32 v[70:71], v[136:137], v[120:121], v[70:71] neg_lo:[0,0,1] neg_hi:[0,0,1]
	v_pk_fma_f32 v[84:85], v[138:139], v[122:123], v[72:73] op_sel_hi:[1,0,1]
	v_pk_mul_f32 v[74:75], v[206:207], v[74:75] op_sel_hi:[1,0]
	v_mov_b32_e32 v71, v83
	v_pk_add_f32 v[78:79], v[78:79], v[214:215]
	v_pk_fma_f32 v[72:73], v[138:139], v[122:123], v[72:73] neg_lo:[0,0,1] neg_hi:[0,0,1]
	v_pk_mul_f32 v[76:77], v[142:143], v[126:127] op_sel:[1,1] op_sel_hi:[0,1]
	v_mov_b32_e32 v73, v85
	v_pk_fma_f32 v[84:85], v[140:141], v[124:125], v[74:75] op_sel_hi:[1,0,1]
	v_pk_add_f32 v[70:71], v[78:79], v[70:71]
	v_pk_fma_f32 v[74:75], v[140:141], v[124:125], v[74:75] neg_lo:[0,0,1] neg_hi:[0,0,1]
	v_pk_fma_f32 v[78:79], v[142:143], v[126:127], v[76:77] op_sel_hi:[1,0,1]
	v_pk_mul_f32 v[80:81], v[208:209], v[80:81] op_sel_hi:[1,0]
	v_mov_b32_e32 v75, v85
	v_pk_add_f32 v[70:71], v[70:71], v[72:73]
	v_pk_fma_f32 v[76:77], v[142:143], v[126:127], v[76:77] neg_lo:[0,0,1] neg_hi:[0,0,1]
	s_wait_loadcnt 0x2
	v_pk_mul_f32 v[82:83], v[146:147], v[130:131] op_sel:[1,1] op_sel_hi:[0,1]
	v_dual_mov_b32 v72, v133 :: v_dual_mov_b32 v77, v79
	v_pk_fma_f32 v[78:79], v[144:145], v[128:129], v[80:81] op_sel_hi:[1,0,1]
	v_pk_add_f32 v[70:71], v[70:71], v[74:75]
	v_pk_fma_f32 v[80:81], v[144:145], v[128:129], v[80:81] neg_lo:[0,0,1] neg_hi:[0,0,1]
	v_pk_fma_f32 v[74:75], v[146:147], v[130:131], v[82:83] op_sel_hi:[1,0,1]
	v_pk_mul_f32 v[72:73], v[210:211], v[72:73] op_sel_hi:[1,0]
	v_mov_b32_e32 v81, v79
	v_pk_add_f32 v[70:71], v[70:71], v[76:77]
	v_pk_fma_f32 v[78:79], v[146:147], v[130:131], v[82:83] neg_lo:[0,0,1] neg_hi:[0,0,1]
	s_wait_loadcnt_dscnt 0x100
	v_pk_mul_f32 v[76:77], v[202:203], v[198:199] op_sel:[1,1] op_sel_hi:[0,1]
	v_mov_b32_e32 v79, v75
	v_pk_fma_f32 v[74:75], v[148:149], v[132:133], v[72:73] op_sel_hi:[1,0,1]
	v_pk_add_f32 v[70:71], v[70:71], v[80:81]
	v_pk_fma_f32 v[72:73], v[148:149], v[132:133], v[72:73] neg_lo:[0,0,1] neg_hi:[0,0,1]
	v_pk_fma_f32 v[80:81], v[202:203], v[198:199], v[76:77] op_sel_hi:[1,0,1]
	s_delay_alu instid0(VALU_DEP_4) | instskip(NEXT) | instid1(VALU_DEP_4)
	v_mov_b32_e32 v73, v75
	v_pk_add_f32 v[70:71], v[70:71], v[78:79]
	v_pk_fma_f32 v[74:75], v[202:203], v[198:199], v[76:77] neg_lo:[0,0,1] neg_hi:[0,0,1]
	s_delay_alu instid0(VALU_DEP_4) | instskip(NEXT) | instid1(VALU_DEP_3)
	v_mov_b32_e32 v75, v81
	v_pk_add_f32 v[70:71], v[70:71], v[72:73]
	s_delay_alu instid0(VALU_DEP_1) | instskip(SKIP_1) | instid1(VALU_DEP_1)
	v_pk_add_f32 v[70:71], v[70:71], v[74:75]
	s_wait_loadcnt 0x0
	v_pk_add_f32 v[70:71], v[200:201], v[70:71] neg_lo:[0,1] neg_hi:[0,1]
	scratch_store_b64 off, v[70:71], off
	s_cbranch_vccz .LBB97_284
; %bb.218:
	global_load_b32 v0, v0, s[8:9] offset:128
	s_wait_loadcnt 0x0
	v_cmp_ne_u32_e32 vcc_lo, 33, v0
	s_cbranch_vccz .LBB97_220
; %bb.219:
	s_wait_xcnt 0x0
	v_lshlrev_b32_e32 v0, 3, v0
	s_delay_alu instid0(VALU_DEP_1)
	v_mov_b32_e32 v72, v0
	scratch_load_b64 v[0:1], v72, off offset:-8
	scratch_load_b64 v[70:71], off, off offset:256
	s_wait_loadcnt 0x1
	scratch_store_b64 off, v[0:1], off offset:256
	s_wait_loadcnt 0x0
	scratch_store_b64 v72, v[70:71], off offset:-8
.LBB97_220:
	s_wait_xcnt 0x0
	v_mov_b32_e32 v0, 0
	global_load_b32 v1, v0, s[8:9] offset:124
	s_wait_loadcnt 0x0
	v_cmp_eq_u32_e32 vcc_lo, 32, v1
	s_cbranch_vccnz .LBB97_222
; %bb.221:
	v_lshlrev_b32_e32 v1, 3, v1
	scratch_load_b64 v[70:71], v1, off offset:-8
	scratch_load_b64 v[72:73], off, off offset:248
	s_wait_loadcnt 0x1
	scratch_store_b64 off, v[70:71], off offset:248
	s_wait_loadcnt 0x0
	scratch_store_b64 v1, v[72:73], off offset:-8
.LBB97_222:
	global_load_b32 v0, v0, s[8:9] offset:120
	s_wait_loadcnt 0x0
	v_cmp_eq_u32_e32 vcc_lo, 31, v0
	s_cbranch_vccnz .LBB97_224
; %bb.223:
	s_wait_xcnt 0x0
	v_lshlrev_b32_e32 v0, 3, v0
	s_delay_alu instid0(VALU_DEP_1)
	v_mov_b32_e32 v72, v0
	scratch_load_b64 v[0:1], v72, off offset:-8
	scratch_load_b64 v[70:71], off, off offset:240
	s_wait_loadcnt 0x1
	scratch_store_b64 off, v[0:1], off offset:240
	s_wait_loadcnt 0x0
	scratch_store_b64 v72, v[70:71], off offset:-8
.LBB97_224:
	s_wait_xcnt 0x0
	v_mov_b32_e32 v0, 0
	global_load_b32 v1, v0, s[8:9] offset:116
	s_wait_loadcnt 0x0
	v_cmp_eq_u32_e32 vcc_lo, 30, v1
	s_cbranch_vccnz .LBB97_226
; %bb.225:
	v_lshlrev_b32_e32 v1, 3, v1
	scratch_load_b64 v[70:71], v1, off offset:-8
	scratch_load_b64 v[72:73], off, off offset:232
	s_wait_loadcnt 0x1
	scratch_store_b64 off, v[70:71], off offset:232
	s_wait_loadcnt 0x0
	scratch_store_b64 v1, v[72:73], off offset:-8
.LBB97_226:
	global_load_b32 v0, v0, s[8:9] offset:112
	s_wait_loadcnt 0x0
	v_cmp_eq_u32_e32 vcc_lo, 29, v0
	s_cbranch_vccnz .LBB97_228
; %bb.227:
	s_wait_xcnt 0x0
	v_lshlrev_b32_e32 v0, 3, v0
	s_delay_alu instid0(VALU_DEP_1)
	v_mov_b32_e32 v72, v0
	scratch_load_b64 v[0:1], v72, off offset:-8
	scratch_load_b64 v[70:71], off, off offset:224
	s_wait_loadcnt 0x1
	scratch_store_b64 off, v[0:1], off offset:224
	s_wait_loadcnt 0x0
	scratch_store_b64 v72, v[70:71], off offset:-8
.LBB97_228:
	;; [unrolled: 31-line block ×15, first 2 shown]
	s_wait_xcnt 0x0
	v_mov_b32_e32 v0, 0
	global_load_b32 v1, v0, s[8:9] offset:4
	s_wait_loadcnt 0x0
	v_cmp_eq_u32_e32 vcc_lo, 2, v1
	s_cbranch_vccnz .LBB97_282
; %bb.281:
	v_lshlrev_b32_e32 v1, 3, v1
	scratch_load_b64 v[70:71], v1, off offset:-8
	scratch_load_b64 v[72:73], off, off offset:8
	s_wait_loadcnt 0x1
	scratch_store_b64 off, v[70:71], off offset:8
	s_wait_loadcnt 0x0
	scratch_store_b64 v1, v[72:73], off offset:-8
.LBB97_282:
	global_load_b32 v0, v0, s[8:9]
	scratch_load_b64 v[70:71], off, off
	s_wait_loadcnt 0x1
	v_cmp_eq_u32_e32 vcc_lo, 1, v0
	s_cbranch_vccnz .LBB97_284
; %bb.283:
	s_wait_xcnt 0x1
	v_lshlrev_b32_e32 v0, 3, v0
	s_delay_alu instid0(VALU_DEP_1)
	v_mov_b32_e32 v72, v0
	scratch_load_b64 v[0:1], v72, off offset:-8
	s_wait_loadcnt 0x0
	scratch_store_b64 off, v[0:1], off
	scratch_store_b64 v72, v[70:71], off offset:-8
	scratch_load_b64 v[70:71], off, off
.LBB97_284:
	s_wait_loadcnt 0x0
	flat_store_b64 v[2:3], v[70:71]
	scratch_load_b64 v[2:3], off, off offset:8
	v_lshl_add_u64 v[100:101], v[6:7], 3, s[2:3]
	v_lshl_add_u64 v[98:99], v[8:9], 3, s[2:3]
	;; [unrolled: 1-line block ×32, first 2 shown]
	s_wait_loadcnt 0x0
	flat_store_b64 v[4:5], v[2:3]
	scratch_load_b64 v[2:3], off, off offset:16
	s_wait_loadcnt 0x0
	flat_store_b64 v[100:101], v[2:3]
	scratch_load_b64 v[2:3], off, off offset:24
	s_wait_loadcnt 0x0
	flat_store_b64 v[98:99], v[2:3]
	scratch_load_b64 v[2:3], off, off offset:32
	s_wait_loadcnt 0x0
	flat_store_b64 v[96:97], v[2:3]
	scratch_load_b64 v[2:3], off, off offset:40
	s_wait_loadcnt 0x0
	flat_store_b64 v[94:95], v[2:3]
	scratch_load_b64 v[2:3], off, off offset:48
	s_wait_loadcnt 0x0
	flat_store_b64 v[92:93], v[2:3]
	scratch_load_b64 v[2:3], off, off offset:56
	s_wait_loadcnt 0x0
	flat_store_b64 v[90:91], v[2:3]
	scratch_load_b64 v[2:3], off, off offset:64
	s_wait_loadcnt 0x0
	flat_store_b64 v[88:89], v[2:3]
	scratch_load_b64 v[2:3], off, off offset:72
	s_wait_loadcnt 0x0
	flat_store_b64 v[86:87], v[2:3]
	scratch_load_b64 v[2:3], off, off offset:80
	s_wait_loadcnt 0x0
	flat_store_b64 v[84:85], v[2:3]
	scratch_load_b64 v[2:3], off, off offset:88
	s_wait_loadcnt 0x0
	flat_store_b64 v[82:83], v[2:3]
	scratch_load_b64 v[2:3], off, off offset:96
	s_wait_loadcnt 0x0
	flat_store_b64 v[80:81], v[2:3]
	scratch_load_b64 v[2:3], off, off offset:104
	s_wait_loadcnt 0x0
	flat_store_b64 v[78:79], v[2:3]
	scratch_load_b64 v[2:3], off, off offset:112
	s_wait_loadcnt 0x0
	flat_store_b64 v[76:77], v[2:3]
	scratch_load_b64 v[2:3], off, off offset:120
	s_wait_loadcnt 0x0
	flat_store_b64 v[74:75], v[2:3]
	scratch_load_b64 v[2:3], off, off offset:128
	s_wait_loadcnt 0x0
	flat_store_b64 v[72:73], v[2:3]
	scratch_load_b64 v[2:3], off, off offset:136
	s_wait_loadcnt 0x0
	flat_store_b64 v[36:37], v[2:3]
	scratch_load_b64 v[2:3], off, off offset:144
	s_wait_loadcnt 0x0
	flat_store_b64 v[34:35], v[2:3]
	scratch_load_b64 v[2:3], off, off offset:152
	s_wait_loadcnt 0x0
	flat_store_b64 v[32:33], v[2:3]
	scratch_load_b64 v[2:3], off, off offset:160
	s_wait_loadcnt 0x0
	flat_store_b64 v[30:31], v[2:3]
	scratch_load_b64 v[2:3], off, off offset:168
	s_wait_loadcnt 0x0
	flat_store_b64 v[28:29], v[2:3]
	scratch_load_b64 v[2:3], off, off offset:176
	s_wait_loadcnt 0x0
	flat_store_b64 v[26:27], v[2:3]
	scratch_load_b64 v[2:3], off, off offset:184
	s_wait_loadcnt 0x0
	flat_store_b64 v[24:25], v[2:3]
	scratch_load_b64 v[2:3], off, off offset:192
	s_wait_loadcnt 0x0
	flat_store_b64 v[22:23], v[2:3]
	scratch_load_b64 v[2:3], off, off offset:200
	s_wait_loadcnt 0x0
	flat_store_b64 v[20:21], v[2:3]
	scratch_load_b64 v[2:3], off, off offset:208
	s_wait_loadcnt 0x0
	flat_store_b64 v[18:19], v[2:3]
	scratch_load_b64 v[2:3], off, off offset:216
	s_wait_loadcnt 0x0
	flat_store_b64 v[16:17], v[2:3]
	scratch_load_b64 v[2:3], off, off offset:224
	s_wait_loadcnt 0x0
	flat_store_b64 v[14:15], v[2:3]
	scratch_load_b64 v[2:3], off, off offset:232
	s_wait_loadcnt 0x0
	flat_store_b64 v[12:13], v[2:3]
	scratch_load_b64 v[2:3], off, off offset:240
	s_wait_loadcnt 0x0
	flat_store_b64 v[10:11], v[2:3]
	scratch_load_b64 v[2:3], off, off offset:248
	s_wait_loadcnt 0x0
	flat_store_b64 v[8:9], v[2:3]
	scratch_load_b64 v[2:3], off, off offset:256
	s_wait_loadcnt 0x0
	flat_store_b64 v[6:7], v[2:3]
	scratch_load_b64 v[2:3], off, off offset:264
	s_wait_loadcnt 0x0
	flat_store_b64 v[0:1], v[2:3]
	s_sendmsg sendmsg(MSG_DEALLOC_VGPRS)
	s_endpgm
	.section	.rodata,"a",@progbits
	.p2align	6, 0x0
	.amdhsa_kernel _ZN9rocsolver6v33100L18getri_kernel_smallILi34E19rocblas_complex_numIfEPKPS3_EEvT1_iilPiilS8_bb
		.amdhsa_group_segment_fixed_size 548
		.amdhsa_private_segment_fixed_size 288
		.amdhsa_kernarg_size 60
		.amdhsa_user_sgpr_count 2
		.amdhsa_user_sgpr_dispatch_ptr 0
		.amdhsa_user_sgpr_queue_ptr 0
		.amdhsa_user_sgpr_kernarg_segment_ptr 1
		.amdhsa_user_sgpr_dispatch_id 0
		.amdhsa_user_sgpr_kernarg_preload_length 0
		.amdhsa_user_sgpr_kernarg_preload_offset 0
		.amdhsa_user_sgpr_private_segment_size 0
		.amdhsa_wavefront_size32 1
		.amdhsa_uses_dynamic_stack 0
		.amdhsa_enable_private_segment 1
		.amdhsa_system_sgpr_workgroup_id_x 1
		.amdhsa_system_sgpr_workgroup_id_y 0
		.amdhsa_system_sgpr_workgroup_id_z 0
		.amdhsa_system_sgpr_workgroup_info 0
		.amdhsa_system_vgpr_workitem_id 0
		.amdhsa_next_free_vgpr 236
		.amdhsa_next_free_sgpr 19
		.amdhsa_named_barrier_count 0
		.amdhsa_reserve_vcc 1
		.amdhsa_float_round_mode_32 0
		.amdhsa_float_round_mode_16_64 0
		.amdhsa_float_denorm_mode_32 3
		.amdhsa_float_denorm_mode_16_64 3
		.amdhsa_fp16_overflow 0
		.amdhsa_memory_ordered 1
		.amdhsa_forward_progress 1
		.amdhsa_inst_pref_size 255
		.amdhsa_round_robin_scheduling 0
		.amdhsa_exception_fp_ieee_invalid_op 0
		.amdhsa_exception_fp_denorm_src 0
		.amdhsa_exception_fp_ieee_div_zero 0
		.amdhsa_exception_fp_ieee_overflow 0
		.amdhsa_exception_fp_ieee_underflow 0
		.amdhsa_exception_fp_ieee_inexact 0
		.amdhsa_exception_int_div_zero 0
	.end_amdhsa_kernel
	.section	.text._ZN9rocsolver6v33100L18getri_kernel_smallILi34E19rocblas_complex_numIfEPKPS3_EEvT1_iilPiilS8_bb,"axG",@progbits,_ZN9rocsolver6v33100L18getri_kernel_smallILi34E19rocblas_complex_numIfEPKPS3_EEvT1_iilPiilS8_bb,comdat
.Lfunc_end97:
	.size	_ZN9rocsolver6v33100L18getri_kernel_smallILi34E19rocblas_complex_numIfEPKPS3_EEvT1_iilPiilS8_bb, .Lfunc_end97-_ZN9rocsolver6v33100L18getri_kernel_smallILi34E19rocblas_complex_numIfEPKPS3_EEvT1_iilPiilS8_bb
                                        ; -- End function
	.set _ZN9rocsolver6v33100L18getri_kernel_smallILi34E19rocblas_complex_numIfEPKPS3_EEvT1_iilPiilS8_bb.num_vgpr, 236
	.set _ZN9rocsolver6v33100L18getri_kernel_smallILi34E19rocblas_complex_numIfEPKPS3_EEvT1_iilPiilS8_bb.num_agpr, 0
	.set _ZN9rocsolver6v33100L18getri_kernel_smallILi34E19rocblas_complex_numIfEPKPS3_EEvT1_iilPiilS8_bb.numbered_sgpr, 19
	.set _ZN9rocsolver6v33100L18getri_kernel_smallILi34E19rocblas_complex_numIfEPKPS3_EEvT1_iilPiilS8_bb.num_named_barrier, 0
	.set _ZN9rocsolver6v33100L18getri_kernel_smallILi34E19rocblas_complex_numIfEPKPS3_EEvT1_iilPiilS8_bb.private_seg_size, 288
	.set _ZN9rocsolver6v33100L18getri_kernel_smallILi34E19rocblas_complex_numIfEPKPS3_EEvT1_iilPiilS8_bb.uses_vcc, 1
	.set _ZN9rocsolver6v33100L18getri_kernel_smallILi34E19rocblas_complex_numIfEPKPS3_EEvT1_iilPiilS8_bb.uses_flat_scratch, 1
	.set _ZN9rocsolver6v33100L18getri_kernel_smallILi34E19rocblas_complex_numIfEPKPS3_EEvT1_iilPiilS8_bb.has_dyn_sized_stack, 0
	.set _ZN9rocsolver6v33100L18getri_kernel_smallILi34E19rocblas_complex_numIfEPKPS3_EEvT1_iilPiilS8_bb.has_recursion, 0
	.set _ZN9rocsolver6v33100L18getri_kernel_smallILi34E19rocblas_complex_numIfEPKPS3_EEvT1_iilPiilS8_bb.has_indirect_call, 0
	.section	.AMDGPU.csdata,"",@progbits
; Kernel info:
; codeLenInByte = 49424
; TotalNumSgprs: 21
; NumVgprs: 236
; ScratchSize: 288
; MemoryBound: 0
; FloatMode: 240
; IeeeMode: 1
; LDSByteSize: 548 bytes/workgroup (compile time only)
; SGPRBlocks: 0
; VGPRBlocks: 14
; NumSGPRsForWavesPerEU: 21
; NumVGPRsForWavesPerEU: 236
; NamedBarCnt: 0
; Occupancy: 4
; WaveLimiterHint : 1
; COMPUTE_PGM_RSRC2:SCRATCH_EN: 1
; COMPUTE_PGM_RSRC2:USER_SGPR: 2
; COMPUTE_PGM_RSRC2:TRAP_HANDLER: 0
; COMPUTE_PGM_RSRC2:TGID_X_EN: 1
; COMPUTE_PGM_RSRC2:TGID_Y_EN: 0
; COMPUTE_PGM_RSRC2:TGID_Z_EN: 0
; COMPUTE_PGM_RSRC2:TIDIG_COMP_CNT: 0
	.section	.text._ZN9rocsolver6v33100L18getri_kernel_smallILi35E19rocblas_complex_numIfEPKPS3_EEvT1_iilPiilS8_bb,"axG",@progbits,_ZN9rocsolver6v33100L18getri_kernel_smallILi35E19rocblas_complex_numIfEPKPS3_EEvT1_iilPiilS8_bb,comdat
	.globl	_ZN9rocsolver6v33100L18getri_kernel_smallILi35E19rocblas_complex_numIfEPKPS3_EEvT1_iilPiilS8_bb ; -- Begin function _ZN9rocsolver6v33100L18getri_kernel_smallILi35E19rocblas_complex_numIfEPKPS3_EEvT1_iilPiilS8_bb
	.p2align	8
	.type	_ZN9rocsolver6v33100L18getri_kernel_smallILi35E19rocblas_complex_numIfEPKPS3_EEvT1_iilPiilS8_bb,@function
_ZN9rocsolver6v33100L18getri_kernel_smallILi35E19rocblas_complex_numIfEPKPS3_EEvT1_iilPiilS8_bb: ; @_ZN9rocsolver6v33100L18getri_kernel_smallILi35E19rocblas_complex_numIfEPKPS3_EEvT1_iilPiilS8_bb
; %bb.0:
	s_mov_b32 s2, exec_lo
	v_cmpx_gt_u32_e32 35, v0
	s_cbranch_execz .LBB98_154
; %bb.1:
	s_clause 0x1
	s_load_b32 s13, s[0:1], 0x38
	s_load_b64 s[2:3], s[0:1], 0x0
	s_getreg_b32 s6, hwreg(HW_REG_IB_STS2, 6, 4)
	s_wait_kmcnt 0x0
	s_bitcmp1_b32 s13, 8
	s_cselect_b32 s12, -1, 0
	s_bfe_u32 s4, ttmp6, 0x4000c
	s_and_b32 s5, ttmp6, 15
	s_add_co_i32 s4, s4, 1
	s_delay_alu instid0(SALU_CYCLE_1) | instskip(NEXT) | instid1(SALU_CYCLE_1)
	s_mul_i32 s4, ttmp9, s4
	s_add_co_i32 s5, s5, s4
	s_cmp_eq_u32 s6, 0
	s_cselect_b32 s10, ttmp9, s5
	s_load_b128 s[4:7], s[0:1], 0x28
	s_ashr_i32 s11, s10, 31
	s_delay_alu instid0(SALU_CYCLE_1) | instskip(NEXT) | instid1(SALU_CYCLE_1)
	s_lshl_b64 s[8:9], s[10:11], 3
	s_add_nc_u64 s[2:3], s[2:3], s[8:9]
	s_bfe_u32 s8, s13, 0x10008
	s_load_b64 s[2:3], s[2:3], 0x0
	s_cmp_eq_u32 s8, 0
                                        ; implicit-def: $sgpr8_sgpr9
	s_cbranch_scc1 .LBB98_3
; %bb.2:
	s_load_b96 s[16:18], s[0:1], 0x18
	s_wait_kmcnt 0x0
	s_mul_u64 s[4:5], s[4:5], s[10:11]
	s_delay_alu instid0(SALU_CYCLE_1) | instskip(SKIP_4) | instid1(SALU_CYCLE_1)
	s_lshl_b64 s[4:5], s[4:5], 2
	s_ashr_i32 s9, s18, 31
	s_mov_b32 s8, s18
	s_add_nc_u64 s[4:5], s[16:17], s[4:5]
	s_lshl_b64 s[8:9], s[8:9], 2
	s_add_nc_u64 s[8:9], s[4:5], s[8:9]
.LBB98_3:
	s_wait_kmcnt 0x0
	s_clause 0x1
	s_load_b64 s[4:5], s[0:1], 0x8
	s_load_b32 s13, s[0:1], 0x38
	v_dual_mov_b32 v73, 0 :: v_dual_lshlrev_b32 v72, 3, v0
	s_wait_kmcnt 0x0
	s_ashr_i32 s1, s4, 31
	s_mov_b32 s0, s4
	s_delay_alu instid0(SALU_CYCLE_1) | instskip(NEXT) | instid1(SALU_CYCLE_1)
	s_lshl_b64 s[0:1], s[0:1], 3
	s_add_nc_u64 s[2:3], s[2:3], s[0:1]
	s_ashr_i32 s1, s5, 31
	flat_load_b64 v[6:7], v0, s[2:3] scale_offset
	v_add_nc_u64_e32 v[2:3], s[2:3], v[72:73]
	s_mov_b32 s0, s5
	s_bitcmp0_b32 s13, 0
	s_delay_alu instid0(VALU_DEP_1)
	v_lshl_add_u64 v[4:5], s[0:1], 3, v[2:3]
	s_mov_b32 s1, -1
	s_wait_loadcnt_dscnt 0x0
	scratch_store_b64 off, v[6:7], off
	flat_load_b64 v[8:9], v[4:5]
	s_wait_xcnt 0x1
	v_add3_u32 v6, s5, s5, v0
	s_wait_loadcnt_dscnt 0x0
	scratch_store_b64 off, v[8:9], off offset:8
	flat_load_b64 v[10:11], v6, s[2:3] scale_offset
	s_wait_xcnt 0x1
	v_add_nc_u32_e32 v8, s5, v6
	s_wait_loadcnt_dscnt 0x0
	scratch_store_b64 off, v[10:11], off offset:16
	flat_load_b64 v[12:13], v8, s[2:3] scale_offset
	s_wait_xcnt 0x1
	v_add_nc_u32_e32 v10, s5, v8
	;; [unrolled: 5-line block ×32, first 2 shown]
	s_wait_loadcnt_dscnt 0x0
	scratch_store_b64 off, v[74:75], off offset:264
	flat_load_b64 v[74:75], v70, s[2:3] scale_offset
	s_wait_loadcnt_dscnt 0x0
	scratch_store_b64 off, v[74:75], off offset:272
	s_cbranch_scc1 .LBB98_152
; %bb.4:
	v_cmp_eq_u32_e64 s0, 0, v0
	s_wait_xcnt 0x0
	s_and_saveexec_b32 s1, s0
; %bb.5:
	v_mov_b32_e32 v1, 0
	ds_store_b32 v1, v1 offset:280
; %bb.6:
	s_or_b32 exec_lo, exec_lo, s1
	s_wait_storecnt_dscnt 0x0
	s_barrier_signal -1
	s_barrier_wait -1
	scratch_load_b64 v[74:75], v0, off scale_offset
	s_wait_loadcnt 0x0
	v_cmp_eq_f32_e32 vcc_lo, 0, v74
	v_cmp_eq_f32_e64 s1, 0, v75
	s_and_b32 s1, vcc_lo, s1
	s_delay_alu instid0(SALU_CYCLE_1)
	s_and_saveexec_b32 s4, s1
	s_cbranch_execz .LBB98_10
; %bb.7:
	v_mov_b32_e32 v1, 0
	s_mov_b32 s5, 0
	ds_load_b32 v7, v1 offset:280
	s_wait_dscnt 0x0
	v_readfirstlane_b32 s1, v7
	v_add_nc_u32_e32 v7, 1, v0
	s_cmp_eq_u32 s1, 0
	s_delay_alu instid0(VALU_DEP_1) | instskip(SKIP_1) | instid1(SALU_CYCLE_1)
	v_cmp_gt_i32_e32 vcc_lo, s1, v7
	s_cselect_b32 s13, -1, 0
	s_or_b32 s13, s13, vcc_lo
	s_delay_alu instid0(SALU_CYCLE_1)
	s_and_b32 exec_lo, exec_lo, s13
	s_cbranch_execz .LBB98_10
; %bb.8:
	v_mov_b32_e32 v9, s1
.LBB98_9:                               ; =>This Inner Loop Header: Depth=1
	ds_cmpstore_rtn_b32 v9, v1, v7, v9 offset:280
	s_wait_dscnt 0x0
	v_cmp_ne_u32_e32 vcc_lo, 0, v9
	v_cmp_le_i32_e64 s1, v9, v7
	s_and_b32 s1, vcc_lo, s1
	s_delay_alu instid0(SALU_CYCLE_1) | instskip(NEXT) | instid1(SALU_CYCLE_1)
	s_and_b32 s1, exec_lo, s1
	s_or_b32 s5, s1, s5
	s_delay_alu instid0(SALU_CYCLE_1)
	s_and_not1_b32 exec_lo, exec_lo, s5
	s_cbranch_execnz .LBB98_9
.LBB98_10:
	s_or_b32 exec_lo, exec_lo, s4
	v_mov_b32_e32 v1, 0
	s_barrier_signal -1
	s_barrier_wait -1
	ds_load_b32 v7, v1 offset:280
	s_and_saveexec_b32 s1, s0
	s_cbranch_execz .LBB98_12
; %bb.11:
	s_lshl_b64 s[4:5], s[10:11], 2
	s_delay_alu instid0(SALU_CYCLE_1)
	s_add_nc_u64 s[4:5], s[6:7], s[4:5]
	s_wait_dscnt 0x0
	global_store_b32 v1, v7, s[4:5]
.LBB98_12:
	s_wait_xcnt 0x0
	s_or_b32 exec_lo, exec_lo, s1
	s_wait_dscnt 0x0
	v_cmp_ne_u32_e32 vcc_lo, 0, v7
	s_mov_b32 s1, 0
	s_cbranch_vccnz .LBB98_152
; %bb.13:
	v_lshl_add_u32 v7, v0, 3, 0
                                        ; implicit-def: $vgpr77
                                        ; implicit-def: $vgpr78
	scratch_load_b64 v[74:75], v7, off
	s_wait_loadcnt 0x0
	v_cmp_ngt_f32_e64 s1, |v74|, |v75|
	s_wait_xcnt 0x0
	s_and_saveexec_b32 s4, s1
	s_delay_alu instid0(SALU_CYCLE_1)
	s_xor_b32 s1, exec_lo, s4
	s_cbranch_execz .LBB98_15
; %bb.14:
	v_div_scale_f32 v1, null, v75, v75, v74
	v_div_scale_f32 v13, vcc_lo, v74, v75, v74
	s_delay_alu instid0(VALU_DEP_2) | instskip(SKIP_1) | instid1(TRANS32_DEP_1)
	v_rcp_f32_e32 v9, v1
	v_nop
	v_fma_f32 v11, -v1, v9, 1.0
	s_delay_alu instid0(VALU_DEP_1) | instskip(NEXT) | instid1(VALU_DEP_1)
	v_fmac_f32_e32 v9, v11, v9
	v_mul_f32_e32 v11, v13, v9
	s_delay_alu instid0(VALU_DEP_1) | instskip(NEXT) | instid1(VALU_DEP_1)
	v_fma_f32 v15, -v1, v11, v13
	v_fmac_f32_e32 v11, v15, v9
	s_delay_alu instid0(VALU_DEP_1) | instskip(NEXT) | instid1(VALU_DEP_1)
	v_fma_f32 v1, -v1, v11, v13
	v_div_fmas_f32 v1, v1, v9, v11
	s_delay_alu instid0(VALU_DEP_1) | instskip(NEXT) | instid1(VALU_DEP_1)
	v_div_fixup_f32 v1, v1, v75, v74
	v_fmac_f32_e32 v75, v74, v1
	s_delay_alu instid0(VALU_DEP_1) | instskip(NEXT) | instid1(VALU_DEP_1)
	v_div_scale_f32 v9, null, v75, v75, -1.0
	v_rcp_f32_e32 v11, v9
	v_nop
	s_delay_alu instid0(TRANS32_DEP_1) | instskip(NEXT) | instid1(VALU_DEP_1)
	v_fma_f32 v13, -v9, v11, 1.0
	v_fmac_f32_e32 v11, v13, v11
	v_div_scale_f32 v13, vcc_lo, -1.0, v75, -1.0
	s_delay_alu instid0(VALU_DEP_1) | instskip(NEXT) | instid1(VALU_DEP_1)
	v_mul_f32_e32 v15, v13, v11
	v_fma_f32 v17, -v9, v15, v13
	s_delay_alu instid0(VALU_DEP_1) | instskip(NEXT) | instid1(VALU_DEP_1)
	v_fmac_f32_e32 v15, v17, v11
	v_fma_f32 v9, -v9, v15, v13
	s_delay_alu instid0(VALU_DEP_1) | instskip(NEXT) | instid1(VALU_DEP_1)
	v_div_fmas_f32 v9, v9, v11, v15
	v_div_fixup_f32 v77, v9, v75, -1.0
                                        ; implicit-def: $vgpr74_vgpr75
	s_delay_alu instid0(VALU_DEP_1) | instskip(NEXT) | instid1(VALU_DEP_1)
	v_mul_f32_e32 v78, v1, v77
	v_xor_b32_e32 v76, 0x80000000, v78
.LBB98_15:
	s_and_not1_saveexec_b32 s1, s1
	s_cbranch_execz .LBB98_17
; %bb.16:
	v_div_scale_f32 v1, null, v74, v74, v75
	v_div_scale_f32 v13, vcc_lo, v75, v74, v75
	s_delay_alu instid0(VALU_DEP_2) | instskip(SKIP_1) | instid1(TRANS32_DEP_1)
	v_rcp_f32_e32 v9, v1
	v_nop
	v_fma_f32 v11, -v1, v9, 1.0
	s_delay_alu instid0(VALU_DEP_1) | instskip(NEXT) | instid1(VALU_DEP_1)
	v_fmac_f32_e32 v9, v11, v9
	v_mul_f32_e32 v11, v13, v9
	s_delay_alu instid0(VALU_DEP_1) | instskip(NEXT) | instid1(VALU_DEP_1)
	v_fma_f32 v15, -v1, v11, v13
	v_fmac_f32_e32 v11, v15, v9
	s_delay_alu instid0(VALU_DEP_1) | instskip(NEXT) | instid1(VALU_DEP_1)
	v_fma_f32 v1, -v1, v11, v13
	v_div_fmas_f32 v1, v1, v9, v11
	s_delay_alu instid0(VALU_DEP_1) | instskip(NEXT) | instid1(VALU_DEP_1)
	v_div_fixup_f32 v1, v1, v74, v75
	v_fmac_f32_e32 v74, v75, v1
	s_delay_alu instid0(VALU_DEP_1) | instskip(SKIP_1) | instid1(VALU_DEP_2)
	v_div_scale_f32 v9, null, v74, v74, 1.0
	v_div_scale_f32 v15, vcc_lo, 1.0, v74, 1.0
	v_rcp_f32_e32 v11, v9
	v_nop
	s_delay_alu instid0(TRANS32_DEP_1) | instskip(NEXT) | instid1(VALU_DEP_1)
	v_fma_f32 v13, -v9, v11, 1.0
	v_fmac_f32_e32 v11, v13, v11
	s_delay_alu instid0(VALU_DEP_1) | instskip(NEXT) | instid1(VALU_DEP_1)
	v_mul_f32_e32 v13, v15, v11
	v_fma_f32 v17, -v9, v13, v15
	s_delay_alu instid0(VALU_DEP_1) | instskip(NEXT) | instid1(VALU_DEP_1)
	v_fmac_f32_e32 v13, v17, v11
	v_fma_f32 v9, -v9, v13, v15
	s_delay_alu instid0(VALU_DEP_1) | instskip(NEXT) | instid1(VALU_DEP_1)
	v_div_fmas_f32 v9, v9, v11, v13
	v_div_fixup_f32 v76, v9, v74, 1.0
	s_delay_alu instid0(VALU_DEP_1)
	v_xor_b32_e32 v78, 0x80000000, v76
	v_mul_f32_e64 v77, v1, -v76
.LBB98_17:
	s_or_b32 exec_lo, exec_lo, s1
	scratch_store_b64 v7, v[76:77], off
	scratch_load_b64 v[74:75], off, off offset:8
	v_xor_b32_e32 v79, 0x80000000, v77
	v_add_nc_u32_e32 v1, 0x120, v72
	s_wait_loadcnt 0x0
	ds_store_2addr_b64 v72, v[78:79], v[74:75] offset1:36
	s_wait_storecnt_dscnt 0x0
	s_barrier_signal -1
	s_barrier_wait -1
	s_wait_xcnt 0x0
	s_and_saveexec_b32 s1, s0
	s_cbranch_execz .LBB98_19
; %bb.18:
	scratch_load_b64 v[74:75], v7, off
	ds_load_b64 v[76:77], v1
	s_wait_loadcnt_dscnt 0x0
	v_pk_mul_f32 v[80:81], v[76:77], v[74:75] op_sel:[1,1] op_sel_hi:[0,1]
	s_delay_alu instid0(VALU_DEP_1) | instskip(SKIP_2) | instid1(VALU_DEP_3)
	v_pk_fma_f32 v[82:83], v[76:77], v[74:75], v[80:81] op_sel_hi:[1,0,1]
	v_mov_b32_e32 v9, 0
	v_pk_fma_f32 v[74:75], v[76:77], v[74:75], v[80:81] neg_lo:[0,0,1] neg_hi:[0,0,1]
	v_mov_b32_e32 v75, v83
	ds_load_b64 v[78:79], v9 offset:8
	v_pk_add_f32 v[74:75], v[74:75], 0 op_sel_hi:[1,0]
	s_wait_dscnt 0x0
	s_delay_alu instid0(VALU_DEP_1) | instskip(NEXT) | instid1(VALU_DEP_1)
	v_pk_mul_f32 v[76:77], v[74:75], v[78:79] op_sel:[1,1] op_sel_hi:[0,1]
	v_pk_fma_f32 v[80:81], v[74:75], v[78:79], v[76:77] op_sel_hi:[1,0,1]
	v_pk_fma_f32 v[74:75], v[74:75], v[78:79], v[76:77] neg_lo:[0,0,1] neg_hi:[0,0,1]
	s_delay_alu instid0(VALU_DEP_2)
	v_mov_b32_e32 v75, v81
	scratch_store_b64 off, v[74:75], off offset:8
.LBB98_19:
	s_wait_xcnt 0x0
	s_or_b32 exec_lo, exec_lo, s1
	s_wait_storecnt 0x0
	s_barrier_signal -1
	s_barrier_wait -1
	scratch_load_b64 v[74:75], off, off offset:16
	s_mov_b32 s1, exec_lo
	s_wait_loadcnt 0x0
	ds_store_b64 v1, v[74:75]
	s_wait_dscnt 0x0
	s_barrier_signal -1
	s_barrier_wait -1
	v_cmpx_gt_u32_e32 2, v0
	s_cbranch_execz .LBB98_23
; %bb.20:
	scratch_load_b64 v[74:75], v7, off
	ds_load_b64 v[76:77], v1
	s_wait_loadcnt_dscnt 0x0
	v_pk_mul_f32 v[78:79], v[76:77], v[74:75] op_sel:[1,1] op_sel_hi:[0,1]
	s_delay_alu instid0(VALU_DEP_1) | instskip(SKIP_1) | instid1(VALU_DEP_2)
	v_pk_fma_f32 v[80:81], v[76:77], v[74:75], v[78:79] op_sel_hi:[1,0,1]
	v_pk_fma_f32 v[74:75], v[76:77], v[74:75], v[78:79] neg_lo:[0,0,1] neg_hi:[0,0,1]
	v_mov_b32_e32 v75, v81
	s_delay_alu instid0(VALU_DEP_1)
	v_pk_add_f32 v[74:75], v[74:75], 0 op_sel_hi:[1,0]
	s_and_saveexec_b32 s4, s0
	s_cbranch_execz .LBB98_22
; %bb.21:
	scratch_load_b64 v[76:77], off, off offset:8
	v_mov_b32_e32 v7, 0
	ds_load_b64 v[78:79], v7 offset:296
	s_wait_loadcnt_dscnt 0x0
	v_pk_mul_f32 v[80:81], v[78:79], v[76:77] op_sel:[1,1] op_sel_hi:[0,1]
	s_delay_alu instid0(VALU_DEP_1) | instskip(SKIP_1) | instid1(VALU_DEP_2)
	v_pk_fma_f32 v[82:83], v[78:79], v[76:77], v[80:81] op_sel_hi:[1,0,1]
	v_pk_fma_f32 v[76:77], v[78:79], v[76:77], v[80:81] neg_lo:[0,0,1] neg_hi:[0,0,1]
	v_mov_b32_e32 v77, v83
	s_delay_alu instid0(VALU_DEP_1)
	v_pk_add_f32 v[74:75], v[74:75], v[76:77]
.LBB98_22:
	s_or_b32 exec_lo, exec_lo, s4
	v_mov_b32_e32 v7, 0
	ds_load_b64 v[76:77], v7 offset:16
	s_wait_dscnt 0x0
	v_pk_mul_f32 v[78:79], v[74:75], v[76:77] op_sel:[1,1] op_sel_hi:[0,1]
	s_delay_alu instid0(VALU_DEP_1) | instskip(SKIP_1) | instid1(VALU_DEP_2)
	v_pk_fma_f32 v[80:81], v[74:75], v[76:77], v[78:79] op_sel_hi:[1,0,1]
	v_pk_fma_f32 v[74:75], v[74:75], v[76:77], v[78:79] neg_lo:[0,0,1] neg_hi:[0,0,1]
	v_mov_b32_e32 v75, v81
	scratch_store_b64 off, v[74:75], off offset:16
.LBB98_23:
	s_wait_xcnt 0x0
	s_or_b32 exec_lo, exec_lo, s1
	s_wait_storecnt 0x0
	s_barrier_signal -1
	s_barrier_wait -1
	scratch_load_b64 v[74:75], off, off offset:24
	v_add_nc_u32_e32 v7, -1, v0
	s_mov_b32 s0, exec_lo
	s_wait_loadcnt 0x0
	ds_store_b64 v1, v[74:75]
	s_wait_dscnt 0x0
	s_barrier_signal -1
	s_barrier_wait -1
	v_cmpx_gt_u32_e32 3, v0
	s_cbranch_execz .LBB98_27
; %bb.24:
	v_dual_mov_b32 v74, 0 :: v_dual_add_nc_u32 v9, -1, v0
	v_add_nc_u32_e32 v11, 0x120, v72
	v_mov_b32_e32 v13, v72
	s_mov_b32 s1, 0
	s_delay_alu instid0(VALU_DEP_3)
	v_mov_b32_e32 v75, v74
.LBB98_25:                              ; =>This Inner Loop Header: Depth=1
	scratch_load_b64 v[76:77], v13, off
	ds_load_b64 v[78:79], v11
	s_wait_xcnt 0x0
	v_dual_add_nc_u32 v11, 8, v11 :: v_dual_add_nc_u32 v13, 8, v13
	s_wait_loadcnt_dscnt 0x0
	v_pk_mul_f32 v[80:81], v[78:79], v[76:77] op_sel:[1,1] op_sel_hi:[0,1]
	s_delay_alu instid0(VALU_DEP_1) | instskip(SKIP_2) | instid1(VALU_DEP_3)
	v_pk_fma_f32 v[82:83], v[78:79], v[76:77], v[80:81] op_sel_hi:[1,0,1]
	v_add_nc_u32_e32 v9, 1, v9
	v_pk_fma_f32 v[76:77], v[78:79], v[76:77], v[80:81] neg_lo:[0,0,1] neg_hi:[0,0,1]
	v_mov_b32_e32 v77, v83
	s_delay_alu instid0(VALU_DEP_3) | instskip(NEXT) | instid1(VALU_DEP_2)
	v_cmp_lt_u32_e32 vcc_lo, 1, v9
	v_pk_add_f32 v[74:75], v[74:75], v[76:77]
	s_or_b32 s1, vcc_lo, s1
	s_delay_alu instid0(SALU_CYCLE_1)
	s_and_not1_b32 exec_lo, exec_lo, s1
	s_cbranch_execnz .LBB98_25
; %bb.26:
	s_or_b32 exec_lo, exec_lo, s1
	v_mov_b32_e32 v9, 0
	ds_load_b64 v[76:77], v9 offset:24
	s_wait_dscnt 0x0
	v_pk_mul_f32 v[78:79], v[74:75], v[76:77] op_sel:[1,1] op_sel_hi:[0,1]
	s_delay_alu instid0(VALU_DEP_1) | instskip(SKIP_1) | instid1(VALU_DEP_2)
	v_pk_fma_f32 v[80:81], v[74:75], v[76:77], v[78:79] op_sel_hi:[1,0,1]
	v_pk_fma_f32 v[74:75], v[74:75], v[76:77], v[78:79] neg_lo:[0,0,1] neg_hi:[0,0,1]
	v_mov_b32_e32 v75, v81
	scratch_store_b64 off, v[74:75], off offset:24
.LBB98_27:
	s_wait_xcnt 0x0
	s_or_b32 exec_lo, exec_lo, s0
	s_wait_storecnt 0x0
	s_barrier_signal -1
	s_barrier_wait -1
	scratch_load_b64 v[74:75], off, off offset:32
	s_mov_b32 s0, exec_lo
	s_wait_loadcnt 0x0
	ds_store_b64 v1, v[74:75]
	s_wait_dscnt 0x0
	s_barrier_signal -1
	s_barrier_wait -1
	v_cmpx_gt_u32_e32 4, v0
	s_cbranch_execz .LBB98_31
; %bb.28:
	v_dual_mov_b32 v74, 0 :: v_dual_add_nc_u32 v9, -1, v0
	v_add_nc_u32_e32 v11, 0x120, v72
	v_mov_b32_e32 v13, v72
	s_mov_b32 s1, 0
	s_delay_alu instid0(VALU_DEP_3)
	v_mov_b32_e32 v75, v74
.LBB98_29:                              ; =>This Inner Loop Header: Depth=1
	scratch_load_b64 v[76:77], v13, off
	ds_load_b64 v[78:79], v11
	s_wait_xcnt 0x0
	v_dual_add_nc_u32 v11, 8, v11 :: v_dual_add_nc_u32 v13, 8, v13
	s_wait_loadcnt_dscnt 0x0
	v_pk_mul_f32 v[80:81], v[78:79], v[76:77] op_sel:[1,1] op_sel_hi:[0,1]
	s_delay_alu instid0(VALU_DEP_1) | instskip(SKIP_2) | instid1(VALU_DEP_3)
	v_pk_fma_f32 v[82:83], v[78:79], v[76:77], v[80:81] op_sel_hi:[1,0,1]
	v_add_nc_u32_e32 v9, 1, v9
	v_pk_fma_f32 v[76:77], v[78:79], v[76:77], v[80:81] neg_lo:[0,0,1] neg_hi:[0,0,1]
	v_mov_b32_e32 v77, v83
	s_delay_alu instid0(VALU_DEP_3) | instskip(NEXT) | instid1(VALU_DEP_2)
	v_cmp_lt_u32_e32 vcc_lo, 2, v9
	v_pk_add_f32 v[74:75], v[74:75], v[76:77]
	s_or_b32 s1, vcc_lo, s1
	s_delay_alu instid0(SALU_CYCLE_1)
	s_and_not1_b32 exec_lo, exec_lo, s1
	s_cbranch_execnz .LBB98_29
; %bb.30:
	s_or_b32 exec_lo, exec_lo, s1
	v_mov_b32_e32 v9, 0
	ds_load_b64 v[76:77], v9 offset:32
	s_wait_dscnt 0x0
	v_pk_mul_f32 v[78:79], v[74:75], v[76:77] op_sel:[1,1] op_sel_hi:[0,1]
	s_delay_alu instid0(VALU_DEP_1) | instskip(SKIP_1) | instid1(VALU_DEP_2)
	v_pk_fma_f32 v[80:81], v[74:75], v[76:77], v[78:79] op_sel_hi:[1,0,1]
	v_pk_fma_f32 v[74:75], v[74:75], v[76:77], v[78:79] neg_lo:[0,0,1] neg_hi:[0,0,1]
	v_mov_b32_e32 v75, v81
	scratch_store_b64 off, v[74:75], off offset:32
.LBB98_31:
	s_wait_xcnt 0x0
	s_or_b32 exec_lo, exec_lo, s0
	s_wait_storecnt 0x0
	s_barrier_signal -1
	s_barrier_wait -1
	scratch_load_b64 v[74:75], off, off offset:40
	;; [unrolled: 52-line block ×19, first 2 shown]
	s_mov_b32 s0, exec_lo
	s_wait_loadcnt 0x0
	ds_store_b64 v1, v[74:75]
	s_wait_dscnt 0x0
	s_barrier_signal -1
	s_barrier_wait -1
	v_cmpx_gt_u32_e32 22, v0
	s_cbranch_execz .LBB98_103
; %bb.100:
	v_dual_mov_b32 v74, 0 :: v_dual_add_nc_u32 v9, -1, v0
	v_add_nc_u32_e32 v11, 0x120, v72
	v_mov_b32_e32 v13, v72
	s_mov_b32 s1, 0
	s_delay_alu instid0(VALU_DEP_3)
	v_mov_b32_e32 v75, v74
.LBB98_101:                             ; =>This Inner Loop Header: Depth=1
	scratch_load_b64 v[76:77], v13, off
	ds_load_b64 v[78:79], v11
	s_wait_xcnt 0x0
	v_dual_add_nc_u32 v11, 8, v11 :: v_dual_add_nc_u32 v13, 8, v13
	s_wait_loadcnt_dscnt 0x0
	v_pk_mul_f32 v[80:81], v[78:79], v[76:77] op_sel:[1,1] op_sel_hi:[0,1]
	s_delay_alu instid0(VALU_DEP_1) | instskip(SKIP_2) | instid1(VALU_DEP_3)
	v_pk_fma_f32 v[82:83], v[78:79], v[76:77], v[80:81] op_sel_hi:[1,0,1]
	v_add_nc_u32_e32 v9, 1, v9
	v_pk_fma_f32 v[76:77], v[78:79], v[76:77], v[80:81] neg_lo:[0,0,1] neg_hi:[0,0,1]
	v_mov_b32_e32 v77, v83
	s_delay_alu instid0(VALU_DEP_3) | instskip(NEXT) | instid1(VALU_DEP_2)
	v_cmp_lt_u32_e32 vcc_lo, 20, v9
	v_pk_add_f32 v[74:75], v[74:75], v[76:77]
	s_or_b32 s1, vcc_lo, s1
	s_delay_alu instid0(SALU_CYCLE_1)
	s_and_not1_b32 exec_lo, exec_lo, s1
	s_cbranch_execnz .LBB98_101
; %bb.102:
	s_or_b32 exec_lo, exec_lo, s1
	v_mov_b32_e32 v9, 0
	ds_load_b64 v[76:77], v9 offset:176
	s_wait_dscnt 0x0
	v_pk_mul_f32 v[78:79], v[74:75], v[76:77] op_sel:[1,1] op_sel_hi:[0,1]
	s_delay_alu instid0(VALU_DEP_1) | instskip(SKIP_1) | instid1(VALU_DEP_2)
	v_pk_fma_f32 v[80:81], v[74:75], v[76:77], v[78:79] op_sel_hi:[1,0,1]
	v_pk_fma_f32 v[74:75], v[74:75], v[76:77], v[78:79] neg_lo:[0,0,1] neg_hi:[0,0,1]
	v_mov_b32_e32 v75, v81
	scratch_store_b64 off, v[74:75], off offset:176
.LBB98_103:
	s_wait_xcnt 0x0
	s_or_b32 exec_lo, exec_lo, s0
	s_wait_storecnt 0x0
	s_barrier_signal -1
	s_barrier_wait -1
	scratch_load_b64 v[74:75], off, off offset:184
	s_mov_b32 s0, exec_lo
	s_wait_loadcnt 0x0
	ds_store_b64 v1, v[74:75]
	s_wait_dscnt 0x0
	s_barrier_signal -1
	s_barrier_wait -1
	v_cmpx_gt_u32_e32 23, v0
	s_cbranch_execz .LBB98_107
; %bb.104:
	v_dual_mov_b32 v74, 0 :: v_dual_add_nc_u32 v9, -1, v0
	v_add_nc_u32_e32 v11, 0x120, v72
	v_mov_b32_e32 v13, v72
	s_mov_b32 s1, 0
	s_delay_alu instid0(VALU_DEP_3)
	v_mov_b32_e32 v75, v74
.LBB98_105:                             ; =>This Inner Loop Header: Depth=1
	scratch_load_b64 v[76:77], v13, off
	ds_load_b64 v[78:79], v11
	s_wait_xcnt 0x0
	v_dual_add_nc_u32 v11, 8, v11 :: v_dual_add_nc_u32 v13, 8, v13
	s_wait_loadcnt_dscnt 0x0
	v_pk_mul_f32 v[80:81], v[78:79], v[76:77] op_sel:[1,1] op_sel_hi:[0,1]
	s_delay_alu instid0(VALU_DEP_1) | instskip(SKIP_2) | instid1(VALU_DEP_3)
	v_pk_fma_f32 v[82:83], v[78:79], v[76:77], v[80:81] op_sel_hi:[1,0,1]
	v_add_nc_u32_e32 v9, 1, v9
	v_pk_fma_f32 v[76:77], v[78:79], v[76:77], v[80:81] neg_lo:[0,0,1] neg_hi:[0,0,1]
	v_mov_b32_e32 v77, v83
	s_delay_alu instid0(VALU_DEP_3) | instskip(NEXT) | instid1(VALU_DEP_2)
	v_cmp_lt_u32_e32 vcc_lo, 21, v9
	v_pk_add_f32 v[74:75], v[74:75], v[76:77]
	s_or_b32 s1, vcc_lo, s1
	s_delay_alu instid0(SALU_CYCLE_1)
	s_and_not1_b32 exec_lo, exec_lo, s1
	s_cbranch_execnz .LBB98_105
; %bb.106:
	s_or_b32 exec_lo, exec_lo, s1
	v_mov_b32_e32 v9, 0
	ds_load_b64 v[76:77], v9 offset:184
	s_wait_dscnt 0x0
	v_pk_mul_f32 v[78:79], v[74:75], v[76:77] op_sel:[1,1] op_sel_hi:[0,1]
	s_delay_alu instid0(VALU_DEP_1) | instskip(SKIP_1) | instid1(VALU_DEP_2)
	v_pk_fma_f32 v[80:81], v[74:75], v[76:77], v[78:79] op_sel_hi:[1,0,1]
	v_pk_fma_f32 v[74:75], v[74:75], v[76:77], v[78:79] neg_lo:[0,0,1] neg_hi:[0,0,1]
	v_mov_b32_e32 v75, v81
	scratch_store_b64 off, v[74:75], off offset:184
.LBB98_107:
	s_wait_xcnt 0x0
	s_or_b32 exec_lo, exec_lo, s0
	s_wait_storecnt 0x0
	s_barrier_signal -1
	s_barrier_wait -1
	scratch_load_b64 v[74:75], off, off offset:192
	;; [unrolled: 52-line block ×12, first 2 shown]
	s_mov_b32 s0, exec_lo
	s_wait_loadcnt 0x0
	ds_store_b64 v1, v[74:75]
	s_wait_dscnt 0x0
	s_barrier_signal -1
	s_barrier_wait -1
	v_cmpx_ne_u32_e32 34, v0
	s_cbranch_execz .LBB98_151
; %bb.148:
	v_dual_mov_b32 v74, 0 :: v_dual_mov_b32 v9, v72
	s_mov_b32 s1, 0
	s_delay_alu instid0(VALU_DEP_1)
	v_mov_b32_e32 v75, v74
.LBB98_149:                             ; =>This Inner Loop Header: Depth=1
	scratch_load_b64 v[72:73], v9, off
	ds_load_b64 v[76:77], v1
	v_add_nc_u32_e32 v1, 8, v1
	s_wait_xcnt 0x0
	v_add_nc_u32_e32 v9, 8, v9
	s_wait_loadcnt_dscnt 0x0
	v_pk_mul_f32 v[78:79], v[76:77], v[72:73] op_sel:[1,1] op_sel_hi:[0,1]
	s_delay_alu instid0(VALU_DEP_1) | instskip(SKIP_2) | instid1(VALU_DEP_3)
	v_pk_fma_f32 v[80:81], v[76:77], v[72:73], v[78:79] op_sel_hi:[1,0,1]
	v_add_nc_u32_e32 v7, 1, v7
	v_pk_fma_f32 v[72:73], v[76:77], v[72:73], v[78:79] neg_lo:[0,0,1] neg_hi:[0,0,1]
	v_mov_b32_e32 v73, v81
	s_delay_alu instid0(VALU_DEP_3) | instskip(NEXT) | instid1(VALU_DEP_2)
	v_cmp_lt_u32_e32 vcc_lo, 32, v7
	v_pk_add_f32 v[74:75], v[74:75], v[72:73]
	s_or_b32 s1, vcc_lo, s1
	s_delay_alu instid0(SALU_CYCLE_1)
	s_and_not1_b32 exec_lo, exec_lo, s1
	s_cbranch_execnz .LBB98_149
; %bb.150:
	s_or_b32 exec_lo, exec_lo, s1
	v_mov_b32_e32 v1, 0
	ds_load_b64 v[72:73], v1 offset:272
	s_wait_dscnt 0x0
	v_pk_mul_f32 v[76:77], v[74:75], v[72:73] op_sel:[1,1] op_sel_hi:[0,1]
	s_delay_alu instid0(VALU_DEP_1) | instskip(SKIP_1) | instid1(VALU_DEP_2)
	v_pk_fma_f32 v[78:79], v[74:75], v[72:73], v[76:77] op_sel_hi:[1,0,1]
	v_pk_fma_f32 v[72:73], v[74:75], v[72:73], v[76:77] neg_lo:[0,0,1] neg_hi:[0,0,1]
	v_mov_b32_e32 v73, v79
	scratch_store_b64 off, v[72:73], off offset:272
.LBB98_151:
	s_wait_xcnt 0x0
	s_or_b32 exec_lo, exec_lo, s0
	s_mov_b32 s1, -1
	s_wait_storecnt 0x0
	s_barrier_signal -1
	s_barrier_wait -1
.LBB98_152:
	s_and_b32 vcc_lo, exec_lo, s1
	s_cbranch_vccz .LBB98_154
; %bb.153:
	v_mov_b32_e32 v1, 0
	s_lshl_b64 s[0:1], s[10:11], 2
	s_delay_alu instid0(SALU_CYCLE_1)
	s_add_nc_u64 s[0:1], s[6:7], s[0:1]
	global_load_b32 v1, v1, s[0:1]
	s_wait_loadcnt 0x0
	v_cmp_ne_u32_e32 vcc_lo, 0, v1
	s_cbranch_vccz .LBB98_155
.LBB98_154:
	s_sendmsg sendmsg(MSG_DEALLOC_VGPRS)
	s_endpgm
.LBB98_155:
	s_wait_xcnt 0x0
	v_lshl_add_u32 v1, v0, 3, 0x120
	s_mov_b32 s0, exec_lo
	v_cmpx_eq_u32_e32 34, v0
	s_cbranch_execz .LBB98_157
; %bb.156:
	scratch_load_b64 v[72:73], off, off offset:264
	v_mov_b64_e32 v[74:75], 0
	scratch_store_b64 off, v[74:75], off offset:264
	s_wait_loadcnt 0x0
	ds_store_b64 v1, v[72:73]
.LBB98_157:
	s_wait_xcnt 0x0
	s_or_b32 exec_lo, exec_lo, s0
	s_wait_storecnt_dscnt 0x0
	s_barrier_signal -1
	s_barrier_wait -1
	s_clause 0x1
	scratch_load_b64 v[72:73], off, off offset:272
	scratch_load_b64 v[74:75], off, off offset:264
	v_mov_b32_e32 v7, 0
	s_mov_b32 s0, exec_lo
	ds_load_b64 v[76:77], v7 offset:560
	s_wait_loadcnt_dscnt 0x100
	v_pk_mul_f32 v[78:79], v[76:77], v[72:73] op_sel:[1,1] op_sel_hi:[0,1]
	s_delay_alu instid0(VALU_DEP_1) | instskip(SKIP_1) | instid1(VALU_DEP_2)
	v_pk_fma_f32 v[80:81], v[76:77], v[72:73], v[78:79] op_sel_hi:[1,0,1]
	v_pk_fma_f32 v[72:73], v[76:77], v[72:73], v[78:79] neg_lo:[0,0,1] neg_hi:[0,0,1]
	v_mov_b32_e32 v73, v81
	s_delay_alu instid0(VALU_DEP_1) | instskip(SKIP_1) | instid1(VALU_DEP_1)
	v_pk_add_f32 v[72:73], v[72:73], 0 op_sel_hi:[1,0]
	s_wait_loadcnt 0x0
	v_pk_add_f32 v[72:73], v[74:75], v[72:73] neg_lo:[0,1] neg_hi:[0,1]
	scratch_store_b64 off, v[72:73], off offset:264
	s_wait_xcnt 0x0
	v_cmpx_lt_u32_e32 32, v0
	s_cbranch_execz .LBB98_159
; %bb.158:
	scratch_load_b64 v[72:73], off, off offset:256
	v_mov_b64_e32 v[74:75], 0
	scratch_store_b64 off, v[74:75], off offset:256
	s_wait_loadcnt 0x0
	ds_store_b64 v1, v[72:73]
.LBB98_159:
	s_wait_xcnt 0x0
	s_or_b32 exec_lo, exec_lo, s0
	s_wait_storecnt_dscnt 0x0
	s_barrier_signal -1
	s_barrier_wait -1
	s_clause 0x1
	scratch_load_b128 v[72:75], off, off offset:264
	scratch_load_b64 v[80:81], off, off offset:256
	ds_load_2addr_b64 v[76:79], v7 offset0:69 offset1:70
	s_mov_b32 s0, exec_lo
	s_wait_dscnt 0x0
	v_dual_mov_b32 v82, v79 :: v_dual_mov_b32 v83, v78
	s_wait_loadcnt 0x1
	v_pk_mul_f32 v[84:85], v[76:77], v[72:73] op_sel:[1,1] op_sel_hi:[0,1]
	s_delay_alu instid0(VALU_DEP_1) | instskip(SKIP_2) | instid1(VALU_DEP_3)
	v_pk_fma_f32 v[88:89], v[76:77], v[72:73], v[84:85] op_sel_hi:[1,0,1]
	v_mov_b32_e32 v86, v75
	v_pk_fma_f32 v[72:73], v[76:77], v[72:73], v[84:85] neg_lo:[0,0,1] neg_hi:[0,0,1]
	v_mov_b32_e32 v73, v89
	s_delay_alu instid0(VALU_DEP_3) | instskip(NEXT) | instid1(VALU_DEP_2)
	v_pk_mul_f32 v[82:83], v[82:83], v[86:87] op_sel_hi:[1,0]
	v_pk_add_f32 v[72:73], v[72:73], 0 op_sel_hi:[1,0]
	s_delay_alu instid0(VALU_DEP_2) | instskip(SKIP_1) | instid1(VALU_DEP_2)
	v_pk_fma_f32 v[76:77], v[78:79], v[74:75], v[82:83] op_sel_hi:[1,0,1]
	v_pk_fma_f32 v[74:75], v[78:79], v[74:75], v[82:83] neg_lo:[0,0,1] neg_hi:[0,0,1]
	v_mov_b32_e32 v75, v77
	s_delay_alu instid0(VALU_DEP_1) | instskip(SKIP_1) | instid1(VALU_DEP_1)
	v_pk_add_f32 v[72:73], v[72:73], v[74:75]
	s_wait_loadcnt 0x0
	v_pk_add_f32 v[72:73], v[80:81], v[72:73] neg_lo:[0,1] neg_hi:[0,1]
	scratch_store_b64 off, v[72:73], off offset:256
	s_wait_xcnt 0x0
	v_cmpx_lt_u32_e32 31, v0
	s_cbranch_execz .LBB98_161
; %bb.160:
	scratch_load_b64 v[72:73], off, off offset:248
	v_mov_b64_e32 v[74:75], 0
	scratch_store_b64 off, v[74:75], off offset:248
	s_wait_loadcnt 0x0
	ds_store_b64 v1, v[72:73]
.LBB98_161:
	s_wait_xcnt 0x0
	s_or_b32 exec_lo, exec_lo, s0
	s_wait_storecnt_dscnt 0x0
	s_barrier_signal -1
	s_barrier_wait -1
	s_clause 0x2
	scratch_load_b128 v[72:75], off, off offset:256
	scratch_load_b64 v[80:81], off, off offset:272
	scratch_load_b64 v[82:83], off, off offset:248
	v_mov_b32_e32 v7, 0
	ds_load_b128 v[76:79], v7 offset:544
	ds_load_b64 v[84:85], v7 offset:560
	s_mov_b32 s0, exec_lo
	s_wait_dscnt 0x1
	v_dual_mov_b32 v86, v79 :: v_dual_mov_b32 v87, v78
	s_wait_loadcnt 0x2
	v_mov_b32_e32 v90, v75
	v_pk_mul_f32 v[88:89], v[76:77], v[72:73] op_sel:[1,1] op_sel_hi:[0,1]
	s_delay_alu instid0(VALU_DEP_2) | instskip(NEXT) | instid1(VALU_DEP_2)
	v_pk_mul_f32 v[86:87], v[86:87], v[90:91] op_sel_hi:[1,0]
	v_pk_fma_f32 v[92:93], v[76:77], v[72:73], v[88:89] op_sel_hi:[1,0,1]
	v_pk_fma_f32 v[72:73], v[76:77], v[72:73], v[88:89] neg_lo:[0,0,1] neg_hi:[0,0,1]
	s_wait_loadcnt_dscnt 0x100
	v_pk_mul_f32 v[88:89], v[84:85], v[80:81] op_sel:[1,1] op_sel_hi:[0,1]
	v_pk_fma_f32 v[76:77], v[78:79], v[74:75], v[86:87] op_sel_hi:[1,0,1]
	v_mov_b32_e32 v73, v93
	v_pk_fma_f32 v[74:75], v[78:79], v[74:75], v[86:87] neg_lo:[0,0,1] neg_hi:[0,0,1]
	s_delay_alu instid0(VALU_DEP_4) | instskip(NEXT) | instid1(VALU_DEP_4)
	v_pk_fma_f32 v[78:79], v[84:85], v[80:81], v[88:89] neg_lo:[0,0,1] neg_hi:[0,0,1]
	v_mov_b32_e32 v75, v77
	s_delay_alu instid0(VALU_DEP_4) | instskip(SKIP_1) | instid1(VALU_DEP_2)
	v_pk_add_f32 v[72:73], v[72:73], 0 op_sel_hi:[1,0]
	v_pk_fma_f32 v[76:77], v[84:85], v[80:81], v[88:89] op_sel_hi:[1,0,1]
	v_pk_add_f32 v[72:73], v[72:73], v[74:75]
	s_delay_alu instid0(VALU_DEP_2) | instskip(NEXT) | instid1(VALU_DEP_1)
	v_mov_b32_e32 v79, v77
	v_pk_add_f32 v[72:73], v[72:73], v[78:79]
	s_wait_loadcnt 0x0
	s_delay_alu instid0(VALU_DEP_1)
	v_pk_add_f32 v[72:73], v[82:83], v[72:73] neg_lo:[0,1] neg_hi:[0,1]
	scratch_store_b64 off, v[72:73], off offset:248
	s_wait_xcnt 0x0
	v_cmpx_lt_u32_e32 30, v0
	s_cbranch_execz .LBB98_163
; %bb.162:
	scratch_load_b64 v[72:73], off, off offset:240
	v_mov_b64_e32 v[74:75], 0
	scratch_store_b64 off, v[74:75], off offset:240
	s_wait_loadcnt 0x0
	ds_store_b64 v1, v[72:73]
.LBB98_163:
	s_wait_xcnt 0x0
	s_or_b32 exec_lo, exec_lo, s0
	s_wait_storecnt_dscnt 0x0
	s_barrier_signal -1
	s_barrier_wait -1
	s_clause 0x2
	scratch_load_b128 v[72:75], off, off offset:248
	scratch_load_b128 v[76:79], off, off offset:264
	scratch_load_b64 v[88:89], off, off offset:240
	ds_load_2addr_b64 v[80:83], v7 offset0:67 offset1:68
	ds_load_2addr_b64 v[84:87], v7 offset0:69 offset1:70
	s_mov_b32 s0, exec_lo
	s_wait_dscnt 0x1
	v_dual_mov_b32 v90, v83 :: v_dual_mov_b32 v91, v82
	s_wait_loadcnt_dscnt 0x200
	v_dual_mov_b32 v96, v87 :: v_dual_mov_b32 v94, v75
	v_pk_mul_f32 v[92:93], v[80:81], v[72:73] op_sel:[1,1] op_sel_hi:[0,1]
	s_delay_alu instid0(VALU_DEP_2) | instskip(NEXT) | instid1(VALU_DEP_2)
	v_pk_mul_f32 v[90:91], v[90:91], v[94:95] op_sel_hi:[1,0]
	v_pk_fma_f32 v[98:99], v[80:81], v[72:73], v[92:93] op_sel_hi:[1,0,1]
	v_pk_fma_f32 v[72:73], v[80:81], v[72:73], v[92:93] neg_lo:[0,0,1] neg_hi:[0,0,1]
	v_mov_b32_e32 v97, v86
	s_wait_loadcnt 0x1
	v_pk_mul_f32 v[94:95], v[84:85], v[76:77] op_sel:[1,1] op_sel_hi:[0,1]
	v_pk_fma_f32 v[80:81], v[82:83], v[74:75], v[90:91] op_sel_hi:[1,0,1]
	v_dual_mov_b32 v73, v99 :: v_dual_mov_b32 v80, v79
	v_pk_fma_f32 v[74:75], v[82:83], v[74:75], v[90:91] neg_lo:[0,0,1] neg_hi:[0,0,1]
	s_delay_alu instid0(VALU_DEP_4) | instskip(NEXT) | instid1(VALU_DEP_4)
	v_pk_fma_f32 v[92:93], v[84:85], v[76:77], v[94:95] op_sel_hi:[1,0,1]
	v_mov_b32_e32 v75, v81
	s_delay_alu instid0(VALU_DEP_4) | instskip(SKIP_2) | instid1(VALU_DEP_3)
	v_pk_add_f32 v[72:73], v[72:73], 0 op_sel_hi:[1,0]
	v_pk_mul_f32 v[80:81], v[96:97], v[80:81] op_sel_hi:[1,0]
	v_pk_fma_f32 v[76:77], v[84:85], v[76:77], v[94:95] neg_lo:[0,0,1] neg_hi:[0,0,1]
	v_pk_add_f32 v[72:73], v[72:73], v[74:75]
	s_delay_alu instid0(VALU_DEP_3) | instskip(SKIP_2) | instid1(VALU_DEP_3)
	v_pk_fma_f32 v[74:75], v[86:87], v[78:79], v[80:81] op_sel_hi:[1,0,1]
	v_mov_b32_e32 v77, v93
	v_pk_fma_f32 v[78:79], v[86:87], v[78:79], v[80:81] neg_lo:[0,0,1] neg_hi:[0,0,1]
	v_mov_b32_e32 v79, v75
	s_delay_alu instid0(VALU_DEP_3) | instskip(NEXT) | instid1(VALU_DEP_1)
	v_pk_add_f32 v[72:73], v[72:73], v[76:77]
	v_pk_add_f32 v[72:73], v[72:73], v[78:79]
	s_wait_loadcnt 0x0
	s_delay_alu instid0(VALU_DEP_1)
	v_pk_add_f32 v[72:73], v[88:89], v[72:73] neg_lo:[0,1] neg_hi:[0,1]
	scratch_store_b64 off, v[72:73], off offset:240
	s_wait_xcnt 0x0
	v_cmpx_lt_u32_e32 29, v0
	s_cbranch_execz .LBB98_165
; %bb.164:
	scratch_load_b64 v[72:73], off, off offset:232
	v_mov_b64_e32 v[74:75], 0
	scratch_store_b64 off, v[74:75], off offset:232
	s_wait_loadcnt 0x0
	ds_store_b64 v1, v[72:73]
.LBB98_165:
	s_wait_xcnt 0x0
	s_or_b32 exec_lo, exec_lo, s0
	s_wait_storecnt_dscnt 0x0
	s_barrier_signal -1
	s_barrier_wait -1
	s_clause 0x3
	scratch_load_b128 v[72:75], off, off offset:240
	scratch_load_b128 v[76:79], off, off offset:256
	scratch_load_b64 v[88:89], off, off offset:272
	scratch_load_b64 v[90:91], off, off offset:232
	v_mov_b32_e32 v7, 0
	ds_load_b128 v[80:83], v7 offset:528
	ds_load_b128 v[84:87], v7 offset:544
	s_mov_b32 s0, exec_lo
	s_wait_dscnt 0x1
	v_dual_mov_b32 v92, v83 :: v_dual_mov_b32 v93, v82
	ds_load_b64 v[98:99], v7 offset:560
	s_wait_dscnt 0x1
	v_dual_mov_b32 v100, v87 :: v_dual_mov_b32 v101, v86
	s_wait_loadcnt 0x3
	v_pk_mul_f32 v[94:95], v[80:81], v[72:73] op_sel:[1,1] op_sel_hi:[0,1]
	v_mov_b32_e32 v96, v75
	s_delay_alu instid0(VALU_DEP_2) | instskip(NEXT) | instid1(VALU_DEP_2)
	v_pk_fma_f32 v[102:103], v[80:81], v[72:73], v[94:95] op_sel_hi:[1,0,1]
	v_pk_mul_f32 v[92:93], v[92:93], v[96:97] op_sel_hi:[1,0]
	v_pk_fma_f32 v[72:73], v[80:81], v[72:73], v[94:95] neg_lo:[0,0,1] neg_hi:[0,0,1]
	s_wait_loadcnt 0x2
	v_pk_mul_f32 v[96:97], v[84:85], v[76:77] op_sel:[1,1] op_sel_hi:[0,1]
	v_dual_mov_b32 v102, v79 :: v_dual_mov_b32 v73, v103
	v_pk_fma_f32 v[80:81], v[82:83], v[74:75], v[92:93] op_sel_hi:[1,0,1]
	v_pk_fma_f32 v[74:75], v[82:83], v[74:75], v[92:93] neg_lo:[0,0,1] neg_hi:[0,0,1]
	s_delay_alu instid0(VALU_DEP_4) | instskip(NEXT) | instid1(VALU_DEP_4)
	v_pk_fma_f32 v[94:95], v[84:85], v[76:77], v[96:97] op_sel_hi:[1,0,1]
	v_pk_mul_f32 v[100:101], v[100:101], v[102:103] op_sel_hi:[1,0]
	v_pk_add_f32 v[72:73], v[72:73], 0 op_sel_hi:[1,0]
	v_mov_b32_e32 v75, v81
	v_pk_fma_f32 v[76:77], v[84:85], v[76:77], v[96:97] neg_lo:[0,0,1] neg_hi:[0,0,1]
	v_mov_b32_e32 v77, v95
	v_pk_fma_f32 v[80:81], v[86:87], v[78:79], v[100:101] op_sel_hi:[1,0,1]
	v_pk_fma_f32 v[78:79], v[86:87], v[78:79], v[100:101] neg_lo:[0,0,1] neg_hi:[0,0,1]
	v_pk_add_f32 v[72:73], v[72:73], v[74:75]
	s_wait_loadcnt_dscnt 0x100
	v_pk_mul_f32 v[74:75], v[98:99], v[88:89] op_sel:[1,1] op_sel_hi:[0,1]
	s_delay_alu instid0(VALU_DEP_2) | instskip(NEXT) | instid1(VALU_DEP_2)
	v_pk_add_f32 v[72:73], v[72:73], v[76:77]
	v_pk_fma_f32 v[76:77], v[98:99], v[88:89], v[74:75] op_sel_hi:[1,0,1]
	v_mov_b32_e32 v79, v81
	v_pk_fma_f32 v[74:75], v[98:99], v[88:89], v[74:75] neg_lo:[0,0,1] neg_hi:[0,0,1]
	s_delay_alu instid0(VALU_DEP_3) | instskip(NEXT) | instid1(VALU_DEP_3)
	v_mov_b32_e32 v75, v77
	v_pk_add_f32 v[72:73], v[72:73], v[78:79]
	s_delay_alu instid0(VALU_DEP_1) | instskip(SKIP_1) | instid1(VALU_DEP_1)
	v_pk_add_f32 v[72:73], v[72:73], v[74:75]
	s_wait_loadcnt 0x0
	v_pk_add_f32 v[72:73], v[90:91], v[72:73] neg_lo:[0,1] neg_hi:[0,1]
	scratch_store_b64 off, v[72:73], off offset:232
	s_wait_xcnt 0x0
	v_cmpx_lt_u32_e32 28, v0
	s_cbranch_execz .LBB98_167
; %bb.166:
	scratch_load_b64 v[72:73], off, off offset:224
	v_mov_b64_e32 v[74:75], 0
	scratch_store_b64 off, v[74:75], off offset:224
	s_wait_loadcnt 0x0
	ds_store_b64 v1, v[72:73]
.LBB98_167:
	s_wait_xcnt 0x0
	s_or_b32 exec_lo, exec_lo, s0
	s_wait_storecnt_dscnt 0x0
	s_barrier_signal -1
	s_barrier_wait -1
	s_clause 0x3
	scratch_load_b128 v[72:75], off, off offset:232
	scratch_load_b128 v[76:79], off, off offset:248
	;; [unrolled: 1-line block ×3, first 2 shown]
	scratch_load_b64 v[96:97], off, off offset:224
	ds_load_2addr_b64 v[84:87], v7 offset0:65 offset1:66
	ds_load_2addr_b64 v[88:91], v7 offset0:67 offset1:68
	;; [unrolled: 1-line block ×3, first 2 shown]
	s_mov_b32 s0, exec_lo
	s_wait_dscnt 0x2
	v_dual_mov_b32 v98, v87 :: v_dual_mov_b32 v99, v86
	s_wait_dscnt 0x1
	v_dual_mov_b32 v100, v91 :: v_dual_mov_b32 v101, v90
	;; [unrolled: 2-line block ×3, first 2 shown]
	s_wait_loadcnt 0x3
	v_pk_mul_f32 v[102:103], v[84:85], v[72:73] op_sel:[1,1] op_sel_hi:[0,1]
	v_mov_b32_e32 v104, v75
	s_delay_alu instid0(VALU_DEP_2) | instskip(NEXT) | instid1(VALU_DEP_2)
	v_pk_fma_f32 v[108:109], v[84:85], v[72:73], v[102:103] op_sel_hi:[1,0,1]
	v_pk_mul_f32 v[98:99], v[98:99], v[104:105] op_sel_hi:[1,0]
	v_pk_fma_f32 v[72:73], v[84:85], v[72:73], v[102:103] neg_lo:[0,0,1] neg_hi:[0,0,1]
	s_wait_loadcnt 0x2
	v_pk_mul_f32 v[104:105], v[88:89], v[76:77] op_sel:[1,1] op_sel_hi:[0,1]
	v_mov_b32_e32 v108, v79
	v_pk_fma_f32 v[84:85], v[86:87], v[74:75], v[98:99] op_sel_hi:[1,0,1]
	v_mov_b32_e32 v73, v109
	v_pk_fma_f32 v[74:75], v[86:87], v[74:75], v[98:99] neg_lo:[0,0,1] neg_hi:[0,0,1]
	v_pk_fma_f32 v[102:103], v[88:89], v[76:77], v[104:105] op_sel_hi:[1,0,1]
	v_pk_mul_f32 v[100:101], v[100:101], v[108:109] op_sel_hi:[1,0]
	v_mov_b32_e32 v75, v85
	v_pk_add_f32 v[72:73], v[72:73], 0 op_sel_hi:[1,0]
	v_pk_fma_f32 v[76:77], v[88:89], v[76:77], v[104:105] neg_lo:[0,0,1] neg_hi:[0,0,1]
	s_wait_loadcnt 0x1
	v_pk_mul_f32 v[84:85], v[92:93], v[80:81] op_sel:[1,1] op_sel_hi:[0,1]
	v_mov_b32_e32 v77, v103
	v_pk_fma_f32 v[86:87], v[90:91], v[78:79], v[100:101] op_sel_hi:[1,0,1]
	v_pk_add_f32 v[72:73], v[72:73], v[74:75]
	v_mov_b32_e32 v74, v83
	v_pk_fma_f32 v[78:79], v[90:91], v[78:79], v[100:101] neg_lo:[0,0,1] neg_hi:[0,0,1]
	v_pk_fma_f32 v[88:89], v[92:93], v[80:81], v[84:85] op_sel_hi:[1,0,1]
	v_mov_b32_e32 v79, v87
	v_pk_add_f32 v[72:73], v[72:73], v[76:77]
	v_pk_mul_f32 v[74:75], v[106:107], v[74:75] op_sel_hi:[1,0]
	v_pk_fma_f32 v[76:77], v[92:93], v[80:81], v[84:85] neg_lo:[0,0,1] neg_hi:[0,0,1]
	v_mov_b32_e32 v77, v89
	s_delay_alu instid0(VALU_DEP_4) | instskip(NEXT) | instid1(VALU_DEP_4)
	v_pk_add_f32 v[72:73], v[72:73], v[78:79]
	v_pk_fma_f32 v[78:79], v[94:95], v[82:83], v[74:75] op_sel_hi:[1,0,1]
	v_pk_fma_f32 v[74:75], v[94:95], v[82:83], v[74:75] neg_lo:[0,0,1] neg_hi:[0,0,1]
	s_delay_alu instid0(VALU_DEP_3) | instskip(NEXT) | instid1(VALU_DEP_3)
	v_pk_add_f32 v[72:73], v[72:73], v[76:77]
	v_mov_b32_e32 v75, v79
	s_delay_alu instid0(VALU_DEP_1) | instskip(SKIP_1) | instid1(VALU_DEP_1)
	v_pk_add_f32 v[72:73], v[72:73], v[74:75]
	s_wait_loadcnt 0x0
	v_pk_add_f32 v[72:73], v[96:97], v[72:73] neg_lo:[0,1] neg_hi:[0,1]
	scratch_store_b64 off, v[72:73], off offset:224
	s_wait_xcnt 0x0
	v_cmpx_lt_u32_e32 27, v0
	s_cbranch_execz .LBB98_169
; %bb.168:
	scratch_load_b64 v[72:73], off, off offset:216
	v_mov_b64_e32 v[74:75], 0
	scratch_store_b64 off, v[74:75], off offset:216
	s_wait_loadcnt 0x0
	ds_store_b64 v1, v[72:73]
.LBB98_169:
	s_wait_xcnt 0x0
	s_or_b32 exec_lo, exec_lo, s0
	s_wait_storecnt_dscnt 0x0
	s_barrier_signal -1
	s_barrier_wait -1
	s_clause 0x4
	scratch_load_b128 v[72:75], off, off offset:224
	scratch_load_b128 v[76:79], off, off offset:240
	;; [unrolled: 1-line block ×3, first 2 shown]
	scratch_load_b64 v[96:97], off, off offset:272
	scratch_load_b64 v[98:99], off, off offset:216
	v_mov_b32_e32 v7, 0
	ds_load_b128 v[84:87], v7 offset:512
	ds_load_b128 v[88:91], v7 offset:528
	;; [unrolled: 1-line block ×3, first 2 shown]
	ds_load_b64 v[100:101], v7 offset:560
	s_mov_b32 s0, exec_lo
	s_wait_dscnt 0x3
	v_dual_mov_b32 v102, v87 :: v_dual_mov_b32 v103, v86
	s_wait_dscnt 0x2
	v_dual_mov_b32 v104, v91 :: v_dual_mov_b32 v105, v90
	;; [unrolled: 2-line block ×3, first 2 shown]
	s_wait_loadcnt 0x4
	v_pk_mul_f32 v[106:107], v[84:85], v[72:73] op_sel:[1,1] op_sel_hi:[0,1]
	v_mov_b32_e32 v108, v75
	s_wait_loadcnt 0x3
	v_pk_mul_f32 v[112:113], v[88:89], v[76:77] op_sel:[1,1] op_sel_hi:[0,1]
	s_wait_loadcnt 0x2
	v_pk_mul_f32 v[116:117], v[92:93], v[80:81] op_sel:[1,1] op_sel_hi:[0,1]
	v_pk_fma_f32 v[114:115], v[84:85], v[72:73], v[106:107] op_sel_hi:[1,0,1]
	v_pk_mul_f32 v[102:103], v[102:103], v[108:109] op_sel_hi:[1,0]
	v_pk_fma_f32 v[72:73], v[84:85], v[72:73], v[106:107] neg_lo:[0,0,1] neg_hi:[0,0,1]
	v_mov_b32_e32 v108, v79
	v_pk_fma_f32 v[106:107], v[88:89], v[76:77], v[112:113] op_sel_hi:[1,0,1]
	v_mov_b32_e32 v73, v115
	v_pk_fma_f32 v[84:85], v[86:87], v[74:75], v[102:103] op_sel_hi:[1,0,1]
	v_pk_fma_f32 v[74:75], v[86:87], v[74:75], v[102:103] neg_lo:[0,0,1] neg_hi:[0,0,1]
	v_pk_mul_f32 v[104:105], v[104:105], v[108:109] op_sel_hi:[1,0]
	v_pk_fma_f32 v[76:77], v[88:89], v[76:77], v[112:113] neg_lo:[0,0,1] neg_hi:[0,0,1]
	v_pk_add_f32 v[72:73], v[72:73], 0 op_sel_hi:[1,0]
	v_dual_mov_b32 v75, v85 :: v_dual_mov_b32 v84, v83
	s_delay_alu instid0(VALU_DEP_4) | instskip(SKIP_2) | instid1(VALU_DEP_4)
	v_pk_fma_f32 v[86:87], v[90:91], v[78:79], v[104:105] op_sel_hi:[1,0,1]
	v_mov_b32_e32 v77, v107
	v_pk_fma_f32 v[78:79], v[90:91], v[78:79], v[104:105] neg_lo:[0,0,1] neg_hi:[0,0,1]
	v_pk_add_f32 v[72:73], v[72:73], v[74:75]
	v_pk_fma_f32 v[74:75], v[92:93], v[80:81], v[116:117] op_sel_hi:[1,0,1]
	v_pk_mul_f32 v[84:85], v[110:111], v[84:85] op_sel_hi:[1,0]
	v_mov_b32_e32 v79, v87
	s_delay_alu instid0(VALU_DEP_4)
	v_pk_add_f32 v[72:73], v[72:73], v[76:77]
	v_pk_fma_f32 v[76:77], v[92:93], v[80:81], v[116:117] neg_lo:[0,0,1] neg_hi:[0,0,1]
	v_mov_b32_e32 v77, v75
	v_pk_fma_f32 v[74:75], v[94:95], v[82:83], v[84:85] op_sel_hi:[1,0,1]
	v_pk_fma_f32 v[80:81], v[94:95], v[82:83], v[84:85] neg_lo:[0,0,1] neg_hi:[0,0,1]
	v_pk_add_f32 v[72:73], v[72:73], v[78:79]
	s_wait_loadcnt_dscnt 0x100
	v_pk_mul_f32 v[78:79], v[100:101], v[96:97] op_sel:[1,1] op_sel_hi:[0,1]
	v_mov_b32_e32 v81, v75
	s_delay_alu instid0(VALU_DEP_3) | instskip(NEXT) | instid1(VALU_DEP_3)
	v_pk_add_f32 v[72:73], v[72:73], v[76:77]
	v_pk_fma_f32 v[74:75], v[100:101], v[96:97], v[78:79] op_sel_hi:[1,0,1]
	v_pk_fma_f32 v[76:77], v[100:101], v[96:97], v[78:79] neg_lo:[0,0,1] neg_hi:[0,0,1]
	s_delay_alu instid0(VALU_DEP_3) | instskip(NEXT) | instid1(VALU_DEP_3)
	v_pk_add_f32 v[72:73], v[72:73], v[80:81]
	v_mov_b32_e32 v77, v75
	s_delay_alu instid0(VALU_DEP_1) | instskip(SKIP_1) | instid1(VALU_DEP_1)
	v_pk_add_f32 v[72:73], v[72:73], v[76:77]
	s_wait_loadcnt 0x0
	v_pk_add_f32 v[72:73], v[98:99], v[72:73] neg_lo:[0,1] neg_hi:[0,1]
	scratch_store_b64 off, v[72:73], off offset:216
	s_wait_xcnt 0x0
	v_cmpx_lt_u32_e32 26, v0
	s_cbranch_execz .LBB98_171
; %bb.170:
	scratch_load_b64 v[72:73], off, off offset:208
	v_mov_b64_e32 v[74:75], 0
	scratch_store_b64 off, v[74:75], off offset:208
	s_wait_loadcnt 0x0
	ds_store_b64 v1, v[72:73]
.LBB98_171:
	s_wait_xcnt 0x0
	s_or_b32 exec_lo, exec_lo, s0
	s_wait_storecnt_dscnt 0x0
	s_barrier_signal -1
	s_barrier_wait -1
	s_clause 0x4
	scratch_load_b128 v[72:75], off, off offset:216
	scratch_load_b128 v[76:79], off, off offset:232
	;; [unrolled: 1-line block ×4, first 2 shown]
	scratch_load_b64 v[104:105], off, off offset:208
	ds_load_2addr_b64 v[88:91], v7 offset0:63 offset1:64
	ds_load_2addr_b64 v[92:95], v7 offset0:65 offset1:66
	;; [unrolled: 1-line block ×4, first 2 shown]
	s_mov_b32 s0, exec_lo
	s_wait_dscnt 0x3
	v_dual_mov_b32 v106, v91 :: v_dual_mov_b32 v107, v90
	s_wait_dscnt 0x2
	v_dual_mov_b32 v108, v95 :: v_dual_mov_b32 v109, v94
	;; [unrolled: 2-line block ×3, first 2 shown]
	v_dual_mov_b32 v111, v98 :: v_dual_mov_b32 v116, v103
	s_wait_loadcnt 0x4
	v_mov_b32_e32 v114, v75
	v_pk_mul_f32 v[112:113], v[88:89], v[72:73] op_sel:[1,1] op_sel_hi:[0,1]
	s_wait_loadcnt 0x3
	v_pk_mul_f32 v[118:119], v[92:93], v[76:77] op_sel:[1,1] op_sel_hi:[0,1]
	s_wait_loadcnt 0x2
	v_pk_mul_f32 v[122:123], v[96:97], v[80:81] op_sel:[1,1] op_sel_hi:[0,1]
	v_pk_mul_f32 v[106:107], v[106:107], v[114:115] op_sel_hi:[1,0]
	v_pk_fma_f32 v[120:121], v[88:89], v[72:73], v[112:113] op_sel_hi:[1,0,1]
	v_pk_fma_f32 v[72:73], v[88:89], v[72:73], v[112:113] neg_lo:[0,0,1] neg_hi:[0,0,1]
	v_mov_b32_e32 v114, v79
	v_pk_fma_f32 v[112:113], v[92:93], v[76:77], v[118:119] op_sel_hi:[1,0,1]
	v_pk_fma_f32 v[88:89], v[90:91], v[74:75], v[106:107] op_sel_hi:[1,0,1]
	v_mov_b32_e32 v73, v121
	v_pk_fma_f32 v[74:75], v[90:91], v[74:75], v[106:107] neg_lo:[0,0,1] neg_hi:[0,0,1]
	v_pk_mul_f32 v[108:109], v[108:109], v[114:115] op_sel_hi:[1,0]
	s_delay_alu instid0(VALU_DEP_4) | instskip(NEXT) | instid1(VALU_DEP_4)
	v_dual_mov_b32 v88, v83 :: v_dual_mov_b32 v75, v89
	v_pk_add_f32 v[72:73], v[72:73], 0 op_sel_hi:[1,0]
	v_pk_fma_f32 v[76:77], v[92:93], v[76:77], v[118:119] neg_lo:[0,0,1] neg_hi:[0,0,1]
	v_mov_b32_e32 v77, v113
	v_pk_fma_f32 v[90:91], v[94:95], v[78:79], v[108:109] op_sel_hi:[1,0,1]
	v_pk_mul_f32 v[88:89], v[110:111], v[88:89] op_sel_hi:[1,0]
	v_pk_add_f32 v[72:73], v[72:73], v[74:75]
	v_pk_fma_f32 v[74:75], v[96:97], v[80:81], v[122:123] op_sel_hi:[1,0,1]
	v_pk_fma_f32 v[78:79], v[94:95], v[78:79], v[108:109] neg_lo:[0,0,1] neg_hi:[0,0,1]
	v_mov_b32_e32 v79, v91
	v_pk_fma_f32 v[80:81], v[96:97], v[80:81], v[122:123] neg_lo:[0,0,1] neg_hi:[0,0,1]
	v_pk_add_f32 v[72:73], v[72:73], v[76:77]
	v_mov_b32_e32 v81, v75
	v_pk_fma_f32 v[74:75], v[98:99], v[82:83], v[88:89] op_sel_hi:[1,0,1]
	s_wait_loadcnt 0x1
	v_pk_mul_f32 v[76:77], v[100:101], v[84:85] op_sel:[1,1] op_sel_hi:[0,1]
	v_mov_b32_e32 v74, v87
	v_pk_add_f32 v[72:73], v[72:73], v[78:79]
	v_pk_fma_f32 v[82:83], v[98:99], v[82:83], v[88:89] neg_lo:[0,0,1] neg_hi:[0,0,1]
	v_mov_b32_e32 v83, v75
	v_pk_fma_f32 v[78:79], v[100:101], v[84:85], v[76:77] op_sel_hi:[1,0,1]
	v_pk_mul_f32 v[74:75], v[116:117], v[74:75] op_sel_hi:[1,0]
	v_pk_add_f32 v[72:73], v[72:73], v[80:81]
	v_pk_fma_f32 v[76:77], v[100:101], v[84:85], v[76:77] neg_lo:[0,0,1] neg_hi:[0,0,1]
	s_delay_alu instid0(VALU_DEP_4) | instskip(NEXT) | instid1(VALU_DEP_4)
	v_mov_b32_e32 v77, v79
	v_pk_fma_f32 v[78:79], v[102:103], v[86:87], v[74:75] op_sel_hi:[1,0,1]
	s_delay_alu instid0(VALU_DEP_4) | instskip(SKIP_1) | instid1(VALU_DEP_3)
	v_pk_add_f32 v[72:73], v[72:73], v[82:83]
	v_pk_fma_f32 v[74:75], v[102:103], v[86:87], v[74:75] neg_lo:[0,0,1] neg_hi:[0,0,1]
	v_mov_b32_e32 v75, v79
	s_delay_alu instid0(VALU_DEP_3) | instskip(NEXT) | instid1(VALU_DEP_1)
	v_pk_add_f32 v[72:73], v[72:73], v[76:77]
	v_pk_add_f32 v[72:73], v[72:73], v[74:75]
	s_wait_loadcnt 0x0
	s_delay_alu instid0(VALU_DEP_1)
	v_pk_add_f32 v[72:73], v[104:105], v[72:73] neg_lo:[0,1] neg_hi:[0,1]
	scratch_store_b64 off, v[72:73], off offset:208
	s_wait_xcnt 0x0
	v_cmpx_lt_u32_e32 25, v0
	s_cbranch_execz .LBB98_173
; %bb.172:
	scratch_load_b64 v[72:73], off, off offset:200
	v_mov_b64_e32 v[74:75], 0
	scratch_store_b64 off, v[74:75], off offset:200
	s_wait_loadcnt 0x0
	ds_store_b64 v1, v[72:73]
.LBB98_173:
	s_wait_xcnt 0x0
	s_or_b32 exec_lo, exec_lo, s0
	s_wait_storecnt_dscnt 0x0
	s_barrier_signal -1
	s_barrier_wait -1
	s_clause 0x5
	scratch_load_b128 v[72:75], off, off offset:208
	scratch_load_b128 v[76:79], off, off offset:224
	;; [unrolled: 1-line block ×4, first 2 shown]
	scratch_load_b64 v[104:105], off, off offset:272
	scratch_load_b64 v[106:107], off, off offset:200
	v_mov_b32_e32 v7, 0
	ds_load_b128 v[88:91], v7 offset:496
	ds_load_b128 v[92:95], v7 offset:512
	;; [unrolled: 1-line block ×4, first 2 shown]
	ds_load_b64 v[108:109], v7 offset:560
	s_mov_b32 s0, exec_lo
	s_wait_dscnt 0x4
	v_dual_mov_b32 v110, v91 :: v_dual_mov_b32 v111, v90
	s_wait_dscnt 0x1
	v_dual_mov_b32 v112, v95 :: v_dual_mov_b32 v117, v102
	v_dual_mov_b32 v113, v94 :: v_dual_mov_b32 v114, v99
	;; [unrolled: 1-line block ×3, first 2 shown]
	s_wait_loadcnt 0x5
	v_dual_mov_b32 v118, v75 :: v_dual_mul_f32 v119, v88, v73
	v_mul_f32_e32 v9, v89, v73
	s_wait_loadcnt 0x4
	v_pk_mul_f32 v[120:121], v[92:93], v[76:77] op_sel:[1,1] op_sel_hi:[0,1]
	v_mov_b32_e32 v122, v79
	s_wait_loadcnt 0x3
	v_pk_mul_f32 v[124:125], v[96:97], v[80:81] op_sel:[1,1] op_sel_hi:[0,1]
	v_pk_mul_f32 v[110:111], v[110:111], v[118:119] op_sel_hi:[1,0]
	v_dual_fmac_f32 v119, v89, v72 :: v_dual_fma_f32 v118, v88, v72, -v9
	v_mov_b32_e32 v72, v83
	v_pk_fma_f32 v[126:127], v[92:93], v[76:77], v[120:121] op_sel_hi:[1,0,1]
	s_delay_alu instid0(VALU_DEP_4)
	v_pk_fma_f32 v[88:89], v[90:91], v[74:75], v[110:111] op_sel_hi:[1,0,1]
	v_pk_fma_f32 v[74:75], v[90:91], v[74:75], v[110:111] neg_lo:[0,0,1] neg_hi:[0,0,1]
	v_pk_mul_f32 v[112:113], v[112:113], v[122:123] op_sel_hi:[1,0]
	v_pk_add_f32 v[118:119], v[118:119], 0 op_sel_hi:[1,0]
	v_pk_fma_f32 v[76:77], v[92:93], v[76:77], v[120:121] neg_lo:[0,0,1] neg_hi:[0,0,1]
	v_dual_mov_b32 v75, v89 :: v_dual_mov_b32 v77, v127
	s_delay_alu instid0(VALU_DEP_4) | instskip(SKIP_2) | instid1(VALU_DEP_4)
	v_pk_fma_f32 v[90:91], v[94:95], v[78:79], v[112:113] op_sel_hi:[1,0,1]
	v_pk_fma_f32 v[78:79], v[94:95], v[78:79], v[112:113] neg_lo:[0,0,1] neg_hi:[0,0,1]
	v_pk_fma_f32 v[92:93], v[96:97], v[80:81], v[124:125] op_sel_hi:[1,0,1]
	v_pk_add_f32 v[74:75], v[118:119], v[74:75]
	v_pk_mul_f32 v[72:73], v[114:115], v[72:73] op_sel_hi:[1,0]
	v_mov_b32_e32 v79, v91
	v_pk_fma_f32 v[80:81], v[96:97], v[80:81], v[124:125] neg_lo:[0,0,1] neg_hi:[0,0,1]
	s_wait_loadcnt 0x2
	v_pk_mul_f32 v[88:89], v[100:101], v[84:85] op_sel:[1,1] op_sel_hi:[0,1]
	v_pk_add_f32 v[74:75], v[74:75], v[76:77]
	v_mov_b32_e32 v76, v87
	v_pk_fma_f32 v[90:91], v[98:99], v[82:83], v[72:73] op_sel_hi:[1,0,1]
	v_mov_b32_e32 v81, v93
	v_pk_fma_f32 v[72:73], v[98:99], v[82:83], v[72:73] neg_lo:[0,0,1] neg_hi:[0,0,1]
	v_pk_add_f32 v[74:75], v[74:75], v[78:79]
	v_pk_fma_f32 v[78:79], v[100:101], v[84:85], v[88:89] op_sel_hi:[1,0,1]
	v_pk_mul_f32 v[76:77], v[116:117], v[76:77] op_sel_hi:[1,0]
	v_mov_b32_e32 v73, v91
	s_delay_alu instid0(VALU_DEP_4)
	v_pk_add_f32 v[74:75], v[74:75], v[80:81]
	v_pk_fma_f32 v[80:81], v[100:101], v[84:85], v[88:89] neg_lo:[0,0,1] neg_hi:[0,0,1]
	v_mov_b32_e32 v81, v79
	v_pk_fma_f32 v[78:79], v[102:103], v[86:87], v[76:77] op_sel_hi:[1,0,1]
	v_pk_fma_f32 v[76:77], v[102:103], v[86:87], v[76:77] neg_lo:[0,0,1] neg_hi:[0,0,1]
	v_pk_add_f32 v[72:73], v[74:75], v[72:73]
	s_wait_loadcnt_dscnt 0x100
	v_pk_mul_f32 v[74:75], v[108:109], v[104:105] op_sel:[1,1] op_sel_hi:[0,1]
	v_mov_b32_e32 v77, v79
	s_delay_alu instid0(VALU_DEP_3) | instskip(NEXT) | instid1(VALU_DEP_3)
	v_pk_add_f32 v[72:73], v[72:73], v[80:81]
	v_pk_fma_f32 v[78:79], v[108:109], v[104:105], v[74:75] op_sel_hi:[1,0,1]
	v_pk_fma_f32 v[74:75], v[108:109], v[104:105], v[74:75] neg_lo:[0,0,1] neg_hi:[0,0,1]
	s_delay_alu instid0(VALU_DEP_3) | instskip(NEXT) | instid1(VALU_DEP_3)
	v_pk_add_f32 v[72:73], v[72:73], v[76:77]
	v_mov_b32_e32 v75, v79
	s_delay_alu instid0(VALU_DEP_1) | instskip(SKIP_1) | instid1(VALU_DEP_1)
	v_pk_add_f32 v[72:73], v[72:73], v[74:75]
	s_wait_loadcnt 0x0
	v_pk_add_f32 v[72:73], v[106:107], v[72:73] neg_lo:[0,1] neg_hi:[0,1]
	scratch_store_b64 off, v[72:73], off offset:200
	s_wait_xcnt 0x0
	v_cmpx_lt_u32_e32 24, v0
	s_cbranch_execz .LBB98_175
; %bb.174:
	scratch_load_b64 v[72:73], off, off offset:192
	v_mov_b64_e32 v[74:75], 0
	scratch_store_b64 off, v[74:75], off offset:192
	s_wait_loadcnt 0x0
	ds_store_b64 v1, v[72:73]
.LBB98_175:
	s_wait_xcnt 0x0
	s_or_b32 exec_lo, exec_lo, s0
	s_wait_storecnt_dscnt 0x0
	s_barrier_signal -1
	s_barrier_wait -1
	s_clause 0x5
	scratch_load_b128 v[72:75], off, off offset:200
	scratch_load_b128 v[76:79], off, off offset:216
	;; [unrolled: 1-line block ×5, first 2 shown]
	scratch_load_b64 v[112:113], off, off offset:192
	ds_load_2addr_b64 v[92:95], v7 offset0:63 offset1:64
	ds_load_2addr_b64 v[96:99], v7 offset0:65 offset1:66
	;; [unrolled: 1-line block ×5, first 2 shown]
	s_mov_b32 s0, exec_lo
	s_wait_dscnt 0x4
	v_dual_mov_b32 v114, v95 :: v_dual_mov_b32 v115, v94
	s_wait_dscnt 0x3
	v_dual_mov_b32 v116, v99 :: v_dual_mov_b32 v117, v98
	;; [unrolled: 2-line block ×4, first 2 shown]
	s_wait_loadcnt_dscnt 0x500
	v_dual_mul_f32 v123, v108, v73 :: v_dual_mul_f32 v125, v110, v75
	v_dual_mul_f32 v7, v109, v73 :: v_dual_mul_f32 v9, v111, v75
	s_wait_loadcnt 0x4
	v_pk_mul_f32 v[126:127], v[92:93], v[76:77] op_sel:[1,1] op_sel_hi:[0,1]
	s_wait_loadcnt 0x3
	v_dual_mov_b32 v128, v79 :: v_dual_mov_b32 v132, v83
	v_dual_fmac_f32 v123, v109, v72 :: v_dual_fmac_f32 v125, v111, v74
	v_dual_fma_f32 v122, v108, v72, -v7 :: v_dual_fma_f32 v124, v110, v74, -v9
	v_pk_fma_f32 v[72:73], v[92:93], v[76:77], v[126:127] op_sel_hi:[1,0,1]
	s_delay_alu instid0(VALU_DEP_4) | instskip(SKIP_1) | instid1(VALU_DEP_4)
	v_pk_mul_f32 v[74:75], v[114:115], v[128:129] op_sel_hi:[1,0]
	v_pk_fma_f32 v[76:77], v[92:93], v[76:77], v[126:127] neg_lo:[0,0,1] neg_hi:[0,0,1]
	v_pk_add_f32 v[108:109], v[122:123], 0 op_sel_hi:[1,0]
	v_pk_mul_f32 v[130:131], v[96:97], v[80:81] op_sel:[1,1] op_sel_hi:[0,1]
	v_mov_b32_e32 v77, v73
	v_pk_fma_f32 v[72:73], v[94:95], v[78:79], v[74:75] op_sel_hi:[1,0,1]
	v_pk_fma_f32 v[74:75], v[94:95], v[78:79], v[74:75] neg_lo:[0,0,1] neg_hi:[0,0,1]
	v_pk_add_f32 v[92:93], v[108:109], v[124:125]
	v_pk_fma_f32 v[108:109], v[96:97], v[80:81], v[130:131] op_sel_hi:[1,0,1]
	v_pk_mul_f32 v[114:115], v[116:117], v[132:133] op_sel_hi:[1,0]
	v_mov_b32_e32 v75, v73
	s_wait_loadcnt 0x2
	v_pk_mul_f32 v[110:111], v[100:101], v[84:85] op_sel:[1,1] op_sel_hi:[0,1]
	v_pk_add_f32 v[72:73], v[92:93], v[76:77]
	v_mov_b32_e32 v76, v87
	v_pk_fma_f32 v[78:79], v[96:97], v[80:81], v[130:131] neg_lo:[0,0,1] neg_hi:[0,0,1]
	v_mov_b32_e32 v79, v109
	v_pk_fma_f32 v[80:81], v[98:99], v[82:83], v[114:115] op_sel_hi:[1,0,1]
	v_pk_add_f32 v[72:73], v[72:73], v[74:75]
	v_pk_fma_f32 v[74:75], v[100:101], v[84:85], v[110:111] op_sel_hi:[1,0,1]
	v_pk_mul_f32 v[76:77], v[118:119], v[76:77] op_sel_hi:[1,0]
	v_pk_fma_f32 v[82:83], v[98:99], v[82:83], v[114:115] neg_lo:[0,0,1] neg_hi:[0,0,1]
	v_mov_b32_e32 v83, v81
	v_pk_add_f32 v[72:73], v[72:73], v[78:79]
	v_pk_fma_f32 v[80:81], v[100:101], v[84:85], v[110:111] neg_lo:[0,0,1] neg_hi:[0,0,1]
	v_mov_b32_e32 v81, v75
	v_pk_fma_f32 v[74:75], v[102:103], v[86:87], v[76:77] op_sel_hi:[1,0,1]
	s_wait_loadcnt 0x1
	v_pk_mul_f32 v[78:79], v[104:105], v[88:89] op_sel:[1,1] op_sel_hi:[0,1]
	v_pk_add_f32 v[72:73], v[72:73], v[82:83]
	v_mov_b32_e32 v74, v91
	v_pk_fma_f32 v[76:77], v[102:103], v[86:87], v[76:77] neg_lo:[0,0,1] neg_hi:[0,0,1]
	v_mov_b32_e32 v77, v75
	v_pk_fma_f32 v[82:83], v[104:105], v[88:89], v[78:79] op_sel_hi:[1,0,1]
	v_pk_add_f32 v[72:73], v[72:73], v[80:81]
	v_pk_mul_f32 v[74:75], v[120:121], v[74:75] op_sel_hi:[1,0]
	v_pk_fma_f32 v[78:79], v[104:105], v[88:89], v[78:79] neg_lo:[0,0,1] neg_hi:[0,0,1]
	s_delay_alu instid0(VALU_DEP_3) | instskip(NEXT) | instid1(VALU_DEP_3)
	v_pk_add_f32 v[72:73], v[72:73], v[76:77]
	v_pk_fma_f32 v[76:77], v[106:107], v[90:91], v[74:75] op_sel_hi:[1,0,1]
	v_mov_b32_e32 v79, v83
	v_pk_fma_f32 v[74:75], v[106:107], v[90:91], v[74:75] neg_lo:[0,0,1] neg_hi:[0,0,1]
	s_delay_alu instid0(VALU_DEP_3) | instskip(NEXT) | instid1(VALU_DEP_3)
	v_mov_b32_e32 v75, v77
	v_pk_add_f32 v[72:73], v[72:73], v[78:79]
	s_delay_alu instid0(VALU_DEP_1) | instskip(SKIP_1) | instid1(VALU_DEP_1)
	v_pk_add_f32 v[72:73], v[72:73], v[74:75]
	s_wait_loadcnt 0x0
	v_pk_add_f32 v[72:73], v[112:113], v[72:73] neg_lo:[0,1] neg_hi:[0,1]
	scratch_store_b64 off, v[72:73], off offset:192
	s_wait_xcnt 0x0
	v_cmpx_lt_u32_e32 23, v0
	s_cbranch_execz .LBB98_177
; %bb.176:
	scratch_load_b64 v[72:73], off, off offset:184
	v_mov_b64_e32 v[74:75], 0
	scratch_store_b64 off, v[74:75], off offset:184
	s_wait_loadcnt 0x0
	ds_store_b64 v1, v[72:73]
.LBB98_177:
	s_wait_xcnt 0x0
	s_or_b32 exec_lo, exec_lo, s0
	s_wait_storecnt_dscnt 0x0
	s_barrier_signal -1
	s_barrier_wait -1
	s_clause 0x6
	scratch_load_b128 v[72:75], off, off offset:192
	scratch_load_b128 v[76:79], off, off offset:208
	;; [unrolled: 1-line block ×5, first 2 shown]
	scratch_load_b64 v[112:113], off, off offset:272
	scratch_load_b64 v[114:115], off, off offset:184
	v_mov_b32_e32 v7, 0
	ds_load_b128 v[92:95], v7 offset:496
	ds_load_b128 v[96:99], v7 offset:512
	;; [unrolled: 1-line block ×5, first 2 shown]
	ds_load_b64 v[116:117], v7 offset:560
	s_mov_b32 s0, exec_lo
	s_wait_dscnt 0x5
	v_dual_mov_b32 v118, v95 :: v_dual_mov_b32 v119, v94
	s_wait_dscnt 0x2
	v_dual_mov_b32 v120, v99 :: v_dual_mov_b32 v125, v106
	v_dual_mov_b32 v121, v98 :: v_dual_mov_b32 v122, v103
	;; [unrolled: 1-line block ×3, first 2 shown]
	s_wait_loadcnt_dscnt 0x601
	v_dual_mul_f32 v9, v108, v73 :: v_dual_mul_f32 v11, v109, v73
	v_dual_mul_f32 v13, v111, v75 :: v_dual_mul_f32 v127, v110, v75
	s_wait_loadcnt 0x5
	v_dual_mul_f32 v129, v92, v77 :: v_dual_mul_f32 v15, v93, v77
	s_wait_loadcnt 0x4
	v_dual_mov_b32 v128, v79 :: v_dual_mov_b32 v132, v83
	v_dual_fmac_f32 v9, v109, v72 :: v_dual_fma_f32 v11, v108, v72, -v11
	v_dual_fma_f32 v126, v110, v74, -v13 :: v_dual_fmac_f32 v127, v111, v74
	s_delay_alu instid0(VALU_DEP_3) | instskip(NEXT) | instid1(VALU_DEP_3)
	v_pk_mul_f32 v[72:73], v[118:119], v[128:129] op_sel_hi:[1,0]
	v_dual_add_f32 v75, 0, v9 :: v_dual_add_f32 v74, 0, v11
	s_wait_loadcnt 0x3
	v_mov_b32_e32 v108, v87
	v_pk_mul_f32 v[130:131], v[96:97], v[80:81] op_sel:[1,1] op_sel_hi:[0,1]
	v_dual_fmac_f32 v129, v93, v76 :: v_dual_fma_f32 v128, v92, v76, -v15
	v_pk_fma_f32 v[76:77], v[94:95], v[78:79], v[72:73] op_sel_hi:[1,0,1]
	v_pk_add_f32 v[74:75], v[74:75], v[126:127]
	v_pk_fma_f32 v[72:73], v[94:95], v[78:79], v[72:73] neg_lo:[0,0,1] neg_hi:[0,0,1]
	v_pk_fma_f32 v[92:93], v[96:97], v[80:81], v[130:131] op_sel_hi:[1,0,1]
	v_pk_mul_f32 v[110:111], v[120:121], v[132:133] op_sel_hi:[1,0]
	v_mov_b32_e32 v73, v77
	v_pk_add_f32 v[74:75], v[74:75], v[128:129]
	v_pk_fma_f32 v[78:79], v[96:97], v[80:81], v[130:131] neg_lo:[0,0,1] neg_hi:[0,0,1]
	v_pk_mul_f32 v[134:135], v[100:101], v[84:85] op_sel:[1,1] op_sel_hi:[0,1]
	v_mov_b32_e32 v79, v93
	v_pk_fma_f32 v[80:81], v[98:99], v[82:83], v[110:111] op_sel_hi:[1,0,1]
	v_pk_add_f32 v[72:73], v[74:75], v[72:73]
	v_pk_fma_f32 v[82:83], v[98:99], v[82:83], v[110:111] neg_lo:[0,0,1] neg_hi:[0,0,1]
	v_pk_fma_f32 v[74:75], v[100:101], v[84:85], v[134:135] op_sel_hi:[1,0,1]
	v_pk_mul_f32 v[92:93], v[122:123], v[108:109] op_sel_hi:[1,0]
	s_wait_loadcnt 0x2
	v_dual_mov_b32 v83, v81 :: v_dual_mov_b32 v74, v91
	v_pk_add_f32 v[72:73], v[72:73], v[78:79]
	v_pk_fma_f32 v[78:79], v[100:101], v[84:85], v[134:135] neg_lo:[0,0,1] neg_hi:[0,0,1]
	v_pk_mul_f32 v[76:77], v[104:105], v[88:89] op_sel:[1,1] op_sel_hi:[0,1]
	v_pk_fma_f32 v[80:81], v[102:103], v[86:87], v[92:93] op_sel_hi:[1,0,1]
	v_mov_b32_e32 v79, v75
	v_pk_add_f32 v[72:73], v[72:73], v[82:83]
	v_pk_fma_f32 v[84:85], v[102:103], v[86:87], v[92:93] neg_lo:[0,0,1] neg_hi:[0,0,1]
	v_pk_fma_f32 v[82:83], v[104:105], v[88:89], v[76:77] op_sel_hi:[1,0,1]
	v_pk_mul_f32 v[74:75], v[124:125], v[74:75] op_sel_hi:[1,0]
	v_mov_b32_e32 v85, v81
	v_pk_add_f32 v[72:73], v[72:73], v[78:79]
	v_pk_fma_f32 v[76:77], v[104:105], v[88:89], v[76:77] neg_lo:[0,0,1] neg_hi:[0,0,1]
	s_wait_loadcnt_dscnt 0x100
	v_pk_mul_f32 v[80:81], v[116:117], v[112:113] op_sel:[1,1] op_sel_hi:[0,1]
	v_pk_fma_f32 v[78:79], v[106:107], v[90:91], v[74:75] op_sel_hi:[1,0,1]
	v_mov_b32_e32 v77, v83
	v_pk_add_f32 v[72:73], v[72:73], v[84:85]
	v_pk_fma_f32 v[74:75], v[106:107], v[90:91], v[74:75] neg_lo:[0,0,1] neg_hi:[0,0,1]
	s_delay_alu instid0(VALU_DEP_4) | instskip(SKIP_1) | instid1(VALU_DEP_4)
	v_mov_b32_e32 v75, v79
	v_pk_fma_f32 v[78:79], v[116:117], v[112:113], v[80:81] neg_lo:[0,0,1] neg_hi:[0,0,1]
	v_pk_add_f32 v[72:73], v[72:73], v[76:77]
	v_pk_fma_f32 v[76:77], v[116:117], v[112:113], v[80:81] op_sel_hi:[1,0,1]
	s_delay_alu instid0(VALU_DEP_2) | instskip(NEXT) | instid1(VALU_DEP_2)
	v_pk_add_f32 v[72:73], v[72:73], v[74:75]
	v_mov_b32_e32 v79, v77
	s_delay_alu instid0(VALU_DEP_1) | instskip(SKIP_1) | instid1(VALU_DEP_1)
	v_pk_add_f32 v[72:73], v[72:73], v[78:79]
	s_wait_loadcnt 0x0
	v_pk_add_f32 v[72:73], v[114:115], v[72:73] neg_lo:[0,1] neg_hi:[0,1]
	scratch_store_b64 off, v[72:73], off offset:184
	s_wait_xcnt 0x0
	v_cmpx_lt_u32_e32 22, v0
	s_cbranch_execz .LBB98_179
; %bb.178:
	scratch_load_b64 v[72:73], off, off offset:176
	v_mov_b64_e32 v[74:75], 0
	scratch_store_b64 off, v[74:75], off offset:176
	s_wait_loadcnt 0x0
	ds_store_b64 v1, v[72:73]
.LBB98_179:
	s_wait_xcnt 0x0
	s_or_b32 exec_lo, exec_lo, s0
	s_wait_storecnt_dscnt 0x0
	s_barrier_signal -1
	s_barrier_wait -1
	s_clause 0x6
	scratch_load_b128 v[72:75], off, off offset:184
	scratch_load_b128 v[76:79], off, off offset:200
	;; [unrolled: 1-line block ×6, first 2 shown]
	scratch_load_b64 v[120:121], off, off offset:176
	ds_load_2addr_b64 v[96:99], v7 offset0:63 offset1:64
	ds_load_2addr_b64 v[100:103], v7 offset0:65 offset1:66
	;; [unrolled: 1-line block ×6, first 2 shown]
	s_mov_b32 s0, exec_lo
	s_wait_dscnt 0x5
	v_dual_mov_b32 v122, v99 :: v_dual_mov_b32 v123, v98
	s_wait_dscnt 0x4
	v_dual_mov_b32 v124, v103 :: v_dual_mov_b32 v125, v102
	;; [unrolled: 2-line block ×4, first 2 shown]
	s_wait_loadcnt_dscnt 0x601
	v_dual_mul_f32 v7, v112, v73 :: v_dual_mul_f32 v9, v114, v75
	v_dual_mul_f32 v11, v113, v73 :: v_dual_mul_f32 v13, v115, v75
	s_wait_loadcnt 0x4
	s_delay_alu instid0(VALU_DEP_2)
	v_dual_mov_b32 v136, v83 :: v_dual_fmac_f32 v7, v113, v72
	s_wait_dscnt 0x0
	v_dual_mul_f32 v131, v116, v77 :: v_dual_mul_f32 v133, v118, v79
	v_dual_fma_f32 v11, v112, v72, -v11 :: v_dual_fmac_f32 v9, v115, v74
	v_dual_mul_f32 v15, v117, v77 :: v_dual_mul_f32 v17, v119, v79
	v_dual_fma_f32 v13, v114, v74, -v13 :: v_dual_add_f32 v7, 0, v7
	s_wait_loadcnt 0x3
	s_delay_alu instid0(VALU_DEP_3) | instskip(SKIP_3) | instid1(VALU_DEP_4)
	v_dual_add_f32 v11, 0, v11 :: v_dual_mov_b32 v74, v87
	v_pk_mul_f32 v[134:135], v[96:97], v[80:81] op_sel:[1,1] op_sel_hi:[0,1]
	v_pk_mul_f32 v[72:73], v[100:101], v[84:85] op_sel:[1,1] op_sel_hi:[0,1]
	v_dual_fmac_f32 v131, v117, v76 :: v_dual_add_f32 v77, v7, v9
	v_dual_fma_f32 v130, v116, v76, -v15 :: v_dual_add_f32 v76, v11, v13
	v_fmac_f32_e32 v133, v119, v78
	v_fma_f32 v132, v118, v78, -v17
	v_pk_fma_f32 v[78:79], v[96:97], v[80:81], v[134:135] op_sel_hi:[1,0,1]
	v_pk_mul_f32 v[112:113], v[122:123], v[136:137] op_sel_hi:[1,0]
	v_pk_add_f32 v[76:77], v[76:77], v[130:131]
	v_pk_fma_f32 v[80:81], v[96:97], v[80:81], v[134:135] neg_lo:[0,0,1] neg_hi:[0,0,1]
	v_pk_fma_f32 v[96:97], v[100:101], v[84:85], v[72:73] op_sel_hi:[1,0,1]
	v_pk_fma_f32 v[72:73], v[100:101], v[84:85], v[72:73] neg_lo:[0,0,1] neg_hi:[0,0,1]
	v_mov_b32_e32 v81, v79
	v_pk_fma_f32 v[78:79], v[98:99], v[82:83], v[112:113] op_sel_hi:[1,0,1]
	v_pk_fma_f32 v[82:83], v[98:99], v[82:83], v[112:113] neg_lo:[0,0,1] neg_hi:[0,0,1]
	v_mov_b32_e32 v73, v97
	v_pk_add_f32 v[76:77], v[76:77], v[132:133]
	v_pk_mul_f32 v[74:75], v[124:125], v[74:75] op_sel_hi:[1,0]
	s_wait_loadcnt 0x2
	v_dual_mov_b32 v83, v79 :: v_dual_mov_b32 v78, v91
	v_pk_mul_f32 v[114:115], v[104:105], v[88:89] op_sel:[1,1] op_sel_hi:[0,1]
	v_pk_add_f32 v[76:77], v[76:77], v[80:81]
	v_pk_fma_f32 v[80:81], v[102:103], v[86:87], v[74:75] op_sel_hi:[1,0,1]
	v_pk_fma_f32 v[74:75], v[102:103], v[86:87], v[74:75] neg_lo:[0,0,1] neg_hi:[0,0,1]
	v_pk_mul_f32 v[78:79], v[126:127], v[78:79] op_sel_hi:[1,0]
	s_delay_alu instid0(VALU_DEP_4) | instskip(SKIP_3) | instid1(VALU_DEP_4)
	v_pk_add_f32 v[76:77], v[76:77], v[82:83]
	v_pk_fma_f32 v[82:83], v[104:105], v[88:89], v[114:115] op_sel_hi:[1,0,1]
	v_mov_b32_e32 v75, v81
	v_pk_fma_f32 v[80:81], v[104:105], v[88:89], v[114:115] neg_lo:[0,0,1] neg_hi:[0,0,1]
	v_pk_add_f32 v[72:73], v[76:77], v[72:73]
	s_wait_loadcnt 0x1
	v_pk_mul_f32 v[76:77], v[108:109], v[92:93] op_sel:[1,1] op_sel_hi:[0,1]
	v_mov_b32_e32 v81, v83
	v_pk_fma_f32 v[82:83], v[106:107], v[90:91], v[78:79] op_sel_hi:[1,0,1]
	v_pk_fma_f32 v[78:79], v[106:107], v[90:91], v[78:79] neg_lo:[0,0,1] neg_hi:[0,0,1]
	v_pk_add_f32 v[72:73], v[72:73], v[74:75]
	v_mov_b32_e32 v74, v95
	v_pk_fma_f32 v[84:85], v[108:109], v[92:93], v[76:77] op_sel_hi:[1,0,1]
	v_mov_b32_e32 v79, v83
	v_pk_fma_f32 v[76:77], v[108:109], v[92:93], v[76:77] neg_lo:[0,0,1] neg_hi:[0,0,1]
	v_pk_add_f32 v[72:73], v[72:73], v[80:81]
	v_pk_mul_f32 v[74:75], v[128:129], v[74:75] op_sel_hi:[1,0]
	s_delay_alu instid0(VALU_DEP_2) | instskip(NEXT) | instid1(VALU_DEP_2)
	v_pk_add_f32 v[72:73], v[72:73], v[78:79]
	v_pk_fma_f32 v[78:79], v[110:111], v[94:95], v[74:75] op_sel_hi:[1,0,1]
	v_mov_b32_e32 v77, v85
	v_pk_fma_f32 v[74:75], v[110:111], v[94:95], v[74:75] neg_lo:[0,0,1] neg_hi:[0,0,1]
	s_delay_alu instid0(VALU_DEP_3) | instskip(NEXT) | instid1(VALU_DEP_3)
	v_mov_b32_e32 v75, v79
	v_pk_add_f32 v[72:73], v[72:73], v[76:77]
	s_delay_alu instid0(VALU_DEP_1) | instskip(SKIP_1) | instid1(VALU_DEP_1)
	v_pk_add_f32 v[72:73], v[72:73], v[74:75]
	s_wait_loadcnt 0x0
	v_pk_add_f32 v[72:73], v[120:121], v[72:73] neg_lo:[0,1] neg_hi:[0,1]
	scratch_store_b64 off, v[72:73], off offset:176
	s_wait_xcnt 0x0
	v_cmpx_lt_u32_e32 21, v0
	s_cbranch_execz .LBB98_181
; %bb.180:
	scratch_load_b64 v[72:73], off, off offset:168
	v_mov_b64_e32 v[74:75], 0
	scratch_store_b64 off, v[74:75], off offset:168
	s_wait_loadcnt 0x0
	ds_store_b64 v1, v[72:73]
.LBB98_181:
	s_wait_xcnt 0x0
	s_or_b32 exec_lo, exec_lo, s0
	s_wait_storecnt_dscnt 0x0
	s_barrier_signal -1
	s_barrier_wait -1
	s_clause 0x7
	scratch_load_b128 v[72:75], off, off offset:176
	scratch_load_b128 v[76:79], off, off offset:192
	;; [unrolled: 1-line block ×6, first 2 shown]
	scratch_load_b64 v[120:121], off, off offset:272
	scratch_load_b64 v[122:123], off, off offset:168
	v_mov_b32_e32 v7, 0
	ds_load_b128 v[96:99], v7 offset:496
	ds_load_b128 v[100:103], v7 offset:512
	;; [unrolled: 1-line block ×6, first 2 shown]
	ds_load_b64 v[124:125], v7 offset:560
	s_mov_b32 s0, exec_lo
	s_wait_dscnt 0x6
	v_dual_mov_b32 v126, v99 :: v_dual_mov_b32 v127, v98
	s_wait_dscnt 0x3
	v_dual_mov_b32 v128, v103 :: v_dual_mov_b32 v133, v110
	v_dual_mov_b32 v129, v102 :: v_dual_mov_b32 v130, v107
	;; [unrolled: 1-line block ×3, first 2 shown]
	s_wait_loadcnt_dscnt 0x702
	v_dual_mul_f32 v9, v112, v73 :: v_dual_mul_f32 v15, v113, v73
	v_dual_mul_f32 v17, v115, v75 :: v_dual_mul_f32 v11, v114, v75
	s_wait_loadcnt_dscnt 0x601
	s_delay_alu instid0(VALU_DEP_2) | instskip(NEXT) | instid1(VALU_DEP_3)
	v_dual_mul_f32 v13, v116, v77 :: v_dual_fmac_f32 v9, v113, v72
	v_dual_fma_f32 v15, v112, v72, -v15 :: v_dual_mul_f32 v19, v117, v77
	v_mul_f32_e32 v21, v119, v79
	s_wait_loadcnt 0x4
	v_dual_mov_b32 v72, v87 :: v_dual_fma_f32 v17, v114, v74, -v17
	v_dual_fmac_f32 v11, v115, v74 :: v_dual_add_f32 v9, 0, v9
	v_dual_add_f32 v15, 0, v15 :: v_dual_fmac_f32 v13, v117, v76
	v_dual_mul_f32 v135, v118, v79 :: v_dual_mul_f32 v137, v96, v81
	v_dual_mul_f32 v23, v97, v81 :: v_dual_mov_b32 v136, v83
	s_delay_alu instid0(VALU_DEP_4) | instskip(NEXT) | instid1(VALU_DEP_4)
	v_dual_fma_f32 v19, v116, v76, -v19 :: v_dual_add_f32 v9, v9, v11
	v_dual_add_f32 v11, v15, v17 :: v_dual_fma_f32 v134, v118, v78, -v21
	s_delay_alu instid0(VALU_DEP_4) | instskip(NEXT) | instid1(VALU_DEP_4)
	v_fmac_f32_e32 v135, v119, v78
	v_pk_mul_f32 v[76:77], v[126:127], v[136:137] op_sel_hi:[1,0]
	s_delay_alu instid0(VALU_DEP_3)
	v_dual_add_f32 v79, v9, v13 :: v_dual_add_f32 v78, v11, v19
	v_fmac_f32_e32 v137, v97, v80
	v_pk_mul_f32 v[138:139], v[100:101], v[84:85] op_sel:[1,1] op_sel_hi:[0,1]
	s_wait_loadcnt 0x3
	v_dual_mov_b32 v112, v91 :: v_dual_fma_f32 v136, v96, v80, -v23
	v_pk_fma_f32 v[80:81], v[98:99], v[82:83], v[76:77] op_sel_hi:[1,0,1]
	v_pk_add_f32 v[78:79], v[78:79], v[134:135]
	v_pk_fma_f32 v[76:77], v[98:99], v[82:83], v[76:77] neg_lo:[0,0,1] neg_hi:[0,0,1]
	v_pk_fma_f32 v[96:97], v[100:101], v[84:85], v[138:139] op_sel_hi:[1,0,1]
	v_pk_mul_f32 v[72:73], v[128:129], v[72:73] op_sel_hi:[1,0]
	v_mov_b32_e32 v77, v81
	v_pk_add_f32 v[78:79], v[78:79], v[136:137]
	v_pk_fma_f32 v[82:83], v[100:101], v[84:85], v[138:139] neg_lo:[0,0,1] neg_hi:[0,0,1]
	v_pk_mul_f32 v[74:75], v[104:105], v[88:89] op_sel:[1,1] op_sel_hi:[0,1]
	v_mov_b32_e32 v83, v97
	v_pk_fma_f32 v[84:85], v[102:103], v[86:87], v[72:73] op_sel_hi:[1,0,1]
	v_pk_add_f32 v[76:77], v[78:79], v[76:77]
	v_pk_fma_f32 v[72:73], v[102:103], v[86:87], v[72:73] neg_lo:[0,0,1] neg_hi:[0,0,1]
	v_pk_fma_f32 v[78:79], v[104:105], v[88:89], v[74:75] op_sel_hi:[1,0,1]
	v_pk_mul_f32 v[96:97], v[130:131], v[112:113] op_sel_hi:[1,0]
	s_wait_loadcnt 0x2
	v_dual_mov_b32 v73, v85 :: v_dual_mov_b32 v78, v95
	v_pk_add_f32 v[76:77], v[76:77], v[82:83]
	v_pk_fma_f32 v[74:75], v[104:105], v[88:89], v[74:75] neg_lo:[0,0,1] neg_hi:[0,0,1]
	v_pk_mul_f32 v[80:81], v[108:109], v[92:93] op_sel:[1,1] op_sel_hi:[0,1]
	v_pk_fma_f32 v[82:83], v[106:107], v[90:91], v[96:97] op_sel_hi:[1,0,1]
	v_mov_b32_e32 v75, v79
	v_pk_add_f32 v[72:73], v[76:77], v[72:73]
	v_pk_fma_f32 v[84:85], v[106:107], v[90:91], v[96:97] neg_lo:[0,0,1] neg_hi:[0,0,1]
	v_pk_fma_f32 v[76:77], v[108:109], v[92:93], v[80:81] op_sel_hi:[1,0,1]
	v_pk_mul_f32 v[78:79], v[132:133], v[78:79] op_sel_hi:[1,0]
	v_mov_b32_e32 v85, v83
	v_pk_add_f32 v[72:73], v[72:73], v[74:75]
	v_pk_fma_f32 v[74:75], v[108:109], v[92:93], v[80:81] neg_lo:[0,0,1] neg_hi:[0,0,1]
	v_mov_b32_e32 v75, v77
	v_pk_fma_f32 v[76:77], v[110:111], v[94:95], v[78:79] op_sel_hi:[1,0,1]
	s_wait_loadcnt_dscnt 0x100
	v_pk_mul_f32 v[80:81], v[124:125], v[120:121] op_sel:[1,1] op_sel_hi:[0,1]
	v_pk_add_f32 v[72:73], v[72:73], v[84:85]
	v_pk_fma_f32 v[78:79], v[110:111], v[94:95], v[78:79] neg_lo:[0,0,1] neg_hi:[0,0,1]
	v_mov_b32_e32 v79, v77
	s_delay_alu instid0(VALU_DEP_4) | instskip(NEXT) | instid1(VALU_DEP_4)
	v_pk_fma_f32 v[76:77], v[124:125], v[120:121], v[80:81] neg_lo:[0,0,1] neg_hi:[0,0,1]
	v_pk_add_f32 v[72:73], v[72:73], v[74:75]
	v_pk_fma_f32 v[74:75], v[124:125], v[120:121], v[80:81] op_sel_hi:[1,0,1]
	s_delay_alu instid0(VALU_DEP_2) | instskip(NEXT) | instid1(VALU_DEP_2)
	v_pk_add_f32 v[72:73], v[72:73], v[78:79]
	v_mov_b32_e32 v77, v75
	s_delay_alu instid0(VALU_DEP_1) | instskip(SKIP_1) | instid1(VALU_DEP_1)
	v_pk_add_f32 v[72:73], v[72:73], v[76:77]
	s_wait_loadcnt 0x0
	v_pk_add_f32 v[72:73], v[122:123], v[72:73] neg_lo:[0,1] neg_hi:[0,1]
	scratch_store_b64 off, v[72:73], off offset:168
	s_wait_xcnt 0x0
	v_cmpx_lt_u32_e32 20, v0
	s_cbranch_execz .LBB98_183
; %bb.182:
	scratch_load_b64 v[72:73], off, off offset:160
	v_mov_b64_e32 v[74:75], 0
	scratch_store_b64 off, v[74:75], off offset:160
	s_wait_loadcnt 0x0
	ds_store_b64 v1, v[72:73]
.LBB98_183:
	s_wait_xcnt 0x0
	s_or_b32 exec_lo, exec_lo, s0
	s_wait_storecnt_dscnt 0x0
	s_barrier_signal -1
	s_barrier_wait -1
	s_clause 0x7
	scratch_load_b128 v[72:75], off, off offset:168
	scratch_load_b128 v[76:79], off, off offset:184
	;; [unrolled: 1-line block ×7, first 2 shown]
	scratch_load_b64 v[128:129], off, off offset:160
	ds_load_2addr_b64 v[100:103], v7 offset0:63 offset1:64
	ds_load_2addr_b64 v[104:107], v7 offset0:65 offset1:66
	ds_load_2addr_b64 v[108:111], v7 offset0:67 offset1:68
	ds_load_2addr_b64 v[112:115], v7 offset0:69 offset1:70
	ds_load_2addr_b64 v[116:119], v7 offset0:57 offset1:58
	ds_load_2addr_b64 v[120:123], v7 offset0:59 offset1:60
	ds_load_2addr_b64 v[124:127], v7 offset0:61 offset1:62
	s_mov_b32 s0, exec_lo
	s_wait_dscnt 0x6
	v_dual_mov_b32 v130, v103 :: v_dual_mov_b32 v131, v102
	s_wait_dscnt 0x5
	v_dual_mov_b32 v132, v107 :: v_dual_mov_b32 v133, v106
	;; [unrolled: 2-line block ×4, first 2 shown]
	s_wait_loadcnt_dscnt 0x702
	v_dual_mul_f32 v7, v116, v73 :: v_dual_mul_f32 v9, v118, v75
	v_dual_mul_f32 v15, v117, v73 :: v_dual_mul_f32 v17, v119, v75
	s_wait_loadcnt_dscnt 0x601
	v_dual_mul_f32 v11, v120, v77 :: v_dual_mul_f32 v13, v122, v79
	s_delay_alu instid0(VALU_DEP_3) | instskip(NEXT) | instid1(VALU_DEP_3)
	v_dual_fmac_f32 v7, v117, v72 :: v_dual_fmac_f32 v9, v119, v74
	v_dual_fma_f32 v15, v116, v72, -v15 :: v_dual_fma_f32 v17, v118, v74, -v17
	v_dual_mul_f32 v19, v121, v77 :: v_dual_mul_f32 v21, v123, v79
	s_wait_loadcnt 0x4
	s_delay_alu instid0(VALU_DEP_3) | instskip(NEXT) | instid1(VALU_DEP_3)
	v_dual_add_f32 v7, 0, v7 :: v_dual_mov_b32 v74, v87
	v_dual_add_f32 v15, 0, v15 :: v_dual_fmac_f32 v11, v121, v76
	s_delay_alu instid0(VALU_DEP_2) | instskip(SKIP_2) | instid1(VALU_DEP_3)
	v_dual_fma_f32 v19, v120, v76, -v19 :: v_dual_add_f32 v7, v7, v9
	s_wait_dscnt 0x0
	v_dual_mul_f32 v139, v124, v81 :: v_dual_mul_f32 v141, v126, v83
	v_dual_add_f32 v9, v15, v17 :: v_dual_fma_f32 v15, v122, v78, -v21
	v_dual_mul_f32 v23, v125, v81 :: v_dual_mul_f32 v25, v127, v83
	s_delay_alu instid0(VALU_DEP_2) | instskip(NEXT) | instid1(VALU_DEP_4)
	v_dual_fmac_f32 v13, v123, v78 :: v_dual_add_f32 v9, v9, v19
	v_dual_add_f32 v7, v7, v11 :: v_dual_fmac_f32 v139, v125, v80
	v_pk_mul_f32 v[72:73], v[100:101], v[84:85] op_sel:[1,1] op_sel_hi:[0,1]
	s_wait_loadcnt 0x3
	v_pk_mul_f32 v[76:77], v[104:105], v[88:89] op_sel:[1,1] op_sel_hi:[0,1]
	v_dual_mov_b32 v78, v91 :: v_dual_fma_f32 v138, v124, v80, -v23
	v_dual_add_f32 v81, v7, v13 :: v_dual_add_f32 v80, v9, v15
	v_fmac_f32_e32 v141, v127, v82
	v_fma_f32 v140, v126, v82, -v25
	v_pk_fma_f32 v[82:83], v[100:101], v[84:85], v[72:73] op_sel_hi:[1,0,1]
	v_pk_mul_f32 v[74:75], v[130:131], v[74:75] op_sel_hi:[1,0]
	v_pk_add_f32 v[80:81], v[80:81], v[138:139]
	v_pk_fma_f32 v[72:73], v[100:101], v[84:85], v[72:73] neg_lo:[0,0,1] neg_hi:[0,0,1]
	v_pk_fma_f32 v[84:85], v[104:105], v[88:89], v[76:77] op_sel_hi:[1,0,1]
	v_pk_fma_f32 v[76:77], v[104:105], v[88:89], v[76:77] neg_lo:[0,0,1] neg_hi:[0,0,1]
	v_mov_b32_e32 v73, v83
	v_pk_fma_f32 v[82:83], v[102:103], v[86:87], v[74:75] op_sel_hi:[1,0,1]
	v_pk_fma_f32 v[74:75], v[102:103], v[86:87], v[74:75] neg_lo:[0,0,1] neg_hi:[0,0,1]
	v_mov_b32_e32 v77, v85
	v_pk_add_f32 v[80:81], v[80:81], v[140:141]
	v_pk_mul_f32 v[78:79], v[132:133], v[78:79] op_sel_hi:[1,0]
	v_mov_b32_e32 v75, v83
	s_wait_loadcnt 0x2
	v_pk_mul_f32 v[116:117], v[108:109], v[92:93] op_sel:[1,1] op_sel_hi:[0,1]
	v_pk_add_f32 v[72:73], v[80:81], v[72:73]
	v_mov_b32_e32 v80, v95
	v_pk_fma_f32 v[82:83], v[106:107], v[90:91], v[78:79] op_sel_hi:[1,0,1]
	v_pk_fma_f32 v[78:79], v[106:107], v[90:91], v[78:79] neg_lo:[0,0,1] neg_hi:[0,0,1]
	s_delay_alu instid0(VALU_DEP_4)
	v_pk_add_f32 v[72:73], v[72:73], v[74:75]
	v_pk_fma_f32 v[74:75], v[108:109], v[92:93], v[116:117] op_sel_hi:[1,0,1]
	v_pk_mul_f32 v[80:81], v[134:135], v[80:81] op_sel_hi:[1,0]
	v_mov_b32_e32 v79, v83
	v_pk_fma_f32 v[82:83], v[108:109], v[92:93], v[116:117] neg_lo:[0,0,1] neg_hi:[0,0,1]
	v_pk_add_f32 v[72:73], v[72:73], v[76:77]
	v_mov_b32_e32 v83, v75
	v_pk_fma_f32 v[74:75], v[110:111], v[94:95], v[80:81] op_sel_hi:[1,0,1]
	s_wait_loadcnt 0x1
	v_pk_mul_f32 v[76:77], v[112:113], v[96:97] op_sel:[1,1] op_sel_hi:[0,1]
	v_mov_b32_e32 v74, v99
	v_pk_add_f32 v[72:73], v[72:73], v[78:79]
	v_pk_fma_f32 v[80:81], v[110:111], v[94:95], v[80:81] neg_lo:[0,0,1] neg_hi:[0,0,1]
	v_mov_b32_e32 v81, v75
	v_pk_fma_f32 v[78:79], v[112:113], v[96:97], v[76:77] op_sel_hi:[1,0,1]
	v_pk_mul_f32 v[74:75], v[136:137], v[74:75] op_sel_hi:[1,0]
	v_pk_add_f32 v[72:73], v[72:73], v[82:83]
	v_pk_fma_f32 v[76:77], v[112:113], v[96:97], v[76:77] neg_lo:[0,0,1] neg_hi:[0,0,1]
	s_delay_alu instid0(VALU_DEP_4) | instskip(NEXT) | instid1(VALU_DEP_4)
	v_mov_b32_e32 v77, v79
	v_pk_fma_f32 v[78:79], v[114:115], v[98:99], v[74:75] op_sel_hi:[1,0,1]
	s_delay_alu instid0(VALU_DEP_4) | instskip(SKIP_1) | instid1(VALU_DEP_3)
	v_pk_add_f32 v[72:73], v[72:73], v[80:81]
	v_pk_fma_f32 v[74:75], v[114:115], v[98:99], v[74:75] neg_lo:[0,0,1] neg_hi:[0,0,1]
	v_mov_b32_e32 v75, v79
	s_delay_alu instid0(VALU_DEP_3) | instskip(NEXT) | instid1(VALU_DEP_1)
	v_pk_add_f32 v[72:73], v[72:73], v[76:77]
	v_pk_add_f32 v[72:73], v[72:73], v[74:75]
	s_wait_loadcnt 0x0
	s_delay_alu instid0(VALU_DEP_1)
	v_pk_add_f32 v[72:73], v[128:129], v[72:73] neg_lo:[0,1] neg_hi:[0,1]
	scratch_store_b64 off, v[72:73], off offset:160
	s_wait_xcnt 0x0
	v_cmpx_lt_u32_e32 19, v0
	s_cbranch_execz .LBB98_185
; %bb.184:
	scratch_load_b64 v[72:73], off, off offset:152
	v_mov_b64_e32 v[74:75], 0
	scratch_store_b64 off, v[74:75], off offset:152
	s_wait_loadcnt 0x0
	ds_store_b64 v1, v[72:73]
.LBB98_185:
	s_wait_xcnt 0x0
	s_or_b32 exec_lo, exec_lo, s0
	s_wait_storecnt_dscnt 0x0
	s_barrier_signal -1
	s_barrier_wait -1
	s_clause 0x8
	scratch_load_b128 v[72:75], off, off offset:160
	scratch_load_b128 v[76:79], off, off offset:176
	;; [unrolled: 1-line block ×7, first 2 shown]
	scratch_load_b64 v[128:129], off, off offset:272
	scratch_load_b64 v[130:131], off, off offset:152
	v_mov_b32_e32 v7, 0
	ds_load_b128 v[100:103], v7 offset:496
	ds_load_b128 v[104:107], v7 offset:512
	;; [unrolled: 1-line block ×7, first 2 shown]
	ds_load_b64 v[132:133], v7 offset:560
	s_mov_b32 s0, exec_lo
	s_wait_dscnt 0x7
	v_dual_mov_b32 v134, v103 :: v_dual_mov_b32 v135, v102
	s_wait_dscnt 0x4
	v_dual_mov_b32 v136, v107 :: v_dual_mov_b32 v141, v114
	v_dual_mov_b32 v137, v106 :: v_dual_mov_b32 v138, v111
	;; [unrolled: 1-line block ×3, first 2 shown]
	s_wait_loadcnt_dscnt 0x803
	v_dual_mul_f32 v9, v116, v73 :: v_dual_mul_f32 v19, v117, v73
	v_dual_mul_f32 v21, v119, v75 :: v_dual_mul_f32 v11, v118, v75
	s_wait_loadcnt_dscnt 0x702
	v_mul_f32_e32 v13, v120, v77
	s_wait_loadcnt 0x5
	v_dual_mul_f32 v31, v101, v85 :: v_dual_fma_f32 v19, v116, v72, -v19
	v_dual_fmac_f32 v9, v117, v72 :: v_dual_mov_b32 v72, v87
	v_dual_mul_f32 v23, v121, v77 :: v_dual_mul_f32 v25, v123, v79
	v_dual_fmac_f32 v11, v119, v74 :: v_dual_fma_f32 v21, v118, v74, -v21
	s_delay_alu instid0(VALU_DEP_3) | instskip(SKIP_3) | instid1(VALU_DEP_3)
	v_dual_add_f32 v9, 0, v9 :: v_dual_add_f32 v19, 0, v19
	s_wait_dscnt 0x1
	v_dual_mul_f32 v15, v122, v79 :: v_dual_mul_f32 v17, v124, v81
	v_dual_fmac_f32 v13, v121, v76 :: v_dual_fma_f32 v23, v120, v76, -v23
	v_dual_add_f32 v9, v9, v11 :: v_dual_add_f32 v11, v19, v21
	v_dual_mul_f32 v27, v125, v81 :: v_dual_mul_f32 v29, v127, v83
	s_wait_loadcnt 0x4
	v_dual_mov_b32 v76, v91 :: v_dual_fma_f32 v19, v122, v78, -v25
	s_delay_alu instid0(VALU_DEP_3) | instskip(SKIP_2) | instid1(VALU_DEP_3)
	v_dual_fmac_f32 v15, v123, v78 :: v_dual_add_f32 v9, v9, v13
	v_dual_add_f32 v11, v11, v23 :: v_dual_fmac_f32 v17, v125, v80
	v_dual_mul_f32 v143, v126, v83 :: v_dual_mul_f32 v145, v100, v85
	v_dual_fma_f32 v13, v124, v80, -v27 :: v_dual_add_f32 v9, v9, v15
	s_delay_alu instid0(VALU_DEP_3) | instskip(NEXT) | instid1(VALU_DEP_3)
	v_dual_add_f32 v11, v11, v19 :: v_dual_fma_f32 v142, v126, v82, -v29
	v_fmac_f32_e32 v143, v127, v82
	v_pk_mul_f32 v[72:73], v[134:135], v[72:73] op_sel_hi:[1,0]
	s_delay_alu instid0(VALU_DEP_4) | instskip(NEXT) | instid1(VALU_DEP_4)
	v_add_f32_e32 v81, v9, v17
	v_dual_add_f32 v80, v11, v13 :: v_dual_fmac_f32 v145, v101, v84
	v_pk_mul_f32 v[74:75], v[104:105], v[88:89] op_sel:[1,1] op_sel_hi:[0,1]
	s_wait_loadcnt 0x3
	v_dual_mov_b32 v82, v95 :: v_dual_fma_f32 v144, v100, v84, -v31
	v_pk_fma_f32 v[84:85], v[102:103], v[86:87], v[72:73] op_sel_hi:[1,0,1]
	v_pk_add_f32 v[80:81], v[80:81], v[142:143]
	v_pk_fma_f32 v[72:73], v[102:103], v[86:87], v[72:73] neg_lo:[0,0,1] neg_hi:[0,0,1]
	v_pk_fma_f32 v[100:101], v[104:105], v[88:89], v[74:75] op_sel_hi:[1,0,1]
	v_pk_mul_f32 v[76:77], v[136:137], v[76:77] op_sel_hi:[1,0]
	v_mov_b32_e32 v73, v85
	v_pk_add_f32 v[80:81], v[80:81], v[144:145]
	v_pk_fma_f32 v[74:75], v[104:105], v[88:89], v[74:75] neg_lo:[0,0,1] neg_hi:[0,0,1]
	v_pk_mul_f32 v[78:79], v[108:109], v[92:93] op_sel:[1,1] op_sel_hi:[0,1]
	v_mov_b32_e32 v75, v101
	v_pk_fma_f32 v[86:87], v[106:107], v[90:91], v[76:77] op_sel_hi:[1,0,1]
	v_pk_add_f32 v[72:73], v[80:81], v[72:73]
	v_pk_fma_f32 v[76:77], v[106:107], v[90:91], v[76:77] neg_lo:[0,0,1] neg_hi:[0,0,1]
	v_pk_fma_f32 v[80:81], v[108:109], v[92:93], v[78:79] op_sel_hi:[1,0,1]
	v_pk_mul_f32 v[82:83], v[138:139], v[82:83] op_sel_hi:[1,0]
	v_mov_b32_e32 v77, v87
	v_pk_add_f32 v[72:73], v[72:73], v[74:75]
	v_pk_fma_f32 v[78:79], v[108:109], v[92:93], v[78:79] neg_lo:[0,0,1] neg_hi:[0,0,1]
	s_wait_loadcnt 0x2
	v_pk_mul_f32 v[84:85], v[112:113], v[96:97] op_sel:[1,1] op_sel_hi:[0,1]
	v_dual_mov_b32 v74, v99 :: v_dual_mov_b32 v79, v81
	v_pk_fma_f32 v[80:81], v[110:111], v[94:95], v[82:83] op_sel_hi:[1,0,1]
	v_pk_add_f32 v[72:73], v[72:73], v[76:77]
	v_pk_fma_f32 v[82:83], v[110:111], v[94:95], v[82:83] neg_lo:[0,0,1] neg_hi:[0,0,1]
	v_pk_fma_f32 v[76:77], v[112:113], v[96:97], v[84:85] op_sel_hi:[1,0,1]
	v_pk_mul_f32 v[74:75], v[140:141], v[74:75] op_sel_hi:[1,0]
	v_mov_b32_e32 v83, v81
	v_pk_add_f32 v[72:73], v[72:73], v[78:79]
	v_pk_fma_f32 v[78:79], v[112:113], v[96:97], v[84:85] neg_lo:[0,0,1] neg_hi:[0,0,1]
	v_mov_b32_e32 v79, v77
	v_pk_fma_f32 v[76:77], v[114:115], v[98:99], v[74:75] op_sel_hi:[1,0,1]
	s_wait_loadcnt_dscnt 0x100
	v_pk_mul_f32 v[80:81], v[132:133], v[128:129] op_sel:[1,1] op_sel_hi:[0,1]
	v_pk_add_f32 v[72:73], v[72:73], v[82:83]
	v_pk_fma_f32 v[74:75], v[114:115], v[98:99], v[74:75] neg_lo:[0,0,1] neg_hi:[0,0,1]
	v_mov_b32_e32 v75, v77
	s_delay_alu instid0(VALU_DEP_4) | instskip(NEXT) | instid1(VALU_DEP_4)
	v_pk_fma_f32 v[76:77], v[132:133], v[128:129], v[80:81] op_sel_hi:[1,0,1]
	v_pk_add_f32 v[72:73], v[72:73], v[78:79]
	v_pk_fma_f32 v[78:79], v[132:133], v[128:129], v[80:81] neg_lo:[0,0,1] neg_hi:[0,0,1]
	s_delay_alu instid0(VALU_DEP_3) | instskip(NEXT) | instid1(VALU_DEP_3)
	v_mov_b32_e32 v79, v77
	v_pk_add_f32 v[72:73], v[72:73], v[74:75]
	s_delay_alu instid0(VALU_DEP_1) | instskip(SKIP_1) | instid1(VALU_DEP_1)
	v_pk_add_f32 v[72:73], v[72:73], v[78:79]
	s_wait_loadcnt 0x0
	v_pk_add_f32 v[72:73], v[130:131], v[72:73] neg_lo:[0,1] neg_hi:[0,1]
	scratch_store_b64 off, v[72:73], off offset:152
	s_wait_xcnt 0x0
	v_cmpx_lt_u32_e32 18, v0
	s_cbranch_execz .LBB98_187
; %bb.186:
	scratch_load_b64 v[72:73], off, off offset:144
	v_mov_b64_e32 v[74:75], 0
	scratch_store_b64 off, v[74:75], off offset:144
	s_wait_loadcnt 0x0
	ds_store_b64 v1, v[72:73]
.LBB98_187:
	s_wait_xcnt 0x0
	s_or_b32 exec_lo, exec_lo, s0
	s_wait_storecnt_dscnt 0x0
	s_barrier_signal -1
	s_barrier_wait -1
	s_clause 0x8
	scratch_load_b128 v[72:75], off, off offset:152
	scratch_load_b128 v[76:79], off, off offset:168
	;; [unrolled: 1-line block ×8, first 2 shown]
	scratch_load_b64 v[136:137], off, off offset:144
	ds_load_2addr_b64 v[104:107], v7 offset0:63 offset1:64
	ds_load_2addr_b64 v[108:111], v7 offset0:65 offset1:66
	;; [unrolled: 1-line block ×8, first 2 shown]
	s_mov_b32 s0, exec_lo
	s_wait_dscnt 0x7
	v_dual_mov_b32 v138, v107 :: v_dual_mov_b32 v139, v106
	s_wait_dscnt 0x6
	v_dual_mov_b32 v140, v111 :: v_dual_mov_b32 v141, v110
	;; [unrolled: 2-line block ×4, first 2 shown]
	s_wait_loadcnt_dscnt 0x803
	v_dual_mul_f32 v7, v120, v73 :: v_dual_mul_f32 v9, v122, v75
	v_dual_mul_f32 v19, v121, v73 :: v_dual_mul_f32 v21, v123, v75
	s_wait_loadcnt_dscnt 0x702
	v_dual_mul_f32 v11, v124, v77 :: v_dual_mul_f32 v13, v126, v79
	s_delay_alu instid0(VALU_DEP_3) | instskip(SKIP_3) | instid1(VALU_DEP_3)
	v_dual_fmac_f32 v7, v121, v72 :: v_dual_fmac_f32 v9, v123, v74
	s_wait_loadcnt_dscnt 0x500
	v_dual_fma_f32 v19, v120, v72, -v19 :: v_dual_mul_f32 v31, v133, v85
	v_dual_mul_f32 v23, v125, v77 :: v_dual_mul_f32 v25, v127, v79
	v_dual_fma_f32 v21, v122, v74, -v21 :: v_dual_add_f32 v7, 0, v7
	s_delay_alu instid0(VALU_DEP_3) | instskip(SKIP_1) | instid1(VALU_DEP_4)
	v_dual_add_f32 v19, 0, v19 :: v_dual_fmac_f32 v11, v125, v76
	v_dual_mul_f32 v15, v128, v81 :: v_dual_mul_f32 v17, v130, v83
	v_dual_mul_f32 v33, v135, v87 :: v_dual_fma_f32 v23, v124, v76, -v23
	s_delay_alu instid0(VALU_DEP_4) | instskip(NEXT) | instid1(VALU_DEP_3)
	v_add_f32_e32 v7, v7, v9
	v_dual_add_f32 v9, v19, v21 :: v_dual_fmac_f32 v15, v129, v80
	v_dual_mul_f32 v27, v129, v81 :: v_dual_mul_f32 v29, v131, v83
	s_delay_alu instid0(VALU_DEP_2) | instskip(NEXT) | instid1(VALU_DEP_4)
	v_dual_fmac_f32 v13, v127, v78 :: v_dual_add_f32 v9, v9, v23
	v_dual_fma_f32 v19, v126, v78, -v25 :: v_dual_add_f32 v7, v7, v11
	s_wait_loadcnt 0x4
	s_delay_alu instid0(VALU_DEP_3) | instskip(SKIP_1) | instid1(VALU_DEP_3)
	v_dual_fma_f32 v11, v128, v80, -v27 :: v_dual_mov_b32 v74, v91
	v_dual_mul_f32 v147, v132, v85 :: v_dual_mul_f32 v149, v134, v87
	v_dual_add_f32 v7, v7, v13 :: v_dual_fma_f32 v13, v130, v82, -v29
	v_dual_add_f32 v9, v9, v19 :: v_dual_fmac_f32 v17, v131, v82
	v_pk_mul_f32 v[72:73], v[104:105], v[88:89] op_sel:[1,1] op_sel_hi:[0,1]
	s_delay_alu instid0(VALU_DEP_3) | instskip(SKIP_1) | instid1(VALU_DEP_3)
	v_dual_add_f32 v7, v7, v15 :: v_dual_fmac_f32 v147, v133, v84
	s_wait_loadcnt 0x3
	v_dual_add_f32 v9, v9, v11 :: v_dual_mov_b32 v78, v95
	s_delay_alu instid0(VALU_DEP_2) | instskip(NEXT) | instid1(VALU_DEP_2)
	v_dual_fma_f32 v146, v132, v84, -v31 :: v_dual_add_f32 v81, v7, v17
	v_dual_fma_f32 v148, v134, v86, -v33 :: v_dual_add_f32 v80, v9, v13
	v_fmac_f32_e32 v149, v135, v86
	v_pk_fma_f32 v[82:83], v[104:105], v[88:89], v[72:73] op_sel_hi:[1,0,1]
	v_pk_mul_f32 v[74:75], v[138:139], v[74:75] op_sel_hi:[1,0]
	v_pk_fma_f32 v[72:73], v[104:105], v[88:89], v[72:73] neg_lo:[0,0,1] neg_hi:[0,0,1]
	v_pk_add_f32 v[80:81], v[80:81], v[146:147]
	v_pk_mul_f32 v[76:77], v[108:109], v[92:93] op_sel:[1,1] op_sel_hi:[0,1]
	v_mov_b32_e32 v73, v83
	v_pk_fma_f32 v[82:83], v[106:107], v[90:91], v[74:75] op_sel_hi:[1,0,1]
	v_pk_fma_f32 v[74:75], v[106:107], v[90:91], v[74:75] neg_lo:[0,0,1] neg_hi:[0,0,1]
	v_pk_add_f32 v[80:81], v[80:81], v[148:149]
	v_pk_fma_f32 v[86:87], v[108:109], v[92:93], v[76:77] op_sel_hi:[1,0,1]
	v_pk_mul_f32 v[78:79], v[140:141], v[78:79] op_sel_hi:[1,0]
	v_mov_b32_e32 v75, v83
	s_wait_loadcnt 0x2
	v_pk_mul_f32 v[84:85], v[112:113], v[96:97] op_sel:[1,1] op_sel_hi:[0,1]
	v_pk_add_f32 v[72:73], v[80:81], v[72:73]
	v_mov_b32_e32 v80, v99
	v_pk_fma_f32 v[76:77], v[108:109], v[92:93], v[76:77] neg_lo:[0,0,1] neg_hi:[0,0,1]
	v_mov_b32_e32 v77, v87
	v_pk_fma_f32 v[82:83], v[110:111], v[94:95], v[78:79] op_sel_hi:[1,0,1]
	v_pk_add_f32 v[72:73], v[72:73], v[74:75]
	v_pk_fma_f32 v[74:75], v[112:113], v[96:97], v[84:85] op_sel_hi:[1,0,1]
	v_pk_mul_f32 v[80:81], v[142:143], v[80:81] op_sel_hi:[1,0]
	v_pk_fma_f32 v[78:79], v[110:111], v[94:95], v[78:79] neg_lo:[0,0,1] neg_hi:[0,0,1]
	v_mov_b32_e32 v79, v83
	v_pk_add_f32 v[72:73], v[72:73], v[76:77]
	v_pk_fma_f32 v[82:83], v[112:113], v[96:97], v[84:85] neg_lo:[0,0,1] neg_hi:[0,0,1]
	v_mov_b32_e32 v83, v75
	v_pk_fma_f32 v[74:75], v[114:115], v[98:99], v[80:81] op_sel_hi:[1,0,1]
	s_wait_loadcnt 0x1
	v_pk_mul_f32 v[76:77], v[116:117], v[100:101] op_sel:[1,1] op_sel_hi:[0,1]
	v_pk_add_f32 v[72:73], v[72:73], v[78:79]
	v_mov_b32_e32 v74, v103
	v_pk_fma_f32 v[80:81], v[114:115], v[98:99], v[80:81] neg_lo:[0,0,1] neg_hi:[0,0,1]
	v_mov_b32_e32 v81, v75
	v_pk_fma_f32 v[78:79], v[116:117], v[100:101], v[76:77] op_sel_hi:[1,0,1]
	v_pk_add_f32 v[72:73], v[72:73], v[82:83]
	v_pk_mul_f32 v[74:75], v[144:145], v[74:75] op_sel_hi:[1,0]
	v_pk_fma_f32 v[76:77], v[116:117], v[100:101], v[76:77] neg_lo:[0,0,1] neg_hi:[0,0,1]
	s_delay_alu instid0(VALU_DEP_4) | instskip(NEXT) | instid1(VALU_DEP_4)
	v_mov_b32_e32 v77, v79
	v_pk_add_f32 v[72:73], v[72:73], v[80:81]
	s_delay_alu instid0(VALU_DEP_4) | instskip(SKIP_1) | instid1(VALU_DEP_2)
	v_pk_fma_f32 v[78:79], v[118:119], v[102:103], v[74:75] op_sel_hi:[1,0,1]
	v_pk_fma_f32 v[74:75], v[118:119], v[102:103], v[74:75] neg_lo:[0,0,1] neg_hi:[0,0,1]
	v_mov_b32_e32 v75, v79
	s_delay_alu instid0(VALU_DEP_4) | instskip(NEXT) | instid1(VALU_DEP_1)
	v_pk_add_f32 v[72:73], v[72:73], v[76:77]
	v_pk_add_f32 v[72:73], v[72:73], v[74:75]
	s_wait_loadcnt 0x0
	s_delay_alu instid0(VALU_DEP_1)
	v_pk_add_f32 v[72:73], v[136:137], v[72:73] neg_lo:[0,1] neg_hi:[0,1]
	scratch_store_b64 off, v[72:73], off offset:144
	s_wait_xcnt 0x0
	v_cmpx_lt_u32_e32 17, v0
	s_cbranch_execz .LBB98_189
; %bb.188:
	scratch_load_b64 v[72:73], off, off offset:136
	v_mov_b64_e32 v[74:75], 0
	scratch_store_b64 off, v[74:75], off offset:136
	s_wait_loadcnt 0x0
	ds_store_b64 v1, v[72:73]
.LBB98_189:
	s_wait_xcnt 0x0
	s_or_b32 exec_lo, exec_lo, s0
	s_wait_storecnt_dscnt 0x0
	s_barrier_signal -1
	s_barrier_wait -1
	s_clause 0x9
	scratch_load_b128 v[72:75], off, off offset:144
	scratch_load_b128 v[76:79], off, off offset:160
	;; [unrolled: 1-line block ×8, first 2 shown]
	scratch_load_b64 v[136:137], off, off offset:272
	scratch_load_b64 v[138:139], off, off offset:136
	v_mov_b32_e32 v7, 0
	ds_load_b128 v[104:107], v7 offset:496
	ds_load_b128 v[108:111], v7 offset:512
	;; [unrolled: 1-line block ×8, first 2 shown]
	ds_load_b64 v[140:141], v7 offset:560
	s_mov_b32 s0, exec_lo
	s_wait_dscnt 0x8
	v_dual_mov_b32 v142, v107 :: v_dual_mov_b32 v143, v106
	s_wait_dscnt 0x5
	v_dual_mov_b32 v144, v111 :: v_dual_mov_b32 v149, v118
	v_dual_mov_b32 v145, v110 :: v_dual_mov_b32 v146, v115
	;; [unrolled: 1-line block ×3, first 2 shown]
	s_wait_loadcnt_dscnt 0x904
	v_dual_mul_f32 v9, v120, v73 :: v_dual_mul_f32 v23, v121, v73
	v_dual_mul_f32 v25, v123, v75 :: v_dual_mul_f32 v11, v122, v75
	s_wait_loadcnt_dscnt 0x803
	v_mul_f32_e32 v13, v124, v77
	s_wait_loadcnt_dscnt 0x601
	v_dual_mul_f32 v35, v133, v85 :: v_dual_fma_f32 v23, v120, v72, -v23
	v_dual_fmac_f32 v9, v121, v72 :: v_dual_mul_f32 v37, v135, v87
	v_dual_mul_f32 v27, v125, v77 :: v_dual_mul_f32 v29, v127, v79
	v_dual_fmac_f32 v11, v123, v74 :: v_dual_fma_f32 v25, v122, v74, -v25
	s_delay_alu instid0(VALU_DEP_3)
	v_dual_add_f32 v9, 0, v9 :: v_dual_add_f32 v23, 0, v23
	v_dual_mul_f32 v15, v126, v79 :: v_dual_mul_f32 v17, v128, v81
	s_wait_loadcnt 0x5
	v_dual_mul_f32 v39, v105, v89 :: v_dual_fma_f32 v27, v124, v76, -v27
	v_fmac_f32_e32 v13, v125, v76
	v_dual_add_f32 v9, v9, v11 :: v_dual_mov_b32 v72, v91
	v_add_f32_e32 v11, v23, v25
	v_dual_mul_f32 v31, v129, v81 :: v_dual_mul_f32 v33, v131, v83
	v_dual_fmac_f32 v15, v127, v78 :: v_dual_fma_f32 v23, v126, v78, -v29
	s_delay_alu instid0(VALU_DEP_3) | instskip(SKIP_1) | instid1(VALU_DEP_4)
	v_dual_add_f32 v9, v9, v13 :: v_dual_add_f32 v11, v11, v27
	v_dual_mul_f32 v19, v130, v83 :: v_dual_mul_f32 v21, v132, v85
	v_dual_fmac_f32 v17, v129, v80 :: v_dual_fma_f32 v13, v128, v80, -v31
	s_wait_loadcnt 0x4
	s_delay_alu instid0(VALU_DEP_3) | instskip(SKIP_1) | instid1(VALU_DEP_2)
	v_dual_add_f32 v9, v9, v15 :: v_dual_mov_b32 v76, v95
	v_dual_add_f32 v11, v11, v23 :: v_dual_fma_f32 v15, v130, v82, -v33
	v_dual_fmac_f32 v19, v131, v82 :: v_dual_add_f32 v9, v9, v17
	v_dual_mul_f32 v151, v134, v87 :: v_dual_mul_f32 v153, v104, v89
	s_delay_alu instid0(VALU_DEP_3) | instskip(NEXT) | instid1(VALU_DEP_3)
	v_dual_add_f32 v11, v11, v13 :: v_dual_fmac_f32 v21, v133, v84
	v_dual_fma_f32 v13, v132, v84, -v35 :: v_dual_add_f32 v9, v9, v19
	s_delay_alu instid0(VALU_DEP_3) | instskip(NEXT) | instid1(VALU_DEP_3)
	v_fmac_f32_e32 v151, v135, v86
	v_dual_add_f32 v11, v11, v15 :: v_dual_fma_f32 v150, v134, v86, -v37
	v_pk_mul_f32 v[72:73], v[142:143], v[72:73] op_sel_hi:[1,0]
	s_delay_alu instid0(VALU_DEP_4) | instskip(SKIP_1) | instid1(VALU_DEP_4)
	v_add_f32_e32 v81, v9, v21
	v_pk_mul_f32 v[74:75], v[108:109], v[92:93] op_sel:[1,1] op_sel_hi:[0,1]
	v_dual_add_f32 v80, v11, v13 :: v_dual_fmac_f32 v153, v105, v88
	s_wait_loadcnt 0x3
	v_dual_mov_b32 v82, v99 :: v_dual_fma_f32 v152, v104, v88, -v39
	v_pk_fma_f32 v[84:85], v[106:107], v[90:91], v[72:73] op_sel_hi:[1,0,1]
	s_delay_alu instid0(VALU_DEP_3)
	v_pk_add_f32 v[80:81], v[80:81], v[150:151]
	v_pk_fma_f32 v[72:73], v[106:107], v[90:91], v[72:73] neg_lo:[0,0,1] neg_hi:[0,0,1]
	v_pk_fma_f32 v[86:87], v[108:109], v[92:93], v[74:75] op_sel_hi:[1,0,1]
	v_pk_mul_f32 v[76:77], v[144:145], v[76:77] op_sel_hi:[1,0]
	v_mov_b32_e32 v73, v85
	v_pk_add_f32 v[80:81], v[80:81], v[152:153]
	v_pk_fma_f32 v[74:75], v[108:109], v[92:93], v[74:75] neg_lo:[0,0,1] neg_hi:[0,0,1]
	v_pk_mul_f32 v[78:79], v[112:113], v[96:97] op_sel:[1,1] op_sel_hi:[0,1]
	v_mov_b32_e32 v75, v87
	v_pk_fma_f32 v[86:87], v[110:111], v[94:95], v[76:77] op_sel_hi:[1,0,1]
	v_pk_add_f32 v[72:73], v[80:81], v[72:73]
	v_pk_fma_f32 v[76:77], v[110:111], v[94:95], v[76:77] neg_lo:[0,0,1] neg_hi:[0,0,1]
	v_pk_fma_f32 v[80:81], v[112:113], v[96:97], v[78:79] op_sel_hi:[1,0,1]
	v_pk_mul_f32 v[82:83], v[146:147], v[82:83] op_sel_hi:[1,0]
	v_mov_b32_e32 v77, v87
	v_pk_add_f32 v[72:73], v[72:73], v[74:75]
	v_pk_fma_f32 v[78:79], v[112:113], v[96:97], v[78:79] neg_lo:[0,0,1] neg_hi:[0,0,1]
	s_wait_loadcnt 0x2
	v_pk_mul_f32 v[84:85], v[116:117], v[100:101] op_sel:[1,1] op_sel_hi:[0,1]
	v_dual_mov_b32 v74, v103 :: v_dual_mov_b32 v79, v81
	v_pk_fma_f32 v[80:81], v[114:115], v[98:99], v[82:83] op_sel_hi:[1,0,1]
	v_pk_add_f32 v[72:73], v[72:73], v[76:77]
	v_pk_fma_f32 v[82:83], v[114:115], v[98:99], v[82:83] neg_lo:[0,0,1] neg_hi:[0,0,1]
	v_pk_fma_f32 v[76:77], v[116:117], v[100:101], v[84:85] op_sel_hi:[1,0,1]
	v_pk_mul_f32 v[74:75], v[148:149], v[74:75] op_sel_hi:[1,0]
	v_mov_b32_e32 v83, v81
	v_pk_add_f32 v[72:73], v[72:73], v[78:79]
	v_pk_fma_f32 v[78:79], v[116:117], v[100:101], v[84:85] neg_lo:[0,0,1] neg_hi:[0,0,1]
	v_mov_b32_e32 v79, v77
	v_pk_fma_f32 v[76:77], v[118:119], v[102:103], v[74:75] op_sel_hi:[1,0,1]
	s_wait_loadcnt_dscnt 0x100
	v_pk_mul_f32 v[80:81], v[140:141], v[136:137] op_sel:[1,1] op_sel_hi:[0,1]
	v_pk_add_f32 v[72:73], v[72:73], v[82:83]
	v_pk_fma_f32 v[74:75], v[118:119], v[102:103], v[74:75] neg_lo:[0,0,1] neg_hi:[0,0,1]
	v_mov_b32_e32 v75, v77
	s_delay_alu instid0(VALU_DEP_4) | instskip(NEXT) | instid1(VALU_DEP_4)
	v_pk_fma_f32 v[76:77], v[140:141], v[136:137], v[80:81] op_sel_hi:[1,0,1]
	v_pk_add_f32 v[72:73], v[72:73], v[78:79]
	v_pk_fma_f32 v[78:79], v[140:141], v[136:137], v[80:81] neg_lo:[0,0,1] neg_hi:[0,0,1]
	s_delay_alu instid0(VALU_DEP_3) | instskip(NEXT) | instid1(VALU_DEP_3)
	v_mov_b32_e32 v79, v77
	v_pk_add_f32 v[72:73], v[72:73], v[74:75]
	s_delay_alu instid0(VALU_DEP_1) | instskip(SKIP_1) | instid1(VALU_DEP_1)
	v_pk_add_f32 v[72:73], v[72:73], v[78:79]
	s_wait_loadcnt 0x0
	v_pk_add_f32 v[72:73], v[138:139], v[72:73] neg_lo:[0,1] neg_hi:[0,1]
	scratch_store_b64 off, v[72:73], off offset:136
	s_wait_xcnt 0x0
	v_cmpx_lt_u32_e32 16, v0
	s_cbranch_execz .LBB98_191
; %bb.190:
	scratch_load_b64 v[72:73], off, off offset:128
	v_mov_b64_e32 v[74:75], 0
	scratch_store_b64 off, v[74:75], off offset:128
	s_wait_loadcnt 0x0
	ds_store_b64 v1, v[72:73]
.LBB98_191:
	s_wait_xcnt 0x0
	s_or_b32 exec_lo, exec_lo, s0
	s_wait_storecnt_dscnt 0x0
	s_barrier_signal -1
	s_barrier_wait -1
	s_clause 0x9
	scratch_load_b128 v[72:75], off, off offset:136
	scratch_load_b128 v[76:79], off, off offset:152
	;; [unrolled: 1-line block ×9, first 2 shown]
	scratch_load_b64 v[144:145], off, off offset:128
	ds_load_2addr_b64 v[108:111], v7 offset0:63 offset1:64
	ds_load_2addr_b64 v[112:115], v7 offset0:65 offset1:66
	;; [unrolled: 1-line block ×9, first 2 shown]
	s_mov_b32 s0, exec_lo
	s_wait_dscnt 0x8
	v_dual_mov_b32 v146, v111 :: v_dual_mov_b32 v147, v110
	s_wait_dscnt 0x7
	v_dual_mov_b32 v148, v115 :: v_dual_mov_b32 v149, v114
	s_wait_dscnt 0x6
	v_dual_mov_b32 v150, v119 :: v_dual_mov_b32 v151, v118
	s_wait_dscnt 0x5
	v_dual_mov_b32 v152, v123 :: v_dual_mov_b32 v153, v122
	s_wait_loadcnt_dscnt 0x904
	v_dual_mul_f32 v7, v124, v73 :: v_dual_mul_f32 v9, v126, v75
	v_dual_mul_f32 v23, v125, v73 :: v_dual_mul_f32 v25, v127, v75
	s_wait_loadcnt_dscnt 0x803
	v_dual_mul_f32 v11, v128, v77 :: v_dual_mul_f32 v13, v130, v79
	s_delay_alu instid0(VALU_DEP_3) | instskip(SKIP_3) | instid1(VALU_DEP_3)
	v_dual_fmac_f32 v7, v125, v72 :: v_dual_fmac_f32 v9, v127, v74
	s_wait_loadcnt_dscnt 0x601
	v_dual_fma_f32 v23, v124, v72, -v23 :: v_dual_mul_f32 v35, v137, v85
	v_dual_mul_f32 v27, v129, v77 :: v_dual_mul_f32 v29, v131, v79
	v_dual_fma_f32 v25, v126, v74, -v25 :: v_dual_add_f32 v7, 0, v7
	s_delay_alu instid0(VALU_DEP_3) | instskip(SKIP_1) | instid1(VALU_DEP_4)
	v_dual_add_f32 v23, 0, v23 :: v_dual_fmac_f32 v11, v129, v76
	v_dual_mul_f32 v15, v132, v81 :: v_dual_mul_f32 v17, v134, v83
	v_dual_mul_f32 v37, v139, v87 :: v_dual_fma_f32 v27, v128, v76, -v27
	s_delay_alu instid0(VALU_DEP_4) | instskip(NEXT) | instid1(VALU_DEP_3)
	v_add_f32_e32 v7, v7, v9
	v_dual_add_f32 v9, v23, v25 :: v_dual_fmac_f32 v15, v133, v80
	v_dual_mul_f32 v31, v133, v81 :: v_dual_mul_f32 v33, v135, v83
	s_wait_loadcnt_dscnt 0x500
	v_dual_mul_f32 v23, v141, v89 :: v_dual_fmac_f32 v13, v131, v78
	v_dual_fma_f32 v25, v130, v78, -v29 :: v_dual_add_f32 v7, v7, v11
	s_delay_alu instid0(VALU_DEP_3) | instskip(SKIP_1) | instid1(VALU_DEP_3)
	v_dual_add_f32 v9, v9, v27 :: v_dual_fma_f32 v27, v132, v80, -v31
	v_dual_mul_f32 v19, v136, v85 :: v_dual_mul_f32 v21, v138, v87
	v_add_f32_e32 v7, v7, v13
	s_delay_alu instid0(VALU_DEP_3) | instskip(SKIP_1) | instid1(VALU_DEP_3)
	v_dual_mul_f32 v11, v143, v91 :: v_dual_add_f32 v9, v9, v25
	v_fmac_f32_e32 v17, v135, v82
	v_dual_fma_f32 v13, v134, v82, -v33 :: v_dual_add_f32 v7, v7, v15
	s_wait_loadcnt 0x4
	v_dual_mov_b32 v74, v95 :: v_dual_fmac_f32 v19, v137, v84
	v_dual_add_f32 v9, v9, v27 :: v_dual_fma_f32 v15, v136, v84, -v35
	s_delay_alu instid0(VALU_DEP_3) | instskip(SKIP_1) | instid1(VALU_DEP_3)
	v_add_f32_e32 v7, v7, v17
	v_dual_mul_f32 v155, v140, v89 :: v_dual_mul_f32 v157, v142, v91
	v_dual_add_f32 v9, v9, v13 :: v_dual_fmac_f32 v21, v139, v86
	s_delay_alu instid0(VALU_DEP_3) | instskip(SKIP_2) | instid1(VALU_DEP_3)
	v_dual_fma_f32 v13, v138, v86, -v37 :: v_dual_add_f32 v7, v7, v19
	v_pk_mul_f32 v[72:73], v[108:109], v[92:93] op_sel:[1,1] op_sel_hi:[0,1]
	s_wait_loadcnt 0x3
	v_dual_add_f32 v9, v9, v15 :: v_dual_mov_b32 v78, v99
	s_delay_alu instid0(VALU_DEP_3) | instskip(NEXT) | instid1(VALU_DEP_2)
	v_dual_fmac_f32 v155, v141, v88 :: v_dual_add_f32 v81, v7, v21
	v_dual_fma_f32 v154, v140, v88, -v23 :: v_dual_add_f32 v80, v9, v13
	v_dual_fmac_f32 v157, v143, v90 :: v_dual_fma_f32 v156, v142, v90, -v11
	v_pk_fma_f32 v[82:83], v[108:109], v[92:93], v[72:73] op_sel_hi:[1,0,1]
	v_pk_mul_f32 v[74:75], v[146:147], v[74:75] op_sel_hi:[1,0]
	s_delay_alu instid0(VALU_DEP_4)
	v_pk_add_f32 v[80:81], v[80:81], v[154:155]
	v_pk_fma_f32 v[72:73], v[108:109], v[92:93], v[72:73] neg_lo:[0,0,1] neg_hi:[0,0,1]
	v_pk_mul_f32 v[76:77], v[112:113], v[96:97] op_sel:[1,1] op_sel_hi:[0,1]
	v_mov_b32_e32 v73, v83
	v_pk_fma_f32 v[82:83], v[110:111], v[94:95], v[74:75] op_sel_hi:[1,0,1]
	v_pk_add_f32 v[80:81], v[80:81], v[156:157]
	v_pk_fma_f32 v[74:75], v[110:111], v[94:95], v[74:75] neg_lo:[0,0,1] neg_hi:[0,0,1]
	v_pk_fma_f32 v[86:87], v[112:113], v[96:97], v[76:77] op_sel_hi:[1,0,1]
	v_pk_mul_f32 v[78:79], v[148:149], v[78:79] op_sel_hi:[1,0]
	v_mov_b32_e32 v75, v83
	v_pk_add_f32 v[72:73], v[80:81], v[72:73]
	s_wait_loadcnt 0x2
	v_pk_mul_f32 v[84:85], v[116:117], v[100:101] op_sel:[1,1] op_sel_hi:[0,1]
	v_mov_b32_e32 v80, v103
	v_pk_fma_f32 v[76:77], v[112:113], v[96:97], v[76:77] neg_lo:[0,0,1] neg_hi:[0,0,1]
	v_mov_b32_e32 v77, v87
	v_pk_fma_f32 v[82:83], v[114:115], v[98:99], v[78:79] op_sel_hi:[1,0,1]
	v_pk_add_f32 v[72:73], v[72:73], v[74:75]
	v_pk_fma_f32 v[74:75], v[116:117], v[100:101], v[84:85] op_sel_hi:[1,0,1]
	v_pk_mul_f32 v[80:81], v[150:151], v[80:81] op_sel_hi:[1,0]
	v_pk_fma_f32 v[78:79], v[114:115], v[98:99], v[78:79] neg_lo:[0,0,1] neg_hi:[0,0,1]
	v_mov_b32_e32 v79, v83
	v_pk_add_f32 v[72:73], v[72:73], v[76:77]
	v_pk_fma_f32 v[82:83], v[116:117], v[100:101], v[84:85] neg_lo:[0,0,1] neg_hi:[0,0,1]
	v_mov_b32_e32 v83, v75
	v_pk_fma_f32 v[74:75], v[118:119], v[102:103], v[80:81] op_sel_hi:[1,0,1]
	s_wait_loadcnt 0x1
	v_pk_mul_f32 v[76:77], v[120:121], v[104:105] op_sel:[1,1] op_sel_hi:[0,1]
	v_pk_add_f32 v[72:73], v[72:73], v[78:79]
	v_mov_b32_e32 v74, v107
	v_pk_fma_f32 v[80:81], v[118:119], v[102:103], v[80:81] neg_lo:[0,0,1] neg_hi:[0,0,1]
	v_mov_b32_e32 v81, v75
	v_pk_fma_f32 v[78:79], v[120:121], v[104:105], v[76:77] op_sel_hi:[1,0,1]
	v_pk_add_f32 v[72:73], v[72:73], v[82:83]
	v_pk_mul_f32 v[74:75], v[152:153], v[74:75] op_sel_hi:[1,0]
	v_pk_fma_f32 v[76:77], v[120:121], v[104:105], v[76:77] neg_lo:[0,0,1] neg_hi:[0,0,1]
	s_delay_alu instid0(VALU_DEP_4) | instskip(NEXT) | instid1(VALU_DEP_4)
	v_mov_b32_e32 v77, v79
	v_pk_add_f32 v[72:73], v[72:73], v[80:81]
	s_delay_alu instid0(VALU_DEP_4) | instskip(SKIP_1) | instid1(VALU_DEP_2)
	v_pk_fma_f32 v[78:79], v[122:123], v[106:107], v[74:75] op_sel_hi:[1,0,1]
	v_pk_fma_f32 v[74:75], v[122:123], v[106:107], v[74:75] neg_lo:[0,0,1] neg_hi:[0,0,1]
	v_mov_b32_e32 v75, v79
	s_delay_alu instid0(VALU_DEP_4) | instskip(NEXT) | instid1(VALU_DEP_1)
	v_pk_add_f32 v[72:73], v[72:73], v[76:77]
	v_pk_add_f32 v[72:73], v[72:73], v[74:75]
	s_wait_loadcnt 0x0
	s_delay_alu instid0(VALU_DEP_1)
	v_pk_add_f32 v[72:73], v[144:145], v[72:73] neg_lo:[0,1] neg_hi:[0,1]
	scratch_store_b64 off, v[72:73], off offset:128
	s_wait_xcnt 0x0
	v_cmpx_lt_u32_e32 15, v0
	s_cbranch_execz .LBB98_193
; %bb.192:
	scratch_load_b64 v[72:73], off, off offset:120
	v_mov_b64_e32 v[74:75], 0
	scratch_store_b64 off, v[74:75], off offset:120
	s_wait_loadcnt 0x0
	ds_store_b64 v1, v[72:73]
.LBB98_193:
	s_wait_xcnt 0x0
	s_or_b32 exec_lo, exec_lo, s0
	s_wait_storecnt_dscnt 0x0
	s_barrier_signal -1
	s_barrier_wait -1
	s_clause 0xa
	scratch_load_b128 v[72:75], off, off offset:128
	scratch_load_b128 v[76:79], off, off offset:144
	;; [unrolled: 1-line block ×9, first 2 shown]
	scratch_load_b64 v[144:145], off, off offset:272
	scratch_load_b64 v[146:147], off, off offset:120
	v_mov_b32_e32 v7, 0
	ds_load_b128 v[108:111], v7 offset:496
	ds_load_b128 v[112:115], v7 offset:512
	;; [unrolled: 1-line block ×9, first 2 shown]
	ds_load_b64 v[148:149], v7 offset:560
	s_mov_b32 s0, exec_lo
	s_wait_dscnt 0x9
	v_dual_mov_b32 v150, v111 :: v_dual_mov_b32 v151, v110
	s_wait_dscnt 0x6
	v_dual_mov_b32 v152, v115 :: v_dual_mov_b32 v157, v122
	v_dual_mov_b32 v153, v114 :: v_dual_mov_b32 v154, v119
	;; [unrolled: 1-line block ×3, first 2 shown]
	s_wait_loadcnt_dscnt 0xa05
	v_dual_mul_f32 v9, v124, v73 :: v_dual_mul_f32 v27, v125, v73
	v_dual_mul_f32 v29, v127, v75 :: v_dual_mul_f32 v11, v126, v75
	s_wait_loadcnt_dscnt 0x904
	v_mul_f32_e32 v13, v128, v77
	s_wait_loadcnt_dscnt 0x702
	v_dual_mul_f32 v39, v137, v85 :: v_dual_fma_f32 v27, v124, v72, -v27
	v_dual_fmac_f32 v9, v125, v72 :: v_dual_mul_f32 v41, v139, v87
	v_dual_mul_f32 v31, v129, v77 :: v_dual_mul_f32 v33, v131, v79
	v_dual_fmac_f32 v11, v127, v74 :: v_dual_fma_f32 v29, v126, v74, -v29
	s_delay_alu instid0(VALU_DEP_3) | instskip(SKIP_4) | instid1(VALU_DEP_3)
	v_dual_add_f32 v9, 0, v9 :: v_dual_add_f32 v27, 0, v27
	v_dual_mul_f32 v15, v130, v79 :: v_dual_mul_f32 v17, v132, v81
	s_wait_loadcnt_dscnt 0x601
	v_dual_mul_f32 v43, v141, v89 :: v_dual_fma_f32 v31, v128, v76, -v31
	v_fmac_f32_e32 v13, v129, v76
	v_dual_add_f32 v9, v9, v11 :: v_dual_fmac_f32 v15, v131, v78
	v_add_f32_e32 v11, v27, v29
	v_dual_mul_f32 v35, v133, v81 :: v_dual_mul_f32 v37, v135, v83
	v_dual_mul_f32 v27, v143, v91 :: v_dual_fma_f32 v29, v130, v78, -v33
	s_delay_alu instid0(VALU_DEP_3) | instskip(SKIP_3) | instid1(VALU_DEP_3)
	v_dual_add_f32 v9, v9, v13 :: v_dual_add_f32 v11, v11, v31
	v_dual_mul_f32 v19, v134, v83 :: v_dual_mul_f32 v21, v136, v85
	s_wait_loadcnt 0x5
	v_dual_mul_f32 v13, v109, v93 :: v_dual_fma_f32 v31, v132, v80, -v35
	v_dual_fmac_f32 v17, v133, v80 :: v_dual_add_f32 v11, v11, v29
	v_dual_add_f32 v9, v9, v15 :: v_dual_mov_b32 v72, v95
	v_dual_fmac_f32 v19, v135, v82 :: v_dual_fma_f32 v15, v134, v82, -v37
	s_delay_alu instid0(VALU_DEP_2) | instskip(SKIP_3) | instid1(VALU_DEP_3)
	v_dual_add_f32 v11, v11, v31 :: v_dual_add_f32 v9, v9, v17
	v_dual_mul_f32 v23, v138, v87 :: v_dual_mul_f32 v25, v140, v89
	v_dual_fmac_f32 v21, v137, v84 :: v_dual_fma_f32 v17, v136, v84, -v39
	s_wait_loadcnt 0x4
	v_dual_add_f32 v9, v9, v19 :: v_dual_mov_b32 v76, v99
	v_dual_add_f32 v11, v11, v15 :: v_dual_fma_f32 v15, v138, v86, -v41
	s_delay_alu instid0(VALU_DEP_2) | instskip(SKIP_1) | instid1(VALU_DEP_3)
	v_dual_fmac_f32 v23, v139, v86 :: v_dual_add_f32 v9, v9, v21
	v_dual_mul_f32 v159, v142, v91 :: v_dual_mul_f32 v161, v108, v93
	v_dual_add_f32 v11, v11, v17 :: v_dual_fmac_f32 v25, v141, v88
	s_delay_alu instid0(VALU_DEP_3) | instskip(NEXT) | instid1(VALU_DEP_3)
	v_dual_fma_f32 v17, v140, v88, -v43 :: v_dual_add_f32 v9, v9, v23
	v_fmac_f32_e32 v159, v143, v90
	s_delay_alu instid0(VALU_DEP_3) | instskip(SKIP_1) | instid1(VALU_DEP_4)
	v_dual_add_f32 v11, v11, v15 :: v_dual_fma_f32 v158, v142, v90, -v27
	v_pk_mul_f32 v[72:73], v[150:151], v[72:73] op_sel_hi:[1,0]
	v_add_f32_e32 v81, v9, v25
	v_pk_mul_f32 v[74:75], v[112:113], v[96:97] op_sel:[1,1] op_sel_hi:[0,1]
	s_delay_alu instid0(VALU_DEP_4) | instskip(SKIP_3) | instid1(VALU_DEP_3)
	v_dual_add_f32 v80, v11, v17 :: v_dual_fmac_f32 v161, v109, v92
	s_wait_loadcnt 0x3
	v_dual_mov_b32 v82, v103 :: v_dual_fma_f32 v160, v108, v92, -v13
	v_pk_fma_f32 v[84:85], v[110:111], v[94:95], v[72:73] op_sel_hi:[1,0,1]
	v_pk_add_f32 v[80:81], v[80:81], v[158:159]
	v_pk_fma_f32 v[72:73], v[110:111], v[94:95], v[72:73] neg_lo:[0,0,1] neg_hi:[0,0,1]
	v_pk_fma_f32 v[86:87], v[112:113], v[96:97], v[74:75] op_sel_hi:[1,0,1]
	v_pk_mul_f32 v[76:77], v[152:153], v[76:77] op_sel_hi:[1,0]
	v_mov_b32_e32 v73, v85
	v_pk_add_f32 v[80:81], v[80:81], v[160:161]
	v_pk_fma_f32 v[74:75], v[112:113], v[96:97], v[74:75] neg_lo:[0,0,1] neg_hi:[0,0,1]
	v_pk_mul_f32 v[78:79], v[116:117], v[100:101] op_sel:[1,1] op_sel_hi:[0,1]
	v_mov_b32_e32 v75, v87
	v_pk_fma_f32 v[86:87], v[114:115], v[98:99], v[76:77] op_sel_hi:[1,0,1]
	v_pk_add_f32 v[72:73], v[80:81], v[72:73]
	v_pk_fma_f32 v[76:77], v[114:115], v[98:99], v[76:77] neg_lo:[0,0,1] neg_hi:[0,0,1]
	v_pk_fma_f32 v[80:81], v[116:117], v[100:101], v[78:79] op_sel_hi:[1,0,1]
	v_pk_mul_f32 v[82:83], v[154:155], v[82:83] op_sel_hi:[1,0]
	v_mov_b32_e32 v77, v87
	v_pk_add_f32 v[72:73], v[72:73], v[74:75]
	v_pk_fma_f32 v[78:79], v[116:117], v[100:101], v[78:79] neg_lo:[0,0,1] neg_hi:[0,0,1]
	s_wait_loadcnt 0x2
	v_pk_mul_f32 v[84:85], v[120:121], v[104:105] op_sel:[1,1] op_sel_hi:[0,1]
	v_dual_mov_b32 v74, v107 :: v_dual_mov_b32 v79, v81
	v_pk_fma_f32 v[80:81], v[118:119], v[102:103], v[82:83] op_sel_hi:[1,0,1]
	v_pk_add_f32 v[72:73], v[72:73], v[76:77]
	v_pk_fma_f32 v[82:83], v[118:119], v[102:103], v[82:83] neg_lo:[0,0,1] neg_hi:[0,0,1]
	v_pk_fma_f32 v[76:77], v[120:121], v[104:105], v[84:85] op_sel_hi:[1,0,1]
	v_pk_mul_f32 v[74:75], v[156:157], v[74:75] op_sel_hi:[1,0]
	v_mov_b32_e32 v83, v81
	v_pk_add_f32 v[72:73], v[72:73], v[78:79]
	v_pk_fma_f32 v[78:79], v[120:121], v[104:105], v[84:85] neg_lo:[0,0,1] neg_hi:[0,0,1]
	v_mov_b32_e32 v79, v77
	v_pk_fma_f32 v[76:77], v[122:123], v[106:107], v[74:75] op_sel_hi:[1,0,1]
	s_wait_loadcnt_dscnt 0x100
	v_pk_mul_f32 v[80:81], v[148:149], v[144:145] op_sel:[1,1] op_sel_hi:[0,1]
	v_pk_add_f32 v[72:73], v[72:73], v[82:83]
	v_pk_fma_f32 v[74:75], v[122:123], v[106:107], v[74:75] neg_lo:[0,0,1] neg_hi:[0,0,1]
	v_mov_b32_e32 v75, v77
	s_delay_alu instid0(VALU_DEP_4) | instskip(NEXT) | instid1(VALU_DEP_4)
	v_pk_fma_f32 v[76:77], v[148:149], v[144:145], v[80:81] op_sel_hi:[1,0,1]
	v_pk_add_f32 v[72:73], v[72:73], v[78:79]
	v_pk_fma_f32 v[78:79], v[148:149], v[144:145], v[80:81] neg_lo:[0,0,1] neg_hi:[0,0,1]
	s_delay_alu instid0(VALU_DEP_3) | instskip(NEXT) | instid1(VALU_DEP_3)
	v_mov_b32_e32 v79, v77
	v_pk_add_f32 v[72:73], v[72:73], v[74:75]
	s_delay_alu instid0(VALU_DEP_1) | instskip(SKIP_1) | instid1(VALU_DEP_1)
	v_pk_add_f32 v[72:73], v[72:73], v[78:79]
	s_wait_loadcnt 0x0
	v_pk_add_f32 v[72:73], v[146:147], v[72:73] neg_lo:[0,1] neg_hi:[0,1]
	scratch_store_b64 off, v[72:73], off offset:120
	s_wait_xcnt 0x0
	v_cmpx_lt_u32_e32 14, v0
	s_cbranch_execz .LBB98_195
; %bb.194:
	scratch_load_b64 v[72:73], off, off offset:112
	v_mov_b64_e32 v[74:75], 0
	scratch_store_b64 off, v[74:75], off offset:112
	s_wait_loadcnt 0x0
	ds_store_b64 v1, v[72:73]
.LBB98_195:
	s_wait_xcnt 0x0
	s_or_b32 exec_lo, exec_lo, s0
	s_wait_storecnt_dscnt 0x0
	s_barrier_signal -1
	s_barrier_wait -1
	s_clause 0xa
	scratch_load_b128 v[72:75], off, off offset:120
	scratch_load_b128 v[76:79], off, off offset:136
	;; [unrolled: 1-line block ×10, first 2 shown]
	scratch_load_b64 v[152:153], off, off offset:112
	ds_load_2addr_b64 v[112:115], v7 offset0:63 offset1:64
	ds_load_2addr_b64 v[116:119], v7 offset0:65 offset1:66
	;; [unrolled: 1-line block ×10, first 2 shown]
	s_mov_b32 s0, exec_lo
	s_wait_dscnt 0x9
	v_dual_mov_b32 v154, v115 :: v_dual_mov_b32 v155, v114
	s_wait_dscnt 0x8
	v_dual_mov_b32 v156, v119 :: v_dual_mov_b32 v157, v118
	;; [unrolled: 2-line block ×4, first 2 shown]
	s_wait_loadcnt_dscnt 0xa05
	v_dual_mul_f32 v7, v128, v73 :: v_dual_mul_f32 v9, v130, v75
	v_dual_mul_f32 v27, v129, v73 :: v_dual_mul_f32 v29, v131, v75
	s_wait_loadcnt_dscnt 0x904
	v_dual_mul_f32 v11, v132, v77 :: v_dual_mul_f32 v13, v134, v79
	s_delay_alu instid0(VALU_DEP_3) | instskip(SKIP_3) | instid1(VALU_DEP_3)
	v_dual_fmac_f32 v7, v129, v72 :: v_dual_fmac_f32 v9, v131, v74
	s_wait_loadcnt_dscnt 0x702
	v_dual_fma_f32 v27, v128, v72, -v27 :: v_dual_mul_f32 v39, v141, v85
	v_dual_mul_f32 v31, v133, v77 :: v_dual_mul_f32 v33, v135, v79
	v_dual_fma_f32 v29, v130, v74, -v29 :: v_dual_add_f32 v7, 0, v7
	s_delay_alu instid0(VALU_DEP_3) | instskip(SKIP_1) | instid1(VALU_DEP_4)
	v_dual_add_f32 v27, 0, v27 :: v_dual_fmac_f32 v11, v133, v76
	v_dual_mul_f32 v15, v136, v81 :: v_dual_mul_f32 v17, v138, v83
	v_dual_mul_f32 v41, v143, v87 :: v_dual_fma_f32 v31, v132, v76, -v31
	s_delay_alu instid0(VALU_DEP_4) | instskip(NEXT) | instid1(VALU_DEP_3)
	v_add_f32_e32 v7, v7, v9
	v_dual_add_f32 v9, v27, v29 :: v_dual_fmac_f32 v15, v137, v80
	v_dual_mul_f32 v35, v137, v81 :: v_dual_mul_f32 v37, v139, v83
	s_wait_loadcnt_dscnt 0x601
	v_dual_mul_f32 v27, v145, v89 :: v_dual_fmac_f32 v13, v135, v78
	v_dual_fma_f32 v29, v134, v78, -v33 :: v_dual_add_f32 v7, v7, v11
	s_delay_alu instid0(VALU_DEP_3) | instskip(SKIP_1) | instid1(VALU_DEP_3)
	v_dual_add_f32 v9, v9, v31 :: v_dual_fma_f32 v31, v136, v80, -v35
	v_dual_mul_f32 v19, v140, v85 :: v_dual_mul_f32 v21, v142, v87
	v_add_f32_e32 v7, v7, v13
	s_delay_alu instid0(VALU_DEP_3) | instskip(SKIP_2) | instid1(VALU_DEP_3)
	v_dual_mul_f32 v11, v147, v91 :: v_dual_add_f32 v9, v9, v29
	s_wait_loadcnt_dscnt 0x500
	v_dual_mul_f32 v13, v149, v93 :: v_dual_fmac_f32 v17, v139, v82
	v_dual_fma_f32 v29, v138, v82, -v37 :: v_dual_add_f32 v7, v7, v15
	s_delay_alu instid0(VALU_DEP_3) | instskip(SKIP_1) | instid1(VALU_DEP_3)
	v_dual_add_f32 v9, v9, v31 :: v_dual_fma_f32 v31, v140, v84, -v39
	v_dual_mul_f32 v15, v151, v95 :: v_dual_fmac_f32 v19, v141, v84
	v_dual_add_f32 v7, v7, v17 :: v_dual_fma_f32 v17, v142, v86, -v41
	s_delay_alu instid0(VALU_DEP_3) | instskip(SKIP_1) | instid1(VALU_DEP_3)
	v_dual_add_f32 v9, v9, v29 :: v_dual_fmac_f32 v21, v143, v86
	v_dual_mul_f32 v23, v144, v89 :: v_dual_mul_f32 v25, v146, v91
	v_add_f32_e32 v7, v7, v19
	s_wait_loadcnt 0x4
	s_delay_alu instid0(VALU_DEP_3) | instskip(NEXT) | instid1(VALU_DEP_3)
	v_dual_add_f32 v9, v9, v31 :: v_dual_mov_b32 v74, v99
	v_fmac_f32_e32 v23, v145, v88
	s_delay_alu instid0(VALU_DEP_3) | instskip(NEXT) | instid1(VALU_DEP_3)
	v_dual_fma_f32 v19, v144, v88, -v27 :: v_dual_add_f32 v7, v7, v21
	v_dual_add_f32 v9, v9, v17 :: v_dual_fmac_f32 v25, v147, v90
	v_dual_mul_f32 v163, v148, v93 :: v_dual_mul_f32 v165, v150, v95
	s_delay_alu instid0(VALU_DEP_3) | instskip(SKIP_1) | instid1(VALU_DEP_3)
	v_dual_fma_f32 v11, v146, v90, -v11 :: v_dual_add_f32 v7, v7, v23
	s_wait_loadcnt 0x3
	v_dual_add_f32 v9, v9, v19 :: v_dual_mov_b32 v78, v103
	v_pk_mul_f32 v[72:73], v[112:113], v[96:97] op_sel:[1,1] op_sel_hi:[0,1]
	v_dual_fmac_f32 v163, v149, v92 :: v_dual_fma_f32 v162, v148, v92, -v13
	s_delay_alu instid0(VALU_DEP_3) | instskip(SKIP_1) | instid1(VALU_DEP_4)
	v_dual_add_f32 v81, v7, v25 :: v_dual_add_f32 v80, v9, v11
	v_dual_fmac_f32 v165, v151, v94 :: v_dual_fma_f32 v164, v150, v94, -v15
	v_pk_fma_f32 v[82:83], v[112:113], v[96:97], v[72:73] op_sel_hi:[1,0,1]
	v_pk_mul_f32 v[74:75], v[154:155], v[74:75] op_sel_hi:[1,0]
	s_delay_alu instid0(VALU_DEP_4)
	v_pk_add_f32 v[80:81], v[80:81], v[162:163]
	v_pk_fma_f32 v[72:73], v[112:113], v[96:97], v[72:73] neg_lo:[0,0,1] neg_hi:[0,0,1]
	v_pk_mul_f32 v[76:77], v[116:117], v[100:101] op_sel:[1,1] op_sel_hi:[0,1]
	v_mov_b32_e32 v73, v83
	v_pk_fma_f32 v[82:83], v[114:115], v[98:99], v[74:75] op_sel_hi:[1,0,1]
	v_pk_add_f32 v[80:81], v[80:81], v[164:165]
	v_pk_fma_f32 v[74:75], v[114:115], v[98:99], v[74:75] neg_lo:[0,0,1] neg_hi:[0,0,1]
	v_pk_fma_f32 v[86:87], v[116:117], v[100:101], v[76:77] op_sel_hi:[1,0,1]
	v_pk_mul_f32 v[78:79], v[156:157], v[78:79] op_sel_hi:[1,0]
	v_mov_b32_e32 v75, v83
	v_pk_add_f32 v[72:73], v[80:81], v[72:73]
	s_wait_loadcnt 0x2
	v_pk_mul_f32 v[84:85], v[120:121], v[104:105] op_sel:[1,1] op_sel_hi:[0,1]
	v_mov_b32_e32 v80, v107
	v_pk_fma_f32 v[76:77], v[116:117], v[100:101], v[76:77] neg_lo:[0,0,1] neg_hi:[0,0,1]
	v_mov_b32_e32 v77, v87
	v_pk_fma_f32 v[82:83], v[118:119], v[102:103], v[78:79] op_sel_hi:[1,0,1]
	v_pk_add_f32 v[72:73], v[72:73], v[74:75]
	v_pk_fma_f32 v[74:75], v[120:121], v[104:105], v[84:85] op_sel_hi:[1,0,1]
	v_pk_mul_f32 v[80:81], v[158:159], v[80:81] op_sel_hi:[1,0]
	v_pk_fma_f32 v[78:79], v[118:119], v[102:103], v[78:79] neg_lo:[0,0,1] neg_hi:[0,0,1]
	v_mov_b32_e32 v79, v83
	v_pk_add_f32 v[72:73], v[72:73], v[76:77]
	v_pk_fma_f32 v[82:83], v[120:121], v[104:105], v[84:85] neg_lo:[0,0,1] neg_hi:[0,0,1]
	v_mov_b32_e32 v83, v75
	v_pk_fma_f32 v[74:75], v[122:123], v[106:107], v[80:81] op_sel_hi:[1,0,1]
	s_wait_loadcnt 0x1
	v_pk_mul_f32 v[76:77], v[124:125], v[108:109] op_sel:[1,1] op_sel_hi:[0,1]
	v_pk_add_f32 v[72:73], v[72:73], v[78:79]
	v_mov_b32_e32 v74, v111
	v_pk_fma_f32 v[80:81], v[122:123], v[106:107], v[80:81] neg_lo:[0,0,1] neg_hi:[0,0,1]
	v_mov_b32_e32 v81, v75
	v_pk_fma_f32 v[78:79], v[124:125], v[108:109], v[76:77] op_sel_hi:[1,0,1]
	v_pk_add_f32 v[72:73], v[72:73], v[82:83]
	v_pk_mul_f32 v[74:75], v[160:161], v[74:75] op_sel_hi:[1,0]
	v_pk_fma_f32 v[76:77], v[124:125], v[108:109], v[76:77] neg_lo:[0,0,1] neg_hi:[0,0,1]
	s_delay_alu instid0(VALU_DEP_4) | instskip(NEXT) | instid1(VALU_DEP_4)
	v_mov_b32_e32 v77, v79
	v_pk_add_f32 v[72:73], v[72:73], v[80:81]
	s_delay_alu instid0(VALU_DEP_4) | instskip(SKIP_1) | instid1(VALU_DEP_2)
	v_pk_fma_f32 v[78:79], v[126:127], v[110:111], v[74:75] op_sel_hi:[1,0,1]
	v_pk_fma_f32 v[74:75], v[126:127], v[110:111], v[74:75] neg_lo:[0,0,1] neg_hi:[0,0,1]
	v_mov_b32_e32 v75, v79
	s_delay_alu instid0(VALU_DEP_4) | instskip(NEXT) | instid1(VALU_DEP_1)
	v_pk_add_f32 v[72:73], v[72:73], v[76:77]
	v_pk_add_f32 v[72:73], v[72:73], v[74:75]
	s_wait_loadcnt 0x0
	s_delay_alu instid0(VALU_DEP_1)
	v_pk_add_f32 v[72:73], v[152:153], v[72:73] neg_lo:[0,1] neg_hi:[0,1]
	scratch_store_b64 off, v[72:73], off offset:112
	s_wait_xcnt 0x0
	v_cmpx_lt_u32_e32 13, v0
	s_cbranch_execz .LBB98_197
; %bb.196:
	scratch_load_b64 v[72:73], off, off offset:104
	v_mov_b64_e32 v[74:75], 0
	scratch_store_b64 off, v[74:75], off offset:104
	s_wait_loadcnt 0x0
	ds_store_b64 v1, v[72:73]
.LBB98_197:
	s_wait_xcnt 0x0
	s_or_b32 exec_lo, exec_lo, s0
	s_wait_storecnt_dscnt 0x0
	s_barrier_signal -1
	s_barrier_wait -1
	s_clause 0xb
	scratch_load_b128 v[72:75], off, off offset:112
	scratch_load_b128 v[76:79], off, off offset:128
	;; [unrolled: 1-line block ×10, first 2 shown]
	scratch_load_b64 v[152:153], off, off offset:272
	scratch_load_b64 v[154:155], off, off offset:104
	v_mov_b32_e32 v7, 0
	ds_load_b128 v[112:115], v7 offset:496
	ds_load_b128 v[116:119], v7 offset:512
	;; [unrolled: 1-line block ×10, first 2 shown]
	ds_load_b64 v[156:157], v7 offset:560
	s_mov_b32 s0, exec_lo
	s_wait_dscnt 0xa
	v_dual_mov_b32 v158, v115 :: v_dual_mov_b32 v159, v114
	s_wait_dscnt 0x7
	v_dual_mov_b32 v160, v119 :: v_dual_mov_b32 v165, v126
	v_dual_mov_b32 v161, v118 :: v_dual_mov_b32 v162, v123
	;; [unrolled: 1-line block ×3, first 2 shown]
	s_wait_loadcnt_dscnt 0xb06
	v_dual_mul_f32 v9, v128, v73 :: v_dual_mul_f32 v31, v129, v73
	v_dual_mul_f32 v33, v131, v75 :: v_dual_mul_f32 v11, v130, v75
	s_wait_loadcnt_dscnt 0xa05
	v_mul_f32_e32 v13, v132, v77
	s_wait_loadcnt_dscnt 0x803
	v_dual_mul_f32 v43, v141, v85 :: v_dual_fma_f32 v31, v128, v72, -v31
	v_dual_fmac_f32 v9, v129, v72 :: v_dual_mul_f32 v45, v143, v87
	v_dual_mul_f32 v35, v133, v77 :: v_dual_mul_f32 v37, v135, v79
	v_dual_fmac_f32 v11, v131, v74 :: v_dual_fma_f32 v33, v130, v74, -v33
	s_delay_alu instid0(VALU_DEP_3) | instskip(SKIP_4) | instid1(VALU_DEP_3)
	v_dual_add_f32 v9, 0, v9 :: v_dual_add_f32 v31, 0, v31
	v_dual_mul_f32 v15, v134, v79 :: v_dual_mul_f32 v17, v136, v81
	s_wait_loadcnt_dscnt 0x702
	v_dual_mul_f32 v47, v145, v89 :: v_dual_fma_f32 v35, v132, v76, -v35
	v_fmac_f32_e32 v13, v133, v76
	v_dual_add_f32 v9, v9, v11 :: v_dual_fmac_f32 v15, v135, v78
	v_add_f32_e32 v11, v31, v33
	v_dual_mul_f32 v39, v137, v81 :: v_dual_mul_f32 v41, v139, v83
	v_dual_mul_f32 v31, v147, v91 :: v_dual_fma_f32 v33, v134, v78, -v37
	s_delay_alu instid0(VALU_DEP_3) | instskip(SKIP_3) | instid1(VALU_DEP_3)
	v_dual_add_f32 v9, v9, v13 :: v_dual_add_f32 v11, v11, v35
	v_dual_mul_f32 v19, v138, v83 :: v_dual_mul_f32 v21, v140, v85
	s_wait_loadcnt_dscnt 0x601
	v_dual_mul_f32 v13, v149, v93 :: v_dual_fma_f32 v35, v136, v80, -v39
	v_dual_fmac_f32 v17, v137, v80 :: v_dual_add_f32 v11, v11, v33
	s_delay_alu instid0(VALU_DEP_3) | instskip(SKIP_1) | instid1(VALU_DEP_2)
	v_dual_add_f32 v9, v9, v15 :: v_dual_fmac_f32 v19, v139, v82
	v_dual_mul_f32 v15, v151, v95 :: v_dual_fma_f32 v33, v138, v82, -v41
	v_dual_add_f32 v11, v11, v35 :: v_dual_add_f32 v9, v9, v17
	v_dual_mul_f32 v23, v142, v87 :: v_dual_mul_f32 v25, v144, v89
	s_wait_loadcnt 0x5
	v_dual_mul_f32 v17, v113, v97 :: v_dual_fma_f32 v35, v140, v84, -v43
	s_delay_alu instid0(VALU_DEP_3) | instskip(SKIP_2) | instid1(VALU_DEP_2)
	v_dual_fmac_f32 v21, v141, v84 :: v_dual_add_f32 v11, v11, v33
	v_dual_add_f32 v9, v9, v19 :: v_dual_mov_b32 v72, v99
	v_dual_fmac_f32 v23, v143, v86 :: v_dual_fma_f32 v19, v142, v86, -v45
	v_dual_add_f32 v11, v11, v35 :: v_dual_add_f32 v9, v9, v21
	v_dual_mul_f32 v27, v146, v91 :: v_dual_mul_f32 v29, v148, v93
	v_dual_fmac_f32 v25, v145, v88 :: v_dual_fma_f32 v21, v144, v88, -v47
	s_wait_loadcnt 0x4
	s_delay_alu instid0(VALU_DEP_3) | instskip(SKIP_1) | instid1(VALU_DEP_2)
	v_dual_add_f32 v9, v9, v23 :: v_dual_mov_b32 v76, v103
	v_dual_add_f32 v11, v11, v19 :: v_dual_fma_f32 v19, v146, v90, -v31
	v_dual_fmac_f32 v27, v147, v90 :: v_dual_add_f32 v9, v9, v25
	v_dual_mul_f32 v167, v150, v95 :: v_dual_mul_f32 v169, v112, v97
	s_delay_alu instid0(VALU_DEP_3) | instskip(NEXT) | instid1(VALU_DEP_3)
	v_dual_add_f32 v11, v11, v21 :: v_dual_fmac_f32 v29, v149, v92
	v_dual_fma_f32 v13, v148, v92, -v13 :: v_dual_add_f32 v9, v9, v27
	s_delay_alu instid0(VALU_DEP_3) | instskip(NEXT) | instid1(VALU_DEP_3)
	v_fmac_f32_e32 v167, v151, v94
	v_dual_add_f32 v11, v11, v19 :: v_dual_fma_f32 v166, v150, v94, -v15
	v_pk_mul_f32 v[72:73], v[158:159], v[72:73] op_sel_hi:[1,0]
	s_delay_alu instid0(VALU_DEP_4) | instskip(SKIP_1) | instid1(VALU_DEP_4)
	v_add_f32_e32 v81, v9, v29
	v_pk_mul_f32 v[74:75], v[116:117], v[100:101] op_sel:[1,1] op_sel_hi:[0,1]
	v_dual_add_f32 v80, v11, v13 :: v_dual_fmac_f32 v169, v113, v96
	s_wait_loadcnt 0x3
	v_dual_mov_b32 v82, v107 :: v_dual_fma_f32 v168, v112, v96, -v17
	v_pk_fma_f32 v[84:85], v[114:115], v[98:99], v[72:73] op_sel_hi:[1,0,1]
	s_delay_alu instid0(VALU_DEP_3)
	v_pk_add_f32 v[80:81], v[80:81], v[166:167]
	v_pk_fma_f32 v[72:73], v[114:115], v[98:99], v[72:73] neg_lo:[0,0,1] neg_hi:[0,0,1]
	v_pk_fma_f32 v[86:87], v[116:117], v[100:101], v[74:75] op_sel_hi:[1,0,1]
	v_pk_mul_f32 v[76:77], v[160:161], v[76:77] op_sel_hi:[1,0]
	v_mov_b32_e32 v73, v85
	v_pk_add_f32 v[80:81], v[80:81], v[168:169]
	v_pk_fma_f32 v[74:75], v[116:117], v[100:101], v[74:75] neg_lo:[0,0,1] neg_hi:[0,0,1]
	v_pk_mul_f32 v[78:79], v[120:121], v[104:105] op_sel:[1,1] op_sel_hi:[0,1]
	v_mov_b32_e32 v75, v87
	v_pk_fma_f32 v[86:87], v[118:119], v[102:103], v[76:77] op_sel_hi:[1,0,1]
	v_pk_add_f32 v[72:73], v[80:81], v[72:73]
	v_pk_fma_f32 v[76:77], v[118:119], v[102:103], v[76:77] neg_lo:[0,0,1] neg_hi:[0,0,1]
	v_pk_fma_f32 v[80:81], v[120:121], v[104:105], v[78:79] op_sel_hi:[1,0,1]
	v_pk_mul_f32 v[82:83], v[162:163], v[82:83] op_sel_hi:[1,0]
	v_mov_b32_e32 v77, v87
	v_pk_add_f32 v[72:73], v[72:73], v[74:75]
	v_pk_fma_f32 v[78:79], v[120:121], v[104:105], v[78:79] neg_lo:[0,0,1] neg_hi:[0,0,1]
	s_wait_loadcnt 0x2
	v_pk_mul_f32 v[84:85], v[124:125], v[108:109] op_sel:[1,1] op_sel_hi:[0,1]
	v_dual_mov_b32 v74, v111 :: v_dual_mov_b32 v79, v81
	v_pk_fma_f32 v[80:81], v[122:123], v[106:107], v[82:83] op_sel_hi:[1,0,1]
	v_pk_add_f32 v[72:73], v[72:73], v[76:77]
	v_pk_fma_f32 v[82:83], v[122:123], v[106:107], v[82:83] neg_lo:[0,0,1] neg_hi:[0,0,1]
	v_pk_fma_f32 v[76:77], v[124:125], v[108:109], v[84:85] op_sel_hi:[1,0,1]
	v_pk_mul_f32 v[74:75], v[164:165], v[74:75] op_sel_hi:[1,0]
	v_mov_b32_e32 v83, v81
	v_pk_add_f32 v[72:73], v[72:73], v[78:79]
	v_pk_fma_f32 v[78:79], v[124:125], v[108:109], v[84:85] neg_lo:[0,0,1] neg_hi:[0,0,1]
	v_mov_b32_e32 v79, v77
	v_pk_fma_f32 v[76:77], v[126:127], v[110:111], v[74:75] op_sel_hi:[1,0,1]
	s_wait_loadcnt_dscnt 0x100
	v_pk_mul_f32 v[80:81], v[156:157], v[152:153] op_sel:[1,1] op_sel_hi:[0,1]
	v_pk_add_f32 v[72:73], v[72:73], v[82:83]
	v_pk_fma_f32 v[74:75], v[126:127], v[110:111], v[74:75] neg_lo:[0,0,1] neg_hi:[0,0,1]
	v_mov_b32_e32 v75, v77
	s_delay_alu instid0(VALU_DEP_4) | instskip(NEXT) | instid1(VALU_DEP_4)
	v_pk_fma_f32 v[76:77], v[156:157], v[152:153], v[80:81] op_sel_hi:[1,0,1]
	v_pk_add_f32 v[72:73], v[72:73], v[78:79]
	v_pk_fma_f32 v[78:79], v[156:157], v[152:153], v[80:81] neg_lo:[0,0,1] neg_hi:[0,0,1]
	s_delay_alu instid0(VALU_DEP_3) | instskip(NEXT) | instid1(VALU_DEP_3)
	v_mov_b32_e32 v79, v77
	v_pk_add_f32 v[72:73], v[72:73], v[74:75]
	s_delay_alu instid0(VALU_DEP_1) | instskip(SKIP_1) | instid1(VALU_DEP_1)
	v_pk_add_f32 v[72:73], v[72:73], v[78:79]
	s_wait_loadcnt 0x0
	v_pk_add_f32 v[72:73], v[154:155], v[72:73] neg_lo:[0,1] neg_hi:[0,1]
	scratch_store_b64 off, v[72:73], off offset:104
	s_wait_xcnt 0x0
	v_cmpx_lt_u32_e32 12, v0
	s_cbranch_execz .LBB98_199
; %bb.198:
	scratch_load_b64 v[72:73], off, off offset:96
	v_mov_b64_e32 v[74:75], 0
	scratch_store_b64 off, v[74:75], off offset:96
	s_wait_loadcnt 0x0
	ds_store_b64 v1, v[72:73]
.LBB98_199:
	s_wait_xcnt 0x0
	s_or_b32 exec_lo, exec_lo, s0
	s_wait_storecnt_dscnt 0x0
	s_barrier_signal -1
	s_barrier_wait -1
	s_clause 0xb
	scratch_load_b128 v[72:75], off, off offset:104
	scratch_load_b128 v[76:79], off, off offset:120
	;; [unrolled: 1-line block ×11, first 2 shown]
	scratch_load_b64 v[160:161], off, off offset:96
	ds_load_2addr_b64 v[116:119], v7 offset0:63 offset1:64
	ds_load_2addr_b64 v[120:123], v7 offset0:65 offset1:66
	;; [unrolled: 1-line block ×11, first 2 shown]
	s_mov_b32 s0, exec_lo
	s_wait_dscnt 0xa
	v_dual_mov_b32 v162, v119 :: v_dual_mov_b32 v163, v118
	s_wait_dscnt 0x9
	v_dual_mov_b32 v164, v123 :: v_dual_mov_b32 v165, v122
	s_wait_dscnt 0x8
	v_dual_mov_b32 v166, v127 :: v_dual_mov_b32 v167, v126
	s_wait_dscnt 0x7
	v_dual_mov_b32 v168, v131 :: v_dual_mov_b32 v169, v130
	s_wait_loadcnt_dscnt 0xb06
	v_dual_mul_f32 v7, v132, v73 :: v_dual_mul_f32 v9, v134, v75
	v_dual_mul_f32 v31, v133, v73 :: v_dual_mul_f32 v33, v135, v75
	s_wait_loadcnt_dscnt 0xa05
	v_dual_mul_f32 v11, v136, v77 :: v_dual_mul_f32 v13, v138, v79
	s_delay_alu instid0(VALU_DEP_3) | instskip(SKIP_3) | instid1(VALU_DEP_3)
	v_dual_fmac_f32 v7, v133, v72 :: v_dual_fmac_f32 v9, v135, v74
	s_wait_loadcnt_dscnt 0x803
	v_dual_fma_f32 v31, v132, v72, -v31 :: v_dual_mul_f32 v43, v145, v85
	v_dual_mul_f32 v35, v137, v77 :: v_dual_mul_f32 v37, v139, v79
	v_dual_fma_f32 v33, v134, v74, -v33 :: v_dual_add_f32 v7, 0, v7
	s_delay_alu instid0(VALU_DEP_3) | instskip(SKIP_1) | instid1(VALU_DEP_4)
	v_dual_add_f32 v31, 0, v31 :: v_dual_fmac_f32 v11, v137, v76
	v_dual_mul_f32 v15, v140, v81 :: v_dual_mul_f32 v17, v142, v83
	v_dual_mul_f32 v45, v147, v87 :: v_dual_fma_f32 v35, v136, v76, -v35
	s_delay_alu instid0(VALU_DEP_4) | instskip(NEXT) | instid1(VALU_DEP_3)
	v_add_f32_e32 v7, v7, v9
	v_dual_add_f32 v9, v31, v33 :: v_dual_fmac_f32 v15, v141, v80
	v_dual_mul_f32 v39, v141, v81 :: v_dual_mul_f32 v41, v143, v83
	s_wait_loadcnt_dscnt 0x702
	v_dual_mul_f32 v31, v149, v89 :: v_dual_fmac_f32 v13, v139, v78
	v_dual_fma_f32 v33, v138, v78, -v37 :: v_dual_add_f32 v7, v7, v11
	s_delay_alu instid0(VALU_DEP_3) | instskip(SKIP_1) | instid1(VALU_DEP_3)
	v_dual_add_f32 v9, v9, v35 :: v_dual_fma_f32 v35, v140, v80, -v39
	v_dual_mul_f32 v19, v144, v85 :: v_dual_mul_f32 v21, v146, v87
	v_add_f32_e32 v7, v7, v13
	s_delay_alu instid0(VALU_DEP_3) | instskip(SKIP_2) | instid1(VALU_DEP_3)
	v_dual_mul_f32 v11, v151, v91 :: v_dual_add_f32 v9, v9, v33
	s_wait_loadcnt_dscnt 0x601
	v_dual_mul_f32 v13, v153, v93 :: v_dual_fmac_f32 v17, v143, v82
	v_dual_fma_f32 v33, v142, v82, -v41 :: v_dual_add_f32 v7, v7, v15
	s_delay_alu instid0(VALU_DEP_3) | instskip(SKIP_1) | instid1(VALU_DEP_3)
	v_dual_add_f32 v9, v9, v35 :: v_dual_fma_f32 v35, v144, v84, -v43
	v_dual_mul_f32 v15, v155, v95 :: v_dual_fmac_f32 v19, v145, v84
	v_add_f32_e32 v7, v7, v17
	s_delay_alu instid0(VALU_DEP_3)
	v_dual_add_f32 v9, v9, v33 :: v_dual_fmac_f32 v21, v147, v86
	v_dual_mul_f32 v23, v148, v89 :: v_dual_mul_f32 v25, v150, v91
	s_wait_loadcnt_dscnt 0x500
	v_dual_fma_f32 v33, v146, v86, -v45 :: v_dual_mul_f32 v17, v157, v97
	v_add_f32_e32 v7, v7, v19
	v_dual_add_f32 v9, v9, v35 :: v_dual_fma_f32 v31, v148, v88, -v31
	v_dual_mul_f32 v19, v159, v99 :: v_dual_fmac_f32 v23, v149, v88
	s_delay_alu instid0(VALU_DEP_3) | instskip(NEXT) | instid1(VALU_DEP_3)
	v_dual_add_f32 v7, v7, v21 :: v_dual_fma_f32 v11, v150, v90, -v11
	v_dual_add_f32 v9, v9, v33 :: v_dual_fmac_f32 v25, v151, v90
	v_dual_mul_f32 v27, v152, v93 :: v_dual_mul_f32 v29, v154, v95
	s_delay_alu instid0(VALU_DEP_3) | instskip(SKIP_1) | instid1(VALU_DEP_3)
	v_add_f32_e32 v7, v7, v23
	s_wait_loadcnt 0x4
	v_dual_add_f32 v9, v9, v31 :: v_dual_mov_b32 v74, v103
	s_delay_alu instid0(VALU_DEP_3) | instskip(NEXT) | instid1(VALU_DEP_2)
	v_dual_fmac_f32 v27, v153, v92 :: v_dual_fma_f32 v13, v152, v92, -v13
	v_dual_add_f32 v7, v7, v25 :: v_dual_add_f32 v9, v9, v11
	v_dual_fmac_f32 v29, v155, v94 :: v_dual_mul_f32 v171, v156, v97
	v_mul_f32_e32 v173, v158, v99
	s_delay_alu instid0(VALU_DEP_3) | instskip(SKIP_4) | instid1(VALU_DEP_3)
	v_dual_fma_f32 v11, v154, v94, -v15 :: v_dual_add_f32 v7, v7, v27
	s_wait_loadcnt 0x3
	v_dual_add_f32 v9, v9, v13 :: v_dual_mov_b32 v78, v107
	v_pk_mul_f32 v[72:73], v[116:117], v[100:101] op_sel:[1,1] op_sel_hi:[0,1]
	v_dual_fmac_f32 v171, v157, v96 :: v_dual_fma_f32 v170, v156, v96, -v17
	v_dual_add_f32 v81, v7, v29 :: v_dual_add_f32 v80, v9, v11
	v_dual_fmac_f32 v173, v159, v98 :: v_dual_fma_f32 v172, v158, v98, -v19
	s_delay_alu instid0(VALU_DEP_4) | instskip(SKIP_1) | instid1(VALU_DEP_4)
	v_pk_fma_f32 v[82:83], v[116:117], v[100:101], v[72:73] op_sel_hi:[1,0,1]
	v_pk_mul_f32 v[74:75], v[162:163], v[74:75] op_sel_hi:[1,0]
	v_pk_add_f32 v[80:81], v[80:81], v[170:171]
	v_pk_fma_f32 v[72:73], v[116:117], v[100:101], v[72:73] neg_lo:[0,0,1] neg_hi:[0,0,1]
	v_pk_mul_f32 v[76:77], v[120:121], v[104:105] op_sel:[1,1] op_sel_hi:[0,1]
	v_mov_b32_e32 v73, v83
	v_pk_fma_f32 v[82:83], v[118:119], v[102:103], v[74:75] op_sel_hi:[1,0,1]
	v_pk_add_f32 v[80:81], v[80:81], v[172:173]
	v_pk_fma_f32 v[74:75], v[118:119], v[102:103], v[74:75] neg_lo:[0,0,1] neg_hi:[0,0,1]
	v_pk_fma_f32 v[86:87], v[120:121], v[104:105], v[76:77] op_sel_hi:[1,0,1]
	v_pk_mul_f32 v[78:79], v[164:165], v[78:79] op_sel_hi:[1,0]
	v_mov_b32_e32 v75, v83
	v_pk_add_f32 v[72:73], v[80:81], v[72:73]
	s_wait_loadcnt 0x2
	v_pk_mul_f32 v[84:85], v[124:125], v[108:109] op_sel:[1,1] op_sel_hi:[0,1]
	v_mov_b32_e32 v80, v111
	v_pk_fma_f32 v[76:77], v[120:121], v[104:105], v[76:77] neg_lo:[0,0,1] neg_hi:[0,0,1]
	v_mov_b32_e32 v77, v87
	v_pk_fma_f32 v[82:83], v[122:123], v[106:107], v[78:79] op_sel_hi:[1,0,1]
	v_pk_add_f32 v[72:73], v[72:73], v[74:75]
	v_pk_fma_f32 v[74:75], v[124:125], v[108:109], v[84:85] op_sel_hi:[1,0,1]
	v_pk_mul_f32 v[80:81], v[166:167], v[80:81] op_sel_hi:[1,0]
	v_pk_fma_f32 v[78:79], v[122:123], v[106:107], v[78:79] neg_lo:[0,0,1] neg_hi:[0,0,1]
	v_mov_b32_e32 v79, v83
	v_pk_add_f32 v[72:73], v[72:73], v[76:77]
	v_pk_fma_f32 v[82:83], v[124:125], v[108:109], v[84:85] neg_lo:[0,0,1] neg_hi:[0,0,1]
	v_mov_b32_e32 v83, v75
	v_pk_fma_f32 v[74:75], v[126:127], v[110:111], v[80:81] op_sel_hi:[1,0,1]
	s_wait_loadcnt 0x1
	v_pk_mul_f32 v[76:77], v[128:129], v[112:113] op_sel:[1,1] op_sel_hi:[0,1]
	v_pk_add_f32 v[72:73], v[72:73], v[78:79]
	v_mov_b32_e32 v74, v115
	v_pk_fma_f32 v[80:81], v[126:127], v[110:111], v[80:81] neg_lo:[0,0,1] neg_hi:[0,0,1]
	v_mov_b32_e32 v81, v75
	v_pk_fma_f32 v[78:79], v[128:129], v[112:113], v[76:77] op_sel_hi:[1,0,1]
	v_pk_add_f32 v[72:73], v[72:73], v[82:83]
	v_pk_mul_f32 v[74:75], v[168:169], v[74:75] op_sel_hi:[1,0]
	v_pk_fma_f32 v[76:77], v[128:129], v[112:113], v[76:77] neg_lo:[0,0,1] neg_hi:[0,0,1]
	s_delay_alu instid0(VALU_DEP_4) | instskip(NEXT) | instid1(VALU_DEP_4)
	v_mov_b32_e32 v77, v79
	v_pk_add_f32 v[72:73], v[72:73], v[80:81]
	s_delay_alu instid0(VALU_DEP_4) | instskip(SKIP_1) | instid1(VALU_DEP_2)
	v_pk_fma_f32 v[78:79], v[130:131], v[114:115], v[74:75] op_sel_hi:[1,0,1]
	v_pk_fma_f32 v[74:75], v[130:131], v[114:115], v[74:75] neg_lo:[0,0,1] neg_hi:[0,0,1]
	v_mov_b32_e32 v75, v79
	s_delay_alu instid0(VALU_DEP_4) | instskip(NEXT) | instid1(VALU_DEP_1)
	v_pk_add_f32 v[72:73], v[72:73], v[76:77]
	v_pk_add_f32 v[72:73], v[72:73], v[74:75]
	s_wait_loadcnt 0x0
	s_delay_alu instid0(VALU_DEP_1)
	v_pk_add_f32 v[72:73], v[160:161], v[72:73] neg_lo:[0,1] neg_hi:[0,1]
	scratch_store_b64 off, v[72:73], off offset:96
	s_wait_xcnt 0x0
	v_cmpx_lt_u32_e32 11, v0
	s_cbranch_execz .LBB98_201
; %bb.200:
	scratch_load_b64 v[72:73], off, off offset:88
	v_mov_b64_e32 v[74:75], 0
	scratch_store_b64 off, v[74:75], off offset:88
	s_wait_loadcnt 0x0
	ds_store_b64 v1, v[72:73]
.LBB98_201:
	s_wait_xcnt 0x0
	s_or_b32 exec_lo, exec_lo, s0
	s_wait_storecnt_dscnt 0x0
	s_barrier_signal -1
	s_barrier_wait -1
	s_clause 0xc
	scratch_load_b128 v[72:75], off, off offset:96
	scratch_load_b128 v[76:79], off, off offset:112
	;; [unrolled: 1-line block ×11, first 2 shown]
	scratch_load_b64 v[160:161], off, off offset:272
	scratch_load_b64 v[162:163], off, off offset:88
	v_mov_b32_e32 v7, 0
	ds_load_b128 v[116:119], v7 offset:496
	ds_load_b128 v[120:123], v7 offset:512
	;; [unrolled: 1-line block ×11, first 2 shown]
	ds_load_b64 v[164:165], v7 offset:560
	s_mov_b32 s0, exec_lo
	s_wait_dscnt 0xb
	v_dual_mov_b32 v166, v119 :: v_dual_mov_b32 v167, v118
	s_wait_dscnt 0x8
	v_dual_mov_b32 v168, v123 :: v_dual_mov_b32 v173, v130
	v_dual_mov_b32 v169, v122 :: v_dual_mov_b32 v170, v127
	;; [unrolled: 1-line block ×3, first 2 shown]
	s_wait_loadcnt_dscnt 0xc07
	v_dual_mul_f32 v9, v132, v73 :: v_dual_mul_f32 v35, v133, v73
	v_dual_mul_f32 v37, v135, v75 :: v_dual_mul_f32 v11, v134, v75
	s_wait_loadcnt_dscnt 0xb06
	v_mul_f32_e32 v13, v136, v77
	s_wait_loadcnt_dscnt 0x904
	v_dual_mul_f32 v47, v145, v85 :: v_dual_fma_f32 v35, v132, v72, -v35
	v_dual_fmac_f32 v9, v133, v72 :: v_dual_mul_f32 v49, v147, v87
	v_dual_mul_f32 v39, v137, v77 :: v_dual_mul_f32 v41, v139, v79
	v_dual_fmac_f32 v11, v135, v74 :: v_dual_fma_f32 v37, v134, v74, -v37
	s_delay_alu instid0(VALU_DEP_3) | instskip(SKIP_4) | instid1(VALU_DEP_3)
	v_dual_add_f32 v9, 0, v9 :: v_dual_add_f32 v35, 0, v35
	v_dual_mul_f32 v15, v138, v79 :: v_dual_mul_f32 v17, v140, v81
	s_wait_loadcnt_dscnt 0x803
	v_dual_mul_f32 v51, v149, v89 :: v_dual_fma_f32 v39, v136, v76, -v39
	v_fmac_f32_e32 v13, v137, v76
	v_dual_add_f32 v9, v9, v11 :: v_dual_fmac_f32 v15, v139, v78
	v_add_f32_e32 v11, v35, v37
	v_dual_mul_f32 v43, v141, v81 :: v_dual_mul_f32 v45, v143, v83
	v_dual_mul_f32 v35, v151, v91 :: v_dual_fma_f32 v37, v138, v78, -v41
	s_delay_alu instid0(VALU_DEP_3) | instskip(SKIP_3) | instid1(VALU_DEP_3)
	v_dual_add_f32 v9, v9, v13 :: v_dual_add_f32 v11, v11, v39
	v_dual_mul_f32 v19, v142, v83 :: v_dual_mul_f32 v21, v144, v85
	s_wait_loadcnt_dscnt 0x701
	v_dual_mul_f32 v13, v157, v93 :: v_dual_fma_f32 v39, v140, v80, -v43
	v_dual_fmac_f32 v17, v141, v80 :: v_dual_add_f32 v11, v11, v37
	s_delay_alu instid0(VALU_DEP_3) | instskip(SKIP_1) | instid1(VALU_DEP_2)
	v_dual_add_f32 v9, v9, v15 :: v_dual_fmac_f32 v19, v143, v82
	v_dual_mul_f32 v15, v159, v95 :: v_dual_fma_f32 v37, v142, v82, -v45
	v_dual_add_f32 v11, v11, v39 :: v_dual_add_f32 v9, v9, v17
	v_dual_mul_f32 v23, v146, v87 :: v_dual_mul_f32 v25, v148, v89
	s_wait_loadcnt 0x6
	v_dual_mul_f32 v17, v153, v97 :: v_dual_fma_f32 v39, v144, v84, -v47
	s_delay_alu instid0(VALU_DEP_3) | instskip(NEXT) | instid1(VALU_DEP_3)
	v_dual_fmac_f32 v21, v145, v84 :: v_dual_add_f32 v11, v11, v37
	v_dual_add_f32 v9, v9, v19 :: v_dual_fmac_f32 v23, v147, v86
	v_dual_mul_f32 v19, v155, v99 :: v_dual_fma_f32 v37, v146, v86, -v49
	s_delay_alu instid0(VALU_DEP_2) | instskip(SKIP_3) | instid1(VALU_DEP_3)
	v_dual_add_f32 v11, v11, v39 :: v_dual_add_f32 v9, v9, v21
	v_dual_mul_f32 v27, v150, v91 :: v_dual_mul_f32 v29, v156, v93
	s_wait_loadcnt 0x5
	v_dual_mul_f32 v21, v117, v101 :: v_dual_fma_f32 v39, v148, v88, -v51
	v_dual_fmac_f32 v25, v149, v88 :: v_dual_add_f32 v11, v11, v37
	v_dual_add_f32 v9, v9, v23 :: v_dual_mov_b32 v72, v103
	v_fmac_f32_e32 v27, v151, v90
	s_delay_alu instid0(VALU_DEP_3) | instskip(NEXT) | instid1(VALU_DEP_3)
	v_dual_fma_f32 v23, v150, v90, -v35 :: v_dual_add_f32 v11, v11, v39
	v_dual_add_f32 v9, v9, v25 :: v_dual_mul_f32 v31, v158, v95
	v_dual_mul_f32 v33, v152, v97 :: v_dual_fmac_f32 v29, v157, v92
	s_delay_alu instid0(VALU_DEP_3) | instskip(SKIP_1) | instid1(VALU_DEP_3)
	v_dual_add_f32 v11, v11, v23 :: v_dual_fma_f32 v13, v156, v92, -v13
	s_wait_loadcnt 0x4
	v_dual_add_f32 v9, v9, v27 :: v_dual_mov_b32 v76, v107
	v_fma_f32 v15, v158, v94, -v15
	v_fmac_f32_e32 v31, v159, v94
	v_dual_add_f32 v11, v11, v13 :: v_dual_fmac_f32 v33, v153, v96
	s_delay_alu instid0(VALU_DEP_4) | instskip(SKIP_1) | instid1(VALU_DEP_3)
	v_dual_add_f32 v9, v9, v29 :: v_dual_mul_f32 v175, v154, v99
	v_mul_f32_e32 v177, v116, v101
	v_dual_fma_f32 v13, v152, v96, -v17 :: v_dual_add_f32 v11, v11, v15
	s_delay_alu instid0(VALU_DEP_3) | instskip(NEXT) | instid1(VALU_DEP_4)
	v_dual_fma_f32 v174, v154, v98, -v19 :: v_dual_add_f32 v9, v9, v31
	v_fmac_f32_e32 v175, v155, v98
	v_pk_mul_f32 v[72:73], v[166:167], v[72:73] op_sel_hi:[1,0]
	s_delay_alu instid0(VALU_DEP_4) | instskip(NEXT) | instid1(VALU_DEP_4)
	v_dual_add_f32 v80, v11, v13 :: v_dual_fmac_f32 v177, v117, v100
	v_add_f32_e32 v81, v9, v33
	v_pk_mul_f32 v[74:75], v[120:121], v[104:105] op_sel:[1,1] op_sel_hi:[0,1]
	s_wait_loadcnt 0x3
	v_dual_mov_b32 v82, v111 :: v_dual_fma_f32 v176, v116, v100, -v21
	v_pk_fma_f32 v[84:85], v[118:119], v[102:103], v[72:73] op_sel_hi:[1,0,1]
	v_pk_add_f32 v[80:81], v[80:81], v[174:175]
	v_pk_fma_f32 v[72:73], v[118:119], v[102:103], v[72:73] neg_lo:[0,0,1] neg_hi:[0,0,1]
	v_pk_fma_f32 v[86:87], v[120:121], v[104:105], v[74:75] op_sel_hi:[1,0,1]
	v_pk_mul_f32 v[76:77], v[168:169], v[76:77] op_sel_hi:[1,0]
	v_mov_b32_e32 v73, v85
	v_pk_add_f32 v[80:81], v[80:81], v[176:177]
	v_pk_fma_f32 v[74:75], v[120:121], v[104:105], v[74:75] neg_lo:[0,0,1] neg_hi:[0,0,1]
	v_pk_mul_f32 v[78:79], v[124:125], v[108:109] op_sel:[1,1] op_sel_hi:[0,1]
	v_mov_b32_e32 v75, v87
	v_pk_fma_f32 v[86:87], v[122:123], v[106:107], v[76:77] op_sel_hi:[1,0,1]
	v_pk_add_f32 v[72:73], v[80:81], v[72:73]
	v_pk_fma_f32 v[76:77], v[122:123], v[106:107], v[76:77] neg_lo:[0,0,1] neg_hi:[0,0,1]
	v_pk_fma_f32 v[80:81], v[124:125], v[108:109], v[78:79] op_sel_hi:[1,0,1]
	v_pk_mul_f32 v[82:83], v[170:171], v[82:83] op_sel_hi:[1,0]
	v_mov_b32_e32 v77, v87
	v_pk_add_f32 v[72:73], v[72:73], v[74:75]
	v_pk_fma_f32 v[78:79], v[124:125], v[108:109], v[78:79] neg_lo:[0,0,1] neg_hi:[0,0,1]
	s_wait_loadcnt 0x2
	v_pk_mul_f32 v[84:85], v[128:129], v[112:113] op_sel:[1,1] op_sel_hi:[0,1]
	v_dual_mov_b32 v74, v115 :: v_dual_mov_b32 v79, v81
	v_pk_fma_f32 v[80:81], v[126:127], v[110:111], v[82:83] op_sel_hi:[1,0,1]
	v_pk_add_f32 v[72:73], v[72:73], v[76:77]
	v_pk_fma_f32 v[82:83], v[126:127], v[110:111], v[82:83] neg_lo:[0,0,1] neg_hi:[0,0,1]
	v_pk_fma_f32 v[76:77], v[128:129], v[112:113], v[84:85] op_sel_hi:[1,0,1]
	v_pk_mul_f32 v[74:75], v[172:173], v[74:75] op_sel_hi:[1,0]
	v_mov_b32_e32 v83, v81
	v_pk_add_f32 v[72:73], v[72:73], v[78:79]
	v_pk_fma_f32 v[78:79], v[128:129], v[112:113], v[84:85] neg_lo:[0,0,1] neg_hi:[0,0,1]
	v_mov_b32_e32 v79, v77
	v_pk_fma_f32 v[76:77], v[130:131], v[114:115], v[74:75] op_sel_hi:[1,0,1]
	s_wait_loadcnt_dscnt 0x100
	v_pk_mul_f32 v[80:81], v[164:165], v[160:161] op_sel:[1,1] op_sel_hi:[0,1]
	v_pk_add_f32 v[72:73], v[72:73], v[82:83]
	v_pk_fma_f32 v[74:75], v[130:131], v[114:115], v[74:75] neg_lo:[0,0,1] neg_hi:[0,0,1]
	v_mov_b32_e32 v75, v77
	s_delay_alu instid0(VALU_DEP_4) | instskip(NEXT) | instid1(VALU_DEP_4)
	v_pk_fma_f32 v[76:77], v[164:165], v[160:161], v[80:81] op_sel_hi:[1,0,1]
	v_pk_add_f32 v[72:73], v[72:73], v[78:79]
	v_pk_fma_f32 v[78:79], v[164:165], v[160:161], v[80:81] neg_lo:[0,0,1] neg_hi:[0,0,1]
	s_delay_alu instid0(VALU_DEP_3) | instskip(NEXT) | instid1(VALU_DEP_3)
	v_mov_b32_e32 v79, v77
	v_pk_add_f32 v[72:73], v[72:73], v[74:75]
	s_delay_alu instid0(VALU_DEP_1) | instskip(SKIP_1) | instid1(VALU_DEP_1)
	v_pk_add_f32 v[72:73], v[72:73], v[78:79]
	s_wait_loadcnt 0x0
	v_pk_add_f32 v[72:73], v[162:163], v[72:73] neg_lo:[0,1] neg_hi:[0,1]
	scratch_store_b64 off, v[72:73], off offset:88
	s_wait_xcnt 0x0
	v_cmpx_lt_u32_e32 10, v0
	s_cbranch_execz .LBB98_203
; %bb.202:
	scratch_load_b64 v[72:73], off, off offset:80
	v_mov_b64_e32 v[74:75], 0
	scratch_store_b64 off, v[74:75], off offset:80
	s_wait_loadcnt 0x0
	ds_store_b64 v1, v[72:73]
.LBB98_203:
	s_wait_xcnt 0x0
	s_or_b32 exec_lo, exec_lo, s0
	s_wait_storecnt_dscnt 0x0
	s_barrier_signal -1
	s_barrier_wait -1
	s_clause 0xc
	scratch_load_b128 v[72:75], off, off offset:88
	scratch_load_b128 v[76:79], off, off offset:104
	;; [unrolled: 1-line block ×12, first 2 shown]
	scratch_load_b64 v[168:169], off, off offset:80
	ds_load_2addr_b64 v[120:123], v7 offset0:63 offset1:64
	ds_load_2addr_b64 v[124:127], v7 offset0:65 offset1:66
	;; [unrolled: 1-line block ×12, first 2 shown]
	s_mov_b32 s0, exec_lo
	s_wait_dscnt 0xb
	v_dual_mov_b32 v170, v123 :: v_dual_mov_b32 v171, v122
	s_wait_dscnt 0xa
	v_dual_mov_b32 v172, v127 :: v_dual_mov_b32 v173, v126
	;; [unrolled: 2-line block ×4, first 2 shown]
	s_wait_loadcnt_dscnt 0xc07
	v_dual_mul_f32 v7, v136, v73 :: v_dual_mul_f32 v9, v138, v75
	v_dual_mul_f32 v35, v137, v73 :: v_dual_mul_f32 v37, v139, v75
	s_wait_loadcnt_dscnt 0xb06
	v_dual_mul_f32 v11, v140, v77 :: v_dual_mul_f32 v13, v142, v79
	s_delay_alu instid0(VALU_DEP_3) | instskip(SKIP_3) | instid1(VALU_DEP_3)
	v_dual_fmac_f32 v7, v137, v72 :: v_dual_fmac_f32 v9, v139, v74
	s_wait_loadcnt_dscnt 0x904
	v_dual_fma_f32 v35, v136, v72, -v35 :: v_dual_mul_f32 v47, v149, v85
	v_dual_mul_f32 v39, v141, v77 :: v_dual_mul_f32 v41, v143, v79
	v_dual_fma_f32 v37, v138, v74, -v37 :: v_dual_add_f32 v7, 0, v7
	s_delay_alu instid0(VALU_DEP_3) | instskip(SKIP_1) | instid1(VALU_DEP_4)
	v_dual_add_f32 v35, 0, v35 :: v_dual_fmac_f32 v11, v141, v76
	v_dual_mul_f32 v15, v144, v81 :: v_dual_mul_f32 v17, v146, v83
	v_dual_mul_f32 v49, v151, v87 :: v_dual_fma_f32 v39, v140, v76, -v39
	s_delay_alu instid0(VALU_DEP_4) | instskip(NEXT) | instid1(VALU_DEP_3)
	v_add_f32_e32 v7, v7, v9
	v_dual_add_f32 v9, v35, v37 :: v_dual_fmac_f32 v15, v145, v80
	v_dual_mul_f32 v43, v145, v81 :: v_dual_mul_f32 v45, v147, v83
	s_wait_loadcnt_dscnt 0x803
	v_dual_mul_f32 v35, v153, v89 :: v_dual_fmac_f32 v13, v143, v78
	v_dual_fma_f32 v37, v142, v78, -v41 :: v_dual_add_f32 v7, v7, v11
	s_delay_alu instid0(VALU_DEP_3) | instskip(SKIP_1) | instid1(VALU_DEP_3)
	v_dual_add_f32 v9, v9, v39 :: v_dual_fma_f32 v39, v144, v80, -v43
	v_dual_mul_f32 v19, v148, v85 :: v_dual_mul_f32 v21, v150, v87
	v_add_f32_e32 v7, v7, v13
	s_delay_alu instid0(VALU_DEP_3) | instskip(SKIP_2) | instid1(VALU_DEP_3)
	v_dual_mul_f32 v11, v155, v91 :: v_dual_add_f32 v9, v9, v37
	s_wait_loadcnt_dscnt 0x702
	v_dual_mul_f32 v13, v157, v93 :: v_dual_fmac_f32 v17, v147, v82
	v_dual_fma_f32 v37, v146, v82, -v45 :: v_dual_add_f32 v7, v7, v15
	s_delay_alu instid0(VALU_DEP_3) | instskip(SKIP_1) | instid1(VALU_DEP_3)
	v_dual_add_f32 v9, v9, v39 :: v_dual_fma_f32 v39, v148, v84, -v47
	v_dual_mul_f32 v15, v159, v95 :: v_dual_fmac_f32 v19, v149, v84
	v_add_f32_e32 v7, v7, v17
	s_delay_alu instid0(VALU_DEP_3)
	v_dual_add_f32 v9, v9, v37 :: v_dual_fmac_f32 v21, v151, v86
	v_dual_mul_f32 v23, v152, v89 :: v_dual_mul_f32 v25, v154, v91
	s_wait_loadcnt_dscnt 0x601
	v_dual_fma_f32 v37, v150, v86, -v49 :: v_dual_mul_f32 v17, v161, v97
	v_add_f32_e32 v7, v7, v19
	v_dual_add_f32 v9, v9, v39 :: v_dual_fma_f32 v35, v152, v88, -v35
	v_dual_mul_f32 v19, v163, v99 :: v_dual_fmac_f32 v23, v153, v88
	s_delay_alu instid0(VALU_DEP_3) | instskip(NEXT) | instid1(VALU_DEP_3)
	v_dual_add_f32 v7, v7, v21 :: v_dual_fma_f32 v11, v154, v90, -v11
	v_dual_add_f32 v9, v9, v37 :: v_dual_fmac_f32 v25, v155, v90
	v_dual_mul_f32 v27, v156, v93 :: v_dual_mul_f32 v29, v158, v95
	s_wait_loadcnt_dscnt 0x500
	s_delay_alu instid0(VALU_DEP_3) | instskip(NEXT) | instid1(VALU_DEP_3)
	v_dual_mul_f32 v21, v165, v101 :: v_dual_add_f32 v7, v7, v23
	v_dual_add_f32 v9, v9, v35 :: v_dual_fma_f32 v13, v156, v92, -v13
	s_delay_alu instid0(VALU_DEP_3) | instskip(NEXT) | instid1(VALU_DEP_2)
	v_dual_mul_f32 v23, v167, v103 :: v_dual_fmac_f32 v27, v157, v92
	v_dual_add_f32 v7, v7, v25 :: v_dual_add_f32 v9, v9, v11
	v_dual_mul_f32 v31, v160, v97 :: v_dual_mul_f32 v33, v162, v99
	v_dual_fmac_f32 v29, v159, v94 :: v_dual_fma_f32 v11, v158, v94, -v15
	s_delay_alu instid0(VALU_DEP_3) | instskip(SKIP_1) | instid1(VALU_DEP_3)
	v_dual_add_f32 v7, v7, v27 :: v_dual_add_f32 v9, v9, v13
	s_wait_loadcnt 0x4
	v_dual_mov_b32 v74, v107 :: v_dual_fmac_f32 v31, v161, v96
	s_delay_alu instid0(VALU_DEP_2) | instskip(NEXT) | instid1(VALU_DEP_3)
	v_dual_fma_f32 v13, v160, v96, -v17 :: v_dual_add_f32 v7, v7, v29
	v_dual_add_f32 v9, v9, v11 :: v_dual_fmac_f32 v33, v163, v98
	v_dual_mul_f32 v179, v164, v101 :: v_dual_mul_f32 v181, v166, v103
	s_delay_alu instid0(VALU_DEP_3) | instskip(SKIP_1) | instid1(VALU_DEP_3)
	v_dual_fma_f32 v11, v162, v98, -v19 :: v_dual_add_f32 v7, v7, v31
	s_wait_loadcnt 0x3
	v_dual_add_f32 v9, v9, v13 :: v_dual_mov_b32 v78, v111
	v_pk_mul_f32 v[72:73], v[120:121], v[104:105] op_sel:[1,1] op_sel_hi:[0,1]
	v_dual_fmac_f32 v179, v165, v100 :: v_dual_fma_f32 v178, v164, v100, -v21
	s_delay_alu instid0(VALU_DEP_3) | instskip(SKIP_1) | instid1(VALU_DEP_4)
	v_dual_add_f32 v81, v7, v33 :: v_dual_add_f32 v80, v9, v11
	v_dual_fmac_f32 v181, v167, v102 :: v_dual_fma_f32 v180, v166, v102, -v23
	v_pk_fma_f32 v[82:83], v[120:121], v[104:105], v[72:73] op_sel_hi:[1,0,1]
	v_pk_mul_f32 v[74:75], v[170:171], v[74:75] op_sel_hi:[1,0]
	s_delay_alu instid0(VALU_DEP_4)
	v_pk_add_f32 v[80:81], v[80:81], v[178:179]
	v_pk_fma_f32 v[72:73], v[120:121], v[104:105], v[72:73] neg_lo:[0,0,1] neg_hi:[0,0,1]
	v_pk_mul_f32 v[76:77], v[124:125], v[108:109] op_sel:[1,1] op_sel_hi:[0,1]
	v_mov_b32_e32 v73, v83
	v_pk_fma_f32 v[82:83], v[122:123], v[106:107], v[74:75] op_sel_hi:[1,0,1]
	v_pk_add_f32 v[80:81], v[80:81], v[180:181]
	v_pk_fma_f32 v[74:75], v[122:123], v[106:107], v[74:75] neg_lo:[0,0,1] neg_hi:[0,0,1]
	v_pk_fma_f32 v[86:87], v[124:125], v[108:109], v[76:77] op_sel_hi:[1,0,1]
	v_pk_mul_f32 v[78:79], v[172:173], v[78:79] op_sel_hi:[1,0]
	v_mov_b32_e32 v75, v83
	v_pk_add_f32 v[72:73], v[80:81], v[72:73]
	s_wait_loadcnt 0x2
	v_pk_mul_f32 v[84:85], v[128:129], v[112:113] op_sel:[1,1] op_sel_hi:[0,1]
	v_mov_b32_e32 v80, v115
	v_pk_fma_f32 v[76:77], v[124:125], v[108:109], v[76:77] neg_lo:[0,0,1] neg_hi:[0,0,1]
	v_mov_b32_e32 v77, v87
	v_pk_fma_f32 v[82:83], v[126:127], v[110:111], v[78:79] op_sel_hi:[1,0,1]
	v_pk_add_f32 v[72:73], v[72:73], v[74:75]
	v_pk_fma_f32 v[74:75], v[128:129], v[112:113], v[84:85] op_sel_hi:[1,0,1]
	v_pk_mul_f32 v[80:81], v[174:175], v[80:81] op_sel_hi:[1,0]
	v_pk_fma_f32 v[78:79], v[126:127], v[110:111], v[78:79] neg_lo:[0,0,1] neg_hi:[0,0,1]
	v_mov_b32_e32 v79, v83
	v_pk_add_f32 v[72:73], v[72:73], v[76:77]
	v_pk_fma_f32 v[82:83], v[128:129], v[112:113], v[84:85] neg_lo:[0,0,1] neg_hi:[0,0,1]
	v_mov_b32_e32 v83, v75
	v_pk_fma_f32 v[74:75], v[130:131], v[114:115], v[80:81] op_sel_hi:[1,0,1]
	s_wait_loadcnt 0x1
	v_pk_mul_f32 v[76:77], v[132:133], v[116:117] op_sel:[1,1] op_sel_hi:[0,1]
	v_pk_add_f32 v[72:73], v[72:73], v[78:79]
	v_mov_b32_e32 v74, v119
	v_pk_fma_f32 v[80:81], v[130:131], v[114:115], v[80:81] neg_lo:[0,0,1] neg_hi:[0,0,1]
	v_mov_b32_e32 v81, v75
	v_pk_fma_f32 v[78:79], v[132:133], v[116:117], v[76:77] op_sel_hi:[1,0,1]
	v_pk_add_f32 v[72:73], v[72:73], v[82:83]
	v_pk_mul_f32 v[74:75], v[176:177], v[74:75] op_sel_hi:[1,0]
	v_pk_fma_f32 v[76:77], v[132:133], v[116:117], v[76:77] neg_lo:[0,0,1] neg_hi:[0,0,1]
	s_delay_alu instid0(VALU_DEP_4) | instskip(NEXT) | instid1(VALU_DEP_4)
	v_mov_b32_e32 v77, v79
	v_pk_add_f32 v[72:73], v[72:73], v[80:81]
	s_delay_alu instid0(VALU_DEP_4) | instskip(SKIP_1) | instid1(VALU_DEP_2)
	v_pk_fma_f32 v[78:79], v[134:135], v[118:119], v[74:75] op_sel_hi:[1,0,1]
	v_pk_fma_f32 v[74:75], v[134:135], v[118:119], v[74:75] neg_lo:[0,0,1] neg_hi:[0,0,1]
	v_mov_b32_e32 v75, v79
	s_delay_alu instid0(VALU_DEP_4) | instskip(NEXT) | instid1(VALU_DEP_1)
	v_pk_add_f32 v[72:73], v[72:73], v[76:77]
	v_pk_add_f32 v[72:73], v[72:73], v[74:75]
	s_wait_loadcnt 0x0
	s_delay_alu instid0(VALU_DEP_1)
	v_pk_add_f32 v[72:73], v[168:169], v[72:73] neg_lo:[0,1] neg_hi:[0,1]
	scratch_store_b64 off, v[72:73], off offset:80
	s_wait_xcnt 0x0
	v_cmpx_lt_u32_e32 9, v0
	s_cbranch_execz .LBB98_205
; %bb.204:
	scratch_load_b64 v[72:73], off, off offset:72
	v_mov_b64_e32 v[74:75], 0
	scratch_store_b64 off, v[74:75], off offset:72
	s_wait_loadcnt 0x0
	ds_store_b64 v1, v[72:73]
.LBB98_205:
	s_wait_xcnt 0x0
	s_or_b32 exec_lo, exec_lo, s0
	s_wait_storecnt_dscnt 0x0
	s_barrier_signal -1
	s_barrier_wait -1
	s_clause 0xd
	scratch_load_b128 v[72:75], off, off offset:80
	scratch_load_b128 v[76:79], off, off offset:96
	;; [unrolled: 1-line block ×12, first 2 shown]
	scratch_load_b64 v[168:169], off, off offset:272
	scratch_load_b64 v[170:171], off, off offset:72
	v_mov_b32_e32 v7, 0
	ds_load_b128 v[120:123], v7 offset:496
	ds_load_b128 v[124:127], v7 offset:512
	;; [unrolled: 1-line block ×12, first 2 shown]
	ds_load_b64 v[172:173], v7 offset:560
	s_mov_b32 s0, exec_lo
	s_wait_dscnt 0xc
	v_dual_mov_b32 v174, v123 :: v_dual_mov_b32 v175, v122
	s_wait_dscnt 0x9
	v_dual_mov_b32 v176, v127 :: v_dual_mov_b32 v181, v134
	v_dual_mov_b32 v177, v126 :: v_dual_mov_b32 v178, v131
	;; [unrolled: 1-line block ×3, first 2 shown]
	s_wait_loadcnt_dscnt 0xd08
	v_dual_mul_f32 v9, v136, v73 :: v_dual_mul_f32 v39, v137, v73
	v_dual_mul_f32 v41, v139, v75 :: v_dual_mul_f32 v11, v138, v75
	s_wait_loadcnt_dscnt 0xc07
	v_mul_f32_e32 v13, v140, v77
	s_wait_loadcnt_dscnt 0xa05
	v_dual_mul_f32 v51, v149, v85 :: v_dual_fma_f32 v39, v136, v72, -v39
	v_dual_fmac_f32 v9, v137, v72 :: v_dual_mul_f32 v53, v151, v87
	v_dual_mul_f32 v43, v141, v77 :: v_dual_mul_f32 v45, v143, v79
	v_dual_fmac_f32 v11, v139, v74 :: v_dual_fma_f32 v41, v138, v74, -v41
	s_delay_alu instid0(VALU_DEP_3) | instskip(SKIP_4) | instid1(VALU_DEP_3)
	v_dual_add_f32 v9, 0, v9 :: v_dual_add_f32 v39, 0, v39
	v_dual_mul_f32 v15, v142, v79 :: v_dual_mul_f32 v17, v144, v81
	s_wait_loadcnt_dscnt 0x904
	v_dual_mul_f32 v55, v153, v89 :: v_dual_fma_f32 v43, v140, v76, -v43
	v_fmac_f32_e32 v13, v141, v76
	v_dual_add_f32 v9, v9, v11 :: v_dual_fmac_f32 v15, v143, v78
	v_add_f32_e32 v11, v39, v41
	v_dual_mul_f32 v47, v145, v81 :: v_dual_mul_f32 v49, v147, v83
	v_dual_mul_f32 v39, v155, v91 :: v_dual_fma_f32 v41, v142, v78, -v45
	s_delay_alu instid0(VALU_DEP_3) | instskip(SKIP_3) | instid1(VALU_DEP_3)
	v_dual_add_f32 v9, v9, v13 :: v_dual_add_f32 v11, v11, v43
	v_dual_mul_f32 v19, v146, v83 :: v_dual_mul_f32 v21, v148, v85
	s_wait_loadcnt_dscnt 0x803
	v_dual_mul_f32 v13, v157, v93 :: v_dual_fma_f32 v43, v144, v80, -v47
	v_dual_fmac_f32 v17, v145, v80 :: v_dual_add_f32 v11, v11, v41
	s_delay_alu instid0(VALU_DEP_3) | instskip(SKIP_1) | instid1(VALU_DEP_2)
	v_dual_add_f32 v9, v9, v15 :: v_dual_fmac_f32 v19, v147, v82
	v_dual_mul_f32 v15, v159, v95 :: v_dual_fma_f32 v41, v146, v82, -v49
	v_dual_add_f32 v11, v11, v43 :: v_dual_add_f32 v9, v9, v17
	v_dual_mul_f32 v23, v150, v87 :: v_dual_mul_f32 v25, v152, v89
	s_wait_loadcnt_dscnt 0x702
	v_dual_mul_f32 v17, v161, v97 :: v_dual_fma_f32 v43, v148, v84, -v51
	s_delay_alu instid0(VALU_DEP_3) | instskip(NEXT) | instid1(VALU_DEP_3)
	v_dual_fmac_f32 v21, v149, v84 :: v_dual_add_f32 v11, v11, v41
	v_dual_add_f32 v9, v9, v19 :: v_dual_fmac_f32 v23, v151, v86
	v_dual_mul_f32 v19, v163, v99 :: v_dual_fma_f32 v41, v150, v86, -v53
	s_delay_alu instid0(VALU_DEP_2) | instskip(SKIP_3) | instid1(VALU_DEP_3)
	v_dual_add_f32 v11, v11, v43 :: v_dual_add_f32 v9, v9, v21
	v_dual_mul_f32 v27, v154, v91 :: v_dual_mul_f32 v29, v156, v93
	s_wait_loadcnt_dscnt 0x601
	v_dual_mul_f32 v21, v165, v101 :: v_dual_fma_f32 v43, v152, v88, -v55
	v_dual_fmac_f32 v25, v153, v88 :: v_dual_add_f32 v11, v11, v41
	s_delay_alu instid0(VALU_DEP_3) | instskip(SKIP_1) | instid1(VALU_DEP_2)
	v_dual_add_f32 v9, v9, v23 :: v_dual_fmac_f32 v27, v155, v90
	v_dual_mul_f32 v23, v167, v103 :: v_dual_fma_f32 v39, v154, v90, -v39
	v_dual_add_f32 v11, v11, v43 :: v_dual_add_f32 v9, v9, v25
	v_dual_mul_f32 v31, v158, v95 :: v_dual_mul_f32 v33, v160, v97
	s_wait_loadcnt 0x5
	v_dual_mul_f32 v25, v121, v105 :: v_dual_fma_f32 v13, v156, v92, -v13
	s_delay_alu instid0(VALU_DEP_3) | instskip(SKIP_2) | instid1(VALU_DEP_3)
	v_dual_fmac_f32 v29, v157, v92 :: v_dual_add_f32 v11, v11, v39
	v_dual_add_f32 v9, v9, v27 :: v_dual_mov_b32 v72, v107
	v_fmac_f32_e32 v31, v159, v94
	v_dual_fma_f32 v15, v158, v94, -v15 :: v_dual_add_f32 v11, v11, v13
	s_delay_alu instid0(VALU_DEP_3) | instskip(SKIP_1) | instid1(VALU_DEP_3)
	v_dual_add_f32 v9, v9, v29 :: v_dual_mul_f32 v35, v162, v99
	v_dual_mul_f32 v37, v164, v101 :: v_dual_fmac_f32 v33, v161, v96
	v_dual_add_f32 v11, v11, v15 :: v_dual_fma_f32 v13, v160, v96, -v17
	s_wait_loadcnt 0x4
	s_delay_alu instid0(VALU_DEP_3) | instskip(SKIP_3) | instid1(VALU_DEP_4)
	v_dual_add_f32 v9, v9, v31 :: v_dual_mov_b32 v76, v111
	v_fma_f32 v15, v162, v98, -v19
	v_fmac_f32_e32 v35, v163, v98
	v_dual_add_f32 v11, v11, v13 :: v_dual_fmac_f32 v37, v165, v100
	v_dual_add_f32 v9, v9, v33 :: v_dual_mul_f32 v183, v166, v103
	v_mul_f32_e32 v185, v120, v105
	s_delay_alu instid0(VALU_DEP_3) | instskip(NEXT) | instid1(VALU_DEP_3)
	v_dual_fma_f32 v13, v164, v100, -v21 :: v_dual_add_f32 v11, v11, v15
	v_dual_fma_f32 v182, v166, v102, -v23 :: v_dual_add_f32 v9, v9, v35
	s_delay_alu instid0(VALU_DEP_4) | instskip(SKIP_1) | instid1(VALU_DEP_4)
	v_fmac_f32_e32 v183, v167, v102
	v_pk_mul_f32 v[72:73], v[174:175], v[72:73] op_sel_hi:[1,0]
	v_dual_add_f32 v80, v11, v13 :: v_dual_fmac_f32 v185, v121, v104
	s_delay_alu instid0(VALU_DEP_4)
	v_add_f32_e32 v81, v9, v37
	v_pk_mul_f32 v[74:75], v[124:125], v[108:109] op_sel:[1,1] op_sel_hi:[0,1]
	s_wait_loadcnt 0x3
	v_dual_mov_b32 v82, v115 :: v_dual_fma_f32 v184, v120, v104, -v25
	v_pk_fma_f32 v[84:85], v[122:123], v[106:107], v[72:73] op_sel_hi:[1,0,1]
	v_pk_add_f32 v[80:81], v[80:81], v[182:183]
	v_pk_fma_f32 v[72:73], v[122:123], v[106:107], v[72:73] neg_lo:[0,0,1] neg_hi:[0,0,1]
	v_pk_fma_f32 v[86:87], v[124:125], v[108:109], v[74:75] op_sel_hi:[1,0,1]
	v_pk_mul_f32 v[76:77], v[176:177], v[76:77] op_sel_hi:[1,0]
	v_mov_b32_e32 v73, v85
	v_pk_add_f32 v[80:81], v[80:81], v[184:185]
	v_pk_fma_f32 v[74:75], v[124:125], v[108:109], v[74:75] neg_lo:[0,0,1] neg_hi:[0,0,1]
	v_pk_mul_f32 v[78:79], v[128:129], v[112:113] op_sel:[1,1] op_sel_hi:[0,1]
	v_mov_b32_e32 v75, v87
	v_pk_fma_f32 v[86:87], v[126:127], v[110:111], v[76:77] op_sel_hi:[1,0,1]
	v_pk_add_f32 v[72:73], v[80:81], v[72:73]
	v_pk_fma_f32 v[76:77], v[126:127], v[110:111], v[76:77] neg_lo:[0,0,1] neg_hi:[0,0,1]
	v_pk_fma_f32 v[80:81], v[128:129], v[112:113], v[78:79] op_sel_hi:[1,0,1]
	v_pk_mul_f32 v[82:83], v[178:179], v[82:83] op_sel_hi:[1,0]
	v_mov_b32_e32 v77, v87
	v_pk_add_f32 v[72:73], v[72:73], v[74:75]
	v_pk_fma_f32 v[78:79], v[128:129], v[112:113], v[78:79] neg_lo:[0,0,1] neg_hi:[0,0,1]
	s_wait_loadcnt 0x2
	v_pk_mul_f32 v[84:85], v[132:133], v[116:117] op_sel:[1,1] op_sel_hi:[0,1]
	v_dual_mov_b32 v74, v119 :: v_dual_mov_b32 v79, v81
	v_pk_fma_f32 v[80:81], v[130:131], v[114:115], v[82:83] op_sel_hi:[1,0,1]
	v_pk_add_f32 v[72:73], v[72:73], v[76:77]
	v_pk_fma_f32 v[82:83], v[130:131], v[114:115], v[82:83] neg_lo:[0,0,1] neg_hi:[0,0,1]
	v_pk_fma_f32 v[76:77], v[132:133], v[116:117], v[84:85] op_sel_hi:[1,0,1]
	v_pk_mul_f32 v[74:75], v[180:181], v[74:75] op_sel_hi:[1,0]
	v_mov_b32_e32 v83, v81
	v_pk_add_f32 v[72:73], v[72:73], v[78:79]
	v_pk_fma_f32 v[78:79], v[132:133], v[116:117], v[84:85] neg_lo:[0,0,1] neg_hi:[0,0,1]
	v_mov_b32_e32 v79, v77
	v_pk_fma_f32 v[76:77], v[134:135], v[118:119], v[74:75] op_sel_hi:[1,0,1]
	s_wait_loadcnt_dscnt 0x100
	v_pk_mul_f32 v[80:81], v[172:173], v[168:169] op_sel:[1,1] op_sel_hi:[0,1]
	v_pk_add_f32 v[72:73], v[72:73], v[82:83]
	v_pk_fma_f32 v[74:75], v[134:135], v[118:119], v[74:75] neg_lo:[0,0,1] neg_hi:[0,0,1]
	v_mov_b32_e32 v75, v77
	s_delay_alu instid0(VALU_DEP_4) | instskip(NEXT) | instid1(VALU_DEP_4)
	v_pk_fma_f32 v[76:77], v[172:173], v[168:169], v[80:81] op_sel_hi:[1,0,1]
	v_pk_add_f32 v[72:73], v[72:73], v[78:79]
	v_pk_fma_f32 v[78:79], v[172:173], v[168:169], v[80:81] neg_lo:[0,0,1] neg_hi:[0,0,1]
	s_delay_alu instid0(VALU_DEP_3) | instskip(NEXT) | instid1(VALU_DEP_3)
	v_mov_b32_e32 v79, v77
	v_pk_add_f32 v[72:73], v[72:73], v[74:75]
	s_delay_alu instid0(VALU_DEP_1) | instskip(SKIP_1) | instid1(VALU_DEP_1)
	v_pk_add_f32 v[72:73], v[72:73], v[78:79]
	s_wait_loadcnt 0x0
	v_pk_add_f32 v[72:73], v[170:171], v[72:73] neg_lo:[0,1] neg_hi:[0,1]
	scratch_store_b64 off, v[72:73], off offset:72
	s_wait_xcnt 0x0
	v_cmpx_lt_u32_e32 8, v0
	s_cbranch_execz .LBB98_207
; %bb.206:
	scratch_load_b64 v[72:73], off, off offset:64
	v_mov_b64_e32 v[74:75], 0
	scratch_store_b64 off, v[74:75], off offset:64
	s_wait_loadcnt 0x0
	ds_store_b64 v1, v[72:73]
.LBB98_207:
	s_wait_xcnt 0x0
	s_or_b32 exec_lo, exec_lo, s0
	s_wait_storecnt_dscnt 0x0
	s_barrier_signal -1
	s_barrier_wait -1
	s_clause 0xd
	scratch_load_b128 v[72:75], off, off offset:72
	scratch_load_b128 v[76:79], off, off offset:88
	;; [unrolled: 1-line block ×13, first 2 shown]
	scratch_load_b64 v[176:177], off, off offset:64
	ds_load_2addr_b64 v[124:127], v7 offset0:63 offset1:64
	ds_load_2addr_b64 v[128:131], v7 offset0:65 offset1:66
	;; [unrolled: 1-line block ×13, first 2 shown]
	s_mov_b32 s0, exec_lo
	s_wait_dscnt 0xc
	v_dual_mov_b32 v178, v127 :: v_dual_mov_b32 v179, v126
	s_wait_dscnt 0xb
	v_dual_mov_b32 v180, v131 :: v_dual_mov_b32 v181, v130
	;; [unrolled: 2-line block ×4, first 2 shown]
	s_wait_loadcnt_dscnt 0xd08
	v_dual_mul_f32 v7, v140, v73 :: v_dual_mul_f32 v9, v142, v75
	v_dual_mul_f32 v39, v141, v73 :: v_dual_mul_f32 v41, v143, v75
	s_wait_loadcnt_dscnt 0xc07
	v_dual_mul_f32 v11, v144, v77 :: v_dual_mul_f32 v13, v146, v79
	s_delay_alu instid0(VALU_DEP_3) | instskip(SKIP_3) | instid1(VALU_DEP_3)
	v_dual_fmac_f32 v7, v141, v72 :: v_dual_fmac_f32 v9, v143, v74
	s_wait_loadcnt_dscnt 0xa05
	v_dual_fma_f32 v39, v140, v72, -v39 :: v_dual_mul_f32 v51, v153, v85
	v_dual_mul_f32 v43, v145, v77 :: v_dual_mul_f32 v45, v147, v79
	v_dual_fma_f32 v41, v142, v74, -v41 :: v_dual_add_f32 v7, 0, v7
	s_delay_alu instid0(VALU_DEP_3) | instskip(SKIP_1) | instid1(VALU_DEP_4)
	v_dual_add_f32 v39, 0, v39 :: v_dual_fmac_f32 v11, v145, v76
	v_dual_mul_f32 v15, v148, v81 :: v_dual_mul_f32 v17, v150, v83
	v_dual_mul_f32 v53, v155, v87 :: v_dual_fma_f32 v43, v144, v76, -v43
	s_delay_alu instid0(VALU_DEP_4) | instskip(NEXT) | instid1(VALU_DEP_3)
	v_add_f32_e32 v7, v7, v9
	v_dual_add_f32 v9, v39, v41 :: v_dual_fmac_f32 v15, v149, v80
	v_dual_mul_f32 v47, v149, v81 :: v_dual_mul_f32 v49, v151, v83
	s_wait_loadcnt_dscnt 0x903
	v_dual_mul_f32 v39, v161, v89 :: v_dual_fmac_f32 v13, v147, v78
	v_dual_fma_f32 v41, v146, v78, -v45 :: v_dual_add_f32 v7, v7, v11
	s_delay_alu instid0(VALU_DEP_3) | instskip(SKIP_1) | instid1(VALU_DEP_3)
	v_dual_add_f32 v9, v9, v43 :: v_dual_fma_f32 v43, v148, v80, -v47
	v_dual_mul_f32 v19, v152, v85 :: v_dual_mul_f32 v21, v154, v87
	v_add_f32_e32 v7, v7, v13
	s_delay_alu instid0(VALU_DEP_3) | instskip(SKIP_2) | instid1(VALU_DEP_3)
	v_dual_mul_f32 v11, v163, v91 :: v_dual_add_f32 v9, v9, v41
	s_wait_loadcnt_dscnt 0x802
	v_dual_mul_f32 v13, v165, v93 :: v_dual_fmac_f32 v17, v151, v82
	v_dual_fma_f32 v41, v150, v82, -v49 :: v_dual_add_f32 v7, v7, v15
	s_delay_alu instid0(VALU_DEP_3) | instskip(SKIP_1) | instid1(VALU_DEP_3)
	v_dual_add_f32 v9, v9, v43 :: v_dual_fma_f32 v43, v152, v84, -v51
	v_dual_mul_f32 v15, v167, v95 :: v_dual_fmac_f32 v19, v153, v84
	v_add_f32_e32 v7, v7, v17
	s_delay_alu instid0(VALU_DEP_3)
	v_dual_add_f32 v9, v9, v41 :: v_dual_fmac_f32 v21, v155, v86
	v_dual_mul_f32 v23, v160, v89 :: v_dual_mul_f32 v25, v162, v91
	s_wait_loadcnt_dscnt 0x701
	v_dual_fma_f32 v41, v154, v86, -v53 :: v_dual_mul_f32 v17, v169, v97
	v_add_f32_e32 v7, v7, v19
	v_dual_add_f32 v9, v9, v43 :: v_dual_fma_f32 v39, v160, v88, -v39
	v_dual_mul_f32 v19, v171, v99 :: v_dual_fmac_f32 v23, v161, v88
	s_delay_alu instid0(VALU_DEP_3) | instskip(NEXT) | instid1(VALU_DEP_3)
	v_dual_add_f32 v7, v7, v21 :: v_dual_fma_f32 v11, v162, v90, -v11
	v_dual_add_f32 v9, v9, v41 :: v_dual_fmac_f32 v25, v163, v90
	v_dual_mul_f32 v27, v164, v93 :: v_dual_mul_f32 v29, v166, v95
	s_wait_loadcnt_dscnt 0x600
	s_delay_alu instid0(VALU_DEP_3) | instskip(NEXT) | instid1(VALU_DEP_3)
	v_dual_mul_f32 v21, v173, v101 :: v_dual_add_f32 v7, v7, v23
	v_dual_add_f32 v9, v9, v39 :: v_dual_fma_f32 v13, v164, v92, -v13
	s_delay_alu instid0(VALU_DEP_3) | instskip(NEXT) | instid1(VALU_DEP_2)
	v_dual_mul_f32 v23, v175, v103 :: v_dual_fmac_f32 v27, v165, v92
	v_dual_add_f32 v7, v7, v25 :: v_dual_add_f32 v9, v9, v11
	v_dual_mul_f32 v31, v168, v97 :: v_dual_mul_f32 v33, v170, v99
	s_wait_loadcnt 0x5
	v_dual_mul_f32 v11, v157, v105 :: v_dual_fmac_f32 v29, v167, v94
	s_delay_alu instid0(VALU_DEP_3) | instskip(SKIP_2) | instid1(VALU_DEP_2)
	v_dual_fma_f32 v15, v166, v94, -v15 :: v_dual_add_f32 v7, v7, v27
	v_dual_add_f32 v9, v9, v13 :: v_dual_mul_f32 v13, v159, v107
	v_dual_fmac_f32 v31, v169, v96 :: v_dual_fma_f32 v17, v168, v96, -v17
	v_dual_add_f32 v7, v7, v29 :: v_dual_add_f32 v9, v9, v15
	v_dual_mul_f32 v35, v172, v101 :: v_dual_mul_f32 v37, v174, v103
	v_dual_fmac_f32 v33, v171, v98 :: v_dual_fma_f32 v15, v170, v98, -v19
	s_delay_alu instid0(VALU_DEP_3) | instskip(SKIP_1) | instid1(VALU_DEP_3)
	v_dual_add_f32 v7, v7, v31 :: v_dual_add_f32 v9, v9, v17
	s_wait_loadcnt 0x4
	v_dual_mov_b32 v74, v111 :: v_dual_fmac_f32 v35, v173, v100
	s_delay_alu instid0(VALU_DEP_2) | instskip(NEXT) | instid1(VALU_DEP_3)
	v_dual_fma_f32 v17, v172, v100, -v21 :: v_dual_add_f32 v7, v7, v33
	v_dual_add_f32 v9, v9, v15 :: v_dual_fmac_f32 v37, v175, v102
	v_dual_mul_f32 v187, v156, v105 :: v_dual_mul_f32 v189, v158, v107
	s_delay_alu instid0(VALU_DEP_3) | instskip(SKIP_1) | instid1(VALU_DEP_3)
	v_dual_fma_f32 v15, v174, v102, -v23 :: v_dual_add_f32 v7, v7, v35
	s_wait_loadcnt 0x3
	v_dual_add_f32 v9, v9, v17 :: v_dual_mov_b32 v78, v115
	v_pk_mul_f32 v[72:73], v[124:125], v[108:109] op_sel:[1,1] op_sel_hi:[0,1]
	s_delay_alu instid0(VALU_DEP_3) | instskip(NEXT) | instid1(VALU_DEP_3)
	v_dual_fmac_f32 v187, v157, v104 :: v_dual_add_f32 v81, v7, v37
	v_dual_fma_f32 v186, v156, v104, -v11 :: v_dual_add_f32 v80, v9, v15
	v_fmac_f32_e32 v189, v159, v106
	s_delay_alu instid0(VALU_DEP_4)
	v_pk_fma_f32 v[82:83], v[124:125], v[108:109], v[72:73] op_sel_hi:[1,0,1]
	v_fma_f32 v188, v158, v106, -v13
	v_pk_mul_f32 v[74:75], v[178:179], v[74:75] op_sel_hi:[1,0]
	v_pk_add_f32 v[80:81], v[80:81], v[186:187]
	v_pk_fma_f32 v[72:73], v[124:125], v[108:109], v[72:73] neg_lo:[0,0,1] neg_hi:[0,0,1]
	v_pk_mul_f32 v[76:77], v[128:129], v[112:113] op_sel:[1,1] op_sel_hi:[0,1]
	v_mov_b32_e32 v73, v83
	v_pk_fma_f32 v[82:83], v[126:127], v[110:111], v[74:75] op_sel_hi:[1,0,1]
	v_pk_add_f32 v[80:81], v[80:81], v[188:189]
	v_pk_fma_f32 v[74:75], v[126:127], v[110:111], v[74:75] neg_lo:[0,0,1] neg_hi:[0,0,1]
	v_pk_fma_f32 v[86:87], v[128:129], v[112:113], v[76:77] op_sel_hi:[1,0,1]
	v_pk_mul_f32 v[78:79], v[180:181], v[78:79] op_sel_hi:[1,0]
	v_mov_b32_e32 v75, v83
	v_pk_add_f32 v[72:73], v[80:81], v[72:73]
	s_wait_loadcnt 0x2
	v_pk_mul_f32 v[84:85], v[132:133], v[116:117] op_sel:[1,1] op_sel_hi:[0,1]
	v_mov_b32_e32 v80, v119
	v_pk_fma_f32 v[76:77], v[128:129], v[112:113], v[76:77] neg_lo:[0,0,1] neg_hi:[0,0,1]
	v_pk_fma_f32 v[82:83], v[130:131], v[114:115], v[78:79] op_sel_hi:[1,0,1]
	v_mov_b32_e32 v77, v87
	v_pk_add_f32 v[72:73], v[72:73], v[74:75]
	v_pk_fma_f32 v[74:75], v[132:133], v[116:117], v[84:85] op_sel_hi:[1,0,1]
	v_pk_mul_f32 v[80:81], v[182:183], v[80:81] op_sel_hi:[1,0]
	v_pk_fma_f32 v[78:79], v[130:131], v[114:115], v[78:79] neg_lo:[0,0,1] neg_hi:[0,0,1]
	v_mov_b32_e32 v79, v83
	v_pk_add_f32 v[72:73], v[72:73], v[76:77]
	v_pk_fma_f32 v[82:83], v[132:133], v[116:117], v[84:85] neg_lo:[0,0,1] neg_hi:[0,0,1]
	v_mov_b32_e32 v83, v75
	v_pk_fma_f32 v[74:75], v[134:135], v[118:119], v[80:81] op_sel_hi:[1,0,1]
	s_wait_loadcnt 0x1
	v_pk_mul_f32 v[76:77], v[136:137], v[120:121] op_sel:[1,1] op_sel_hi:[0,1]
	v_pk_add_f32 v[72:73], v[72:73], v[78:79]
	v_mov_b32_e32 v74, v123
	v_pk_fma_f32 v[80:81], v[134:135], v[118:119], v[80:81] neg_lo:[0,0,1] neg_hi:[0,0,1]
	s_delay_alu instid0(VALU_DEP_4)
	v_pk_fma_f32 v[78:79], v[136:137], v[120:121], v[76:77] op_sel_hi:[1,0,1]
	v_mov_b32_e32 v81, v75
	v_pk_add_f32 v[72:73], v[72:73], v[82:83]
	v_pk_mul_f32 v[74:75], v[184:185], v[74:75] op_sel_hi:[1,0]
	v_pk_fma_f32 v[76:77], v[136:137], v[120:121], v[76:77] neg_lo:[0,0,1] neg_hi:[0,0,1]
	v_mov_b32_e32 v77, v79
	s_delay_alu instid0(VALU_DEP_4) | instskip(NEXT) | instid1(VALU_DEP_4)
	v_pk_add_f32 v[72:73], v[72:73], v[80:81]
	v_pk_fma_f32 v[78:79], v[138:139], v[122:123], v[74:75] op_sel_hi:[1,0,1]
	v_pk_fma_f32 v[74:75], v[138:139], v[122:123], v[74:75] neg_lo:[0,0,1] neg_hi:[0,0,1]
	s_delay_alu instid0(VALU_DEP_3) | instskip(NEXT) | instid1(VALU_DEP_3)
	v_pk_add_f32 v[72:73], v[72:73], v[76:77]
	v_mov_b32_e32 v75, v79
	s_delay_alu instid0(VALU_DEP_1) | instskip(SKIP_1) | instid1(VALU_DEP_1)
	v_pk_add_f32 v[72:73], v[72:73], v[74:75]
	s_wait_loadcnt 0x0
	v_pk_add_f32 v[72:73], v[176:177], v[72:73] neg_lo:[0,1] neg_hi:[0,1]
	scratch_store_b64 off, v[72:73], off offset:64
	s_wait_xcnt 0x0
	v_cmpx_lt_u32_e32 7, v0
	s_cbranch_execz .LBB98_209
; %bb.208:
	scratch_load_b64 v[72:73], off, off offset:56
	v_mov_b64_e32 v[74:75], 0
	scratch_store_b64 off, v[74:75], off offset:56
	s_wait_loadcnt 0x0
	ds_store_b64 v1, v[72:73]
.LBB98_209:
	s_wait_xcnt 0x0
	s_or_b32 exec_lo, exec_lo, s0
	s_wait_storecnt_dscnt 0x0
	s_barrier_signal -1
	s_barrier_wait -1
	s_clause 0xe
	scratch_load_b128 v[72:75], off, off offset:64
	scratch_load_b128 v[76:79], off, off offset:80
	;; [unrolled: 1-line block ×13, first 2 shown]
	scratch_load_b64 v[176:177], off, off offset:272
	scratch_load_b64 v[178:179], off, off offset:56
	v_mov_b32_e32 v7, 0
	ds_load_b128 v[124:127], v7 offset:496
	ds_load_b128 v[128:131], v7 offset:512
	;; [unrolled: 1-line block ×13, first 2 shown]
	ds_load_b64 v[180:181], v7 offset:560
	s_mov_b32 s0, exec_lo
	s_wait_dscnt 0xd
	v_dual_mov_b32 v182, v127 :: v_dual_mov_b32 v183, v126
	s_wait_dscnt 0xa
	v_dual_mov_b32 v184, v131 :: v_dual_mov_b32 v189, v138
	v_dual_mov_b32 v185, v130 :: v_dual_mov_b32 v186, v135
	v_dual_mov_b32 v187, v134 :: v_dual_mov_b32 v188, v139
	s_wait_loadcnt_dscnt 0xe09
	v_dual_mul_f32 v9, v140, v73 :: v_dual_mul_f32 v43, v141, v73
	v_dual_mul_f32 v45, v143, v75 :: v_dual_mul_f32 v11, v142, v75
	s_wait_loadcnt_dscnt 0xd08
	v_mul_f32_e32 v13, v144, v77
	s_wait_loadcnt_dscnt 0xb05
	v_dual_mul_f32 v55, v157, v85 :: v_dual_fma_f32 v43, v140, v72, -v43
	v_dual_fmac_f32 v9, v141, v72 :: v_dual_mul_f32 v57, v159, v87
	v_dual_mul_f32 v47, v145, v77 :: v_dual_mul_f32 v49, v147, v79
	v_dual_fmac_f32 v11, v143, v74 :: v_dual_fma_f32 v45, v142, v74, -v45
	s_delay_alu instid0(VALU_DEP_3) | instskip(SKIP_4) | instid1(VALU_DEP_3)
	v_dual_add_f32 v9, 0, v9 :: v_dual_add_f32 v43, 0, v43
	v_dual_mul_f32 v15, v146, v79 :: v_dual_mul_f32 v17, v148, v81
	s_wait_loadcnt_dscnt 0xa04
	v_dual_mul_f32 v59, v161, v89 :: v_dual_fma_f32 v47, v144, v76, -v47
	v_fmac_f32_e32 v13, v145, v76
	v_dual_add_f32 v9, v9, v11 :: v_dual_fmac_f32 v15, v147, v78
	v_add_f32_e32 v11, v43, v45
	v_dual_mul_f32 v51, v149, v81 :: v_dual_mul_f32 v53, v151, v83
	v_dual_mul_f32 v43, v163, v91 :: v_dual_fma_f32 v45, v146, v78, -v49
	s_delay_alu instid0(VALU_DEP_3) | instskip(SKIP_3) | instid1(VALU_DEP_3)
	v_dual_add_f32 v9, v9, v13 :: v_dual_add_f32 v11, v11, v47
	v_dual_mul_f32 v19, v150, v83 :: v_dual_mul_f32 v21, v156, v85
	s_wait_loadcnt_dscnt 0x903
	v_dual_mul_f32 v13, v165, v93 :: v_dual_fma_f32 v47, v148, v80, -v51
	v_dual_fmac_f32 v17, v149, v80 :: v_dual_add_f32 v11, v11, v45
	s_delay_alu instid0(VALU_DEP_3) | instskip(SKIP_1) | instid1(VALU_DEP_2)
	v_dual_add_f32 v9, v9, v15 :: v_dual_fmac_f32 v19, v151, v82
	v_dual_mul_f32 v15, v167, v95 :: v_dual_fma_f32 v45, v150, v82, -v53
	v_dual_add_f32 v11, v11, v47 :: v_dual_add_f32 v9, v9, v17
	v_dual_mul_f32 v23, v158, v87 :: v_dual_mul_f32 v25, v160, v89
	s_wait_loadcnt_dscnt 0x802
	v_dual_mul_f32 v17, v169, v97 :: v_dual_fma_f32 v47, v156, v84, -v55
	s_delay_alu instid0(VALU_DEP_3) | instskip(NEXT) | instid1(VALU_DEP_3)
	v_dual_fmac_f32 v21, v157, v84 :: v_dual_add_f32 v11, v11, v45
	v_dual_add_f32 v9, v9, v19 :: v_dual_fmac_f32 v23, v159, v86
	v_dual_mul_f32 v19, v171, v99 :: v_dual_fma_f32 v45, v158, v86, -v57
	s_delay_alu instid0(VALU_DEP_2) | instskip(SKIP_3) | instid1(VALU_DEP_3)
	v_dual_add_f32 v11, v11, v47 :: v_dual_add_f32 v9, v9, v21
	v_dual_mul_f32 v27, v162, v91 :: v_dual_mul_f32 v29, v164, v93
	s_wait_loadcnt_dscnt 0x701
	v_dual_mul_f32 v21, v173, v101 :: v_dual_fma_f32 v47, v160, v88, -v59
	v_dual_fmac_f32 v25, v161, v88 :: v_dual_add_f32 v11, v11, v45
	s_delay_alu instid0(VALU_DEP_3) | instskip(SKIP_1) | instid1(VALU_DEP_2)
	v_dual_add_f32 v9, v9, v23 :: v_dual_fmac_f32 v27, v163, v90
	v_dual_mul_f32 v23, v175, v103 :: v_dual_fma_f32 v43, v162, v90, -v43
	v_dual_add_f32 v11, v11, v47 :: v_dual_add_f32 v9, v9, v25
	v_dual_mul_f32 v31, v166, v95 :: v_dual_mul_f32 v33, v168, v97
	s_wait_loadcnt 0x6
	v_dual_mul_f32 v25, v153, v105 :: v_dual_fma_f32 v13, v164, v92, -v13
	s_delay_alu instid0(VALU_DEP_3) | instskip(NEXT) | instid1(VALU_DEP_3)
	v_dual_fmac_f32 v29, v165, v92 :: v_dual_add_f32 v11, v11, v43
	v_dual_add_f32 v9, v9, v27 :: v_dual_fmac_f32 v31, v167, v94
	v_dual_mul_f32 v27, v155, v107 :: v_dual_fma_f32 v15, v166, v94, -v15
	s_delay_alu instid0(VALU_DEP_3) | instskip(NEXT) | instid1(VALU_DEP_3)
	v_dual_add_f32 v11, v11, v13 :: v_dual_fmac_f32 v33, v169, v96
	v_dual_add_f32 v9, v9, v29 :: v_dual_fma_f32 v17, v168, v96, -v17
	v_dual_mul_f32 v35, v170, v99 :: v_dual_mul_f32 v37, v172, v101
	s_wait_loadcnt 0x5
	s_delay_alu instid0(VALU_DEP_3) | instskip(NEXT) | instid1(VALU_DEP_3)
	v_dual_mul_f32 v13, v125, v109 :: v_dual_add_f32 v11, v11, v15
	v_dual_add_f32 v9, v9, v31 :: v_dual_mov_b32 v72, v111
	s_delay_alu instid0(VALU_DEP_3) | instskip(NEXT) | instid1(VALU_DEP_3)
	v_fmac_f32_e32 v35, v171, v98
	v_dual_fma_f32 v15, v170, v98, -v19 :: v_dual_add_f32 v11, v11, v17
	s_delay_alu instid0(VALU_DEP_3) | instskip(SKIP_1) | instid1(VALU_DEP_3)
	v_dual_add_f32 v9, v9, v33 :: v_dual_mul_f32 v39, v174, v103
	v_dual_mul_f32 v41, v152, v105 :: v_dual_fmac_f32 v37, v173, v100
	v_dual_add_f32 v11, v11, v15 :: v_dual_fma_f32 v17, v172, v100, -v21
	s_wait_loadcnt 0x4
	s_delay_alu instid0(VALU_DEP_3) | instskip(SKIP_3) | instid1(VALU_DEP_4)
	v_dual_add_f32 v9, v9, v35 :: v_dual_mov_b32 v76, v115
	v_fma_f32 v15, v174, v102, -v23
	v_fmac_f32_e32 v39, v175, v102
	v_dual_add_f32 v11, v11, v17 :: v_dual_fmac_f32 v41, v153, v104
	v_dual_add_f32 v9, v9, v37 :: v_dual_mul_f32 v191, v154, v107
	v_mul_f32_e32 v193, v124, v109
	s_delay_alu instid0(VALU_DEP_3) | instskip(NEXT) | instid1(VALU_DEP_3)
	v_dual_fma_f32 v17, v152, v104, -v25 :: v_dual_add_f32 v11, v11, v15
	v_dual_fma_f32 v190, v154, v106, -v27 :: v_dual_add_f32 v9, v9, v39
	s_delay_alu instid0(VALU_DEP_4) | instskip(SKIP_1) | instid1(VALU_DEP_4)
	v_fmac_f32_e32 v191, v155, v106
	v_pk_mul_f32 v[72:73], v[182:183], v[72:73] op_sel_hi:[1,0]
	v_dual_add_f32 v80, v11, v17 :: v_dual_fmac_f32 v193, v125, v108
	s_delay_alu instid0(VALU_DEP_4)
	v_add_f32_e32 v81, v9, v41
	v_pk_mul_f32 v[74:75], v[128:129], v[112:113] op_sel:[1,1] op_sel_hi:[0,1]
	s_wait_loadcnt 0x3
	v_dual_mov_b32 v82, v119 :: v_dual_fma_f32 v192, v124, v108, -v13
	v_pk_fma_f32 v[84:85], v[126:127], v[110:111], v[72:73] op_sel_hi:[1,0,1]
	v_pk_add_f32 v[80:81], v[80:81], v[190:191]
	v_pk_fma_f32 v[72:73], v[126:127], v[110:111], v[72:73] neg_lo:[0,0,1] neg_hi:[0,0,1]
	v_pk_fma_f32 v[86:87], v[128:129], v[112:113], v[74:75] op_sel_hi:[1,0,1]
	v_pk_mul_f32 v[76:77], v[184:185], v[76:77] op_sel_hi:[1,0]
	v_mov_b32_e32 v73, v85
	v_pk_add_f32 v[80:81], v[80:81], v[192:193]
	v_pk_fma_f32 v[74:75], v[128:129], v[112:113], v[74:75] neg_lo:[0,0,1] neg_hi:[0,0,1]
	v_pk_mul_f32 v[78:79], v[132:133], v[116:117] op_sel:[1,1] op_sel_hi:[0,1]
	v_mov_b32_e32 v75, v87
	v_pk_fma_f32 v[86:87], v[130:131], v[114:115], v[76:77] op_sel_hi:[1,0,1]
	v_pk_add_f32 v[72:73], v[80:81], v[72:73]
	v_pk_fma_f32 v[76:77], v[130:131], v[114:115], v[76:77] neg_lo:[0,0,1] neg_hi:[0,0,1]
	v_pk_fma_f32 v[80:81], v[132:133], v[116:117], v[78:79] op_sel_hi:[1,0,1]
	v_pk_mul_f32 v[82:83], v[186:187], v[82:83] op_sel_hi:[1,0]
	v_mov_b32_e32 v77, v87
	v_pk_add_f32 v[72:73], v[72:73], v[74:75]
	v_pk_fma_f32 v[78:79], v[132:133], v[116:117], v[78:79] neg_lo:[0,0,1] neg_hi:[0,0,1]
	s_wait_loadcnt 0x2
	v_pk_mul_f32 v[84:85], v[136:137], v[120:121] op_sel:[1,1] op_sel_hi:[0,1]
	v_dual_mov_b32 v74, v123 :: v_dual_mov_b32 v79, v81
	v_pk_fma_f32 v[80:81], v[134:135], v[118:119], v[82:83] op_sel_hi:[1,0,1]
	v_pk_add_f32 v[72:73], v[72:73], v[76:77]
	v_pk_fma_f32 v[82:83], v[134:135], v[118:119], v[82:83] neg_lo:[0,0,1] neg_hi:[0,0,1]
	v_pk_fma_f32 v[76:77], v[136:137], v[120:121], v[84:85] op_sel_hi:[1,0,1]
	v_pk_mul_f32 v[74:75], v[188:189], v[74:75] op_sel_hi:[1,0]
	v_mov_b32_e32 v83, v81
	v_pk_add_f32 v[72:73], v[72:73], v[78:79]
	v_pk_fma_f32 v[78:79], v[136:137], v[120:121], v[84:85] neg_lo:[0,0,1] neg_hi:[0,0,1]
	v_mov_b32_e32 v79, v77
	v_pk_fma_f32 v[76:77], v[138:139], v[122:123], v[74:75] op_sel_hi:[1,0,1]
	s_wait_loadcnt_dscnt 0x100
	v_pk_mul_f32 v[80:81], v[180:181], v[176:177] op_sel:[1,1] op_sel_hi:[0,1]
	v_pk_add_f32 v[72:73], v[72:73], v[82:83]
	v_pk_fma_f32 v[74:75], v[138:139], v[122:123], v[74:75] neg_lo:[0,0,1] neg_hi:[0,0,1]
	v_mov_b32_e32 v75, v77
	s_delay_alu instid0(VALU_DEP_4) | instskip(NEXT) | instid1(VALU_DEP_4)
	v_pk_fma_f32 v[76:77], v[180:181], v[176:177], v[80:81] op_sel_hi:[1,0,1]
	v_pk_add_f32 v[72:73], v[72:73], v[78:79]
	v_pk_fma_f32 v[78:79], v[180:181], v[176:177], v[80:81] neg_lo:[0,0,1] neg_hi:[0,0,1]
	s_delay_alu instid0(VALU_DEP_3) | instskip(NEXT) | instid1(VALU_DEP_3)
	v_mov_b32_e32 v79, v77
	v_pk_add_f32 v[72:73], v[72:73], v[74:75]
	s_delay_alu instid0(VALU_DEP_1) | instskip(SKIP_1) | instid1(VALU_DEP_1)
	v_pk_add_f32 v[72:73], v[72:73], v[78:79]
	s_wait_loadcnt 0x0
	v_pk_add_f32 v[72:73], v[178:179], v[72:73] neg_lo:[0,1] neg_hi:[0,1]
	scratch_store_b64 off, v[72:73], off offset:56
	s_wait_xcnt 0x0
	v_cmpx_lt_u32_e32 6, v0
	s_cbranch_execz .LBB98_211
; %bb.210:
	scratch_load_b64 v[72:73], off, off offset:48
	v_mov_b64_e32 v[74:75], 0
	scratch_store_b64 off, v[74:75], off offset:48
	s_wait_loadcnt 0x0
	ds_store_b64 v1, v[72:73]
.LBB98_211:
	s_wait_xcnt 0x0
	s_or_b32 exec_lo, exec_lo, s0
	s_wait_storecnt_dscnt 0x0
	s_barrier_signal -1
	s_barrier_wait -1
	s_clause 0xe
	scratch_load_b128 v[72:75], off, off offset:56
	scratch_load_b128 v[76:79], off, off offset:72
	;; [unrolled: 1-line block ×14, first 2 shown]
	scratch_load_b64 v[184:185], off, off offset:48
	ds_load_2addr_b64 v[128:131], v7 offset0:63 offset1:64
	ds_load_2addr_b64 v[132:135], v7 offset0:65 offset1:66
	ds_load_2addr_b64 v[136:139], v7 offset0:67 offset1:68
	ds_load_2addr_b64 v[140:143], v7 offset0:69 offset1:70
	ds_load_2addr_b64 v[144:147], v7 offset0:43 offset1:44
	ds_load_2addr_b64 v[148:151], v7 offset0:45 offset1:46
	ds_load_2addr_b64 v[152:155], v7 offset0:47 offset1:48
	ds_load_2addr_b64 v[156:159], v7 offset0:49 offset1:50
	ds_load_2addr_b64 v[160:163], v7 offset0:51 offset1:52
	ds_load_2addr_b64 v[164:167], v7 offset0:53 offset1:54
	ds_load_2addr_b64 v[168:171], v7 offset0:55 offset1:56
	ds_load_2addr_b64 v[172:175], v7 offset0:57 offset1:58
	ds_load_2addr_b64 v[176:179], v7 offset0:59 offset1:60
	ds_load_2addr_b64 v[180:183], v7 offset0:61 offset1:62
	s_mov_b32 s0, exec_lo
	s_wait_dscnt 0xd
	v_dual_mov_b32 v186, v131 :: v_dual_mov_b32 v187, v130
	s_wait_dscnt 0xc
	v_dual_mov_b32 v188, v135 :: v_dual_mov_b32 v189, v134
	;; [unrolled: 2-line block ×4, first 2 shown]
	s_wait_loadcnt_dscnt 0xe09
	v_dual_mul_f32 v7, v144, v73 :: v_dual_mul_f32 v9, v146, v75
	v_dual_mul_f32 v43, v145, v73 :: v_dual_mul_f32 v45, v147, v75
	s_wait_loadcnt_dscnt 0xd08
	v_dual_mul_f32 v11, v148, v77 :: v_dual_mul_f32 v13, v150, v79
	s_delay_alu instid0(VALU_DEP_3) | instskip(SKIP_3) | instid1(VALU_DEP_3)
	v_dual_fmac_f32 v7, v145, v72 :: v_dual_fmac_f32 v9, v147, v74
	s_wait_loadcnt_dscnt 0xb06
	v_dual_fma_f32 v43, v144, v72, -v43 :: v_dual_mul_f32 v55, v157, v85
	v_dual_mul_f32 v47, v149, v77 :: v_dual_mul_f32 v49, v151, v79
	v_dual_fma_f32 v45, v146, v74, -v45 :: v_dual_add_f32 v7, 0, v7
	s_delay_alu instid0(VALU_DEP_3) | instskip(SKIP_1) | instid1(VALU_DEP_4)
	v_dual_add_f32 v43, 0, v43 :: v_dual_fmac_f32 v11, v149, v76
	v_dual_mul_f32 v15, v152, v81 :: v_dual_mul_f32 v17, v154, v83
	v_dual_mul_f32 v57, v159, v87 :: v_dual_fma_f32 v47, v148, v76, -v47
	s_delay_alu instid0(VALU_DEP_4) | instskip(NEXT) | instid1(VALU_DEP_3)
	v_add_f32_e32 v7, v7, v9
	v_dual_add_f32 v9, v43, v45 :: v_dual_fmac_f32 v15, v153, v80
	v_dual_mul_f32 v51, v153, v81 :: v_dual_mul_f32 v53, v155, v83
	s_wait_loadcnt_dscnt 0xa05
	v_dual_mul_f32 v43, v161, v89 :: v_dual_fmac_f32 v13, v151, v78
	v_dual_fma_f32 v45, v150, v78, -v49 :: v_dual_add_f32 v7, v7, v11
	s_delay_alu instid0(VALU_DEP_3) | instskip(SKIP_1) | instid1(VALU_DEP_3)
	v_dual_add_f32 v9, v9, v47 :: v_dual_fma_f32 v47, v152, v80, -v51
	v_dual_mul_f32 v19, v156, v85 :: v_dual_mul_f32 v21, v158, v87
	v_add_f32_e32 v7, v7, v13
	s_delay_alu instid0(VALU_DEP_3) | instskip(SKIP_2) | instid1(VALU_DEP_3)
	v_dual_mul_f32 v11, v163, v91 :: v_dual_add_f32 v9, v9, v45
	s_wait_loadcnt_dscnt 0x904
	v_dual_mul_f32 v13, v165, v93 :: v_dual_fmac_f32 v17, v155, v82
	v_dual_fma_f32 v45, v154, v82, -v53 :: v_dual_add_f32 v7, v7, v15
	s_delay_alu instid0(VALU_DEP_3) | instskip(SKIP_1) | instid1(VALU_DEP_3)
	v_dual_add_f32 v9, v9, v47 :: v_dual_fma_f32 v47, v156, v84, -v55
	v_dual_mul_f32 v15, v167, v95 :: v_dual_fmac_f32 v19, v157, v84
	v_add_f32_e32 v7, v7, v17
	s_delay_alu instid0(VALU_DEP_3)
	v_dual_add_f32 v9, v9, v45 :: v_dual_fmac_f32 v21, v159, v86
	v_dual_mul_f32 v23, v160, v89 :: v_dual_mul_f32 v25, v162, v91
	s_wait_loadcnt_dscnt 0x803
	v_dual_fma_f32 v45, v158, v86, -v57 :: v_dual_mul_f32 v17, v169, v97
	v_add_f32_e32 v7, v7, v19
	v_dual_add_f32 v9, v9, v47 :: v_dual_fma_f32 v43, v160, v88, -v43
	v_dual_mul_f32 v19, v171, v99 :: v_dual_fmac_f32 v23, v161, v88
	s_delay_alu instid0(VALU_DEP_3) | instskip(NEXT) | instid1(VALU_DEP_3)
	v_dual_add_f32 v7, v7, v21 :: v_dual_fma_f32 v11, v162, v90, -v11
	v_dual_add_f32 v9, v9, v45 :: v_dual_fmac_f32 v25, v163, v90
	v_dual_mul_f32 v27, v164, v93 :: v_dual_mul_f32 v29, v166, v95
	s_wait_loadcnt_dscnt 0x702
	s_delay_alu instid0(VALU_DEP_3) | instskip(NEXT) | instid1(VALU_DEP_3)
	v_dual_mul_f32 v21, v173, v101 :: v_dual_add_f32 v7, v7, v23
	v_dual_add_f32 v9, v9, v43 :: v_dual_fma_f32 v13, v164, v92, -v13
	s_delay_alu instid0(VALU_DEP_3) | instskip(NEXT) | instid1(VALU_DEP_2)
	v_dual_mul_f32 v23, v175, v103 :: v_dual_fmac_f32 v27, v165, v92
	v_dual_add_f32 v7, v7, v25 :: v_dual_add_f32 v9, v9, v11
	v_dual_mul_f32 v31, v168, v97 :: v_dual_mul_f32 v33, v170, v99
	s_wait_loadcnt_dscnt 0x601
	v_dual_mul_f32 v11, v177, v105 :: v_dual_fmac_f32 v29, v167, v94
	s_delay_alu instid0(VALU_DEP_3) | instskip(SKIP_2) | instid1(VALU_DEP_2)
	v_dual_fma_f32 v15, v166, v94, -v15 :: v_dual_add_f32 v7, v7, v27
	v_dual_add_f32 v9, v9, v13 :: v_dual_mul_f32 v13, v179, v107
	v_dual_fmac_f32 v31, v169, v96 :: v_dual_fma_f32 v17, v168, v96, -v17
	v_dual_add_f32 v7, v7, v29 :: v_dual_add_f32 v9, v9, v15
	v_dual_mul_f32 v35, v172, v101 :: v_dual_mul_f32 v37, v174, v103
	s_wait_loadcnt_dscnt 0x500
	v_dual_mul_f32 v15, v181, v109 :: v_dual_fmac_f32 v33, v171, v98
	s_delay_alu instid0(VALU_DEP_3) | instskip(SKIP_2) | instid1(VALU_DEP_2)
	v_dual_fma_f32 v19, v170, v98, -v19 :: v_dual_add_f32 v7, v7, v31
	v_dual_add_f32 v9, v9, v17 :: v_dual_mul_f32 v17, v183, v111
	v_dual_fmac_f32 v35, v173, v100 :: v_dual_fma_f32 v21, v172, v100, -v21
	v_dual_add_f32 v7, v7, v33 :: v_dual_add_f32 v9, v9, v19
	v_dual_mul_f32 v39, v176, v105 :: v_dual_mul_f32 v41, v178, v107
	v_dual_fmac_f32 v37, v175, v102 :: v_dual_fma_f32 v19, v174, v102, -v23
	s_delay_alu instid0(VALU_DEP_3) | instskip(SKIP_1) | instid1(VALU_DEP_3)
	v_dual_add_f32 v7, v7, v35 :: v_dual_add_f32 v9, v9, v21
	s_wait_loadcnt 0x4
	v_dual_mov_b32 v74, v115 :: v_dual_fmac_f32 v39, v177, v104
	s_delay_alu instid0(VALU_DEP_2) | instskip(NEXT) | instid1(VALU_DEP_3)
	v_dual_fma_f32 v11, v176, v104, -v11 :: v_dual_add_f32 v7, v7, v37
	v_dual_add_f32 v9, v9, v19 :: v_dual_fmac_f32 v41, v179, v106
	v_dual_mul_f32 v195, v180, v109 :: v_dual_mul_f32 v197, v182, v111
	s_delay_alu instid0(VALU_DEP_3) | instskip(SKIP_1) | instid1(VALU_DEP_3)
	v_dual_fma_f32 v13, v178, v106, -v13 :: v_dual_add_f32 v7, v7, v39
	s_wait_loadcnt 0x3
	v_dual_add_f32 v9, v9, v11 :: v_dual_mov_b32 v78, v119
	v_pk_mul_f32 v[72:73], v[128:129], v[112:113] op_sel:[1,1] op_sel_hi:[0,1]
	s_delay_alu instid0(VALU_DEP_3) | instskip(NEXT) | instid1(VALU_DEP_3)
	v_dual_fmac_f32 v195, v181, v108 :: v_dual_add_f32 v81, v7, v41
	v_dual_fma_f32 v194, v180, v108, -v15 :: v_dual_add_f32 v80, v9, v13
	v_fmac_f32_e32 v197, v183, v110
	s_delay_alu instid0(VALU_DEP_4)
	v_pk_fma_f32 v[82:83], v[128:129], v[112:113], v[72:73] op_sel_hi:[1,0,1]
	v_fma_f32 v196, v182, v110, -v17
	v_pk_mul_f32 v[74:75], v[186:187], v[74:75] op_sel_hi:[1,0]
	v_pk_add_f32 v[80:81], v[80:81], v[194:195]
	v_pk_fma_f32 v[72:73], v[128:129], v[112:113], v[72:73] neg_lo:[0,0,1] neg_hi:[0,0,1]
	v_pk_mul_f32 v[76:77], v[132:133], v[116:117] op_sel:[1,1] op_sel_hi:[0,1]
	v_mov_b32_e32 v73, v83
	v_pk_fma_f32 v[82:83], v[130:131], v[114:115], v[74:75] op_sel_hi:[1,0,1]
	v_pk_add_f32 v[80:81], v[80:81], v[196:197]
	v_pk_fma_f32 v[74:75], v[130:131], v[114:115], v[74:75] neg_lo:[0,0,1] neg_hi:[0,0,1]
	v_pk_fma_f32 v[86:87], v[132:133], v[116:117], v[76:77] op_sel_hi:[1,0,1]
	v_pk_mul_f32 v[78:79], v[188:189], v[78:79] op_sel_hi:[1,0]
	v_mov_b32_e32 v75, v83
	v_pk_add_f32 v[72:73], v[80:81], v[72:73]
	s_wait_loadcnt 0x2
	v_pk_mul_f32 v[84:85], v[136:137], v[120:121] op_sel:[1,1] op_sel_hi:[0,1]
	v_mov_b32_e32 v80, v123
	v_pk_fma_f32 v[76:77], v[132:133], v[116:117], v[76:77] neg_lo:[0,0,1] neg_hi:[0,0,1]
	v_pk_fma_f32 v[82:83], v[134:135], v[118:119], v[78:79] op_sel_hi:[1,0,1]
	v_mov_b32_e32 v77, v87
	v_pk_add_f32 v[72:73], v[72:73], v[74:75]
	v_pk_fma_f32 v[74:75], v[136:137], v[120:121], v[84:85] op_sel_hi:[1,0,1]
	v_pk_mul_f32 v[80:81], v[190:191], v[80:81] op_sel_hi:[1,0]
	v_pk_fma_f32 v[78:79], v[134:135], v[118:119], v[78:79] neg_lo:[0,0,1] neg_hi:[0,0,1]
	v_mov_b32_e32 v79, v83
	v_pk_add_f32 v[72:73], v[72:73], v[76:77]
	v_pk_fma_f32 v[82:83], v[136:137], v[120:121], v[84:85] neg_lo:[0,0,1] neg_hi:[0,0,1]
	v_mov_b32_e32 v83, v75
	v_pk_fma_f32 v[74:75], v[138:139], v[122:123], v[80:81] op_sel_hi:[1,0,1]
	s_wait_loadcnt 0x1
	v_pk_mul_f32 v[76:77], v[140:141], v[124:125] op_sel:[1,1] op_sel_hi:[0,1]
	v_pk_add_f32 v[72:73], v[72:73], v[78:79]
	v_mov_b32_e32 v74, v127
	v_pk_fma_f32 v[80:81], v[138:139], v[122:123], v[80:81] neg_lo:[0,0,1] neg_hi:[0,0,1]
	s_delay_alu instid0(VALU_DEP_4)
	v_pk_fma_f32 v[78:79], v[140:141], v[124:125], v[76:77] op_sel_hi:[1,0,1]
	v_mov_b32_e32 v81, v75
	v_pk_add_f32 v[72:73], v[72:73], v[82:83]
	v_pk_mul_f32 v[74:75], v[192:193], v[74:75] op_sel_hi:[1,0]
	v_pk_fma_f32 v[76:77], v[140:141], v[124:125], v[76:77] neg_lo:[0,0,1] neg_hi:[0,0,1]
	v_mov_b32_e32 v77, v79
	s_delay_alu instid0(VALU_DEP_4) | instskip(NEXT) | instid1(VALU_DEP_4)
	v_pk_add_f32 v[72:73], v[72:73], v[80:81]
	v_pk_fma_f32 v[78:79], v[142:143], v[126:127], v[74:75] op_sel_hi:[1,0,1]
	v_pk_fma_f32 v[74:75], v[142:143], v[126:127], v[74:75] neg_lo:[0,0,1] neg_hi:[0,0,1]
	s_delay_alu instid0(VALU_DEP_3) | instskip(NEXT) | instid1(VALU_DEP_3)
	v_pk_add_f32 v[72:73], v[72:73], v[76:77]
	v_mov_b32_e32 v75, v79
	s_delay_alu instid0(VALU_DEP_1) | instskip(SKIP_1) | instid1(VALU_DEP_1)
	v_pk_add_f32 v[72:73], v[72:73], v[74:75]
	s_wait_loadcnt 0x0
	v_pk_add_f32 v[72:73], v[184:185], v[72:73] neg_lo:[0,1] neg_hi:[0,1]
	scratch_store_b64 off, v[72:73], off offset:48
	s_wait_xcnt 0x0
	v_cmpx_lt_u32_e32 5, v0
	s_cbranch_execz .LBB98_213
; %bb.212:
	scratch_load_b64 v[72:73], off, off offset:40
	v_mov_b64_e32 v[74:75], 0
	scratch_store_b64 off, v[74:75], off offset:40
	s_wait_loadcnt 0x0
	ds_store_b64 v1, v[72:73]
.LBB98_213:
	s_wait_xcnt 0x0
	s_or_b32 exec_lo, exec_lo, s0
	s_wait_storecnt_dscnt 0x0
	s_barrier_signal -1
	s_barrier_wait -1
	s_clause 0xf
	scratch_load_b128 v[72:75], off, off offset:48
	scratch_load_b128 v[76:79], off, off offset:64
	;; [unrolled: 1-line block ×14, first 2 shown]
	scratch_load_b64 v[184:185], off, off offset:272
	scratch_load_b64 v[186:187], off, off offset:40
	v_mov_b32_e32 v7, 0
	ds_load_b128 v[128:131], v7 offset:496
	ds_load_b128 v[132:135], v7 offset:512
	ds_load_b128 v[136:139], v7 offset:528
	ds_load_b128 v[140:143], v7 offset:544
	ds_load_b128 v[144:147], v7 offset:336
	ds_load_b128 v[148:151], v7 offset:352
	ds_load_b128 v[152:155], v7 offset:368
	ds_load_b128 v[156:159], v7 offset:384
	ds_load_b128 v[160:163], v7 offset:400
	ds_load_b128 v[164:167], v7 offset:416
	ds_load_b128 v[168:171], v7 offset:432
	ds_load_b128 v[172:175], v7 offset:448
	ds_load_b128 v[176:179], v7 offset:464
	ds_load_b128 v[180:183], v7 offset:480
	ds_load_b64 v[188:189], v7 offset:560
	s_mov_b32 s0, exec_lo
	s_wait_dscnt 0xe
	v_dual_mov_b32 v190, v131 :: v_dual_mov_b32 v191, v130
	s_wait_dscnt 0xb
	v_dual_mov_b32 v192, v135 :: v_dual_mov_b32 v197, v142
	v_dual_mov_b32 v193, v134 :: v_dual_mov_b32 v194, v139
	;; [unrolled: 1-line block ×3, first 2 shown]
	s_wait_loadcnt_dscnt 0xf0a
	v_dual_mul_f32 v9, v144, v73 :: v_dual_mul_f32 v47, v145, v73
	v_dual_mul_f32 v49, v147, v75 :: v_dual_mul_f32 v11, v146, v75
	s_wait_loadcnt_dscnt 0xe09
	v_mul_f32_e32 v13, v148, v77
	s_wait_loadcnt_dscnt 0xc07
	v_dual_mul_f32 v59, v157, v85 :: v_dual_fma_f32 v47, v144, v72, -v47
	v_dual_fmac_f32 v9, v145, v72 :: v_dual_mul_f32 v61, v159, v87
	v_dual_mul_f32 v51, v149, v77 :: v_dual_mul_f32 v53, v151, v79
	v_dual_fmac_f32 v11, v147, v74 :: v_dual_fma_f32 v49, v146, v74, -v49
	s_delay_alu instid0(VALU_DEP_3) | instskip(SKIP_4) | instid1(VALU_DEP_3)
	v_dual_add_f32 v9, 0, v9 :: v_dual_add_f32 v47, 0, v47
	v_dual_mul_f32 v15, v150, v79 :: v_dual_mul_f32 v17, v152, v81
	s_wait_loadcnt_dscnt 0xb06
	v_dual_mul_f32 v63, v161, v89 :: v_dual_fma_f32 v51, v148, v76, -v51
	v_fmac_f32_e32 v13, v149, v76
	v_dual_add_f32 v9, v9, v11 :: v_dual_fmac_f32 v15, v151, v78
	v_add_f32_e32 v11, v47, v49
	v_dual_mul_f32 v55, v153, v81 :: v_dual_mul_f32 v57, v155, v83
	v_dual_mul_f32 v47, v163, v91 :: v_dual_fma_f32 v49, v150, v78, -v53
	s_delay_alu instid0(VALU_DEP_3) | instskip(SKIP_3) | instid1(VALU_DEP_3)
	v_dual_add_f32 v9, v9, v13 :: v_dual_add_f32 v11, v11, v51
	v_dual_mul_f32 v19, v154, v83 :: v_dual_mul_f32 v21, v156, v85
	s_wait_loadcnt_dscnt 0xa05
	v_dual_mul_f32 v13, v165, v93 :: v_dual_fma_f32 v51, v152, v80, -v55
	v_dual_fmac_f32 v17, v153, v80 :: v_dual_add_f32 v11, v11, v49
	s_delay_alu instid0(VALU_DEP_3) | instskip(SKIP_1) | instid1(VALU_DEP_2)
	v_dual_add_f32 v9, v9, v15 :: v_dual_fmac_f32 v19, v155, v82
	v_dual_mul_f32 v15, v167, v95 :: v_dual_fma_f32 v49, v154, v82, -v57
	v_dual_add_f32 v11, v11, v51 :: v_dual_add_f32 v9, v9, v17
	v_dual_mul_f32 v23, v158, v87 :: v_dual_mul_f32 v25, v160, v89
	s_wait_loadcnt_dscnt 0x904
	v_dual_mul_f32 v17, v169, v97 :: v_dual_fma_f32 v51, v156, v84, -v59
	s_delay_alu instid0(VALU_DEP_3) | instskip(NEXT) | instid1(VALU_DEP_3)
	v_dual_fmac_f32 v21, v157, v84 :: v_dual_add_f32 v11, v11, v49
	v_dual_add_f32 v9, v9, v19 :: v_dual_fmac_f32 v23, v159, v86
	v_dual_mul_f32 v19, v171, v99 :: v_dual_fma_f32 v49, v158, v86, -v61
	s_delay_alu instid0(VALU_DEP_2) | instskip(SKIP_3) | instid1(VALU_DEP_3)
	v_dual_add_f32 v11, v11, v51 :: v_dual_add_f32 v9, v9, v21
	v_dual_mul_f32 v27, v162, v91 :: v_dual_mul_f32 v29, v164, v93
	s_wait_loadcnt_dscnt 0x803
	v_dual_mul_f32 v21, v173, v101 :: v_dual_fma_f32 v51, v160, v88, -v63
	v_dual_fmac_f32 v25, v161, v88 :: v_dual_add_f32 v11, v11, v49
	s_delay_alu instid0(VALU_DEP_3) | instskip(SKIP_1) | instid1(VALU_DEP_2)
	v_dual_add_f32 v9, v9, v23 :: v_dual_fmac_f32 v27, v163, v90
	v_dual_mul_f32 v23, v175, v103 :: v_dual_fma_f32 v47, v162, v90, -v47
	v_dual_add_f32 v11, v11, v51 :: v_dual_add_f32 v9, v9, v25
	v_dual_mul_f32 v31, v166, v95 :: v_dual_mul_f32 v33, v168, v97
	s_wait_loadcnt_dscnt 0x702
	v_dual_mul_f32 v25, v177, v105 :: v_dual_fma_f32 v13, v164, v92, -v13
	s_delay_alu instid0(VALU_DEP_3) | instskip(NEXT) | instid1(VALU_DEP_3)
	v_dual_fmac_f32 v29, v165, v92 :: v_dual_add_f32 v11, v11, v47
	v_dual_add_f32 v9, v9, v27 :: v_dual_fmac_f32 v31, v167, v94
	v_dual_mul_f32 v27, v179, v107 :: v_dual_fma_f32 v15, v166, v94, -v15
	s_delay_alu instid0(VALU_DEP_3) | instskip(NEXT) | instid1(VALU_DEP_3)
	v_dual_add_f32 v11, v11, v13 :: v_dual_fmac_f32 v33, v169, v96
	v_dual_add_f32 v9, v9, v29 :: v_dual_fma_f32 v17, v168, v96, -v17
	v_dual_mul_f32 v35, v170, v99 :: v_dual_mul_f32 v37, v172, v101
	s_wait_loadcnt_dscnt 0x601
	s_delay_alu instid0(VALU_DEP_3) | instskip(NEXT) | instid1(VALU_DEP_2)
	v_dual_mul_f32 v13, v181, v109 :: v_dual_add_f32 v11, v11, v15
	v_dual_add_f32 v9, v9, v31 :: v_dual_fmac_f32 v35, v171, v98
	v_dual_mul_f32 v15, v183, v111 :: v_dual_fma_f32 v19, v170, v98, -v19
	s_delay_alu instid0(VALU_DEP_3) | instskip(NEXT) | instid1(VALU_DEP_3)
	v_dual_add_f32 v11, v11, v17 :: v_dual_fmac_f32 v37, v173, v100
	v_dual_add_f32 v9, v9, v33 :: v_dual_fma_f32 v21, v172, v100, -v21
	v_dual_mul_f32 v39, v174, v103 :: v_dual_mul_f32 v41, v176, v105
	s_wait_loadcnt 0x5
	s_delay_alu instid0(VALU_DEP_3) | instskip(NEXT) | instid1(VALU_DEP_3)
	v_dual_mul_f32 v17, v129, v113 :: v_dual_add_f32 v11, v11, v19
	v_dual_add_f32 v9, v9, v35 :: v_dual_mov_b32 v72, v115
	s_delay_alu instid0(VALU_DEP_3) | instskip(NEXT) | instid1(VALU_DEP_3)
	v_fmac_f32_e32 v39, v175, v102
	v_dual_fma_f32 v19, v174, v102, -v23 :: v_dual_add_f32 v11, v11, v21
	s_delay_alu instid0(VALU_DEP_3) | instskip(SKIP_1) | instid1(VALU_DEP_3)
	v_dual_add_f32 v9, v9, v37 :: v_dual_mul_f32 v43, v178, v107
	v_dual_mul_f32 v45, v180, v109 :: v_dual_fmac_f32 v41, v177, v104
	v_dual_add_f32 v11, v11, v19 :: v_dual_fma_f32 v21, v176, v104, -v25
	s_wait_loadcnt 0x4
	s_delay_alu instid0(VALU_DEP_3) | instskip(SKIP_3) | instid1(VALU_DEP_4)
	v_dual_add_f32 v9, v9, v39 :: v_dual_mov_b32 v76, v119
	v_fma_f32 v19, v178, v106, -v27
	v_fmac_f32_e32 v43, v179, v106
	v_dual_add_f32 v11, v11, v21 :: v_dual_fmac_f32 v45, v181, v108
	v_dual_add_f32 v9, v9, v41 :: v_dual_mul_f32 v199, v182, v111
	v_mul_f32_e32 v201, v128, v113
	s_delay_alu instid0(VALU_DEP_3) | instskip(NEXT) | instid1(VALU_DEP_3)
	v_dual_fma_f32 v13, v180, v108, -v13 :: v_dual_add_f32 v11, v11, v19
	v_dual_fma_f32 v198, v182, v110, -v15 :: v_dual_add_f32 v9, v9, v43
	s_delay_alu instid0(VALU_DEP_4) | instskip(SKIP_1) | instid1(VALU_DEP_4)
	v_fmac_f32_e32 v199, v183, v110
	v_pk_mul_f32 v[72:73], v[190:191], v[72:73] op_sel_hi:[1,0]
	v_dual_add_f32 v80, v11, v13 :: v_dual_fmac_f32 v201, v129, v112
	s_delay_alu instid0(VALU_DEP_4)
	v_add_f32_e32 v81, v9, v45
	v_pk_mul_f32 v[74:75], v[132:133], v[116:117] op_sel:[1,1] op_sel_hi:[0,1]
	s_wait_loadcnt 0x3
	v_dual_mov_b32 v82, v123 :: v_dual_fma_f32 v200, v128, v112, -v17
	v_pk_fma_f32 v[84:85], v[130:131], v[114:115], v[72:73] op_sel_hi:[1,0,1]
	v_pk_add_f32 v[80:81], v[80:81], v[198:199]
	v_pk_fma_f32 v[72:73], v[130:131], v[114:115], v[72:73] neg_lo:[0,0,1] neg_hi:[0,0,1]
	v_pk_fma_f32 v[86:87], v[132:133], v[116:117], v[74:75] op_sel_hi:[1,0,1]
	v_pk_mul_f32 v[76:77], v[192:193], v[76:77] op_sel_hi:[1,0]
	v_mov_b32_e32 v73, v85
	v_pk_add_f32 v[80:81], v[80:81], v[200:201]
	v_pk_fma_f32 v[74:75], v[132:133], v[116:117], v[74:75] neg_lo:[0,0,1] neg_hi:[0,0,1]
	v_pk_mul_f32 v[78:79], v[136:137], v[120:121] op_sel:[1,1] op_sel_hi:[0,1]
	v_mov_b32_e32 v75, v87
	v_pk_fma_f32 v[86:87], v[134:135], v[118:119], v[76:77] op_sel_hi:[1,0,1]
	v_pk_add_f32 v[72:73], v[80:81], v[72:73]
	v_pk_fma_f32 v[76:77], v[134:135], v[118:119], v[76:77] neg_lo:[0,0,1] neg_hi:[0,0,1]
	v_pk_fma_f32 v[80:81], v[136:137], v[120:121], v[78:79] op_sel_hi:[1,0,1]
	v_pk_mul_f32 v[82:83], v[194:195], v[82:83] op_sel_hi:[1,0]
	v_mov_b32_e32 v77, v87
	v_pk_add_f32 v[72:73], v[72:73], v[74:75]
	v_pk_fma_f32 v[78:79], v[136:137], v[120:121], v[78:79] neg_lo:[0,0,1] neg_hi:[0,0,1]
	s_wait_loadcnt 0x2
	v_pk_mul_f32 v[84:85], v[140:141], v[124:125] op_sel:[1,1] op_sel_hi:[0,1]
	v_dual_mov_b32 v74, v127 :: v_dual_mov_b32 v79, v81
	v_pk_fma_f32 v[80:81], v[138:139], v[122:123], v[82:83] op_sel_hi:[1,0,1]
	v_pk_add_f32 v[72:73], v[72:73], v[76:77]
	v_pk_fma_f32 v[82:83], v[138:139], v[122:123], v[82:83] neg_lo:[0,0,1] neg_hi:[0,0,1]
	v_pk_fma_f32 v[76:77], v[140:141], v[124:125], v[84:85] op_sel_hi:[1,0,1]
	v_pk_mul_f32 v[74:75], v[196:197], v[74:75] op_sel_hi:[1,0]
	v_mov_b32_e32 v83, v81
	v_pk_add_f32 v[72:73], v[72:73], v[78:79]
	v_pk_fma_f32 v[78:79], v[140:141], v[124:125], v[84:85] neg_lo:[0,0,1] neg_hi:[0,0,1]
	v_mov_b32_e32 v79, v77
	v_pk_fma_f32 v[76:77], v[142:143], v[126:127], v[74:75] op_sel_hi:[1,0,1]
	s_wait_loadcnt_dscnt 0x100
	v_pk_mul_f32 v[80:81], v[188:189], v[184:185] op_sel:[1,1] op_sel_hi:[0,1]
	v_pk_add_f32 v[72:73], v[72:73], v[82:83]
	v_pk_fma_f32 v[74:75], v[142:143], v[126:127], v[74:75] neg_lo:[0,0,1] neg_hi:[0,0,1]
	v_mov_b32_e32 v75, v77
	s_delay_alu instid0(VALU_DEP_4) | instskip(NEXT) | instid1(VALU_DEP_4)
	v_pk_fma_f32 v[76:77], v[188:189], v[184:185], v[80:81] op_sel_hi:[1,0,1]
	v_pk_add_f32 v[72:73], v[72:73], v[78:79]
	v_pk_fma_f32 v[78:79], v[188:189], v[184:185], v[80:81] neg_lo:[0,0,1] neg_hi:[0,0,1]
	s_delay_alu instid0(VALU_DEP_3) | instskip(NEXT) | instid1(VALU_DEP_3)
	v_mov_b32_e32 v79, v77
	v_pk_add_f32 v[72:73], v[72:73], v[74:75]
	s_delay_alu instid0(VALU_DEP_1) | instskip(SKIP_1) | instid1(VALU_DEP_1)
	v_pk_add_f32 v[72:73], v[72:73], v[78:79]
	s_wait_loadcnt 0x0
	v_pk_add_f32 v[72:73], v[186:187], v[72:73] neg_lo:[0,1] neg_hi:[0,1]
	scratch_store_b64 off, v[72:73], off offset:40
	s_wait_xcnt 0x0
	v_cmpx_lt_u32_e32 4, v0
	s_cbranch_execz .LBB98_215
; %bb.214:
	scratch_load_b64 v[72:73], off, off offset:32
	v_mov_b64_e32 v[74:75], 0
	scratch_store_b64 off, v[74:75], off offset:32
	s_wait_loadcnt 0x0
	ds_store_b64 v1, v[72:73]
.LBB98_215:
	s_wait_xcnt 0x0
	s_or_b32 exec_lo, exec_lo, s0
	s_wait_storecnt_dscnt 0x0
	s_barrier_signal -1
	s_barrier_wait -1
	s_clause 0xf
	scratch_load_b128 v[72:75], off, off offset:40
	scratch_load_b128 v[76:79], off, off offset:56
	;; [unrolled: 1-line block ×15, first 2 shown]
	scratch_load_b64 v[192:193], off, off offset:32
	ds_load_2addr_b64 v[132:135], v7 offset0:63 offset1:64
	ds_load_2addr_b64 v[136:139], v7 offset0:65 offset1:66
	;; [unrolled: 1-line block ×15, first 2 shown]
	s_mov_b32 s0, exec_lo
	s_wait_dscnt 0xe
	v_dual_mov_b32 v194, v135 :: v_dual_mov_b32 v195, v134
	s_wait_dscnt 0xd
	v_dual_mov_b32 v196, v139 :: v_dual_mov_b32 v197, v138
	s_wait_dscnt 0xc
	v_dual_mov_b32 v198, v143 :: v_dual_mov_b32 v199, v142
	s_wait_dscnt 0xb
	v_dual_mov_b32 v200, v147 :: v_dual_mov_b32 v201, v146
	s_wait_loadcnt_dscnt 0xf0a
	v_dual_mul_f32 v7, v148, v73 :: v_dual_mul_f32 v9, v150, v75
	v_dual_mul_f32 v47, v149, v73 :: v_dual_mul_f32 v49, v151, v75
	s_wait_loadcnt_dscnt 0xe09
	v_dual_mul_f32 v11, v152, v77 :: v_dual_mul_f32 v13, v154, v79
	s_delay_alu instid0(VALU_DEP_3) | instskip(SKIP_3) | instid1(VALU_DEP_3)
	v_dual_fmac_f32 v7, v149, v72 :: v_dual_fmac_f32 v9, v151, v74
	s_wait_loadcnt_dscnt 0xc06
	v_dual_fma_f32 v47, v148, v72, -v47 :: v_dual_mul_f32 v59, v165, v85
	v_dual_mul_f32 v51, v153, v77 :: v_dual_mul_f32 v53, v155, v79
	v_dual_fma_f32 v49, v150, v74, -v49 :: v_dual_add_f32 v7, 0, v7
	s_delay_alu instid0(VALU_DEP_3) | instskip(SKIP_1) | instid1(VALU_DEP_4)
	v_dual_add_f32 v47, 0, v47 :: v_dual_fmac_f32 v11, v153, v76
	v_dual_mul_f32 v15, v160, v81 :: v_dual_mul_f32 v17, v162, v83
	v_dual_mul_f32 v61, v167, v87 :: v_dual_fma_f32 v51, v152, v76, -v51
	s_delay_alu instid0(VALU_DEP_4) | instskip(NEXT) | instid1(VALU_DEP_3)
	v_add_f32_e32 v7, v7, v9
	v_dual_add_f32 v9, v47, v49 :: v_dual_fmac_f32 v15, v161, v80
	v_dual_mul_f32 v55, v161, v81 :: v_dual_mul_f32 v57, v163, v83
	s_wait_loadcnt_dscnt 0xb05
	v_dual_mul_f32 v47, v169, v89 :: v_dual_fmac_f32 v13, v155, v78
	v_dual_fma_f32 v49, v154, v78, -v53 :: v_dual_add_f32 v7, v7, v11
	s_delay_alu instid0(VALU_DEP_3) | instskip(SKIP_1) | instid1(VALU_DEP_3)
	v_dual_add_f32 v9, v9, v51 :: v_dual_fma_f32 v51, v160, v80, -v55
	v_dual_mul_f32 v19, v164, v85 :: v_dual_mul_f32 v21, v166, v87
	v_add_f32_e32 v7, v7, v13
	s_delay_alu instid0(VALU_DEP_3) | instskip(SKIP_2) | instid1(VALU_DEP_3)
	v_dual_mul_f32 v11, v171, v91 :: v_dual_add_f32 v9, v9, v49
	s_wait_loadcnt_dscnt 0xa04
	v_dual_mul_f32 v13, v173, v93 :: v_dual_fmac_f32 v17, v163, v82
	v_dual_fma_f32 v49, v162, v82, -v57 :: v_dual_add_f32 v7, v7, v15
	s_delay_alu instid0(VALU_DEP_3) | instskip(SKIP_1) | instid1(VALU_DEP_3)
	v_dual_add_f32 v9, v9, v51 :: v_dual_fma_f32 v51, v164, v84, -v59
	v_dual_mul_f32 v15, v175, v95 :: v_dual_fmac_f32 v19, v165, v84
	v_add_f32_e32 v7, v7, v17
	s_delay_alu instid0(VALU_DEP_3)
	v_dual_add_f32 v9, v9, v49 :: v_dual_fmac_f32 v21, v167, v86
	v_dual_mul_f32 v23, v168, v89 :: v_dual_mul_f32 v25, v170, v91
	s_wait_loadcnt_dscnt 0x903
	v_dual_fma_f32 v49, v166, v86, -v61 :: v_dual_mul_f32 v17, v177, v97
	v_add_f32_e32 v7, v7, v19
	v_dual_add_f32 v9, v9, v51 :: v_dual_fma_f32 v47, v168, v88, -v47
	v_dual_mul_f32 v19, v179, v99 :: v_dual_fmac_f32 v23, v169, v88
	s_delay_alu instid0(VALU_DEP_3) | instskip(NEXT) | instid1(VALU_DEP_3)
	v_dual_add_f32 v7, v7, v21 :: v_dual_fma_f32 v11, v170, v90, -v11
	v_dual_add_f32 v9, v9, v49 :: v_dual_fmac_f32 v25, v171, v90
	v_dual_mul_f32 v27, v172, v93 :: v_dual_mul_f32 v29, v174, v95
	s_wait_loadcnt_dscnt 0x802
	s_delay_alu instid0(VALU_DEP_3) | instskip(NEXT) | instid1(VALU_DEP_3)
	v_dual_mul_f32 v21, v181, v101 :: v_dual_add_f32 v7, v7, v23
	v_dual_add_f32 v9, v9, v47 :: v_dual_fma_f32 v13, v172, v92, -v13
	s_delay_alu instid0(VALU_DEP_3) | instskip(NEXT) | instid1(VALU_DEP_2)
	v_dual_mul_f32 v23, v183, v103 :: v_dual_fmac_f32 v27, v173, v92
	v_dual_add_f32 v7, v7, v25 :: v_dual_add_f32 v9, v9, v11
	v_dual_mul_f32 v31, v176, v97 :: v_dual_mul_f32 v33, v178, v99
	s_wait_loadcnt_dscnt 0x701
	v_dual_mul_f32 v11, v185, v105 :: v_dual_fmac_f32 v29, v175, v94
	s_delay_alu instid0(VALU_DEP_3) | instskip(SKIP_2) | instid1(VALU_DEP_2)
	v_dual_fma_f32 v15, v174, v94, -v15 :: v_dual_add_f32 v7, v7, v27
	v_dual_add_f32 v9, v9, v13 :: v_dual_mul_f32 v13, v187, v107
	v_dual_fmac_f32 v31, v177, v96 :: v_dual_fma_f32 v17, v176, v96, -v17
	v_dual_add_f32 v7, v7, v29 :: v_dual_add_f32 v9, v9, v15
	v_dual_mul_f32 v35, v180, v101 :: v_dual_mul_f32 v37, v182, v103
	s_wait_loadcnt_dscnt 0x600
	v_dual_mul_f32 v15, v189, v109 :: v_dual_fmac_f32 v33, v179, v98
	s_delay_alu instid0(VALU_DEP_3) | instskip(SKIP_2) | instid1(VALU_DEP_2)
	v_dual_fma_f32 v19, v178, v98, -v19 :: v_dual_add_f32 v7, v7, v31
	v_dual_add_f32 v9, v9, v17 :: v_dual_mul_f32 v17, v191, v111
	v_dual_fmac_f32 v35, v181, v100 :: v_dual_fma_f32 v21, v180, v100, -v21
	v_dual_add_f32 v7, v7, v33 :: v_dual_add_f32 v9, v9, v19
	v_dual_mul_f32 v39, v184, v105 :: v_dual_mul_f32 v41, v186, v107
	s_wait_loadcnt 0x5
	v_dual_mul_f32 v19, v157, v113 :: v_dual_fmac_f32 v37, v183, v102
	s_delay_alu instid0(VALU_DEP_3) | instskip(SKIP_2) | instid1(VALU_DEP_3)
	v_dual_fma_f32 v23, v182, v102, -v23 :: v_dual_add_f32 v7, v7, v35
	v_dual_add_f32 v9, v9, v21 :: v_dual_mul_f32 v21, v159, v115
	v_fmac_f32_e32 v39, v185, v104
	v_dual_fma_f32 v11, v184, v104, -v11 :: v_dual_add_f32 v7, v7, v37
	s_delay_alu instid0(VALU_DEP_3) | instskip(SKIP_1) | instid1(VALU_DEP_3)
	v_dual_add_f32 v9, v9, v23 :: v_dual_mul_f32 v43, v188, v109
	v_dual_mul_f32 v45, v190, v111 :: v_dual_fmac_f32 v41, v187, v106
	v_dual_fma_f32 v13, v186, v106, -v13 :: v_dual_add_f32 v7, v7, v39
	s_wait_loadcnt 0x4
	s_delay_alu instid0(VALU_DEP_3) | instskip(SKIP_1) | instid1(VALU_DEP_3)
	v_dual_add_f32 v9, v9, v11 :: v_dual_mov_b32 v74, v119
	v_fmac_f32_e32 v43, v189, v108
	v_dual_fma_f32 v11, v188, v108, -v15 :: v_dual_add_f32 v7, v7, v41
	s_delay_alu instid0(VALU_DEP_3) | instskip(SKIP_1) | instid1(VALU_DEP_3)
	v_dual_add_f32 v9, v9, v13 :: v_dual_fmac_f32 v45, v191, v110
	v_dual_mul_f32 v203, v156, v113 :: v_dual_mul_f32 v205, v158, v115
	v_dual_fma_f32 v13, v190, v110, -v17 :: v_dual_add_f32 v7, v7, v43
	s_wait_loadcnt 0x3
	s_delay_alu instid0(VALU_DEP_3) | instskip(SKIP_1) | instid1(VALU_DEP_3)
	v_dual_add_f32 v9, v9, v11 :: v_dual_mov_b32 v78, v123
	v_pk_mul_f32 v[72:73], v[132:133], v[116:117] op_sel:[1,1] op_sel_hi:[0,1]
	v_dual_fmac_f32 v203, v157, v112 :: v_dual_add_f32 v81, v7, v45
	s_delay_alu instid0(VALU_DEP_3) | instskip(SKIP_1) | instid1(VALU_DEP_4)
	v_dual_fma_f32 v202, v156, v112, -v19 :: v_dual_add_f32 v80, v9, v13
	v_fmac_f32_e32 v205, v159, v114
	v_pk_fma_f32 v[82:83], v[132:133], v[116:117], v[72:73] op_sel_hi:[1,0,1]
	v_fma_f32 v204, v158, v114, -v21
	v_pk_mul_f32 v[74:75], v[194:195], v[74:75] op_sel_hi:[1,0]
	v_pk_add_f32 v[80:81], v[80:81], v[202:203]
	v_pk_fma_f32 v[72:73], v[132:133], v[116:117], v[72:73] neg_lo:[0,0,1] neg_hi:[0,0,1]
	v_pk_mul_f32 v[76:77], v[136:137], v[120:121] op_sel:[1,1] op_sel_hi:[0,1]
	v_mov_b32_e32 v73, v83
	v_pk_fma_f32 v[82:83], v[134:135], v[118:119], v[74:75] op_sel_hi:[1,0,1]
	v_pk_add_f32 v[80:81], v[80:81], v[204:205]
	v_pk_fma_f32 v[74:75], v[134:135], v[118:119], v[74:75] neg_lo:[0,0,1] neg_hi:[0,0,1]
	v_pk_fma_f32 v[86:87], v[136:137], v[120:121], v[76:77] op_sel_hi:[1,0,1]
	v_pk_mul_f32 v[78:79], v[196:197], v[78:79] op_sel_hi:[1,0]
	v_mov_b32_e32 v75, v83
	v_pk_add_f32 v[72:73], v[80:81], v[72:73]
	s_wait_loadcnt 0x2
	v_pk_mul_f32 v[84:85], v[140:141], v[124:125] op_sel:[1,1] op_sel_hi:[0,1]
	v_mov_b32_e32 v80, v127
	v_pk_fma_f32 v[76:77], v[136:137], v[120:121], v[76:77] neg_lo:[0,0,1] neg_hi:[0,0,1]
	v_pk_fma_f32 v[82:83], v[138:139], v[122:123], v[78:79] op_sel_hi:[1,0,1]
	v_mov_b32_e32 v77, v87
	v_pk_add_f32 v[72:73], v[72:73], v[74:75]
	v_pk_fma_f32 v[74:75], v[140:141], v[124:125], v[84:85] op_sel_hi:[1,0,1]
	v_pk_mul_f32 v[80:81], v[198:199], v[80:81] op_sel_hi:[1,0]
	v_pk_fma_f32 v[78:79], v[138:139], v[122:123], v[78:79] neg_lo:[0,0,1] neg_hi:[0,0,1]
	v_mov_b32_e32 v79, v83
	v_pk_add_f32 v[72:73], v[72:73], v[76:77]
	v_pk_fma_f32 v[82:83], v[140:141], v[124:125], v[84:85] neg_lo:[0,0,1] neg_hi:[0,0,1]
	v_mov_b32_e32 v83, v75
	v_pk_fma_f32 v[74:75], v[142:143], v[126:127], v[80:81] op_sel_hi:[1,0,1]
	s_wait_loadcnt 0x1
	v_pk_mul_f32 v[76:77], v[144:145], v[128:129] op_sel:[1,1] op_sel_hi:[0,1]
	v_pk_add_f32 v[72:73], v[72:73], v[78:79]
	v_mov_b32_e32 v74, v131
	v_pk_fma_f32 v[80:81], v[142:143], v[126:127], v[80:81] neg_lo:[0,0,1] neg_hi:[0,0,1]
	s_delay_alu instid0(VALU_DEP_4)
	v_pk_fma_f32 v[78:79], v[144:145], v[128:129], v[76:77] op_sel_hi:[1,0,1]
	v_mov_b32_e32 v81, v75
	v_pk_add_f32 v[72:73], v[72:73], v[82:83]
	v_pk_mul_f32 v[74:75], v[200:201], v[74:75] op_sel_hi:[1,0]
	v_pk_fma_f32 v[76:77], v[144:145], v[128:129], v[76:77] neg_lo:[0,0,1] neg_hi:[0,0,1]
	v_mov_b32_e32 v77, v79
	s_delay_alu instid0(VALU_DEP_4) | instskip(NEXT) | instid1(VALU_DEP_4)
	v_pk_add_f32 v[72:73], v[72:73], v[80:81]
	v_pk_fma_f32 v[78:79], v[146:147], v[130:131], v[74:75] op_sel_hi:[1,0,1]
	v_pk_fma_f32 v[74:75], v[146:147], v[130:131], v[74:75] neg_lo:[0,0,1] neg_hi:[0,0,1]
	s_delay_alu instid0(VALU_DEP_3) | instskip(NEXT) | instid1(VALU_DEP_3)
	v_pk_add_f32 v[72:73], v[72:73], v[76:77]
	v_mov_b32_e32 v75, v79
	s_delay_alu instid0(VALU_DEP_1) | instskip(SKIP_1) | instid1(VALU_DEP_1)
	v_pk_add_f32 v[72:73], v[72:73], v[74:75]
	s_wait_loadcnt 0x0
	v_pk_add_f32 v[72:73], v[192:193], v[72:73] neg_lo:[0,1] neg_hi:[0,1]
	scratch_store_b64 off, v[72:73], off offset:32
	s_wait_xcnt 0x0
	v_cmpx_lt_u32_e32 3, v0
	s_cbranch_execz .LBB98_217
; %bb.216:
	scratch_load_b64 v[72:73], off, off offset:24
	v_mov_b64_e32 v[74:75], 0
	scratch_store_b64 off, v[74:75], off offset:24
	s_wait_loadcnt 0x0
	ds_store_b64 v1, v[72:73]
.LBB98_217:
	s_wait_xcnt 0x0
	s_or_b32 exec_lo, exec_lo, s0
	s_wait_storecnt_dscnt 0x0
	s_barrier_signal -1
	s_barrier_wait -1
	s_clause 0x10
	scratch_load_b128 v[72:75], off, off offset:32
	scratch_load_b128 v[76:79], off, off offset:48
	;; [unrolled: 1-line block ×15, first 2 shown]
	scratch_load_b64 v[192:193], off, off offset:272
	scratch_load_b64 v[194:195], off, off offset:24
	v_mov_b32_e32 v7, 0
	ds_load_b128 v[132:135], v7 offset:496
	ds_load_b128 v[136:139], v7 offset:512
	;; [unrolled: 1-line block ×15, first 2 shown]
	ds_load_b64 v[196:197], v7 offset:560
	s_mov_b32 s0, exec_lo
	s_wait_dscnt 0xf
	v_dual_mov_b32 v198, v135 :: v_dual_mov_b32 v199, v134
	s_wait_dscnt 0xc
	v_dual_mov_b32 v200, v139 :: v_dual_mov_b32 v205, v146
	v_dual_mov_b32 v201, v138 :: v_dual_mov_b32 v202, v143
	;; [unrolled: 1-line block ×3, first 2 shown]
	s_wait_loadcnt_dscnt 0x100b
	v_dual_mul_f32 v9, v148, v73 :: v_dual_mul_f32 v51, v149, v73
	v_dual_mul_f32 v53, v151, v75 :: v_dual_mul_f32 v11, v150, v75
	s_wait_loadcnt_dscnt 0xf09
	v_mul_f32_e32 v13, v156, v77
	s_wait_loadcnt_dscnt 0xd07
	v_dual_mul_f32 v63, v165, v85 :: v_dual_fma_f32 v51, v148, v72, -v51
	v_dual_fmac_f32 v9, v149, v72 :: v_dual_mul_f32 v65, v167, v87
	v_dual_mul_f32 v55, v157, v77 :: v_dual_mul_f32 v57, v159, v79
	v_dual_fmac_f32 v11, v151, v74 :: v_dual_fma_f32 v53, v150, v74, -v53
	s_delay_alu instid0(VALU_DEP_3) | instskip(SKIP_4) | instid1(VALU_DEP_3)
	v_dual_add_f32 v9, 0, v9 :: v_dual_add_f32 v51, 0, v51
	v_dual_mul_f32 v15, v158, v79 :: v_dual_mul_f32 v17, v160, v81
	s_wait_loadcnt_dscnt 0xc06
	v_dual_mul_f32 v67, v169, v89 :: v_dual_fma_f32 v55, v156, v76, -v55
	v_fmac_f32_e32 v13, v157, v76
	v_dual_add_f32 v9, v9, v11 :: v_dual_fmac_f32 v15, v159, v78
	v_add_f32_e32 v11, v51, v53
	v_dual_mul_f32 v59, v161, v81 :: v_dual_mul_f32 v61, v163, v83
	v_dual_mul_f32 v51, v171, v91 :: v_dual_fma_f32 v53, v158, v78, -v57
	s_delay_alu instid0(VALU_DEP_3) | instskip(SKIP_3) | instid1(VALU_DEP_3)
	v_dual_add_f32 v9, v9, v13 :: v_dual_add_f32 v11, v11, v55
	v_dual_mul_f32 v19, v162, v83 :: v_dual_mul_f32 v21, v164, v85
	s_wait_loadcnt_dscnt 0xb05
	v_dual_mul_f32 v13, v173, v93 :: v_dual_fma_f32 v55, v160, v80, -v59
	v_dual_fmac_f32 v17, v161, v80 :: v_dual_add_f32 v11, v11, v53
	s_delay_alu instid0(VALU_DEP_3) | instskip(SKIP_1) | instid1(VALU_DEP_2)
	v_dual_add_f32 v9, v9, v15 :: v_dual_fmac_f32 v19, v163, v82
	v_dual_mul_f32 v15, v175, v95 :: v_dual_fma_f32 v53, v162, v82, -v61
	v_dual_add_f32 v11, v11, v55 :: v_dual_add_f32 v9, v9, v17
	v_dual_mul_f32 v23, v166, v87 :: v_dual_mul_f32 v25, v168, v89
	s_wait_loadcnt_dscnt 0xa04
	v_dual_mul_f32 v17, v177, v97 :: v_dual_fma_f32 v55, v164, v84, -v63
	s_delay_alu instid0(VALU_DEP_3) | instskip(NEXT) | instid1(VALU_DEP_3)
	v_dual_fmac_f32 v21, v165, v84 :: v_dual_add_f32 v11, v11, v53
	v_dual_add_f32 v9, v9, v19 :: v_dual_fmac_f32 v23, v167, v86
	v_dual_mul_f32 v19, v179, v99 :: v_dual_fma_f32 v53, v166, v86, -v65
	s_delay_alu instid0(VALU_DEP_2) | instskip(SKIP_3) | instid1(VALU_DEP_3)
	v_dual_add_f32 v11, v11, v55 :: v_dual_add_f32 v9, v9, v21
	v_dual_mul_f32 v27, v170, v91 :: v_dual_mul_f32 v29, v172, v93
	s_wait_loadcnt_dscnt 0x903
	v_dual_mul_f32 v21, v181, v101 :: v_dual_fma_f32 v55, v168, v88, -v67
	v_dual_fmac_f32 v25, v169, v88 :: v_dual_add_f32 v11, v11, v53
	s_delay_alu instid0(VALU_DEP_3) | instskip(SKIP_1) | instid1(VALU_DEP_2)
	v_dual_add_f32 v9, v9, v23 :: v_dual_fmac_f32 v27, v171, v90
	v_dual_mul_f32 v23, v183, v103 :: v_dual_fma_f32 v51, v170, v90, -v51
	v_dual_add_f32 v11, v11, v55 :: v_dual_add_f32 v9, v9, v25
	v_dual_mul_f32 v31, v174, v95 :: v_dual_mul_f32 v33, v176, v97
	s_wait_loadcnt_dscnt 0x802
	v_dual_mul_f32 v25, v185, v105 :: v_dual_fma_f32 v13, v172, v92, -v13
	s_delay_alu instid0(VALU_DEP_3) | instskip(NEXT) | instid1(VALU_DEP_3)
	v_dual_fmac_f32 v29, v173, v92 :: v_dual_add_f32 v11, v11, v51
	v_dual_add_f32 v9, v9, v27 :: v_dual_fmac_f32 v31, v175, v94
	v_dual_mul_f32 v27, v187, v107 :: v_dual_fma_f32 v15, v174, v94, -v15
	s_delay_alu instid0(VALU_DEP_3) | instskip(NEXT) | instid1(VALU_DEP_3)
	v_dual_add_f32 v11, v11, v13 :: v_dual_fmac_f32 v33, v177, v96
	v_dual_add_f32 v9, v9, v29 :: v_dual_fma_f32 v17, v176, v96, -v17
	v_dual_mul_f32 v35, v178, v99 :: v_dual_mul_f32 v37, v180, v101
	s_wait_loadcnt_dscnt 0x701
	s_delay_alu instid0(VALU_DEP_3) | instskip(NEXT) | instid1(VALU_DEP_2)
	v_dual_mul_f32 v13, v189, v109 :: v_dual_add_f32 v11, v11, v15
	v_dual_add_f32 v9, v9, v31 :: v_dual_fmac_f32 v35, v179, v98
	v_dual_mul_f32 v15, v191, v111 :: v_dual_fma_f32 v19, v178, v98, -v19
	s_delay_alu instid0(VALU_DEP_3) | instskip(NEXT) | instid1(VALU_DEP_3)
	v_dual_add_f32 v11, v11, v17 :: v_dual_fmac_f32 v37, v181, v100
	v_dual_add_f32 v9, v9, v33 :: v_dual_fma_f32 v21, v180, v100, -v21
	v_dual_mul_f32 v39, v182, v103 :: v_dual_mul_f32 v41, v184, v105
	s_wait_loadcnt 0x6
	s_delay_alu instid0(VALU_DEP_3) | instskip(NEXT) | instid1(VALU_DEP_2)
	v_dual_mul_f32 v17, v153, v113 :: v_dual_add_f32 v11, v11, v19
	v_dual_add_f32 v9, v9, v35 :: v_dual_fmac_f32 v39, v183, v102
	v_dual_mul_f32 v19, v155, v115 :: v_dual_fma_f32 v23, v182, v102, -v23
	s_delay_alu instid0(VALU_DEP_3) | instskip(NEXT) | instid1(VALU_DEP_3)
	v_dual_add_f32 v11, v11, v21 :: v_dual_fmac_f32 v41, v185, v104
	v_dual_add_f32 v9, v9, v37 :: v_dual_fma_f32 v25, v184, v104, -v25
	v_dual_mul_f32 v43, v186, v107 :: v_dual_mul_f32 v45, v188, v109
	s_wait_loadcnt 0x5
	s_delay_alu instid0(VALU_DEP_3) | instskip(NEXT) | instid1(VALU_DEP_3)
	v_dual_mul_f32 v21, v133, v117 :: v_dual_add_f32 v11, v11, v23
	v_dual_add_f32 v9, v9, v39 :: v_dual_mov_b32 v72, v119
	s_delay_alu instid0(VALU_DEP_3) | instskip(NEXT) | instid1(VALU_DEP_3)
	v_fmac_f32_e32 v43, v187, v106
	v_dual_fma_f32 v23, v186, v106, -v27 :: v_dual_add_f32 v11, v11, v25
	s_delay_alu instid0(VALU_DEP_3) | instskip(SKIP_1) | instid1(VALU_DEP_3)
	v_dual_add_f32 v9, v9, v41 :: v_dual_mul_f32 v47, v190, v111
	v_dual_mul_f32 v49, v152, v113 :: v_dual_fmac_f32 v45, v189, v108
	v_dual_add_f32 v11, v11, v23 :: v_dual_fma_f32 v13, v188, v108, -v13
	s_wait_loadcnt 0x4
	s_delay_alu instid0(VALU_DEP_3) | instskip(SKIP_3) | instid1(VALU_DEP_4)
	v_dual_add_f32 v9, v9, v43 :: v_dual_mov_b32 v76, v123
	v_fma_f32 v15, v190, v110, -v15
	v_fmac_f32_e32 v47, v191, v110
	v_dual_add_f32 v11, v11, v13 :: v_dual_fmac_f32 v49, v153, v112
	v_dual_add_f32 v9, v9, v45 :: v_dual_mul_f32 v207, v154, v115
	v_mul_f32_e32 v209, v132, v117
	s_delay_alu instid0(VALU_DEP_3) | instskip(NEXT) | instid1(VALU_DEP_3)
	v_dual_fma_f32 v13, v152, v112, -v17 :: v_dual_add_f32 v11, v11, v15
	v_dual_fma_f32 v206, v154, v114, -v19 :: v_dual_add_f32 v9, v9, v47
	s_delay_alu instid0(VALU_DEP_4) | instskip(SKIP_1) | instid1(VALU_DEP_4)
	v_fmac_f32_e32 v207, v155, v114
	v_pk_mul_f32 v[72:73], v[198:199], v[72:73] op_sel_hi:[1,0]
	v_dual_add_f32 v80, v11, v13 :: v_dual_fmac_f32 v209, v133, v116
	s_delay_alu instid0(VALU_DEP_4)
	v_add_f32_e32 v81, v9, v49
	v_pk_mul_f32 v[74:75], v[136:137], v[120:121] op_sel:[1,1] op_sel_hi:[0,1]
	s_wait_loadcnt 0x3
	v_dual_mov_b32 v82, v127 :: v_dual_fma_f32 v208, v132, v116, -v21
	v_pk_fma_f32 v[84:85], v[134:135], v[118:119], v[72:73] op_sel_hi:[1,0,1]
	v_pk_add_f32 v[80:81], v[80:81], v[206:207]
	v_pk_fma_f32 v[72:73], v[134:135], v[118:119], v[72:73] neg_lo:[0,0,1] neg_hi:[0,0,1]
	v_pk_fma_f32 v[86:87], v[136:137], v[120:121], v[74:75] op_sel_hi:[1,0,1]
	v_pk_mul_f32 v[76:77], v[200:201], v[76:77] op_sel_hi:[1,0]
	v_mov_b32_e32 v73, v85
	v_pk_add_f32 v[80:81], v[80:81], v[208:209]
	v_pk_fma_f32 v[74:75], v[136:137], v[120:121], v[74:75] neg_lo:[0,0,1] neg_hi:[0,0,1]
	v_pk_mul_f32 v[78:79], v[140:141], v[124:125] op_sel:[1,1] op_sel_hi:[0,1]
	v_mov_b32_e32 v75, v87
	v_pk_fma_f32 v[86:87], v[138:139], v[122:123], v[76:77] op_sel_hi:[1,0,1]
	v_pk_add_f32 v[72:73], v[80:81], v[72:73]
	v_pk_fma_f32 v[76:77], v[138:139], v[122:123], v[76:77] neg_lo:[0,0,1] neg_hi:[0,0,1]
	v_pk_fma_f32 v[80:81], v[140:141], v[124:125], v[78:79] op_sel_hi:[1,0,1]
	v_pk_mul_f32 v[82:83], v[202:203], v[82:83] op_sel_hi:[1,0]
	v_mov_b32_e32 v77, v87
	v_pk_add_f32 v[72:73], v[72:73], v[74:75]
	v_pk_fma_f32 v[78:79], v[140:141], v[124:125], v[78:79] neg_lo:[0,0,1] neg_hi:[0,0,1]
	s_wait_loadcnt 0x2
	v_pk_mul_f32 v[84:85], v[144:145], v[128:129] op_sel:[1,1] op_sel_hi:[0,1]
	v_dual_mov_b32 v74, v131 :: v_dual_mov_b32 v79, v81
	v_pk_fma_f32 v[80:81], v[142:143], v[126:127], v[82:83] op_sel_hi:[1,0,1]
	v_pk_add_f32 v[72:73], v[72:73], v[76:77]
	v_pk_fma_f32 v[82:83], v[142:143], v[126:127], v[82:83] neg_lo:[0,0,1] neg_hi:[0,0,1]
	v_pk_fma_f32 v[76:77], v[144:145], v[128:129], v[84:85] op_sel_hi:[1,0,1]
	v_pk_mul_f32 v[74:75], v[204:205], v[74:75] op_sel_hi:[1,0]
	v_mov_b32_e32 v83, v81
	v_pk_add_f32 v[72:73], v[72:73], v[78:79]
	v_pk_fma_f32 v[78:79], v[144:145], v[128:129], v[84:85] neg_lo:[0,0,1] neg_hi:[0,0,1]
	v_mov_b32_e32 v79, v77
	v_pk_fma_f32 v[76:77], v[146:147], v[130:131], v[74:75] op_sel_hi:[1,0,1]
	s_wait_loadcnt_dscnt 0x100
	v_pk_mul_f32 v[80:81], v[196:197], v[192:193] op_sel:[1,1] op_sel_hi:[0,1]
	v_pk_add_f32 v[72:73], v[72:73], v[82:83]
	v_pk_fma_f32 v[74:75], v[146:147], v[130:131], v[74:75] neg_lo:[0,0,1] neg_hi:[0,0,1]
	v_mov_b32_e32 v75, v77
	s_delay_alu instid0(VALU_DEP_4) | instskip(NEXT) | instid1(VALU_DEP_4)
	v_pk_fma_f32 v[76:77], v[196:197], v[192:193], v[80:81] op_sel_hi:[1,0,1]
	v_pk_add_f32 v[72:73], v[72:73], v[78:79]
	v_pk_fma_f32 v[78:79], v[196:197], v[192:193], v[80:81] neg_lo:[0,0,1] neg_hi:[0,0,1]
	s_delay_alu instid0(VALU_DEP_3) | instskip(NEXT) | instid1(VALU_DEP_3)
	v_mov_b32_e32 v79, v77
	v_pk_add_f32 v[72:73], v[72:73], v[74:75]
	s_delay_alu instid0(VALU_DEP_1) | instskip(SKIP_1) | instid1(VALU_DEP_1)
	v_pk_add_f32 v[72:73], v[72:73], v[78:79]
	s_wait_loadcnt 0x0
	v_pk_add_f32 v[72:73], v[194:195], v[72:73] neg_lo:[0,1] neg_hi:[0,1]
	scratch_store_b64 off, v[72:73], off offset:24
	s_wait_xcnt 0x0
	v_cmpx_lt_u32_e32 2, v0
	s_cbranch_execz .LBB98_219
; %bb.218:
	scratch_load_b64 v[72:73], off, off offset:16
	v_mov_b64_e32 v[74:75], 0
	scratch_store_b64 off, v[74:75], off offset:16
	s_wait_loadcnt 0x0
	ds_store_b64 v1, v[72:73]
.LBB98_219:
	s_wait_xcnt 0x0
	s_or_b32 exec_lo, exec_lo, s0
	s_wait_storecnt_dscnt 0x0
	s_barrier_signal -1
	s_barrier_wait -1
	s_clause 0x10
	scratch_load_b128 v[72:75], off, off offset:24
	scratch_load_b128 v[76:79], off, off offset:40
	;; [unrolled: 1-line block ×16, first 2 shown]
	scratch_load_b64 v[200:201], off, off offset:16
	ds_load_2addr_b64 v[136:139], v7 offset0:63 offset1:64
	ds_load_2addr_b64 v[140:143], v7 offset0:65 offset1:66
	;; [unrolled: 1-line block ×16, first 2 shown]
	s_mov_b32 s0, exec_lo
	s_wait_dscnt 0xf
	v_dual_mov_b32 v202, v139 :: v_dual_mov_b32 v203, v138
	s_wait_dscnt 0xe
	v_dual_mov_b32 v204, v143 :: v_dual_mov_b32 v205, v142
	;; [unrolled: 2-line block ×4, first 2 shown]
	s_wait_loadcnt_dscnt 0x100b
	v_dual_mul_f32 v7, v152, v73 :: v_dual_mul_f32 v9, v154, v75
	v_dual_mul_f32 v51, v153, v73 :: v_dual_mul_f32 v53, v155, v75
	s_wait_loadcnt_dscnt 0xf0a
	v_dual_mul_f32 v11, v156, v77 :: v_dual_mul_f32 v13, v158, v79
	s_delay_alu instid0(VALU_DEP_3) | instskip(SKIP_3) | instid1(VALU_DEP_3)
	v_dual_fmac_f32 v7, v153, v72 :: v_dual_fmac_f32 v9, v155, v74
	s_wait_loadcnt_dscnt 0xd08
	v_dual_fma_f32 v51, v152, v72, -v51 :: v_dual_mul_f32 v63, v165, v85
	v_dual_mul_f32 v55, v157, v77 :: v_dual_mul_f32 v57, v159, v79
	v_dual_fma_f32 v53, v154, v74, -v53 :: v_dual_add_f32 v7, 0, v7
	s_delay_alu instid0(VALU_DEP_3) | instskip(SKIP_1) | instid1(VALU_DEP_4)
	v_dual_add_f32 v51, 0, v51 :: v_dual_fmac_f32 v11, v157, v76
	v_dual_mul_f32 v15, v160, v81 :: v_dual_mul_f32 v17, v162, v83
	v_dual_mul_f32 v65, v167, v87 :: v_dual_fma_f32 v55, v156, v76, -v55
	s_delay_alu instid0(VALU_DEP_4) | instskip(NEXT) | instid1(VALU_DEP_3)
	v_add_f32_e32 v7, v7, v9
	v_dual_add_f32 v9, v51, v53 :: v_dual_fmac_f32 v15, v161, v80
	v_dual_mul_f32 v59, v161, v81 :: v_dual_mul_f32 v61, v163, v83
	s_wait_loadcnt_dscnt 0xc07
	v_dual_mul_f32 v51, v169, v89 :: v_dual_fmac_f32 v13, v159, v78
	v_dual_fma_f32 v53, v158, v78, -v57 :: v_dual_add_f32 v7, v7, v11
	s_delay_alu instid0(VALU_DEP_3) | instskip(SKIP_1) | instid1(VALU_DEP_3)
	v_dual_add_f32 v9, v9, v55 :: v_dual_fma_f32 v55, v160, v80, -v59
	v_dual_mul_f32 v19, v164, v85 :: v_dual_mul_f32 v21, v166, v87
	v_add_f32_e32 v7, v7, v13
	s_delay_alu instid0(VALU_DEP_3) | instskip(SKIP_2) | instid1(VALU_DEP_3)
	v_dual_mul_f32 v11, v171, v91 :: v_dual_add_f32 v9, v9, v53
	s_wait_loadcnt_dscnt 0xb06
	v_dual_mul_f32 v13, v173, v93 :: v_dual_fmac_f32 v17, v163, v82
	v_dual_fma_f32 v53, v162, v82, -v61 :: v_dual_add_f32 v7, v7, v15
	s_delay_alu instid0(VALU_DEP_3) | instskip(SKIP_1) | instid1(VALU_DEP_3)
	v_dual_add_f32 v9, v9, v55 :: v_dual_fma_f32 v55, v164, v84, -v63
	v_dual_mul_f32 v15, v175, v95 :: v_dual_fmac_f32 v19, v165, v84
	v_add_f32_e32 v7, v7, v17
	s_delay_alu instid0(VALU_DEP_3)
	v_dual_add_f32 v9, v9, v53 :: v_dual_fmac_f32 v21, v167, v86
	v_dual_mul_f32 v23, v168, v89 :: v_dual_mul_f32 v25, v170, v91
	s_wait_loadcnt_dscnt 0xa05
	v_dual_fma_f32 v53, v166, v86, -v65 :: v_dual_mul_f32 v17, v177, v97
	v_add_f32_e32 v7, v7, v19
	v_dual_add_f32 v9, v9, v55 :: v_dual_fma_f32 v51, v168, v88, -v51
	v_dual_mul_f32 v19, v179, v99 :: v_dual_fmac_f32 v23, v169, v88
	s_delay_alu instid0(VALU_DEP_3) | instskip(NEXT) | instid1(VALU_DEP_3)
	v_dual_add_f32 v7, v7, v21 :: v_dual_fma_f32 v11, v170, v90, -v11
	v_dual_add_f32 v9, v9, v53 :: v_dual_fmac_f32 v25, v171, v90
	v_dual_mul_f32 v27, v172, v93 :: v_dual_mul_f32 v29, v174, v95
	s_wait_loadcnt_dscnt 0x904
	s_delay_alu instid0(VALU_DEP_3) | instskip(NEXT) | instid1(VALU_DEP_3)
	v_dual_mul_f32 v21, v181, v101 :: v_dual_add_f32 v7, v7, v23
	v_dual_add_f32 v9, v9, v51 :: v_dual_fma_f32 v13, v172, v92, -v13
	s_delay_alu instid0(VALU_DEP_3) | instskip(NEXT) | instid1(VALU_DEP_2)
	v_dual_mul_f32 v23, v183, v103 :: v_dual_fmac_f32 v27, v173, v92
	v_dual_add_f32 v7, v7, v25 :: v_dual_add_f32 v9, v9, v11
	v_dual_mul_f32 v31, v176, v97 :: v_dual_mul_f32 v33, v178, v99
	s_wait_loadcnt_dscnt 0x803
	v_dual_mul_f32 v11, v185, v105 :: v_dual_fmac_f32 v29, v175, v94
	s_delay_alu instid0(VALU_DEP_3) | instskip(SKIP_2) | instid1(VALU_DEP_2)
	v_dual_fma_f32 v15, v174, v94, -v15 :: v_dual_add_f32 v7, v7, v27
	v_dual_add_f32 v9, v9, v13 :: v_dual_mul_f32 v13, v187, v107
	v_dual_fmac_f32 v31, v177, v96 :: v_dual_fma_f32 v17, v176, v96, -v17
	v_dual_add_f32 v7, v7, v29 :: v_dual_add_f32 v9, v9, v15
	v_dual_mul_f32 v35, v180, v101 :: v_dual_mul_f32 v37, v182, v103
	s_wait_loadcnt_dscnt 0x702
	v_dual_mul_f32 v15, v189, v109 :: v_dual_fmac_f32 v33, v179, v98
	s_delay_alu instid0(VALU_DEP_3) | instskip(SKIP_2) | instid1(VALU_DEP_2)
	v_dual_fma_f32 v19, v178, v98, -v19 :: v_dual_add_f32 v7, v7, v31
	v_dual_add_f32 v9, v9, v17 :: v_dual_mul_f32 v17, v191, v111
	v_dual_fmac_f32 v35, v181, v100 :: v_dual_fma_f32 v21, v180, v100, -v21
	v_dual_add_f32 v7, v7, v33 :: v_dual_add_f32 v9, v9, v19
	v_dual_mul_f32 v39, v184, v105 :: v_dual_mul_f32 v41, v186, v107
	s_wait_loadcnt_dscnt 0x601
	v_dual_mul_f32 v19, v193, v113 :: v_dual_fmac_f32 v37, v183, v102
	s_delay_alu instid0(VALU_DEP_3) | instskip(SKIP_2) | instid1(VALU_DEP_3)
	v_dual_fma_f32 v23, v182, v102, -v23 :: v_dual_add_f32 v7, v7, v35
	v_dual_add_f32 v9, v9, v21 :: v_dual_mul_f32 v21, v195, v115
	v_fmac_f32_e32 v39, v185, v104
	v_dual_fma_f32 v11, v184, v104, -v11 :: v_dual_add_f32 v7, v7, v37
	s_delay_alu instid0(VALU_DEP_3)
	v_dual_add_f32 v9, v9, v23 :: v_dual_mul_f32 v43, v188, v109
	s_wait_loadcnt_dscnt 0x500
	v_dual_mul_f32 v45, v190, v111 :: v_dual_mul_f32 v23, v197, v117
	v_fmac_f32_e32 v41, v187, v106
	v_dual_fma_f32 v13, v186, v106, -v13 :: v_dual_add_f32 v7, v7, v39
	v_dual_add_f32 v9, v9, v11 :: v_dual_fma_f32 v15, v188, v108, -v15
	v_dual_mul_f32 v11, v199, v119 :: v_dual_fmac_f32 v43, v189, v108
	s_delay_alu instid0(VALU_DEP_3) | instskip(NEXT) | instid1(VALU_DEP_3)
	v_add_f32_e32 v7, v7, v41
	v_dual_add_f32 v9, v9, v13 :: v_dual_fmac_f32 v45, v191, v110
	v_dual_mul_f32 v47, v192, v113 :: v_dual_mul_f32 v49, v194, v115
	s_delay_alu instid0(VALU_DEP_3) | instskip(SKIP_1) | instid1(VALU_DEP_3)
	v_dual_fma_f32 v13, v190, v110, -v17 :: v_dual_add_f32 v7, v7, v43
	s_wait_loadcnt 0x4
	v_dual_add_f32 v9, v9, v15 :: v_dual_mov_b32 v74, v123
	s_delay_alu instid0(VALU_DEP_3) | instskip(NEXT) | instid1(VALU_DEP_3)
	v_fmac_f32_e32 v47, v193, v112
	v_dual_fma_f32 v15, v192, v112, -v19 :: v_dual_add_f32 v7, v7, v45
	s_delay_alu instid0(VALU_DEP_3) | instskip(SKIP_1) | instid1(VALU_DEP_3)
	v_dual_add_f32 v9, v9, v13 :: v_dual_fmac_f32 v49, v195, v114
	v_dual_mul_f32 v211, v196, v117 :: v_dual_mul_f32 v213, v198, v119
	v_dual_fma_f32 v13, v194, v114, -v21 :: v_dual_add_f32 v7, v7, v47
	s_wait_loadcnt 0x3
	s_delay_alu instid0(VALU_DEP_3) | instskip(SKIP_1) | instid1(VALU_DEP_3)
	v_dual_add_f32 v9, v9, v15 :: v_dual_mov_b32 v78, v127
	v_pk_mul_f32 v[72:73], v[136:137], v[120:121] op_sel:[1,1] op_sel_hi:[0,1]
	v_dual_fmac_f32 v211, v197, v116 :: v_dual_add_f32 v81, v7, v49
	s_delay_alu instid0(VALU_DEP_3) | instskip(SKIP_1) | instid1(VALU_DEP_4)
	v_dual_fma_f32 v210, v196, v116, -v23 :: v_dual_add_f32 v80, v9, v13
	v_dual_fmac_f32 v213, v199, v118 :: v_dual_fma_f32 v212, v198, v118, -v11
	v_pk_fma_f32 v[82:83], v[136:137], v[120:121], v[72:73] op_sel_hi:[1,0,1]
	v_pk_mul_f32 v[74:75], v[202:203], v[74:75] op_sel_hi:[1,0]
	s_delay_alu instid0(VALU_DEP_4)
	v_pk_add_f32 v[80:81], v[80:81], v[210:211]
	v_pk_fma_f32 v[72:73], v[136:137], v[120:121], v[72:73] neg_lo:[0,0,1] neg_hi:[0,0,1]
	v_pk_mul_f32 v[76:77], v[140:141], v[124:125] op_sel:[1,1] op_sel_hi:[0,1]
	v_mov_b32_e32 v73, v83
	v_pk_fma_f32 v[82:83], v[138:139], v[122:123], v[74:75] op_sel_hi:[1,0,1]
	v_pk_add_f32 v[80:81], v[80:81], v[212:213]
	v_pk_fma_f32 v[74:75], v[138:139], v[122:123], v[74:75] neg_lo:[0,0,1] neg_hi:[0,0,1]
	v_pk_fma_f32 v[86:87], v[140:141], v[124:125], v[76:77] op_sel_hi:[1,0,1]
	v_pk_mul_f32 v[78:79], v[204:205], v[78:79] op_sel_hi:[1,0]
	v_mov_b32_e32 v75, v83
	v_pk_add_f32 v[72:73], v[80:81], v[72:73]
	s_wait_loadcnt 0x2
	v_pk_mul_f32 v[84:85], v[144:145], v[128:129] op_sel:[1,1] op_sel_hi:[0,1]
	v_mov_b32_e32 v80, v131
	v_pk_fma_f32 v[76:77], v[140:141], v[124:125], v[76:77] neg_lo:[0,0,1] neg_hi:[0,0,1]
	v_mov_b32_e32 v77, v87
	v_pk_fma_f32 v[82:83], v[142:143], v[126:127], v[78:79] op_sel_hi:[1,0,1]
	v_pk_add_f32 v[72:73], v[72:73], v[74:75]
	v_pk_fma_f32 v[74:75], v[144:145], v[128:129], v[84:85] op_sel_hi:[1,0,1]
	v_pk_mul_f32 v[80:81], v[206:207], v[80:81] op_sel_hi:[1,0]
	v_pk_fma_f32 v[78:79], v[142:143], v[126:127], v[78:79] neg_lo:[0,0,1] neg_hi:[0,0,1]
	v_mov_b32_e32 v79, v83
	v_pk_add_f32 v[72:73], v[72:73], v[76:77]
	v_pk_fma_f32 v[82:83], v[144:145], v[128:129], v[84:85] neg_lo:[0,0,1] neg_hi:[0,0,1]
	v_mov_b32_e32 v83, v75
	v_pk_fma_f32 v[74:75], v[146:147], v[130:131], v[80:81] op_sel_hi:[1,0,1]
	s_wait_loadcnt 0x1
	v_pk_mul_f32 v[76:77], v[148:149], v[132:133] op_sel:[1,1] op_sel_hi:[0,1]
	v_pk_add_f32 v[72:73], v[72:73], v[78:79]
	v_mov_b32_e32 v74, v135
	v_pk_fma_f32 v[80:81], v[146:147], v[130:131], v[80:81] neg_lo:[0,0,1] neg_hi:[0,0,1]
	v_mov_b32_e32 v81, v75
	v_pk_fma_f32 v[78:79], v[148:149], v[132:133], v[76:77] op_sel_hi:[1,0,1]
	v_pk_add_f32 v[72:73], v[72:73], v[82:83]
	v_pk_mul_f32 v[74:75], v[208:209], v[74:75] op_sel_hi:[1,0]
	v_pk_fma_f32 v[76:77], v[148:149], v[132:133], v[76:77] neg_lo:[0,0,1] neg_hi:[0,0,1]
	s_delay_alu instid0(VALU_DEP_4) | instskip(NEXT) | instid1(VALU_DEP_4)
	v_mov_b32_e32 v77, v79
	v_pk_add_f32 v[72:73], v[72:73], v[80:81]
	s_delay_alu instid0(VALU_DEP_4) | instskip(SKIP_1) | instid1(VALU_DEP_2)
	v_pk_fma_f32 v[78:79], v[150:151], v[134:135], v[74:75] op_sel_hi:[1,0,1]
	v_pk_fma_f32 v[74:75], v[150:151], v[134:135], v[74:75] neg_lo:[0,0,1] neg_hi:[0,0,1]
	v_mov_b32_e32 v75, v79
	s_delay_alu instid0(VALU_DEP_4) | instskip(NEXT) | instid1(VALU_DEP_1)
	v_pk_add_f32 v[72:73], v[72:73], v[76:77]
	v_pk_add_f32 v[72:73], v[72:73], v[74:75]
	s_wait_loadcnt 0x0
	s_delay_alu instid0(VALU_DEP_1)
	v_pk_add_f32 v[72:73], v[200:201], v[72:73] neg_lo:[0,1] neg_hi:[0,1]
	scratch_store_b64 off, v[72:73], off offset:16
	s_wait_xcnt 0x0
	v_cmpx_lt_u32_e32 1, v0
	s_cbranch_execz .LBB98_221
; %bb.220:
	scratch_load_b64 v[72:73], off, off offset:8
	v_mov_b64_e32 v[74:75], 0
	scratch_store_b64 off, v[74:75], off offset:8
	s_wait_loadcnt 0x0
	ds_store_b64 v1, v[72:73]
.LBB98_221:
	s_wait_xcnt 0x0
	s_or_b32 exec_lo, exec_lo, s0
	s_wait_storecnt_dscnt 0x0
	s_barrier_signal -1
	s_barrier_wait -1
	s_clause 0x11
	scratch_load_b128 v[74:77], off, off offset:16
	scratch_load_b128 v[78:81], off, off offset:32
	;; [unrolled: 1-line block ×16, first 2 shown]
	scratch_load_b64 v[202:203], off, off offset:272
	scratch_load_b64 v[204:205], off, off offset:8
	v_dual_mov_b32 v72, 0 :: v_dual_ashrrev_i32 v35, 31, v34
	v_dual_ashrrev_i32 v7, 31, v6 :: v_dual_ashrrev_i32 v9, 31, v8
	v_dual_ashrrev_i32 v11, 31, v10 :: v_dual_ashrrev_i32 v13, 31, v12
	ds_load_b128 v[138:141], v72 offset:496
	ds_load_b128 v[142:145], v72 offset:512
	;; [unrolled: 1-line block ×16, first 2 shown]
	ds_load_b64 v[206:207], v72 offset:560
	v_dual_ashrrev_i32 v15, 31, v14 :: v_dual_ashrrev_i32 v17, 31, v16
	v_dual_ashrrev_i32 v19, 31, v18 :: v_dual_ashrrev_i32 v21, 31, v20
	;; [unrolled: 1-line block ×3, first 2 shown]
	s_wait_dscnt 0xd
	v_dual_mov_b32 v214, v153 :: v_dual_mov_b32 v215, v152
	v_dual_ashrrev_i32 v27, 31, v26 :: v_dual_ashrrev_i32 v29, 31, v28
	v_dual_ashrrev_i32 v31, 31, v30 :: v_dual_ashrrev_i32 v33, 31, v32
	;; [unrolled: 1-line block ×4, first 2 shown]
	v_dual_mov_b32 v208, v141 :: v_dual_mov_b32 v209, v140
	v_dual_mov_b32 v210, v145 :: v_dual_mov_b32 v211, v144
	;; [unrolled: 1-line block ×3, first 2 shown]
	v_dual_ashrrev_i32 v45, 31, v44 :: v_dual_ashrrev_i32 v47, 31, v46
	s_mov_b32 s0, exec_lo
	s_wait_loadcnt_dscnt 0x110c
	v_dual_mul_f32 v49, v154, v75 :: v_dual_mul_f32 v51, v156, v77
	v_mul_f32_e32 v75, v155, v75
	s_wait_loadcnt_dscnt 0x100b
	v_dual_mul_f32 v53, v158, v79 :: v_dual_mul_f32 v55, v160, v81
	s_wait_loadcnt_dscnt 0xf0a
	v_dual_mul_f32 v57, v162, v83 :: v_dual_mul_f32 v59, v164, v85
	v_mul_f32_e32 v81, v161, v81
	v_dual_mul_f32 v77, v157, v77 :: v_dual_mul_f32 v83, v163, v83
	v_dual_fmac_f32 v49, v155, v74 :: v_dual_fmac_f32 v51, v157, v76
	s_wait_loadcnt 0x5
	v_mul_f32_e32 v219, v138, v123
	v_dual_fma_f32 v74, v154, v74, -v75 :: v_dual_mul_f32 v79, v159, v79
	v_dual_mul_f32 v85, v165, v85 :: v_dual_fma_f32 v76, v156, v76, -v77
	s_delay_alu instid0(VALU_DEP_2) | instskip(SKIP_3) | instid1(VALU_DEP_3)
	v_dual_add_f32 v49, 0, v49 :: v_dual_add_f32 v74, 0, v74
	s_wait_dscnt 0x8
	v_mul_f32_e32 v77, v171, v91
	v_dual_fmac_f32 v53, v159, v78 :: v_dual_fma_f32 v78, v158, v78, -v79
	v_dual_add_f32 v49, v49, v51 :: v_dual_add_f32 v51, v74, v76
	v_dual_mul_f32 v74, v173, v93 :: v_dual_fma_f32 v76, v160, v80, -v81
	v_fmac_f32_e32 v55, v161, v80
	s_wait_dscnt 0x7
	s_delay_alu instid0(VALU_DEP_3) | instskip(SKIP_2) | instid1(VALU_DEP_3)
	v_dual_add_f32 v49, v49, v53 :: v_dual_mul_f32 v53, v175, v95
	v_add_f32_e32 v51, v51, v78
	v_dual_fmac_f32 v57, v163, v82 :: v_dual_fma_f32 v78, v162, v82, -v83
	v_add_f32_e32 v49, v49, v55
	v_dual_mul_f32 v61, v166, v87 :: v_dual_mul_f32 v63, v168, v89
	s_delay_alu instid0(VALU_DEP_4) | instskip(SKIP_2) | instid1(VALU_DEP_3)
	v_add_f32_e32 v51, v51, v76
	v_dual_mul_f32 v87, v167, v87 :: v_dual_mul_f32 v75, v169, v89
	v_dual_mul_f32 v55, v177, v97 :: v_dual_fma_f32 v76, v164, v84, -v85
	v_dual_fmac_f32 v59, v165, v84 :: v_dual_add_f32 v51, v51, v78
	s_wait_dscnt 0x6
	v_dual_add_f32 v49, v49, v57 :: v_dual_mul_f32 v57, v179, v99
	v_dual_fmac_f32 v61, v167, v86 :: v_dual_fma_f32 v78, v166, v86, -v87
	s_delay_alu instid0(VALU_DEP_2) | instskip(SKIP_2) | instid1(VALU_DEP_3)
	v_dual_add_f32 v51, v51, v76 :: v_dual_add_f32 v49, v49, v59
	v_dual_mul_f32 v65, v170, v91 :: v_dual_mul_f32 v67, v172, v93
	v_dual_mul_f32 v59, v181, v101 :: v_dual_fma_f32 v75, v168, v88, -v75
	v_dual_fmac_f32 v63, v169, v88 :: v_dual_add_f32 v51, v51, v78
	s_wait_dscnt 0x5
	v_dual_add_f32 v49, v49, v61 :: v_dual_mul_f32 v61, v183, v103
	v_fmac_f32_e32 v65, v171, v90
	s_delay_alu instid0(VALU_DEP_3) | instskip(NEXT) | instid1(VALU_DEP_3)
	v_dual_fma_f32 v76, v170, v90, -v77 :: v_dual_add_f32 v51, v51, v75
	v_add_f32_e32 v49, v49, v63
	v_dual_mul_f32 v69, v174, v95 :: v_dual_mul_f32 v71, v176, v97
	v_dual_mul_f32 v63, v185, v105 :: v_dual_fma_f32 v74, v172, v92, -v74
	v_fmac_f32_e32 v67, v173, v92
	s_delay_alu instid0(VALU_DEP_4) | instskip(SKIP_3) | instid1(VALU_DEP_3)
	v_dual_add_f32 v49, v49, v65 :: v_dual_add_f32 v51, v51, v76
	s_wait_dscnt 0x4
	v_mul_f32_e32 v65, v187, v107
	v_fmac_f32_e32 v69, v175, v94
	v_dual_fma_f32 v53, v174, v94, -v53 :: v_dual_add_f32 v49, v49, v67
	v_dual_add_f32 v51, v51, v74 :: v_dual_fmac_f32 v71, v177, v96
	v_dual_mul_f32 v73, v178, v99 :: v_dual_mul_f32 v216, v180, v101
	v_dual_mul_f32 v67, v189, v109 :: v_dual_fma_f32 v55, v176, v96, -v55
	s_delay_alu instid0(VALU_DEP_4) | instskip(NEXT) | instid1(VALU_DEP_4)
	v_add_f32_e32 v49, v49, v69
	v_dual_add_f32 v51, v51, v53 :: v_dual_fma_f32 v57, v178, v98, -v57
	s_delay_alu instid0(VALU_DEP_4) | instskip(NEXT) | instid1(VALU_DEP_3)
	v_dual_fmac_f32 v73, v179, v98 :: v_dual_mul_f32 v218, v182, v103
	v_dual_mul_f32 v220, v184, v105 :: v_dual_add_f32 v49, v49, v71
	s_delay_alu instid0(VALU_DEP_3) | instskip(NEXT) | instid1(VALU_DEP_3)
	v_dual_add_f32 v51, v51, v55 :: v_dual_fmac_f32 v216, v181, v100
	v_dual_fma_f32 v59, v180, v100, -v59 :: v_dual_fmac_f32 v218, v183, v102
	s_delay_alu instid0(VALU_DEP_3) | instskip(NEXT) | instid1(VALU_DEP_3)
	v_add_f32_e32 v49, v49, v73
	v_dual_add_f32 v51, v51, v57 :: v_dual_fma_f32 v61, v182, v102, -v61
	s_wait_dscnt 0x2
	v_mul_f32_e32 v57, v195, v115
	v_dual_mul_f32 v221, v186, v107 :: v_dual_mul_f32 v222, v188, v109
	s_delay_alu instid0(VALU_DEP_3) | instskip(SKIP_2) | instid1(VALU_DEP_3)
	v_dual_add_f32 v49, v49, v216 :: v_dual_add_f32 v51, v51, v59
	v_fmac_f32_e32 v220, v185, v104
	v_dual_mul_f32 v59, v197, v117 :: v_dual_fma_f32 v63, v184, v104, -v63
	v_dual_add_f32 v49, v49, v218 :: v_dual_add_f32 v51, v51, v61
	s_wait_dscnt 0x1
	v_dual_fma_f32 v65, v186, v106, -v65 :: v_dual_mul_f32 v61, v199, v119
	s_delay_alu instid0(VALU_DEP_2) | instskip(NEXT) | instid1(VALU_DEP_3)
	v_dual_fmac_f32 v221, v187, v106 :: v_dual_add_f32 v49, v49, v220
	v_dual_add_f32 v51, v51, v63 :: v_dual_fmac_f32 v222, v189, v108
	v_dual_mul_f32 v223, v190, v111 :: v_dual_mul_f32 v224, v192, v113
	v_dual_mul_f32 v53, v191, v111 :: v_dual_mul_f32 v55, v193, v113
	v_dual_mul_f32 v63, v201, v121 :: v_dual_fma_f32 v67, v188, v108, -v67
	v_add_f32_e32 v49, v49, v221
	s_delay_alu instid0(VALU_DEP_3) | instskip(SKIP_2) | instid1(VALU_DEP_3)
	v_dual_add_f32 v51, v51, v65 :: v_dual_fma_f32 v53, v190, v110, -v53
	v_mul_f32_e32 v65, v139, v123
	v_dual_fmac_f32 v223, v191, v110 :: v_dual_mov_b32 v74, v125
	v_dual_add_f32 v49, v49, v222 :: v_dual_add_f32 v51, v51, v67
	v_dual_fmac_f32 v224, v193, v112 :: v_dual_mul_f32 v225, v194, v115
	v_mul_f32_e32 v226, v196, v117
	s_delay_alu instid0(VALU_DEP_3) | instskip(NEXT) | instid1(VALU_DEP_4)
	v_dual_fma_f32 v55, v192, v112, -v55 :: v_dual_add_f32 v49, v49, v223
	v_dual_add_f32 v51, v51, v53 :: v_dual_fma_f32 v53, v194, v114, -v57
	s_delay_alu instid0(VALU_DEP_4) | instskip(NEXT) | instid1(VALU_DEP_3)
	v_dual_fmac_f32 v225, v195, v114 :: v_dual_mul_f32 v227, v198, v119
	v_dual_mul_f32 v217, v200, v121 :: v_dual_add_f32 v49, v49, v224
	s_wait_loadcnt 0x4
	s_delay_alu instid0(VALU_DEP_3) | instskip(SKIP_1) | instid1(VALU_DEP_3)
	v_dual_add_f32 v51, v51, v55 :: v_dual_mov_b32 v78, v129
	v_dual_fmac_f32 v226, v197, v116 :: v_dual_fma_f32 v55, v196, v116, -v59
	v_dual_add_f32 v49, v49, v225 :: v_dual_fmac_f32 v227, v199, v118
	s_delay_alu instid0(VALU_DEP_3) | instskip(SKIP_1) | instid1(VALU_DEP_2)
	v_dual_add_f32 v51, v51, v53 :: v_dual_fma_f32 v53, v198, v118, -v61
	v_dual_fmac_f32 v217, v201, v120 :: v_dual_fma_f32 v216, v200, v120, -v63
	v_dual_add_f32 v49, v49, v226 :: v_dual_add_f32 v51, v51, v55
	v_pk_mul_f32 v[74:75], v[208:209], v[74:75] op_sel_hi:[1,0]
	v_pk_mul_f32 v[76:77], v[142:143], v[126:127] op_sel:[1,1] op_sel_hi:[0,1]
	s_wait_loadcnt 0x3
	v_dual_mov_b32 v84, v133 :: v_dual_fmac_f32 v219, v139, v122
	v_dual_add_f32 v83, v49, v227 :: v_dual_add_f32 v82, v51, v53
	v_pk_fma_f32 v[86:87], v[140:141], v[124:125], v[74:75] op_sel_hi:[1,0,1]
	v_fma_f32 v218, v138, v122, -v65
	v_pk_fma_f32 v[74:75], v[140:141], v[124:125], v[74:75] neg_lo:[0,0,1] neg_hi:[0,0,1]
	v_pk_fma_f32 v[88:89], v[142:143], v[126:127], v[76:77] op_sel_hi:[1,0,1]
	v_pk_add_f32 v[82:83], v[82:83], v[216:217]
	v_pk_mul_f32 v[78:79], v[210:211], v[78:79] op_sel_hi:[1,0]
	v_mov_b32_e32 v75, v87
	v_pk_fma_f32 v[76:77], v[142:143], v[126:127], v[76:77] neg_lo:[0,0,1] neg_hi:[0,0,1]
	v_pk_mul_f32 v[80:81], v[146:147], v[130:131] op_sel:[1,1] op_sel_hi:[0,1]
	v_pk_add_f32 v[82:83], v[82:83], v[218:219]
	v_mov_b32_e32 v77, v89
	v_pk_fma_f32 v[88:89], v[144:145], v[128:129], v[78:79] op_sel_hi:[1,0,1]
	v_pk_fma_f32 v[78:79], v[144:145], v[128:129], v[78:79] neg_lo:[0,0,1] neg_hi:[0,0,1]
	v_pk_mul_f32 v[84:85], v[212:213], v[84:85] op_sel_hi:[1,0]
	v_pk_add_f32 v[74:75], v[82:83], v[74:75]
	v_pk_fma_f32 v[82:83], v[146:147], v[130:131], v[80:81] op_sel_hi:[1,0,1]
	v_mov_b32_e32 v79, v89
	v_pk_fma_f32 v[80:81], v[146:147], v[130:131], v[80:81] neg_lo:[0,0,1] neg_hi:[0,0,1]
	s_wait_loadcnt 0x2
	v_pk_mul_f32 v[86:87], v[150:151], v[134:135] op_sel:[1,1] op_sel_hi:[0,1]
	v_pk_add_f32 v[74:75], v[74:75], v[76:77]
	v_dual_mov_b32 v76, v137 :: v_dual_mov_b32 v81, v83
	v_pk_fma_f32 v[82:83], v[148:149], v[132:133], v[84:85] op_sel_hi:[1,0,1]
	v_pk_fma_f32 v[84:85], v[148:149], v[132:133], v[84:85] neg_lo:[0,0,1] neg_hi:[0,0,1]
	s_delay_alu instid0(VALU_DEP_4) | instskip(SKIP_3) | instid1(VALU_DEP_4)
	v_pk_add_f32 v[74:75], v[74:75], v[78:79]
	v_pk_fma_f32 v[78:79], v[150:151], v[134:135], v[86:87] op_sel_hi:[1,0,1]
	v_pk_mul_f32 v[76:77], v[214:215], v[76:77] op_sel_hi:[1,0]
	v_dual_mov_b32 v85, v83 :: v_dual_ashrrev_i32 v49, 31, v48
	v_pk_add_f32 v[74:75], v[74:75], v[80:81]
	v_pk_fma_f32 v[80:81], v[150:151], v[134:135], v[86:87] neg_lo:[0,0,1] neg_hi:[0,0,1]
	v_dual_mov_b32 v81, v79 :: v_dual_ashrrev_i32 v51, 31, v50
	v_pk_fma_f32 v[78:79], v[152:153], v[136:137], v[76:77] op_sel_hi:[1,0,1]
	s_delay_alu instid0(VALU_DEP_4)
	v_pk_add_f32 v[74:75], v[74:75], v[84:85]
	s_wait_loadcnt_dscnt 0x100
	v_pk_mul_f32 v[82:83], v[206:207], v[202:203] op_sel:[1,1] op_sel_hi:[0,1]
	v_pk_fma_f32 v[76:77], v[152:153], v[136:137], v[76:77] neg_lo:[0,0,1] neg_hi:[0,0,1]
	v_dual_ashrrev_i32 v53, 31, v52 :: v_dual_mov_b32 v77, v79
	v_pk_add_f32 v[74:75], v[74:75], v[80:81]
	s_delay_alu instid0(VALU_DEP_4)
	v_pk_fma_f32 v[78:79], v[206:207], v[202:203], v[82:83] op_sel_hi:[1,0,1]
	v_pk_fma_f32 v[80:81], v[206:207], v[202:203], v[82:83] neg_lo:[0,0,1] neg_hi:[0,0,1]
	v_dual_ashrrev_i32 v55, 31, v54 :: v_dual_ashrrev_i32 v57, 31, v56
	v_ashrrev_i32_e32 v59, 31, v58
	v_pk_add_f32 v[74:75], v[74:75], v[76:77]
	v_dual_mov_b32 v81, v79 :: v_dual_ashrrev_i32 v61, 31, v60
	v_dual_ashrrev_i32 v63, 31, v62 :: v_dual_ashrrev_i32 v65, 31, v64
	v_ashrrev_i32_e32 v67, 31, v66
	s_delay_alu instid0(VALU_DEP_3) | instskip(SKIP_2) | instid1(VALU_DEP_2)
	v_pk_add_f32 v[74:75], v[74:75], v[80:81]
	v_dual_ashrrev_i32 v69, 31, v68 :: v_dual_ashrrev_i32 v71, 31, v70
	s_wait_loadcnt 0x0
	v_pk_add_f32 v[74:75], v[204:205], v[74:75] neg_lo:[0,1] neg_hi:[0,1]
	scratch_store_b64 off, v[74:75], off offset:8
	s_wait_xcnt 0x0
	v_cmpx_ne_u32_e32 0, v0
	s_cbranch_execz .LBB98_223
; %bb.222:
	scratch_load_b64 v[74:75], off, off
	v_mov_b64_e32 v[76:77], 0
	scratch_store_b64 off, v[76:77], off
	s_wait_loadcnt 0x0
	ds_store_b64 v1, v[74:75]
.LBB98_223:
	s_wait_xcnt 0x0
	s_or_b32 exec_lo, exec_lo, s0
	s_wait_storecnt_dscnt 0x0
	s_barrier_signal -1
	s_barrier_wait -1
	s_clause 0x11
	scratch_load_b128 v[74:77], off, off offset:8
	scratch_load_b128 v[78:81], off, off offset:24
	;; [unrolled: 1-line block ×17, first 2 shown]
	scratch_load_b64 v[0:1], off, off
	ds_load_2addr_b64 v[142:145], v72 offset0:63 offset1:64
	ds_load_2addr_b64 v[146:149], v72 offset0:65 offset1:66
	;; [unrolled: 1-line block ×17, first 2 shown]
	s_and_b32 vcc_lo, exec_lo, s12
	s_wait_dscnt 0x10
	v_dual_mov_b32 v72, v145 :: v_dual_mov_b32 v73, v144
	s_wait_dscnt 0xf
	v_dual_mov_b32 v210, v149 :: v_dual_mov_b32 v211, v148
	;; [unrolled: 2-line block ×4, first 2 shown]
	s_wait_loadcnt_dscnt 0x110b
	v_dual_mul_f32 v216, v162, v75 :: v_dual_mul_f32 v218, v164, v77
	v_dual_mul_f32 v75, v163, v75 :: v_dual_mul_f32 v77, v165, v77
	s_wait_loadcnt_dscnt 0xe08
	v_dual_mul_f32 v224, v174, v87 :: v_dual_mul_f32 v225, v176, v89
	v_mul_f32_e32 v87, v175, v87
	s_delay_alu instid0(VALU_DEP_3)
	v_dual_fmac_f32 v216, v163, v74 :: v_dual_fma_f32 v74, v162, v74, -v75
	v_dual_mul_f32 v220, v166, v79 :: v_dual_mul_f32 v221, v168, v81
	v_dual_mul_f32 v79, v167, v79 :: v_dual_mul_f32 v81, v169, v81
	v_mul_f32_e32 v75, v177, v89
	v_dual_fmac_f32 v218, v165, v76 :: v_dual_fma_f32 v76, v164, v76, -v77
	v_dual_add_f32 v77, 0, v216 :: v_dual_add_f32 v74, 0, v74
	s_wait_loadcnt_dscnt 0xd07
	v_mul_f32_e32 v89, v179, v91
	v_dual_fmac_f32 v220, v167, v78 :: v_dual_fma_f32 v78, v166, v78, -v79
	s_delay_alu instid0(VALU_DEP_3) | instskip(SKIP_3) | instid1(VALU_DEP_3)
	v_dual_add_f32 v77, v77, v218 :: v_dual_fma_f32 v79, v168, v80, -v81
	v_add_f32_e32 v74, v74, v76
	v_dual_mul_f32 v222, v170, v83 :: v_dual_mul_f32 v223, v172, v85
	v_dual_mul_f32 v83, v171, v83 :: v_dual_mul_f32 v85, v173, v85
	v_dual_mul_f32 v76, v181, v93 :: v_dual_add_f32 v74, v74, v78
	s_wait_loadcnt_dscnt 0xc06
	v_dual_fmac_f32 v221, v169, v80 :: v_dual_mul_f32 v78, v183, v95
	v_dual_add_f32 v77, v77, v220 :: v_dual_fmac_f32 v222, v171, v82
	v_fma_f32 v80, v170, v82, -v83
	v_dual_add_f32 v74, v74, v79 :: v_dual_mul_f32 v79, v185, v97
	s_delay_alu instid0(VALU_DEP_3) | instskip(SKIP_2) | instid1(VALU_DEP_3)
	v_add_f32_e32 v77, v77, v221
	v_dual_fmac_f32 v223, v173, v84 :: v_dual_fma_f32 v81, v172, v84, -v85
	s_wait_loadcnt_dscnt 0xb05
	v_dual_add_f32 v74, v74, v80 :: v_dual_mul_f32 v80, v187, v99
	v_fma_f32 v82, v174, v86, -v87
	v_add_f32_e32 v77, v77, v222
	s_delay_alu instid0(VALU_DEP_3) | instskip(SKIP_1) | instid1(VALU_DEP_3)
	v_dual_fmac_f32 v224, v175, v86 :: v_dual_add_f32 v74, v74, v81
	v_dual_fmac_f32 v225, v177, v88 :: v_dual_mul_f32 v226, v178, v91
	v_dual_mul_f32 v227, v180, v93 :: v_dual_add_f32 v77, v77, v223
	v_dual_mul_f32 v81, v189, v101 :: v_dual_fma_f32 v75, v176, v88, -v75
	s_wait_loadcnt_dscnt 0xa04
	v_dual_add_f32 v74, v74, v82 :: v_dual_mul_f32 v82, v191, v103
	s_delay_alu instid0(VALU_DEP_3) | instskip(NEXT) | instid1(VALU_DEP_2)
	v_dual_fma_f32 v83, v178, v90, -v89 :: v_dual_add_f32 v77, v77, v224
	v_dual_fmac_f32 v226, v179, v90 :: v_dual_add_f32 v74, v74, v75
	v_dual_mul_f32 v75, v193, v105 :: v_dual_mul_f32 v228, v182, v95
	v_mul_f32_e32 v229, v184, v97
	s_delay_alu instid0(VALU_DEP_4)
	v_add_f32_e32 v77, v77, v225
	v_dual_fmac_f32 v227, v181, v92 :: v_dual_fma_f32 v76, v180, v92, -v76
	v_add_f32_e32 v74, v74, v83
	s_wait_loadcnt_dscnt 0x903
	v_dual_mul_f32 v83, v195, v107 :: v_dual_fma_f32 v78, v182, v94, -v78
	v_add_f32_e32 v77, v77, v226
	s_delay_alu instid0(VALU_DEP_3) | instskip(SKIP_1) | instid1(VALU_DEP_3)
	v_dual_fmac_f32 v228, v183, v94 :: v_dual_add_f32 v74, v74, v76
	v_dual_mul_f32 v76, v197, v109 :: v_dual_mul_f32 v230, v186, v99
	v_dual_mul_f32 v231, v188, v101 :: v_dual_add_f32 v77, v77, v227
	v_dual_fmac_f32 v229, v185, v96 :: v_dual_fma_f32 v79, v184, v96, -v79
	s_wait_loadcnt_dscnt 0x802
	v_dual_add_f32 v74, v74, v78 :: v_dual_mul_f32 v78, v199, v111
	s_delay_alu instid0(VALU_DEP_3) | instskip(NEXT) | instid1(VALU_DEP_2)
	v_dual_fma_f32 v80, v186, v98, -v80 :: v_dual_add_f32 v77, v77, v228
	v_dual_fmac_f32 v230, v187, v98 :: v_dual_add_f32 v74, v74, v79
	v_dual_mul_f32 v79, v201, v113 :: v_dual_mul_f32 v232, v190, v103
	v_mul_f32_e32 v233, v192, v105
	s_delay_alu instid0(VALU_DEP_4)
	v_add_f32_e32 v77, v77, v229
	v_dual_fmac_f32 v231, v189, v100 :: v_dual_fma_f32 v81, v188, v100, -v81
	s_wait_loadcnt_dscnt 0x701
	v_dual_add_f32 v74, v74, v80 :: v_dual_mul_f32 v80, v203, v115
	v_fma_f32 v82, v190, v102, -v82
	v_add_f32_e32 v77, v77, v230
	s_delay_alu instid0(VALU_DEP_3) | instskip(SKIP_1) | instid1(VALU_DEP_3)
	v_dual_fmac_f32 v232, v191, v102 :: v_dual_add_f32 v74, v74, v81
	v_dual_fmac_f32 v233, v193, v104 :: v_dual_mul_f32 v234, v194, v107
	v_dual_mul_f32 v235, v196, v109 :: v_dual_add_f32 v77, v77, v231
	v_dual_mul_f32 v81, v205, v117 :: v_dual_fma_f32 v75, v192, v104, -v75
	s_wait_loadcnt_dscnt 0x600
	v_dual_add_f32 v74, v74, v82 :: v_dual_mul_f32 v82, v207, v119
	s_delay_alu instid0(VALU_DEP_3) | instskip(NEXT) | instid1(VALU_DEP_2)
	v_dual_fma_f32 v83, v194, v106, -v83 :: v_dual_add_f32 v77, v77, v232
	v_dual_fmac_f32 v234, v195, v106 :: v_dual_add_f32 v74, v74, v75
	v_dual_mul_f32 v84, v209, v121 :: v_dual_mul_f32 v236, v198, v111
	v_mul_f32_e32 v237, v200, v113
	s_delay_alu instid0(VALU_DEP_4)
	v_add_f32_e32 v77, v77, v233
	v_dual_fmac_f32 v235, v197, v108 :: v_dual_fma_f32 v75, v196, v108, -v76
	v_add_f32_e32 v74, v74, v83
	v_fma_f32 v78, v198, v110, -v78
	s_wait_loadcnt 0x5
	v_dual_add_f32 v76, v77, v234 :: v_dual_mul_f32 v77, v159, v123
	s_delay_alu instid0(VALU_DEP_3) | instskip(NEXT) | instid1(VALU_DEP_2)
	v_dual_fmac_f32 v236, v199, v110 :: v_dual_add_f32 v74, v74, v75
	v_dual_mul_f32 v86, v161, v125 :: v_dual_add_f32 v76, v76, v235
	v_dual_mul_f32 v238, v202, v115 :: v_dual_mul_f32 v239, v204, v117
	v_dual_fmac_f32 v237, v201, v112 :: v_dual_fma_f32 v79, v200, v112, -v79
	s_delay_alu instid0(VALU_DEP_3) | instskip(NEXT) | instid1(VALU_DEP_3)
	v_dual_add_f32 v76, v76, v236 :: v_dual_add_f32 v78, v74, v78
	v_dual_fmac_f32 v238, v203, v114 :: v_dual_fma_f32 v80, v202, v114, -v80
	v_dual_mul_f32 v240, v206, v119 :: v_dual_mul_f32 v241, v208, v121
	s_delay_alu instid0(VALU_DEP_3) | instskip(SKIP_2) | instid1(VALU_DEP_2)
	v_dual_add_f32 v83, v76, v237 :: v_dual_add_f32 v78, v78, v79
	s_wait_loadcnt 0x4
	v_dual_mov_b32 v76, v129 :: v_dual_fma_f32 v81, v204, v116, -v81
	v_dual_fmac_f32 v239, v205, v116 :: v_dual_add_f32 v83, v83, v238
	s_delay_alu instid0(VALU_DEP_3) | instskip(SKIP_2) | instid1(VALU_DEP_3)
	v_dual_add_f32 v80, v78, v80 :: v_dual_fmac_f32 v240, v207, v118
	v_fma_f32 v82, v206, v118, -v82
	v_dual_mul_f32 v217, v158, v123 :: v_dual_mul_f32 v219, v160, v125
	v_dual_add_f32 v83, v83, v239 :: v_dual_add_f32 v81, v80, v81
	s_wait_loadcnt 0x3
	v_mov_b32_e32 v80, v133
	v_dual_fmac_f32 v241, v209, v120 :: v_dual_fma_f32 v84, v208, v120, -v84
	s_delay_alu instid0(VALU_DEP_3) | instskip(SKIP_2) | instid1(VALU_DEP_3)
	v_dual_add_f32 v85, v83, v240 :: v_dual_add_f32 v81, v81, v82
	v_pk_mul_f32 v[74:75], v[142:143], v[126:127] op_sel:[1,1] op_sel_hi:[0,1]
	v_fmac_f32_e32 v217, v159, v122
	v_dual_fma_f32 v216, v158, v122, -v77 :: v_dual_add_f32 v85, v85, v241
	s_delay_alu instid0(VALU_DEP_4) | instskip(SKIP_3) | instid1(VALU_DEP_4)
	v_add_f32_e32 v84, v81, v84
	v_dual_fmac_f32 v219, v161, v124 :: v_dual_fma_f32 v218, v160, v124, -v86
	v_pk_fma_f32 v[86:87], v[142:143], v[126:127], v[74:75] op_sel_hi:[1,0,1]
	v_pk_mul_f32 v[72:73], v[72:73], v[76:77] op_sel_hi:[1,0]
	v_pk_add_f32 v[76:77], v[84:85], v[216:217]
	v_pk_fma_f32 v[74:75], v[142:143], v[126:127], v[74:75] neg_lo:[0,0,1] neg_hi:[0,0,1]
	v_pk_mul_f32 v[78:79], v[146:147], v[130:131] op_sel:[1,1] op_sel_hi:[0,1]
	s_wait_loadcnt 0x2
	v_dual_mov_b32 v84, v137 :: v_dual_mov_b32 v75, v87
	v_pk_fma_f32 v[86:87], v[144:145], v[128:129], v[72:73] op_sel_hi:[1,0,1]
	v_pk_add_f32 v[76:77], v[76:77], v[218:219]
	v_pk_fma_f32 v[72:73], v[144:145], v[128:129], v[72:73] neg_lo:[0,0,1] neg_hi:[0,0,1]
	v_pk_fma_f32 v[88:89], v[146:147], v[130:131], v[78:79] op_sel_hi:[1,0,1]
	v_pk_mul_f32 v[80:81], v[210:211], v[80:81] op_sel_hi:[1,0]
	v_mov_b32_e32 v73, v87
	v_pk_add_f32 v[74:75], v[76:77], v[74:75]
	v_pk_fma_f32 v[78:79], v[146:147], v[130:131], v[78:79] neg_lo:[0,0,1] neg_hi:[0,0,1]
	v_pk_mul_f32 v[82:83], v[150:151], v[134:135] op_sel:[1,1] op_sel_hi:[0,1]
	v_mov_b32_e32 v79, v89
	v_pk_fma_f32 v[86:87], v[148:149], v[132:133], v[80:81] op_sel_hi:[1,0,1]
	v_pk_add_f32 v[72:73], v[74:75], v[72:73]
	v_pk_fma_f32 v[80:81], v[148:149], v[132:133], v[80:81] neg_lo:[0,0,1] neg_hi:[0,0,1]
	v_pk_fma_f32 v[74:75], v[150:151], v[134:135], v[82:83] op_sel_hi:[1,0,1]
	v_pk_mul_f32 v[84:85], v[212:213], v[84:85] op_sel_hi:[1,0]
	s_wait_loadcnt 0x1
	v_dual_mov_b32 v81, v87 :: v_dual_mov_b32 v74, v141
	v_pk_add_f32 v[72:73], v[72:73], v[78:79]
	v_pk_fma_f32 v[78:79], v[150:151], v[134:135], v[82:83] neg_lo:[0,0,1] neg_hi:[0,0,1]
	v_pk_mul_f32 v[76:77], v[154:155], v[138:139] op_sel:[1,1] op_sel_hi:[0,1]
	v_pk_fma_f32 v[82:83], v[152:153], v[136:137], v[84:85] op_sel_hi:[1,0,1]
	v_mov_b32_e32 v79, v75
	v_pk_add_f32 v[72:73], v[72:73], v[80:81]
	v_pk_fma_f32 v[84:85], v[152:153], v[136:137], v[84:85] neg_lo:[0,0,1] neg_hi:[0,0,1]
	v_pk_fma_f32 v[80:81], v[154:155], v[138:139], v[76:77] op_sel_hi:[1,0,1]
	v_pk_mul_f32 v[74:75], v[214:215], v[74:75] op_sel_hi:[1,0]
	v_mov_b32_e32 v85, v83
	v_pk_add_f32 v[72:73], v[72:73], v[78:79]
	v_pk_fma_f32 v[76:77], v[154:155], v[138:139], v[76:77] neg_lo:[0,0,1] neg_hi:[0,0,1]
	s_delay_alu instid0(VALU_DEP_4) | instskip(SKIP_1) | instid1(VALU_DEP_4)
	v_pk_fma_f32 v[78:79], v[156:157], v[140:141], v[74:75] op_sel_hi:[1,0,1]
	v_mov_b32_e32 v77, v81
	v_pk_add_f32 v[72:73], v[72:73], v[84:85]
	v_pk_fma_f32 v[74:75], v[156:157], v[140:141], v[74:75] neg_lo:[0,0,1] neg_hi:[0,0,1]
	s_delay_alu instid0(VALU_DEP_4) | instskip(NEXT) | instid1(VALU_DEP_3)
	v_mov_b32_e32 v75, v79
	v_pk_add_f32 v[72:73], v[72:73], v[76:77]
	s_delay_alu instid0(VALU_DEP_1) | instskip(SKIP_1) | instid1(VALU_DEP_1)
	v_pk_add_f32 v[72:73], v[72:73], v[74:75]
	s_wait_loadcnt 0x0
	v_pk_add_f32 v[72:73], v[0:1], v[72:73] neg_lo:[0,1] neg_hi:[0,1]
	scratch_store_b64 off, v[72:73], off
	s_cbranch_vccz .LBB98_292
; %bb.224:
	v_mov_b32_e32 v0, 0
	global_load_b32 v1, v0, s[8:9] offset:132
	s_wait_loadcnt 0x0
	v_cmp_ne_u32_e32 vcc_lo, 34, v1
	s_cbranch_vccz .LBB98_226
; %bb.225:
	v_lshlrev_b32_e32 v1, 3, v1
	scratch_load_b64 v[72:73], v1, off offset:-8
	scratch_load_b64 v[74:75], off, off offset:264
	s_wait_loadcnt 0x1
	scratch_store_b64 off, v[72:73], off offset:264
	s_wait_loadcnt 0x0
	scratch_store_b64 v1, v[74:75], off offset:-8
.LBB98_226:
	global_load_b32 v0, v0, s[8:9] offset:128
	s_wait_loadcnt 0x0
	v_cmp_eq_u32_e32 vcc_lo, 33, v0
	s_cbranch_vccnz .LBB98_228
; %bb.227:
	s_wait_xcnt 0x0
	v_lshlrev_b32_e32 v0, 3, v0
	s_delay_alu instid0(VALU_DEP_1)
	v_mov_b32_e32 v74, v0
	scratch_load_b64 v[0:1], v74, off offset:-8
	scratch_load_b64 v[72:73], off, off offset:256
	s_wait_loadcnt 0x1
	scratch_store_b64 off, v[0:1], off offset:256
	s_wait_loadcnt 0x0
	scratch_store_b64 v74, v[72:73], off offset:-8
.LBB98_228:
	s_wait_xcnt 0x0
	v_mov_b32_e32 v0, 0
	global_load_b32 v1, v0, s[8:9] offset:124
	s_wait_loadcnt 0x0
	v_cmp_eq_u32_e32 vcc_lo, 32, v1
	s_cbranch_vccnz .LBB98_230
; %bb.229:
	v_lshlrev_b32_e32 v1, 3, v1
	scratch_load_b64 v[72:73], v1, off offset:-8
	scratch_load_b64 v[74:75], off, off offset:248
	s_wait_loadcnt 0x1
	scratch_store_b64 off, v[72:73], off offset:248
	s_wait_loadcnt 0x0
	scratch_store_b64 v1, v[74:75], off offset:-8
.LBB98_230:
	global_load_b32 v0, v0, s[8:9] offset:120
	s_wait_loadcnt 0x0
	v_cmp_eq_u32_e32 vcc_lo, 31, v0
	s_cbranch_vccnz .LBB98_232
; %bb.231:
	s_wait_xcnt 0x0
	v_lshlrev_b32_e32 v0, 3, v0
	s_delay_alu instid0(VALU_DEP_1)
	v_mov_b32_e32 v74, v0
	scratch_load_b64 v[0:1], v74, off offset:-8
	scratch_load_b64 v[72:73], off, off offset:240
	s_wait_loadcnt 0x1
	scratch_store_b64 off, v[0:1], off offset:240
	s_wait_loadcnt 0x0
	scratch_store_b64 v74, v[72:73], off offset:-8
.LBB98_232:
	s_wait_xcnt 0x0
	v_mov_b32_e32 v0, 0
	global_load_b32 v1, v0, s[8:9] offset:116
	s_wait_loadcnt 0x0
	v_cmp_eq_u32_e32 vcc_lo, 30, v1
	s_cbranch_vccnz .LBB98_234
; %bb.233:
	v_lshlrev_b32_e32 v1, 3, v1
	scratch_load_b64 v[72:73], v1, off offset:-8
	scratch_load_b64 v[74:75], off, off offset:232
	s_wait_loadcnt 0x1
	scratch_store_b64 off, v[72:73], off offset:232
	s_wait_loadcnt 0x0
	scratch_store_b64 v1, v[74:75], off offset:-8
.LBB98_234:
	;; [unrolled: 31-line block ×16, first 2 shown]
	global_load_b32 v0, v0, s[8:9]
	scratch_load_b64 v[72:73], off, off
	s_wait_loadcnt 0x1
	v_cmp_eq_u32_e32 vcc_lo, 1, v0
	s_cbranch_vccnz .LBB98_292
; %bb.291:
	s_wait_xcnt 0x1
	v_lshlrev_b32_e32 v0, 3, v0
	s_delay_alu instid0(VALU_DEP_1)
	v_mov_b32_e32 v74, v0
	scratch_load_b64 v[0:1], v74, off offset:-8
	s_wait_loadcnt 0x0
	scratch_store_b64 off, v[0:1], off
	scratch_store_b64 v74, v[72:73], off offset:-8
	scratch_load_b64 v[72:73], off, off
.LBB98_292:
	s_wait_loadcnt 0x0
	flat_store_b64 v[2:3], v[72:73]
	scratch_load_b64 v[2:3], off, off offset:8
	v_lshl_add_u64 v[104:105], v[6:7], 3, s[2:3]
	v_lshl_add_u64 v[102:103], v[8:9], 3, s[2:3]
	v_lshl_add_u64 v[100:101], v[10:11], 3, s[2:3]
	v_lshl_add_u64 v[98:99], v[12:13], 3, s[2:3]
	v_lshl_add_u64 v[96:97], v[14:15], 3, s[2:3]
	v_lshl_add_u64 v[94:95], v[16:17], 3, s[2:3]
	v_lshl_add_u64 v[92:93], v[18:19], 3, s[2:3]
	v_lshl_add_u64 v[90:91], v[20:21], 3, s[2:3]
	v_lshl_add_u64 v[88:89], v[22:23], 3, s[2:3]
	v_lshl_add_u64 v[86:87], v[24:25], 3, s[2:3]
	v_lshl_add_u64 v[84:85], v[26:27], 3, s[2:3]
	v_lshl_add_u64 v[82:83], v[28:29], 3, s[2:3]
	v_lshl_add_u64 v[80:81], v[30:31], 3, s[2:3]
	v_lshl_add_u64 v[78:79], v[32:33], 3, s[2:3]
	v_lshl_add_u64 v[76:77], v[34:35], 3, s[2:3]
	v_lshl_add_u64 v[74:75], v[36:37], 3, s[2:3]
	v_lshl_add_u64 v[36:37], v[38:39], 3, s[2:3]
	v_lshl_add_u64 v[34:35], v[40:41], 3, s[2:3]
	v_lshl_add_u64 v[32:33], v[42:43], 3, s[2:3]
	v_lshl_add_u64 v[30:31], v[44:45], 3, s[2:3]
	v_lshl_add_u64 v[28:29], v[46:47], 3, s[2:3]
	v_lshl_add_u64 v[26:27], v[48:49], 3, s[2:3]
	v_lshl_add_u64 v[24:25], v[50:51], 3, s[2:3]
	v_lshl_add_u64 v[22:23], v[52:53], 3, s[2:3]
	v_lshl_add_u64 v[20:21], v[54:55], 3, s[2:3]
	v_lshl_add_u64 v[18:19], v[56:57], 3, s[2:3]
	v_lshl_add_u64 v[16:17], v[58:59], 3, s[2:3]
	v_lshl_add_u64 v[14:15], v[60:61], 3, s[2:3]
	v_lshl_add_u64 v[12:13], v[62:63], 3, s[2:3]
	v_lshl_add_u64 v[10:11], v[64:65], 3, s[2:3]
	v_lshl_add_u64 v[8:9], v[66:67], 3, s[2:3]
	v_lshl_add_u64 v[6:7], v[68:69], 3, s[2:3]
	v_lshl_add_u64 v[0:1], v[70:71], 3, s[2:3]
	s_wait_loadcnt 0x0
	flat_store_b64 v[4:5], v[2:3]
	scratch_load_b64 v[2:3], off, off offset:16
	s_wait_loadcnt 0x0
	flat_store_b64 v[104:105], v[2:3]
	scratch_load_b64 v[2:3], off, off offset:24
	;; [unrolled: 3-line block ×33, first 2 shown]
	s_wait_loadcnt 0x0
	flat_store_b64 v[0:1], v[2:3]
	s_sendmsg sendmsg(MSG_DEALLOC_VGPRS)
	s_endpgm
	.section	.rodata,"a",@progbits
	.p2align	6, 0x0
	.amdhsa_kernel _ZN9rocsolver6v33100L18getri_kernel_smallILi35E19rocblas_complex_numIfEPKPS3_EEvT1_iilPiilS8_bb
		.amdhsa_group_segment_fixed_size 568
		.amdhsa_private_segment_fixed_size 288
		.amdhsa_kernarg_size 60
		.amdhsa_user_sgpr_count 2
		.amdhsa_user_sgpr_dispatch_ptr 0
		.amdhsa_user_sgpr_queue_ptr 0
		.amdhsa_user_sgpr_kernarg_segment_ptr 1
		.amdhsa_user_sgpr_dispatch_id 0
		.amdhsa_user_sgpr_kernarg_preload_length 0
		.amdhsa_user_sgpr_kernarg_preload_offset 0
		.amdhsa_user_sgpr_private_segment_size 0
		.amdhsa_wavefront_size32 1
		.amdhsa_uses_dynamic_stack 0
		.amdhsa_enable_private_segment 1
		.amdhsa_system_sgpr_workgroup_id_x 1
		.amdhsa_system_sgpr_workgroup_id_y 0
		.amdhsa_system_sgpr_workgroup_id_z 0
		.amdhsa_system_sgpr_workgroup_info 0
		.amdhsa_system_vgpr_workitem_id 0
		.amdhsa_next_free_vgpr 242
		.amdhsa_next_free_sgpr 19
		.amdhsa_named_barrier_count 0
		.amdhsa_reserve_vcc 1
		.amdhsa_float_round_mode_32 0
		.amdhsa_float_round_mode_16_64 0
		.amdhsa_float_denorm_mode_32 3
		.amdhsa_float_denorm_mode_16_64 3
		.amdhsa_fp16_overflow 0
		.amdhsa_memory_ordered 1
		.amdhsa_forward_progress 1
		.amdhsa_inst_pref_size 255
		.amdhsa_round_robin_scheduling 0
		.amdhsa_exception_fp_ieee_invalid_op 0
		.amdhsa_exception_fp_denorm_src 0
		.amdhsa_exception_fp_ieee_div_zero 0
		.amdhsa_exception_fp_ieee_overflow 0
		.amdhsa_exception_fp_ieee_underflow 0
		.amdhsa_exception_fp_ieee_inexact 0
		.amdhsa_exception_int_div_zero 0
	.end_amdhsa_kernel
	.section	.text._ZN9rocsolver6v33100L18getri_kernel_smallILi35E19rocblas_complex_numIfEPKPS3_EEvT1_iilPiilS8_bb,"axG",@progbits,_ZN9rocsolver6v33100L18getri_kernel_smallILi35E19rocblas_complex_numIfEPKPS3_EEvT1_iilPiilS8_bb,comdat
.Lfunc_end98:
	.size	_ZN9rocsolver6v33100L18getri_kernel_smallILi35E19rocblas_complex_numIfEPKPS3_EEvT1_iilPiilS8_bb, .Lfunc_end98-_ZN9rocsolver6v33100L18getri_kernel_smallILi35E19rocblas_complex_numIfEPKPS3_EEvT1_iilPiilS8_bb
                                        ; -- End function
	.set _ZN9rocsolver6v33100L18getri_kernel_smallILi35E19rocblas_complex_numIfEPKPS3_EEvT1_iilPiilS8_bb.num_vgpr, 242
	.set _ZN9rocsolver6v33100L18getri_kernel_smallILi35E19rocblas_complex_numIfEPKPS3_EEvT1_iilPiilS8_bb.num_agpr, 0
	.set _ZN9rocsolver6v33100L18getri_kernel_smallILi35E19rocblas_complex_numIfEPKPS3_EEvT1_iilPiilS8_bb.numbered_sgpr, 19
	.set _ZN9rocsolver6v33100L18getri_kernel_smallILi35E19rocblas_complex_numIfEPKPS3_EEvT1_iilPiilS8_bb.num_named_barrier, 0
	.set _ZN9rocsolver6v33100L18getri_kernel_smallILi35E19rocblas_complex_numIfEPKPS3_EEvT1_iilPiilS8_bb.private_seg_size, 288
	.set _ZN9rocsolver6v33100L18getri_kernel_smallILi35E19rocblas_complex_numIfEPKPS3_EEvT1_iilPiilS8_bb.uses_vcc, 1
	.set _ZN9rocsolver6v33100L18getri_kernel_smallILi35E19rocblas_complex_numIfEPKPS3_EEvT1_iilPiilS8_bb.uses_flat_scratch, 1
	.set _ZN9rocsolver6v33100L18getri_kernel_smallILi35E19rocblas_complex_numIfEPKPS3_EEvT1_iilPiilS8_bb.has_dyn_sized_stack, 0
	.set _ZN9rocsolver6v33100L18getri_kernel_smallILi35E19rocblas_complex_numIfEPKPS3_EEvT1_iilPiilS8_bb.has_recursion, 0
	.set _ZN9rocsolver6v33100L18getri_kernel_smallILi35E19rocblas_complex_numIfEPKPS3_EEvT1_iilPiilS8_bb.has_indirect_call, 0
	.section	.AMDGPU.csdata,"",@progbits
; Kernel info:
; codeLenInByte = 51656
; TotalNumSgprs: 21
; NumVgprs: 242
; ScratchSize: 288
; MemoryBound: 0
; FloatMode: 240
; IeeeMode: 1
; LDSByteSize: 568 bytes/workgroup (compile time only)
; SGPRBlocks: 0
; VGPRBlocks: 15
; NumSGPRsForWavesPerEU: 21
; NumVGPRsForWavesPerEU: 242
; NamedBarCnt: 0
; Occupancy: 4
; WaveLimiterHint : 1
; COMPUTE_PGM_RSRC2:SCRATCH_EN: 1
; COMPUTE_PGM_RSRC2:USER_SGPR: 2
; COMPUTE_PGM_RSRC2:TRAP_HANDLER: 0
; COMPUTE_PGM_RSRC2:TGID_X_EN: 1
; COMPUTE_PGM_RSRC2:TGID_Y_EN: 0
; COMPUTE_PGM_RSRC2:TGID_Z_EN: 0
; COMPUTE_PGM_RSRC2:TIDIG_COMP_CNT: 0
	.section	.text._ZN9rocsolver6v33100L18getri_kernel_smallILi36E19rocblas_complex_numIfEPKPS3_EEvT1_iilPiilS8_bb,"axG",@progbits,_ZN9rocsolver6v33100L18getri_kernel_smallILi36E19rocblas_complex_numIfEPKPS3_EEvT1_iilPiilS8_bb,comdat
	.globl	_ZN9rocsolver6v33100L18getri_kernel_smallILi36E19rocblas_complex_numIfEPKPS3_EEvT1_iilPiilS8_bb ; -- Begin function _ZN9rocsolver6v33100L18getri_kernel_smallILi36E19rocblas_complex_numIfEPKPS3_EEvT1_iilPiilS8_bb
	.p2align	8
	.type	_ZN9rocsolver6v33100L18getri_kernel_smallILi36E19rocblas_complex_numIfEPKPS3_EEvT1_iilPiilS8_bb,@function
_ZN9rocsolver6v33100L18getri_kernel_smallILi36E19rocblas_complex_numIfEPKPS3_EEvT1_iilPiilS8_bb: ; @_ZN9rocsolver6v33100L18getri_kernel_smallILi36E19rocblas_complex_numIfEPKPS3_EEvT1_iilPiilS8_bb
; %bb.0:
	s_mov_b32 s2, exec_lo
	v_cmpx_gt_u32_e32 36, v0
	s_cbranch_execz .LBB99_158
; %bb.1:
	s_clause 0x1
	s_load_b32 s13, s[0:1], 0x38
	s_load_b64 s[2:3], s[0:1], 0x0
	s_getreg_b32 s6, hwreg(HW_REG_IB_STS2, 6, 4)
	s_wait_kmcnt 0x0
	s_bitcmp1_b32 s13, 8
	s_cselect_b32 s12, -1, 0
	s_bfe_u32 s4, ttmp6, 0x4000c
	s_and_b32 s5, ttmp6, 15
	s_add_co_i32 s4, s4, 1
	s_delay_alu instid0(SALU_CYCLE_1) | instskip(NEXT) | instid1(SALU_CYCLE_1)
	s_mul_i32 s4, ttmp9, s4
	s_add_co_i32 s5, s5, s4
	s_cmp_eq_u32 s6, 0
	s_cselect_b32 s10, ttmp9, s5
	s_load_b128 s[4:7], s[0:1], 0x28
	s_ashr_i32 s11, s10, 31
	s_delay_alu instid0(SALU_CYCLE_1) | instskip(NEXT) | instid1(SALU_CYCLE_1)
	s_lshl_b64 s[8:9], s[10:11], 3
	s_add_nc_u64 s[2:3], s[2:3], s[8:9]
	s_bfe_u32 s8, s13, 0x10008
	s_load_b64 s[2:3], s[2:3], 0x0
	s_cmp_eq_u32 s8, 0
                                        ; implicit-def: $sgpr8_sgpr9
	s_cbranch_scc1 .LBB99_3
; %bb.2:
	s_load_b96 s[16:18], s[0:1], 0x18
	s_wait_kmcnt 0x0
	s_mul_u64 s[4:5], s[4:5], s[10:11]
	s_delay_alu instid0(SALU_CYCLE_1) | instskip(SKIP_4) | instid1(SALU_CYCLE_1)
	s_lshl_b64 s[4:5], s[4:5], 2
	s_ashr_i32 s9, s18, 31
	s_mov_b32 s8, s18
	s_add_nc_u64 s[4:5], s[16:17], s[4:5]
	s_lshl_b64 s[8:9], s[8:9], 2
	s_add_nc_u64 s[8:9], s[4:5], s[8:9]
.LBB99_3:
	s_wait_kmcnt 0x0
	s_clause 0x1
	s_load_b64 s[4:5], s[0:1], 0x8
	s_load_b32 s13, s[0:1], 0x38
	v_dual_mov_b32 v75, 0 :: v_dual_lshlrev_b32 v74, 3, v0
	s_wait_kmcnt 0x0
	s_ashr_i32 s1, s4, 31
	s_mov_b32 s0, s4
	s_delay_alu instid0(SALU_CYCLE_1) | instskip(NEXT) | instid1(SALU_CYCLE_1)
	s_lshl_b64 s[0:1], s[0:1], 3
	s_add_nc_u64 s[2:3], s[2:3], s[0:1]
	s_ashr_i32 s1, s5, 31
	flat_load_b64 v[6:7], v0, s[2:3] scale_offset
	v_add_nc_u64_e32 v[2:3], s[2:3], v[74:75]
	s_mov_b32 s0, s5
	s_bitcmp0_b32 s13, 0
	s_delay_alu instid0(VALU_DEP_1)
	v_lshl_add_u64 v[4:5], s[0:1], 3, v[2:3]
	s_mov_b32 s1, -1
	s_wait_loadcnt_dscnt 0x0
	scratch_store_b64 off, v[6:7], off
	flat_load_b64 v[8:9], v[4:5]
	s_wait_xcnt 0x1
	v_add3_u32 v6, s5, s5, v0
	s_wait_loadcnt_dscnt 0x0
	scratch_store_b64 off, v[8:9], off offset:8
	flat_load_b64 v[10:11], v6, s[2:3] scale_offset
	s_wait_xcnt 0x1
	v_add_nc_u32_e32 v8, s5, v6
	s_wait_loadcnt_dscnt 0x0
	scratch_store_b64 off, v[10:11], off offset:16
	flat_load_b64 v[12:13], v8, s[2:3] scale_offset
	s_wait_xcnt 0x1
	v_add_nc_u32_e32 v10, s5, v8
	;; [unrolled: 5-line block ×33, first 2 shown]
	s_wait_loadcnt_dscnt 0x0
	scratch_store_b64 off, v[76:77], off offset:272
	flat_load_b64 v[76:77], v72, s[2:3] scale_offset
	s_wait_loadcnt_dscnt 0x0
	scratch_store_b64 off, v[76:77], off offset:280
	s_cbranch_scc1 .LBB99_156
; %bb.4:
	v_cmp_eq_u32_e64 s0, 0, v0
	s_wait_xcnt 0x0
	s_and_saveexec_b32 s1, s0
; %bb.5:
	v_mov_b32_e32 v1, 0
	ds_store_b32 v1, v1 offset:576
; %bb.6:
	s_or_b32 exec_lo, exec_lo, s1
	s_wait_storecnt_dscnt 0x0
	s_barrier_signal -1
	s_barrier_wait -1
	scratch_load_b64 v[76:77], v0, off scale_offset
	s_wait_loadcnt 0x0
	v_cmp_eq_f32_e32 vcc_lo, 0, v76
	v_cmp_eq_f32_e64 s1, 0, v77
	s_and_b32 s1, vcc_lo, s1
	s_delay_alu instid0(SALU_CYCLE_1)
	s_and_saveexec_b32 s4, s1
	s_cbranch_execz .LBB99_10
; %bb.7:
	v_mov_b32_e32 v1, 0
	s_mov_b32 s5, 0
	ds_load_b32 v7, v1 offset:576
	s_wait_dscnt 0x0
	v_readfirstlane_b32 s1, v7
	v_add_nc_u32_e32 v7, 1, v0
	s_cmp_eq_u32 s1, 0
	s_delay_alu instid0(VALU_DEP_1) | instskip(SKIP_1) | instid1(SALU_CYCLE_1)
	v_cmp_gt_i32_e32 vcc_lo, s1, v7
	s_cselect_b32 s13, -1, 0
	s_or_b32 s13, s13, vcc_lo
	s_delay_alu instid0(SALU_CYCLE_1)
	s_and_b32 exec_lo, exec_lo, s13
	s_cbranch_execz .LBB99_10
; %bb.8:
	v_mov_b32_e32 v9, s1
.LBB99_9:                               ; =>This Inner Loop Header: Depth=1
	ds_cmpstore_rtn_b32 v9, v1, v7, v9 offset:576
	s_wait_dscnt 0x0
	v_cmp_ne_u32_e32 vcc_lo, 0, v9
	v_cmp_le_i32_e64 s1, v9, v7
	s_and_b32 s1, vcc_lo, s1
	s_delay_alu instid0(SALU_CYCLE_1) | instskip(NEXT) | instid1(SALU_CYCLE_1)
	s_and_b32 s1, exec_lo, s1
	s_or_b32 s5, s1, s5
	s_delay_alu instid0(SALU_CYCLE_1)
	s_and_not1_b32 exec_lo, exec_lo, s5
	s_cbranch_execnz .LBB99_9
.LBB99_10:
	s_or_b32 exec_lo, exec_lo, s4
	v_mov_b32_e32 v1, 0
	s_barrier_signal -1
	s_barrier_wait -1
	ds_load_b32 v7, v1 offset:576
	s_and_saveexec_b32 s1, s0
	s_cbranch_execz .LBB99_12
; %bb.11:
	s_lshl_b64 s[4:5], s[10:11], 2
	s_delay_alu instid0(SALU_CYCLE_1)
	s_add_nc_u64 s[4:5], s[6:7], s[4:5]
	s_wait_dscnt 0x0
	global_store_b32 v1, v7, s[4:5]
.LBB99_12:
	s_wait_xcnt 0x0
	s_or_b32 exec_lo, exec_lo, s1
	s_wait_dscnt 0x0
	v_cmp_ne_u32_e32 vcc_lo, 0, v7
	s_mov_b32 s1, 0
	s_cbranch_vccnz .LBB99_156
; %bb.13:
	v_lshl_add_u32 v7, v0, 3, 0
                                        ; implicit-def: $vgpr79
                                        ; implicit-def: $vgpr80
	scratch_load_b64 v[76:77], v7, off
	s_wait_loadcnt 0x0
	v_cmp_ngt_f32_e64 s1, |v76|, |v77|
	s_wait_xcnt 0x0
	s_and_saveexec_b32 s4, s1
	s_delay_alu instid0(SALU_CYCLE_1)
	s_xor_b32 s1, exec_lo, s4
	s_cbranch_execz .LBB99_15
; %bb.14:
	v_div_scale_f32 v1, null, v77, v77, v76
	v_div_scale_f32 v13, vcc_lo, v76, v77, v76
	s_delay_alu instid0(VALU_DEP_2) | instskip(SKIP_1) | instid1(TRANS32_DEP_1)
	v_rcp_f32_e32 v9, v1
	v_nop
	v_fma_f32 v11, -v1, v9, 1.0
	s_delay_alu instid0(VALU_DEP_1) | instskip(NEXT) | instid1(VALU_DEP_1)
	v_fmac_f32_e32 v9, v11, v9
	v_mul_f32_e32 v11, v13, v9
	s_delay_alu instid0(VALU_DEP_1) | instskip(NEXT) | instid1(VALU_DEP_1)
	v_fma_f32 v15, -v1, v11, v13
	v_fmac_f32_e32 v11, v15, v9
	s_delay_alu instid0(VALU_DEP_1) | instskip(NEXT) | instid1(VALU_DEP_1)
	v_fma_f32 v1, -v1, v11, v13
	v_div_fmas_f32 v1, v1, v9, v11
	s_delay_alu instid0(VALU_DEP_1) | instskip(NEXT) | instid1(VALU_DEP_1)
	v_div_fixup_f32 v1, v1, v77, v76
	v_fmac_f32_e32 v77, v76, v1
	s_delay_alu instid0(VALU_DEP_1) | instskip(NEXT) | instid1(VALU_DEP_1)
	v_div_scale_f32 v9, null, v77, v77, -1.0
	v_rcp_f32_e32 v11, v9
	v_nop
	s_delay_alu instid0(TRANS32_DEP_1) | instskip(NEXT) | instid1(VALU_DEP_1)
	v_fma_f32 v13, -v9, v11, 1.0
	v_fmac_f32_e32 v11, v13, v11
	v_div_scale_f32 v13, vcc_lo, -1.0, v77, -1.0
	s_delay_alu instid0(VALU_DEP_1) | instskip(NEXT) | instid1(VALU_DEP_1)
	v_mul_f32_e32 v15, v13, v11
	v_fma_f32 v17, -v9, v15, v13
	s_delay_alu instid0(VALU_DEP_1) | instskip(NEXT) | instid1(VALU_DEP_1)
	v_fmac_f32_e32 v15, v17, v11
	v_fma_f32 v9, -v9, v15, v13
	s_delay_alu instid0(VALU_DEP_1) | instskip(NEXT) | instid1(VALU_DEP_1)
	v_div_fmas_f32 v9, v9, v11, v15
	v_div_fixup_f32 v79, v9, v77, -1.0
                                        ; implicit-def: $vgpr76_vgpr77
	s_delay_alu instid0(VALU_DEP_1) | instskip(NEXT) | instid1(VALU_DEP_1)
	v_mul_f32_e32 v80, v1, v79
	v_xor_b32_e32 v78, 0x80000000, v80
.LBB99_15:
	s_and_not1_saveexec_b32 s1, s1
	s_cbranch_execz .LBB99_17
; %bb.16:
	v_div_scale_f32 v1, null, v76, v76, v77
	v_div_scale_f32 v13, vcc_lo, v77, v76, v77
	s_delay_alu instid0(VALU_DEP_2) | instskip(SKIP_1) | instid1(TRANS32_DEP_1)
	v_rcp_f32_e32 v9, v1
	v_nop
	v_fma_f32 v11, -v1, v9, 1.0
	s_delay_alu instid0(VALU_DEP_1) | instskip(NEXT) | instid1(VALU_DEP_1)
	v_fmac_f32_e32 v9, v11, v9
	v_mul_f32_e32 v11, v13, v9
	s_delay_alu instid0(VALU_DEP_1) | instskip(NEXT) | instid1(VALU_DEP_1)
	v_fma_f32 v15, -v1, v11, v13
	v_fmac_f32_e32 v11, v15, v9
	s_delay_alu instid0(VALU_DEP_1) | instskip(NEXT) | instid1(VALU_DEP_1)
	v_fma_f32 v1, -v1, v11, v13
	v_div_fmas_f32 v1, v1, v9, v11
	s_delay_alu instid0(VALU_DEP_1) | instskip(NEXT) | instid1(VALU_DEP_1)
	v_div_fixup_f32 v1, v1, v76, v77
	v_fmac_f32_e32 v76, v77, v1
	s_delay_alu instid0(VALU_DEP_1) | instskip(SKIP_1) | instid1(VALU_DEP_2)
	v_div_scale_f32 v9, null, v76, v76, 1.0
	v_div_scale_f32 v15, vcc_lo, 1.0, v76, 1.0
	v_rcp_f32_e32 v11, v9
	v_nop
	s_delay_alu instid0(TRANS32_DEP_1) | instskip(NEXT) | instid1(VALU_DEP_1)
	v_fma_f32 v13, -v9, v11, 1.0
	v_fmac_f32_e32 v11, v13, v11
	s_delay_alu instid0(VALU_DEP_1) | instskip(NEXT) | instid1(VALU_DEP_1)
	v_mul_f32_e32 v13, v15, v11
	v_fma_f32 v17, -v9, v13, v15
	s_delay_alu instid0(VALU_DEP_1) | instskip(NEXT) | instid1(VALU_DEP_1)
	v_fmac_f32_e32 v13, v17, v11
	v_fma_f32 v9, -v9, v13, v15
	s_delay_alu instid0(VALU_DEP_1) | instskip(NEXT) | instid1(VALU_DEP_1)
	v_div_fmas_f32 v9, v9, v11, v13
	v_div_fixup_f32 v78, v9, v76, 1.0
	s_delay_alu instid0(VALU_DEP_1)
	v_xor_b32_e32 v80, 0x80000000, v78
	v_mul_f32_e64 v79, v1, -v78
.LBB99_17:
	s_or_b32 exec_lo, exec_lo, s1
	scratch_store_b64 v7, v[78:79], off
	scratch_load_b64 v[76:77], off, off offset:8
	v_xor_b32_e32 v81, 0x80000000, v79
	v_add_nc_u32_e32 v1, 0x120, v74
	s_wait_loadcnt 0x0
	ds_store_2addr_b64 v74, v[80:81], v[76:77] offset1:36
	s_wait_storecnt_dscnt 0x0
	s_barrier_signal -1
	s_barrier_wait -1
	s_wait_xcnt 0x0
	s_and_saveexec_b32 s1, s0
	s_cbranch_execz .LBB99_19
; %bb.18:
	scratch_load_b64 v[76:77], v7, off
	ds_load_b64 v[78:79], v1
	s_wait_loadcnt_dscnt 0x0
	v_pk_mul_f32 v[82:83], v[78:79], v[76:77] op_sel:[1,1] op_sel_hi:[0,1]
	s_delay_alu instid0(VALU_DEP_1) | instskip(SKIP_2) | instid1(VALU_DEP_3)
	v_pk_fma_f32 v[84:85], v[78:79], v[76:77], v[82:83] op_sel_hi:[1,0,1]
	v_mov_b32_e32 v9, 0
	v_pk_fma_f32 v[76:77], v[78:79], v[76:77], v[82:83] neg_lo:[0,0,1] neg_hi:[0,0,1]
	v_mov_b32_e32 v77, v85
	ds_load_b64 v[80:81], v9 offset:8
	v_pk_add_f32 v[76:77], v[76:77], 0 op_sel_hi:[1,0]
	s_wait_dscnt 0x0
	s_delay_alu instid0(VALU_DEP_1) | instskip(NEXT) | instid1(VALU_DEP_1)
	v_pk_mul_f32 v[78:79], v[76:77], v[80:81] op_sel:[1,1] op_sel_hi:[0,1]
	v_pk_fma_f32 v[82:83], v[76:77], v[80:81], v[78:79] op_sel_hi:[1,0,1]
	v_pk_fma_f32 v[76:77], v[76:77], v[80:81], v[78:79] neg_lo:[0,0,1] neg_hi:[0,0,1]
	s_delay_alu instid0(VALU_DEP_2)
	v_mov_b32_e32 v77, v83
	scratch_store_b64 off, v[76:77], off offset:8
.LBB99_19:
	s_wait_xcnt 0x0
	s_or_b32 exec_lo, exec_lo, s1
	s_wait_storecnt 0x0
	s_barrier_signal -1
	s_barrier_wait -1
	scratch_load_b64 v[76:77], off, off offset:16
	s_mov_b32 s1, exec_lo
	s_wait_loadcnt 0x0
	ds_store_b64 v1, v[76:77]
	s_wait_dscnt 0x0
	s_barrier_signal -1
	s_barrier_wait -1
	v_cmpx_gt_u32_e32 2, v0
	s_cbranch_execz .LBB99_23
; %bb.20:
	scratch_load_b64 v[76:77], v7, off
	ds_load_b64 v[78:79], v1
	s_wait_loadcnt_dscnt 0x0
	v_pk_mul_f32 v[80:81], v[78:79], v[76:77] op_sel:[1,1] op_sel_hi:[0,1]
	s_delay_alu instid0(VALU_DEP_1) | instskip(SKIP_1) | instid1(VALU_DEP_2)
	v_pk_fma_f32 v[82:83], v[78:79], v[76:77], v[80:81] op_sel_hi:[1,0,1]
	v_pk_fma_f32 v[76:77], v[78:79], v[76:77], v[80:81] neg_lo:[0,0,1] neg_hi:[0,0,1]
	v_mov_b32_e32 v77, v83
	s_delay_alu instid0(VALU_DEP_1)
	v_pk_add_f32 v[76:77], v[76:77], 0 op_sel_hi:[1,0]
	s_and_saveexec_b32 s4, s0
	s_cbranch_execz .LBB99_22
; %bb.21:
	scratch_load_b64 v[78:79], off, off offset:8
	v_mov_b32_e32 v7, 0
	ds_load_b64 v[80:81], v7 offset:296
	s_wait_loadcnt_dscnt 0x0
	v_pk_mul_f32 v[82:83], v[80:81], v[78:79] op_sel:[1,1] op_sel_hi:[0,1]
	s_delay_alu instid0(VALU_DEP_1) | instskip(SKIP_1) | instid1(VALU_DEP_2)
	v_pk_fma_f32 v[84:85], v[80:81], v[78:79], v[82:83] op_sel_hi:[1,0,1]
	v_pk_fma_f32 v[78:79], v[80:81], v[78:79], v[82:83] neg_lo:[0,0,1] neg_hi:[0,0,1]
	v_mov_b32_e32 v79, v85
	s_delay_alu instid0(VALU_DEP_1)
	v_pk_add_f32 v[76:77], v[76:77], v[78:79]
.LBB99_22:
	s_or_b32 exec_lo, exec_lo, s4
	v_mov_b32_e32 v7, 0
	ds_load_b64 v[78:79], v7 offset:16
	s_wait_dscnt 0x0
	v_pk_mul_f32 v[80:81], v[76:77], v[78:79] op_sel:[1,1] op_sel_hi:[0,1]
	s_delay_alu instid0(VALU_DEP_1) | instskip(SKIP_1) | instid1(VALU_DEP_2)
	v_pk_fma_f32 v[82:83], v[76:77], v[78:79], v[80:81] op_sel_hi:[1,0,1]
	v_pk_fma_f32 v[76:77], v[76:77], v[78:79], v[80:81] neg_lo:[0,0,1] neg_hi:[0,0,1]
	v_mov_b32_e32 v77, v83
	scratch_store_b64 off, v[76:77], off offset:16
.LBB99_23:
	s_wait_xcnt 0x0
	s_or_b32 exec_lo, exec_lo, s1
	s_wait_storecnt 0x0
	s_barrier_signal -1
	s_barrier_wait -1
	scratch_load_b64 v[76:77], off, off offset:24
	v_add_nc_u32_e32 v7, -1, v0
	s_mov_b32 s0, exec_lo
	s_wait_loadcnt 0x0
	ds_store_b64 v1, v[76:77]
	s_wait_dscnt 0x0
	s_barrier_signal -1
	s_barrier_wait -1
	v_cmpx_gt_u32_e32 3, v0
	s_cbranch_execz .LBB99_27
; %bb.24:
	v_dual_mov_b32 v76, 0 :: v_dual_add_nc_u32 v9, -1, v0
	v_add_nc_u32_e32 v11, 0x120, v74
	v_mov_b32_e32 v13, v74
	s_mov_b32 s1, 0
	s_delay_alu instid0(VALU_DEP_3)
	v_mov_b32_e32 v77, v76
.LBB99_25:                              ; =>This Inner Loop Header: Depth=1
	scratch_load_b64 v[78:79], v13, off
	ds_load_b64 v[80:81], v11
	s_wait_xcnt 0x0
	v_dual_add_nc_u32 v11, 8, v11 :: v_dual_add_nc_u32 v13, 8, v13
	s_wait_loadcnt_dscnt 0x0
	v_pk_mul_f32 v[82:83], v[80:81], v[78:79] op_sel:[1,1] op_sel_hi:[0,1]
	s_delay_alu instid0(VALU_DEP_1) | instskip(SKIP_2) | instid1(VALU_DEP_3)
	v_pk_fma_f32 v[84:85], v[80:81], v[78:79], v[82:83] op_sel_hi:[1,0,1]
	v_add_nc_u32_e32 v9, 1, v9
	v_pk_fma_f32 v[78:79], v[80:81], v[78:79], v[82:83] neg_lo:[0,0,1] neg_hi:[0,0,1]
	v_mov_b32_e32 v79, v85
	s_delay_alu instid0(VALU_DEP_3) | instskip(NEXT) | instid1(VALU_DEP_2)
	v_cmp_lt_u32_e32 vcc_lo, 1, v9
	v_pk_add_f32 v[76:77], v[76:77], v[78:79]
	s_or_b32 s1, vcc_lo, s1
	s_delay_alu instid0(SALU_CYCLE_1)
	s_and_not1_b32 exec_lo, exec_lo, s1
	s_cbranch_execnz .LBB99_25
; %bb.26:
	s_or_b32 exec_lo, exec_lo, s1
	v_mov_b32_e32 v9, 0
	ds_load_b64 v[78:79], v9 offset:24
	s_wait_dscnt 0x0
	v_pk_mul_f32 v[80:81], v[76:77], v[78:79] op_sel:[1,1] op_sel_hi:[0,1]
	s_delay_alu instid0(VALU_DEP_1) | instskip(SKIP_1) | instid1(VALU_DEP_2)
	v_pk_fma_f32 v[82:83], v[76:77], v[78:79], v[80:81] op_sel_hi:[1,0,1]
	v_pk_fma_f32 v[76:77], v[76:77], v[78:79], v[80:81] neg_lo:[0,0,1] neg_hi:[0,0,1]
	v_mov_b32_e32 v77, v83
	scratch_store_b64 off, v[76:77], off offset:24
.LBB99_27:
	s_wait_xcnt 0x0
	s_or_b32 exec_lo, exec_lo, s0
	s_wait_storecnt 0x0
	s_barrier_signal -1
	s_barrier_wait -1
	scratch_load_b64 v[76:77], off, off offset:32
	s_mov_b32 s0, exec_lo
	s_wait_loadcnt 0x0
	ds_store_b64 v1, v[76:77]
	s_wait_dscnt 0x0
	s_barrier_signal -1
	s_barrier_wait -1
	v_cmpx_gt_u32_e32 4, v0
	s_cbranch_execz .LBB99_31
; %bb.28:
	v_dual_mov_b32 v76, 0 :: v_dual_add_nc_u32 v9, -1, v0
	v_add_nc_u32_e32 v11, 0x120, v74
	v_mov_b32_e32 v13, v74
	s_mov_b32 s1, 0
	s_delay_alu instid0(VALU_DEP_3)
	v_mov_b32_e32 v77, v76
.LBB99_29:                              ; =>This Inner Loop Header: Depth=1
	scratch_load_b64 v[78:79], v13, off
	ds_load_b64 v[80:81], v11
	s_wait_xcnt 0x0
	v_dual_add_nc_u32 v11, 8, v11 :: v_dual_add_nc_u32 v13, 8, v13
	s_wait_loadcnt_dscnt 0x0
	v_pk_mul_f32 v[82:83], v[80:81], v[78:79] op_sel:[1,1] op_sel_hi:[0,1]
	s_delay_alu instid0(VALU_DEP_1) | instskip(SKIP_2) | instid1(VALU_DEP_3)
	v_pk_fma_f32 v[84:85], v[80:81], v[78:79], v[82:83] op_sel_hi:[1,0,1]
	v_add_nc_u32_e32 v9, 1, v9
	v_pk_fma_f32 v[78:79], v[80:81], v[78:79], v[82:83] neg_lo:[0,0,1] neg_hi:[0,0,1]
	v_mov_b32_e32 v79, v85
	s_delay_alu instid0(VALU_DEP_3) | instskip(NEXT) | instid1(VALU_DEP_2)
	v_cmp_lt_u32_e32 vcc_lo, 2, v9
	v_pk_add_f32 v[76:77], v[76:77], v[78:79]
	s_or_b32 s1, vcc_lo, s1
	s_delay_alu instid0(SALU_CYCLE_1)
	s_and_not1_b32 exec_lo, exec_lo, s1
	s_cbranch_execnz .LBB99_29
; %bb.30:
	s_or_b32 exec_lo, exec_lo, s1
	v_mov_b32_e32 v9, 0
	ds_load_b64 v[78:79], v9 offset:32
	s_wait_dscnt 0x0
	v_pk_mul_f32 v[80:81], v[76:77], v[78:79] op_sel:[1,1] op_sel_hi:[0,1]
	s_delay_alu instid0(VALU_DEP_1) | instskip(SKIP_1) | instid1(VALU_DEP_2)
	v_pk_fma_f32 v[82:83], v[76:77], v[78:79], v[80:81] op_sel_hi:[1,0,1]
	v_pk_fma_f32 v[76:77], v[76:77], v[78:79], v[80:81] neg_lo:[0,0,1] neg_hi:[0,0,1]
	v_mov_b32_e32 v77, v83
	scratch_store_b64 off, v[76:77], off offset:32
.LBB99_31:
	s_wait_xcnt 0x0
	s_or_b32 exec_lo, exec_lo, s0
	s_wait_storecnt 0x0
	s_barrier_signal -1
	s_barrier_wait -1
	scratch_load_b64 v[76:77], off, off offset:40
	;; [unrolled: 52-line block ×19, first 2 shown]
	s_mov_b32 s0, exec_lo
	s_wait_loadcnt 0x0
	ds_store_b64 v1, v[76:77]
	s_wait_dscnt 0x0
	s_barrier_signal -1
	s_barrier_wait -1
	v_cmpx_gt_u32_e32 22, v0
	s_cbranch_execz .LBB99_103
; %bb.100:
	v_dual_mov_b32 v76, 0 :: v_dual_add_nc_u32 v9, -1, v0
	v_add_nc_u32_e32 v11, 0x120, v74
	v_mov_b32_e32 v13, v74
	s_mov_b32 s1, 0
	s_delay_alu instid0(VALU_DEP_3)
	v_mov_b32_e32 v77, v76
.LBB99_101:                             ; =>This Inner Loop Header: Depth=1
	scratch_load_b64 v[78:79], v13, off
	ds_load_b64 v[80:81], v11
	s_wait_xcnt 0x0
	v_dual_add_nc_u32 v11, 8, v11 :: v_dual_add_nc_u32 v13, 8, v13
	s_wait_loadcnt_dscnt 0x0
	v_pk_mul_f32 v[82:83], v[80:81], v[78:79] op_sel:[1,1] op_sel_hi:[0,1]
	s_delay_alu instid0(VALU_DEP_1) | instskip(SKIP_2) | instid1(VALU_DEP_3)
	v_pk_fma_f32 v[84:85], v[80:81], v[78:79], v[82:83] op_sel_hi:[1,0,1]
	v_add_nc_u32_e32 v9, 1, v9
	v_pk_fma_f32 v[78:79], v[80:81], v[78:79], v[82:83] neg_lo:[0,0,1] neg_hi:[0,0,1]
	v_mov_b32_e32 v79, v85
	s_delay_alu instid0(VALU_DEP_3) | instskip(NEXT) | instid1(VALU_DEP_2)
	v_cmp_lt_u32_e32 vcc_lo, 20, v9
	v_pk_add_f32 v[76:77], v[76:77], v[78:79]
	s_or_b32 s1, vcc_lo, s1
	s_delay_alu instid0(SALU_CYCLE_1)
	s_and_not1_b32 exec_lo, exec_lo, s1
	s_cbranch_execnz .LBB99_101
; %bb.102:
	s_or_b32 exec_lo, exec_lo, s1
	v_mov_b32_e32 v9, 0
	ds_load_b64 v[78:79], v9 offset:176
	s_wait_dscnt 0x0
	v_pk_mul_f32 v[80:81], v[76:77], v[78:79] op_sel:[1,1] op_sel_hi:[0,1]
	s_delay_alu instid0(VALU_DEP_1) | instskip(SKIP_1) | instid1(VALU_DEP_2)
	v_pk_fma_f32 v[82:83], v[76:77], v[78:79], v[80:81] op_sel_hi:[1,0,1]
	v_pk_fma_f32 v[76:77], v[76:77], v[78:79], v[80:81] neg_lo:[0,0,1] neg_hi:[0,0,1]
	v_mov_b32_e32 v77, v83
	scratch_store_b64 off, v[76:77], off offset:176
.LBB99_103:
	s_wait_xcnt 0x0
	s_or_b32 exec_lo, exec_lo, s0
	s_wait_storecnt 0x0
	s_barrier_signal -1
	s_barrier_wait -1
	scratch_load_b64 v[76:77], off, off offset:184
	s_mov_b32 s0, exec_lo
	s_wait_loadcnt 0x0
	ds_store_b64 v1, v[76:77]
	s_wait_dscnt 0x0
	s_barrier_signal -1
	s_barrier_wait -1
	v_cmpx_gt_u32_e32 23, v0
	s_cbranch_execz .LBB99_107
; %bb.104:
	v_dual_mov_b32 v76, 0 :: v_dual_add_nc_u32 v9, -1, v0
	v_add_nc_u32_e32 v11, 0x120, v74
	v_mov_b32_e32 v13, v74
	s_mov_b32 s1, 0
	s_delay_alu instid0(VALU_DEP_3)
	v_mov_b32_e32 v77, v76
.LBB99_105:                             ; =>This Inner Loop Header: Depth=1
	scratch_load_b64 v[78:79], v13, off
	ds_load_b64 v[80:81], v11
	s_wait_xcnt 0x0
	v_dual_add_nc_u32 v11, 8, v11 :: v_dual_add_nc_u32 v13, 8, v13
	s_wait_loadcnt_dscnt 0x0
	v_pk_mul_f32 v[82:83], v[80:81], v[78:79] op_sel:[1,1] op_sel_hi:[0,1]
	s_delay_alu instid0(VALU_DEP_1) | instskip(SKIP_2) | instid1(VALU_DEP_3)
	v_pk_fma_f32 v[84:85], v[80:81], v[78:79], v[82:83] op_sel_hi:[1,0,1]
	v_add_nc_u32_e32 v9, 1, v9
	v_pk_fma_f32 v[78:79], v[80:81], v[78:79], v[82:83] neg_lo:[0,0,1] neg_hi:[0,0,1]
	v_mov_b32_e32 v79, v85
	s_delay_alu instid0(VALU_DEP_3) | instskip(NEXT) | instid1(VALU_DEP_2)
	v_cmp_lt_u32_e32 vcc_lo, 21, v9
	v_pk_add_f32 v[76:77], v[76:77], v[78:79]
	s_or_b32 s1, vcc_lo, s1
	s_delay_alu instid0(SALU_CYCLE_1)
	s_and_not1_b32 exec_lo, exec_lo, s1
	s_cbranch_execnz .LBB99_105
; %bb.106:
	s_or_b32 exec_lo, exec_lo, s1
	v_mov_b32_e32 v9, 0
	ds_load_b64 v[78:79], v9 offset:184
	s_wait_dscnt 0x0
	v_pk_mul_f32 v[80:81], v[76:77], v[78:79] op_sel:[1,1] op_sel_hi:[0,1]
	s_delay_alu instid0(VALU_DEP_1) | instskip(SKIP_1) | instid1(VALU_DEP_2)
	v_pk_fma_f32 v[82:83], v[76:77], v[78:79], v[80:81] op_sel_hi:[1,0,1]
	v_pk_fma_f32 v[76:77], v[76:77], v[78:79], v[80:81] neg_lo:[0,0,1] neg_hi:[0,0,1]
	v_mov_b32_e32 v77, v83
	scratch_store_b64 off, v[76:77], off offset:184
.LBB99_107:
	s_wait_xcnt 0x0
	s_or_b32 exec_lo, exec_lo, s0
	s_wait_storecnt 0x0
	s_barrier_signal -1
	s_barrier_wait -1
	scratch_load_b64 v[76:77], off, off offset:192
	;; [unrolled: 52-line block ×13, first 2 shown]
	s_mov_b32 s0, exec_lo
	s_wait_loadcnt 0x0
	ds_store_b64 v1, v[76:77]
	s_wait_dscnt 0x0
	s_barrier_signal -1
	s_barrier_wait -1
	v_cmpx_ne_u32_e32 35, v0
	s_cbranch_execz .LBB99_155
; %bb.152:
	v_dual_mov_b32 v76, 0 :: v_dual_mov_b32 v9, v74
	s_mov_b32 s1, 0
	s_delay_alu instid0(VALU_DEP_1)
	v_mov_b32_e32 v77, v76
.LBB99_153:                             ; =>This Inner Loop Header: Depth=1
	scratch_load_b64 v[74:75], v9, off
	ds_load_b64 v[78:79], v1
	v_add_nc_u32_e32 v1, 8, v1
	s_wait_xcnt 0x0
	v_add_nc_u32_e32 v9, 8, v9
	s_wait_loadcnt_dscnt 0x0
	v_pk_mul_f32 v[80:81], v[78:79], v[74:75] op_sel:[1,1] op_sel_hi:[0,1]
	s_delay_alu instid0(VALU_DEP_1) | instskip(SKIP_2) | instid1(VALU_DEP_3)
	v_pk_fma_f32 v[82:83], v[78:79], v[74:75], v[80:81] op_sel_hi:[1,0,1]
	v_add_nc_u32_e32 v7, 1, v7
	v_pk_fma_f32 v[74:75], v[78:79], v[74:75], v[80:81] neg_lo:[0,0,1] neg_hi:[0,0,1]
	v_mov_b32_e32 v75, v83
	s_delay_alu instid0(VALU_DEP_3) | instskip(NEXT) | instid1(VALU_DEP_2)
	v_cmp_lt_u32_e32 vcc_lo, 33, v7
	v_pk_add_f32 v[76:77], v[76:77], v[74:75]
	s_or_b32 s1, vcc_lo, s1
	s_delay_alu instid0(SALU_CYCLE_1)
	s_and_not1_b32 exec_lo, exec_lo, s1
	s_cbranch_execnz .LBB99_153
; %bb.154:
	s_or_b32 exec_lo, exec_lo, s1
	v_mov_b32_e32 v1, 0
	ds_load_b64 v[74:75], v1 offset:280
	s_wait_dscnt 0x0
	v_pk_mul_f32 v[78:79], v[76:77], v[74:75] op_sel:[1,1] op_sel_hi:[0,1]
	s_delay_alu instid0(VALU_DEP_1) | instskip(SKIP_1) | instid1(VALU_DEP_2)
	v_pk_fma_f32 v[80:81], v[76:77], v[74:75], v[78:79] op_sel_hi:[1,0,1]
	v_pk_fma_f32 v[74:75], v[76:77], v[74:75], v[78:79] neg_lo:[0,0,1] neg_hi:[0,0,1]
	v_mov_b32_e32 v75, v81
	scratch_store_b64 off, v[74:75], off offset:280
.LBB99_155:
	s_wait_xcnt 0x0
	s_or_b32 exec_lo, exec_lo, s0
	s_mov_b32 s1, -1
	s_wait_storecnt 0x0
	s_barrier_signal -1
	s_barrier_wait -1
.LBB99_156:
	s_and_b32 vcc_lo, exec_lo, s1
	s_cbranch_vccz .LBB99_158
; %bb.157:
	v_mov_b32_e32 v1, 0
	s_lshl_b64 s[0:1], s[10:11], 2
	s_delay_alu instid0(SALU_CYCLE_1)
	s_add_nc_u64 s[0:1], s[6:7], s[0:1]
	global_load_b32 v1, v1, s[0:1]
	s_wait_loadcnt 0x0
	v_cmp_ne_u32_e32 vcc_lo, 0, v1
	s_cbranch_vccz .LBB99_159
.LBB99_158:
	s_sendmsg sendmsg(MSG_DEALLOC_VGPRS)
	s_endpgm
.LBB99_159:
	s_wait_xcnt 0x0
	v_lshl_add_u32 v1, v0, 3, 0x120
	s_mov_b32 s0, exec_lo
	v_cmpx_eq_u32_e32 35, v0
	s_cbranch_execz .LBB99_161
; %bb.160:
	scratch_load_b64 v[74:75], off, off offset:272
	v_mov_b64_e32 v[76:77], 0
	scratch_store_b64 off, v[76:77], off offset:272
	s_wait_loadcnt 0x0
	ds_store_b64 v1, v[74:75]
.LBB99_161:
	s_wait_xcnt 0x0
	s_or_b32 exec_lo, exec_lo, s0
	s_wait_storecnt_dscnt 0x0
	s_barrier_signal -1
	s_barrier_wait -1
	s_clause 0x1
	scratch_load_b64 v[74:75], off, off offset:280
	scratch_load_b64 v[76:77], off, off offset:272
	v_mov_b32_e32 v7, 0
	s_mov_b32 s0, exec_lo
	ds_load_b64 v[78:79], v7 offset:568
	s_wait_loadcnt_dscnt 0x100
	v_pk_mul_f32 v[80:81], v[78:79], v[74:75] op_sel:[1,1] op_sel_hi:[0,1]
	s_delay_alu instid0(VALU_DEP_1) | instskip(SKIP_1) | instid1(VALU_DEP_2)
	v_pk_fma_f32 v[82:83], v[78:79], v[74:75], v[80:81] op_sel_hi:[1,0,1]
	v_pk_fma_f32 v[74:75], v[78:79], v[74:75], v[80:81] neg_lo:[0,0,1] neg_hi:[0,0,1]
	v_mov_b32_e32 v75, v83
	s_delay_alu instid0(VALU_DEP_1) | instskip(SKIP_1) | instid1(VALU_DEP_1)
	v_pk_add_f32 v[74:75], v[74:75], 0 op_sel_hi:[1,0]
	s_wait_loadcnt 0x0
	v_pk_add_f32 v[74:75], v[76:77], v[74:75] neg_lo:[0,1] neg_hi:[0,1]
	scratch_store_b64 off, v[74:75], off offset:272
	s_wait_xcnt 0x0
	v_cmpx_lt_u32_e32 33, v0
	s_cbranch_execz .LBB99_163
; %bb.162:
	scratch_load_b64 v[74:75], off, off offset:264
	v_mov_b64_e32 v[76:77], 0
	scratch_store_b64 off, v[76:77], off offset:264
	s_wait_loadcnt 0x0
	ds_store_b64 v1, v[74:75]
.LBB99_163:
	s_wait_xcnt 0x0
	s_or_b32 exec_lo, exec_lo, s0
	s_wait_storecnt_dscnt 0x0
	s_barrier_signal -1
	s_barrier_wait -1
	s_clause 0x1
	scratch_load_b128 v[74:77], off, off offset:272
	scratch_load_b64 v[82:83], off, off offset:264
	ds_load_b128 v[78:81], v7 offset:560
	s_mov_b32 s0, exec_lo
	s_wait_dscnt 0x0
	v_dual_mov_b32 v84, v81 :: v_dual_mov_b32 v85, v80
	s_wait_loadcnt 0x1
	v_pk_mul_f32 v[86:87], v[78:79], v[74:75] op_sel:[1,1] op_sel_hi:[0,1]
	s_delay_alu instid0(VALU_DEP_1) | instskip(SKIP_2) | instid1(VALU_DEP_3)
	v_pk_fma_f32 v[90:91], v[78:79], v[74:75], v[86:87] op_sel_hi:[1,0,1]
	v_mov_b32_e32 v88, v77
	v_pk_fma_f32 v[74:75], v[78:79], v[74:75], v[86:87] neg_lo:[0,0,1] neg_hi:[0,0,1]
	v_mov_b32_e32 v75, v91
	s_delay_alu instid0(VALU_DEP_3) | instskip(NEXT) | instid1(VALU_DEP_2)
	v_pk_mul_f32 v[84:85], v[84:85], v[88:89] op_sel_hi:[1,0]
	v_pk_add_f32 v[74:75], v[74:75], 0 op_sel_hi:[1,0]
	s_delay_alu instid0(VALU_DEP_2) | instskip(SKIP_1) | instid1(VALU_DEP_2)
	v_pk_fma_f32 v[78:79], v[80:81], v[76:77], v[84:85] op_sel_hi:[1,0,1]
	v_pk_fma_f32 v[76:77], v[80:81], v[76:77], v[84:85] neg_lo:[0,0,1] neg_hi:[0,0,1]
	v_mov_b32_e32 v77, v79
	s_delay_alu instid0(VALU_DEP_1) | instskip(SKIP_1) | instid1(VALU_DEP_1)
	v_pk_add_f32 v[74:75], v[74:75], v[76:77]
	s_wait_loadcnt 0x0
	v_pk_add_f32 v[74:75], v[82:83], v[74:75] neg_lo:[0,1] neg_hi:[0,1]
	scratch_store_b64 off, v[74:75], off offset:264
	s_wait_xcnt 0x0
	v_cmpx_lt_u32_e32 32, v0
	s_cbranch_execz .LBB99_165
; %bb.164:
	scratch_load_b64 v[74:75], off, off offset:256
	v_mov_b64_e32 v[76:77], 0
	scratch_store_b64 off, v[76:77], off offset:256
	s_wait_loadcnt 0x0
	ds_store_b64 v1, v[74:75]
.LBB99_165:
	s_wait_xcnt 0x0
	s_or_b32 exec_lo, exec_lo, s0
	s_wait_storecnt_dscnt 0x0
	s_barrier_signal -1
	s_barrier_wait -1
	s_clause 0x2
	scratch_load_b128 v[74:77], off, off offset:264
	scratch_load_b64 v[82:83], off, off offset:280
	scratch_load_b64 v[84:85], off, off offset:256
	v_mov_b32_e32 v7, 0
	ds_load_2addr_b64 v[78:81], v7 offset0:69 offset1:70
	ds_load_b64 v[86:87], v7 offset:568
	s_mov_b32 s0, exec_lo
	s_wait_dscnt 0x1
	v_dual_mov_b32 v88, v81 :: v_dual_mov_b32 v89, v80
	s_wait_loadcnt 0x2
	v_mov_b32_e32 v92, v77
	v_pk_mul_f32 v[90:91], v[78:79], v[74:75] op_sel:[1,1] op_sel_hi:[0,1]
	s_delay_alu instid0(VALU_DEP_2) | instskip(NEXT) | instid1(VALU_DEP_2)
	v_pk_mul_f32 v[88:89], v[88:89], v[92:93] op_sel_hi:[1,0]
	v_pk_fma_f32 v[94:95], v[78:79], v[74:75], v[90:91] op_sel_hi:[1,0,1]
	v_pk_fma_f32 v[74:75], v[78:79], v[74:75], v[90:91] neg_lo:[0,0,1] neg_hi:[0,0,1]
	s_wait_loadcnt_dscnt 0x100
	v_pk_mul_f32 v[90:91], v[86:87], v[82:83] op_sel:[1,1] op_sel_hi:[0,1]
	v_pk_fma_f32 v[78:79], v[80:81], v[76:77], v[88:89] op_sel_hi:[1,0,1]
	v_mov_b32_e32 v75, v95
	v_pk_fma_f32 v[76:77], v[80:81], v[76:77], v[88:89] neg_lo:[0,0,1] neg_hi:[0,0,1]
	s_delay_alu instid0(VALU_DEP_4) | instskip(NEXT) | instid1(VALU_DEP_4)
	v_pk_fma_f32 v[80:81], v[86:87], v[82:83], v[90:91] neg_lo:[0,0,1] neg_hi:[0,0,1]
	v_mov_b32_e32 v77, v79
	s_delay_alu instid0(VALU_DEP_4) | instskip(SKIP_1) | instid1(VALU_DEP_2)
	v_pk_add_f32 v[74:75], v[74:75], 0 op_sel_hi:[1,0]
	v_pk_fma_f32 v[78:79], v[86:87], v[82:83], v[90:91] op_sel_hi:[1,0,1]
	v_pk_add_f32 v[74:75], v[74:75], v[76:77]
	s_delay_alu instid0(VALU_DEP_2) | instskip(NEXT) | instid1(VALU_DEP_1)
	v_mov_b32_e32 v81, v79
	v_pk_add_f32 v[74:75], v[74:75], v[80:81]
	s_wait_loadcnt 0x0
	s_delay_alu instid0(VALU_DEP_1)
	v_pk_add_f32 v[74:75], v[84:85], v[74:75] neg_lo:[0,1] neg_hi:[0,1]
	scratch_store_b64 off, v[74:75], off offset:256
	s_wait_xcnt 0x0
	v_cmpx_lt_u32_e32 31, v0
	s_cbranch_execz .LBB99_167
; %bb.166:
	scratch_load_b64 v[74:75], off, off offset:248
	v_mov_b64_e32 v[76:77], 0
	scratch_store_b64 off, v[76:77], off offset:248
	s_wait_loadcnt 0x0
	ds_store_b64 v1, v[74:75]
.LBB99_167:
	s_wait_xcnt 0x0
	s_or_b32 exec_lo, exec_lo, s0
	s_wait_storecnt_dscnt 0x0
	s_barrier_signal -1
	s_barrier_wait -1
	s_clause 0x2
	scratch_load_b128 v[74:77], off, off offset:256
	scratch_load_b128 v[78:81], off, off offset:272
	scratch_load_b64 v[90:91], off, off offset:248
	ds_load_b128 v[82:85], v7 offset:544
	ds_load_b128 v[86:89], v7 offset:560
	s_mov_b32 s0, exec_lo
	s_wait_dscnt 0x1
	v_dual_mov_b32 v92, v85 :: v_dual_mov_b32 v93, v84
	s_wait_loadcnt_dscnt 0x200
	v_dual_mov_b32 v98, v89 :: v_dual_mov_b32 v96, v77
	v_pk_mul_f32 v[94:95], v[82:83], v[74:75] op_sel:[1,1] op_sel_hi:[0,1]
	s_delay_alu instid0(VALU_DEP_2) | instskip(NEXT) | instid1(VALU_DEP_2)
	v_pk_mul_f32 v[92:93], v[92:93], v[96:97] op_sel_hi:[1,0]
	v_pk_fma_f32 v[100:101], v[82:83], v[74:75], v[94:95] op_sel_hi:[1,0,1]
	v_pk_fma_f32 v[74:75], v[82:83], v[74:75], v[94:95] neg_lo:[0,0,1] neg_hi:[0,0,1]
	v_mov_b32_e32 v99, v88
	s_wait_loadcnt 0x1
	v_pk_mul_f32 v[96:97], v[86:87], v[78:79] op_sel:[1,1] op_sel_hi:[0,1]
	v_pk_fma_f32 v[82:83], v[84:85], v[76:77], v[92:93] op_sel_hi:[1,0,1]
	v_dual_mov_b32 v75, v101 :: v_dual_mov_b32 v82, v81
	v_pk_fma_f32 v[76:77], v[84:85], v[76:77], v[92:93] neg_lo:[0,0,1] neg_hi:[0,0,1]
	s_delay_alu instid0(VALU_DEP_4) | instskip(NEXT) | instid1(VALU_DEP_4)
	v_pk_fma_f32 v[94:95], v[86:87], v[78:79], v[96:97] op_sel_hi:[1,0,1]
	v_mov_b32_e32 v77, v83
	s_delay_alu instid0(VALU_DEP_4) | instskip(SKIP_2) | instid1(VALU_DEP_3)
	v_pk_add_f32 v[74:75], v[74:75], 0 op_sel_hi:[1,0]
	v_pk_mul_f32 v[82:83], v[98:99], v[82:83] op_sel_hi:[1,0]
	v_pk_fma_f32 v[78:79], v[86:87], v[78:79], v[96:97] neg_lo:[0,0,1] neg_hi:[0,0,1]
	v_pk_add_f32 v[74:75], v[74:75], v[76:77]
	s_delay_alu instid0(VALU_DEP_3) | instskip(SKIP_2) | instid1(VALU_DEP_3)
	v_pk_fma_f32 v[76:77], v[88:89], v[80:81], v[82:83] op_sel_hi:[1,0,1]
	v_mov_b32_e32 v79, v95
	v_pk_fma_f32 v[80:81], v[88:89], v[80:81], v[82:83] neg_lo:[0,0,1] neg_hi:[0,0,1]
	v_mov_b32_e32 v81, v77
	s_delay_alu instid0(VALU_DEP_3) | instskip(NEXT) | instid1(VALU_DEP_1)
	v_pk_add_f32 v[74:75], v[74:75], v[78:79]
	v_pk_add_f32 v[74:75], v[74:75], v[80:81]
	s_wait_loadcnt 0x0
	s_delay_alu instid0(VALU_DEP_1)
	v_pk_add_f32 v[74:75], v[90:91], v[74:75] neg_lo:[0,1] neg_hi:[0,1]
	scratch_store_b64 off, v[74:75], off offset:248
	s_wait_xcnt 0x0
	v_cmpx_lt_u32_e32 30, v0
	s_cbranch_execz .LBB99_169
; %bb.168:
	scratch_load_b64 v[74:75], off, off offset:240
	v_mov_b64_e32 v[76:77], 0
	scratch_store_b64 off, v[76:77], off offset:240
	s_wait_loadcnt 0x0
	ds_store_b64 v1, v[74:75]
.LBB99_169:
	s_wait_xcnt 0x0
	s_or_b32 exec_lo, exec_lo, s0
	s_wait_storecnt_dscnt 0x0
	s_barrier_signal -1
	s_barrier_wait -1
	s_clause 0x3
	scratch_load_b128 v[74:77], off, off offset:248
	scratch_load_b128 v[78:81], off, off offset:264
	scratch_load_b64 v[90:91], off, off offset:280
	scratch_load_b64 v[92:93], off, off offset:240
	v_mov_b32_e32 v7, 0
	ds_load_2addr_b64 v[82:85], v7 offset0:67 offset1:68
	ds_load_2addr_b64 v[86:89], v7 offset0:69 offset1:70
	s_mov_b32 s0, exec_lo
	s_wait_dscnt 0x1
	v_dual_mov_b32 v94, v85 :: v_dual_mov_b32 v95, v84
	ds_load_b64 v[100:101], v7 offset:568
	s_wait_dscnt 0x1
	v_dual_mov_b32 v102, v89 :: v_dual_mov_b32 v103, v88
	s_wait_loadcnt 0x3
	v_pk_mul_f32 v[96:97], v[82:83], v[74:75] op_sel:[1,1] op_sel_hi:[0,1]
	v_mov_b32_e32 v98, v77
	s_delay_alu instid0(VALU_DEP_2) | instskip(NEXT) | instid1(VALU_DEP_2)
	v_pk_fma_f32 v[104:105], v[82:83], v[74:75], v[96:97] op_sel_hi:[1,0,1]
	v_pk_mul_f32 v[94:95], v[94:95], v[98:99] op_sel_hi:[1,0]
	v_pk_fma_f32 v[74:75], v[82:83], v[74:75], v[96:97] neg_lo:[0,0,1] neg_hi:[0,0,1]
	s_wait_loadcnt 0x2
	v_pk_mul_f32 v[98:99], v[86:87], v[78:79] op_sel:[1,1] op_sel_hi:[0,1]
	v_dual_mov_b32 v104, v81 :: v_dual_mov_b32 v75, v105
	v_pk_fma_f32 v[82:83], v[84:85], v[76:77], v[94:95] op_sel_hi:[1,0,1]
	v_pk_fma_f32 v[76:77], v[84:85], v[76:77], v[94:95] neg_lo:[0,0,1] neg_hi:[0,0,1]
	s_delay_alu instid0(VALU_DEP_4) | instskip(NEXT) | instid1(VALU_DEP_4)
	v_pk_fma_f32 v[96:97], v[86:87], v[78:79], v[98:99] op_sel_hi:[1,0,1]
	v_pk_mul_f32 v[102:103], v[102:103], v[104:105] op_sel_hi:[1,0]
	v_pk_add_f32 v[74:75], v[74:75], 0 op_sel_hi:[1,0]
	v_mov_b32_e32 v77, v83
	v_pk_fma_f32 v[78:79], v[86:87], v[78:79], v[98:99] neg_lo:[0,0,1] neg_hi:[0,0,1]
	v_mov_b32_e32 v79, v97
	v_pk_fma_f32 v[82:83], v[88:89], v[80:81], v[102:103] op_sel_hi:[1,0,1]
	v_pk_fma_f32 v[80:81], v[88:89], v[80:81], v[102:103] neg_lo:[0,0,1] neg_hi:[0,0,1]
	v_pk_add_f32 v[74:75], v[74:75], v[76:77]
	s_wait_loadcnt_dscnt 0x100
	v_pk_mul_f32 v[76:77], v[100:101], v[90:91] op_sel:[1,1] op_sel_hi:[0,1]
	s_delay_alu instid0(VALU_DEP_2) | instskip(NEXT) | instid1(VALU_DEP_2)
	v_pk_add_f32 v[74:75], v[74:75], v[78:79]
	v_pk_fma_f32 v[78:79], v[100:101], v[90:91], v[76:77] op_sel_hi:[1,0,1]
	v_mov_b32_e32 v81, v83
	v_pk_fma_f32 v[76:77], v[100:101], v[90:91], v[76:77] neg_lo:[0,0,1] neg_hi:[0,0,1]
	s_delay_alu instid0(VALU_DEP_3) | instskip(NEXT) | instid1(VALU_DEP_3)
	v_mov_b32_e32 v77, v79
	v_pk_add_f32 v[74:75], v[74:75], v[80:81]
	s_delay_alu instid0(VALU_DEP_1) | instskip(SKIP_1) | instid1(VALU_DEP_1)
	v_pk_add_f32 v[74:75], v[74:75], v[76:77]
	s_wait_loadcnt 0x0
	v_pk_add_f32 v[74:75], v[92:93], v[74:75] neg_lo:[0,1] neg_hi:[0,1]
	scratch_store_b64 off, v[74:75], off offset:240
	s_wait_xcnt 0x0
	v_cmpx_lt_u32_e32 29, v0
	s_cbranch_execz .LBB99_171
; %bb.170:
	scratch_load_b64 v[74:75], off, off offset:232
	v_mov_b64_e32 v[76:77], 0
	scratch_store_b64 off, v[76:77], off offset:232
	s_wait_loadcnt 0x0
	ds_store_b64 v1, v[74:75]
.LBB99_171:
	s_wait_xcnt 0x0
	s_or_b32 exec_lo, exec_lo, s0
	s_wait_storecnt_dscnt 0x0
	s_barrier_signal -1
	s_barrier_wait -1
	s_clause 0x3
	scratch_load_b128 v[74:77], off, off offset:240
	scratch_load_b128 v[78:81], off, off offset:256
	;; [unrolled: 1-line block ×3, first 2 shown]
	scratch_load_b64 v[98:99], off, off offset:232
	ds_load_b128 v[86:89], v7 offset:528
	ds_load_b128 v[90:93], v7 offset:544
	;; [unrolled: 1-line block ×3, first 2 shown]
	s_mov_b32 s0, exec_lo
	s_wait_dscnt 0x2
	v_dual_mov_b32 v100, v89 :: v_dual_mov_b32 v101, v88
	s_wait_dscnt 0x1
	v_dual_mov_b32 v102, v93 :: v_dual_mov_b32 v103, v92
	;; [unrolled: 2-line block ×3, first 2 shown]
	s_wait_loadcnt 0x3
	v_pk_mul_f32 v[104:105], v[86:87], v[74:75] op_sel:[1,1] op_sel_hi:[0,1]
	v_mov_b32_e32 v106, v77
	s_delay_alu instid0(VALU_DEP_2) | instskip(NEXT) | instid1(VALU_DEP_2)
	v_pk_fma_f32 v[110:111], v[86:87], v[74:75], v[104:105] op_sel_hi:[1,0,1]
	v_pk_mul_f32 v[100:101], v[100:101], v[106:107] op_sel_hi:[1,0]
	v_pk_fma_f32 v[74:75], v[86:87], v[74:75], v[104:105] neg_lo:[0,0,1] neg_hi:[0,0,1]
	s_wait_loadcnt 0x2
	v_pk_mul_f32 v[106:107], v[90:91], v[78:79] op_sel:[1,1] op_sel_hi:[0,1]
	v_mov_b32_e32 v110, v81
	v_pk_fma_f32 v[86:87], v[88:89], v[76:77], v[100:101] op_sel_hi:[1,0,1]
	v_mov_b32_e32 v75, v111
	v_pk_fma_f32 v[76:77], v[88:89], v[76:77], v[100:101] neg_lo:[0,0,1] neg_hi:[0,0,1]
	v_pk_fma_f32 v[104:105], v[90:91], v[78:79], v[106:107] op_sel_hi:[1,0,1]
	v_pk_mul_f32 v[102:103], v[102:103], v[110:111] op_sel_hi:[1,0]
	v_mov_b32_e32 v77, v87
	v_pk_add_f32 v[74:75], v[74:75], 0 op_sel_hi:[1,0]
	v_pk_fma_f32 v[78:79], v[90:91], v[78:79], v[106:107] neg_lo:[0,0,1] neg_hi:[0,0,1]
	s_wait_loadcnt 0x1
	v_pk_mul_f32 v[86:87], v[94:95], v[82:83] op_sel:[1,1] op_sel_hi:[0,1]
	v_mov_b32_e32 v79, v105
	v_pk_fma_f32 v[88:89], v[92:93], v[80:81], v[102:103] op_sel_hi:[1,0,1]
	v_pk_add_f32 v[74:75], v[74:75], v[76:77]
	v_mov_b32_e32 v76, v85
	v_pk_fma_f32 v[80:81], v[92:93], v[80:81], v[102:103] neg_lo:[0,0,1] neg_hi:[0,0,1]
	v_pk_fma_f32 v[90:91], v[94:95], v[82:83], v[86:87] op_sel_hi:[1,0,1]
	v_mov_b32_e32 v81, v89
	v_pk_add_f32 v[74:75], v[74:75], v[78:79]
	v_pk_mul_f32 v[76:77], v[108:109], v[76:77] op_sel_hi:[1,0]
	v_pk_fma_f32 v[78:79], v[94:95], v[82:83], v[86:87] neg_lo:[0,0,1] neg_hi:[0,0,1]
	v_mov_b32_e32 v79, v91
	s_delay_alu instid0(VALU_DEP_4) | instskip(NEXT) | instid1(VALU_DEP_4)
	v_pk_add_f32 v[74:75], v[74:75], v[80:81]
	v_pk_fma_f32 v[80:81], v[96:97], v[84:85], v[76:77] op_sel_hi:[1,0,1]
	v_pk_fma_f32 v[76:77], v[96:97], v[84:85], v[76:77] neg_lo:[0,0,1] neg_hi:[0,0,1]
	s_delay_alu instid0(VALU_DEP_3) | instskip(NEXT) | instid1(VALU_DEP_3)
	v_pk_add_f32 v[74:75], v[74:75], v[78:79]
	v_mov_b32_e32 v77, v81
	s_delay_alu instid0(VALU_DEP_1) | instskip(SKIP_1) | instid1(VALU_DEP_1)
	v_pk_add_f32 v[74:75], v[74:75], v[76:77]
	s_wait_loadcnt 0x0
	v_pk_add_f32 v[74:75], v[98:99], v[74:75] neg_lo:[0,1] neg_hi:[0,1]
	scratch_store_b64 off, v[74:75], off offset:232
	s_wait_xcnt 0x0
	v_cmpx_lt_u32_e32 28, v0
	s_cbranch_execz .LBB99_173
; %bb.172:
	scratch_load_b64 v[74:75], off, off offset:224
	v_mov_b64_e32 v[76:77], 0
	scratch_store_b64 off, v[76:77], off offset:224
	s_wait_loadcnt 0x0
	ds_store_b64 v1, v[74:75]
.LBB99_173:
	s_wait_xcnt 0x0
	s_or_b32 exec_lo, exec_lo, s0
	s_wait_storecnt_dscnt 0x0
	s_barrier_signal -1
	s_barrier_wait -1
	s_clause 0x4
	scratch_load_b128 v[74:77], off, off offset:232
	scratch_load_b128 v[78:81], off, off offset:248
	;; [unrolled: 1-line block ×3, first 2 shown]
	scratch_load_b64 v[98:99], off, off offset:280
	scratch_load_b64 v[100:101], off, off offset:224
	v_mov_b32_e32 v7, 0
	ds_load_2addr_b64 v[86:89], v7 offset0:65 offset1:66
	ds_load_2addr_b64 v[90:93], v7 offset0:67 offset1:68
	;; [unrolled: 1-line block ×3, first 2 shown]
	ds_load_b64 v[102:103], v7 offset:568
	s_mov_b32 s0, exec_lo
	s_wait_dscnt 0x3
	v_dual_mov_b32 v104, v89 :: v_dual_mov_b32 v105, v88
	s_wait_dscnt 0x2
	v_dual_mov_b32 v106, v93 :: v_dual_mov_b32 v107, v92
	;; [unrolled: 2-line block ×3, first 2 shown]
	s_wait_loadcnt 0x4
	v_pk_mul_f32 v[108:109], v[86:87], v[74:75] op_sel:[1,1] op_sel_hi:[0,1]
	v_mov_b32_e32 v110, v77
	s_wait_loadcnt 0x3
	v_pk_mul_f32 v[114:115], v[90:91], v[78:79] op_sel:[1,1] op_sel_hi:[0,1]
	s_wait_loadcnt 0x2
	v_pk_mul_f32 v[118:119], v[94:95], v[82:83] op_sel:[1,1] op_sel_hi:[0,1]
	v_pk_fma_f32 v[116:117], v[86:87], v[74:75], v[108:109] op_sel_hi:[1,0,1]
	v_pk_mul_f32 v[104:105], v[104:105], v[110:111] op_sel_hi:[1,0]
	v_pk_fma_f32 v[74:75], v[86:87], v[74:75], v[108:109] neg_lo:[0,0,1] neg_hi:[0,0,1]
	v_mov_b32_e32 v110, v81
	v_pk_fma_f32 v[108:109], v[90:91], v[78:79], v[114:115] op_sel_hi:[1,0,1]
	v_mov_b32_e32 v75, v117
	v_pk_fma_f32 v[86:87], v[88:89], v[76:77], v[104:105] op_sel_hi:[1,0,1]
	v_pk_fma_f32 v[76:77], v[88:89], v[76:77], v[104:105] neg_lo:[0,0,1] neg_hi:[0,0,1]
	v_pk_mul_f32 v[106:107], v[106:107], v[110:111] op_sel_hi:[1,0]
	v_pk_fma_f32 v[78:79], v[90:91], v[78:79], v[114:115] neg_lo:[0,0,1] neg_hi:[0,0,1]
	v_pk_add_f32 v[74:75], v[74:75], 0 op_sel_hi:[1,0]
	v_dual_mov_b32 v77, v87 :: v_dual_mov_b32 v86, v85
	s_delay_alu instid0(VALU_DEP_4) | instskip(SKIP_2) | instid1(VALU_DEP_4)
	v_pk_fma_f32 v[88:89], v[92:93], v[80:81], v[106:107] op_sel_hi:[1,0,1]
	v_mov_b32_e32 v79, v109
	v_pk_fma_f32 v[80:81], v[92:93], v[80:81], v[106:107] neg_lo:[0,0,1] neg_hi:[0,0,1]
	v_pk_add_f32 v[74:75], v[74:75], v[76:77]
	v_pk_fma_f32 v[76:77], v[94:95], v[82:83], v[118:119] op_sel_hi:[1,0,1]
	v_pk_mul_f32 v[86:87], v[112:113], v[86:87] op_sel_hi:[1,0]
	v_mov_b32_e32 v81, v89
	s_delay_alu instid0(VALU_DEP_4)
	v_pk_add_f32 v[74:75], v[74:75], v[78:79]
	v_pk_fma_f32 v[78:79], v[94:95], v[82:83], v[118:119] neg_lo:[0,0,1] neg_hi:[0,0,1]
	v_mov_b32_e32 v79, v77
	v_pk_fma_f32 v[76:77], v[96:97], v[84:85], v[86:87] op_sel_hi:[1,0,1]
	v_pk_fma_f32 v[82:83], v[96:97], v[84:85], v[86:87] neg_lo:[0,0,1] neg_hi:[0,0,1]
	v_pk_add_f32 v[74:75], v[74:75], v[80:81]
	s_wait_loadcnt_dscnt 0x100
	v_pk_mul_f32 v[80:81], v[102:103], v[98:99] op_sel:[1,1] op_sel_hi:[0,1]
	v_mov_b32_e32 v83, v77
	s_delay_alu instid0(VALU_DEP_3) | instskip(NEXT) | instid1(VALU_DEP_3)
	v_pk_add_f32 v[74:75], v[74:75], v[78:79]
	v_pk_fma_f32 v[76:77], v[102:103], v[98:99], v[80:81] op_sel_hi:[1,0,1]
	v_pk_fma_f32 v[78:79], v[102:103], v[98:99], v[80:81] neg_lo:[0,0,1] neg_hi:[0,0,1]
	s_delay_alu instid0(VALU_DEP_3) | instskip(NEXT) | instid1(VALU_DEP_3)
	v_pk_add_f32 v[74:75], v[74:75], v[82:83]
	v_mov_b32_e32 v79, v77
	s_delay_alu instid0(VALU_DEP_1) | instskip(SKIP_1) | instid1(VALU_DEP_1)
	v_pk_add_f32 v[74:75], v[74:75], v[78:79]
	s_wait_loadcnt 0x0
	v_pk_add_f32 v[74:75], v[100:101], v[74:75] neg_lo:[0,1] neg_hi:[0,1]
	scratch_store_b64 off, v[74:75], off offset:224
	s_wait_xcnt 0x0
	v_cmpx_lt_u32_e32 27, v0
	s_cbranch_execz .LBB99_175
; %bb.174:
	scratch_load_b64 v[74:75], off, off offset:216
	v_mov_b64_e32 v[76:77], 0
	scratch_store_b64 off, v[76:77], off offset:216
	s_wait_loadcnt 0x0
	ds_store_b64 v1, v[74:75]
.LBB99_175:
	s_wait_xcnt 0x0
	s_or_b32 exec_lo, exec_lo, s0
	s_wait_storecnt_dscnt 0x0
	s_barrier_signal -1
	s_barrier_wait -1
	s_clause 0x4
	scratch_load_b128 v[74:77], off, off offset:224
	scratch_load_b128 v[78:81], off, off offset:240
	scratch_load_b128 v[82:85], off, off offset:256
	scratch_load_b128 v[86:89], off, off offset:272
	scratch_load_b64 v[106:107], off, off offset:216
	ds_load_b128 v[90:93], v7 offset:512
	ds_load_b128 v[94:97], v7 offset:528
	;; [unrolled: 1-line block ×4, first 2 shown]
	s_mov_b32 s0, exec_lo
	s_wait_dscnt 0x3
	v_dual_mov_b32 v108, v93 :: v_dual_mov_b32 v109, v92
	s_wait_dscnt 0x2
	v_dual_mov_b32 v110, v97 :: v_dual_mov_b32 v111, v96
	;; [unrolled: 2-line block ×3, first 2 shown]
	v_dual_mov_b32 v113, v100 :: v_dual_mov_b32 v118, v105
	s_wait_loadcnt 0x4
	v_mov_b32_e32 v116, v77
	v_pk_mul_f32 v[114:115], v[90:91], v[74:75] op_sel:[1,1] op_sel_hi:[0,1]
	s_wait_loadcnt 0x3
	v_pk_mul_f32 v[120:121], v[94:95], v[78:79] op_sel:[1,1] op_sel_hi:[0,1]
	s_wait_loadcnt 0x2
	v_pk_mul_f32 v[124:125], v[98:99], v[82:83] op_sel:[1,1] op_sel_hi:[0,1]
	v_pk_mul_f32 v[108:109], v[108:109], v[116:117] op_sel_hi:[1,0]
	v_pk_fma_f32 v[122:123], v[90:91], v[74:75], v[114:115] op_sel_hi:[1,0,1]
	v_pk_fma_f32 v[74:75], v[90:91], v[74:75], v[114:115] neg_lo:[0,0,1] neg_hi:[0,0,1]
	v_mov_b32_e32 v116, v81
	v_pk_fma_f32 v[114:115], v[94:95], v[78:79], v[120:121] op_sel_hi:[1,0,1]
	v_pk_fma_f32 v[90:91], v[92:93], v[76:77], v[108:109] op_sel_hi:[1,0,1]
	v_mov_b32_e32 v75, v123
	v_pk_fma_f32 v[76:77], v[92:93], v[76:77], v[108:109] neg_lo:[0,0,1] neg_hi:[0,0,1]
	v_pk_mul_f32 v[110:111], v[110:111], v[116:117] op_sel_hi:[1,0]
	s_delay_alu instid0(VALU_DEP_4) | instskip(NEXT) | instid1(VALU_DEP_4)
	v_dual_mov_b32 v90, v85 :: v_dual_mov_b32 v77, v91
	v_pk_add_f32 v[74:75], v[74:75], 0 op_sel_hi:[1,0]
	v_pk_fma_f32 v[78:79], v[94:95], v[78:79], v[120:121] neg_lo:[0,0,1] neg_hi:[0,0,1]
	v_mov_b32_e32 v79, v115
	v_pk_fma_f32 v[92:93], v[96:97], v[80:81], v[110:111] op_sel_hi:[1,0,1]
	v_pk_mul_f32 v[90:91], v[112:113], v[90:91] op_sel_hi:[1,0]
	v_pk_add_f32 v[74:75], v[74:75], v[76:77]
	v_pk_fma_f32 v[76:77], v[98:99], v[82:83], v[124:125] op_sel_hi:[1,0,1]
	v_pk_fma_f32 v[80:81], v[96:97], v[80:81], v[110:111] neg_lo:[0,0,1] neg_hi:[0,0,1]
	v_mov_b32_e32 v81, v93
	v_pk_fma_f32 v[82:83], v[98:99], v[82:83], v[124:125] neg_lo:[0,0,1] neg_hi:[0,0,1]
	v_pk_add_f32 v[74:75], v[74:75], v[78:79]
	v_mov_b32_e32 v83, v77
	v_pk_fma_f32 v[76:77], v[100:101], v[84:85], v[90:91] op_sel_hi:[1,0,1]
	s_wait_loadcnt 0x1
	v_pk_mul_f32 v[78:79], v[102:103], v[86:87] op_sel:[1,1] op_sel_hi:[0,1]
	v_mov_b32_e32 v76, v89
	v_pk_add_f32 v[74:75], v[74:75], v[80:81]
	v_pk_fma_f32 v[84:85], v[100:101], v[84:85], v[90:91] neg_lo:[0,0,1] neg_hi:[0,0,1]
	v_mov_b32_e32 v85, v77
	v_pk_fma_f32 v[80:81], v[102:103], v[86:87], v[78:79] op_sel_hi:[1,0,1]
	v_pk_mul_f32 v[76:77], v[118:119], v[76:77] op_sel_hi:[1,0]
	v_pk_add_f32 v[74:75], v[74:75], v[82:83]
	v_pk_fma_f32 v[78:79], v[102:103], v[86:87], v[78:79] neg_lo:[0,0,1] neg_hi:[0,0,1]
	s_delay_alu instid0(VALU_DEP_4) | instskip(NEXT) | instid1(VALU_DEP_4)
	v_mov_b32_e32 v79, v81
	v_pk_fma_f32 v[80:81], v[104:105], v[88:89], v[76:77] op_sel_hi:[1,0,1]
	s_delay_alu instid0(VALU_DEP_4) | instskip(SKIP_1) | instid1(VALU_DEP_3)
	v_pk_add_f32 v[74:75], v[74:75], v[84:85]
	v_pk_fma_f32 v[76:77], v[104:105], v[88:89], v[76:77] neg_lo:[0,0,1] neg_hi:[0,0,1]
	v_mov_b32_e32 v77, v81
	s_delay_alu instid0(VALU_DEP_3) | instskip(NEXT) | instid1(VALU_DEP_1)
	v_pk_add_f32 v[74:75], v[74:75], v[78:79]
	v_pk_add_f32 v[74:75], v[74:75], v[76:77]
	s_wait_loadcnt 0x0
	s_delay_alu instid0(VALU_DEP_1)
	v_pk_add_f32 v[74:75], v[106:107], v[74:75] neg_lo:[0,1] neg_hi:[0,1]
	scratch_store_b64 off, v[74:75], off offset:216
	s_wait_xcnt 0x0
	v_cmpx_lt_u32_e32 26, v0
	s_cbranch_execz .LBB99_177
; %bb.176:
	scratch_load_b64 v[74:75], off, off offset:208
	v_mov_b64_e32 v[76:77], 0
	scratch_store_b64 off, v[76:77], off offset:208
	s_wait_loadcnt 0x0
	ds_store_b64 v1, v[74:75]
.LBB99_177:
	s_wait_xcnt 0x0
	s_or_b32 exec_lo, exec_lo, s0
	s_wait_storecnt_dscnt 0x0
	s_barrier_signal -1
	s_barrier_wait -1
	s_clause 0x5
	scratch_load_b128 v[74:77], off, off offset:216
	scratch_load_b128 v[78:81], off, off offset:232
	;; [unrolled: 1-line block ×4, first 2 shown]
	scratch_load_b64 v[106:107], off, off offset:280
	scratch_load_b64 v[108:109], off, off offset:208
	v_mov_b32_e32 v7, 0
	ds_load_2addr_b64 v[90:93], v7 offset0:63 offset1:64
	ds_load_2addr_b64 v[94:97], v7 offset0:65 offset1:66
	;; [unrolled: 1-line block ×4, first 2 shown]
	ds_load_b64 v[110:111], v7 offset:568
	s_mov_b32 s0, exec_lo
	s_wait_dscnt 0x4
	v_dual_mov_b32 v112, v93 :: v_dual_mov_b32 v113, v92
	s_wait_dscnt 0x1
	v_dual_mov_b32 v114, v97 :: v_dual_mov_b32 v119, v104
	v_dual_mov_b32 v115, v96 :: v_dual_mov_b32 v116, v101
	;; [unrolled: 1-line block ×3, first 2 shown]
	s_wait_loadcnt 0x5
	v_dual_mov_b32 v120, v77 :: v_dual_mul_f32 v121, v90, v75
	v_mul_f32_e32 v9, v91, v75
	s_wait_loadcnt 0x4
	v_pk_mul_f32 v[122:123], v[94:95], v[78:79] op_sel:[1,1] op_sel_hi:[0,1]
	v_mov_b32_e32 v124, v81
	s_wait_loadcnt 0x3
	v_pk_mul_f32 v[126:127], v[98:99], v[82:83] op_sel:[1,1] op_sel_hi:[0,1]
	v_pk_mul_f32 v[112:113], v[112:113], v[120:121] op_sel_hi:[1,0]
	v_fmac_f32_e32 v121, v91, v74
	v_dual_fma_f32 v120, v90, v74, -v9 :: v_dual_mov_b32 v74, v85
	v_pk_fma_f32 v[128:129], v[94:95], v[78:79], v[122:123] op_sel_hi:[1,0,1]
	s_delay_alu instid0(VALU_DEP_4)
	v_pk_fma_f32 v[90:91], v[92:93], v[76:77], v[112:113] op_sel_hi:[1,0,1]
	v_pk_fma_f32 v[76:77], v[92:93], v[76:77], v[112:113] neg_lo:[0,0,1] neg_hi:[0,0,1]
	v_pk_mul_f32 v[114:115], v[114:115], v[124:125] op_sel_hi:[1,0]
	v_pk_add_f32 v[120:121], v[120:121], 0 op_sel_hi:[1,0]
	v_pk_fma_f32 v[78:79], v[94:95], v[78:79], v[122:123] neg_lo:[0,0,1] neg_hi:[0,0,1]
	v_dual_mov_b32 v77, v91 :: v_dual_mov_b32 v79, v129
	s_delay_alu instid0(VALU_DEP_4) | instskip(SKIP_2) | instid1(VALU_DEP_4)
	v_pk_fma_f32 v[92:93], v[96:97], v[80:81], v[114:115] op_sel_hi:[1,0,1]
	v_pk_fma_f32 v[80:81], v[96:97], v[80:81], v[114:115] neg_lo:[0,0,1] neg_hi:[0,0,1]
	v_pk_fma_f32 v[94:95], v[98:99], v[82:83], v[126:127] op_sel_hi:[1,0,1]
	v_pk_add_f32 v[76:77], v[120:121], v[76:77]
	v_pk_mul_f32 v[74:75], v[116:117], v[74:75] op_sel_hi:[1,0]
	v_mov_b32_e32 v81, v93
	v_pk_fma_f32 v[82:83], v[98:99], v[82:83], v[126:127] neg_lo:[0,0,1] neg_hi:[0,0,1]
	s_wait_loadcnt 0x2
	v_pk_mul_f32 v[90:91], v[102:103], v[86:87] op_sel:[1,1] op_sel_hi:[0,1]
	v_pk_add_f32 v[76:77], v[76:77], v[78:79]
	v_mov_b32_e32 v78, v89
	v_pk_fma_f32 v[92:93], v[100:101], v[84:85], v[74:75] op_sel_hi:[1,0,1]
	v_mov_b32_e32 v83, v95
	v_pk_fma_f32 v[74:75], v[100:101], v[84:85], v[74:75] neg_lo:[0,0,1] neg_hi:[0,0,1]
	v_pk_add_f32 v[76:77], v[76:77], v[80:81]
	v_pk_fma_f32 v[80:81], v[102:103], v[86:87], v[90:91] op_sel_hi:[1,0,1]
	v_pk_mul_f32 v[78:79], v[118:119], v[78:79] op_sel_hi:[1,0]
	v_mov_b32_e32 v75, v93
	s_delay_alu instid0(VALU_DEP_4)
	v_pk_add_f32 v[76:77], v[76:77], v[82:83]
	v_pk_fma_f32 v[82:83], v[102:103], v[86:87], v[90:91] neg_lo:[0,0,1] neg_hi:[0,0,1]
	v_mov_b32_e32 v83, v81
	v_pk_fma_f32 v[80:81], v[104:105], v[88:89], v[78:79] op_sel_hi:[1,0,1]
	v_pk_fma_f32 v[78:79], v[104:105], v[88:89], v[78:79] neg_lo:[0,0,1] neg_hi:[0,0,1]
	v_pk_add_f32 v[74:75], v[76:77], v[74:75]
	s_wait_loadcnt_dscnt 0x100
	v_pk_mul_f32 v[76:77], v[110:111], v[106:107] op_sel:[1,1] op_sel_hi:[0,1]
	v_mov_b32_e32 v79, v81
	s_delay_alu instid0(VALU_DEP_3) | instskip(NEXT) | instid1(VALU_DEP_3)
	v_pk_add_f32 v[74:75], v[74:75], v[82:83]
	v_pk_fma_f32 v[80:81], v[110:111], v[106:107], v[76:77] op_sel_hi:[1,0,1]
	v_pk_fma_f32 v[76:77], v[110:111], v[106:107], v[76:77] neg_lo:[0,0,1] neg_hi:[0,0,1]
	s_delay_alu instid0(VALU_DEP_3) | instskip(NEXT) | instid1(VALU_DEP_3)
	v_pk_add_f32 v[74:75], v[74:75], v[78:79]
	v_mov_b32_e32 v77, v81
	s_delay_alu instid0(VALU_DEP_1) | instskip(SKIP_1) | instid1(VALU_DEP_1)
	v_pk_add_f32 v[74:75], v[74:75], v[76:77]
	s_wait_loadcnt 0x0
	v_pk_add_f32 v[74:75], v[108:109], v[74:75] neg_lo:[0,1] neg_hi:[0,1]
	scratch_store_b64 off, v[74:75], off offset:208
	s_wait_xcnt 0x0
	v_cmpx_lt_u32_e32 25, v0
	s_cbranch_execz .LBB99_179
; %bb.178:
	scratch_load_b64 v[74:75], off, off offset:200
	v_mov_b64_e32 v[76:77], 0
	scratch_store_b64 off, v[76:77], off offset:200
	s_wait_loadcnt 0x0
	ds_store_b64 v1, v[74:75]
.LBB99_179:
	s_wait_xcnt 0x0
	s_or_b32 exec_lo, exec_lo, s0
	s_wait_storecnt_dscnt 0x0
	s_barrier_signal -1
	s_barrier_wait -1
	s_clause 0x5
	scratch_load_b128 v[74:77], off, off offset:208
	scratch_load_b128 v[78:81], off, off offset:224
	;; [unrolled: 1-line block ×5, first 2 shown]
	scratch_load_b64 v[114:115], off, off offset:200
	ds_load_b128 v[94:97], v7 offset:512
	ds_load_b128 v[98:101], v7 offset:528
	;; [unrolled: 1-line block ×5, first 2 shown]
	s_mov_b32 s0, exec_lo
	s_wait_dscnt 0x4
	v_dual_mov_b32 v116, v97 :: v_dual_mov_b32 v117, v96
	s_wait_dscnt 0x3
	v_dual_mov_b32 v118, v101 :: v_dual_mov_b32 v119, v100
	;; [unrolled: 2-line block ×4, first 2 shown]
	s_wait_loadcnt_dscnt 0x500
	v_dual_mul_f32 v125, v110, v75 :: v_dual_mul_f32 v127, v112, v77
	v_dual_mul_f32 v7, v111, v75 :: v_dual_mul_f32 v9, v113, v77
	s_wait_loadcnt 0x4
	v_pk_mul_f32 v[128:129], v[94:95], v[78:79] op_sel:[1,1] op_sel_hi:[0,1]
	s_wait_loadcnt 0x3
	v_dual_mov_b32 v130, v81 :: v_dual_mov_b32 v134, v85
	v_dual_fmac_f32 v125, v111, v74 :: v_dual_fma_f32 v124, v110, v74, -v7
	v_dual_fmac_f32 v127, v113, v76 :: v_dual_fma_f32 v126, v112, v76, -v9
	v_pk_fma_f32 v[74:75], v[94:95], v[78:79], v[128:129] op_sel_hi:[1,0,1]
	s_delay_alu instid0(VALU_DEP_4) | instskip(NEXT) | instid1(VALU_DEP_4)
	v_pk_mul_f32 v[76:77], v[116:117], v[130:131] op_sel_hi:[1,0]
	v_pk_add_f32 v[110:111], v[124:125], 0 op_sel_hi:[1,0]
	v_pk_fma_f32 v[78:79], v[94:95], v[78:79], v[128:129] neg_lo:[0,0,1] neg_hi:[0,0,1]
	v_pk_mul_f32 v[132:133], v[98:99], v[82:83] op_sel:[1,1] op_sel_hi:[0,1]
	v_mov_b32_e32 v79, v75
	v_pk_fma_f32 v[74:75], v[96:97], v[80:81], v[76:77] op_sel_hi:[1,0,1]
	v_pk_add_f32 v[94:95], v[110:111], v[126:127]
	v_pk_fma_f32 v[76:77], v[96:97], v[80:81], v[76:77] neg_lo:[0,0,1] neg_hi:[0,0,1]
	v_pk_fma_f32 v[110:111], v[98:99], v[82:83], v[132:133] op_sel_hi:[1,0,1]
	v_pk_mul_f32 v[116:117], v[118:119], v[134:135] op_sel_hi:[1,0]
	v_mov_b32_e32 v77, v75
	v_pk_add_f32 v[74:75], v[94:95], v[78:79]
	s_wait_loadcnt 0x2
	v_pk_mul_f32 v[112:113], v[102:103], v[86:87] op_sel:[1,1] op_sel_hi:[0,1]
	v_mov_b32_e32 v78, v89
	v_pk_fma_f32 v[80:81], v[98:99], v[82:83], v[132:133] neg_lo:[0,0,1] neg_hi:[0,0,1]
	v_mov_b32_e32 v81, v111
	v_pk_fma_f32 v[82:83], v[100:101], v[84:85], v[116:117] op_sel_hi:[1,0,1]
	v_pk_add_f32 v[74:75], v[74:75], v[76:77]
	v_pk_fma_f32 v[76:77], v[102:103], v[86:87], v[112:113] op_sel_hi:[1,0,1]
	v_pk_mul_f32 v[78:79], v[120:121], v[78:79] op_sel_hi:[1,0]
	v_pk_fma_f32 v[84:85], v[100:101], v[84:85], v[116:117] neg_lo:[0,0,1] neg_hi:[0,0,1]
	v_mov_b32_e32 v85, v83
	v_pk_add_f32 v[74:75], v[74:75], v[80:81]
	v_pk_fma_f32 v[82:83], v[102:103], v[86:87], v[112:113] neg_lo:[0,0,1] neg_hi:[0,0,1]
	v_mov_b32_e32 v83, v77
	v_pk_fma_f32 v[76:77], v[104:105], v[88:89], v[78:79] op_sel_hi:[1,0,1]
	s_wait_loadcnt 0x1
	v_pk_mul_f32 v[80:81], v[106:107], v[90:91] op_sel:[1,1] op_sel_hi:[0,1]
	v_pk_add_f32 v[74:75], v[74:75], v[84:85]
	v_mov_b32_e32 v76, v93
	v_pk_fma_f32 v[78:79], v[104:105], v[88:89], v[78:79] neg_lo:[0,0,1] neg_hi:[0,0,1]
	v_mov_b32_e32 v79, v77
	v_pk_fma_f32 v[84:85], v[106:107], v[90:91], v[80:81] op_sel_hi:[1,0,1]
	v_pk_add_f32 v[74:75], v[74:75], v[82:83]
	v_pk_mul_f32 v[76:77], v[122:123], v[76:77] op_sel_hi:[1,0]
	v_pk_fma_f32 v[80:81], v[106:107], v[90:91], v[80:81] neg_lo:[0,0,1] neg_hi:[0,0,1]
	s_delay_alu instid0(VALU_DEP_3) | instskip(NEXT) | instid1(VALU_DEP_3)
	v_pk_add_f32 v[74:75], v[74:75], v[78:79]
	v_pk_fma_f32 v[78:79], v[108:109], v[92:93], v[76:77] op_sel_hi:[1,0,1]
	v_mov_b32_e32 v81, v85
	v_pk_fma_f32 v[76:77], v[108:109], v[92:93], v[76:77] neg_lo:[0,0,1] neg_hi:[0,0,1]
	s_delay_alu instid0(VALU_DEP_3) | instskip(NEXT) | instid1(VALU_DEP_3)
	v_mov_b32_e32 v77, v79
	v_pk_add_f32 v[74:75], v[74:75], v[80:81]
	s_delay_alu instid0(VALU_DEP_1) | instskip(SKIP_1) | instid1(VALU_DEP_1)
	v_pk_add_f32 v[74:75], v[74:75], v[76:77]
	s_wait_loadcnt 0x0
	v_pk_add_f32 v[74:75], v[114:115], v[74:75] neg_lo:[0,1] neg_hi:[0,1]
	scratch_store_b64 off, v[74:75], off offset:200
	s_wait_xcnt 0x0
	v_cmpx_lt_u32_e32 24, v0
	s_cbranch_execz .LBB99_181
; %bb.180:
	scratch_load_b64 v[74:75], off, off offset:192
	v_mov_b64_e32 v[76:77], 0
	scratch_store_b64 off, v[76:77], off offset:192
	s_wait_loadcnt 0x0
	ds_store_b64 v1, v[74:75]
.LBB99_181:
	s_wait_xcnt 0x0
	s_or_b32 exec_lo, exec_lo, s0
	s_wait_storecnt_dscnt 0x0
	s_barrier_signal -1
	s_barrier_wait -1
	s_clause 0x6
	scratch_load_b128 v[74:77], off, off offset:200
	scratch_load_b128 v[78:81], off, off offset:216
	;; [unrolled: 1-line block ×5, first 2 shown]
	scratch_load_b64 v[114:115], off, off offset:280
	scratch_load_b64 v[116:117], off, off offset:192
	v_mov_b32_e32 v7, 0
	ds_load_2addr_b64 v[94:97], v7 offset0:63 offset1:64
	ds_load_2addr_b64 v[98:101], v7 offset0:65 offset1:66
	;; [unrolled: 1-line block ×5, first 2 shown]
	ds_load_b64 v[118:119], v7 offset:568
	s_mov_b32 s0, exec_lo
	s_wait_dscnt 0x5
	v_dual_mov_b32 v120, v97 :: v_dual_mov_b32 v121, v96
	s_wait_dscnt 0x2
	v_dual_mov_b32 v122, v101 :: v_dual_mov_b32 v127, v108
	v_dual_mov_b32 v123, v100 :: v_dual_mov_b32 v124, v105
	;; [unrolled: 1-line block ×3, first 2 shown]
	s_wait_loadcnt_dscnt 0x601
	v_dual_mul_f32 v9, v110, v75 :: v_dual_mul_f32 v11, v111, v75
	v_dual_mul_f32 v13, v113, v77 :: v_dual_mul_f32 v129, v112, v77
	s_wait_loadcnt 0x5
	v_dual_mul_f32 v131, v94, v79 :: v_dual_mul_f32 v15, v95, v79
	s_wait_loadcnt 0x4
	v_dual_mov_b32 v130, v81 :: v_dual_mov_b32 v134, v85
	v_dual_fmac_f32 v9, v111, v74 :: v_dual_fma_f32 v11, v110, v74, -v11
	v_fmac_f32_e32 v129, v113, v76
	v_pk_mul_f32 v[132:133], v[98:99], v[82:83] op_sel:[1,1] op_sel_hi:[0,1]
	s_delay_alu instid0(VALU_DEP_3)
	v_dual_fma_f32 v128, v112, v76, -v13 :: v_dual_add_f32 v77, 0, v9
	v_pk_mul_f32 v[74:75], v[120:121], v[130:131] op_sel_hi:[1,0]
	s_wait_loadcnt 0x3
	v_dual_add_f32 v76, 0, v11 :: v_dual_mov_b32 v110, v89
	v_fmac_f32_e32 v131, v95, v78
	v_fma_f32 v130, v94, v78, -v15
	v_pk_fma_f32 v[78:79], v[96:97], v[80:81], v[74:75] op_sel_hi:[1,0,1]
	s_delay_alu instid0(VALU_DEP_4) | instskip(SKIP_4) | instid1(VALU_DEP_4)
	v_pk_add_f32 v[76:77], v[76:77], v[128:129]
	v_pk_fma_f32 v[94:95], v[98:99], v[82:83], v[132:133] op_sel_hi:[1,0,1]
	v_pk_fma_f32 v[74:75], v[96:97], v[80:81], v[74:75] neg_lo:[0,0,1] neg_hi:[0,0,1]
	v_pk_fma_f32 v[80:81], v[98:99], v[82:83], v[132:133] neg_lo:[0,0,1] neg_hi:[0,0,1]
	v_pk_mul_f32 v[112:113], v[122:123], v[134:135] op_sel_hi:[1,0]
	v_dual_mov_b32 v75, v79 :: v_dual_mov_b32 v81, v95
	v_pk_add_f32 v[76:77], v[76:77], v[130:131]
	v_pk_mul_f32 v[136:137], v[102:103], v[86:87] op_sel:[1,1] op_sel_hi:[0,1]
	s_delay_alu instid0(VALU_DEP_4)
	v_pk_fma_f32 v[82:83], v[100:101], v[84:85], v[112:113] op_sel_hi:[1,0,1]
	v_pk_fma_f32 v[84:85], v[100:101], v[84:85], v[112:113] neg_lo:[0,0,1] neg_hi:[0,0,1]
	v_pk_mul_f32 v[94:95], v[124:125], v[110:111] op_sel_hi:[1,0]
	v_pk_add_f32 v[74:75], v[76:77], v[74:75]
	v_pk_fma_f32 v[76:77], v[102:103], v[86:87], v[136:137] op_sel_hi:[1,0,1]
	s_wait_loadcnt 0x2
	v_dual_mov_b32 v85, v83 :: v_dual_mov_b32 v76, v93
	v_pk_mul_f32 v[78:79], v[106:107], v[90:91] op_sel:[1,1] op_sel_hi:[0,1]
	v_pk_add_f32 v[74:75], v[74:75], v[80:81]
	v_pk_fma_f32 v[80:81], v[102:103], v[86:87], v[136:137] neg_lo:[0,0,1] neg_hi:[0,0,1]
	v_pk_fma_f32 v[82:83], v[104:105], v[88:89], v[94:95] op_sel_hi:[1,0,1]
	v_mov_b32_e32 v81, v77
	v_pk_fma_f32 v[86:87], v[104:105], v[88:89], v[94:95] neg_lo:[0,0,1] neg_hi:[0,0,1]
	v_pk_add_f32 v[74:75], v[74:75], v[84:85]
	v_pk_fma_f32 v[84:85], v[106:107], v[90:91], v[78:79] op_sel_hi:[1,0,1]
	v_pk_mul_f32 v[76:77], v[126:127], v[76:77] op_sel_hi:[1,0]
	v_mov_b32_e32 v87, v83
	v_pk_fma_f32 v[78:79], v[106:107], v[90:91], v[78:79] neg_lo:[0,0,1] neg_hi:[0,0,1]
	v_pk_add_f32 v[74:75], v[74:75], v[80:81]
	s_wait_loadcnt_dscnt 0x100
	v_pk_mul_f32 v[82:83], v[118:119], v[114:115] op_sel:[1,1] op_sel_hi:[0,1]
	v_pk_fma_f32 v[80:81], v[108:109], v[92:93], v[76:77] op_sel_hi:[1,0,1]
	v_mov_b32_e32 v79, v85
	v_pk_fma_f32 v[76:77], v[108:109], v[92:93], v[76:77] neg_lo:[0,0,1] neg_hi:[0,0,1]
	v_pk_add_f32 v[74:75], v[74:75], v[86:87]
	s_delay_alu instid0(VALU_DEP_4) | instskip(SKIP_1) | instid1(VALU_DEP_3)
	v_mov_b32_e32 v77, v81
	v_pk_fma_f32 v[80:81], v[118:119], v[114:115], v[82:83] neg_lo:[0,0,1] neg_hi:[0,0,1]
	v_pk_add_f32 v[74:75], v[74:75], v[78:79]
	v_pk_fma_f32 v[78:79], v[118:119], v[114:115], v[82:83] op_sel_hi:[1,0,1]
	s_delay_alu instid0(VALU_DEP_2) | instskip(NEXT) | instid1(VALU_DEP_2)
	v_pk_add_f32 v[74:75], v[74:75], v[76:77]
	v_mov_b32_e32 v81, v79
	s_delay_alu instid0(VALU_DEP_1) | instskip(SKIP_1) | instid1(VALU_DEP_1)
	v_pk_add_f32 v[74:75], v[74:75], v[80:81]
	s_wait_loadcnt 0x0
	v_pk_add_f32 v[74:75], v[116:117], v[74:75] neg_lo:[0,1] neg_hi:[0,1]
	scratch_store_b64 off, v[74:75], off offset:192
	s_wait_xcnt 0x0
	v_cmpx_lt_u32_e32 23, v0
	s_cbranch_execz .LBB99_183
; %bb.182:
	scratch_load_b64 v[74:75], off, off offset:184
	v_mov_b64_e32 v[76:77], 0
	scratch_store_b64 off, v[76:77], off offset:184
	s_wait_loadcnt 0x0
	ds_store_b64 v1, v[74:75]
.LBB99_183:
	s_wait_xcnt 0x0
	s_or_b32 exec_lo, exec_lo, s0
	s_wait_storecnt_dscnt 0x0
	s_barrier_signal -1
	s_barrier_wait -1
	s_clause 0x6
	scratch_load_b128 v[74:77], off, off offset:192
	scratch_load_b128 v[78:81], off, off offset:208
	;; [unrolled: 1-line block ×6, first 2 shown]
	scratch_load_b64 v[122:123], off, off offset:184
	ds_load_b128 v[98:101], v7 offset:512
	ds_load_b128 v[102:105], v7 offset:528
	;; [unrolled: 1-line block ×6, first 2 shown]
	s_mov_b32 s0, exec_lo
	s_wait_dscnt 0x5
	v_dual_mov_b32 v124, v101 :: v_dual_mov_b32 v125, v100
	s_wait_dscnt 0x4
	v_dual_mov_b32 v126, v105 :: v_dual_mov_b32 v127, v104
	;; [unrolled: 2-line block ×4, first 2 shown]
	s_wait_loadcnt_dscnt 0x601
	v_dual_mul_f32 v7, v114, v75 :: v_dual_mul_f32 v9, v116, v77
	v_dual_mul_f32 v11, v115, v75 :: v_dual_mul_f32 v13, v117, v77
	s_wait_loadcnt 0x4
	s_delay_alu instid0(VALU_DEP_2)
	v_dual_mov_b32 v138, v85 :: v_dual_fmac_f32 v7, v115, v74
	s_wait_dscnt 0x0
	v_dual_mul_f32 v133, v118, v79 :: v_dual_mul_f32 v135, v120, v81
	v_dual_fma_f32 v11, v114, v74, -v11 :: v_dual_fmac_f32 v9, v117, v76
	v_dual_mul_f32 v15, v119, v79 :: v_dual_mul_f32 v17, v121, v81
	v_dual_fma_f32 v13, v116, v76, -v13 :: v_dual_add_f32 v7, 0, v7
	s_wait_loadcnt 0x3
	s_delay_alu instid0(VALU_DEP_3) | instskip(SKIP_3) | instid1(VALU_DEP_4)
	v_dual_add_f32 v11, 0, v11 :: v_dual_mov_b32 v76, v89
	v_pk_mul_f32 v[136:137], v[98:99], v[82:83] op_sel:[1,1] op_sel_hi:[0,1]
	v_dual_fmac_f32 v133, v119, v78 :: v_dual_fma_f32 v132, v118, v78, -v15
	v_dual_add_f32 v79, v7, v9 :: v_dual_fmac_f32 v135, v121, v80
	v_dual_add_f32 v78, v11, v13 :: v_dual_fma_f32 v134, v120, v80, -v17
	s_delay_alu instid0(VALU_DEP_4) | instskip(SKIP_2) | instid1(VALU_DEP_4)
	v_pk_fma_f32 v[80:81], v[98:99], v[82:83], v[136:137] op_sel_hi:[1,0,1]
	v_pk_mul_f32 v[114:115], v[124:125], v[138:139] op_sel_hi:[1,0]
	v_pk_fma_f32 v[82:83], v[98:99], v[82:83], v[136:137] neg_lo:[0,0,1] neg_hi:[0,0,1]
	v_pk_add_f32 v[78:79], v[78:79], v[132:133]
	v_pk_mul_f32 v[74:75], v[102:103], v[86:87] op_sel:[1,1] op_sel_hi:[0,1]
	v_mov_b32_e32 v83, v81
	v_pk_fma_f32 v[80:81], v[100:101], v[84:85], v[114:115] op_sel_hi:[1,0,1]
	v_pk_fma_f32 v[84:85], v[100:101], v[84:85], v[114:115] neg_lo:[0,0,1] neg_hi:[0,0,1]
	v_pk_add_f32 v[78:79], v[78:79], v[134:135]
	v_pk_fma_f32 v[98:99], v[102:103], v[86:87], v[74:75] op_sel_hi:[1,0,1]
	v_pk_mul_f32 v[76:77], v[126:127], v[76:77] op_sel_hi:[1,0]
	v_mov_b32_e32 v85, v81
	v_pk_fma_f32 v[74:75], v[102:103], v[86:87], v[74:75] neg_lo:[0,0,1] neg_hi:[0,0,1]
	v_pk_add_f32 v[78:79], v[78:79], v[82:83]
	s_wait_loadcnt 0x2
	v_pk_mul_f32 v[116:117], v[106:107], v[90:91] op_sel:[1,1] op_sel_hi:[0,1]
	v_dual_mov_b32 v80, v93 :: v_dual_mov_b32 v75, v99
	v_pk_fma_f32 v[82:83], v[104:105], v[88:89], v[76:77] op_sel_hi:[1,0,1]
	v_pk_add_f32 v[78:79], v[78:79], v[84:85]
	v_pk_fma_f32 v[76:77], v[104:105], v[88:89], v[76:77] neg_lo:[0,0,1] neg_hi:[0,0,1]
	v_pk_fma_f32 v[84:85], v[106:107], v[90:91], v[116:117] op_sel_hi:[1,0,1]
	v_pk_mul_f32 v[80:81], v[128:129], v[80:81] op_sel_hi:[1,0]
	v_mov_b32_e32 v77, v83
	v_pk_add_f32 v[74:75], v[78:79], v[74:75]
	v_pk_fma_f32 v[82:83], v[106:107], v[90:91], v[116:117] neg_lo:[0,0,1] neg_hi:[0,0,1]
	s_wait_loadcnt 0x1
	v_pk_mul_f32 v[78:79], v[110:111], v[94:95] op_sel:[1,1] op_sel_hi:[0,1]
	v_mov_b32_e32 v83, v85
	v_pk_fma_f32 v[84:85], v[108:109], v[92:93], v[80:81] op_sel_hi:[1,0,1]
	v_pk_add_f32 v[74:75], v[74:75], v[76:77]
	v_mov_b32_e32 v76, v97
	v_pk_fma_f32 v[80:81], v[108:109], v[92:93], v[80:81] neg_lo:[0,0,1] neg_hi:[0,0,1]
	v_pk_fma_f32 v[86:87], v[110:111], v[94:95], v[78:79] op_sel_hi:[1,0,1]
	v_mov_b32_e32 v81, v85
	v_pk_add_f32 v[74:75], v[74:75], v[82:83]
	v_pk_mul_f32 v[76:77], v[130:131], v[76:77] op_sel_hi:[1,0]
	v_pk_fma_f32 v[78:79], v[110:111], v[94:95], v[78:79] neg_lo:[0,0,1] neg_hi:[0,0,1]
	s_delay_alu instid0(VALU_DEP_3) | instskip(NEXT) | instid1(VALU_DEP_3)
	v_pk_add_f32 v[74:75], v[74:75], v[80:81]
	v_pk_fma_f32 v[80:81], v[112:113], v[96:97], v[76:77] op_sel_hi:[1,0,1]
	v_mov_b32_e32 v79, v87
	v_pk_fma_f32 v[76:77], v[112:113], v[96:97], v[76:77] neg_lo:[0,0,1] neg_hi:[0,0,1]
	s_delay_alu instid0(VALU_DEP_3) | instskip(NEXT) | instid1(VALU_DEP_3)
	v_mov_b32_e32 v77, v81
	v_pk_add_f32 v[74:75], v[74:75], v[78:79]
	s_delay_alu instid0(VALU_DEP_1) | instskip(SKIP_1) | instid1(VALU_DEP_1)
	v_pk_add_f32 v[74:75], v[74:75], v[76:77]
	s_wait_loadcnt 0x0
	v_pk_add_f32 v[74:75], v[122:123], v[74:75] neg_lo:[0,1] neg_hi:[0,1]
	scratch_store_b64 off, v[74:75], off offset:184
	s_wait_xcnt 0x0
	v_cmpx_lt_u32_e32 22, v0
	s_cbranch_execz .LBB99_185
; %bb.184:
	scratch_load_b64 v[74:75], off, off offset:176
	v_mov_b64_e32 v[76:77], 0
	scratch_store_b64 off, v[76:77], off offset:176
	s_wait_loadcnt 0x0
	ds_store_b64 v1, v[74:75]
.LBB99_185:
	s_wait_xcnt 0x0
	s_or_b32 exec_lo, exec_lo, s0
	s_wait_storecnt_dscnt 0x0
	s_barrier_signal -1
	s_barrier_wait -1
	s_clause 0x7
	scratch_load_b128 v[74:77], off, off offset:184
	scratch_load_b128 v[78:81], off, off offset:200
	;; [unrolled: 1-line block ×6, first 2 shown]
	scratch_load_b64 v[122:123], off, off offset:280
	scratch_load_b64 v[124:125], off, off offset:176
	v_mov_b32_e32 v7, 0
	ds_load_2addr_b64 v[98:101], v7 offset0:63 offset1:64
	ds_load_2addr_b64 v[102:105], v7 offset0:65 offset1:66
	;; [unrolled: 1-line block ×6, first 2 shown]
	ds_load_b64 v[126:127], v7 offset:568
	s_mov_b32 s0, exec_lo
	s_wait_dscnt 0x6
	v_dual_mov_b32 v128, v101 :: v_dual_mov_b32 v129, v100
	s_wait_dscnt 0x3
	v_dual_mov_b32 v130, v105 :: v_dual_mov_b32 v135, v112
	v_dual_mov_b32 v131, v104 :: v_dual_mov_b32 v132, v109
	;; [unrolled: 1-line block ×3, first 2 shown]
	s_wait_loadcnt_dscnt 0x702
	v_dual_mul_f32 v9, v114, v75 :: v_dual_mul_f32 v15, v115, v75
	v_dual_mul_f32 v17, v117, v77 :: v_dual_mul_f32 v11, v116, v77
	s_wait_loadcnt_dscnt 0x601
	s_delay_alu instid0(VALU_DEP_2) | instskip(NEXT) | instid1(VALU_DEP_3)
	v_dual_mul_f32 v13, v118, v79 :: v_dual_fmac_f32 v9, v115, v74
	v_dual_fma_f32 v15, v114, v74, -v15 :: v_dual_mul_f32 v19, v119, v79
	v_mul_f32_e32 v21, v121, v81
	s_wait_loadcnt 0x4
	v_dual_mov_b32 v74, v89 :: v_dual_fma_f32 v17, v116, v76, -v17
	v_dual_fmac_f32 v11, v117, v76 :: v_dual_add_f32 v9, 0, v9
	v_dual_add_f32 v15, 0, v15 :: v_dual_fmac_f32 v13, v119, v78
	v_dual_mul_f32 v137, v120, v81 :: v_dual_mul_f32 v139, v98, v83
	v_dual_mul_f32 v23, v99, v83 :: v_dual_mov_b32 v138, v85
	s_delay_alu instid0(VALU_DEP_4) | instskip(NEXT) | instid1(VALU_DEP_3)
	v_dual_fma_f32 v19, v118, v78, -v19 :: v_dual_add_f32 v9, v9, v11
	v_dual_add_f32 v11, v15, v17 :: v_dual_fmac_f32 v137, v121, v80
	v_pk_mul_f32 v[140:141], v[102:103], v[86:87] op_sel:[1,1] op_sel_hi:[0,1]
	s_delay_alu instid0(VALU_DEP_3)
	v_dual_fma_f32 v136, v120, v80, -v21 :: v_dual_add_f32 v81, v9, v13
	v_pk_mul_f32 v[78:79], v[128:129], v[138:139] op_sel_hi:[1,0]
	s_wait_loadcnt 0x3
	v_dual_add_f32 v80, v11, v19 :: v_dual_mov_b32 v114, v93
	v_fmac_f32_e32 v139, v99, v82
	v_fma_f32 v138, v98, v82, -v23
	v_pk_fma_f32 v[82:83], v[100:101], v[84:85], v[78:79] op_sel_hi:[1,0,1]
	s_delay_alu instid0(VALU_DEP_4) | instskip(SKIP_4) | instid1(VALU_DEP_4)
	v_pk_add_f32 v[80:81], v[80:81], v[136:137]
	v_pk_fma_f32 v[98:99], v[102:103], v[86:87], v[140:141] op_sel_hi:[1,0,1]
	v_pk_fma_f32 v[78:79], v[100:101], v[84:85], v[78:79] neg_lo:[0,0,1] neg_hi:[0,0,1]
	v_pk_fma_f32 v[84:85], v[102:103], v[86:87], v[140:141] neg_lo:[0,0,1] neg_hi:[0,0,1]
	v_pk_mul_f32 v[74:75], v[130:131], v[74:75] op_sel_hi:[1,0]
	v_dual_mov_b32 v79, v83 :: v_dual_mov_b32 v85, v99
	v_pk_add_f32 v[80:81], v[80:81], v[138:139]
	v_pk_mul_f32 v[76:77], v[106:107], v[90:91] op_sel:[1,1] op_sel_hi:[0,1]
	s_delay_alu instid0(VALU_DEP_4)
	v_pk_fma_f32 v[86:87], v[104:105], v[88:89], v[74:75] op_sel_hi:[1,0,1]
	v_pk_fma_f32 v[74:75], v[104:105], v[88:89], v[74:75] neg_lo:[0,0,1] neg_hi:[0,0,1]
	v_pk_mul_f32 v[98:99], v[132:133], v[114:115] op_sel_hi:[1,0]
	v_pk_add_f32 v[78:79], v[80:81], v[78:79]
	v_pk_fma_f32 v[80:81], v[106:107], v[90:91], v[76:77] op_sel_hi:[1,0,1]
	s_wait_loadcnt 0x2
	v_dual_mov_b32 v75, v87 :: v_dual_mov_b32 v80, v97
	v_pk_fma_f32 v[76:77], v[106:107], v[90:91], v[76:77] neg_lo:[0,0,1] neg_hi:[0,0,1]
	v_pk_add_f32 v[78:79], v[78:79], v[84:85]
	v_pk_mul_f32 v[82:83], v[110:111], v[94:95] op_sel:[1,1] op_sel_hi:[0,1]
	v_pk_fma_f32 v[84:85], v[108:109], v[92:93], v[98:99] op_sel_hi:[1,0,1]
	v_mov_b32_e32 v77, v81
	v_pk_fma_f32 v[86:87], v[108:109], v[92:93], v[98:99] neg_lo:[0,0,1] neg_hi:[0,0,1]
	v_pk_add_f32 v[74:75], v[78:79], v[74:75]
	v_pk_fma_f32 v[78:79], v[110:111], v[94:95], v[82:83] op_sel_hi:[1,0,1]
	v_pk_mul_f32 v[80:81], v[134:135], v[80:81] op_sel_hi:[1,0]
	v_mov_b32_e32 v87, v85
	s_delay_alu instid0(VALU_DEP_4)
	v_pk_add_f32 v[74:75], v[74:75], v[76:77]
	v_pk_fma_f32 v[76:77], v[110:111], v[94:95], v[82:83] neg_lo:[0,0,1] neg_hi:[0,0,1]
	v_mov_b32_e32 v77, v79
	v_pk_fma_f32 v[78:79], v[112:113], v[96:97], v[80:81] op_sel_hi:[1,0,1]
	s_wait_loadcnt_dscnt 0x100
	v_pk_mul_f32 v[82:83], v[126:127], v[122:123] op_sel:[1,1] op_sel_hi:[0,1]
	v_pk_add_f32 v[74:75], v[74:75], v[86:87]
	v_pk_fma_f32 v[80:81], v[112:113], v[96:97], v[80:81] neg_lo:[0,0,1] neg_hi:[0,0,1]
	v_mov_b32_e32 v81, v79
	s_delay_alu instid0(VALU_DEP_4) | instskip(NEXT) | instid1(VALU_DEP_4)
	v_pk_fma_f32 v[78:79], v[126:127], v[122:123], v[82:83] neg_lo:[0,0,1] neg_hi:[0,0,1]
	v_pk_add_f32 v[74:75], v[74:75], v[76:77]
	v_pk_fma_f32 v[76:77], v[126:127], v[122:123], v[82:83] op_sel_hi:[1,0,1]
	s_delay_alu instid0(VALU_DEP_2) | instskip(NEXT) | instid1(VALU_DEP_2)
	v_pk_add_f32 v[74:75], v[74:75], v[80:81]
	v_mov_b32_e32 v79, v77
	s_delay_alu instid0(VALU_DEP_1) | instskip(SKIP_1) | instid1(VALU_DEP_1)
	v_pk_add_f32 v[74:75], v[74:75], v[78:79]
	s_wait_loadcnt 0x0
	v_pk_add_f32 v[74:75], v[124:125], v[74:75] neg_lo:[0,1] neg_hi:[0,1]
	scratch_store_b64 off, v[74:75], off offset:176
	s_wait_xcnt 0x0
	v_cmpx_lt_u32_e32 21, v0
	s_cbranch_execz .LBB99_187
; %bb.186:
	scratch_load_b64 v[74:75], off, off offset:168
	v_mov_b64_e32 v[76:77], 0
	scratch_store_b64 off, v[76:77], off offset:168
	s_wait_loadcnt 0x0
	ds_store_b64 v1, v[74:75]
.LBB99_187:
	s_wait_xcnt 0x0
	s_or_b32 exec_lo, exec_lo, s0
	s_wait_storecnt_dscnt 0x0
	s_barrier_signal -1
	s_barrier_wait -1
	s_clause 0x7
	scratch_load_b128 v[74:77], off, off offset:176
	scratch_load_b128 v[78:81], off, off offset:192
	;; [unrolled: 1-line block ×7, first 2 shown]
	scratch_load_b64 v[130:131], off, off offset:168
	ds_load_b128 v[102:105], v7 offset:512
	ds_load_b128 v[106:109], v7 offset:528
	;; [unrolled: 1-line block ×7, first 2 shown]
	s_mov_b32 s0, exec_lo
	s_wait_dscnt 0x6
	v_dual_mov_b32 v132, v105 :: v_dual_mov_b32 v133, v104
	s_wait_dscnt 0x5
	v_dual_mov_b32 v134, v109 :: v_dual_mov_b32 v135, v108
	;; [unrolled: 2-line block ×4, first 2 shown]
	s_wait_loadcnt_dscnt 0x702
	v_dual_mul_f32 v7, v118, v75 :: v_dual_mul_f32 v9, v120, v77
	v_dual_mul_f32 v15, v119, v75 :: v_dual_mul_f32 v17, v121, v77
	s_wait_loadcnt_dscnt 0x601
	v_dual_mul_f32 v11, v122, v79 :: v_dual_mul_f32 v13, v124, v81
	s_delay_alu instid0(VALU_DEP_3) | instskip(NEXT) | instid1(VALU_DEP_3)
	v_dual_fmac_f32 v7, v119, v74 :: v_dual_fmac_f32 v9, v121, v76
	v_dual_fma_f32 v15, v118, v74, -v15 :: v_dual_fma_f32 v17, v120, v76, -v17
	v_dual_mul_f32 v19, v123, v79 :: v_dual_mul_f32 v21, v125, v81
	s_wait_loadcnt 0x4
	s_delay_alu instid0(VALU_DEP_3) | instskip(NEXT) | instid1(VALU_DEP_3)
	v_dual_add_f32 v7, 0, v7 :: v_dual_mov_b32 v76, v89
	v_dual_add_f32 v15, 0, v15 :: v_dual_fmac_f32 v11, v123, v78
	s_delay_alu instid0(VALU_DEP_2) | instskip(SKIP_2) | instid1(VALU_DEP_3)
	v_dual_fma_f32 v19, v122, v78, -v19 :: v_dual_add_f32 v7, v7, v9
	s_wait_dscnt 0x0
	v_dual_mul_f32 v141, v126, v83 :: v_dual_mul_f32 v143, v128, v85
	v_dual_add_f32 v9, v15, v17 :: v_dual_fmac_f32 v13, v125, v80
	v_dual_mul_f32 v23, v127, v83 :: v_dual_mul_f32 v25, v129, v85
	v_dual_fma_f32 v15, v124, v80, -v21 :: v_dual_add_f32 v7, v7, v11
	s_delay_alu instid0(VALU_DEP_3) | instskip(SKIP_3) | instid1(VALU_DEP_3)
	v_dual_add_f32 v9, v9, v19 :: v_dual_fmac_f32 v141, v127, v82
	v_pk_mul_f32 v[74:75], v[102:103], v[86:87] op_sel:[1,1] op_sel_hi:[0,1]
	s_wait_loadcnt 0x3
	v_dual_mov_b32 v80, v93 :: v_dual_fma_f32 v140, v126, v82, -v23
	v_dual_add_f32 v83, v7, v13 :: v_dual_add_f32 v82, v9, v15
	v_dual_fmac_f32 v143, v129, v84 :: v_dual_fma_f32 v142, v128, v84, -v25
	v_pk_fma_f32 v[84:85], v[102:103], v[86:87], v[74:75] op_sel_hi:[1,0,1]
	v_pk_mul_f32 v[76:77], v[132:133], v[76:77] op_sel_hi:[1,0]
	s_delay_alu instid0(VALU_DEP_4)
	v_pk_add_f32 v[82:83], v[82:83], v[140:141]
	v_pk_fma_f32 v[74:75], v[102:103], v[86:87], v[74:75] neg_lo:[0,0,1] neg_hi:[0,0,1]
	v_pk_mul_f32 v[78:79], v[106:107], v[90:91] op_sel:[1,1] op_sel_hi:[0,1]
	v_mov_b32_e32 v75, v85
	v_pk_fma_f32 v[84:85], v[104:105], v[88:89], v[76:77] op_sel_hi:[1,0,1]
	v_pk_add_f32 v[82:83], v[82:83], v[142:143]
	v_pk_fma_f32 v[76:77], v[104:105], v[88:89], v[76:77] neg_lo:[0,0,1] neg_hi:[0,0,1]
	v_pk_fma_f32 v[86:87], v[106:107], v[90:91], v[78:79] op_sel_hi:[1,0,1]
	v_pk_mul_f32 v[80:81], v[134:135], v[80:81] op_sel_hi:[1,0]
	v_mov_b32_e32 v77, v85
	v_pk_add_f32 v[74:75], v[82:83], v[74:75]
	s_wait_loadcnt 0x2
	v_pk_mul_f32 v[118:119], v[110:111], v[94:95] op_sel:[1,1] op_sel_hi:[0,1]
	v_mov_b32_e32 v82, v97
	v_pk_fma_f32 v[78:79], v[106:107], v[90:91], v[78:79] neg_lo:[0,0,1] neg_hi:[0,0,1]
	v_mov_b32_e32 v79, v87
	v_pk_fma_f32 v[84:85], v[108:109], v[92:93], v[80:81] op_sel_hi:[1,0,1]
	v_pk_add_f32 v[74:75], v[74:75], v[76:77]
	v_pk_fma_f32 v[76:77], v[110:111], v[94:95], v[118:119] op_sel_hi:[1,0,1]
	v_pk_mul_f32 v[82:83], v[136:137], v[82:83] op_sel_hi:[1,0]
	v_pk_fma_f32 v[80:81], v[108:109], v[92:93], v[80:81] neg_lo:[0,0,1] neg_hi:[0,0,1]
	v_mov_b32_e32 v81, v85
	v_pk_add_f32 v[74:75], v[74:75], v[78:79]
	v_pk_fma_f32 v[84:85], v[110:111], v[94:95], v[118:119] neg_lo:[0,0,1] neg_hi:[0,0,1]
	v_mov_b32_e32 v85, v77
	v_pk_fma_f32 v[76:77], v[112:113], v[96:97], v[82:83] op_sel_hi:[1,0,1]
	s_wait_loadcnt 0x1
	v_pk_mul_f32 v[78:79], v[114:115], v[98:99] op_sel:[1,1] op_sel_hi:[0,1]
	v_pk_add_f32 v[74:75], v[74:75], v[80:81]
	v_mov_b32_e32 v76, v101
	v_pk_fma_f32 v[82:83], v[112:113], v[96:97], v[82:83] neg_lo:[0,0,1] neg_hi:[0,0,1]
	v_mov_b32_e32 v83, v77
	v_pk_fma_f32 v[80:81], v[114:115], v[98:99], v[78:79] op_sel_hi:[1,0,1]
	v_pk_add_f32 v[74:75], v[74:75], v[84:85]
	v_pk_mul_f32 v[76:77], v[138:139], v[76:77] op_sel_hi:[1,0]
	v_pk_fma_f32 v[78:79], v[114:115], v[98:99], v[78:79] neg_lo:[0,0,1] neg_hi:[0,0,1]
	s_delay_alu instid0(VALU_DEP_4) | instskip(NEXT) | instid1(VALU_DEP_4)
	v_mov_b32_e32 v79, v81
	v_pk_add_f32 v[74:75], v[74:75], v[82:83]
	s_delay_alu instid0(VALU_DEP_4) | instskip(SKIP_1) | instid1(VALU_DEP_2)
	v_pk_fma_f32 v[80:81], v[116:117], v[100:101], v[76:77] op_sel_hi:[1,0,1]
	v_pk_fma_f32 v[76:77], v[116:117], v[100:101], v[76:77] neg_lo:[0,0,1] neg_hi:[0,0,1]
	v_mov_b32_e32 v77, v81
	s_delay_alu instid0(VALU_DEP_4) | instskip(NEXT) | instid1(VALU_DEP_1)
	v_pk_add_f32 v[74:75], v[74:75], v[78:79]
	v_pk_add_f32 v[74:75], v[74:75], v[76:77]
	s_wait_loadcnt 0x0
	s_delay_alu instid0(VALU_DEP_1)
	v_pk_add_f32 v[74:75], v[130:131], v[74:75] neg_lo:[0,1] neg_hi:[0,1]
	scratch_store_b64 off, v[74:75], off offset:168
	s_wait_xcnt 0x0
	v_cmpx_lt_u32_e32 20, v0
	s_cbranch_execz .LBB99_189
; %bb.188:
	scratch_load_b64 v[74:75], off, off offset:160
	v_mov_b64_e32 v[76:77], 0
	scratch_store_b64 off, v[76:77], off offset:160
	s_wait_loadcnt 0x0
	ds_store_b64 v1, v[74:75]
.LBB99_189:
	s_wait_xcnt 0x0
	s_or_b32 exec_lo, exec_lo, s0
	s_wait_storecnt_dscnt 0x0
	s_barrier_signal -1
	s_barrier_wait -1
	s_clause 0x8
	scratch_load_b128 v[74:77], off, off offset:168
	scratch_load_b128 v[78:81], off, off offset:184
	;; [unrolled: 1-line block ×7, first 2 shown]
	scratch_load_b64 v[130:131], off, off offset:280
	scratch_load_b64 v[132:133], off, off offset:160
	v_mov_b32_e32 v7, 0
	ds_load_2addr_b64 v[102:105], v7 offset0:63 offset1:64
	ds_load_2addr_b64 v[106:109], v7 offset0:65 offset1:66
	;; [unrolled: 1-line block ×7, first 2 shown]
	ds_load_b64 v[134:135], v7 offset:568
	s_mov_b32 s0, exec_lo
	s_wait_dscnt 0x7
	v_dual_mov_b32 v136, v105 :: v_dual_mov_b32 v137, v104
	s_wait_dscnt 0x4
	v_dual_mov_b32 v138, v109 :: v_dual_mov_b32 v143, v116
	v_dual_mov_b32 v139, v108 :: v_dual_mov_b32 v140, v113
	;; [unrolled: 1-line block ×3, first 2 shown]
	s_wait_loadcnt_dscnt 0x803
	v_dual_mul_f32 v9, v118, v75 :: v_dual_mul_f32 v19, v119, v75
	v_dual_mul_f32 v21, v121, v77 :: v_dual_mul_f32 v11, v120, v77
	s_wait_loadcnt_dscnt 0x702
	v_mul_f32_e32 v13, v122, v79
	s_wait_loadcnt 0x5
	v_dual_mul_f32 v31, v103, v87 :: v_dual_fma_f32 v19, v118, v74, -v19
	v_dual_fmac_f32 v9, v119, v74 :: v_dual_mov_b32 v74, v89
	v_dual_mul_f32 v23, v123, v79 :: v_dual_mul_f32 v25, v125, v81
	v_dual_fmac_f32 v11, v121, v76 :: v_dual_fma_f32 v21, v120, v76, -v21
	s_delay_alu instid0(VALU_DEP_3) | instskip(SKIP_3) | instid1(VALU_DEP_3)
	v_dual_add_f32 v9, 0, v9 :: v_dual_add_f32 v19, 0, v19
	s_wait_dscnt 0x1
	v_dual_mul_f32 v15, v124, v81 :: v_dual_mul_f32 v17, v126, v83
	v_dual_fmac_f32 v13, v123, v78 :: v_dual_fma_f32 v23, v122, v78, -v23
	v_dual_add_f32 v9, v9, v11 :: v_dual_add_f32 v11, v19, v21
	v_dual_mul_f32 v27, v127, v83 :: v_dual_mul_f32 v29, v129, v85
	s_wait_loadcnt 0x4
	v_dual_mov_b32 v78, v93 :: v_dual_fma_f32 v19, v124, v80, -v25
	s_delay_alu instid0(VALU_DEP_3) | instskip(SKIP_2) | instid1(VALU_DEP_2)
	v_dual_fmac_f32 v15, v125, v80 :: v_dual_add_f32 v11, v11, v23
	v_dual_add_f32 v9, v9, v13 :: v_dual_fmac_f32 v17, v127, v82
	v_dual_mul_f32 v145, v128, v85 :: v_dual_mul_f32 v147, v102, v87
	v_dual_fma_f32 v13, v126, v82, -v27 :: v_dual_add_f32 v9, v9, v15
	s_delay_alu instid0(VALU_DEP_2) | instskip(SKIP_1) | instid1(VALU_DEP_3)
	v_dual_add_f32 v11, v11, v19 :: v_dual_fmac_f32 v145, v129, v84
	v_pk_mul_f32 v[76:77], v[106:107], v[90:91] op_sel:[1,1] op_sel_hi:[0,1]
	v_dual_fma_f32 v144, v128, v84, -v29 :: v_dual_add_f32 v83, v9, v17
	v_pk_mul_f32 v[74:75], v[136:137], v[74:75] op_sel_hi:[1,0]
	s_wait_loadcnt 0x3
	v_dual_add_f32 v82, v11, v13 :: v_dual_mov_b32 v84, v97
	v_fmac_f32_e32 v147, v103, v86
	v_fma_f32 v146, v102, v86, -v31
	v_pk_fma_f32 v[86:87], v[104:105], v[88:89], v[74:75] op_sel_hi:[1,0,1]
	s_delay_alu instid0(VALU_DEP_4) | instskip(SKIP_4) | instid1(VALU_DEP_4)
	v_pk_add_f32 v[82:83], v[82:83], v[144:145]
	v_pk_fma_f32 v[102:103], v[106:107], v[90:91], v[76:77] op_sel_hi:[1,0,1]
	v_pk_fma_f32 v[74:75], v[104:105], v[88:89], v[74:75] neg_lo:[0,0,1] neg_hi:[0,0,1]
	v_pk_fma_f32 v[76:77], v[106:107], v[90:91], v[76:77] neg_lo:[0,0,1] neg_hi:[0,0,1]
	v_pk_mul_f32 v[78:79], v[138:139], v[78:79] op_sel_hi:[1,0]
	v_dual_mov_b32 v75, v87 :: v_dual_mov_b32 v77, v103
	v_pk_add_f32 v[82:83], v[82:83], v[146:147]
	v_pk_mul_f32 v[80:81], v[110:111], v[94:95] op_sel:[1,1] op_sel_hi:[0,1]
	s_delay_alu instid0(VALU_DEP_4)
	v_pk_fma_f32 v[88:89], v[108:109], v[92:93], v[78:79] op_sel_hi:[1,0,1]
	v_pk_fma_f32 v[78:79], v[108:109], v[92:93], v[78:79] neg_lo:[0,0,1] neg_hi:[0,0,1]
	v_pk_mul_f32 v[84:85], v[140:141], v[84:85] op_sel_hi:[1,0]
	v_pk_add_f32 v[74:75], v[82:83], v[74:75]
	v_pk_fma_f32 v[82:83], v[110:111], v[94:95], v[80:81] op_sel_hi:[1,0,1]
	v_mov_b32_e32 v79, v89
	v_pk_fma_f32 v[80:81], v[110:111], v[94:95], v[80:81] neg_lo:[0,0,1] neg_hi:[0,0,1]
	s_wait_loadcnt 0x2
	v_pk_mul_f32 v[86:87], v[114:115], v[98:99] op_sel:[1,1] op_sel_hi:[0,1]
	v_pk_add_f32 v[74:75], v[74:75], v[76:77]
	v_dual_mov_b32 v76, v101 :: v_dual_mov_b32 v81, v83
	v_pk_fma_f32 v[82:83], v[112:113], v[96:97], v[84:85] op_sel_hi:[1,0,1]
	v_pk_fma_f32 v[84:85], v[112:113], v[96:97], v[84:85] neg_lo:[0,0,1] neg_hi:[0,0,1]
	s_delay_alu instid0(VALU_DEP_4)
	v_pk_add_f32 v[74:75], v[74:75], v[78:79]
	v_pk_fma_f32 v[78:79], v[114:115], v[98:99], v[86:87] op_sel_hi:[1,0,1]
	v_pk_mul_f32 v[76:77], v[142:143], v[76:77] op_sel_hi:[1,0]
	v_mov_b32_e32 v85, v83
	s_wait_loadcnt_dscnt 0x100
	v_pk_mul_f32 v[82:83], v[134:135], v[130:131] op_sel:[1,1] op_sel_hi:[0,1]
	v_pk_add_f32 v[74:75], v[74:75], v[80:81]
	v_pk_fma_f32 v[80:81], v[114:115], v[98:99], v[86:87] neg_lo:[0,0,1] neg_hi:[0,0,1]
	v_mov_b32_e32 v81, v79
	v_pk_fma_f32 v[78:79], v[116:117], v[100:101], v[76:77] op_sel_hi:[1,0,1]
	v_pk_fma_f32 v[76:77], v[116:117], v[100:101], v[76:77] neg_lo:[0,0,1] neg_hi:[0,0,1]
	v_pk_add_f32 v[74:75], v[74:75], v[84:85]
	s_delay_alu instid0(VALU_DEP_3) | instskip(SKIP_1) | instid1(VALU_DEP_3)
	v_mov_b32_e32 v77, v79
	v_pk_fma_f32 v[78:79], v[134:135], v[130:131], v[82:83] op_sel_hi:[1,0,1]
	v_pk_add_f32 v[74:75], v[74:75], v[80:81]
	v_pk_fma_f32 v[80:81], v[134:135], v[130:131], v[82:83] neg_lo:[0,0,1] neg_hi:[0,0,1]
	s_delay_alu instid0(VALU_DEP_3) | instskip(NEXT) | instid1(VALU_DEP_3)
	v_mov_b32_e32 v81, v79
	v_pk_add_f32 v[74:75], v[74:75], v[76:77]
	s_delay_alu instid0(VALU_DEP_1) | instskip(SKIP_1) | instid1(VALU_DEP_1)
	v_pk_add_f32 v[74:75], v[74:75], v[80:81]
	s_wait_loadcnt 0x0
	v_pk_add_f32 v[74:75], v[132:133], v[74:75] neg_lo:[0,1] neg_hi:[0,1]
	scratch_store_b64 off, v[74:75], off offset:160
	s_wait_xcnt 0x0
	v_cmpx_lt_u32_e32 19, v0
	s_cbranch_execz .LBB99_191
; %bb.190:
	scratch_load_b64 v[74:75], off, off offset:152
	v_mov_b64_e32 v[76:77], 0
	scratch_store_b64 off, v[76:77], off offset:152
	s_wait_loadcnt 0x0
	ds_store_b64 v1, v[74:75]
.LBB99_191:
	s_wait_xcnt 0x0
	s_or_b32 exec_lo, exec_lo, s0
	s_wait_storecnt_dscnt 0x0
	s_barrier_signal -1
	s_barrier_wait -1
	s_clause 0x8
	scratch_load_b128 v[74:77], off, off offset:160
	scratch_load_b128 v[78:81], off, off offset:176
	;; [unrolled: 1-line block ×8, first 2 shown]
	scratch_load_b64 v[138:139], off, off offset:152
	ds_load_b128 v[106:109], v7 offset:512
	ds_load_b128 v[110:113], v7 offset:528
	;; [unrolled: 1-line block ×8, first 2 shown]
	s_mov_b32 s0, exec_lo
	s_wait_dscnt 0x7
	v_dual_mov_b32 v140, v109 :: v_dual_mov_b32 v141, v108
	s_wait_dscnt 0x6
	v_dual_mov_b32 v142, v113 :: v_dual_mov_b32 v143, v112
	;; [unrolled: 2-line block ×4, first 2 shown]
	s_wait_loadcnt_dscnt 0x803
	v_dual_mul_f32 v7, v122, v75 :: v_dual_mul_f32 v9, v124, v77
	v_dual_mul_f32 v19, v123, v75 :: v_dual_mul_f32 v21, v125, v77
	s_wait_loadcnt_dscnt 0x702
	v_dual_mul_f32 v11, v126, v79 :: v_dual_mul_f32 v13, v128, v81
	s_delay_alu instid0(VALU_DEP_3) | instskip(SKIP_3) | instid1(VALU_DEP_3)
	v_dual_fmac_f32 v7, v123, v74 :: v_dual_fmac_f32 v9, v125, v76
	s_wait_loadcnt_dscnt 0x500
	v_dual_fma_f32 v19, v122, v74, -v19 :: v_dual_mul_f32 v31, v135, v87
	v_dual_mul_f32 v23, v127, v79 :: v_dual_mul_f32 v25, v129, v81
	v_dual_fma_f32 v21, v124, v76, -v21 :: v_dual_add_f32 v7, 0, v7
	s_delay_alu instid0(VALU_DEP_3) | instskip(SKIP_1) | instid1(VALU_DEP_3)
	v_dual_add_f32 v19, 0, v19 :: v_dual_mul_f32 v33, v137, v89
	v_dual_fmac_f32 v11, v127, v78 :: v_dual_fmac_f32 v13, v129, v80
	v_dual_fma_f32 v23, v126, v78, -v23 :: v_dual_add_f32 v7, v7, v9
	s_delay_alu instid0(VALU_DEP_3) | instskip(SKIP_4) | instid1(VALU_DEP_3)
	v_dual_add_f32 v9, v19, v21 :: v_dual_fma_f32 v19, v128, v80, -v25
	v_dual_mul_f32 v15, v130, v83 :: v_dual_mul_f32 v17, v132, v85
	v_dual_mul_f32 v27, v131, v83 :: v_dual_mul_f32 v29, v133, v85
	s_wait_loadcnt 0x4
	v_dual_add_f32 v7, v7, v11 :: v_dual_mov_b32 v76, v93
	v_dual_add_f32 v9, v9, v23 :: v_dual_fmac_f32 v15, v131, v82
	s_delay_alu instid0(VALU_DEP_2) | instskip(SKIP_1) | instid1(VALU_DEP_3)
	v_dual_fma_f32 v11, v130, v82, -v27 :: v_dual_add_f32 v7, v7, v13
	v_dual_mul_f32 v149, v134, v87 :: v_dual_mul_f32 v151, v136, v89
	v_dual_add_f32 v9, v9, v19 :: v_dual_fma_f32 v13, v132, v84, -v29
	s_delay_alu instid0(VALU_DEP_3) | instskip(SKIP_1) | instid1(VALU_DEP_3)
	v_dual_fmac_f32 v17, v133, v84 :: v_dual_add_f32 v7, v7, v15
	v_pk_mul_f32 v[74:75], v[106:107], v[90:91] op_sel:[1,1] op_sel_hi:[0,1]
	v_dual_add_f32 v9, v9, v11 :: v_dual_fmac_f32 v149, v135, v86
	s_wait_loadcnt 0x3
	v_dual_mov_b32 v80, v97 :: v_dual_fma_f32 v148, v134, v86, -v31
	v_dual_add_f32 v83, v7, v17 :: v_dual_fmac_f32 v151, v137, v88
	s_delay_alu instid0(VALU_DEP_3) | instskip(SKIP_3) | instid1(VALU_DEP_4)
	v_dual_add_f32 v82, v9, v13 :: v_dual_fma_f32 v150, v136, v88, -v33
	v_pk_fma_f32 v[84:85], v[106:107], v[90:91], v[74:75] op_sel_hi:[1,0,1]
	v_pk_mul_f32 v[76:77], v[140:141], v[76:77] op_sel_hi:[1,0]
	v_pk_fma_f32 v[74:75], v[106:107], v[90:91], v[74:75] neg_lo:[0,0,1] neg_hi:[0,0,1]
	v_pk_add_f32 v[82:83], v[82:83], v[148:149]
	v_pk_mul_f32 v[78:79], v[110:111], v[94:95] op_sel:[1,1] op_sel_hi:[0,1]
	v_mov_b32_e32 v75, v85
	v_pk_fma_f32 v[84:85], v[108:109], v[92:93], v[76:77] op_sel_hi:[1,0,1]
	v_pk_fma_f32 v[76:77], v[108:109], v[92:93], v[76:77] neg_lo:[0,0,1] neg_hi:[0,0,1]
	v_pk_add_f32 v[82:83], v[82:83], v[150:151]
	v_pk_fma_f32 v[88:89], v[110:111], v[94:95], v[78:79] op_sel_hi:[1,0,1]
	v_pk_mul_f32 v[80:81], v[142:143], v[80:81] op_sel_hi:[1,0]
	v_mov_b32_e32 v77, v85
	s_wait_loadcnt 0x2
	v_pk_mul_f32 v[86:87], v[114:115], v[98:99] op_sel:[1,1] op_sel_hi:[0,1]
	v_pk_add_f32 v[74:75], v[82:83], v[74:75]
	v_mov_b32_e32 v82, v101
	v_pk_fma_f32 v[78:79], v[110:111], v[94:95], v[78:79] neg_lo:[0,0,1] neg_hi:[0,0,1]
	v_mov_b32_e32 v79, v89
	v_pk_fma_f32 v[84:85], v[112:113], v[96:97], v[80:81] op_sel_hi:[1,0,1]
	v_pk_add_f32 v[74:75], v[74:75], v[76:77]
	v_pk_fma_f32 v[76:77], v[114:115], v[98:99], v[86:87] op_sel_hi:[1,0,1]
	v_pk_mul_f32 v[82:83], v[144:145], v[82:83] op_sel_hi:[1,0]
	v_pk_fma_f32 v[80:81], v[112:113], v[96:97], v[80:81] neg_lo:[0,0,1] neg_hi:[0,0,1]
	v_mov_b32_e32 v81, v85
	v_pk_add_f32 v[74:75], v[74:75], v[78:79]
	v_pk_fma_f32 v[84:85], v[114:115], v[98:99], v[86:87] neg_lo:[0,0,1] neg_hi:[0,0,1]
	v_mov_b32_e32 v85, v77
	v_pk_fma_f32 v[76:77], v[116:117], v[100:101], v[82:83] op_sel_hi:[1,0,1]
	s_wait_loadcnt 0x1
	v_pk_mul_f32 v[78:79], v[118:119], v[102:103] op_sel:[1,1] op_sel_hi:[0,1]
	v_pk_add_f32 v[74:75], v[74:75], v[80:81]
	v_mov_b32_e32 v76, v105
	v_pk_fma_f32 v[82:83], v[116:117], v[100:101], v[82:83] neg_lo:[0,0,1] neg_hi:[0,0,1]
	v_mov_b32_e32 v83, v77
	v_pk_fma_f32 v[80:81], v[118:119], v[102:103], v[78:79] op_sel_hi:[1,0,1]
	v_pk_add_f32 v[74:75], v[74:75], v[84:85]
	v_pk_mul_f32 v[76:77], v[146:147], v[76:77] op_sel_hi:[1,0]
	v_pk_fma_f32 v[78:79], v[118:119], v[102:103], v[78:79] neg_lo:[0,0,1] neg_hi:[0,0,1]
	s_delay_alu instid0(VALU_DEP_4) | instskip(NEXT) | instid1(VALU_DEP_4)
	v_mov_b32_e32 v79, v81
	v_pk_add_f32 v[74:75], v[74:75], v[82:83]
	s_delay_alu instid0(VALU_DEP_4) | instskip(SKIP_1) | instid1(VALU_DEP_2)
	v_pk_fma_f32 v[80:81], v[120:121], v[104:105], v[76:77] op_sel_hi:[1,0,1]
	v_pk_fma_f32 v[76:77], v[120:121], v[104:105], v[76:77] neg_lo:[0,0,1] neg_hi:[0,0,1]
	v_mov_b32_e32 v77, v81
	s_delay_alu instid0(VALU_DEP_4) | instskip(NEXT) | instid1(VALU_DEP_1)
	v_pk_add_f32 v[74:75], v[74:75], v[78:79]
	v_pk_add_f32 v[74:75], v[74:75], v[76:77]
	s_wait_loadcnt 0x0
	s_delay_alu instid0(VALU_DEP_1)
	v_pk_add_f32 v[74:75], v[138:139], v[74:75] neg_lo:[0,1] neg_hi:[0,1]
	scratch_store_b64 off, v[74:75], off offset:152
	s_wait_xcnt 0x0
	v_cmpx_lt_u32_e32 18, v0
	s_cbranch_execz .LBB99_193
; %bb.192:
	scratch_load_b64 v[74:75], off, off offset:144
	v_mov_b64_e32 v[76:77], 0
	scratch_store_b64 off, v[76:77], off offset:144
	s_wait_loadcnt 0x0
	ds_store_b64 v1, v[74:75]
.LBB99_193:
	s_wait_xcnt 0x0
	s_or_b32 exec_lo, exec_lo, s0
	s_wait_storecnt_dscnt 0x0
	s_barrier_signal -1
	s_barrier_wait -1
	s_clause 0x9
	scratch_load_b128 v[74:77], off, off offset:152
	scratch_load_b128 v[78:81], off, off offset:168
	;; [unrolled: 1-line block ×8, first 2 shown]
	scratch_load_b64 v[138:139], off, off offset:280
	scratch_load_b64 v[140:141], off, off offset:144
	v_mov_b32_e32 v7, 0
	ds_load_2addr_b64 v[106:109], v7 offset0:63 offset1:64
	ds_load_2addr_b64 v[110:113], v7 offset0:65 offset1:66
	;; [unrolled: 1-line block ×8, first 2 shown]
	ds_load_b64 v[142:143], v7 offset:568
	s_mov_b32 s0, exec_lo
	s_wait_dscnt 0x8
	v_dual_mov_b32 v144, v109 :: v_dual_mov_b32 v145, v108
	s_wait_dscnt 0x5
	v_dual_mov_b32 v146, v113 :: v_dual_mov_b32 v151, v120
	v_dual_mov_b32 v147, v112 :: v_dual_mov_b32 v148, v117
	;; [unrolled: 1-line block ×3, first 2 shown]
	s_wait_loadcnt_dscnt 0x904
	v_dual_mul_f32 v9, v122, v75 :: v_dual_mul_f32 v23, v123, v75
	v_dual_mul_f32 v25, v125, v77 :: v_dual_mul_f32 v11, v124, v77
	s_wait_loadcnt_dscnt 0x803
	v_mul_f32_e32 v13, v126, v79
	s_wait_loadcnt_dscnt 0x601
	v_dual_mul_f32 v35, v135, v87 :: v_dual_fma_f32 v23, v122, v74, -v23
	v_dual_fmac_f32 v9, v123, v74 :: v_dual_mul_f32 v37, v137, v89
	v_dual_mul_f32 v27, v127, v79 :: v_dual_mul_f32 v29, v129, v81
	v_dual_fmac_f32 v11, v125, v76 :: v_dual_fma_f32 v25, v124, v76, -v25
	s_delay_alu instid0(VALU_DEP_3) | instskip(SKIP_3) | instid1(VALU_DEP_3)
	v_dual_add_f32 v9, 0, v9 :: v_dual_add_f32 v23, 0, v23
	v_dual_mul_f32 v15, v128, v81 :: v_dual_mul_f32 v17, v130, v83
	s_wait_loadcnt 0x5
	v_dual_mul_f32 v39, v107, v91 :: v_dual_fma_f32 v27, v126, v78, -v27
	v_dual_fmac_f32 v13, v127, v78 :: v_dual_add_f32 v9, v9, v11
	v_dual_add_f32 v11, v23, v25 :: v_dual_mov_b32 v74, v93
	v_dual_mul_f32 v31, v131, v83 :: v_dual_mul_f32 v33, v133, v85
	v_dual_fmac_f32 v15, v129, v80 :: v_dual_fma_f32 v23, v128, v80, -v29
	s_delay_alu instid0(VALU_DEP_3) | instskip(SKIP_1) | instid1(VALU_DEP_4)
	v_dual_add_f32 v9, v9, v13 :: v_dual_add_f32 v11, v11, v27
	v_dual_mul_f32 v19, v132, v85 :: v_dual_mul_f32 v21, v134, v87
	v_dual_fmac_f32 v17, v131, v82 :: v_dual_fma_f32 v13, v130, v82, -v31
	s_delay_alu instid0(VALU_DEP_3) | instskip(SKIP_3) | instid1(VALU_DEP_3)
	v_dual_add_f32 v9, v9, v15 :: v_dual_fma_f32 v15, v132, v84, -v33
	s_wait_loadcnt 0x4
	v_dual_add_f32 v11, v11, v23 :: v_dual_mov_b32 v78, v97
	v_fmac_f32_e32 v19, v133, v84
	v_dual_add_f32 v9, v9, v17 :: v_dual_fmac_f32 v21, v135, v86
	s_delay_alu instid0(VALU_DEP_3) | instskip(SKIP_1) | instid1(VALU_DEP_3)
	v_add_f32_e32 v11, v11, v13
	v_dual_mul_f32 v153, v136, v89 :: v_dual_mul_f32 v155, v106, v91
	v_dual_fma_f32 v13, v134, v86, -v35 :: v_dual_add_f32 v9, v9, v19
	s_delay_alu instid0(VALU_DEP_2) | instskip(SKIP_1) | instid1(VALU_DEP_3)
	v_dual_add_f32 v11, v11, v15 :: v_dual_fmac_f32 v153, v137, v88
	v_pk_mul_f32 v[76:77], v[110:111], v[94:95] op_sel:[1,1] op_sel_hi:[0,1]
	v_dual_fma_f32 v152, v136, v88, -v37 :: v_dual_add_f32 v83, v9, v21
	v_pk_mul_f32 v[74:75], v[144:145], v[74:75] op_sel_hi:[1,0]
	s_wait_loadcnt 0x3
	v_dual_add_f32 v82, v11, v13 :: v_dual_mov_b32 v84, v101
	v_pk_fma_f32 v[88:89], v[110:111], v[94:95], v[76:77] op_sel_hi:[1,0,1]
	v_fmac_f32_e32 v155, v107, v90
	v_pk_fma_f32 v[86:87], v[108:109], v[92:93], v[74:75] op_sel_hi:[1,0,1]
	v_fma_f32 v154, v106, v90, -v39
	v_pk_add_f32 v[82:83], v[82:83], v[152:153]
	v_pk_fma_f32 v[74:75], v[108:109], v[92:93], v[74:75] neg_lo:[0,0,1] neg_hi:[0,0,1]
	v_pk_fma_f32 v[76:77], v[110:111], v[94:95], v[76:77] neg_lo:[0,0,1] neg_hi:[0,0,1]
	v_pk_mul_f32 v[78:79], v[146:147], v[78:79] op_sel_hi:[1,0]
	v_dual_mov_b32 v75, v87 :: v_dual_mov_b32 v77, v89
	v_pk_add_f32 v[82:83], v[82:83], v[154:155]
	v_pk_mul_f32 v[80:81], v[114:115], v[98:99] op_sel:[1,1] op_sel_hi:[0,1]
	s_delay_alu instid0(VALU_DEP_4)
	v_pk_fma_f32 v[88:89], v[112:113], v[96:97], v[78:79] op_sel_hi:[1,0,1]
	v_pk_fma_f32 v[78:79], v[112:113], v[96:97], v[78:79] neg_lo:[0,0,1] neg_hi:[0,0,1]
	v_pk_mul_f32 v[84:85], v[148:149], v[84:85] op_sel_hi:[1,0]
	v_pk_add_f32 v[74:75], v[82:83], v[74:75]
	v_pk_fma_f32 v[82:83], v[114:115], v[98:99], v[80:81] op_sel_hi:[1,0,1]
	v_mov_b32_e32 v79, v89
	v_pk_fma_f32 v[80:81], v[114:115], v[98:99], v[80:81] neg_lo:[0,0,1] neg_hi:[0,0,1]
	s_wait_loadcnt 0x2
	v_pk_mul_f32 v[86:87], v[118:119], v[102:103] op_sel:[1,1] op_sel_hi:[0,1]
	v_pk_add_f32 v[74:75], v[74:75], v[76:77]
	v_dual_mov_b32 v76, v105 :: v_dual_mov_b32 v81, v83
	v_pk_fma_f32 v[82:83], v[116:117], v[100:101], v[84:85] op_sel_hi:[1,0,1]
	v_pk_fma_f32 v[84:85], v[116:117], v[100:101], v[84:85] neg_lo:[0,0,1] neg_hi:[0,0,1]
	s_delay_alu instid0(VALU_DEP_4)
	v_pk_add_f32 v[74:75], v[74:75], v[78:79]
	v_pk_fma_f32 v[78:79], v[118:119], v[102:103], v[86:87] op_sel_hi:[1,0,1]
	v_pk_mul_f32 v[76:77], v[150:151], v[76:77] op_sel_hi:[1,0]
	v_mov_b32_e32 v85, v83
	s_wait_loadcnt_dscnt 0x100
	v_pk_mul_f32 v[82:83], v[142:143], v[138:139] op_sel:[1,1] op_sel_hi:[0,1]
	v_pk_add_f32 v[74:75], v[74:75], v[80:81]
	v_pk_fma_f32 v[80:81], v[118:119], v[102:103], v[86:87] neg_lo:[0,0,1] neg_hi:[0,0,1]
	v_mov_b32_e32 v81, v79
	v_pk_fma_f32 v[78:79], v[120:121], v[104:105], v[76:77] op_sel_hi:[1,0,1]
	v_pk_fma_f32 v[76:77], v[120:121], v[104:105], v[76:77] neg_lo:[0,0,1] neg_hi:[0,0,1]
	v_pk_add_f32 v[74:75], v[74:75], v[84:85]
	s_delay_alu instid0(VALU_DEP_3) | instskip(SKIP_1) | instid1(VALU_DEP_3)
	v_mov_b32_e32 v77, v79
	v_pk_fma_f32 v[78:79], v[142:143], v[138:139], v[82:83] op_sel_hi:[1,0,1]
	v_pk_add_f32 v[74:75], v[74:75], v[80:81]
	v_pk_fma_f32 v[80:81], v[142:143], v[138:139], v[82:83] neg_lo:[0,0,1] neg_hi:[0,0,1]
	s_delay_alu instid0(VALU_DEP_3) | instskip(NEXT) | instid1(VALU_DEP_3)
	v_mov_b32_e32 v81, v79
	v_pk_add_f32 v[74:75], v[74:75], v[76:77]
	s_delay_alu instid0(VALU_DEP_1) | instskip(SKIP_1) | instid1(VALU_DEP_1)
	v_pk_add_f32 v[74:75], v[74:75], v[80:81]
	s_wait_loadcnt 0x0
	v_pk_add_f32 v[74:75], v[140:141], v[74:75] neg_lo:[0,1] neg_hi:[0,1]
	scratch_store_b64 off, v[74:75], off offset:144
	s_wait_xcnt 0x0
	v_cmpx_lt_u32_e32 17, v0
	s_cbranch_execz .LBB99_195
; %bb.194:
	scratch_load_b64 v[74:75], off, off offset:136
	v_mov_b64_e32 v[76:77], 0
	scratch_store_b64 off, v[76:77], off offset:136
	s_wait_loadcnt 0x0
	ds_store_b64 v1, v[74:75]
.LBB99_195:
	s_wait_xcnt 0x0
	s_or_b32 exec_lo, exec_lo, s0
	s_wait_storecnt_dscnt 0x0
	s_barrier_signal -1
	s_barrier_wait -1
	s_clause 0x9
	scratch_load_b128 v[74:77], off, off offset:144
	scratch_load_b128 v[78:81], off, off offset:160
	;; [unrolled: 1-line block ×9, first 2 shown]
	scratch_load_b64 v[146:147], off, off offset:136
	ds_load_b128 v[110:113], v7 offset:512
	ds_load_b128 v[114:117], v7 offset:528
	;; [unrolled: 1-line block ×9, first 2 shown]
	s_mov_b32 s0, exec_lo
	s_wait_dscnt 0x8
	v_dual_mov_b32 v148, v113 :: v_dual_mov_b32 v149, v112
	s_wait_dscnt 0x7
	v_dual_mov_b32 v150, v117 :: v_dual_mov_b32 v151, v116
	;; [unrolled: 2-line block ×4, first 2 shown]
	s_wait_loadcnt_dscnt 0x904
	v_dual_mul_f32 v7, v126, v75 :: v_dual_mul_f32 v9, v128, v77
	v_dual_mul_f32 v23, v127, v75 :: v_dual_mul_f32 v25, v129, v77
	s_wait_loadcnt_dscnt 0x803
	v_dual_mul_f32 v11, v130, v79 :: v_dual_mul_f32 v13, v132, v81
	s_delay_alu instid0(VALU_DEP_3) | instskip(SKIP_3) | instid1(VALU_DEP_3)
	v_dual_fmac_f32 v7, v127, v74 :: v_dual_fmac_f32 v9, v129, v76
	s_wait_loadcnt_dscnt 0x601
	v_dual_fma_f32 v23, v126, v74, -v23 :: v_dual_mul_f32 v35, v139, v87
	v_dual_mul_f32 v27, v131, v79 :: v_dual_mul_f32 v29, v133, v81
	v_dual_fma_f32 v25, v128, v76, -v25 :: v_dual_add_f32 v7, 0, v7
	s_delay_alu instid0(VALU_DEP_3) | instskip(SKIP_1) | instid1(VALU_DEP_3)
	v_dual_add_f32 v23, 0, v23 :: v_dual_mul_f32 v37, v141, v89
	v_dual_fmac_f32 v11, v131, v78 :: v_dual_fmac_f32 v13, v133, v80
	v_dual_fma_f32 v27, v130, v78, -v27 :: v_dual_add_f32 v7, v7, v9
	s_delay_alu instid0(VALU_DEP_3) | instskip(SKIP_2) | instid1(VALU_DEP_4)
	v_dual_add_f32 v9, v23, v25 :: v_dual_fma_f32 v25, v132, v80, -v29
	v_dual_mul_f32 v15, v134, v83 :: v_dual_mul_f32 v17, v136, v85
	v_dual_mul_f32 v31, v135, v83 :: v_dual_mul_f32 v33, v137, v85
	v_add_f32_e32 v7, v7, v11
	s_delay_alu instid0(VALU_DEP_3) | instskip(NEXT) | instid1(VALU_DEP_3)
	v_dual_add_f32 v9, v9, v27 :: v_dual_fmac_f32 v15, v135, v82
	v_fma_f32 v27, v134, v82, -v31
	v_dual_mul_f32 v19, v138, v87 :: v_dual_mul_f32 v21, v140, v89
	s_delay_alu instid0(VALU_DEP_4) | instskip(NEXT) | instid1(VALU_DEP_4)
	v_dual_add_f32 v7, v7, v13 :: v_dual_fmac_f32 v17, v137, v84
	v_dual_add_f32 v9, v9, v25 :: v_dual_fma_f32 v13, v136, v84, -v33
	s_wait_loadcnt 0x4
	s_delay_alu instid0(VALU_DEP_2) | instskip(NEXT) | instid1(VALU_DEP_2)
	v_dual_mov_b32 v76, v97 :: v_dual_add_f32 v7, v7, v15
	v_dual_fmac_f32 v19, v139, v86 :: v_dual_add_f32 v9, v9, v27
	v_fma_f32 v15, v138, v86, -v35
	s_wait_dscnt 0x0
	v_dual_mul_f32 v157, v142, v91 :: v_dual_mul_f32 v159, v144, v93
	v_add_f32_e32 v7, v7, v17
	v_dual_add_f32 v9, v9, v13 :: v_dual_fma_f32 v13, v140, v88, -v37
	v_dual_mul_f32 v23, v143, v91 :: v_dual_mul_f32 v11, v145, v93
	s_delay_alu instid0(VALU_DEP_3) | instskip(NEXT) | instid1(VALU_DEP_3)
	v_dual_fmac_f32 v21, v141, v88 :: v_dual_add_f32 v7, v7, v19
	v_dual_add_f32 v9, v9, v15 :: v_dual_fmac_f32 v157, v143, v90
	v_pk_mul_f32 v[74:75], v[110:111], v[94:95] op_sel:[1,1] op_sel_hi:[0,1]
	s_wait_loadcnt 0x3
	v_dual_mov_b32 v80, v101 :: v_dual_fma_f32 v156, v142, v90, -v23
	v_dual_add_f32 v83, v7, v21 :: v_dual_fmac_f32 v159, v145, v92
	v_dual_add_f32 v82, v9, v13 :: v_dual_fma_f32 v158, v144, v92, -v11
	v_pk_fma_f32 v[84:85], v[110:111], v[94:95], v[74:75] op_sel_hi:[1,0,1]
	v_pk_mul_f32 v[76:77], v[148:149], v[76:77] op_sel_hi:[1,0]
	v_pk_fma_f32 v[74:75], v[110:111], v[94:95], v[74:75] neg_lo:[0,0,1] neg_hi:[0,0,1]
	s_delay_alu instid0(VALU_DEP_4)
	v_pk_add_f32 v[82:83], v[82:83], v[156:157]
	v_pk_mul_f32 v[78:79], v[114:115], v[98:99] op_sel:[1,1] op_sel_hi:[0,1]
	v_mov_b32_e32 v75, v85
	v_pk_fma_f32 v[84:85], v[112:113], v[96:97], v[76:77] op_sel_hi:[1,0,1]
	v_pk_fma_f32 v[76:77], v[112:113], v[96:97], v[76:77] neg_lo:[0,0,1] neg_hi:[0,0,1]
	v_pk_add_f32 v[82:83], v[82:83], v[158:159]
	v_pk_fma_f32 v[88:89], v[114:115], v[98:99], v[78:79] op_sel_hi:[1,0,1]
	v_pk_mul_f32 v[80:81], v[150:151], v[80:81] op_sel_hi:[1,0]
	v_mov_b32_e32 v77, v85
	s_wait_loadcnt 0x2
	v_pk_mul_f32 v[86:87], v[118:119], v[102:103] op_sel:[1,1] op_sel_hi:[0,1]
	v_pk_add_f32 v[74:75], v[82:83], v[74:75]
	v_mov_b32_e32 v82, v105
	v_pk_fma_f32 v[78:79], v[114:115], v[98:99], v[78:79] neg_lo:[0,0,1] neg_hi:[0,0,1]
	v_mov_b32_e32 v79, v89
	v_pk_fma_f32 v[84:85], v[116:117], v[100:101], v[80:81] op_sel_hi:[1,0,1]
	v_pk_add_f32 v[74:75], v[74:75], v[76:77]
	v_pk_fma_f32 v[76:77], v[118:119], v[102:103], v[86:87] op_sel_hi:[1,0,1]
	v_pk_mul_f32 v[82:83], v[152:153], v[82:83] op_sel_hi:[1,0]
	v_pk_fma_f32 v[80:81], v[116:117], v[100:101], v[80:81] neg_lo:[0,0,1] neg_hi:[0,0,1]
	v_mov_b32_e32 v81, v85
	v_pk_add_f32 v[74:75], v[74:75], v[78:79]
	v_pk_fma_f32 v[84:85], v[118:119], v[102:103], v[86:87] neg_lo:[0,0,1] neg_hi:[0,0,1]
	v_mov_b32_e32 v85, v77
	v_pk_fma_f32 v[76:77], v[120:121], v[104:105], v[82:83] op_sel_hi:[1,0,1]
	s_wait_loadcnt 0x1
	v_pk_mul_f32 v[78:79], v[122:123], v[106:107] op_sel:[1,1] op_sel_hi:[0,1]
	v_pk_add_f32 v[74:75], v[74:75], v[80:81]
	v_mov_b32_e32 v76, v109
	v_pk_fma_f32 v[82:83], v[120:121], v[104:105], v[82:83] neg_lo:[0,0,1] neg_hi:[0,0,1]
	v_mov_b32_e32 v83, v77
	v_pk_fma_f32 v[80:81], v[122:123], v[106:107], v[78:79] op_sel_hi:[1,0,1]
	v_pk_add_f32 v[74:75], v[74:75], v[84:85]
	v_pk_mul_f32 v[76:77], v[154:155], v[76:77] op_sel_hi:[1,0]
	v_pk_fma_f32 v[78:79], v[122:123], v[106:107], v[78:79] neg_lo:[0,0,1] neg_hi:[0,0,1]
	s_delay_alu instid0(VALU_DEP_4) | instskip(NEXT) | instid1(VALU_DEP_4)
	v_mov_b32_e32 v79, v81
	v_pk_add_f32 v[74:75], v[74:75], v[82:83]
	s_delay_alu instid0(VALU_DEP_4) | instskip(SKIP_1) | instid1(VALU_DEP_2)
	v_pk_fma_f32 v[80:81], v[124:125], v[108:109], v[76:77] op_sel_hi:[1,0,1]
	v_pk_fma_f32 v[76:77], v[124:125], v[108:109], v[76:77] neg_lo:[0,0,1] neg_hi:[0,0,1]
	v_mov_b32_e32 v77, v81
	s_delay_alu instid0(VALU_DEP_4) | instskip(NEXT) | instid1(VALU_DEP_1)
	v_pk_add_f32 v[74:75], v[74:75], v[78:79]
	v_pk_add_f32 v[74:75], v[74:75], v[76:77]
	s_wait_loadcnt 0x0
	s_delay_alu instid0(VALU_DEP_1)
	v_pk_add_f32 v[74:75], v[146:147], v[74:75] neg_lo:[0,1] neg_hi:[0,1]
	scratch_store_b64 off, v[74:75], off offset:136
	s_wait_xcnt 0x0
	v_cmpx_lt_u32_e32 16, v0
	s_cbranch_execz .LBB99_197
; %bb.196:
	scratch_load_b64 v[74:75], off, off offset:128
	v_mov_b64_e32 v[76:77], 0
	scratch_store_b64 off, v[76:77], off offset:128
	s_wait_loadcnt 0x0
	ds_store_b64 v1, v[74:75]
.LBB99_197:
	s_wait_xcnt 0x0
	s_or_b32 exec_lo, exec_lo, s0
	s_wait_storecnt_dscnt 0x0
	s_barrier_signal -1
	s_barrier_wait -1
	s_clause 0xa
	scratch_load_b128 v[74:77], off, off offset:136
	scratch_load_b128 v[78:81], off, off offset:152
	;; [unrolled: 1-line block ×9, first 2 shown]
	scratch_load_b64 v[146:147], off, off offset:280
	scratch_load_b64 v[148:149], off, off offset:128
	v_mov_b32_e32 v7, 0
	ds_load_2addr_b64 v[110:113], v7 offset0:63 offset1:64
	ds_load_2addr_b64 v[114:117], v7 offset0:65 offset1:66
	ds_load_2addr_b64 v[118:121], v7 offset0:67 offset1:68
	ds_load_2addr_b64 v[122:125], v7 offset0:69 offset1:70
	ds_load_2addr_b64 v[126:129], v7 offset0:53 offset1:54
	ds_load_2addr_b64 v[130:133], v7 offset0:55 offset1:56
	ds_load_2addr_b64 v[134:137], v7 offset0:57 offset1:58
	ds_load_2addr_b64 v[138:141], v7 offset0:59 offset1:60
	ds_load_2addr_b64 v[142:145], v7 offset0:61 offset1:62
	ds_load_b64 v[150:151], v7 offset:568
	s_mov_b32 s0, exec_lo
	s_wait_dscnt 0x9
	v_dual_mov_b32 v152, v113 :: v_dual_mov_b32 v153, v112
	s_wait_dscnt 0x6
	v_dual_mov_b32 v154, v117 :: v_dual_mov_b32 v159, v124
	v_dual_mov_b32 v155, v116 :: v_dual_mov_b32 v156, v121
	;; [unrolled: 1-line block ×3, first 2 shown]
	s_wait_loadcnt_dscnt 0xa05
	v_dual_mul_f32 v9, v126, v75 :: v_dual_mul_f32 v27, v127, v75
	v_dual_mul_f32 v29, v129, v77 :: v_dual_mul_f32 v11, v128, v77
	s_wait_loadcnt_dscnt 0x904
	v_mul_f32_e32 v13, v130, v79
	s_wait_loadcnt_dscnt 0x702
	v_dual_mul_f32 v39, v139, v87 :: v_dual_fma_f32 v27, v126, v74, -v27
	v_dual_fmac_f32 v9, v127, v74 :: v_dual_mul_f32 v41, v141, v89
	v_dual_mul_f32 v31, v131, v79 :: v_dual_mul_f32 v33, v133, v81
	v_dual_fmac_f32 v11, v129, v76 :: v_dual_fma_f32 v29, v128, v76, -v29
	s_delay_alu instid0(VALU_DEP_3) | instskip(SKIP_3) | instid1(VALU_DEP_3)
	v_dual_add_f32 v9, 0, v9 :: v_dual_add_f32 v27, 0, v27
	v_dual_mul_f32 v15, v132, v81 :: v_dual_mul_f32 v17, v134, v83
	s_wait_loadcnt_dscnt 0x601
	v_dual_mul_f32 v43, v143, v91 :: v_dual_fma_f32 v31, v130, v78, -v31
	v_dual_fmac_f32 v13, v131, v78 :: v_dual_add_f32 v9, v9, v11
	s_delay_alu instid0(VALU_DEP_3) | instskip(SKIP_2) | instid1(VALU_DEP_3)
	v_dual_add_f32 v11, v27, v29 :: v_dual_fmac_f32 v15, v133, v80
	v_dual_mul_f32 v35, v135, v83 :: v_dual_mul_f32 v37, v137, v85
	v_dual_mul_f32 v27, v145, v93 :: v_dual_fma_f32 v29, v132, v80, -v33
	v_dual_add_f32 v9, v9, v13 :: v_dual_add_f32 v11, v11, v31
	v_dual_mul_f32 v19, v136, v85 :: v_dual_mul_f32 v21, v138, v87
	s_wait_loadcnt 0x5
	v_dual_mul_f32 v13, v111, v95 :: v_dual_fma_f32 v31, v134, v82, -v35
	s_delay_alu instid0(VALU_DEP_3) | instskip(SKIP_2) | instid1(VALU_DEP_2)
	v_dual_fmac_f32 v17, v135, v82 :: v_dual_add_f32 v9, v9, v15
	v_dual_add_f32 v11, v11, v29 :: v_dual_mov_b32 v74, v97
	v_dual_fmac_f32 v19, v137, v84 :: v_dual_fma_f32 v15, v136, v84, -v37
	v_dual_add_f32 v9, v9, v17 :: v_dual_add_f32 v11, v11, v31
	v_dual_mul_f32 v23, v140, v89 :: v_dual_mul_f32 v25, v142, v91
	v_dual_fmac_f32 v21, v139, v86 :: v_dual_fma_f32 v17, v138, v86, -v39
	s_delay_alu instid0(VALU_DEP_3) | instskip(SKIP_3) | instid1(VALU_DEP_3)
	v_add_f32_e32 v9, v9, v19
	s_wait_loadcnt 0x4
	v_dual_add_f32 v11, v11, v15 :: v_dual_mov_b32 v78, v101
	v_dual_fmac_f32 v23, v141, v88 :: v_dual_fma_f32 v15, v140, v88, -v41
	v_dual_add_f32 v9, v9, v21 :: v_dual_fmac_f32 v25, v143, v90
	s_delay_alu instid0(VALU_DEP_3) | instskip(SKIP_1) | instid1(VALU_DEP_3)
	v_add_f32_e32 v11, v11, v17
	v_dual_mul_f32 v161, v144, v93 :: v_dual_mul_f32 v163, v110, v95
	v_dual_fma_f32 v17, v142, v90, -v43 :: v_dual_add_f32 v9, v9, v23
	s_delay_alu instid0(VALU_DEP_2) | instskip(SKIP_2) | instid1(VALU_DEP_4)
	v_dual_add_f32 v11, v11, v15 :: v_dual_fmac_f32 v161, v145, v92
	v_fma_f32 v160, v144, v92, -v27
	v_pk_mul_f32 v[74:75], v[152:153], v[74:75] op_sel_hi:[1,0]
	v_add_f32_e32 v83, v9, v25
	s_wait_loadcnt 0x3
	v_dual_add_f32 v82, v11, v17 :: v_dual_mov_b32 v84, v105
	v_pk_mul_f32 v[76:77], v[114:115], v[98:99] op_sel:[1,1] op_sel_hi:[0,1]
	v_dual_fmac_f32 v163, v111, v94 :: v_dual_fma_f32 v162, v110, v94, -v13
	v_pk_fma_f32 v[86:87], v[112:113], v[96:97], v[74:75] op_sel_hi:[1,0,1]
	s_delay_alu instid0(VALU_DEP_4)
	v_pk_add_f32 v[82:83], v[82:83], v[160:161]
	v_pk_fma_f32 v[74:75], v[112:113], v[96:97], v[74:75] neg_lo:[0,0,1] neg_hi:[0,0,1]
	v_pk_fma_f32 v[88:89], v[114:115], v[98:99], v[76:77] op_sel_hi:[1,0,1]
	v_pk_mul_f32 v[78:79], v[154:155], v[78:79] op_sel_hi:[1,0]
	v_mov_b32_e32 v75, v87
	v_pk_add_f32 v[82:83], v[82:83], v[162:163]
	v_pk_fma_f32 v[76:77], v[114:115], v[98:99], v[76:77] neg_lo:[0,0,1] neg_hi:[0,0,1]
	v_pk_mul_f32 v[80:81], v[118:119], v[102:103] op_sel:[1,1] op_sel_hi:[0,1]
	v_mov_b32_e32 v77, v89
	v_pk_fma_f32 v[88:89], v[116:117], v[100:101], v[78:79] op_sel_hi:[1,0,1]
	v_pk_add_f32 v[74:75], v[82:83], v[74:75]
	v_pk_fma_f32 v[78:79], v[116:117], v[100:101], v[78:79] neg_lo:[0,0,1] neg_hi:[0,0,1]
	v_pk_fma_f32 v[82:83], v[118:119], v[102:103], v[80:81] op_sel_hi:[1,0,1]
	v_pk_mul_f32 v[84:85], v[156:157], v[84:85] op_sel_hi:[1,0]
	v_mov_b32_e32 v79, v89
	v_pk_add_f32 v[74:75], v[74:75], v[76:77]
	v_pk_fma_f32 v[80:81], v[118:119], v[102:103], v[80:81] neg_lo:[0,0,1] neg_hi:[0,0,1]
	s_wait_loadcnt 0x2
	v_pk_mul_f32 v[86:87], v[122:123], v[106:107] op_sel:[1,1] op_sel_hi:[0,1]
	v_dual_mov_b32 v76, v109 :: v_dual_mov_b32 v81, v83
	v_pk_fma_f32 v[82:83], v[120:121], v[104:105], v[84:85] op_sel_hi:[1,0,1]
	v_pk_add_f32 v[74:75], v[74:75], v[78:79]
	v_pk_fma_f32 v[84:85], v[120:121], v[104:105], v[84:85] neg_lo:[0,0,1] neg_hi:[0,0,1]
	v_pk_fma_f32 v[78:79], v[122:123], v[106:107], v[86:87] op_sel_hi:[1,0,1]
	v_pk_mul_f32 v[76:77], v[158:159], v[76:77] op_sel_hi:[1,0]
	v_mov_b32_e32 v85, v83
	v_pk_add_f32 v[74:75], v[74:75], v[80:81]
	v_pk_fma_f32 v[80:81], v[122:123], v[106:107], v[86:87] neg_lo:[0,0,1] neg_hi:[0,0,1]
	v_mov_b32_e32 v81, v79
	v_pk_fma_f32 v[78:79], v[124:125], v[108:109], v[76:77] op_sel_hi:[1,0,1]
	s_wait_loadcnt_dscnt 0x100
	v_pk_mul_f32 v[82:83], v[150:151], v[146:147] op_sel:[1,1] op_sel_hi:[0,1]
	v_pk_add_f32 v[74:75], v[74:75], v[84:85]
	v_pk_fma_f32 v[76:77], v[124:125], v[108:109], v[76:77] neg_lo:[0,0,1] neg_hi:[0,0,1]
	v_mov_b32_e32 v77, v79
	s_delay_alu instid0(VALU_DEP_4) | instskip(NEXT) | instid1(VALU_DEP_4)
	v_pk_fma_f32 v[78:79], v[150:151], v[146:147], v[82:83] op_sel_hi:[1,0,1]
	v_pk_add_f32 v[74:75], v[74:75], v[80:81]
	v_pk_fma_f32 v[80:81], v[150:151], v[146:147], v[82:83] neg_lo:[0,0,1] neg_hi:[0,0,1]
	s_delay_alu instid0(VALU_DEP_3) | instskip(NEXT) | instid1(VALU_DEP_3)
	v_mov_b32_e32 v81, v79
	v_pk_add_f32 v[74:75], v[74:75], v[76:77]
	s_delay_alu instid0(VALU_DEP_1) | instskip(SKIP_1) | instid1(VALU_DEP_1)
	v_pk_add_f32 v[74:75], v[74:75], v[80:81]
	s_wait_loadcnt 0x0
	v_pk_add_f32 v[74:75], v[148:149], v[74:75] neg_lo:[0,1] neg_hi:[0,1]
	scratch_store_b64 off, v[74:75], off offset:128
	s_wait_xcnt 0x0
	v_cmpx_lt_u32_e32 15, v0
	s_cbranch_execz .LBB99_199
; %bb.198:
	scratch_load_b64 v[74:75], off, off offset:120
	v_mov_b64_e32 v[76:77], 0
	scratch_store_b64 off, v[76:77], off offset:120
	s_wait_loadcnt 0x0
	ds_store_b64 v1, v[74:75]
.LBB99_199:
	s_wait_xcnt 0x0
	s_or_b32 exec_lo, exec_lo, s0
	s_wait_storecnt_dscnt 0x0
	s_barrier_signal -1
	s_barrier_wait -1
	s_clause 0xa
	scratch_load_b128 v[74:77], off, off offset:128
	scratch_load_b128 v[78:81], off, off offset:144
	;; [unrolled: 1-line block ×10, first 2 shown]
	scratch_load_b64 v[154:155], off, off offset:120
	ds_load_b128 v[114:117], v7 offset:512
	ds_load_b128 v[118:121], v7 offset:528
	;; [unrolled: 1-line block ×10, first 2 shown]
	s_mov_b32 s0, exec_lo
	s_wait_dscnt 0x9
	v_dual_mov_b32 v156, v117 :: v_dual_mov_b32 v157, v116
	s_wait_dscnt 0x8
	v_dual_mov_b32 v158, v121 :: v_dual_mov_b32 v159, v120
	;; [unrolled: 2-line block ×4, first 2 shown]
	s_wait_loadcnt_dscnt 0xa05
	v_dual_mul_f32 v7, v130, v75 :: v_dual_mul_f32 v9, v132, v77
	v_dual_mul_f32 v27, v131, v75 :: v_dual_mul_f32 v29, v133, v77
	s_wait_loadcnt_dscnt 0x904
	v_dual_mul_f32 v11, v134, v79 :: v_dual_mul_f32 v13, v136, v81
	s_delay_alu instid0(VALU_DEP_3) | instskip(SKIP_3) | instid1(VALU_DEP_3)
	v_dual_fmac_f32 v7, v131, v74 :: v_dual_fmac_f32 v9, v133, v76
	s_wait_loadcnt_dscnt 0x702
	v_dual_fma_f32 v27, v130, v74, -v27 :: v_dual_mul_f32 v39, v143, v87
	v_dual_mul_f32 v31, v135, v79 :: v_dual_mul_f32 v33, v137, v81
	v_dual_fma_f32 v29, v132, v76, -v29 :: v_dual_add_f32 v7, 0, v7
	s_delay_alu instid0(VALU_DEP_3) | instskip(SKIP_1) | instid1(VALU_DEP_3)
	v_dual_add_f32 v27, 0, v27 :: v_dual_mul_f32 v41, v145, v89
	v_dual_fmac_f32 v11, v135, v78 :: v_dual_fmac_f32 v13, v137, v80
	v_dual_fma_f32 v31, v134, v78, -v31 :: v_dual_add_f32 v7, v7, v9
	s_delay_alu instid0(VALU_DEP_3) | instskip(SKIP_2) | instid1(VALU_DEP_4)
	v_dual_add_f32 v9, v27, v29 :: v_dual_fma_f32 v29, v136, v80, -v33
	v_dual_mul_f32 v15, v138, v83 :: v_dual_mul_f32 v17, v140, v85
	v_dual_mul_f32 v35, v139, v83 :: v_dual_mul_f32 v37, v141, v85
	v_add_f32_e32 v7, v7, v11
	s_delay_alu instid0(VALU_DEP_3) | instskip(NEXT) | instid1(VALU_DEP_3)
	v_dual_add_f32 v9, v9, v31 :: v_dual_fmac_f32 v15, v139, v82
	v_fma_f32 v31, v138, v82, -v35
	v_dual_mul_f32 v19, v142, v87 :: v_dual_mul_f32 v21, v144, v89
	s_delay_alu instid0(VALU_DEP_4) | instskip(SKIP_2) | instid1(VALU_DEP_2)
	v_dual_add_f32 v7, v7, v13 :: v_dual_fmac_f32 v17, v141, v84
	s_wait_loadcnt_dscnt 0x500
	v_dual_add_f32 v9, v9, v29 :: v_dual_mul_f32 v13, v151, v95
	v_dual_fma_f32 v29, v140, v84, -v37 :: v_dual_add_f32 v7, v7, v15
	v_mul_f32_e32 v15, v153, v97
	s_delay_alu instid0(VALU_DEP_3) | instskip(NEXT) | instid1(VALU_DEP_3)
	v_dual_add_f32 v9, v9, v31 :: v_dual_fmac_f32 v19, v143, v86
	v_dual_fma_f32 v31, v142, v86, -v39 :: v_dual_add_f32 v7, v7, v17
	v_fmac_f32_e32 v21, v145, v88
	s_delay_alu instid0(VALU_DEP_3) | instskip(SKIP_4) | instid1(VALU_DEP_3)
	v_dual_add_f32 v9, v9, v29 :: v_dual_fma_f32 v17, v144, v88, -v41
	v_dual_mul_f32 v23, v146, v91 :: v_dual_mul_f32 v25, v148, v93
	v_dual_mul_f32 v27, v147, v91 :: v_dual_mul_f32 v11, v149, v93
	s_wait_loadcnt 0x4
	v_dual_add_f32 v7, v7, v19 :: v_dual_mov_b32 v76, v101
	v_dual_add_f32 v9, v9, v31 :: v_dual_fmac_f32 v23, v147, v90
	s_delay_alu instid0(VALU_DEP_2) | instskip(SKIP_1) | instid1(VALU_DEP_3)
	v_dual_fma_f32 v19, v146, v90, -v27 :: v_dual_add_f32 v7, v7, v21
	v_dual_mul_f32 v165, v150, v95 :: v_dual_mul_f32 v167, v152, v97
	v_dual_add_f32 v9, v9, v17 :: v_dual_fma_f32 v11, v148, v92, -v11
	s_delay_alu instid0(VALU_DEP_3) | instskip(SKIP_1) | instid1(VALU_DEP_3)
	v_dual_fmac_f32 v25, v149, v92 :: v_dual_add_f32 v7, v7, v23
	v_pk_mul_f32 v[74:75], v[114:115], v[98:99] op_sel:[1,1] op_sel_hi:[0,1]
	v_dual_add_f32 v9, v9, v19 :: v_dual_fmac_f32 v165, v151, v94
	s_wait_loadcnt 0x3
	v_dual_mov_b32 v80, v105 :: v_dual_fma_f32 v164, v150, v94, -v13
	s_delay_alu instid0(VALU_DEP_2)
	v_dual_add_f32 v83, v7, v25 :: v_dual_add_f32 v82, v9, v11
	v_fmac_f32_e32 v167, v153, v96
	v_pk_fma_f32 v[84:85], v[114:115], v[98:99], v[74:75] op_sel_hi:[1,0,1]
	v_fma_f32 v166, v152, v96, -v15
	v_pk_mul_f32 v[76:77], v[156:157], v[76:77] op_sel_hi:[1,0]
	v_pk_add_f32 v[82:83], v[82:83], v[164:165]
	v_pk_fma_f32 v[74:75], v[114:115], v[98:99], v[74:75] neg_lo:[0,0,1] neg_hi:[0,0,1]
	v_pk_mul_f32 v[78:79], v[118:119], v[102:103] op_sel:[1,1] op_sel_hi:[0,1]
	v_mov_b32_e32 v75, v85
	v_pk_fma_f32 v[84:85], v[116:117], v[100:101], v[76:77] op_sel_hi:[1,0,1]
	v_pk_add_f32 v[82:83], v[82:83], v[166:167]
	v_pk_fma_f32 v[76:77], v[116:117], v[100:101], v[76:77] neg_lo:[0,0,1] neg_hi:[0,0,1]
	v_pk_fma_f32 v[88:89], v[118:119], v[102:103], v[78:79] op_sel_hi:[1,0,1]
	v_pk_mul_f32 v[80:81], v[158:159], v[80:81] op_sel_hi:[1,0]
	v_mov_b32_e32 v77, v85
	v_pk_add_f32 v[74:75], v[82:83], v[74:75]
	s_wait_loadcnt 0x2
	v_pk_mul_f32 v[86:87], v[122:123], v[106:107] op_sel:[1,1] op_sel_hi:[0,1]
	v_mov_b32_e32 v82, v109
	v_pk_fma_f32 v[78:79], v[118:119], v[102:103], v[78:79] neg_lo:[0,0,1] neg_hi:[0,0,1]
	v_pk_fma_f32 v[84:85], v[120:121], v[104:105], v[80:81] op_sel_hi:[1,0,1]
	v_mov_b32_e32 v79, v89
	v_pk_add_f32 v[74:75], v[74:75], v[76:77]
	v_pk_fma_f32 v[76:77], v[122:123], v[106:107], v[86:87] op_sel_hi:[1,0,1]
	v_pk_mul_f32 v[82:83], v[160:161], v[82:83] op_sel_hi:[1,0]
	v_pk_fma_f32 v[80:81], v[120:121], v[104:105], v[80:81] neg_lo:[0,0,1] neg_hi:[0,0,1]
	v_mov_b32_e32 v81, v85
	v_pk_add_f32 v[74:75], v[74:75], v[78:79]
	v_pk_fma_f32 v[84:85], v[122:123], v[106:107], v[86:87] neg_lo:[0,0,1] neg_hi:[0,0,1]
	v_mov_b32_e32 v85, v77
	v_pk_fma_f32 v[76:77], v[124:125], v[108:109], v[82:83] op_sel_hi:[1,0,1]
	s_wait_loadcnt 0x1
	v_pk_mul_f32 v[78:79], v[126:127], v[110:111] op_sel:[1,1] op_sel_hi:[0,1]
	v_pk_add_f32 v[74:75], v[74:75], v[80:81]
	v_mov_b32_e32 v76, v113
	v_pk_fma_f32 v[82:83], v[124:125], v[108:109], v[82:83] neg_lo:[0,0,1] neg_hi:[0,0,1]
	s_delay_alu instid0(VALU_DEP_4)
	v_pk_fma_f32 v[80:81], v[126:127], v[110:111], v[78:79] op_sel_hi:[1,0,1]
	v_mov_b32_e32 v83, v77
	v_pk_add_f32 v[74:75], v[74:75], v[84:85]
	v_pk_mul_f32 v[76:77], v[162:163], v[76:77] op_sel_hi:[1,0]
	v_pk_fma_f32 v[78:79], v[126:127], v[110:111], v[78:79] neg_lo:[0,0,1] neg_hi:[0,0,1]
	v_mov_b32_e32 v79, v81
	s_delay_alu instid0(VALU_DEP_4) | instskip(NEXT) | instid1(VALU_DEP_4)
	v_pk_add_f32 v[74:75], v[74:75], v[82:83]
	v_pk_fma_f32 v[80:81], v[128:129], v[112:113], v[76:77] op_sel_hi:[1,0,1]
	v_pk_fma_f32 v[76:77], v[128:129], v[112:113], v[76:77] neg_lo:[0,0,1] neg_hi:[0,0,1]
	s_delay_alu instid0(VALU_DEP_3) | instskip(NEXT) | instid1(VALU_DEP_3)
	v_pk_add_f32 v[74:75], v[74:75], v[78:79]
	v_mov_b32_e32 v77, v81
	s_delay_alu instid0(VALU_DEP_1) | instskip(SKIP_1) | instid1(VALU_DEP_1)
	v_pk_add_f32 v[74:75], v[74:75], v[76:77]
	s_wait_loadcnt 0x0
	v_pk_add_f32 v[74:75], v[154:155], v[74:75] neg_lo:[0,1] neg_hi:[0,1]
	scratch_store_b64 off, v[74:75], off offset:120
	s_wait_xcnt 0x0
	v_cmpx_lt_u32_e32 14, v0
	s_cbranch_execz .LBB99_201
; %bb.200:
	scratch_load_b64 v[74:75], off, off offset:112
	v_mov_b64_e32 v[76:77], 0
	scratch_store_b64 off, v[76:77], off offset:112
	s_wait_loadcnt 0x0
	ds_store_b64 v1, v[74:75]
.LBB99_201:
	s_wait_xcnt 0x0
	s_or_b32 exec_lo, exec_lo, s0
	s_wait_storecnt_dscnt 0x0
	s_barrier_signal -1
	s_barrier_wait -1
	s_clause 0xb
	scratch_load_b128 v[74:77], off, off offset:120
	scratch_load_b128 v[78:81], off, off offset:136
	scratch_load_b128 v[82:85], off, off offset:152
	scratch_load_b128 v[86:89], off, off offset:168
	scratch_load_b128 v[90:93], off, off offset:184
	scratch_load_b128 v[94:97], off, off offset:200
	scratch_load_b128 v[98:101], off, off offset:216
	scratch_load_b128 v[102:105], off, off offset:232
	scratch_load_b128 v[106:109], off, off offset:248
	scratch_load_b128 v[110:113], off, off offset:264
	scratch_load_b64 v[154:155], off, off offset:280
	scratch_load_b64 v[156:157], off, off offset:112
	v_mov_b32_e32 v7, 0
	ds_load_2addr_b64 v[114:117], v7 offset0:63 offset1:64
	ds_load_2addr_b64 v[118:121], v7 offset0:65 offset1:66
	;; [unrolled: 1-line block ×10, first 2 shown]
	ds_load_b64 v[158:159], v7 offset:568
	s_mov_b32 s0, exec_lo
	s_wait_dscnt 0xa
	v_dual_mov_b32 v160, v117 :: v_dual_mov_b32 v161, v116
	s_wait_dscnt 0x7
	v_dual_mov_b32 v162, v121 :: v_dual_mov_b32 v167, v128
	v_dual_mov_b32 v163, v120 :: v_dual_mov_b32 v164, v125
	;; [unrolled: 1-line block ×3, first 2 shown]
	s_wait_loadcnt_dscnt 0xb06
	v_dual_mul_f32 v9, v130, v75 :: v_dual_mul_f32 v31, v131, v75
	v_dual_mul_f32 v33, v133, v77 :: v_dual_mul_f32 v11, v132, v77
	s_wait_loadcnt_dscnt 0xa05
	v_mul_f32_e32 v13, v134, v79
	s_wait_loadcnt_dscnt 0x803
	v_dual_mul_f32 v43, v143, v87 :: v_dual_fma_f32 v31, v130, v74, -v31
	v_dual_fmac_f32 v9, v131, v74 :: v_dual_mul_f32 v45, v145, v89
	v_dual_mul_f32 v35, v135, v79 :: v_dual_mul_f32 v37, v137, v81
	v_dual_fmac_f32 v11, v133, v76 :: v_dual_fma_f32 v33, v132, v76, -v33
	s_delay_alu instid0(VALU_DEP_3) | instskip(SKIP_3) | instid1(VALU_DEP_3)
	v_dual_add_f32 v9, 0, v9 :: v_dual_add_f32 v31, 0, v31
	v_dual_mul_f32 v15, v136, v81 :: v_dual_mul_f32 v17, v138, v83
	s_wait_loadcnt_dscnt 0x702
	v_dual_mul_f32 v47, v147, v91 :: v_dual_fma_f32 v35, v134, v78, -v35
	v_dual_fmac_f32 v13, v135, v78 :: v_dual_add_f32 v9, v9, v11
	s_delay_alu instid0(VALU_DEP_3) | instskip(SKIP_2) | instid1(VALU_DEP_3)
	v_dual_add_f32 v11, v31, v33 :: v_dual_fmac_f32 v15, v137, v80
	v_dual_mul_f32 v39, v139, v83 :: v_dual_mul_f32 v41, v141, v85
	v_dual_mul_f32 v31, v149, v93 :: v_dual_fma_f32 v33, v136, v80, -v37
	v_dual_add_f32 v9, v9, v13 :: v_dual_add_f32 v11, v11, v35
	v_dual_mul_f32 v19, v140, v85 :: v_dual_mul_f32 v21, v142, v87
	s_wait_loadcnt_dscnt 0x601
	v_dual_mul_f32 v13, v151, v95 :: v_dual_fma_f32 v35, v138, v82, -v39
	s_delay_alu instid0(VALU_DEP_3) | instskip(NEXT) | instid1(VALU_DEP_3)
	v_dual_fmac_f32 v17, v139, v82 :: v_dual_add_f32 v9, v9, v15
	v_dual_add_f32 v11, v11, v33 :: v_dual_fmac_f32 v19, v141, v84
	v_dual_mul_f32 v15, v153, v97 :: v_dual_fma_f32 v33, v140, v84, -v41
	s_delay_alu instid0(VALU_DEP_2) | instskip(SKIP_3) | instid1(VALU_DEP_3)
	v_dual_add_f32 v9, v9, v17 :: v_dual_add_f32 v11, v11, v35
	v_dual_mul_f32 v23, v144, v89 :: v_dual_mul_f32 v25, v146, v91
	s_wait_loadcnt 0x5
	v_dual_mul_f32 v17, v115, v99 :: v_dual_fma_f32 v35, v142, v86, -v43
	v_dual_fmac_f32 v21, v143, v86 :: v_dual_add_f32 v9, v9, v19
	v_dual_add_f32 v11, v11, v33 :: v_dual_mov_b32 v74, v101
	v_dual_fmac_f32 v23, v145, v88 :: v_dual_fma_f32 v19, v144, v88, -v45
	s_delay_alu instid0(VALU_DEP_2) | instskip(SKIP_2) | instid1(VALU_DEP_3)
	v_dual_add_f32 v9, v9, v21 :: v_dual_add_f32 v11, v11, v35
	v_dual_mul_f32 v27, v148, v93 :: v_dual_mul_f32 v29, v150, v95
	v_dual_fmac_f32 v25, v147, v90 :: v_dual_fma_f32 v21, v146, v90, -v47
	v_add_f32_e32 v9, v9, v23
	s_wait_loadcnt 0x4
	v_dual_add_f32 v11, v11, v19 :: v_dual_mov_b32 v78, v105
	v_fmac_f32_e32 v27, v149, v92
	s_delay_alu instid0(VALU_DEP_3) | instskip(SKIP_1) | instid1(VALU_DEP_4)
	v_dual_fma_f32 v19, v148, v92, -v31 :: v_dual_add_f32 v9, v9, v25
	v_fmac_f32_e32 v29, v151, v94
	v_add_f32_e32 v11, v11, v21
	v_dual_mul_f32 v169, v152, v97 :: v_dual_mul_f32 v171, v114, v99
	s_delay_alu instid0(VALU_DEP_4) | instskip(NEXT) | instid1(VALU_DEP_2)
	v_dual_fma_f32 v13, v150, v94, -v13 :: v_dual_add_f32 v9, v9, v27
	v_dual_add_f32 v11, v11, v19 :: v_dual_fmac_f32 v169, v153, v96
	v_fma_f32 v168, v152, v96, -v15
	v_pk_mul_f32 v[74:75], v[160:161], v[74:75] op_sel_hi:[1,0]
	s_delay_alu instid0(VALU_DEP_4)
	v_add_f32_e32 v83, v9, v29
	s_wait_loadcnt 0x3
	v_dual_add_f32 v82, v11, v13 :: v_dual_mov_b32 v84, v109
	v_pk_mul_f32 v[76:77], v[118:119], v[102:103] op_sel:[1,1] op_sel_hi:[0,1]
	v_dual_fmac_f32 v171, v115, v98 :: v_dual_fma_f32 v170, v114, v98, -v17
	v_pk_fma_f32 v[86:87], v[116:117], v[100:101], v[74:75] op_sel_hi:[1,0,1]
	s_delay_alu instid0(VALU_DEP_4)
	v_pk_add_f32 v[82:83], v[82:83], v[168:169]
	v_pk_fma_f32 v[74:75], v[116:117], v[100:101], v[74:75] neg_lo:[0,0,1] neg_hi:[0,0,1]
	v_pk_fma_f32 v[88:89], v[118:119], v[102:103], v[76:77] op_sel_hi:[1,0,1]
	v_pk_mul_f32 v[78:79], v[162:163], v[78:79] op_sel_hi:[1,0]
	v_mov_b32_e32 v75, v87
	v_pk_add_f32 v[82:83], v[82:83], v[170:171]
	v_pk_fma_f32 v[76:77], v[118:119], v[102:103], v[76:77] neg_lo:[0,0,1] neg_hi:[0,0,1]
	v_pk_mul_f32 v[80:81], v[122:123], v[106:107] op_sel:[1,1] op_sel_hi:[0,1]
	v_mov_b32_e32 v77, v89
	v_pk_fma_f32 v[88:89], v[120:121], v[104:105], v[78:79] op_sel_hi:[1,0,1]
	v_pk_add_f32 v[74:75], v[82:83], v[74:75]
	v_pk_fma_f32 v[78:79], v[120:121], v[104:105], v[78:79] neg_lo:[0,0,1] neg_hi:[0,0,1]
	v_pk_fma_f32 v[82:83], v[122:123], v[106:107], v[80:81] op_sel_hi:[1,0,1]
	v_pk_mul_f32 v[84:85], v[164:165], v[84:85] op_sel_hi:[1,0]
	v_mov_b32_e32 v79, v89
	v_pk_add_f32 v[74:75], v[74:75], v[76:77]
	v_pk_fma_f32 v[80:81], v[122:123], v[106:107], v[80:81] neg_lo:[0,0,1] neg_hi:[0,0,1]
	s_wait_loadcnt 0x2
	v_pk_mul_f32 v[86:87], v[126:127], v[110:111] op_sel:[1,1] op_sel_hi:[0,1]
	v_dual_mov_b32 v76, v113 :: v_dual_mov_b32 v81, v83
	v_pk_fma_f32 v[82:83], v[124:125], v[108:109], v[84:85] op_sel_hi:[1,0,1]
	v_pk_add_f32 v[74:75], v[74:75], v[78:79]
	v_pk_fma_f32 v[84:85], v[124:125], v[108:109], v[84:85] neg_lo:[0,0,1] neg_hi:[0,0,1]
	v_pk_fma_f32 v[78:79], v[126:127], v[110:111], v[86:87] op_sel_hi:[1,0,1]
	v_pk_mul_f32 v[76:77], v[166:167], v[76:77] op_sel_hi:[1,0]
	v_mov_b32_e32 v85, v83
	v_pk_add_f32 v[74:75], v[74:75], v[80:81]
	v_pk_fma_f32 v[80:81], v[126:127], v[110:111], v[86:87] neg_lo:[0,0,1] neg_hi:[0,0,1]
	v_mov_b32_e32 v81, v79
	v_pk_fma_f32 v[78:79], v[128:129], v[112:113], v[76:77] op_sel_hi:[1,0,1]
	s_wait_loadcnt_dscnt 0x100
	v_pk_mul_f32 v[82:83], v[158:159], v[154:155] op_sel:[1,1] op_sel_hi:[0,1]
	v_pk_add_f32 v[74:75], v[74:75], v[84:85]
	v_pk_fma_f32 v[76:77], v[128:129], v[112:113], v[76:77] neg_lo:[0,0,1] neg_hi:[0,0,1]
	v_mov_b32_e32 v77, v79
	s_delay_alu instid0(VALU_DEP_4) | instskip(NEXT) | instid1(VALU_DEP_4)
	v_pk_fma_f32 v[78:79], v[158:159], v[154:155], v[82:83] op_sel_hi:[1,0,1]
	v_pk_add_f32 v[74:75], v[74:75], v[80:81]
	v_pk_fma_f32 v[80:81], v[158:159], v[154:155], v[82:83] neg_lo:[0,0,1] neg_hi:[0,0,1]
	s_delay_alu instid0(VALU_DEP_3) | instskip(NEXT) | instid1(VALU_DEP_3)
	v_mov_b32_e32 v81, v79
	v_pk_add_f32 v[74:75], v[74:75], v[76:77]
	s_delay_alu instid0(VALU_DEP_1) | instskip(SKIP_1) | instid1(VALU_DEP_1)
	v_pk_add_f32 v[74:75], v[74:75], v[80:81]
	s_wait_loadcnt 0x0
	v_pk_add_f32 v[74:75], v[156:157], v[74:75] neg_lo:[0,1] neg_hi:[0,1]
	scratch_store_b64 off, v[74:75], off offset:112
	s_wait_xcnt 0x0
	v_cmpx_lt_u32_e32 13, v0
	s_cbranch_execz .LBB99_203
; %bb.202:
	scratch_load_b64 v[74:75], off, off offset:104
	v_mov_b64_e32 v[76:77], 0
	scratch_store_b64 off, v[76:77], off offset:104
	s_wait_loadcnt 0x0
	ds_store_b64 v1, v[74:75]
.LBB99_203:
	s_wait_xcnt 0x0
	s_or_b32 exec_lo, exec_lo, s0
	s_wait_storecnt_dscnt 0x0
	s_barrier_signal -1
	s_barrier_wait -1
	s_clause 0xb
	scratch_load_b128 v[74:77], off, off offset:112
	scratch_load_b128 v[78:81], off, off offset:128
	;; [unrolled: 1-line block ×11, first 2 shown]
	scratch_load_b64 v[162:163], off, off offset:104
	ds_load_b128 v[118:121], v7 offset:512
	ds_load_b128 v[122:125], v7 offset:528
	;; [unrolled: 1-line block ×11, first 2 shown]
	s_mov_b32 s0, exec_lo
	s_wait_dscnt 0xa
	v_dual_mov_b32 v164, v121 :: v_dual_mov_b32 v165, v120
	s_wait_dscnt 0x9
	v_dual_mov_b32 v166, v125 :: v_dual_mov_b32 v167, v124
	;; [unrolled: 2-line block ×4, first 2 shown]
	s_wait_loadcnt_dscnt 0xb06
	v_dual_mul_f32 v7, v134, v75 :: v_dual_mul_f32 v9, v136, v77
	v_dual_mul_f32 v31, v135, v75 :: v_dual_mul_f32 v33, v137, v77
	s_wait_loadcnt_dscnt 0xa05
	v_dual_mul_f32 v11, v138, v79 :: v_dual_mul_f32 v13, v140, v81
	s_delay_alu instid0(VALU_DEP_3) | instskip(SKIP_3) | instid1(VALU_DEP_3)
	v_dual_fmac_f32 v7, v135, v74 :: v_dual_fmac_f32 v9, v137, v76
	s_wait_loadcnt_dscnt 0x803
	v_dual_fma_f32 v31, v134, v74, -v31 :: v_dual_mul_f32 v43, v147, v87
	v_dual_mul_f32 v35, v139, v79 :: v_dual_mul_f32 v37, v141, v81
	v_dual_fma_f32 v33, v136, v76, -v33 :: v_dual_add_f32 v7, 0, v7
	s_delay_alu instid0(VALU_DEP_3) | instskip(SKIP_1) | instid1(VALU_DEP_3)
	v_dual_add_f32 v31, 0, v31 :: v_dual_mul_f32 v45, v149, v89
	v_dual_fmac_f32 v11, v139, v78 :: v_dual_fmac_f32 v13, v141, v80
	v_dual_fma_f32 v35, v138, v78, -v35 :: v_dual_add_f32 v7, v7, v9
	s_delay_alu instid0(VALU_DEP_3) | instskip(SKIP_2) | instid1(VALU_DEP_4)
	v_dual_add_f32 v9, v31, v33 :: v_dual_fma_f32 v33, v140, v80, -v37
	v_dual_mul_f32 v15, v142, v83 :: v_dual_mul_f32 v17, v144, v85
	v_dual_mul_f32 v39, v143, v83 :: v_dual_mul_f32 v41, v145, v85
	v_add_f32_e32 v7, v7, v11
	s_delay_alu instid0(VALU_DEP_3) | instskip(NEXT) | instid1(VALU_DEP_3)
	v_dual_add_f32 v9, v9, v35 :: v_dual_fmac_f32 v15, v143, v82
	v_fma_f32 v35, v142, v82, -v39
	v_dual_mul_f32 v19, v146, v87 :: v_dual_mul_f32 v21, v148, v89
	s_delay_alu instid0(VALU_DEP_4) | instskip(SKIP_2) | instid1(VALU_DEP_2)
	v_dual_add_f32 v7, v7, v13 :: v_dual_fmac_f32 v17, v145, v84
	s_wait_loadcnt_dscnt 0x601
	v_dual_add_f32 v9, v9, v33 :: v_dual_mul_f32 v13, v155, v95
	v_dual_fma_f32 v33, v144, v84, -v41 :: v_dual_add_f32 v7, v7, v15
	v_mul_f32_e32 v15, v157, v97
	s_delay_alu instid0(VALU_DEP_3) | instskip(NEXT) | instid1(VALU_DEP_3)
	v_dual_add_f32 v9, v9, v35 :: v_dual_fmac_f32 v19, v147, v86
	v_dual_fma_f32 v35, v146, v86, -v43 :: v_dual_add_f32 v7, v7, v17
	v_fmac_f32_e32 v21, v149, v88
	s_wait_loadcnt_dscnt 0x500
	s_delay_alu instid0(VALU_DEP_3) | instskip(SKIP_3) | instid1(VALU_DEP_3)
	v_dual_add_f32 v9, v9, v33 :: v_dual_mul_f32 v17, v159, v99
	v_dual_mul_f32 v23, v150, v91 :: v_dual_mul_f32 v25, v152, v93
	v_dual_mul_f32 v31, v151, v91 :: v_dual_mul_f32 v11, v153, v93
	v_dual_fma_f32 v33, v148, v88, -v45 :: v_dual_add_f32 v7, v7, v19
	v_dual_add_f32 v9, v9, v35 :: v_dual_fmac_f32 v23, v151, v90
	s_delay_alu instid0(VALU_DEP_3) | instskip(NEXT) | instid1(VALU_DEP_3)
	v_dual_mul_f32 v19, v161, v101 :: v_dual_fma_f32 v31, v150, v90, -v31
	v_dual_add_f32 v7, v7, v21 :: v_dual_fmac_f32 v25, v153, v92
	s_delay_alu instid0(VALU_DEP_3) | instskip(SKIP_2) | instid1(VALU_DEP_3)
	v_dual_add_f32 v9, v9, v33 :: v_dual_fma_f32 v11, v152, v92, -v11
	v_dual_mul_f32 v27, v154, v95 :: v_dual_mul_f32 v29, v156, v97
	s_wait_loadcnt 0x4
	v_dual_add_f32 v7, v7, v23 :: v_dual_mov_b32 v76, v105
	s_delay_alu instid0(VALU_DEP_2) | instskip(NEXT) | instid1(VALU_DEP_2)
	v_dual_add_f32 v9, v9, v31 :: v_dual_fmac_f32 v27, v155, v94
	v_dual_fma_f32 v13, v154, v94, -v13 :: v_dual_add_f32 v7, v7, v25
	v_dual_mul_f32 v173, v158, v99 :: v_dual_mul_f32 v175, v160, v101
	s_delay_alu instid0(VALU_DEP_3) | instskip(NEXT) | instid1(VALU_DEP_3)
	v_dual_add_f32 v9, v9, v11 :: v_dual_fma_f32 v11, v156, v96, -v15
	v_dual_fmac_f32 v29, v157, v96 :: v_dual_add_f32 v7, v7, v27
	v_pk_mul_f32 v[74:75], v[118:119], v[102:103] op_sel:[1,1] op_sel_hi:[0,1]
	s_delay_alu instid0(VALU_DEP_3) | instskip(SKIP_2) | instid1(VALU_DEP_2)
	v_dual_add_f32 v9, v9, v13 :: v_dual_fmac_f32 v173, v159, v98
	s_wait_loadcnt 0x3
	v_dual_mov_b32 v80, v109 :: v_dual_fma_f32 v172, v158, v98, -v17
	v_dual_add_f32 v83, v7, v29 :: v_dual_add_f32 v82, v9, v11
	v_fmac_f32_e32 v175, v161, v100
	v_pk_fma_f32 v[84:85], v[118:119], v[102:103], v[74:75] op_sel_hi:[1,0,1]
	v_fma_f32 v174, v160, v100, -v19
	v_pk_mul_f32 v[76:77], v[164:165], v[76:77] op_sel_hi:[1,0]
	v_pk_add_f32 v[82:83], v[82:83], v[172:173]
	v_pk_fma_f32 v[74:75], v[118:119], v[102:103], v[74:75] neg_lo:[0,0,1] neg_hi:[0,0,1]
	v_pk_mul_f32 v[78:79], v[122:123], v[106:107] op_sel:[1,1] op_sel_hi:[0,1]
	v_mov_b32_e32 v75, v85
	v_pk_fma_f32 v[84:85], v[120:121], v[104:105], v[76:77] op_sel_hi:[1,0,1]
	v_pk_add_f32 v[82:83], v[82:83], v[174:175]
	v_pk_fma_f32 v[76:77], v[120:121], v[104:105], v[76:77] neg_lo:[0,0,1] neg_hi:[0,0,1]
	v_pk_fma_f32 v[88:89], v[122:123], v[106:107], v[78:79] op_sel_hi:[1,0,1]
	v_pk_mul_f32 v[80:81], v[166:167], v[80:81] op_sel_hi:[1,0]
	v_mov_b32_e32 v77, v85
	v_pk_add_f32 v[74:75], v[82:83], v[74:75]
	s_wait_loadcnt 0x2
	v_pk_mul_f32 v[86:87], v[126:127], v[110:111] op_sel:[1,1] op_sel_hi:[0,1]
	v_mov_b32_e32 v82, v113
	v_pk_fma_f32 v[78:79], v[122:123], v[106:107], v[78:79] neg_lo:[0,0,1] neg_hi:[0,0,1]
	v_pk_fma_f32 v[84:85], v[124:125], v[108:109], v[80:81] op_sel_hi:[1,0,1]
	v_mov_b32_e32 v79, v89
	v_pk_add_f32 v[74:75], v[74:75], v[76:77]
	v_pk_fma_f32 v[76:77], v[126:127], v[110:111], v[86:87] op_sel_hi:[1,0,1]
	v_pk_mul_f32 v[82:83], v[168:169], v[82:83] op_sel_hi:[1,0]
	v_pk_fma_f32 v[80:81], v[124:125], v[108:109], v[80:81] neg_lo:[0,0,1] neg_hi:[0,0,1]
	v_mov_b32_e32 v81, v85
	v_pk_add_f32 v[74:75], v[74:75], v[78:79]
	v_pk_fma_f32 v[84:85], v[126:127], v[110:111], v[86:87] neg_lo:[0,0,1] neg_hi:[0,0,1]
	v_mov_b32_e32 v85, v77
	v_pk_fma_f32 v[76:77], v[128:129], v[112:113], v[82:83] op_sel_hi:[1,0,1]
	s_wait_loadcnt 0x1
	v_pk_mul_f32 v[78:79], v[130:131], v[114:115] op_sel:[1,1] op_sel_hi:[0,1]
	v_pk_add_f32 v[74:75], v[74:75], v[80:81]
	v_mov_b32_e32 v76, v117
	v_pk_fma_f32 v[82:83], v[128:129], v[112:113], v[82:83] neg_lo:[0,0,1] neg_hi:[0,0,1]
	s_delay_alu instid0(VALU_DEP_4)
	v_pk_fma_f32 v[80:81], v[130:131], v[114:115], v[78:79] op_sel_hi:[1,0,1]
	v_mov_b32_e32 v83, v77
	v_pk_add_f32 v[74:75], v[74:75], v[84:85]
	v_pk_mul_f32 v[76:77], v[170:171], v[76:77] op_sel_hi:[1,0]
	v_pk_fma_f32 v[78:79], v[130:131], v[114:115], v[78:79] neg_lo:[0,0,1] neg_hi:[0,0,1]
	v_mov_b32_e32 v79, v81
	s_delay_alu instid0(VALU_DEP_4) | instskip(NEXT) | instid1(VALU_DEP_4)
	v_pk_add_f32 v[74:75], v[74:75], v[82:83]
	v_pk_fma_f32 v[80:81], v[132:133], v[116:117], v[76:77] op_sel_hi:[1,0,1]
	v_pk_fma_f32 v[76:77], v[132:133], v[116:117], v[76:77] neg_lo:[0,0,1] neg_hi:[0,0,1]
	s_delay_alu instid0(VALU_DEP_3) | instskip(NEXT) | instid1(VALU_DEP_3)
	v_pk_add_f32 v[74:75], v[74:75], v[78:79]
	v_mov_b32_e32 v77, v81
	s_delay_alu instid0(VALU_DEP_1) | instskip(SKIP_1) | instid1(VALU_DEP_1)
	v_pk_add_f32 v[74:75], v[74:75], v[76:77]
	s_wait_loadcnt 0x0
	v_pk_add_f32 v[74:75], v[162:163], v[74:75] neg_lo:[0,1] neg_hi:[0,1]
	scratch_store_b64 off, v[74:75], off offset:104
	s_wait_xcnt 0x0
	v_cmpx_lt_u32_e32 12, v0
	s_cbranch_execz .LBB99_205
; %bb.204:
	scratch_load_b64 v[74:75], off, off offset:96
	v_mov_b64_e32 v[76:77], 0
	scratch_store_b64 off, v[76:77], off offset:96
	s_wait_loadcnt 0x0
	ds_store_b64 v1, v[74:75]
.LBB99_205:
	s_wait_xcnt 0x0
	s_or_b32 exec_lo, exec_lo, s0
	s_wait_storecnt_dscnt 0x0
	s_barrier_signal -1
	s_barrier_wait -1
	s_clause 0xc
	scratch_load_b128 v[74:77], off, off offset:104
	scratch_load_b128 v[78:81], off, off offset:120
	;; [unrolled: 1-line block ×11, first 2 shown]
	scratch_load_b64 v[162:163], off, off offset:280
	scratch_load_b64 v[164:165], off, off offset:96
	v_mov_b32_e32 v7, 0
	ds_load_2addr_b64 v[118:121], v7 offset0:63 offset1:64
	ds_load_2addr_b64 v[122:125], v7 offset0:65 offset1:66
	;; [unrolled: 1-line block ×11, first 2 shown]
	ds_load_b64 v[166:167], v7 offset:568
	s_mov_b32 s0, exec_lo
	s_wait_dscnt 0xb
	v_dual_mov_b32 v168, v121 :: v_dual_mov_b32 v169, v120
	s_wait_dscnt 0x8
	v_dual_mov_b32 v170, v125 :: v_dual_mov_b32 v175, v132
	v_dual_mov_b32 v171, v124 :: v_dual_mov_b32 v172, v129
	;; [unrolled: 1-line block ×3, first 2 shown]
	s_wait_loadcnt_dscnt 0xc07
	v_dual_mul_f32 v9, v134, v75 :: v_dual_mul_f32 v35, v135, v75
	v_dual_mul_f32 v37, v137, v77 :: v_dual_mul_f32 v11, v136, v77
	s_wait_loadcnt_dscnt 0xb06
	v_mul_f32_e32 v13, v138, v79
	s_wait_loadcnt_dscnt 0x904
	v_dual_mul_f32 v47, v147, v87 :: v_dual_fma_f32 v35, v134, v74, -v35
	v_dual_fmac_f32 v9, v135, v74 :: v_dual_mul_f32 v49, v149, v89
	v_dual_mul_f32 v39, v139, v79 :: v_dual_mul_f32 v41, v141, v81
	v_dual_fmac_f32 v11, v137, v76 :: v_dual_fma_f32 v37, v136, v76, -v37
	s_delay_alu instid0(VALU_DEP_3) | instskip(SKIP_3) | instid1(VALU_DEP_3)
	v_dual_add_f32 v9, 0, v9 :: v_dual_add_f32 v35, 0, v35
	v_dual_mul_f32 v15, v140, v81 :: v_dual_mul_f32 v17, v142, v83
	s_wait_loadcnt_dscnt 0x803
	v_dual_mul_f32 v51, v151, v91 :: v_dual_fma_f32 v39, v138, v78, -v39
	v_dual_fmac_f32 v13, v139, v78 :: v_dual_add_f32 v9, v9, v11
	s_delay_alu instid0(VALU_DEP_3) | instskip(SKIP_2) | instid1(VALU_DEP_3)
	v_dual_add_f32 v11, v35, v37 :: v_dual_fmac_f32 v15, v141, v80
	v_dual_mul_f32 v43, v143, v83 :: v_dual_mul_f32 v45, v145, v85
	v_dual_mul_f32 v35, v153, v93 :: v_dual_fma_f32 v37, v140, v80, -v41
	v_dual_add_f32 v9, v9, v13 :: v_dual_add_f32 v11, v11, v39
	v_dual_mul_f32 v19, v144, v85 :: v_dual_mul_f32 v21, v146, v87
	s_wait_loadcnt_dscnt 0x701
	v_dual_mul_f32 v13, v159, v95 :: v_dual_fma_f32 v39, v142, v82, -v43
	s_delay_alu instid0(VALU_DEP_3) | instskip(NEXT) | instid1(VALU_DEP_3)
	v_dual_fmac_f32 v17, v143, v82 :: v_dual_add_f32 v9, v9, v15
	v_dual_add_f32 v11, v11, v37 :: v_dual_fmac_f32 v19, v145, v84
	v_dual_mul_f32 v15, v161, v97 :: v_dual_fma_f32 v37, v144, v84, -v45
	s_delay_alu instid0(VALU_DEP_2) | instskip(SKIP_3) | instid1(VALU_DEP_3)
	v_dual_add_f32 v9, v9, v17 :: v_dual_add_f32 v11, v11, v39
	v_dual_mul_f32 v23, v148, v89 :: v_dual_mul_f32 v25, v150, v91
	s_wait_loadcnt 0x6
	v_dual_mul_f32 v17, v155, v99 :: v_dual_fma_f32 v39, v146, v86, -v47
	v_dual_fmac_f32 v21, v147, v86 :: v_dual_add_f32 v9, v9, v19
	s_delay_alu instid0(VALU_DEP_3) | instskip(SKIP_1) | instid1(VALU_DEP_2)
	v_dual_add_f32 v11, v11, v37 :: v_dual_fmac_f32 v23, v149, v88
	v_dual_mul_f32 v19, v157, v101 :: v_dual_fma_f32 v37, v148, v88, -v49
	v_dual_add_f32 v9, v9, v21 :: v_dual_add_f32 v11, v11, v39
	v_dual_mul_f32 v27, v152, v93 :: v_dual_mul_f32 v29, v158, v95
	s_wait_loadcnt 0x5
	v_dual_mul_f32 v21, v119, v103 :: v_dual_fma_f32 v39, v150, v90, -v51
	s_delay_alu instid0(VALU_DEP_3) | instskip(SKIP_2) | instid1(VALU_DEP_3)
	v_dual_fmac_f32 v25, v151, v90 :: v_dual_add_f32 v9, v9, v23
	v_dual_add_f32 v11, v11, v37 :: v_dual_mov_b32 v74, v105
	v_fmac_f32_e32 v27, v153, v92
	v_dual_fma_f32 v23, v152, v92, -v35 :: v_dual_add_f32 v9, v9, v25
	s_delay_alu instid0(VALU_DEP_3) | instskip(SKIP_1) | instid1(VALU_DEP_3)
	v_dual_add_f32 v11, v11, v39 :: v_dual_mul_f32 v31, v160, v97
	v_dual_mul_f32 v33, v154, v99 :: v_dual_fmac_f32 v29, v159, v94
	v_dual_add_f32 v9, v9, v27 :: v_dual_fma_f32 v13, v158, v94, -v13
	s_wait_loadcnt 0x4
	s_delay_alu instid0(VALU_DEP_3) | instskip(SKIP_3) | instid1(VALU_DEP_4)
	v_dual_add_f32 v11, v11, v23 :: v_dual_mov_b32 v78, v109
	v_fma_f32 v15, v160, v96, -v15
	v_fmac_f32_e32 v31, v161, v96
	v_dual_add_f32 v9, v9, v29 :: v_dual_fmac_f32 v33, v155, v98
	v_add_f32_e32 v11, v11, v13
	v_dual_mul_f32 v177, v156, v101 :: v_dual_mul_f32 v179, v118, v103
	s_delay_alu instid0(VALU_DEP_3) | instskip(NEXT) | instid1(VALU_DEP_2)
	v_dual_fma_f32 v13, v154, v98, -v17 :: v_dual_add_f32 v9, v9, v31
	v_dual_add_f32 v11, v11, v15 :: v_dual_fmac_f32 v177, v157, v100
	v_fma_f32 v176, v156, v100, -v19
	v_pk_mul_f32 v[74:75], v[168:169], v[74:75] op_sel_hi:[1,0]
	s_delay_alu instid0(VALU_DEP_4)
	v_add_f32_e32 v83, v9, v33
	s_wait_loadcnt 0x3
	v_dual_add_f32 v82, v11, v13 :: v_dual_mov_b32 v84, v113
	v_pk_mul_f32 v[76:77], v[122:123], v[106:107] op_sel:[1,1] op_sel_hi:[0,1]
	v_dual_fmac_f32 v179, v119, v102 :: v_dual_fma_f32 v178, v118, v102, -v21
	v_pk_fma_f32 v[86:87], v[120:121], v[104:105], v[74:75] op_sel_hi:[1,0,1]
	s_delay_alu instid0(VALU_DEP_4)
	v_pk_add_f32 v[82:83], v[82:83], v[176:177]
	v_pk_fma_f32 v[74:75], v[120:121], v[104:105], v[74:75] neg_lo:[0,0,1] neg_hi:[0,0,1]
	v_pk_fma_f32 v[88:89], v[122:123], v[106:107], v[76:77] op_sel_hi:[1,0,1]
	v_pk_mul_f32 v[78:79], v[170:171], v[78:79] op_sel_hi:[1,0]
	v_mov_b32_e32 v75, v87
	v_pk_add_f32 v[82:83], v[82:83], v[178:179]
	v_pk_fma_f32 v[76:77], v[122:123], v[106:107], v[76:77] neg_lo:[0,0,1] neg_hi:[0,0,1]
	v_pk_mul_f32 v[80:81], v[126:127], v[110:111] op_sel:[1,1] op_sel_hi:[0,1]
	v_mov_b32_e32 v77, v89
	v_pk_fma_f32 v[88:89], v[124:125], v[108:109], v[78:79] op_sel_hi:[1,0,1]
	v_pk_add_f32 v[74:75], v[82:83], v[74:75]
	v_pk_fma_f32 v[78:79], v[124:125], v[108:109], v[78:79] neg_lo:[0,0,1] neg_hi:[0,0,1]
	v_pk_fma_f32 v[82:83], v[126:127], v[110:111], v[80:81] op_sel_hi:[1,0,1]
	v_pk_mul_f32 v[84:85], v[172:173], v[84:85] op_sel_hi:[1,0]
	v_mov_b32_e32 v79, v89
	v_pk_add_f32 v[74:75], v[74:75], v[76:77]
	v_pk_fma_f32 v[80:81], v[126:127], v[110:111], v[80:81] neg_lo:[0,0,1] neg_hi:[0,0,1]
	s_wait_loadcnt 0x2
	v_pk_mul_f32 v[86:87], v[130:131], v[114:115] op_sel:[1,1] op_sel_hi:[0,1]
	v_dual_mov_b32 v76, v117 :: v_dual_mov_b32 v81, v83
	v_pk_fma_f32 v[82:83], v[128:129], v[112:113], v[84:85] op_sel_hi:[1,0,1]
	v_pk_add_f32 v[74:75], v[74:75], v[78:79]
	v_pk_fma_f32 v[84:85], v[128:129], v[112:113], v[84:85] neg_lo:[0,0,1] neg_hi:[0,0,1]
	v_pk_fma_f32 v[78:79], v[130:131], v[114:115], v[86:87] op_sel_hi:[1,0,1]
	v_pk_mul_f32 v[76:77], v[174:175], v[76:77] op_sel_hi:[1,0]
	v_mov_b32_e32 v85, v83
	v_pk_add_f32 v[74:75], v[74:75], v[80:81]
	v_pk_fma_f32 v[80:81], v[130:131], v[114:115], v[86:87] neg_lo:[0,0,1] neg_hi:[0,0,1]
	v_mov_b32_e32 v81, v79
	v_pk_fma_f32 v[78:79], v[132:133], v[116:117], v[76:77] op_sel_hi:[1,0,1]
	s_wait_loadcnt_dscnt 0x100
	v_pk_mul_f32 v[82:83], v[166:167], v[162:163] op_sel:[1,1] op_sel_hi:[0,1]
	v_pk_add_f32 v[74:75], v[74:75], v[84:85]
	v_pk_fma_f32 v[76:77], v[132:133], v[116:117], v[76:77] neg_lo:[0,0,1] neg_hi:[0,0,1]
	v_mov_b32_e32 v77, v79
	s_delay_alu instid0(VALU_DEP_4) | instskip(NEXT) | instid1(VALU_DEP_4)
	v_pk_fma_f32 v[78:79], v[166:167], v[162:163], v[82:83] op_sel_hi:[1,0,1]
	v_pk_add_f32 v[74:75], v[74:75], v[80:81]
	v_pk_fma_f32 v[80:81], v[166:167], v[162:163], v[82:83] neg_lo:[0,0,1] neg_hi:[0,0,1]
	s_delay_alu instid0(VALU_DEP_3) | instskip(NEXT) | instid1(VALU_DEP_3)
	v_mov_b32_e32 v81, v79
	v_pk_add_f32 v[74:75], v[74:75], v[76:77]
	s_delay_alu instid0(VALU_DEP_1) | instskip(SKIP_1) | instid1(VALU_DEP_1)
	v_pk_add_f32 v[74:75], v[74:75], v[80:81]
	s_wait_loadcnt 0x0
	v_pk_add_f32 v[74:75], v[164:165], v[74:75] neg_lo:[0,1] neg_hi:[0,1]
	scratch_store_b64 off, v[74:75], off offset:96
	s_wait_xcnt 0x0
	v_cmpx_lt_u32_e32 11, v0
	s_cbranch_execz .LBB99_207
; %bb.206:
	scratch_load_b64 v[74:75], off, off offset:88
	v_mov_b64_e32 v[76:77], 0
	scratch_store_b64 off, v[76:77], off offset:88
	s_wait_loadcnt 0x0
	ds_store_b64 v1, v[74:75]
.LBB99_207:
	s_wait_xcnt 0x0
	s_or_b32 exec_lo, exec_lo, s0
	s_wait_storecnt_dscnt 0x0
	s_barrier_signal -1
	s_barrier_wait -1
	s_clause 0xc
	scratch_load_b128 v[74:77], off, off offset:96
	scratch_load_b128 v[78:81], off, off offset:112
	;; [unrolled: 1-line block ×12, first 2 shown]
	scratch_load_b64 v[170:171], off, off offset:88
	ds_load_b128 v[122:125], v7 offset:512
	ds_load_b128 v[126:129], v7 offset:528
	;; [unrolled: 1-line block ×12, first 2 shown]
	s_mov_b32 s0, exec_lo
	s_wait_dscnt 0xb
	v_dual_mov_b32 v172, v125 :: v_dual_mov_b32 v173, v124
	s_wait_dscnt 0xa
	v_dual_mov_b32 v174, v129 :: v_dual_mov_b32 v175, v128
	;; [unrolled: 2-line block ×4, first 2 shown]
	s_wait_loadcnt_dscnt 0xc07
	v_dual_mul_f32 v7, v138, v75 :: v_dual_mul_f32 v9, v140, v77
	v_dual_mul_f32 v35, v139, v75 :: v_dual_mul_f32 v37, v141, v77
	s_wait_loadcnt_dscnt 0xb06
	v_dual_mul_f32 v11, v142, v79 :: v_dual_mul_f32 v13, v144, v81
	s_delay_alu instid0(VALU_DEP_3) | instskip(SKIP_3) | instid1(VALU_DEP_3)
	v_dual_fmac_f32 v7, v139, v74 :: v_dual_fmac_f32 v9, v141, v76
	s_wait_loadcnt_dscnt 0x904
	v_dual_fma_f32 v35, v138, v74, -v35 :: v_dual_mul_f32 v47, v151, v87
	v_dual_mul_f32 v39, v143, v79 :: v_dual_mul_f32 v41, v145, v81
	v_dual_fma_f32 v37, v140, v76, -v37 :: v_dual_add_f32 v7, 0, v7
	s_delay_alu instid0(VALU_DEP_3) | instskip(SKIP_1) | instid1(VALU_DEP_3)
	v_dual_add_f32 v35, 0, v35 :: v_dual_mul_f32 v49, v153, v89
	v_dual_fmac_f32 v11, v143, v78 :: v_dual_fmac_f32 v13, v145, v80
	v_dual_fma_f32 v39, v142, v78, -v39 :: v_dual_add_f32 v7, v7, v9
	s_delay_alu instid0(VALU_DEP_3) | instskip(SKIP_2) | instid1(VALU_DEP_4)
	v_dual_add_f32 v9, v35, v37 :: v_dual_fma_f32 v37, v144, v80, -v41
	v_dual_mul_f32 v15, v146, v83 :: v_dual_mul_f32 v17, v148, v85
	v_dual_mul_f32 v43, v147, v83 :: v_dual_mul_f32 v45, v149, v85
	v_add_f32_e32 v7, v7, v11
	s_delay_alu instid0(VALU_DEP_3) | instskip(NEXT) | instid1(VALU_DEP_3)
	v_dual_add_f32 v9, v9, v39 :: v_dual_fmac_f32 v15, v147, v82
	v_fma_f32 v39, v146, v82, -v43
	v_dual_mul_f32 v19, v150, v87 :: v_dual_mul_f32 v21, v152, v89
	s_delay_alu instid0(VALU_DEP_4) | instskip(SKIP_2) | instid1(VALU_DEP_2)
	v_dual_add_f32 v7, v7, v13 :: v_dual_fmac_f32 v17, v149, v84
	s_wait_loadcnt_dscnt 0x702
	v_dual_add_f32 v9, v9, v37 :: v_dual_mul_f32 v13, v159, v95
	v_dual_fma_f32 v37, v148, v84, -v45 :: v_dual_add_f32 v7, v7, v15
	v_mul_f32_e32 v15, v161, v97
	s_delay_alu instid0(VALU_DEP_3) | instskip(NEXT) | instid1(VALU_DEP_3)
	v_dual_add_f32 v9, v9, v39 :: v_dual_fmac_f32 v19, v151, v86
	v_dual_fma_f32 v39, v150, v86, -v47 :: v_dual_add_f32 v7, v7, v17
	v_fmac_f32_e32 v21, v153, v88
	s_wait_loadcnt_dscnt 0x601
	s_delay_alu instid0(VALU_DEP_3) | instskip(SKIP_3) | instid1(VALU_DEP_3)
	v_dual_add_f32 v9, v9, v37 :: v_dual_mul_f32 v17, v163, v99
	v_dual_mul_f32 v23, v154, v91 :: v_dual_mul_f32 v25, v156, v93
	v_dual_mul_f32 v35, v155, v91 :: v_dual_mul_f32 v11, v157, v93
	v_dual_fma_f32 v37, v152, v88, -v49 :: v_dual_add_f32 v7, v7, v19
	v_dual_add_f32 v9, v9, v39 :: v_dual_fmac_f32 v23, v155, v90
	s_delay_alu instid0(VALU_DEP_3) | instskip(NEXT) | instid1(VALU_DEP_3)
	v_dual_mul_f32 v19, v165, v101 :: v_dual_fma_f32 v35, v154, v90, -v35
	v_dual_add_f32 v7, v7, v21 :: v_dual_fmac_f32 v25, v157, v92
	s_wait_loadcnt_dscnt 0x500
	s_delay_alu instid0(VALU_DEP_3) | instskip(SKIP_1) | instid1(VALU_DEP_3)
	v_dual_add_f32 v9, v9, v37 :: v_dual_mul_f32 v21, v167, v103
	v_dual_mul_f32 v27, v158, v95 :: v_dual_mul_f32 v29, v160, v97
	v_dual_fma_f32 v11, v156, v92, -v11 :: v_dual_add_f32 v7, v7, v23
	s_delay_alu instid0(VALU_DEP_2) | instskip(SKIP_1) | instid1(VALU_DEP_2)
	v_dual_add_f32 v9, v9, v35 :: v_dual_fmac_f32 v27, v159, v94
	v_dual_mul_f32 v23, v169, v105 :: v_dual_fma_f32 v13, v158, v94, -v13
	v_dual_add_f32 v7, v7, v25 :: v_dual_add_f32 v9, v9, v11
	v_dual_mul_f32 v31, v162, v99 :: v_dual_mul_f32 v33, v164, v101
	v_dual_fmac_f32 v29, v161, v96 :: v_dual_fma_f32 v11, v160, v96, -v15
	s_delay_alu instid0(VALU_DEP_3) | instskip(SKIP_1) | instid1(VALU_DEP_3)
	v_dual_add_f32 v7, v7, v27 :: v_dual_add_f32 v9, v9, v13
	s_wait_loadcnt 0x4
	v_dual_mov_b32 v76, v109 :: v_dual_fmac_f32 v31, v163, v98
	s_delay_alu instid0(VALU_DEP_2) | instskip(NEXT) | instid1(VALU_DEP_3)
	v_dual_fma_f32 v13, v162, v98, -v17 :: v_dual_add_f32 v7, v7, v29
	v_dual_add_f32 v9, v9, v11 :: v_dual_fma_f32 v11, v164, v100, -v19
	v_dual_mul_f32 v181, v166, v103 :: v_dual_mul_f32 v183, v168, v105
	s_delay_alu instid0(VALU_DEP_3) | instskip(NEXT) | instid1(VALU_DEP_2)
	v_dual_fmac_f32 v33, v165, v100 :: v_dual_add_f32 v7, v7, v31
	v_dual_add_f32 v9, v9, v13 :: v_dual_fmac_f32 v181, v167, v102
	v_pk_mul_f32 v[74:75], v[122:123], v[106:107] op_sel:[1,1] op_sel_hi:[0,1]
	s_wait_loadcnt 0x3
	v_dual_mov_b32 v80, v113 :: v_dual_fma_f32 v180, v166, v102, -v21
	s_delay_alu instid0(VALU_DEP_3)
	v_dual_add_f32 v83, v7, v33 :: v_dual_add_f32 v82, v9, v11
	v_fmac_f32_e32 v183, v169, v104
	v_pk_fma_f32 v[84:85], v[122:123], v[106:107], v[74:75] op_sel_hi:[1,0,1]
	v_fma_f32 v182, v168, v104, -v23
	v_pk_mul_f32 v[76:77], v[172:173], v[76:77] op_sel_hi:[1,0]
	v_pk_add_f32 v[82:83], v[82:83], v[180:181]
	v_pk_fma_f32 v[74:75], v[122:123], v[106:107], v[74:75] neg_lo:[0,0,1] neg_hi:[0,0,1]
	v_pk_mul_f32 v[78:79], v[126:127], v[110:111] op_sel:[1,1] op_sel_hi:[0,1]
	v_mov_b32_e32 v75, v85
	v_pk_fma_f32 v[84:85], v[124:125], v[108:109], v[76:77] op_sel_hi:[1,0,1]
	v_pk_add_f32 v[82:83], v[82:83], v[182:183]
	v_pk_fma_f32 v[76:77], v[124:125], v[108:109], v[76:77] neg_lo:[0,0,1] neg_hi:[0,0,1]
	v_pk_fma_f32 v[88:89], v[126:127], v[110:111], v[78:79] op_sel_hi:[1,0,1]
	v_pk_mul_f32 v[80:81], v[174:175], v[80:81] op_sel_hi:[1,0]
	v_mov_b32_e32 v77, v85
	v_pk_add_f32 v[74:75], v[82:83], v[74:75]
	s_wait_loadcnt 0x2
	v_pk_mul_f32 v[86:87], v[130:131], v[114:115] op_sel:[1,1] op_sel_hi:[0,1]
	v_mov_b32_e32 v82, v117
	v_pk_fma_f32 v[78:79], v[126:127], v[110:111], v[78:79] neg_lo:[0,0,1] neg_hi:[0,0,1]
	v_pk_fma_f32 v[84:85], v[128:129], v[112:113], v[80:81] op_sel_hi:[1,0,1]
	v_mov_b32_e32 v79, v89
	v_pk_add_f32 v[74:75], v[74:75], v[76:77]
	v_pk_fma_f32 v[76:77], v[130:131], v[114:115], v[86:87] op_sel_hi:[1,0,1]
	v_pk_mul_f32 v[82:83], v[176:177], v[82:83] op_sel_hi:[1,0]
	v_pk_fma_f32 v[80:81], v[128:129], v[112:113], v[80:81] neg_lo:[0,0,1] neg_hi:[0,0,1]
	v_mov_b32_e32 v81, v85
	v_pk_add_f32 v[74:75], v[74:75], v[78:79]
	v_pk_fma_f32 v[84:85], v[130:131], v[114:115], v[86:87] neg_lo:[0,0,1] neg_hi:[0,0,1]
	v_mov_b32_e32 v85, v77
	v_pk_fma_f32 v[76:77], v[132:133], v[116:117], v[82:83] op_sel_hi:[1,0,1]
	s_wait_loadcnt 0x1
	v_pk_mul_f32 v[78:79], v[134:135], v[118:119] op_sel:[1,1] op_sel_hi:[0,1]
	v_pk_add_f32 v[74:75], v[74:75], v[80:81]
	v_mov_b32_e32 v76, v121
	v_pk_fma_f32 v[82:83], v[132:133], v[116:117], v[82:83] neg_lo:[0,0,1] neg_hi:[0,0,1]
	s_delay_alu instid0(VALU_DEP_4)
	v_pk_fma_f32 v[80:81], v[134:135], v[118:119], v[78:79] op_sel_hi:[1,0,1]
	v_mov_b32_e32 v83, v77
	v_pk_add_f32 v[74:75], v[74:75], v[84:85]
	v_pk_mul_f32 v[76:77], v[178:179], v[76:77] op_sel_hi:[1,0]
	v_pk_fma_f32 v[78:79], v[134:135], v[118:119], v[78:79] neg_lo:[0,0,1] neg_hi:[0,0,1]
	v_mov_b32_e32 v79, v81
	s_delay_alu instid0(VALU_DEP_4) | instskip(NEXT) | instid1(VALU_DEP_4)
	v_pk_add_f32 v[74:75], v[74:75], v[82:83]
	v_pk_fma_f32 v[80:81], v[136:137], v[120:121], v[76:77] op_sel_hi:[1,0,1]
	v_pk_fma_f32 v[76:77], v[136:137], v[120:121], v[76:77] neg_lo:[0,0,1] neg_hi:[0,0,1]
	s_delay_alu instid0(VALU_DEP_3) | instskip(NEXT) | instid1(VALU_DEP_3)
	v_pk_add_f32 v[74:75], v[74:75], v[78:79]
	v_mov_b32_e32 v77, v81
	s_delay_alu instid0(VALU_DEP_1) | instskip(SKIP_1) | instid1(VALU_DEP_1)
	v_pk_add_f32 v[74:75], v[74:75], v[76:77]
	s_wait_loadcnt 0x0
	v_pk_add_f32 v[74:75], v[170:171], v[74:75] neg_lo:[0,1] neg_hi:[0,1]
	scratch_store_b64 off, v[74:75], off offset:88
	s_wait_xcnt 0x0
	v_cmpx_lt_u32_e32 10, v0
	s_cbranch_execz .LBB99_209
; %bb.208:
	scratch_load_b64 v[74:75], off, off offset:80
	v_mov_b64_e32 v[76:77], 0
	scratch_store_b64 off, v[76:77], off offset:80
	s_wait_loadcnt 0x0
	ds_store_b64 v1, v[74:75]
.LBB99_209:
	s_wait_xcnt 0x0
	s_or_b32 exec_lo, exec_lo, s0
	s_wait_storecnt_dscnt 0x0
	s_barrier_signal -1
	s_barrier_wait -1
	s_clause 0xd
	scratch_load_b128 v[74:77], off, off offset:88
	scratch_load_b128 v[78:81], off, off offset:104
	;; [unrolled: 1-line block ×12, first 2 shown]
	scratch_load_b64 v[170:171], off, off offset:280
	scratch_load_b64 v[172:173], off, off offset:80
	v_mov_b32_e32 v7, 0
	ds_load_2addr_b64 v[122:125], v7 offset0:63 offset1:64
	ds_load_2addr_b64 v[126:129], v7 offset0:65 offset1:66
	;; [unrolled: 1-line block ×12, first 2 shown]
	ds_load_b64 v[174:175], v7 offset:568
	s_mov_b32 s0, exec_lo
	s_wait_dscnt 0xc
	v_dual_mov_b32 v176, v125 :: v_dual_mov_b32 v177, v124
	s_wait_dscnt 0x9
	v_dual_mov_b32 v178, v129 :: v_dual_mov_b32 v183, v136
	v_dual_mov_b32 v179, v128 :: v_dual_mov_b32 v180, v133
	;; [unrolled: 1-line block ×3, first 2 shown]
	s_wait_loadcnt_dscnt 0xd08
	v_dual_mul_f32 v9, v138, v75 :: v_dual_mul_f32 v39, v139, v75
	v_dual_mul_f32 v41, v141, v77 :: v_dual_mul_f32 v11, v140, v77
	s_wait_loadcnt_dscnt 0xc07
	v_mul_f32_e32 v13, v142, v79
	s_wait_loadcnt_dscnt 0xa05
	v_dual_mul_f32 v51, v151, v87 :: v_dual_fma_f32 v39, v138, v74, -v39
	v_dual_fmac_f32 v9, v139, v74 :: v_dual_mul_f32 v53, v153, v89
	v_dual_mul_f32 v43, v143, v79 :: v_dual_mul_f32 v45, v145, v81
	v_dual_fmac_f32 v11, v141, v76 :: v_dual_fma_f32 v41, v140, v76, -v41
	s_delay_alu instid0(VALU_DEP_3) | instskip(SKIP_3) | instid1(VALU_DEP_3)
	v_dual_add_f32 v9, 0, v9 :: v_dual_add_f32 v39, 0, v39
	v_dual_mul_f32 v15, v144, v81 :: v_dual_mul_f32 v17, v146, v83
	s_wait_loadcnt_dscnt 0x904
	v_dual_mul_f32 v55, v155, v91 :: v_dual_fma_f32 v43, v142, v78, -v43
	v_dual_fmac_f32 v13, v143, v78 :: v_dual_add_f32 v9, v9, v11
	s_delay_alu instid0(VALU_DEP_3) | instskip(SKIP_2) | instid1(VALU_DEP_3)
	v_dual_add_f32 v11, v39, v41 :: v_dual_fmac_f32 v15, v145, v80
	v_dual_mul_f32 v47, v147, v83 :: v_dual_mul_f32 v49, v149, v85
	v_dual_mul_f32 v39, v157, v93 :: v_dual_fma_f32 v41, v144, v80, -v45
	v_dual_add_f32 v9, v9, v13 :: v_dual_add_f32 v11, v11, v43
	v_dual_mul_f32 v19, v148, v85 :: v_dual_mul_f32 v21, v150, v87
	s_wait_loadcnt_dscnt 0x803
	v_dual_mul_f32 v13, v159, v95 :: v_dual_fma_f32 v43, v146, v82, -v47
	s_delay_alu instid0(VALU_DEP_3) | instskip(NEXT) | instid1(VALU_DEP_3)
	v_dual_fmac_f32 v17, v147, v82 :: v_dual_add_f32 v9, v9, v15
	v_dual_add_f32 v11, v11, v41 :: v_dual_fmac_f32 v19, v149, v84
	v_dual_mul_f32 v15, v161, v97 :: v_dual_fma_f32 v41, v148, v84, -v49
	s_delay_alu instid0(VALU_DEP_2) | instskip(SKIP_3) | instid1(VALU_DEP_3)
	v_dual_add_f32 v9, v9, v17 :: v_dual_add_f32 v11, v11, v43
	v_dual_mul_f32 v23, v152, v89 :: v_dual_mul_f32 v25, v154, v91
	s_wait_loadcnt_dscnt 0x702
	v_dual_mul_f32 v17, v163, v99 :: v_dual_fma_f32 v43, v150, v86, -v51
	v_dual_fmac_f32 v21, v151, v86 :: v_dual_add_f32 v9, v9, v19
	s_delay_alu instid0(VALU_DEP_3) | instskip(SKIP_1) | instid1(VALU_DEP_2)
	v_dual_add_f32 v11, v11, v41 :: v_dual_fmac_f32 v23, v153, v88
	v_dual_mul_f32 v19, v165, v101 :: v_dual_fma_f32 v41, v152, v88, -v53
	v_dual_add_f32 v9, v9, v21 :: v_dual_add_f32 v11, v11, v43
	v_dual_mul_f32 v27, v156, v93 :: v_dual_mul_f32 v29, v158, v95
	s_wait_loadcnt_dscnt 0x601
	v_dual_mul_f32 v21, v167, v103 :: v_dual_fma_f32 v43, v154, v90, -v55
	s_delay_alu instid0(VALU_DEP_3) | instskip(NEXT) | instid1(VALU_DEP_3)
	v_dual_fmac_f32 v25, v155, v90 :: v_dual_add_f32 v9, v9, v23
	v_dual_add_f32 v11, v11, v41 :: v_dual_fmac_f32 v27, v157, v92
	v_dual_mul_f32 v23, v169, v105 :: v_dual_fma_f32 v39, v156, v92, -v39
	s_delay_alu instid0(VALU_DEP_2) | instskip(SKIP_3) | instid1(VALU_DEP_3)
	v_dual_add_f32 v9, v9, v25 :: v_dual_add_f32 v11, v11, v43
	v_dual_mul_f32 v31, v160, v97 :: v_dual_mul_f32 v33, v162, v99
	s_wait_loadcnt 0x5
	v_dual_mul_f32 v25, v123, v107 :: v_dual_fma_f32 v13, v158, v94, -v13
	v_dual_fmac_f32 v29, v159, v94 :: v_dual_add_f32 v9, v9, v27
	v_dual_add_f32 v11, v11, v39 :: v_dual_mov_b32 v74, v109
	v_fmac_f32_e32 v31, v161, v96
	s_delay_alu instid0(VALU_DEP_3) | instskip(NEXT) | instid1(VALU_DEP_3)
	v_dual_fma_f32 v15, v160, v96, -v15 :: v_dual_add_f32 v9, v9, v29
	v_add_f32_e32 v11, v11, v13
	v_dual_mul_f32 v35, v164, v101 :: v_dual_mul_f32 v37, v166, v103
	s_delay_alu instid0(VALU_DEP_3) | instskip(NEXT) | instid1(VALU_DEP_3)
	v_dual_fmac_f32 v33, v163, v98 :: v_dual_add_f32 v9, v9, v31
	v_dual_fma_f32 v13, v162, v98, -v17 :: v_dual_add_f32 v11, v11, v15
	s_wait_loadcnt 0x4
	v_dual_mov_b32 v78, v113 :: v_dual_fma_f32 v15, v164, v100, -v19
	v_fmac_f32_e32 v35, v165, v100
	v_dual_add_f32 v9, v9, v33 :: v_dual_fmac_f32 v37, v167, v102
	v_add_f32_e32 v11, v11, v13
	v_dual_mul_f32 v185, v168, v105 :: v_dual_mul_f32 v187, v122, v107
	s_delay_alu instid0(VALU_DEP_3) | instskip(NEXT) | instid1(VALU_DEP_2)
	v_dual_fma_f32 v13, v166, v102, -v21 :: v_dual_add_f32 v9, v9, v35
	v_dual_add_f32 v11, v11, v15 :: v_dual_fmac_f32 v185, v169, v104
	v_fma_f32 v184, v168, v104, -v23
	v_pk_mul_f32 v[74:75], v[176:177], v[74:75] op_sel_hi:[1,0]
	s_delay_alu instid0(VALU_DEP_4)
	v_add_f32_e32 v83, v9, v37
	s_wait_loadcnt 0x3
	v_dual_add_f32 v82, v11, v13 :: v_dual_mov_b32 v84, v117
	v_pk_mul_f32 v[76:77], v[126:127], v[110:111] op_sel:[1,1] op_sel_hi:[0,1]
	v_dual_fmac_f32 v187, v123, v106 :: v_dual_fma_f32 v186, v122, v106, -v25
	v_pk_fma_f32 v[86:87], v[124:125], v[108:109], v[74:75] op_sel_hi:[1,0,1]
	s_delay_alu instid0(VALU_DEP_4)
	v_pk_add_f32 v[82:83], v[82:83], v[184:185]
	v_pk_fma_f32 v[74:75], v[124:125], v[108:109], v[74:75] neg_lo:[0,0,1] neg_hi:[0,0,1]
	v_pk_fma_f32 v[88:89], v[126:127], v[110:111], v[76:77] op_sel_hi:[1,0,1]
	v_pk_mul_f32 v[78:79], v[178:179], v[78:79] op_sel_hi:[1,0]
	v_mov_b32_e32 v75, v87
	v_pk_add_f32 v[82:83], v[82:83], v[186:187]
	v_pk_fma_f32 v[76:77], v[126:127], v[110:111], v[76:77] neg_lo:[0,0,1] neg_hi:[0,0,1]
	v_pk_mul_f32 v[80:81], v[130:131], v[114:115] op_sel:[1,1] op_sel_hi:[0,1]
	v_mov_b32_e32 v77, v89
	v_pk_fma_f32 v[88:89], v[128:129], v[112:113], v[78:79] op_sel_hi:[1,0,1]
	v_pk_add_f32 v[74:75], v[82:83], v[74:75]
	v_pk_fma_f32 v[78:79], v[128:129], v[112:113], v[78:79] neg_lo:[0,0,1] neg_hi:[0,0,1]
	v_pk_fma_f32 v[82:83], v[130:131], v[114:115], v[80:81] op_sel_hi:[1,0,1]
	v_pk_mul_f32 v[84:85], v[180:181], v[84:85] op_sel_hi:[1,0]
	v_mov_b32_e32 v79, v89
	v_pk_add_f32 v[74:75], v[74:75], v[76:77]
	v_pk_fma_f32 v[80:81], v[130:131], v[114:115], v[80:81] neg_lo:[0,0,1] neg_hi:[0,0,1]
	s_wait_loadcnt 0x2
	v_pk_mul_f32 v[86:87], v[134:135], v[118:119] op_sel:[1,1] op_sel_hi:[0,1]
	v_dual_mov_b32 v76, v121 :: v_dual_mov_b32 v81, v83
	v_pk_fma_f32 v[82:83], v[132:133], v[116:117], v[84:85] op_sel_hi:[1,0,1]
	v_pk_add_f32 v[74:75], v[74:75], v[78:79]
	v_pk_fma_f32 v[84:85], v[132:133], v[116:117], v[84:85] neg_lo:[0,0,1] neg_hi:[0,0,1]
	v_pk_fma_f32 v[78:79], v[134:135], v[118:119], v[86:87] op_sel_hi:[1,0,1]
	v_pk_mul_f32 v[76:77], v[182:183], v[76:77] op_sel_hi:[1,0]
	v_mov_b32_e32 v85, v83
	v_pk_add_f32 v[74:75], v[74:75], v[80:81]
	v_pk_fma_f32 v[80:81], v[134:135], v[118:119], v[86:87] neg_lo:[0,0,1] neg_hi:[0,0,1]
	v_mov_b32_e32 v81, v79
	v_pk_fma_f32 v[78:79], v[136:137], v[120:121], v[76:77] op_sel_hi:[1,0,1]
	s_wait_loadcnt_dscnt 0x100
	v_pk_mul_f32 v[82:83], v[174:175], v[170:171] op_sel:[1,1] op_sel_hi:[0,1]
	v_pk_add_f32 v[74:75], v[74:75], v[84:85]
	v_pk_fma_f32 v[76:77], v[136:137], v[120:121], v[76:77] neg_lo:[0,0,1] neg_hi:[0,0,1]
	v_mov_b32_e32 v77, v79
	s_delay_alu instid0(VALU_DEP_4) | instskip(NEXT) | instid1(VALU_DEP_4)
	v_pk_fma_f32 v[78:79], v[174:175], v[170:171], v[82:83] op_sel_hi:[1,0,1]
	v_pk_add_f32 v[74:75], v[74:75], v[80:81]
	v_pk_fma_f32 v[80:81], v[174:175], v[170:171], v[82:83] neg_lo:[0,0,1] neg_hi:[0,0,1]
	s_delay_alu instid0(VALU_DEP_3) | instskip(NEXT) | instid1(VALU_DEP_3)
	v_mov_b32_e32 v81, v79
	v_pk_add_f32 v[74:75], v[74:75], v[76:77]
	s_delay_alu instid0(VALU_DEP_1) | instskip(SKIP_1) | instid1(VALU_DEP_1)
	v_pk_add_f32 v[74:75], v[74:75], v[80:81]
	s_wait_loadcnt 0x0
	v_pk_add_f32 v[74:75], v[172:173], v[74:75] neg_lo:[0,1] neg_hi:[0,1]
	scratch_store_b64 off, v[74:75], off offset:80
	s_wait_xcnt 0x0
	v_cmpx_lt_u32_e32 9, v0
	s_cbranch_execz .LBB99_211
; %bb.210:
	scratch_load_b64 v[74:75], off, off offset:72
	v_mov_b64_e32 v[76:77], 0
	scratch_store_b64 off, v[76:77], off offset:72
	s_wait_loadcnt 0x0
	ds_store_b64 v1, v[74:75]
.LBB99_211:
	s_wait_xcnt 0x0
	s_or_b32 exec_lo, exec_lo, s0
	s_wait_storecnt_dscnt 0x0
	s_barrier_signal -1
	s_barrier_wait -1
	s_clause 0xd
	scratch_load_b128 v[74:77], off, off offset:80
	scratch_load_b128 v[78:81], off, off offset:96
	;; [unrolled: 1-line block ×13, first 2 shown]
	scratch_load_b64 v[178:179], off, off offset:72
	ds_load_b128 v[126:129], v7 offset:512
	ds_load_b128 v[130:133], v7 offset:528
	;; [unrolled: 1-line block ×13, first 2 shown]
	s_mov_b32 s0, exec_lo
	s_wait_dscnt 0xc
	v_dual_mov_b32 v180, v129 :: v_dual_mov_b32 v181, v128
	s_wait_dscnt 0xb
	v_dual_mov_b32 v182, v133 :: v_dual_mov_b32 v183, v132
	;; [unrolled: 2-line block ×4, first 2 shown]
	s_wait_loadcnt_dscnt 0xd08
	v_dual_mul_f32 v7, v142, v75 :: v_dual_mul_f32 v9, v144, v77
	v_dual_mul_f32 v39, v143, v75 :: v_dual_mul_f32 v41, v145, v77
	s_wait_loadcnt_dscnt 0xc07
	v_dual_mul_f32 v11, v146, v79 :: v_dual_mul_f32 v13, v148, v81
	s_delay_alu instid0(VALU_DEP_3) | instskip(SKIP_3) | instid1(VALU_DEP_3)
	v_dual_fmac_f32 v7, v143, v74 :: v_dual_fmac_f32 v9, v145, v76
	s_wait_loadcnt_dscnt 0xa05
	v_dual_fma_f32 v39, v142, v74, -v39 :: v_dual_mul_f32 v51, v155, v87
	v_dual_mul_f32 v43, v147, v79 :: v_dual_mul_f32 v45, v149, v81
	v_dual_fma_f32 v41, v144, v76, -v41 :: v_dual_add_f32 v7, 0, v7
	s_delay_alu instid0(VALU_DEP_3) | instskip(SKIP_1) | instid1(VALU_DEP_3)
	v_dual_add_f32 v39, 0, v39 :: v_dual_mul_f32 v53, v157, v89
	v_dual_fmac_f32 v11, v147, v78 :: v_dual_fmac_f32 v13, v149, v80
	v_dual_fma_f32 v43, v146, v78, -v43 :: v_dual_add_f32 v7, v7, v9
	s_delay_alu instid0(VALU_DEP_3) | instskip(SKIP_2) | instid1(VALU_DEP_4)
	v_dual_add_f32 v9, v39, v41 :: v_dual_fma_f32 v41, v148, v80, -v45
	v_dual_mul_f32 v15, v150, v83 :: v_dual_mul_f32 v17, v152, v85
	v_dual_mul_f32 v47, v151, v83 :: v_dual_mul_f32 v49, v153, v85
	v_add_f32_e32 v7, v7, v11
	s_delay_alu instid0(VALU_DEP_3) | instskip(NEXT) | instid1(VALU_DEP_3)
	v_dual_add_f32 v9, v9, v43 :: v_dual_fmac_f32 v15, v151, v82
	v_fma_f32 v43, v150, v82, -v47
	v_dual_mul_f32 v19, v154, v87 :: v_dual_mul_f32 v21, v156, v89
	s_delay_alu instid0(VALU_DEP_4) | instskip(SKIP_2) | instid1(VALU_DEP_2)
	v_dual_add_f32 v7, v7, v13 :: v_dual_fmac_f32 v17, v153, v84
	s_wait_loadcnt_dscnt 0x802
	v_dual_add_f32 v9, v9, v41 :: v_dual_mul_f32 v13, v167, v95
	v_dual_fma_f32 v41, v152, v84, -v49 :: v_dual_add_f32 v7, v7, v15
	v_mul_f32_e32 v15, v169, v97
	s_delay_alu instid0(VALU_DEP_3) | instskip(NEXT) | instid1(VALU_DEP_3)
	v_dual_add_f32 v9, v9, v43 :: v_dual_fmac_f32 v19, v155, v86
	v_dual_fma_f32 v43, v154, v86, -v51 :: v_dual_add_f32 v7, v7, v17
	v_fmac_f32_e32 v21, v157, v88
	s_wait_loadcnt_dscnt 0x701
	s_delay_alu instid0(VALU_DEP_3) | instskip(SKIP_3) | instid1(VALU_DEP_3)
	v_dual_add_f32 v9, v9, v41 :: v_dual_mul_f32 v17, v171, v99
	v_dual_mul_f32 v23, v162, v91 :: v_dual_mul_f32 v25, v164, v93
	v_dual_mul_f32 v39, v163, v91 :: v_dual_mul_f32 v11, v165, v93
	v_dual_fma_f32 v41, v156, v88, -v53 :: v_dual_add_f32 v7, v7, v19
	v_dual_add_f32 v9, v9, v43 :: v_dual_fmac_f32 v23, v163, v90
	s_delay_alu instid0(VALU_DEP_3) | instskip(NEXT) | instid1(VALU_DEP_3)
	v_dual_mul_f32 v19, v173, v101 :: v_dual_fma_f32 v39, v162, v90, -v39
	v_dual_add_f32 v7, v7, v21 :: v_dual_fmac_f32 v25, v165, v92
	s_wait_loadcnt_dscnt 0x600
	s_delay_alu instid0(VALU_DEP_3) | instskip(SKIP_1) | instid1(VALU_DEP_3)
	v_dual_add_f32 v9, v9, v41 :: v_dual_mul_f32 v21, v175, v103
	v_dual_mul_f32 v27, v166, v95 :: v_dual_mul_f32 v29, v168, v97
	v_dual_fma_f32 v11, v164, v92, -v11 :: v_dual_add_f32 v7, v7, v23
	s_delay_alu instid0(VALU_DEP_2) | instskip(SKIP_1) | instid1(VALU_DEP_2)
	v_dual_add_f32 v9, v9, v39 :: v_dual_fmac_f32 v27, v167, v94
	v_dual_mul_f32 v23, v177, v105 :: v_dual_fma_f32 v13, v166, v94, -v13
	v_dual_add_f32 v7, v7, v25 :: v_dual_add_f32 v9, v9, v11
	v_dual_mul_f32 v31, v170, v99 :: v_dual_mul_f32 v33, v172, v101
	s_wait_loadcnt 0x5
	v_dual_mul_f32 v11, v159, v107 :: v_dual_fmac_f32 v29, v169, v96
	s_delay_alu instid0(VALU_DEP_3) | instskip(NEXT) | instid1(VALU_DEP_3)
	v_dual_fma_f32 v15, v168, v96, -v15 :: v_dual_add_f32 v7, v7, v27
	v_dual_add_f32 v9, v9, v13 :: v_dual_fmac_f32 v31, v171, v98
	v_dual_mul_f32 v13, v161, v109 :: v_dual_fma_f32 v17, v170, v98, -v17
	s_delay_alu instid0(VALU_DEP_2) | instskip(SKIP_2) | instid1(VALU_DEP_3)
	v_dual_add_f32 v7, v7, v29 :: v_dual_add_f32 v9, v9, v15
	v_dual_mul_f32 v35, v174, v103 :: v_dual_mul_f32 v37, v176, v105
	v_dual_fmac_f32 v33, v173, v100 :: v_dual_fma_f32 v15, v172, v100, -v19
	v_dual_add_f32 v7, v7, v31 :: v_dual_add_f32 v9, v9, v17
	s_wait_loadcnt 0x4
	s_delay_alu instid0(VALU_DEP_3) | instskip(NEXT) | instid1(VALU_DEP_2)
	v_dual_mov_b32 v76, v113 :: v_dual_fmac_f32 v35, v175, v102
	v_dual_fma_f32 v17, v174, v102, -v21 :: v_dual_add_f32 v7, v7, v33
	s_delay_alu instid0(VALU_DEP_3) | instskip(SKIP_1) | instid1(VALU_DEP_3)
	v_dual_add_f32 v9, v9, v15 :: v_dual_fma_f32 v15, v176, v104, -v23
	v_dual_mul_f32 v189, v158, v107 :: v_dual_mul_f32 v191, v160, v109
	v_dual_fmac_f32 v37, v177, v104 :: v_dual_add_f32 v7, v7, v35
	s_delay_alu instid0(VALU_DEP_2) | instskip(SKIP_3) | instid1(VALU_DEP_3)
	v_dual_add_f32 v9, v9, v17 :: v_dual_fmac_f32 v189, v159, v106
	v_pk_mul_f32 v[74:75], v[126:127], v[110:111] op_sel:[1,1] op_sel_hi:[0,1]
	s_wait_loadcnt 0x3
	v_dual_mov_b32 v80, v117 :: v_dual_fma_f32 v188, v158, v106, -v11
	v_dual_add_f32 v83, v7, v37 :: v_dual_add_f32 v82, v9, v15
	v_dual_fmac_f32 v191, v161, v108 :: v_dual_fma_f32 v190, v160, v108, -v13
	v_pk_fma_f32 v[84:85], v[126:127], v[110:111], v[74:75] op_sel_hi:[1,0,1]
	v_pk_mul_f32 v[76:77], v[180:181], v[76:77] op_sel_hi:[1,0]
	s_delay_alu instid0(VALU_DEP_4)
	v_pk_add_f32 v[82:83], v[82:83], v[188:189]
	v_pk_fma_f32 v[74:75], v[126:127], v[110:111], v[74:75] neg_lo:[0,0,1] neg_hi:[0,0,1]
	v_pk_mul_f32 v[78:79], v[130:131], v[114:115] op_sel:[1,1] op_sel_hi:[0,1]
	v_mov_b32_e32 v75, v85
	v_pk_fma_f32 v[84:85], v[128:129], v[112:113], v[76:77] op_sel_hi:[1,0,1]
	v_pk_add_f32 v[82:83], v[82:83], v[190:191]
	v_pk_fma_f32 v[76:77], v[128:129], v[112:113], v[76:77] neg_lo:[0,0,1] neg_hi:[0,0,1]
	v_pk_fma_f32 v[88:89], v[130:131], v[114:115], v[78:79] op_sel_hi:[1,0,1]
	v_pk_mul_f32 v[80:81], v[182:183], v[80:81] op_sel_hi:[1,0]
	v_mov_b32_e32 v77, v85
	v_pk_add_f32 v[74:75], v[82:83], v[74:75]
	s_wait_loadcnt 0x2
	v_pk_mul_f32 v[86:87], v[134:135], v[118:119] op_sel:[1,1] op_sel_hi:[0,1]
	v_mov_b32_e32 v82, v121
	v_pk_fma_f32 v[78:79], v[130:131], v[114:115], v[78:79] neg_lo:[0,0,1] neg_hi:[0,0,1]
	v_mov_b32_e32 v79, v89
	v_pk_fma_f32 v[84:85], v[132:133], v[116:117], v[80:81] op_sel_hi:[1,0,1]
	v_pk_add_f32 v[74:75], v[74:75], v[76:77]
	v_pk_fma_f32 v[76:77], v[134:135], v[118:119], v[86:87] op_sel_hi:[1,0,1]
	v_pk_mul_f32 v[82:83], v[184:185], v[82:83] op_sel_hi:[1,0]
	v_pk_fma_f32 v[80:81], v[132:133], v[116:117], v[80:81] neg_lo:[0,0,1] neg_hi:[0,0,1]
	v_mov_b32_e32 v81, v85
	v_pk_add_f32 v[74:75], v[74:75], v[78:79]
	v_pk_fma_f32 v[84:85], v[134:135], v[118:119], v[86:87] neg_lo:[0,0,1] neg_hi:[0,0,1]
	v_mov_b32_e32 v85, v77
	v_pk_fma_f32 v[76:77], v[136:137], v[120:121], v[82:83] op_sel_hi:[1,0,1]
	s_wait_loadcnt 0x1
	v_pk_mul_f32 v[78:79], v[138:139], v[122:123] op_sel:[1,1] op_sel_hi:[0,1]
	v_pk_add_f32 v[74:75], v[74:75], v[80:81]
	v_mov_b32_e32 v76, v125
	v_pk_fma_f32 v[82:83], v[136:137], v[120:121], v[82:83] neg_lo:[0,0,1] neg_hi:[0,0,1]
	v_mov_b32_e32 v83, v77
	v_pk_fma_f32 v[80:81], v[138:139], v[122:123], v[78:79] op_sel_hi:[1,0,1]
	v_pk_add_f32 v[74:75], v[74:75], v[84:85]
	v_pk_mul_f32 v[76:77], v[186:187], v[76:77] op_sel_hi:[1,0]
	v_pk_fma_f32 v[78:79], v[138:139], v[122:123], v[78:79] neg_lo:[0,0,1] neg_hi:[0,0,1]
	s_delay_alu instid0(VALU_DEP_4) | instskip(NEXT) | instid1(VALU_DEP_4)
	v_mov_b32_e32 v79, v81
	v_pk_add_f32 v[74:75], v[74:75], v[82:83]
	s_delay_alu instid0(VALU_DEP_4) | instskip(SKIP_1) | instid1(VALU_DEP_2)
	v_pk_fma_f32 v[80:81], v[140:141], v[124:125], v[76:77] op_sel_hi:[1,0,1]
	v_pk_fma_f32 v[76:77], v[140:141], v[124:125], v[76:77] neg_lo:[0,0,1] neg_hi:[0,0,1]
	v_mov_b32_e32 v77, v81
	s_delay_alu instid0(VALU_DEP_4) | instskip(NEXT) | instid1(VALU_DEP_1)
	v_pk_add_f32 v[74:75], v[74:75], v[78:79]
	v_pk_add_f32 v[74:75], v[74:75], v[76:77]
	s_wait_loadcnt 0x0
	s_delay_alu instid0(VALU_DEP_1)
	v_pk_add_f32 v[74:75], v[178:179], v[74:75] neg_lo:[0,1] neg_hi:[0,1]
	scratch_store_b64 off, v[74:75], off offset:72
	s_wait_xcnt 0x0
	v_cmpx_lt_u32_e32 8, v0
	s_cbranch_execz .LBB99_213
; %bb.212:
	scratch_load_b64 v[74:75], off, off offset:64
	v_mov_b64_e32 v[76:77], 0
	scratch_store_b64 off, v[76:77], off offset:64
	s_wait_loadcnt 0x0
	ds_store_b64 v1, v[74:75]
.LBB99_213:
	s_wait_xcnt 0x0
	s_or_b32 exec_lo, exec_lo, s0
	s_wait_storecnt_dscnt 0x0
	s_barrier_signal -1
	s_barrier_wait -1
	s_clause 0xe
	scratch_load_b128 v[74:77], off, off offset:72
	scratch_load_b128 v[78:81], off, off offset:88
	scratch_load_b128 v[82:85], off, off offset:104
	scratch_load_b128 v[86:89], off, off offset:120
	scratch_load_b128 v[90:93], off, off offset:136
	scratch_load_b128 v[94:97], off, off offset:152
	scratch_load_b128 v[98:101], off, off offset:168
	scratch_load_b128 v[102:105], off, off offset:184
	scratch_load_b128 v[106:109], off, off offset:200
	scratch_load_b128 v[110:113], off, off offset:216
	scratch_load_b128 v[114:117], off, off offset:232
	scratch_load_b128 v[118:121], off, off offset:248
	scratch_load_b128 v[122:125], off, off offset:264
	scratch_load_b64 v[178:179], off, off offset:280
	scratch_load_b64 v[180:181], off, off offset:64
	v_mov_b32_e32 v7, 0
	ds_load_2addr_b64 v[126:129], v7 offset0:63 offset1:64
	ds_load_2addr_b64 v[130:133], v7 offset0:65 offset1:66
	;; [unrolled: 1-line block ×13, first 2 shown]
	ds_load_b64 v[182:183], v7 offset:568
	s_mov_b32 s0, exec_lo
	s_wait_dscnt 0xd
	v_dual_mov_b32 v184, v129 :: v_dual_mov_b32 v185, v128
	s_wait_dscnt 0xa
	v_dual_mov_b32 v186, v133 :: v_dual_mov_b32 v191, v140
	v_dual_mov_b32 v187, v132 :: v_dual_mov_b32 v188, v137
	;; [unrolled: 1-line block ×3, first 2 shown]
	s_wait_loadcnt_dscnt 0xe09
	v_dual_mul_f32 v9, v142, v75 :: v_dual_mul_f32 v43, v143, v75
	v_dual_mul_f32 v45, v145, v77 :: v_dual_mul_f32 v11, v144, v77
	s_wait_loadcnt_dscnt 0xd08
	v_mul_f32_e32 v13, v146, v79
	s_wait_loadcnt_dscnt 0xb05
	v_dual_mul_f32 v55, v159, v87 :: v_dual_fma_f32 v43, v142, v74, -v43
	v_dual_fmac_f32 v9, v143, v74 :: v_dual_mul_f32 v57, v161, v89
	v_dual_mul_f32 v47, v147, v79 :: v_dual_mul_f32 v49, v149, v81
	v_dual_fmac_f32 v11, v145, v76 :: v_dual_fma_f32 v45, v144, v76, -v45
	s_delay_alu instid0(VALU_DEP_3) | instskip(SKIP_3) | instid1(VALU_DEP_3)
	v_dual_add_f32 v9, 0, v9 :: v_dual_add_f32 v43, 0, v43
	v_dual_mul_f32 v15, v148, v81 :: v_dual_mul_f32 v17, v150, v83
	s_wait_loadcnt_dscnt 0xa04
	v_dual_mul_f32 v59, v163, v91 :: v_dual_fma_f32 v47, v146, v78, -v47
	v_dual_fmac_f32 v13, v147, v78 :: v_dual_add_f32 v9, v9, v11
	s_delay_alu instid0(VALU_DEP_3) | instskip(SKIP_2) | instid1(VALU_DEP_3)
	v_dual_add_f32 v11, v43, v45 :: v_dual_fmac_f32 v15, v149, v80
	v_dual_mul_f32 v51, v151, v83 :: v_dual_mul_f32 v53, v153, v85
	v_dual_mul_f32 v43, v165, v93 :: v_dual_fma_f32 v45, v148, v80, -v49
	v_dual_add_f32 v9, v9, v13 :: v_dual_add_f32 v11, v11, v47
	v_dual_mul_f32 v19, v152, v85 :: v_dual_mul_f32 v21, v158, v87
	s_wait_loadcnt_dscnt 0x903
	v_dual_mul_f32 v13, v167, v95 :: v_dual_fma_f32 v47, v150, v82, -v51
	s_delay_alu instid0(VALU_DEP_3) | instskip(NEXT) | instid1(VALU_DEP_3)
	v_dual_fmac_f32 v17, v151, v82 :: v_dual_add_f32 v9, v9, v15
	v_dual_add_f32 v11, v11, v45 :: v_dual_fmac_f32 v19, v153, v84
	v_dual_mul_f32 v15, v169, v97 :: v_dual_fma_f32 v45, v152, v84, -v53
	s_delay_alu instid0(VALU_DEP_2) | instskip(SKIP_3) | instid1(VALU_DEP_3)
	v_dual_add_f32 v9, v9, v17 :: v_dual_add_f32 v11, v11, v47
	v_dual_mul_f32 v23, v160, v89 :: v_dual_mul_f32 v25, v162, v91
	s_wait_loadcnt_dscnt 0x802
	v_dual_mul_f32 v17, v171, v99 :: v_dual_fma_f32 v47, v158, v86, -v55
	v_dual_fmac_f32 v21, v159, v86 :: v_dual_add_f32 v9, v9, v19
	s_delay_alu instid0(VALU_DEP_3) | instskip(SKIP_1) | instid1(VALU_DEP_2)
	v_dual_add_f32 v11, v11, v45 :: v_dual_fmac_f32 v23, v161, v88
	v_dual_mul_f32 v19, v173, v101 :: v_dual_fma_f32 v45, v160, v88, -v57
	v_dual_add_f32 v9, v9, v21 :: v_dual_add_f32 v11, v11, v47
	v_dual_mul_f32 v27, v164, v93 :: v_dual_mul_f32 v29, v166, v95
	s_wait_loadcnt_dscnt 0x701
	v_dual_mul_f32 v21, v175, v103 :: v_dual_fma_f32 v47, v162, v90, -v59
	s_delay_alu instid0(VALU_DEP_3) | instskip(NEXT) | instid1(VALU_DEP_3)
	v_dual_fmac_f32 v25, v163, v90 :: v_dual_add_f32 v9, v9, v23
	v_dual_add_f32 v11, v11, v45 :: v_dual_fmac_f32 v27, v165, v92
	v_dual_mul_f32 v23, v177, v105 :: v_dual_fma_f32 v43, v164, v92, -v43
	s_delay_alu instid0(VALU_DEP_2) | instskip(SKIP_3) | instid1(VALU_DEP_3)
	v_dual_add_f32 v9, v9, v25 :: v_dual_add_f32 v11, v11, v47
	v_dual_mul_f32 v31, v168, v97 :: v_dual_mul_f32 v33, v170, v99
	s_wait_loadcnt 0x6
	v_dual_mul_f32 v25, v155, v107 :: v_dual_fma_f32 v13, v166, v94, -v13
	v_dual_fmac_f32 v29, v167, v94 :: v_dual_add_f32 v9, v9, v27
	v_dual_add_f32 v11, v11, v43 :: v_dual_mul_f32 v27, v157, v109
	v_fmac_f32_e32 v31, v169, v96
	s_delay_alu instid0(VALU_DEP_3) | instskip(NEXT) | instid1(VALU_DEP_3)
	v_dual_fma_f32 v15, v168, v96, -v15 :: v_dual_add_f32 v9, v9, v29
	v_add_f32_e32 v11, v11, v13
	v_dual_mul_f32 v35, v172, v101 :: v_dual_mul_f32 v37, v174, v103
	s_wait_loadcnt 0x5
	v_dual_mul_f32 v13, v127, v111 :: v_dual_fma_f32 v17, v170, v98, -v17
	v_dual_fmac_f32 v33, v171, v98 :: v_dual_add_f32 v9, v9, v31
	v_dual_add_f32 v11, v11, v15 :: v_dual_mov_b32 v74, v113
	v_fmac_f32_e32 v35, v173, v100
	s_delay_alu instid0(VALU_DEP_3) | instskip(NEXT) | instid1(VALU_DEP_3)
	v_dual_fma_f32 v15, v172, v100, -v19 :: v_dual_add_f32 v9, v9, v33
	v_add_f32_e32 v11, v11, v17
	v_dual_mul_f32 v39, v176, v105 :: v_dual_mul_f32 v41, v154, v107
	s_delay_alu instid0(VALU_DEP_3) | instskip(NEXT) | instid1(VALU_DEP_3)
	v_dual_fmac_f32 v37, v175, v102 :: v_dual_add_f32 v9, v9, v35
	v_dual_fma_f32 v17, v174, v102, -v21 :: v_dual_add_f32 v11, v11, v15
	s_wait_loadcnt 0x4
	v_dual_mov_b32 v78, v117 :: v_dual_fma_f32 v15, v176, v104, -v23
	v_fmac_f32_e32 v39, v177, v104
	v_dual_add_f32 v9, v9, v37 :: v_dual_fmac_f32 v41, v155, v106
	v_add_f32_e32 v11, v11, v17
	v_dual_mul_f32 v193, v156, v109 :: v_dual_mul_f32 v195, v126, v111
	s_delay_alu instid0(VALU_DEP_3) | instskip(NEXT) | instid1(VALU_DEP_2)
	v_dual_fma_f32 v17, v154, v106, -v25 :: v_dual_add_f32 v9, v9, v39
	v_dual_add_f32 v11, v11, v15 :: v_dual_fmac_f32 v193, v157, v108
	v_fma_f32 v192, v156, v108, -v27
	v_pk_mul_f32 v[74:75], v[184:185], v[74:75] op_sel_hi:[1,0]
	s_delay_alu instid0(VALU_DEP_4)
	v_add_f32_e32 v83, v9, v41
	s_wait_loadcnt 0x3
	v_dual_add_f32 v82, v11, v17 :: v_dual_mov_b32 v84, v121
	v_pk_mul_f32 v[76:77], v[130:131], v[114:115] op_sel:[1,1] op_sel_hi:[0,1]
	v_dual_fmac_f32 v195, v127, v110 :: v_dual_fma_f32 v194, v126, v110, -v13
	v_pk_fma_f32 v[86:87], v[128:129], v[112:113], v[74:75] op_sel_hi:[1,0,1]
	s_delay_alu instid0(VALU_DEP_4)
	v_pk_add_f32 v[82:83], v[82:83], v[192:193]
	v_pk_fma_f32 v[74:75], v[128:129], v[112:113], v[74:75] neg_lo:[0,0,1] neg_hi:[0,0,1]
	v_pk_fma_f32 v[88:89], v[130:131], v[114:115], v[76:77] op_sel_hi:[1,0,1]
	v_pk_mul_f32 v[78:79], v[186:187], v[78:79] op_sel_hi:[1,0]
	v_mov_b32_e32 v75, v87
	v_pk_add_f32 v[82:83], v[82:83], v[194:195]
	v_pk_fma_f32 v[76:77], v[130:131], v[114:115], v[76:77] neg_lo:[0,0,1] neg_hi:[0,0,1]
	v_pk_mul_f32 v[80:81], v[134:135], v[118:119] op_sel:[1,1] op_sel_hi:[0,1]
	v_mov_b32_e32 v77, v89
	v_pk_fma_f32 v[88:89], v[132:133], v[116:117], v[78:79] op_sel_hi:[1,0,1]
	v_pk_add_f32 v[74:75], v[82:83], v[74:75]
	v_pk_fma_f32 v[78:79], v[132:133], v[116:117], v[78:79] neg_lo:[0,0,1] neg_hi:[0,0,1]
	v_pk_fma_f32 v[82:83], v[134:135], v[118:119], v[80:81] op_sel_hi:[1,0,1]
	v_pk_mul_f32 v[84:85], v[188:189], v[84:85] op_sel_hi:[1,0]
	v_mov_b32_e32 v79, v89
	v_pk_add_f32 v[74:75], v[74:75], v[76:77]
	v_pk_fma_f32 v[80:81], v[134:135], v[118:119], v[80:81] neg_lo:[0,0,1] neg_hi:[0,0,1]
	s_wait_loadcnt 0x2
	v_pk_mul_f32 v[86:87], v[138:139], v[122:123] op_sel:[1,1] op_sel_hi:[0,1]
	v_dual_mov_b32 v76, v125 :: v_dual_mov_b32 v81, v83
	v_pk_fma_f32 v[82:83], v[136:137], v[120:121], v[84:85] op_sel_hi:[1,0,1]
	v_pk_add_f32 v[74:75], v[74:75], v[78:79]
	v_pk_fma_f32 v[84:85], v[136:137], v[120:121], v[84:85] neg_lo:[0,0,1] neg_hi:[0,0,1]
	v_pk_fma_f32 v[78:79], v[138:139], v[122:123], v[86:87] op_sel_hi:[1,0,1]
	v_pk_mul_f32 v[76:77], v[190:191], v[76:77] op_sel_hi:[1,0]
	v_mov_b32_e32 v85, v83
	v_pk_add_f32 v[74:75], v[74:75], v[80:81]
	v_pk_fma_f32 v[80:81], v[138:139], v[122:123], v[86:87] neg_lo:[0,0,1] neg_hi:[0,0,1]
	v_mov_b32_e32 v81, v79
	v_pk_fma_f32 v[78:79], v[140:141], v[124:125], v[76:77] op_sel_hi:[1,0,1]
	s_wait_loadcnt_dscnt 0x100
	v_pk_mul_f32 v[82:83], v[182:183], v[178:179] op_sel:[1,1] op_sel_hi:[0,1]
	v_pk_add_f32 v[74:75], v[74:75], v[84:85]
	v_pk_fma_f32 v[76:77], v[140:141], v[124:125], v[76:77] neg_lo:[0,0,1] neg_hi:[0,0,1]
	v_mov_b32_e32 v77, v79
	s_delay_alu instid0(VALU_DEP_4) | instskip(NEXT) | instid1(VALU_DEP_4)
	v_pk_fma_f32 v[78:79], v[182:183], v[178:179], v[82:83] op_sel_hi:[1,0,1]
	v_pk_add_f32 v[74:75], v[74:75], v[80:81]
	v_pk_fma_f32 v[80:81], v[182:183], v[178:179], v[82:83] neg_lo:[0,0,1] neg_hi:[0,0,1]
	s_delay_alu instid0(VALU_DEP_3) | instskip(NEXT) | instid1(VALU_DEP_3)
	v_mov_b32_e32 v81, v79
	v_pk_add_f32 v[74:75], v[74:75], v[76:77]
	s_delay_alu instid0(VALU_DEP_1) | instskip(SKIP_1) | instid1(VALU_DEP_1)
	v_pk_add_f32 v[74:75], v[74:75], v[80:81]
	s_wait_loadcnt 0x0
	v_pk_add_f32 v[74:75], v[180:181], v[74:75] neg_lo:[0,1] neg_hi:[0,1]
	scratch_store_b64 off, v[74:75], off offset:64
	s_wait_xcnt 0x0
	v_cmpx_lt_u32_e32 7, v0
	s_cbranch_execz .LBB99_215
; %bb.214:
	scratch_load_b64 v[74:75], off, off offset:56
	v_mov_b64_e32 v[76:77], 0
	scratch_store_b64 off, v[76:77], off offset:56
	s_wait_loadcnt 0x0
	ds_store_b64 v1, v[74:75]
.LBB99_215:
	s_wait_xcnt 0x0
	s_or_b32 exec_lo, exec_lo, s0
	s_wait_storecnt_dscnt 0x0
	s_barrier_signal -1
	s_barrier_wait -1
	s_clause 0xe
	scratch_load_b128 v[74:77], off, off offset:64
	scratch_load_b128 v[78:81], off, off offset:80
	;; [unrolled: 1-line block ×14, first 2 shown]
	scratch_load_b64 v[186:187], off, off offset:56
	ds_load_b128 v[130:133], v7 offset:512
	ds_load_b128 v[134:137], v7 offset:528
	;; [unrolled: 1-line block ×14, first 2 shown]
	s_mov_b32 s0, exec_lo
	s_wait_dscnt 0xd
	v_dual_mov_b32 v188, v133 :: v_dual_mov_b32 v189, v132
	s_wait_dscnt 0xc
	v_dual_mov_b32 v190, v137 :: v_dual_mov_b32 v191, v136
	;; [unrolled: 2-line block ×4, first 2 shown]
	s_wait_loadcnt_dscnt 0xe09
	v_dual_mul_f32 v7, v146, v75 :: v_dual_mul_f32 v9, v148, v77
	v_dual_mul_f32 v43, v147, v75 :: v_dual_mul_f32 v45, v149, v77
	s_wait_loadcnt_dscnt 0xd08
	v_dual_mul_f32 v11, v150, v79 :: v_dual_mul_f32 v13, v152, v81
	s_delay_alu instid0(VALU_DEP_3) | instskip(SKIP_3) | instid1(VALU_DEP_3)
	v_dual_fmac_f32 v7, v147, v74 :: v_dual_fmac_f32 v9, v149, v76
	s_wait_loadcnt_dscnt 0xb06
	v_dual_fma_f32 v43, v146, v74, -v43 :: v_dual_mul_f32 v55, v159, v87
	v_dual_mul_f32 v47, v151, v79 :: v_dual_mul_f32 v49, v153, v81
	v_dual_fma_f32 v45, v148, v76, -v45 :: v_dual_add_f32 v7, 0, v7
	s_delay_alu instid0(VALU_DEP_3) | instskip(SKIP_1) | instid1(VALU_DEP_3)
	v_dual_add_f32 v43, 0, v43 :: v_dual_mul_f32 v57, v161, v89
	v_dual_fmac_f32 v11, v151, v78 :: v_dual_fmac_f32 v13, v153, v80
	v_dual_fma_f32 v47, v150, v78, -v47 :: v_dual_add_f32 v7, v7, v9
	s_delay_alu instid0(VALU_DEP_3) | instskip(SKIP_2) | instid1(VALU_DEP_4)
	v_dual_add_f32 v9, v43, v45 :: v_dual_fma_f32 v45, v152, v80, -v49
	v_dual_mul_f32 v15, v154, v83 :: v_dual_mul_f32 v17, v156, v85
	v_dual_mul_f32 v51, v155, v83 :: v_dual_mul_f32 v53, v157, v85
	v_add_f32_e32 v7, v7, v11
	s_delay_alu instid0(VALU_DEP_3) | instskip(NEXT) | instid1(VALU_DEP_3)
	v_dual_add_f32 v9, v9, v47 :: v_dual_fmac_f32 v15, v155, v82
	v_fma_f32 v47, v154, v82, -v51
	v_dual_mul_f32 v19, v158, v87 :: v_dual_mul_f32 v21, v160, v89
	s_delay_alu instid0(VALU_DEP_4) | instskip(SKIP_2) | instid1(VALU_DEP_2)
	v_dual_add_f32 v7, v7, v13 :: v_dual_fmac_f32 v17, v157, v84
	s_wait_loadcnt_dscnt 0x904
	v_dual_add_f32 v9, v9, v45 :: v_dual_mul_f32 v13, v167, v95
	v_dual_fma_f32 v45, v156, v84, -v53 :: v_dual_add_f32 v7, v7, v15
	v_mul_f32_e32 v15, v169, v97
	s_delay_alu instid0(VALU_DEP_3) | instskip(NEXT) | instid1(VALU_DEP_3)
	v_dual_add_f32 v9, v9, v47 :: v_dual_fmac_f32 v19, v159, v86
	v_dual_fma_f32 v47, v158, v86, -v55 :: v_dual_add_f32 v7, v7, v17
	v_fmac_f32_e32 v21, v161, v88
	s_wait_loadcnt_dscnt 0x803
	s_delay_alu instid0(VALU_DEP_3) | instskip(SKIP_3) | instid1(VALU_DEP_3)
	v_dual_add_f32 v9, v9, v45 :: v_dual_mul_f32 v17, v171, v99
	v_dual_mul_f32 v23, v162, v91 :: v_dual_mul_f32 v25, v164, v93
	v_dual_mul_f32 v43, v163, v91 :: v_dual_mul_f32 v11, v165, v93
	v_dual_fma_f32 v45, v160, v88, -v57 :: v_dual_add_f32 v7, v7, v19
	v_dual_add_f32 v9, v9, v47 :: v_dual_fmac_f32 v23, v163, v90
	s_delay_alu instid0(VALU_DEP_3) | instskip(NEXT) | instid1(VALU_DEP_3)
	v_dual_mul_f32 v19, v173, v101 :: v_dual_fma_f32 v43, v162, v90, -v43
	v_dual_add_f32 v7, v7, v21 :: v_dual_fmac_f32 v25, v165, v92
	s_wait_loadcnt_dscnt 0x702
	s_delay_alu instid0(VALU_DEP_3) | instskip(SKIP_1) | instid1(VALU_DEP_3)
	v_dual_add_f32 v9, v9, v45 :: v_dual_mul_f32 v21, v175, v103
	v_dual_mul_f32 v27, v166, v95 :: v_dual_mul_f32 v29, v168, v97
	v_dual_fma_f32 v11, v164, v92, -v11 :: v_dual_add_f32 v7, v7, v23
	s_delay_alu instid0(VALU_DEP_2) | instskip(SKIP_1) | instid1(VALU_DEP_2)
	v_dual_add_f32 v9, v9, v43 :: v_dual_fmac_f32 v27, v167, v94
	v_dual_mul_f32 v23, v177, v105 :: v_dual_fma_f32 v13, v166, v94, -v13
	v_dual_add_f32 v7, v7, v25 :: v_dual_add_f32 v9, v9, v11
	v_dual_mul_f32 v31, v170, v99 :: v_dual_mul_f32 v33, v172, v101
	s_wait_loadcnt_dscnt 0x601
	v_dual_mul_f32 v11, v179, v107 :: v_dual_fmac_f32 v29, v169, v96
	s_delay_alu instid0(VALU_DEP_3) | instskip(NEXT) | instid1(VALU_DEP_3)
	v_dual_fma_f32 v15, v168, v96, -v15 :: v_dual_add_f32 v7, v7, v27
	v_dual_add_f32 v9, v9, v13 :: v_dual_fmac_f32 v31, v171, v98
	v_dual_mul_f32 v13, v181, v109 :: v_dual_fma_f32 v17, v170, v98, -v17
	s_delay_alu instid0(VALU_DEP_2) | instskip(SKIP_3) | instid1(VALU_DEP_3)
	v_dual_add_f32 v7, v7, v29 :: v_dual_add_f32 v9, v9, v15
	v_dual_mul_f32 v35, v174, v103 :: v_dual_mul_f32 v37, v176, v105
	s_wait_loadcnt_dscnt 0x500
	v_dual_mul_f32 v15, v183, v111 :: v_dual_fmac_f32 v33, v173, v100
	v_dual_fma_f32 v19, v172, v100, -v19 :: v_dual_add_f32 v7, v7, v31
	s_delay_alu instid0(VALU_DEP_3) | instskip(SKIP_1) | instid1(VALU_DEP_2)
	v_dual_add_f32 v9, v9, v17 :: v_dual_fmac_f32 v35, v175, v102
	v_dual_mul_f32 v17, v185, v113 :: v_dual_fma_f32 v21, v174, v102, -v21
	v_dual_add_f32 v7, v7, v33 :: v_dual_add_f32 v9, v9, v19
	v_dual_mul_f32 v39, v178, v107 :: v_dual_mul_f32 v41, v180, v109
	v_dual_fmac_f32 v37, v177, v104 :: v_dual_fma_f32 v19, v176, v104, -v23
	s_delay_alu instid0(VALU_DEP_3) | instskip(SKIP_1) | instid1(VALU_DEP_3)
	v_dual_add_f32 v7, v7, v35 :: v_dual_add_f32 v9, v9, v21
	s_wait_loadcnt 0x4
	v_dual_mov_b32 v76, v117 :: v_dual_fmac_f32 v39, v179, v106
	s_delay_alu instid0(VALU_DEP_2) | instskip(NEXT) | instid1(VALU_DEP_3)
	v_dual_fma_f32 v11, v178, v106, -v11 :: v_dual_add_f32 v7, v7, v37
	v_dual_add_f32 v9, v9, v19 :: v_dual_fma_f32 v13, v180, v108, -v13
	v_dual_mul_f32 v197, v182, v111 :: v_dual_mul_f32 v199, v184, v113
	s_delay_alu instid0(VALU_DEP_3) | instskip(NEXT) | instid1(VALU_DEP_2)
	v_dual_fmac_f32 v41, v181, v108 :: v_dual_add_f32 v7, v7, v39
	v_dual_add_f32 v9, v9, v11 :: v_dual_fmac_f32 v197, v183, v110
	v_pk_mul_f32 v[74:75], v[130:131], v[114:115] op_sel:[1,1] op_sel_hi:[0,1]
	s_wait_loadcnt 0x3
	v_dual_mov_b32 v80, v121 :: v_dual_fma_f32 v196, v182, v110, -v15
	v_dual_add_f32 v83, v7, v41 :: v_dual_fmac_f32 v199, v185, v112
	v_dual_add_f32 v82, v9, v13 :: v_dual_fma_f32 v198, v184, v112, -v17
	v_pk_fma_f32 v[84:85], v[130:131], v[114:115], v[74:75] op_sel_hi:[1,0,1]
	v_pk_mul_f32 v[76:77], v[188:189], v[76:77] op_sel_hi:[1,0]
	v_pk_fma_f32 v[74:75], v[130:131], v[114:115], v[74:75] neg_lo:[0,0,1] neg_hi:[0,0,1]
	s_delay_alu instid0(VALU_DEP_4)
	v_pk_add_f32 v[82:83], v[82:83], v[196:197]
	v_pk_mul_f32 v[78:79], v[134:135], v[118:119] op_sel:[1,1] op_sel_hi:[0,1]
	v_mov_b32_e32 v75, v85
	v_pk_fma_f32 v[84:85], v[132:133], v[116:117], v[76:77] op_sel_hi:[1,0,1]
	v_pk_fma_f32 v[76:77], v[132:133], v[116:117], v[76:77] neg_lo:[0,0,1] neg_hi:[0,0,1]
	v_pk_add_f32 v[82:83], v[82:83], v[198:199]
	v_pk_fma_f32 v[88:89], v[134:135], v[118:119], v[78:79] op_sel_hi:[1,0,1]
	v_pk_mul_f32 v[80:81], v[190:191], v[80:81] op_sel_hi:[1,0]
	v_mov_b32_e32 v77, v85
	s_wait_loadcnt 0x2
	v_pk_mul_f32 v[86:87], v[138:139], v[122:123] op_sel:[1,1] op_sel_hi:[0,1]
	v_pk_add_f32 v[74:75], v[82:83], v[74:75]
	v_mov_b32_e32 v82, v125
	v_pk_fma_f32 v[78:79], v[134:135], v[118:119], v[78:79] neg_lo:[0,0,1] neg_hi:[0,0,1]
	v_mov_b32_e32 v79, v89
	v_pk_fma_f32 v[84:85], v[136:137], v[120:121], v[80:81] op_sel_hi:[1,0,1]
	v_pk_add_f32 v[74:75], v[74:75], v[76:77]
	v_pk_fma_f32 v[76:77], v[138:139], v[122:123], v[86:87] op_sel_hi:[1,0,1]
	v_pk_mul_f32 v[82:83], v[192:193], v[82:83] op_sel_hi:[1,0]
	v_pk_fma_f32 v[80:81], v[136:137], v[120:121], v[80:81] neg_lo:[0,0,1] neg_hi:[0,0,1]
	v_mov_b32_e32 v81, v85
	v_pk_add_f32 v[74:75], v[74:75], v[78:79]
	v_pk_fma_f32 v[84:85], v[138:139], v[122:123], v[86:87] neg_lo:[0,0,1] neg_hi:[0,0,1]
	v_mov_b32_e32 v85, v77
	v_pk_fma_f32 v[76:77], v[140:141], v[124:125], v[82:83] op_sel_hi:[1,0,1]
	s_wait_loadcnt 0x1
	v_pk_mul_f32 v[78:79], v[142:143], v[126:127] op_sel:[1,1] op_sel_hi:[0,1]
	v_pk_add_f32 v[74:75], v[74:75], v[80:81]
	v_mov_b32_e32 v76, v129
	v_pk_fma_f32 v[82:83], v[140:141], v[124:125], v[82:83] neg_lo:[0,0,1] neg_hi:[0,0,1]
	v_mov_b32_e32 v83, v77
	v_pk_fma_f32 v[80:81], v[142:143], v[126:127], v[78:79] op_sel_hi:[1,0,1]
	v_pk_add_f32 v[74:75], v[74:75], v[84:85]
	v_pk_mul_f32 v[76:77], v[194:195], v[76:77] op_sel_hi:[1,0]
	v_pk_fma_f32 v[78:79], v[142:143], v[126:127], v[78:79] neg_lo:[0,0,1] neg_hi:[0,0,1]
	s_delay_alu instid0(VALU_DEP_4) | instskip(NEXT) | instid1(VALU_DEP_4)
	v_mov_b32_e32 v79, v81
	v_pk_add_f32 v[74:75], v[74:75], v[82:83]
	s_delay_alu instid0(VALU_DEP_4) | instskip(SKIP_1) | instid1(VALU_DEP_2)
	v_pk_fma_f32 v[80:81], v[144:145], v[128:129], v[76:77] op_sel_hi:[1,0,1]
	v_pk_fma_f32 v[76:77], v[144:145], v[128:129], v[76:77] neg_lo:[0,0,1] neg_hi:[0,0,1]
	v_mov_b32_e32 v77, v81
	s_delay_alu instid0(VALU_DEP_4) | instskip(NEXT) | instid1(VALU_DEP_1)
	v_pk_add_f32 v[74:75], v[74:75], v[78:79]
	v_pk_add_f32 v[74:75], v[74:75], v[76:77]
	s_wait_loadcnt 0x0
	s_delay_alu instid0(VALU_DEP_1)
	v_pk_add_f32 v[74:75], v[186:187], v[74:75] neg_lo:[0,1] neg_hi:[0,1]
	scratch_store_b64 off, v[74:75], off offset:56
	s_wait_xcnt 0x0
	v_cmpx_lt_u32_e32 6, v0
	s_cbranch_execz .LBB99_217
; %bb.216:
	scratch_load_b64 v[74:75], off, off offset:48
	v_mov_b64_e32 v[76:77], 0
	scratch_store_b64 off, v[76:77], off offset:48
	s_wait_loadcnt 0x0
	ds_store_b64 v1, v[74:75]
.LBB99_217:
	s_wait_xcnt 0x0
	s_or_b32 exec_lo, exec_lo, s0
	s_wait_storecnt_dscnt 0x0
	s_barrier_signal -1
	s_barrier_wait -1
	s_clause 0xf
	scratch_load_b128 v[74:77], off, off offset:56
	scratch_load_b128 v[78:81], off, off offset:72
	;; [unrolled: 1-line block ×14, first 2 shown]
	scratch_load_b64 v[186:187], off, off offset:280
	scratch_load_b64 v[188:189], off, off offset:48
	v_mov_b32_e32 v7, 0
	ds_load_2addr_b64 v[130:133], v7 offset0:63 offset1:64
	ds_load_2addr_b64 v[134:137], v7 offset0:65 offset1:66
	;; [unrolled: 1-line block ×14, first 2 shown]
	ds_load_b64 v[190:191], v7 offset:568
	s_mov_b32 s0, exec_lo
	s_wait_dscnt 0xe
	v_dual_mov_b32 v192, v133 :: v_dual_mov_b32 v193, v132
	s_wait_dscnt 0xb
	v_dual_mov_b32 v194, v137 :: v_dual_mov_b32 v199, v144
	v_dual_mov_b32 v195, v136 :: v_dual_mov_b32 v196, v141
	;; [unrolled: 1-line block ×3, first 2 shown]
	s_wait_loadcnt_dscnt 0xf0a
	v_dual_mul_f32 v9, v146, v75 :: v_dual_mul_f32 v47, v147, v75
	v_dual_mul_f32 v49, v149, v77 :: v_dual_mul_f32 v11, v148, v77
	s_wait_loadcnt_dscnt 0xe09
	v_mul_f32_e32 v13, v150, v79
	s_wait_loadcnt_dscnt 0xc07
	v_dual_mul_f32 v59, v159, v87 :: v_dual_fma_f32 v47, v146, v74, -v47
	v_dual_fmac_f32 v9, v147, v74 :: v_dual_mul_f32 v61, v161, v89
	v_dual_mul_f32 v51, v151, v79 :: v_dual_mul_f32 v53, v153, v81
	v_dual_fmac_f32 v11, v149, v76 :: v_dual_fma_f32 v49, v148, v76, -v49
	s_delay_alu instid0(VALU_DEP_3) | instskip(SKIP_3) | instid1(VALU_DEP_3)
	v_dual_add_f32 v9, 0, v9 :: v_dual_add_f32 v47, 0, v47
	v_dual_mul_f32 v15, v152, v81 :: v_dual_mul_f32 v17, v154, v83
	s_wait_loadcnt_dscnt 0xb06
	v_dual_mul_f32 v63, v163, v91 :: v_dual_fma_f32 v51, v150, v78, -v51
	v_dual_fmac_f32 v13, v151, v78 :: v_dual_add_f32 v9, v9, v11
	s_delay_alu instid0(VALU_DEP_3) | instskip(SKIP_2) | instid1(VALU_DEP_3)
	v_dual_add_f32 v11, v47, v49 :: v_dual_fmac_f32 v15, v153, v80
	v_dual_mul_f32 v55, v155, v83 :: v_dual_mul_f32 v57, v157, v85
	v_dual_mul_f32 v47, v165, v93 :: v_dual_fma_f32 v49, v152, v80, -v53
	v_dual_add_f32 v9, v9, v13 :: v_dual_add_f32 v11, v11, v51
	v_dual_mul_f32 v19, v156, v85 :: v_dual_mul_f32 v21, v158, v87
	s_wait_loadcnt_dscnt 0xa05
	v_dual_mul_f32 v13, v167, v95 :: v_dual_fma_f32 v51, v154, v82, -v55
	s_delay_alu instid0(VALU_DEP_3) | instskip(NEXT) | instid1(VALU_DEP_3)
	v_dual_fmac_f32 v17, v155, v82 :: v_dual_add_f32 v9, v9, v15
	v_dual_add_f32 v11, v11, v49 :: v_dual_fmac_f32 v19, v157, v84
	v_dual_mul_f32 v15, v169, v97 :: v_dual_fma_f32 v49, v156, v84, -v57
	s_delay_alu instid0(VALU_DEP_2) | instskip(SKIP_3) | instid1(VALU_DEP_3)
	v_dual_add_f32 v9, v9, v17 :: v_dual_add_f32 v11, v11, v51
	v_dual_mul_f32 v23, v160, v89 :: v_dual_mul_f32 v25, v162, v91
	s_wait_loadcnt_dscnt 0x904
	v_dual_mul_f32 v17, v171, v99 :: v_dual_fma_f32 v51, v158, v86, -v59
	v_dual_fmac_f32 v21, v159, v86 :: v_dual_add_f32 v9, v9, v19
	s_delay_alu instid0(VALU_DEP_3) | instskip(SKIP_1) | instid1(VALU_DEP_2)
	v_dual_add_f32 v11, v11, v49 :: v_dual_fmac_f32 v23, v161, v88
	v_dual_mul_f32 v19, v173, v101 :: v_dual_fma_f32 v49, v160, v88, -v61
	v_dual_add_f32 v9, v9, v21 :: v_dual_add_f32 v11, v11, v51
	v_dual_mul_f32 v27, v164, v93 :: v_dual_mul_f32 v29, v166, v95
	s_wait_loadcnt_dscnt 0x803
	v_dual_mul_f32 v21, v175, v103 :: v_dual_fma_f32 v51, v162, v90, -v63
	s_delay_alu instid0(VALU_DEP_3) | instskip(NEXT) | instid1(VALU_DEP_3)
	v_dual_fmac_f32 v25, v163, v90 :: v_dual_add_f32 v9, v9, v23
	v_dual_add_f32 v11, v11, v49 :: v_dual_fmac_f32 v27, v165, v92
	v_dual_mul_f32 v23, v177, v105 :: v_dual_fma_f32 v47, v164, v92, -v47
	s_delay_alu instid0(VALU_DEP_2) | instskip(SKIP_3) | instid1(VALU_DEP_3)
	v_dual_add_f32 v9, v9, v25 :: v_dual_add_f32 v11, v11, v51
	v_dual_mul_f32 v31, v168, v97 :: v_dual_mul_f32 v33, v170, v99
	s_wait_loadcnt_dscnt 0x702
	v_dual_mul_f32 v25, v179, v107 :: v_dual_fma_f32 v13, v166, v94, -v13
	v_dual_fmac_f32 v29, v167, v94 :: v_dual_add_f32 v9, v9, v27
	v_dual_add_f32 v11, v11, v47 :: v_dual_mul_f32 v27, v181, v109
	v_fmac_f32_e32 v31, v169, v96
	s_delay_alu instid0(VALU_DEP_3) | instskip(NEXT) | instid1(VALU_DEP_3)
	v_dual_fma_f32 v15, v168, v96, -v15 :: v_dual_add_f32 v9, v9, v29
	v_add_f32_e32 v11, v11, v13
	v_dual_mul_f32 v35, v172, v101 :: v_dual_mul_f32 v37, v174, v103
	s_wait_loadcnt_dscnt 0x601
	v_dual_mul_f32 v13, v183, v111 :: v_dual_fma_f32 v17, v170, v98, -v17
	v_dual_fmac_f32 v33, v171, v98 :: v_dual_add_f32 v9, v9, v31
	v_dual_add_f32 v11, v11, v15 :: v_dual_mul_f32 v15, v185, v113
	v_fmac_f32_e32 v35, v173, v100
	s_delay_alu instid0(VALU_DEP_3) | instskip(NEXT) | instid1(VALU_DEP_3)
	v_dual_fma_f32 v19, v172, v100, -v19 :: v_dual_add_f32 v9, v9, v33
	v_add_f32_e32 v11, v11, v17
	v_dual_mul_f32 v39, v176, v105 :: v_dual_mul_f32 v41, v178, v107
	s_wait_loadcnt 0x5
	v_dual_mul_f32 v17, v131, v115 :: v_dual_fma_f32 v21, v174, v102, -v21
	v_dual_fmac_f32 v37, v175, v102 :: v_dual_add_f32 v9, v9, v35
	v_dual_add_f32 v11, v11, v19 :: v_dual_mov_b32 v74, v117
	v_fmac_f32_e32 v39, v177, v104
	s_delay_alu instid0(VALU_DEP_3) | instskip(NEXT) | instid1(VALU_DEP_3)
	v_dual_fma_f32 v19, v176, v104, -v23 :: v_dual_add_f32 v9, v9, v37
	v_add_f32_e32 v11, v11, v21
	v_dual_mul_f32 v43, v180, v109 :: v_dual_mul_f32 v45, v182, v111
	s_delay_alu instid0(VALU_DEP_3) | instskip(NEXT) | instid1(VALU_DEP_3)
	v_dual_fmac_f32 v41, v179, v106 :: v_dual_add_f32 v9, v9, v39
	v_dual_fma_f32 v21, v178, v106, -v25 :: v_dual_add_f32 v11, v11, v19
	s_wait_loadcnt 0x4
	v_dual_mov_b32 v78, v121 :: v_dual_fma_f32 v19, v180, v108, -v27
	v_fmac_f32_e32 v43, v181, v108
	v_dual_add_f32 v9, v9, v41 :: v_dual_fmac_f32 v45, v183, v110
	v_add_f32_e32 v11, v11, v21
	v_dual_mul_f32 v201, v184, v113 :: v_dual_mul_f32 v203, v130, v115
	s_delay_alu instid0(VALU_DEP_3) | instskip(NEXT) | instid1(VALU_DEP_2)
	v_dual_fma_f32 v13, v182, v110, -v13 :: v_dual_add_f32 v9, v9, v43
	v_dual_add_f32 v11, v11, v19 :: v_dual_fmac_f32 v201, v185, v112
	v_fma_f32 v200, v184, v112, -v15
	v_pk_mul_f32 v[74:75], v[192:193], v[74:75] op_sel_hi:[1,0]
	s_delay_alu instid0(VALU_DEP_4)
	v_add_f32_e32 v83, v9, v45
	s_wait_loadcnt 0x3
	v_dual_add_f32 v82, v11, v13 :: v_dual_mov_b32 v84, v125
	v_pk_mul_f32 v[76:77], v[134:135], v[118:119] op_sel:[1,1] op_sel_hi:[0,1]
	v_dual_fmac_f32 v203, v131, v114 :: v_dual_fma_f32 v202, v130, v114, -v17
	v_pk_fma_f32 v[86:87], v[132:133], v[116:117], v[74:75] op_sel_hi:[1,0,1]
	s_delay_alu instid0(VALU_DEP_4)
	v_pk_add_f32 v[82:83], v[82:83], v[200:201]
	v_pk_fma_f32 v[74:75], v[132:133], v[116:117], v[74:75] neg_lo:[0,0,1] neg_hi:[0,0,1]
	v_pk_fma_f32 v[88:89], v[134:135], v[118:119], v[76:77] op_sel_hi:[1,0,1]
	v_pk_mul_f32 v[78:79], v[194:195], v[78:79] op_sel_hi:[1,0]
	v_mov_b32_e32 v75, v87
	v_pk_add_f32 v[82:83], v[82:83], v[202:203]
	v_pk_fma_f32 v[76:77], v[134:135], v[118:119], v[76:77] neg_lo:[0,0,1] neg_hi:[0,0,1]
	v_pk_mul_f32 v[80:81], v[138:139], v[122:123] op_sel:[1,1] op_sel_hi:[0,1]
	v_mov_b32_e32 v77, v89
	v_pk_fma_f32 v[88:89], v[136:137], v[120:121], v[78:79] op_sel_hi:[1,0,1]
	v_pk_add_f32 v[74:75], v[82:83], v[74:75]
	v_pk_fma_f32 v[78:79], v[136:137], v[120:121], v[78:79] neg_lo:[0,0,1] neg_hi:[0,0,1]
	v_pk_fma_f32 v[82:83], v[138:139], v[122:123], v[80:81] op_sel_hi:[1,0,1]
	v_pk_mul_f32 v[84:85], v[196:197], v[84:85] op_sel_hi:[1,0]
	v_mov_b32_e32 v79, v89
	v_pk_add_f32 v[74:75], v[74:75], v[76:77]
	v_pk_fma_f32 v[80:81], v[138:139], v[122:123], v[80:81] neg_lo:[0,0,1] neg_hi:[0,0,1]
	s_wait_loadcnt 0x2
	v_pk_mul_f32 v[86:87], v[142:143], v[126:127] op_sel:[1,1] op_sel_hi:[0,1]
	v_dual_mov_b32 v76, v129 :: v_dual_mov_b32 v81, v83
	v_pk_fma_f32 v[82:83], v[140:141], v[124:125], v[84:85] op_sel_hi:[1,0,1]
	v_pk_add_f32 v[74:75], v[74:75], v[78:79]
	v_pk_fma_f32 v[84:85], v[140:141], v[124:125], v[84:85] neg_lo:[0,0,1] neg_hi:[0,0,1]
	v_pk_fma_f32 v[78:79], v[142:143], v[126:127], v[86:87] op_sel_hi:[1,0,1]
	v_pk_mul_f32 v[76:77], v[198:199], v[76:77] op_sel_hi:[1,0]
	v_mov_b32_e32 v85, v83
	v_pk_add_f32 v[74:75], v[74:75], v[80:81]
	v_pk_fma_f32 v[80:81], v[142:143], v[126:127], v[86:87] neg_lo:[0,0,1] neg_hi:[0,0,1]
	v_mov_b32_e32 v81, v79
	v_pk_fma_f32 v[78:79], v[144:145], v[128:129], v[76:77] op_sel_hi:[1,0,1]
	s_wait_loadcnt_dscnt 0x100
	v_pk_mul_f32 v[82:83], v[190:191], v[186:187] op_sel:[1,1] op_sel_hi:[0,1]
	v_pk_add_f32 v[74:75], v[74:75], v[84:85]
	v_pk_fma_f32 v[76:77], v[144:145], v[128:129], v[76:77] neg_lo:[0,0,1] neg_hi:[0,0,1]
	v_mov_b32_e32 v77, v79
	s_delay_alu instid0(VALU_DEP_4) | instskip(NEXT) | instid1(VALU_DEP_4)
	v_pk_fma_f32 v[78:79], v[190:191], v[186:187], v[82:83] op_sel_hi:[1,0,1]
	v_pk_add_f32 v[74:75], v[74:75], v[80:81]
	v_pk_fma_f32 v[80:81], v[190:191], v[186:187], v[82:83] neg_lo:[0,0,1] neg_hi:[0,0,1]
	s_delay_alu instid0(VALU_DEP_3) | instskip(NEXT) | instid1(VALU_DEP_3)
	v_mov_b32_e32 v81, v79
	v_pk_add_f32 v[74:75], v[74:75], v[76:77]
	s_delay_alu instid0(VALU_DEP_1) | instskip(SKIP_1) | instid1(VALU_DEP_1)
	v_pk_add_f32 v[74:75], v[74:75], v[80:81]
	s_wait_loadcnt 0x0
	v_pk_add_f32 v[74:75], v[188:189], v[74:75] neg_lo:[0,1] neg_hi:[0,1]
	scratch_store_b64 off, v[74:75], off offset:48
	s_wait_xcnt 0x0
	v_cmpx_lt_u32_e32 5, v0
	s_cbranch_execz .LBB99_219
; %bb.218:
	scratch_load_b64 v[74:75], off, off offset:40
	v_mov_b64_e32 v[76:77], 0
	scratch_store_b64 off, v[76:77], off offset:40
	s_wait_loadcnt 0x0
	ds_store_b64 v1, v[74:75]
.LBB99_219:
	s_wait_xcnt 0x0
	s_or_b32 exec_lo, exec_lo, s0
	s_wait_storecnt_dscnt 0x0
	s_barrier_signal -1
	s_barrier_wait -1
	s_clause 0xf
	scratch_load_b128 v[74:77], off, off offset:48
	scratch_load_b128 v[78:81], off, off offset:64
	;; [unrolled: 1-line block ×15, first 2 shown]
	scratch_load_b64 v[194:195], off, off offset:40
	ds_load_b128 v[134:137], v7 offset:512
	ds_load_b128 v[138:141], v7 offset:528
	;; [unrolled: 1-line block ×15, first 2 shown]
	s_mov_b32 s0, exec_lo
	s_wait_dscnt 0xe
	v_dual_mov_b32 v196, v137 :: v_dual_mov_b32 v197, v136
	s_wait_dscnt 0xd
	v_dual_mov_b32 v198, v141 :: v_dual_mov_b32 v199, v140
	;; [unrolled: 2-line block ×4, first 2 shown]
	s_wait_loadcnt_dscnt 0xf0a
	v_dual_mul_f32 v7, v150, v75 :: v_dual_mul_f32 v9, v152, v77
	v_dual_mul_f32 v47, v151, v75 :: v_dual_mul_f32 v49, v153, v77
	s_wait_loadcnt_dscnt 0xe09
	v_dual_mul_f32 v11, v154, v79 :: v_dual_mul_f32 v13, v156, v81
	s_delay_alu instid0(VALU_DEP_3) | instskip(SKIP_3) | instid1(VALU_DEP_3)
	v_dual_fmac_f32 v7, v151, v74 :: v_dual_fmac_f32 v9, v153, v76
	s_wait_loadcnt_dscnt 0xc06
	v_dual_fma_f32 v47, v150, v74, -v47 :: v_dual_mul_f32 v59, v167, v87
	v_dual_mul_f32 v51, v155, v79 :: v_dual_mul_f32 v53, v157, v81
	v_dual_fma_f32 v49, v152, v76, -v49 :: v_dual_add_f32 v7, 0, v7
	s_delay_alu instid0(VALU_DEP_3) | instskip(SKIP_1) | instid1(VALU_DEP_3)
	v_dual_add_f32 v47, 0, v47 :: v_dual_mul_f32 v61, v169, v89
	v_dual_fmac_f32 v11, v155, v78 :: v_dual_fmac_f32 v13, v157, v80
	v_dual_fma_f32 v51, v154, v78, -v51 :: v_dual_add_f32 v7, v7, v9
	s_delay_alu instid0(VALU_DEP_3) | instskip(SKIP_2) | instid1(VALU_DEP_4)
	v_dual_add_f32 v9, v47, v49 :: v_dual_fma_f32 v49, v156, v80, -v53
	v_dual_mul_f32 v15, v162, v83 :: v_dual_mul_f32 v17, v164, v85
	v_dual_mul_f32 v55, v163, v83 :: v_dual_mul_f32 v57, v165, v85
	v_add_f32_e32 v7, v7, v11
	s_delay_alu instid0(VALU_DEP_3) | instskip(NEXT) | instid1(VALU_DEP_3)
	v_dual_add_f32 v9, v9, v51 :: v_dual_fmac_f32 v15, v163, v82
	v_fma_f32 v51, v162, v82, -v55
	v_dual_mul_f32 v19, v166, v87 :: v_dual_mul_f32 v21, v168, v89
	s_delay_alu instid0(VALU_DEP_4) | instskip(SKIP_2) | instid1(VALU_DEP_2)
	v_dual_add_f32 v7, v7, v13 :: v_dual_fmac_f32 v17, v165, v84
	s_wait_loadcnt_dscnt 0xa04
	v_dual_add_f32 v9, v9, v49 :: v_dual_mul_f32 v13, v175, v95
	v_dual_fma_f32 v49, v164, v84, -v57 :: v_dual_add_f32 v7, v7, v15
	v_mul_f32_e32 v15, v177, v97
	s_delay_alu instid0(VALU_DEP_3) | instskip(NEXT) | instid1(VALU_DEP_3)
	v_dual_add_f32 v9, v9, v51 :: v_dual_fmac_f32 v19, v167, v86
	v_dual_fma_f32 v51, v166, v86, -v59 :: v_dual_add_f32 v7, v7, v17
	v_fmac_f32_e32 v21, v169, v88
	s_wait_loadcnt_dscnt 0x903
	s_delay_alu instid0(VALU_DEP_3) | instskip(SKIP_3) | instid1(VALU_DEP_3)
	v_dual_add_f32 v9, v9, v49 :: v_dual_mul_f32 v17, v179, v99
	v_dual_mul_f32 v23, v170, v91 :: v_dual_mul_f32 v25, v172, v93
	v_dual_mul_f32 v47, v171, v91 :: v_dual_mul_f32 v11, v173, v93
	v_dual_fma_f32 v49, v168, v88, -v61 :: v_dual_add_f32 v7, v7, v19
	v_dual_add_f32 v9, v9, v51 :: v_dual_fmac_f32 v23, v171, v90
	s_delay_alu instid0(VALU_DEP_3) | instskip(NEXT) | instid1(VALU_DEP_3)
	v_dual_mul_f32 v19, v181, v101 :: v_dual_fma_f32 v47, v170, v90, -v47
	v_dual_add_f32 v7, v7, v21 :: v_dual_fmac_f32 v25, v173, v92
	s_wait_loadcnt_dscnt 0x802
	s_delay_alu instid0(VALU_DEP_3) | instskip(SKIP_1) | instid1(VALU_DEP_3)
	v_dual_add_f32 v9, v9, v49 :: v_dual_mul_f32 v21, v183, v103
	v_dual_mul_f32 v27, v174, v95 :: v_dual_mul_f32 v29, v176, v97
	v_dual_fma_f32 v11, v172, v92, -v11 :: v_dual_add_f32 v7, v7, v23
	s_delay_alu instid0(VALU_DEP_2) | instskip(SKIP_1) | instid1(VALU_DEP_2)
	v_dual_add_f32 v9, v9, v47 :: v_dual_fmac_f32 v27, v175, v94
	v_dual_mul_f32 v23, v185, v105 :: v_dual_fma_f32 v13, v174, v94, -v13
	v_dual_add_f32 v7, v7, v25 :: v_dual_add_f32 v9, v9, v11
	v_dual_mul_f32 v31, v178, v99 :: v_dual_mul_f32 v33, v180, v101
	s_wait_loadcnt_dscnt 0x701
	v_dual_mul_f32 v11, v187, v107 :: v_dual_fmac_f32 v29, v177, v96
	s_delay_alu instid0(VALU_DEP_3) | instskip(NEXT) | instid1(VALU_DEP_3)
	v_dual_fma_f32 v15, v176, v96, -v15 :: v_dual_add_f32 v7, v7, v27
	v_dual_add_f32 v9, v9, v13 :: v_dual_fmac_f32 v31, v179, v98
	v_dual_mul_f32 v13, v189, v109 :: v_dual_fma_f32 v17, v178, v98, -v17
	s_delay_alu instid0(VALU_DEP_2) | instskip(SKIP_3) | instid1(VALU_DEP_3)
	v_dual_add_f32 v7, v7, v29 :: v_dual_add_f32 v9, v9, v15
	v_dual_mul_f32 v35, v182, v103 :: v_dual_mul_f32 v37, v184, v105
	s_wait_loadcnt_dscnt 0x600
	v_dual_mul_f32 v15, v191, v111 :: v_dual_fmac_f32 v33, v181, v100
	v_dual_fma_f32 v19, v180, v100, -v19 :: v_dual_add_f32 v7, v7, v31
	s_delay_alu instid0(VALU_DEP_3) | instskip(SKIP_1) | instid1(VALU_DEP_2)
	v_dual_add_f32 v9, v9, v17 :: v_dual_fmac_f32 v35, v183, v102
	v_dual_mul_f32 v17, v193, v113 :: v_dual_fma_f32 v21, v182, v102, -v21
	v_dual_add_f32 v7, v7, v33 :: v_dual_add_f32 v9, v9, v19
	v_dual_mul_f32 v39, v186, v107 :: v_dual_mul_f32 v41, v188, v109
	s_wait_loadcnt 0x5
	v_dual_mul_f32 v19, v159, v115 :: v_dual_fmac_f32 v37, v185, v104
	s_delay_alu instid0(VALU_DEP_3) | instskip(NEXT) | instid1(VALU_DEP_3)
	v_dual_fma_f32 v23, v184, v104, -v23 :: v_dual_add_f32 v7, v7, v35
	v_dual_add_f32 v9, v9, v21 :: v_dual_fmac_f32 v39, v187, v106
	v_dual_mul_f32 v21, v161, v117 :: v_dual_fma_f32 v11, v186, v106, -v11
	s_delay_alu instid0(VALU_DEP_2) | instskip(SKIP_1) | instid1(VALU_DEP_2)
	v_dual_add_f32 v7, v7, v37 :: v_dual_add_f32 v9, v9, v23
	v_dual_mul_f32 v43, v190, v111 :: v_dual_mul_f32 v45, v192, v113
	v_dual_fmac_f32 v41, v189, v108 :: v_dual_add_f32 v7, v7, v39
	s_delay_alu instid0(VALU_DEP_3) | instskip(SKIP_1) | instid1(VALU_DEP_3)
	v_dual_fma_f32 v13, v188, v108, -v13 :: v_dual_add_f32 v9, v9, v11
	s_wait_loadcnt 0x4
	v_dual_mov_b32 v76, v121 :: v_dual_fmac_f32 v43, v191, v110
	s_delay_alu instid0(VALU_DEP_3) | instskip(NEXT) | instid1(VALU_DEP_3)
	v_dual_fma_f32 v11, v190, v110, -v15 :: v_dual_add_f32 v7, v7, v41
	v_dual_add_f32 v9, v9, v13 :: v_dual_fma_f32 v13, v192, v112, -v17
	v_dual_mul_f32 v205, v158, v115 :: v_dual_mul_f32 v207, v160, v117
	s_delay_alu instid0(VALU_DEP_3) | instskip(NEXT) | instid1(VALU_DEP_2)
	v_dual_fmac_f32 v45, v193, v112 :: v_dual_add_f32 v7, v7, v43
	v_dual_add_f32 v9, v9, v11 :: v_dual_fmac_f32 v205, v159, v114
	v_pk_mul_f32 v[74:75], v[134:135], v[118:119] op_sel:[1,1] op_sel_hi:[0,1]
	s_wait_loadcnt 0x3
	v_dual_mov_b32 v80, v125 :: v_dual_fma_f32 v204, v158, v114, -v19
	v_dual_add_f32 v83, v7, v45 :: v_dual_fmac_f32 v207, v161, v116
	v_dual_add_f32 v82, v9, v13 :: v_dual_fma_f32 v206, v160, v116, -v21
	v_pk_fma_f32 v[84:85], v[134:135], v[118:119], v[74:75] op_sel_hi:[1,0,1]
	v_pk_mul_f32 v[76:77], v[196:197], v[76:77] op_sel_hi:[1,0]
	v_pk_fma_f32 v[74:75], v[134:135], v[118:119], v[74:75] neg_lo:[0,0,1] neg_hi:[0,0,1]
	s_delay_alu instid0(VALU_DEP_4)
	v_pk_add_f32 v[82:83], v[82:83], v[204:205]
	v_pk_mul_f32 v[78:79], v[138:139], v[122:123] op_sel:[1,1] op_sel_hi:[0,1]
	v_mov_b32_e32 v75, v85
	v_pk_fma_f32 v[84:85], v[136:137], v[120:121], v[76:77] op_sel_hi:[1,0,1]
	v_pk_fma_f32 v[76:77], v[136:137], v[120:121], v[76:77] neg_lo:[0,0,1] neg_hi:[0,0,1]
	v_pk_add_f32 v[82:83], v[82:83], v[206:207]
	v_pk_fma_f32 v[88:89], v[138:139], v[122:123], v[78:79] op_sel_hi:[1,0,1]
	v_pk_mul_f32 v[80:81], v[198:199], v[80:81] op_sel_hi:[1,0]
	v_mov_b32_e32 v77, v85
	s_wait_loadcnt 0x2
	v_pk_mul_f32 v[86:87], v[142:143], v[126:127] op_sel:[1,1] op_sel_hi:[0,1]
	v_pk_add_f32 v[74:75], v[82:83], v[74:75]
	v_mov_b32_e32 v82, v129
	v_pk_fma_f32 v[78:79], v[138:139], v[122:123], v[78:79] neg_lo:[0,0,1] neg_hi:[0,0,1]
	v_mov_b32_e32 v79, v89
	v_pk_fma_f32 v[84:85], v[140:141], v[124:125], v[80:81] op_sel_hi:[1,0,1]
	v_pk_add_f32 v[74:75], v[74:75], v[76:77]
	v_pk_fma_f32 v[76:77], v[142:143], v[126:127], v[86:87] op_sel_hi:[1,0,1]
	v_pk_mul_f32 v[82:83], v[200:201], v[82:83] op_sel_hi:[1,0]
	v_pk_fma_f32 v[80:81], v[140:141], v[124:125], v[80:81] neg_lo:[0,0,1] neg_hi:[0,0,1]
	v_mov_b32_e32 v81, v85
	v_pk_add_f32 v[74:75], v[74:75], v[78:79]
	v_pk_fma_f32 v[84:85], v[142:143], v[126:127], v[86:87] neg_lo:[0,0,1] neg_hi:[0,0,1]
	v_mov_b32_e32 v85, v77
	v_pk_fma_f32 v[76:77], v[144:145], v[128:129], v[82:83] op_sel_hi:[1,0,1]
	s_wait_loadcnt 0x1
	v_pk_mul_f32 v[78:79], v[146:147], v[130:131] op_sel:[1,1] op_sel_hi:[0,1]
	v_pk_add_f32 v[74:75], v[74:75], v[80:81]
	v_mov_b32_e32 v76, v133
	v_pk_fma_f32 v[82:83], v[144:145], v[128:129], v[82:83] neg_lo:[0,0,1] neg_hi:[0,0,1]
	v_mov_b32_e32 v83, v77
	v_pk_fma_f32 v[80:81], v[146:147], v[130:131], v[78:79] op_sel_hi:[1,0,1]
	v_pk_add_f32 v[74:75], v[74:75], v[84:85]
	v_pk_mul_f32 v[76:77], v[202:203], v[76:77] op_sel_hi:[1,0]
	v_pk_fma_f32 v[78:79], v[146:147], v[130:131], v[78:79] neg_lo:[0,0,1] neg_hi:[0,0,1]
	s_delay_alu instid0(VALU_DEP_4) | instskip(NEXT) | instid1(VALU_DEP_4)
	v_mov_b32_e32 v79, v81
	v_pk_add_f32 v[74:75], v[74:75], v[82:83]
	s_delay_alu instid0(VALU_DEP_4) | instskip(SKIP_1) | instid1(VALU_DEP_2)
	v_pk_fma_f32 v[80:81], v[148:149], v[132:133], v[76:77] op_sel_hi:[1,0,1]
	v_pk_fma_f32 v[76:77], v[148:149], v[132:133], v[76:77] neg_lo:[0,0,1] neg_hi:[0,0,1]
	v_mov_b32_e32 v77, v81
	s_delay_alu instid0(VALU_DEP_4) | instskip(NEXT) | instid1(VALU_DEP_1)
	v_pk_add_f32 v[74:75], v[74:75], v[78:79]
	v_pk_add_f32 v[74:75], v[74:75], v[76:77]
	s_wait_loadcnt 0x0
	s_delay_alu instid0(VALU_DEP_1)
	v_pk_add_f32 v[74:75], v[194:195], v[74:75] neg_lo:[0,1] neg_hi:[0,1]
	scratch_store_b64 off, v[74:75], off offset:40
	s_wait_xcnt 0x0
	v_cmpx_lt_u32_e32 4, v0
	s_cbranch_execz .LBB99_221
; %bb.220:
	scratch_load_b64 v[74:75], off, off offset:32
	v_mov_b64_e32 v[76:77], 0
	scratch_store_b64 off, v[76:77], off offset:32
	s_wait_loadcnt 0x0
	ds_store_b64 v1, v[74:75]
.LBB99_221:
	s_wait_xcnt 0x0
	s_or_b32 exec_lo, exec_lo, s0
	s_wait_storecnt_dscnt 0x0
	s_barrier_signal -1
	s_barrier_wait -1
	s_clause 0x10
	scratch_load_b128 v[74:77], off, off offset:40
	scratch_load_b128 v[78:81], off, off offset:56
	;; [unrolled: 1-line block ×15, first 2 shown]
	scratch_load_b64 v[194:195], off, off offset:280
	scratch_load_b64 v[196:197], off, off offset:32
	v_mov_b32_e32 v7, 0
	ds_load_2addr_b64 v[134:137], v7 offset0:63 offset1:64
	ds_load_2addr_b64 v[138:141], v7 offset0:65 offset1:66
	;; [unrolled: 1-line block ×15, first 2 shown]
	ds_load_b64 v[198:199], v7 offset:568
	s_mov_b32 s0, exec_lo
	s_wait_dscnt 0xf
	v_dual_mov_b32 v200, v137 :: v_dual_mov_b32 v201, v136
	s_wait_dscnt 0xc
	v_dual_mov_b32 v202, v141 :: v_dual_mov_b32 v207, v148
	v_dual_mov_b32 v203, v140 :: v_dual_mov_b32 v204, v145
	;; [unrolled: 1-line block ×3, first 2 shown]
	s_wait_loadcnt_dscnt 0x100b
	v_dual_mul_f32 v9, v150, v75 :: v_dual_mul_f32 v51, v151, v75
	v_dual_mul_f32 v53, v153, v77 :: v_dual_mul_f32 v11, v152, v77
	s_wait_loadcnt_dscnt 0xf09
	v_mul_f32_e32 v13, v158, v79
	s_wait_loadcnt_dscnt 0xd07
	v_dual_mul_f32 v63, v167, v87 :: v_dual_fma_f32 v51, v150, v74, -v51
	v_dual_fmac_f32 v9, v151, v74 :: v_dual_mul_f32 v65, v169, v89
	v_dual_mul_f32 v55, v159, v79 :: v_dual_mul_f32 v57, v161, v81
	v_dual_fmac_f32 v11, v153, v76 :: v_dual_fma_f32 v53, v152, v76, -v53
	s_delay_alu instid0(VALU_DEP_3) | instskip(SKIP_3) | instid1(VALU_DEP_3)
	v_dual_add_f32 v9, 0, v9 :: v_dual_add_f32 v51, 0, v51
	v_dual_mul_f32 v15, v160, v81 :: v_dual_mul_f32 v17, v162, v83
	s_wait_loadcnt_dscnt 0xc06
	v_dual_mul_f32 v67, v171, v91 :: v_dual_fma_f32 v55, v158, v78, -v55
	v_dual_fmac_f32 v13, v159, v78 :: v_dual_add_f32 v9, v9, v11
	s_delay_alu instid0(VALU_DEP_3) | instskip(SKIP_2) | instid1(VALU_DEP_3)
	v_dual_add_f32 v11, v51, v53 :: v_dual_fmac_f32 v15, v161, v80
	v_dual_mul_f32 v59, v163, v83 :: v_dual_mul_f32 v61, v165, v85
	v_dual_mul_f32 v51, v173, v93 :: v_dual_fma_f32 v53, v160, v80, -v57
	v_dual_add_f32 v9, v9, v13 :: v_dual_add_f32 v11, v11, v55
	v_dual_mul_f32 v19, v164, v85 :: v_dual_mul_f32 v21, v166, v87
	s_wait_loadcnt_dscnt 0xb05
	v_dual_mul_f32 v13, v175, v95 :: v_dual_fma_f32 v55, v162, v82, -v59
	s_delay_alu instid0(VALU_DEP_3) | instskip(NEXT) | instid1(VALU_DEP_3)
	v_dual_fmac_f32 v17, v163, v82 :: v_dual_add_f32 v9, v9, v15
	v_dual_add_f32 v11, v11, v53 :: v_dual_fmac_f32 v19, v165, v84
	v_dual_mul_f32 v15, v177, v97 :: v_dual_fma_f32 v53, v164, v84, -v61
	s_delay_alu instid0(VALU_DEP_2) | instskip(SKIP_3) | instid1(VALU_DEP_3)
	v_dual_add_f32 v9, v9, v17 :: v_dual_add_f32 v11, v11, v55
	v_dual_mul_f32 v23, v168, v89 :: v_dual_mul_f32 v25, v170, v91
	s_wait_loadcnt_dscnt 0xa04
	v_dual_mul_f32 v17, v179, v99 :: v_dual_fma_f32 v55, v166, v86, -v63
	v_dual_fmac_f32 v21, v167, v86 :: v_dual_add_f32 v9, v9, v19
	s_delay_alu instid0(VALU_DEP_3) | instskip(SKIP_1) | instid1(VALU_DEP_2)
	v_dual_add_f32 v11, v11, v53 :: v_dual_fmac_f32 v23, v169, v88
	v_dual_mul_f32 v19, v181, v101 :: v_dual_fma_f32 v53, v168, v88, -v65
	v_dual_add_f32 v9, v9, v21 :: v_dual_add_f32 v11, v11, v55
	v_dual_mul_f32 v27, v172, v93 :: v_dual_mul_f32 v29, v174, v95
	s_wait_loadcnt_dscnt 0x903
	v_dual_mul_f32 v21, v183, v103 :: v_dual_fma_f32 v55, v170, v90, -v67
	s_delay_alu instid0(VALU_DEP_3) | instskip(NEXT) | instid1(VALU_DEP_3)
	v_dual_fmac_f32 v25, v171, v90 :: v_dual_add_f32 v9, v9, v23
	v_dual_add_f32 v11, v11, v53 :: v_dual_fmac_f32 v27, v173, v92
	v_dual_mul_f32 v23, v185, v105 :: v_dual_fma_f32 v51, v172, v92, -v51
	s_delay_alu instid0(VALU_DEP_2) | instskip(SKIP_3) | instid1(VALU_DEP_3)
	v_dual_add_f32 v9, v9, v25 :: v_dual_add_f32 v11, v11, v55
	v_dual_mul_f32 v31, v176, v97 :: v_dual_mul_f32 v33, v178, v99
	s_wait_loadcnt_dscnt 0x802
	v_dual_mul_f32 v25, v187, v107 :: v_dual_fma_f32 v13, v174, v94, -v13
	v_dual_fmac_f32 v29, v175, v94 :: v_dual_add_f32 v9, v9, v27
	v_dual_add_f32 v11, v11, v51 :: v_dual_mul_f32 v27, v189, v109
	v_fmac_f32_e32 v31, v177, v96
	s_delay_alu instid0(VALU_DEP_3) | instskip(NEXT) | instid1(VALU_DEP_3)
	v_dual_fma_f32 v15, v176, v96, -v15 :: v_dual_add_f32 v9, v9, v29
	v_add_f32_e32 v11, v11, v13
	v_dual_mul_f32 v35, v180, v101 :: v_dual_mul_f32 v37, v182, v103
	s_wait_loadcnt_dscnt 0x701
	v_dual_mul_f32 v13, v191, v111 :: v_dual_fma_f32 v17, v178, v98, -v17
	v_dual_fmac_f32 v33, v179, v98 :: v_dual_add_f32 v9, v9, v31
	v_dual_add_f32 v11, v11, v15 :: v_dual_mul_f32 v15, v193, v113
	v_fmac_f32_e32 v35, v181, v100
	s_delay_alu instid0(VALU_DEP_3) | instskip(NEXT) | instid1(VALU_DEP_3)
	v_dual_fma_f32 v19, v180, v100, -v19 :: v_dual_add_f32 v9, v9, v33
	v_add_f32_e32 v11, v11, v17
	v_dual_mul_f32 v39, v184, v105 :: v_dual_mul_f32 v41, v186, v107
	s_wait_loadcnt 0x6
	v_dual_mul_f32 v17, v155, v115 :: v_dual_fma_f32 v21, v182, v102, -v21
	v_dual_fmac_f32 v37, v183, v102 :: v_dual_add_f32 v9, v9, v35
	v_dual_add_f32 v11, v11, v19 :: v_dual_mul_f32 v19, v157, v117
	v_fmac_f32_e32 v39, v185, v104
	s_delay_alu instid0(VALU_DEP_3) | instskip(NEXT) | instid1(VALU_DEP_3)
	v_dual_fma_f32 v23, v184, v104, -v23 :: v_dual_add_f32 v9, v9, v37
	v_add_f32_e32 v11, v11, v21
	v_dual_mul_f32 v43, v188, v109 :: v_dual_mul_f32 v45, v190, v111
	s_wait_loadcnt 0x5
	v_dual_mul_f32 v21, v135, v119 :: v_dual_fma_f32 v25, v186, v106, -v25
	v_dual_fmac_f32 v41, v187, v106 :: v_dual_add_f32 v9, v9, v39
	v_dual_add_f32 v11, v11, v23 :: v_dual_mov_b32 v74, v121
	v_fmac_f32_e32 v43, v189, v108
	s_delay_alu instid0(VALU_DEP_3) | instskip(NEXT) | instid1(VALU_DEP_3)
	v_dual_fma_f32 v23, v188, v108, -v27 :: v_dual_add_f32 v9, v9, v41
	v_add_f32_e32 v11, v11, v25
	v_dual_mul_f32 v47, v192, v113 :: v_dual_mul_f32 v49, v154, v115
	s_delay_alu instid0(VALU_DEP_3) | instskip(NEXT) | instid1(VALU_DEP_3)
	v_dual_fmac_f32 v45, v191, v110 :: v_dual_add_f32 v9, v9, v43
	v_dual_fma_f32 v13, v190, v110, -v13 :: v_dual_add_f32 v11, v11, v23
	s_wait_loadcnt 0x4
	v_dual_mov_b32 v78, v125 :: v_dual_fma_f32 v15, v192, v112, -v15
	v_fmac_f32_e32 v47, v193, v112
	v_dual_add_f32 v9, v9, v45 :: v_dual_fmac_f32 v49, v155, v114
	v_add_f32_e32 v11, v11, v13
	v_dual_mul_f32 v209, v156, v117 :: v_dual_mul_f32 v211, v134, v119
	s_delay_alu instid0(VALU_DEP_3) | instskip(NEXT) | instid1(VALU_DEP_2)
	v_dual_fma_f32 v13, v154, v114, -v17 :: v_dual_add_f32 v9, v9, v47
	v_dual_add_f32 v11, v11, v15 :: v_dual_fmac_f32 v209, v157, v116
	v_fma_f32 v208, v156, v116, -v19
	v_pk_mul_f32 v[74:75], v[200:201], v[74:75] op_sel_hi:[1,0]
	s_delay_alu instid0(VALU_DEP_4)
	v_add_f32_e32 v83, v9, v49
	s_wait_loadcnt 0x3
	v_dual_add_f32 v82, v11, v13 :: v_dual_mov_b32 v84, v129
	v_pk_mul_f32 v[76:77], v[138:139], v[122:123] op_sel:[1,1] op_sel_hi:[0,1]
	v_dual_fmac_f32 v211, v135, v118 :: v_dual_fma_f32 v210, v134, v118, -v21
	v_pk_fma_f32 v[86:87], v[136:137], v[120:121], v[74:75] op_sel_hi:[1,0,1]
	s_delay_alu instid0(VALU_DEP_4)
	v_pk_add_f32 v[82:83], v[82:83], v[208:209]
	v_pk_fma_f32 v[74:75], v[136:137], v[120:121], v[74:75] neg_lo:[0,0,1] neg_hi:[0,0,1]
	v_pk_fma_f32 v[88:89], v[138:139], v[122:123], v[76:77] op_sel_hi:[1,0,1]
	v_pk_mul_f32 v[78:79], v[202:203], v[78:79] op_sel_hi:[1,0]
	v_mov_b32_e32 v75, v87
	v_pk_add_f32 v[82:83], v[82:83], v[210:211]
	v_pk_fma_f32 v[76:77], v[138:139], v[122:123], v[76:77] neg_lo:[0,0,1] neg_hi:[0,0,1]
	v_pk_mul_f32 v[80:81], v[142:143], v[126:127] op_sel:[1,1] op_sel_hi:[0,1]
	v_mov_b32_e32 v77, v89
	v_pk_fma_f32 v[88:89], v[140:141], v[124:125], v[78:79] op_sel_hi:[1,0,1]
	v_pk_add_f32 v[74:75], v[82:83], v[74:75]
	v_pk_fma_f32 v[78:79], v[140:141], v[124:125], v[78:79] neg_lo:[0,0,1] neg_hi:[0,0,1]
	v_pk_fma_f32 v[82:83], v[142:143], v[126:127], v[80:81] op_sel_hi:[1,0,1]
	v_pk_mul_f32 v[84:85], v[204:205], v[84:85] op_sel_hi:[1,0]
	v_mov_b32_e32 v79, v89
	v_pk_add_f32 v[74:75], v[74:75], v[76:77]
	v_pk_fma_f32 v[80:81], v[142:143], v[126:127], v[80:81] neg_lo:[0,0,1] neg_hi:[0,0,1]
	s_wait_loadcnt 0x2
	v_pk_mul_f32 v[86:87], v[146:147], v[130:131] op_sel:[1,1] op_sel_hi:[0,1]
	v_dual_mov_b32 v76, v133 :: v_dual_mov_b32 v81, v83
	v_pk_fma_f32 v[82:83], v[144:145], v[128:129], v[84:85] op_sel_hi:[1,0,1]
	v_pk_add_f32 v[74:75], v[74:75], v[78:79]
	v_pk_fma_f32 v[84:85], v[144:145], v[128:129], v[84:85] neg_lo:[0,0,1] neg_hi:[0,0,1]
	v_pk_fma_f32 v[78:79], v[146:147], v[130:131], v[86:87] op_sel_hi:[1,0,1]
	v_pk_mul_f32 v[76:77], v[206:207], v[76:77] op_sel_hi:[1,0]
	v_mov_b32_e32 v85, v83
	v_pk_add_f32 v[74:75], v[74:75], v[80:81]
	v_pk_fma_f32 v[80:81], v[146:147], v[130:131], v[86:87] neg_lo:[0,0,1] neg_hi:[0,0,1]
	v_mov_b32_e32 v81, v79
	v_pk_fma_f32 v[78:79], v[148:149], v[132:133], v[76:77] op_sel_hi:[1,0,1]
	s_wait_loadcnt_dscnt 0x100
	v_pk_mul_f32 v[82:83], v[198:199], v[194:195] op_sel:[1,1] op_sel_hi:[0,1]
	v_pk_add_f32 v[74:75], v[74:75], v[84:85]
	v_pk_fma_f32 v[76:77], v[148:149], v[132:133], v[76:77] neg_lo:[0,0,1] neg_hi:[0,0,1]
	v_mov_b32_e32 v77, v79
	s_delay_alu instid0(VALU_DEP_4) | instskip(NEXT) | instid1(VALU_DEP_4)
	v_pk_fma_f32 v[78:79], v[198:199], v[194:195], v[82:83] op_sel_hi:[1,0,1]
	v_pk_add_f32 v[74:75], v[74:75], v[80:81]
	v_pk_fma_f32 v[80:81], v[198:199], v[194:195], v[82:83] neg_lo:[0,0,1] neg_hi:[0,0,1]
	s_delay_alu instid0(VALU_DEP_3) | instskip(NEXT) | instid1(VALU_DEP_3)
	v_mov_b32_e32 v81, v79
	v_pk_add_f32 v[74:75], v[74:75], v[76:77]
	s_delay_alu instid0(VALU_DEP_1) | instskip(SKIP_1) | instid1(VALU_DEP_1)
	v_pk_add_f32 v[74:75], v[74:75], v[80:81]
	s_wait_loadcnt 0x0
	v_pk_add_f32 v[74:75], v[196:197], v[74:75] neg_lo:[0,1] neg_hi:[0,1]
	scratch_store_b64 off, v[74:75], off offset:32
	s_wait_xcnt 0x0
	v_cmpx_lt_u32_e32 3, v0
	s_cbranch_execz .LBB99_223
; %bb.222:
	scratch_load_b64 v[74:75], off, off offset:24
	v_mov_b64_e32 v[76:77], 0
	scratch_store_b64 off, v[76:77], off offset:24
	s_wait_loadcnt 0x0
	ds_store_b64 v1, v[74:75]
.LBB99_223:
	s_wait_xcnt 0x0
	s_or_b32 exec_lo, exec_lo, s0
	s_wait_storecnt_dscnt 0x0
	s_barrier_signal -1
	s_barrier_wait -1
	s_clause 0x10
	scratch_load_b128 v[74:77], off, off offset:32
	scratch_load_b128 v[78:81], off, off offset:48
	;; [unrolled: 1-line block ×16, first 2 shown]
	scratch_load_b64 v[202:203], off, off offset:24
	ds_load_b128 v[138:141], v7 offset:512
	ds_load_b128 v[142:145], v7 offset:528
	;; [unrolled: 1-line block ×16, first 2 shown]
	s_mov_b32 s0, exec_lo
	s_wait_dscnt 0xf
	v_dual_mov_b32 v204, v141 :: v_dual_mov_b32 v205, v140
	s_wait_dscnt 0xe
	v_dual_mov_b32 v206, v145 :: v_dual_mov_b32 v207, v144
	;; [unrolled: 2-line block ×4, first 2 shown]
	s_wait_loadcnt_dscnt 0x100b
	v_dual_mul_f32 v7, v154, v75 :: v_dual_mul_f32 v9, v156, v77
	v_dual_mul_f32 v51, v155, v75 :: v_dual_mul_f32 v53, v157, v77
	s_wait_loadcnt_dscnt 0xf0a
	v_dual_mul_f32 v11, v158, v79 :: v_dual_mul_f32 v13, v160, v81
	s_delay_alu instid0(VALU_DEP_3) | instskip(SKIP_3) | instid1(VALU_DEP_3)
	v_dual_fmac_f32 v7, v155, v74 :: v_dual_fmac_f32 v9, v157, v76
	s_wait_loadcnt_dscnt 0xd08
	v_dual_fma_f32 v51, v154, v74, -v51 :: v_dual_mul_f32 v63, v167, v87
	v_dual_mul_f32 v55, v159, v79 :: v_dual_mul_f32 v57, v161, v81
	v_dual_fma_f32 v53, v156, v76, -v53 :: v_dual_add_f32 v7, 0, v7
	s_delay_alu instid0(VALU_DEP_3) | instskip(SKIP_1) | instid1(VALU_DEP_3)
	v_dual_add_f32 v51, 0, v51 :: v_dual_mul_f32 v65, v169, v89
	v_dual_fmac_f32 v11, v159, v78 :: v_dual_fmac_f32 v13, v161, v80
	v_dual_fma_f32 v55, v158, v78, -v55 :: v_dual_add_f32 v7, v7, v9
	s_delay_alu instid0(VALU_DEP_3) | instskip(SKIP_2) | instid1(VALU_DEP_4)
	v_dual_add_f32 v9, v51, v53 :: v_dual_fma_f32 v53, v160, v80, -v57
	v_dual_mul_f32 v15, v162, v83 :: v_dual_mul_f32 v17, v164, v85
	v_dual_mul_f32 v59, v163, v83 :: v_dual_mul_f32 v61, v165, v85
	v_add_f32_e32 v7, v7, v11
	s_delay_alu instid0(VALU_DEP_3) | instskip(NEXT) | instid1(VALU_DEP_3)
	v_dual_add_f32 v9, v9, v55 :: v_dual_fmac_f32 v15, v163, v82
	v_fma_f32 v55, v162, v82, -v59
	v_dual_mul_f32 v19, v166, v87 :: v_dual_mul_f32 v21, v168, v89
	s_delay_alu instid0(VALU_DEP_4) | instskip(SKIP_2) | instid1(VALU_DEP_2)
	v_dual_add_f32 v7, v7, v13 :: v_dual_fmac_f32 v17, v165, v84
	s_wait_loadcnt_dscnt 0xb06
	v_dual_add_f32 v9, v9, v53 :: v_dual_mul_f32 v13, v175, v95
	v_dual_fma_f32 v53, v164, v84, -v61 :: v_dual_add_f32 v7, v7, v15
	v_mul_f32_e32 v15, v177, v97
	s_delay_alu instid0(VALU_DEP_3) | instskip(NEXT) | instid1(VALU_DEP_3)
	v_dual_add_f32 v9, v9, v55 :: v_dual_fmac_f32 v19, v167, v86
	v_dual_fma_f32 v55, v166, v86, -v63 :: v_dual_add_f32 v7, v7, v17
	v_fmac_f32_e32 v21, v169, v88
	s_wait_loadcnt_dscnt 0xa05
	s_delay_alu instid0(VALU_DEP_3) | instskip(SKIP_3) | instid1(VALU_DEP_3)
	v_dual_add_f32 v9, v9, v53 :: v_dual_mul_f32 v17, v179, v99
	v_dual_mul_f32 v23, v170, v91 :: v_dual_mul_f32 v25, v172, v93
	v_dual_mul_f32 v51, v171, v91 :: v_dual_mul_f32 v11, v173, v93
	v_dual_fma_f32 v53, v168, v88, -v65 :: v_dual_add_f32 v7, v7, v19
	v_dual_add_f32 v9, v9, v55 :: v_dual_fmac_f32 v23, v171, v90
	s_delay_alu instid0(VALU_DEP_3) | instskip(NEXT) | instid1(VALU_DEP_3)
	v_dual_mul_f32 v19, v181, v101 :: v_dual_fma_f32 v51, v170, v90, -v51
	v_dual_add_f32 v7, v7, v21 :: v_dual_fmac_f32 v25, v173, v92
	s_wait_loadcnt_dscnt 0x904
	s_delay_alu instid0(VALU_DEP_3) | instskip(SKIP_1) | instid1(VALU_DEP_3)
	v_dual_add_f32 v9, v9, v53 :: v_dual_mul_f32 v21, v183, v103
	v_dual_mul_f32 v27, v174, v95 :: v_dual_mul_f32 v29, v176, v97
	v_dual_fma_f32 v11, v172, v92, -v11 :: v_dual_add_f32 v7, v7, v23
	s_delay_alu instid0(VALU_DEP_2) | instskip(SKIP_1) | instid1(VALU_DEP_2)
	v_dual_add_f32 v9, v9, v51 :: v_dual_fmac_f32 v27, v175, v94
	v_dual_mul_f32 v23, v185, v105 :: v_dual_fma_f32 v13, v174, v94, -v13
	v_dual_add_f32 v7, v7, v25 :: v_dual_add_f32 v9, v9, v11
	v_dual_mul_f32 v31, v178, v99 :: v_dual_mul_f32 v33, v180, v101
	s_wait_loadcnt_dscnt 0x803
	v_dual_mul_f32 v11, v187, v107 :: v_dual_fmac_f32 v29, v177, v96
	s_delay_alu instid0(VALU_DEP_3) | instskip(NEXT) | instid1(VALU_DEP_3)
	v_dual_fma_f32 v15, v176, v96, -v15 :: v_dual_add_f32 v7, v7, v27
	v_dual_add_f32 v9, v9, v13 :: v_dual_fmac_f32 v31, v179, v98
	v_dual_mul_f32 v13, v189, v109 :: v_dual_fma_f32 v17, v178, v98, -v17
	s_delay_alu instid0(VALU_DEP_2) | instskip(SKIP_3) | instid1(VALU_DEP_3)
	v_dual_add_f32 v7, v7, v29 :: v_dual_add_f32 v9, v9, v15
	v_dual_mul_f32 v35, v182, v103 :: v_dual_mul_f32 v37, v184, v105
	s_wait_loadcnt_dscnt 0x702
	v_dual_mul_f32 v15, v191, v111 :: v_dual_fmac_f32 v33, v181, v100
	v_dual_fma_f32 v19, v180, v100, -v19 :: v_dual_add_f32 v7, v7, v31
	s_delay_alu instid0(VALU_DEP_3) | instskip(SKIP_1) | instid1(VALU_DEP_2)
	v_dual_add_f32 v9, v9, v17 :: v_dual_fmac_f32 v35, v183, v102
	v_dual_mul_f32 v17, v193, v113 :: v_dual_fma_f32 v21, v182, v102, -v21
	v_dual_add_f32 v7, v7, v33 :: v_dual_add_f32 v9, v9, v19
	v_dual_mul_f32 v39, v186, v107 :: v_dual_mul_f32 v41, v188, v109
	s_wait_loadcnt_dscnt 0x601
	v_dual_mul_f32 v19, v195, v115 :: v_dual_fmac_f32 v37, v185, v104
	s_delay_alu instid0(VALU_DEP_3) | instskip(NEXT) | instid1(VALU_DEP_3)
	v_dual_fma_f32 v23, v184, v104, -v23 :: v_dual_add_f32 v7, v7, v35
	v_dual_add_f32 v9, v9, v21 :: v_dual_fmac_f32 v39, v187, v106
	v_dual_mul_f32 v21, v197, v117 :: v_dual_fma_f32 v11, v186, v106, -v11
	s_delay_alu instid0(VALU_DEP_2) | instskip(SKIP_3) | instid1(VALU_DEP_3)
	v_dual_add_f32 v7, v7, v37 :: v_dual_add_f32 v9, v9, v23
	v_dual_mul_f32 v43, v190, v111 :: v_dual_mul_f32 v45, v192, v113
	s_wait_loadcnt_dscnt 0x500
	v_dual_mul_f32 v23, v199, v119 :: v_dual_fmac_f32 v41, v189, v108
	v_dual_fma_f32 v13, v188, v108, -v13 :: v_dual_add_f32 v7, v7, v39
	s_delay_alu instid0(VALU_DEP_3) | instskip(SKIP_1) | instid1(VALU_DEP_3)
	v_dual_add_f32 v9, v9, v11 :: v_dual_fmac_f32 v43, v191, v110
	v_dual_mul_f32 v11, v201, v121 :: v_dual_fma_f32 v15, v190, v110, -v15
	v_dual_add_f32 v7, v7, v41 :: v_dual_fmac_f32 v45, v193, v112
	s_delay_alu instid0(VALU_DEP_3) | instskip(SKIP_2) | instid1(VALU_DEP_3)
	v_dual_add_f32 v9, v9, v13 :: v_dual_fma_f32 v13, v192, v112, -v17
	v_dual_mul_f32 v47, v194, v115 :: v_dual_mul_f32 v49, v196, v117
	s_wait_loadcnt 0x4
	v_dual_add_f32 v7, v7, v43 :: v_dual_mov_b32 v76, v125
	s_delay_alu instid0(VALU_DEP_2) | instskip(NEXT) | instid1(VALU_DEP_2)
	v_dual_add_f32 v9, v9, v15 :: v_dual_fmac_f32 v47, v195, v114
	v_dual_fma_f32 v15, v194, v114, -v19 :: v_dual_add_f32 v7, v7, v45
	v_dual_mul_f32 v213, v198, v119 :: v_dual_mul_f32 v215, v200, v121
	s_delay_alu instid0(VALU_DEP_3) | instskip(NEXT) | instid1(VALU_DEP_3)
	v_dual_add_f32 v9, v9, v13 :: v_dual_fma_f32 v13, v196, v116, -v21
	v_dual_fmac_f32 v49, v197, v116 :: v_dual_add_f32 v7, v7, v47
	v_pk_mul_f32 v[74:75], v[138:139], v[122:123] op_sel:[1,1] op_sel_hi:[0,1]
	s_delay_alu instid0(VALU_DEP_3) | instskip(SKIP_3) | instid1(VALU_DEP_3)
	v_dual_add_f32 v9, v9, v15 :: v_dual_fmac_f32 v213, v199, v118
	s_wait_loadcnt 0x3
	v_dual_mov_b32 v80, v129 :: v_dual_fma_f32 v212, v198, v118, -v23
	v_dual_add_f32 v83, v7, v49 :: v_dual_fmac_f32 v215, v201, v120
	v_dual_add_f32 v82, v9, v13 :: v_dual_fma_f32 v214, v200, v120, -v11
	v_pk_fma_f32 v[84:85], v[138:139], v[122:123], v[74:75] op_sel_hi:[1,0,1]
	v_pk_mul_f32 v[76:77], v[204:205], v[76:77] op_sel_hi:[1,0]
	v_pk_fma_f32 v[74:75], v[138:139], v[122:123], v[74:75] neg_lo:[0,0,1] neg_hi:[0,0,1]
	s_delay_alu instid0(VALU_DEP_4)
	v_pk_add_f32 v[82:83], v[82:83], v[212:213]
	v_pk_mul_f32 v[78:79], v[142:143], v[126:127] op_sel:[1,1] op_sel_hi:[0,1]
	v_mov_b32_e32 v75, v85
	v_pk_fma_f32 v[84:85], v[140:141], v[124:125], v[76:77] op_sel_hi:[1,0,1]
	v_pk_fma_f32 v[76:77], v[140:141], v[124:125], v[76:77] neg_lo:[0,0,1] neg_hi:[0,0,1]
	v_pk_add_f32 v[82:83], v[82:83], v[214:215]
	v_pk_fma_f32 v[88:89], v[142:143], v[126:127], v[78:79] op_sel_hi:[1,0,1]
	v_pk_mul_f32 v[80:81], v[206:207], v[80:81] op_sel_hi:[1,0]
	v_mov_b32_e32 v77, v85
	s_wait_loadcnt 0x2
	v_pk_mul_f32 v[86:87], v[146:147], v[130:131] op_sel:[1,1] op_sel_hi:[0,1]
	v_pk_add_f32 v[74:75], v[82:83], v[74:75]
	v_mov_b32_e32 v82, v133
	v_pk_fma_f32 v[78:79], v[142:143], v[126:127], v[78:79] neg_lo:[0,0,1] neg_hi:[0,0,1]
	v_mov_b32_e32 v79, v89
	v_pk_fma_f32 v[84:85], v[144:145], v[128:129], v[80:81] op_sel_hi:[1,0,1]
	v_pk_add_f32 v[74:75], v[74:75], v[76:77]
	v_pk_fma_f32 v[76:77], v[146:147], v[130:131], v[86:87] op_sel_hi:[1,0,1]
	v_pk_mul_f32 v[82:83], v[208:209], v[82:83] op_sel_hi:[1,0]
	v_pk_fma_f32 v[80:81], v[144:145], v[128:129], v[80:81] neg_lo:[0,0,1] neg_hi:[0,0,1]
	v_mov_b32_e32 v81, v85
	v_pk_add_f32 v[74:75], v[74:75], v[78:79]
	v_pk_fma_f32 v[84:85], v[146:147], v[130:131], v[86:87] neg_lo:[0,0,1] neg_hi:[0,0,1]
	v_mov_b32_e32 v85, v77
	v_pk_fma_f32 v[76:77], v[148:149], v[132:133], v[82:83] op_sel_hi:[1,0,1]
	s_wait_loadcnt 0x1
	v_pk_mul_f32 v[78:79], v[150:151], v[134:135] op_sel:[1,1] op_sel_hi:[0,1]
	v_pk_add_f32 v[74:75], v[74:75], v[80:81]
	v_mov_b32_e32 v76, v137
	v_pk_fma_f32 v[82:83], v[148:149], v[132:133], v[82:83] neg_lo:[0,0,1] neg_hi:[0,0,1]
	v_mov_b32_e32 v83, v77
	v_pk_fma_f32 v[80:81], v[150:151], v[134:135], v[78:79] op_sel_hi:[1,0,1]
	v_pk_add_f32 v[74:75], v[74:75], v[84:85]
	v_pk_mul_f32 v[76:77], v[210:211], v[76:77] op_sel_hi:[1,0]
	v_pk_fma_f32 v[78:79], v[150:151], v[134:135], v[78:79] neg_lo:[0,0,1] neg_hi:[0,0,1]
	s_delay_alu instid0(VALU_DEP_4) | instskip(NEXT) | instid1(VALU_DEP_4)
	v_mov_b32_e32 v79, v81
	v_pk_add_f32 v[74:75], v[74:75], v[82:83]
	s_delay_alu instid0(VALU_DEP_4) | instskip(SKIP_1) | instid1(VALU_DEP_2)
	v_pk_fma_f32 v[80:81], v[152:153], v[136:137], v[76:77] op_sel_hi:[1,0,1]
	v_pk_fma_f32 v[76:77], v[152:153], v[136:137], v[76:77] neg_lo:[0,0,1] neg_hi:[0,0,1]
	v_mov_b32_e32 v77, v81
	s_delay_alu instid0(VALU_DEP_4) | instskip(NEXT) | instid1(VALU_DEP_1)
	v_pk_add_f32 v[74:75], v[74:75], v[78:79]
	v_pk_add_f32 v[74:75], v[74:75], v[76:77]
	s_wait_loadcnt 0x0
	s_delay_alu instid0(VALU_DEP_1)
	v_pk_add_f32 v[74:75], v[202:203], v[74:75] neg_lo:[0,1] neg_hi:[0,1]
	scratch_store_b64 off, v[74:75], off offset:24
	s_wait_xcnt 0x0
	v_cmpx_lt_u32_e32 2, v0
	s_cbranch_execz .LBB99_225
; %bb.224:
	scratch_load_b64 v[74:75], off, off offset:16
	v_mov_b64_e32 v[76:77], 0
	scratch_store_b64 off, v[76:77], off offset:16
	s_wait_loadcnt 0x0
	ds_store_b64 v1, v[74:75]
.LBB99_225:
	s_wait_xcnt 0x0
	s_or_b32 exec_lo, exec_lo, s0
	s_wait_storecnt_dscnt 0x0
	s_barrier_signal -1
	s_barrier_wait -1
	s_clause 0x11
	scratch_load_b128 v[74:77], off, off offset:24
	scratch_load_b128 v[78:81], off, off offset:40
	;; [unrolled: 1-line block ×16, first 2 shown]
	scratch_load_b64 v[202:203], off, off offset:280
	scratch_load_b64 v[204:205], off, off offset:16
	v_mov_b32_e32 v53, 0
	ds_load_2addr_b64 v[138:141], v53 offset0:63 offset1:64
	ds_load_2addr_b64 v[142:145], v53 offset0:65 offset1:66
	;; [unrolled: 1-line block ×16, first 2 shown]
	ds_load_b64 v[206:207], v53 offset:568
	s_mov_b32 s0, exec_lo
	s_wait_dscnt 0x10
	v_dual_mov_b32 v208, v141 :: v_dual_mov_b32 v209, v140
	s_wait_dscnt 0xd
	v_dual_mov_b32 v210, v145 :: v_dual_mov_b32 v215, v152
	v_dual_mov_b32 v211, v144 :: v_dual_mov_b32 v212, v149
	;; [unrolled: 1-line block ×3, first 2 shown]
	s_wait_loadcnt_dscnt 0x110c
	v_dual_mul_f32 v7, v154, v75 :: v_dual_mul_f32 v55, v155, v75
	v_dual_mul_f32 v57, v157, v77 :: v_dual_mul_f32 v9, v156, v77
	s_wait_loadcnt_dscnt 0x100b
	v_mul_f32_e32 v11, v158, v79
	s_wait_loadcnt_dscnt 0xe09
	v_dual_mul_f32 v67, v167, v87 :: v_dual_fma_f32 v55, v154, v74, -v55
	v_dual_fmac_f32 v7, v155, v74 :: v_dual_mul_f32 v69, v169, v89
	v_dual_mul_f32 v59, v159, v79 :: v_dual_mul_f32 v61, v161, v81
	s_delay_alu instid0(VALU_DEP_2) | instskip(NEXT) | instid1(VALU_DEP_4)
	v_dual_fmac_f32 v9, v157, v76 :: v_dual_add_f32 v7, 0, v7
	v_dual_fma_f32 v57, v156, v76, -v57 :: v_dual_add_f32 v55, 0, v55
	v_dual_mul_f32 v13, v160, v81 :: v_dual_mul_f32 v15, v162, v83
	s_wait_loadcnt_dscnt 0xd08
	v_dual_mul_f32 v71, v171, v91 :: v_dual_fma_f32 v59, v158, v78, -v59
	v_fmac_f32_e32 v11, v159, v78
	s_delay_alu instid0(VALU_DEP_3) | instskip(SKIP_2) | instid1(VALU_DEP_3)
	v_dual_add_f32 v7, v7, v9 :: v_dual_fmac_f32 v13, v161, v80
	v_dual_add_f32 v9, v55, v57 :: v_dual_fma_f32 v57, v160, v80, -v61
	v_dual_mul_f32 v63, v163, v83 :: v_dual_mul_f32 v65, v165, v85
	v_dual_mul_f32 v55, v173, v93 :: v_dual_add_f32 v7, v7, v11
	s_delay_alu instid0(VALU_DEP_3) | instskip(SKIP_2) | instid1(VALU_DEP_2)
	v_dual_add_f32 v9, v9, v59 :: v_dual_fmac_f32 v15, v163, v82
	v_dual_mul_f32 v17, v164, v85 :: v_dual_mul_f32 v19, v166, v87
	s_wait_loadcnt_dscnt 0xc07
	v_dual_mul_f32 v11, v175, v95 :: v_dual_add_f32 v9, v9, v57
	v_dual_fma_f32 v59, v162, v82, -v63 :: v_dual_add_f32 v7, v7, v13
	s_delay_alu instid0(VALU_DEP_3) | instskip(SKIP_1) | instid1(VALU_DEP_3)
	v_fmac_f32_e32 v17, v165, v84
	v_dual_mul_f32 v13, v177, v97 :: v_dual_fma_f32 v57, v164, v84, -v65
	v_dual_add_f32 v9, v9, v59 :: v_dual_fmac_f32 v19, v167, v86
	s_delay_alu instid0(VALU_DEP_4) | instskip(SKIP_2) | instid1(VALU_DEP_3)
	v_dual_add_f32 v7, v7, v15 :: v_dual_fma_f32 v59, v166, v86, -v67
	v_dual_mul_f32 v21, v168, v89 :: v_dual_mul_f32 v23, v170, v91
	s_wait_loadcnt_dscnt 0xb06
	v_dual_mul_f32 v15, v179, v99 :: v_dual_add_f32 v9, v9, v57
	s_delay_alu instid0(VALU_DEP_2) | instskip(SKIP_1) | instid1(VALU_DEP_3)
	v_dual_add_f32 v7, v7, v17 :: v_dual_fmac_f32 v21, v169, v88
	v_dual_mul_f32 v17, v181, v101 :: v_dual_fma_f32 v57, v168, v88, -v69
	v_dual_add_f32 v9, v9, v59 :: v_dual_fmac_f32 v23, v171, v90
	s_delay_alu instid0(VALU_DEP_3) | instskip(SKIP_2) | instid1(VALU_DEP_3)
	v_dual_add_f32 v7, v7, v19 :: v_dual_fma_f32 v59, v170, v90, -v71
	v_dual_mul_f32 v25, v172, v93 :: v_dual_mul_f32 v27, v174, v95
	s_wait_loadcnt_dscnt 0xa05
	v_dual_mul_f32 v19, v183, v103 :: v_dual_add_f32 v9, v9, v57
	s_delay_alu instid0(VALU_DEP_2) | instskip(SKIP_1) | instid1(VALU_DEP_3)
	v_dual_add_f32 v7, v7, v21 :: v_dual_fmac_f32 v25, v173, v92
	v_dual_mul_f32 v21, v185, v105 :: v_dual_fma_f32 v55, v172, v92, -v55
	v_dual_add_f32 v9, v9, v59 :: v_dual_fmac_f32 v27, v175, v94
	s_delay_alu instid0(VALU_DEP_3) | instskip(SKIP_1) | instid1(VALU_DEP_2)
	v_dual_add_f32 v7, v7, v23 :: v_dual_fma_f32 v11, v174, v94, -v11
	v_dual_mul_f32 v29, v176, v97 :: v_dual_mul_f32 v31, v178, v99
	v_dual_add_f32 v9, v9, v55 :: v_dual_add_f32 v7, v7, v25
	v_fma_f32 v13, v176, v96, -v13
	s_delay_alu instid0(VALU_DEP_3) | instskip(SKIP_1) | instid1(VALU_DEP_4)
	v_dual_fmac_f32 v29, v177, v96 :: v_dual_mul_f32 v33, v180, v101
	v_mul_f32_e32 v35, v182, v103
	v_add_f32_e32 v7, v7, v27
	v_add_f32_e32 v9, v9, v11
	s_wait_loadcnt_dscnt 0x803
	v_dual_mul_f32 v11, v191, v111 :: v_dual_fma_f32 v15, v178, v98, -v15
	v_fmac_f32_e32 v31, v179, v98
	v_dual_add_f32 v7, v7, v29 :: v_dual_fmac_f32 v33, v181, v100
	v_add_f32_e32 v9, v9, v13
	v_dual_mul_f32 v13, v193, v113 :: v_dual_fma_f32 v17, v180, v100, -v17
	s_delay_alu instid0(VALU_DEP_3) | instskip(NEXT) | instid1(VALU_DEP_3)
	v_dual_add_f32 v7, v7, v31 :: v_dual_fma_f32 v19, v182, v102, -v19
	v_dual_add_f32 v9, v9, v15 :: v_dual_fmac_f32 v35, v183, v102
	v_dual_mul_f32 v37, v184, v105 :: v_dual_mul_f32 v39, v186, v107
	s_wait_loadcnt_dscnt 0x702
	s_delay_alu instid0(VALU_DEP_2) | instskip(NEXT) | instid1(VALU_DEP_2)
	v_dual_mul_f32 v15, v195, v115 :: v_dual_add_f32 v9, v9, v17
	v_dual_add_f32 v7, v7, v33 :: v_dual_fmac_f32 v37, v185, v104
	v_dual_mul_f32 v23, v187, v107 :: v_dual_mul_f32 v25, v189, v109
	v_dual_mul_f32 v17, v197, v117 :: v_dual_fma_f32 v21, v184, v104, -v21
	s_delay_alu instid0(VALU_DEP_2) | instskip(SKIP_3) | instid1(VALU_DEP_2)
	v_dual_add_f32 v7, v7, v35 :: v_dual_fma_f32 v23, v186, v106, -v23
	v_dual_add_f32 v9, v9, v19 :: v_dual_fmac_f32 v39, v187, v106
	v_dual_mul_f32 v41, v188, v109 :: v_dual_mul_f32 v43, v190, v111
	s_wait_loadcnt_dscnt 0x601
	v_dual_mul_f32 v19, v199, v119 :: v_dual_add_f32 v9, v9, v21
	s_delay_alu instid0(VALU_DEP_2) | instskip(SKIP_1) | instid1(VALU_DEP_3)
	v_dual_add_f32 v7, v7, v37 :: v_dual_fmac_f32 v41, v189, v108
	v_dual_mul_f32 v21, v201, v121 :: v_dual_fma_f32 v25, v188, v108, -v25
	v_dual_add_f32 v9, v9, v23 :: v_dual_fmac_f32 v43, v191, v110
	s_delay_alu instid0(VALU_DEP_3) | instskip(SKIP_2) | instid1(VALU_DEP_3)
	v_dual_add_f32 v7, v7, v39 :: v_dual_fma_f32 v11, v190, v110, -v11
	v_dual_mul_f32 v45, v192, v113 :: v_dual_mul_f32 v47, v194, v115
	s_wait_loadcnt 0x5
	v_dual_mul_f32 v23, v139, v123 :: v_dual_add_f32 v9, v9, v25
	s_delay_alu instid0(VALU_DEP_3) | instskip(NEXT) | instid1(VALU_DEP_3)
	v_dual_add_f32 v7, v7, v41 :: v_dual_mov_b32 v74, v125
	v_fmac_f32_e32 v45, v193, v112
	s_delay_alu instid0(VALU_DEP_3) | instskip(NEXT) | instid1(VALU_DEP_3)
	v_dual_fma_f32 v13, v192, v112, -v13 :: v_dual_add_f32 v9, v9, v11
	v_dual_add_f32 v7, v7, v43 :: v_dual_mul_f32 v49, v196, v117
	v_dual_mul_f32 v51, v198, v119 :: v_dual_fmac_f32 v47, v195, v114
	s_delay_alu instid0(VALU_DEP_3) | instskip(SKIP_1) | instid1(VALU_DEP_3)
	v_dual_add_f32 v9, v9, v13 :: v_dual_fma_f32 v11, v194, v114, -v15
	s_wait_loadcnt 0x4
	v_dual_add_f32 v7, v7, v45 :: v_dual_mov_b32 v78, v129
	v_fma_f32 v13, v196, v116, -v17
	v_fmac_f32_e32 v49, v197, v116
	v_dual_add_f32 v9, v9, v11 :: v_dual_fmac_f32 v51, v199, v118
	s_delay_alu instid0(VALU_DEP_4) | instskip(SKIP_1) | instid1(VALU_DEP_3)
	v_dual_add_f32 v7, v7, v47 :: v_dual_mul_f32 v217, v200, v121
	v_mul_f32_e32 v219, v138, v123
	v_dual_fma_f32 v11, v198, v118, -v19 :: v_dual_add_f32 v9, v9, v13
	s_delay_alu instid0(VALU_DEP_3) | instskip(NEXT) | instid1(VALU_DEP_4)
	v_dual_fma_f32 v216, v200, v120, -v21 :: v_dual_add_f32 v7, v7, v49
	v_fmac_f32_e32 v217, v201, v120
	v_pk_mul_f32 v[74:75], v[208:209], v[74:75] op_sel_hi:[1,0]
	s_delay_alu instid0(VALU_DEP_4) | instskip(NEXT) | instid1(VALU_DEP_4)
	v_dual_add_f32 v82, v9, v11 :: v_dual_fmac_f32 v219, v139, v122
	v_add_f32_e32 v83, v7, v51
	v_pk_mul_f32 v[76:77], v[142:143], v[126:127] op_sel:[1,1] op_sel_hi:[0,1]
	s_wait_loadcnt 0x3
	v_dual_mov_b32 v84, v133 :: v_dual_fma_f32 v218, v138, v122, -v23
	v_pk_fma_f32 v[86:87], v[140:141], v[124:125], v[74:75] op_sel_hi:[1,0,1]
	v_pk_add_f32 v[82:83], v[82:83], v[216:217]
	v_pk_fma_f32 v[74:75], v[140:141], v[124:125], v[74:75] neg_lo:[0,0,1] neg_hi:[0,0,1]
	v_pk_fma_f32 v[88:89], v[142:143], v[126:127], v[76:77] op_sel_hi:[1,0,1]
	v_pk_mul_f32 v[78:79], v[210:211], v[78:79] op_sel_hi:[1,0]
	v_mov_b32_e32 v75, v87
	v_pk_add_f32 v[82:83], v[82:83], v[218:219]
	v_pk_fma_f32 v[76:77], v[142:143], v[126:127], v[76:77] neg_lo:[0,0,1] neg_hi:[0,0,1]
	v_pk_mul_f32 v[80:81], v[146:147], v[130:131] op_sel:[1,1] op_sel_hi:[0,1]
	v_mov_b32_e32 v77, v89
	v_pk_fma_f32 v[88:89], v[144:145], v[128:129], v[78:79] op_sel_hi:[1,0,1]
	v_pk_add_f32 v[74:75], v[82:83], v[74:75]
	v_pk_fma_f32 v[78:79], v[144:145], v[128:129], v[78:79] neg_lo:[0,0,1] neg_hi:[0,0,1]
	v_pk_fma_f32 v[82:83], v[146:147], v[130:131], v[80:81] op_sel_hi:[1,0,1]
	v_pk_mul_f32 v[84:85], v[212:213], v[84:85] op_sel_hi:[1,0]
	v_mov_b32_e32 v79, v89
	v_pk_add_f32 v[74:75], v[74:75], v[76:77]
	v_pk_fma_f32 v[80:81], v[146:147], v[130:131], v[80:81] neg_lo:[0,0,1] neg_hi:[0,0,1]
	s_wait_loadcnt 0x2
	v_pk_mul_f32 v[86:87], v[150:151], v[134:135] op_sel:[1,1] op_sel_hi:[0,1]
	v_dual_mov_b32 v76, v137 :: v_dual_mov_b32 v81, v83
	v_pk_fma_f32 v[82:83], v[148:149], v[132:133], v[84:85] op_sel_hi:[1,0,1]
	v_pk_add_f32 v[74:75], v[74:75], v[78:79]
	v_pk_fma_f32 v[84:85], v[148:149], v[132:133], v[84:85] neg_lo:[0,0,1] neg_hi:[0,0,1]
	v_pk_fma_f32 v[78:79], v[150:151], v[134:135], v[86:87] op_sel_hi:[1,0,1]
	v_pk_mul_f32 v[76:77], v[214:215], v[76:77] op_sel_hi:[1,0]
	v_mov_b32_e32 v85, v83
	v_pk_add_f32 v[74:75], v[74:75], v[80:81]
	v_pk_fma_f32 v[80:81], v[150:151], v[134:135], v[86:87] neg_lo:[0,0,1] neg_hi:[0,0,1]
	v_mov_b32_e32 v81, v79
	v_pk_fma_f32 v[78:79], v[152:153], v[136:137], v[76:77] op_sel_hi:[1,0,1]
	s_wait_loadcnt_dscnt 0x100
	v_pk_mul_f32 v[82:83], v[206:207], v[202:203] op_sel:[1,1] op_sel_hi:[0,1]
	v_pk_add_f32 v[74:75], v[74:75], v[84:85]
	v_pk_fma_f32 v[76:77], v[152:153], v[136:137], v[76:77] neg_lo:[0,0,1] neg_hi:[0,0,1]
	v_mov_b32_e32 v77, v79
	s_delay_alu instid0(VALU_DEP_4) | instskip(NEXT) | instid1(VALU_DEP_4)
	v_pk_fma_f32 v[78:79], v[206:207], v[202:203], v[82:83] op_sel_hi:[1,0,1]
	v_pk_add_f32 v[74:75], v[74:75], v[80:81]
	v_pk_fma_f32 v[80:81], v[206:207], v[202:203], v[82:83] neg_lo:[0,0,1] neg_hi:[0,0,1]
	s_delay_alu instid0(VALU_DEP_3) | instskip(NEXT) | instid1(VALU_DEP_3)
	v_mov_b32_e32 v81, v79
	v_pk_add_f32 v[74:75], v[74:75], v[76:77]
	s_delay_alu instid0(VALU_DEP_1) | instskip(SKIP_1) | instid1(VALU_DEP_1)
	v_pk_add_f32 v[74:75], v[74:75], v[80:81]
	s_wait_loadcnt 0x0
	v_pk_add_f32 v[74:75], v[204:205], v[74:75] neg_lo:[0,1] neg_hi:[0,1]
	scratch_store_b64 off, v[74:75], off offset:16
	s_wait_xcnt 0x0
	v_cmpx_lt_u32_e32 1, v0
	s_cbranch_execz .LBB99_227
; %bb.226:
	scratch_load_b64 v[74:75], off, off offset:8
	v_mov_b64_e32 v[76:77], 0
	scratch_store_b64 off, v[76:77], off offset:8
	s_wait_loadcnt 0x0
	ds_store_b64 v1, v[74:75]
.LBB99_227:
	s_wait_xcnt 0x0
	s_or_b32 exec_lo, exec_lo, s0
	s_wait_storecnt_dscnt 0x0
	s_barrier_signal -1
	s_barrier_wait -1
	s_clause 0x11
	scratch_load_b128 v[74:77], off, off offset:16
	scratch_load_b128 v[78:81], off, off offset:32
	scratch_load_b128 v[82:85], off, off offset:48
	scratch_load_b128 v[86:89], off, off offset:64
	scratch_load_b128 v[90:93], off, off offset:80
	scratch_load_b128 v[94:97], off, off offset:96
	scratch_load_b128 v[98:101], off, off offset:112
	scratch_load_b128 v[102:105], off, off offset:128
	scratch_load_b128 v[106:109], off, off offset:144
	scratch_load_b128 v[110:113], off, off offset:160
	scratch_load_b128 v[114:117], off, off offset:176
	scratch_load_b128 v[118:121], off, off offset:192
	scratch_load_b128 v[122:125], off, off offset:208
	scratch_load_b128 v[126:129], off, off offset:224
	scratch_load_b128 v[130:133], off, off offset:240
	scratch_load_b128 v[134:137], off, off offset:256
	scratch_load_b128 v[138:141], off, off offset:272
	scratch_load_b64 v[210:211], off, off offset:8
	ds_load_b128 v[142:145], v53 offset:496
	ds_load_b128 v[146:149], v53 offset:512
	;; [unrolled: 1-line block ×17, first 2 shown]
	v_ashrrev_i32_e32 v51, 31, v50
	v_dual_ashrrev_i32 v7, 31, v6 :: v_dual_ashrrev_i32 v9, 31, v8
	v_dual_ashrrev_i32 v11, 31, v10 :: v_dual_ashrrev_i32 v13, 31, v12
	;; [unrolled: 1-line block ×7, first 2 shown]
	s_wait_dscnt 0xe
	v_dual_mov_b32 v212, v149 :: v_dual_mov_b32 v219, v160
	s_wait_dscnt 0xd
	v_dual_mov_b32 v213, v148 :: v_dual_mov_b32 v214, v153
	;; [unrolled: 2-line block ×3, first 2 shown]
	v_dual_mov_b32 v217, v156 :: v_dual_mov_b32 v218, v161
	v_dual_ashrrev_i32 v35, 31, v34 :: v_dual_ashrrev_i32 v37, 31, v36
	v_dual_ashrrev_i32 v39, 31, v38 :: v_dual_ashrrev_i32 v41, 31, v40
	;; [unrolled: 1-line block ×4, first 2 shown]
	s_mov_b32 s0, exec_lo
	s_wait_loadcnt_dscnt 0x110b
	v_dual_mul_f32 v53, v162, v75 :: v_dual_mul_f32 v55, v164, v77
	s_wait_loadcnt_dscnt 0xf09
	v_dual_mul_f32 v57, v166, v79 :: v_dual_mul_f32 v63, v172, v85
	;; [unrolled: 2-line block ×3, first 2 shown]
	v_dual_mul_f32 v79, v167, v79 :: v_dual_mul_f32 v85, v173, v85
	v_dual_fmac_f32 v53, v163, v74 :: v_dual_mul_f32 v75, v163, v75
	s_delay_alu instid0(VALU_DEP_3)
	v_dual_fmac_f32 v55, v165, v76 :: v_dual_fma_f32 v76, v164, v76, -v77
	s_wait_loadcnt 0x5
	v_mul_f32_e32 v223, v144, v125
	v_dual_mul_f32 v59, v168, v81 :: v_dual_mul_f32 v61, v170, v83
	v_dual_fma_f32 v74, v162, v74, -v75 :: v_dual_mul_f32 v75, v175, v87
	v_add_f32_e32 v53, 0, v53
	v_dual_mul_f32 v81, v169, v81 :: v_dual_mul_f32 v83, v171, v83
	s_delay_alu instid0(VALU_DEP_3) | instskip(SKIP_1) | instid1(VALU_DEP_2)
	v_dual_add_f32 v74, 0, v74 :: v_dual_mul_f32 v77, v177, v89
	v_dual_fmac_f32 v57, v167, v78 :: v_dual_fma_f32 v78, v166, v78, -v79
	v_dual_add_f32 v53, v53, v55 :: v_dual_add_f32 v55, v74, v76
	s_wait_dscnt 0x7
	v_dual_mul_f32 v74, v179, v91 :: v_dual_fmac_f32 v59, v169, v80
	s_delay_alu instid0(VALU_DEP_2) | instskip(NEXT) | instid1(VALU_DEP_3)
	v_dual_fma_f32 v76, v168, v80, -v81 :: v_dual_add_f32 v53, v53, v57
	v_dual_add_f32 v55, v55, v78 :: v_dual_mul_f32 v57, v181, v93
	v_dual_fmac_f32 v61, v171, v82 :: v_dual_fma_f32 v78, v170, v82, -v83
	s_delay_alu instid0(VALU_DEP_2) | instskip(SKIP_3) | instid1(VALU_DEP_3)
	v_dual_add_f32 v53, v53, v59 :: v_dual_add_f32 v55, v55, v76
	s_wait_dscnt 0x6
	v_dual_mul_f32 v59, v183, v95 :: v_dual_fmac_f32 v63, v173, v84
	v_dual_mul_f32 v67, v176, v89 :: v_dual_mul_f32 v69, v178, v91
	v_dual_add_f32 v53, v53, v61 :: v_dual_fma_f32 v76, v172, v84, -v85
	v_dual_add_f32 v55, v55, v78 :: v_dual_mul_f32 v61, v185, v97
	v_dual_fmac_f32 v65, v175, v86 :: v_dual_fma_f32 v75, v174, v86, -v75
	s_delay_alu instid0(VALU_DEP_2) | instskip(SKIP_3) | instid1(VALU_DEP_3)
	v_dual_add_f32 v53, v53, v63 :: v_dual_add_f32 v55, v55, v76
	s_wait_dscnt 0x5
	v_dual_mul_f32 v63, v187, v99 :: v_dual_fmac_f32 v67, v177, v88
	v_dual_mul_f32 v71, v180, v93 :: v_dual_mul_f32 v73, v182, v95
	v_dual_add_f32 v53, v53, v65 :: v_dual_fma_f32 v76, v176, v88, -v77
	;; [unrolled: 8-line block ×3, first 2 shown]
	v_dual_add_f32 v55, v55, v74 :: v_dual_mul_f32 v69, v193, v105
	v_dual_fmac_f32 v73, v183, v94 :: v_dual_fma_f32 v59, v182, v94, -v59
	s_delay_alu instid0(VALU_DEP_2) | instskip(SKIP_2) | instid1(VALU_DEP_2)
	v_dual_add_f32 v53, v53, v71 :: v_dual_add_f32 v55, v55, v57
	s_wait_dscnt 0x3
	v_dual_fmac_f32 v220, v185, v96 :: v_dual_mul_f32 v57, v195, v107
	v_dual_fma_f32 v61, v184, v96, -v61 :: v_dual_add_f32 v53, v53, v73
	s_delay_alu instid0(VALU_DEP_3) | instskip(SKIP_2) | instid1(VALU_DEP_3)
	v_dual_add_f32 v55, v55, v59 :: v_dual_mul_f32 v224, v188, v101
	v_dual_mul_f32 v225, v190, v103 :: v_dual_mul_f32 v59, v197, v109
	v_dual_fmac_f32 v222, v187, v98 :: v_dual_fma_f32 v63, v186, v98, -v63
	v_dual_add_f32 v53, v53, v220 :: v_dual_add_f32 v55, v55, v61
	s_wait_dscnt 0x2
	v_dual_fmac_f32 v224, v189, v100 :: v_dual_mul_f32 v61, v199, v111
	s_delay_alu instid0(VALU_DEP_2) | instskip(NEXT) | instid1(VALU_DEP_3)
	v_dual_fma_f32 v65, v188, v100, -v65 :: v_dual_add_f32 v53, v53, v222
	v_dual_add_f32 v55, v55, v63 :: v_dual_mul_f32 v226, v192, v105
	v_dual_mul_f32 v227, v194, v107 :: v_dual_mul_f32 v63, v201, v113
	v_dual_fmac_f32 v225, v191, v102 :: v_dual_fma_f32 v67, v190, v102, -v67
	s_delay_alu instid0(VALU_DEP_3) | instskip(SKIP_2) | instid1(VALU_DEP_2)
	v_dual_add_f32 v53, v53, v224 :: v_dual_add_f32 v55, v55, v65
	s_wait_dscnt 0x1
	v_dual_fmac_f32 v226, v193, v104 :: v_dual_mul_f32 v65, v203, v115
	v_dual_fma_f32 v69, v192, v104, -v69 :: v_dual_add_f32 v53, v53, v225
	s_delay_alu instid0(VALU_DEP_3) | instskip(SKIP_2) | instid1(VALU_DEP_3)
	v_dual_add_f32 v55, v55, v67 :: v_dual_mul_f32 v228, v196, v109
	v_dual_mul_f32 v229, v198, v111 :: v_dual_mul_f32 v67, v205, v117
	v_dual_fmac_f32 v227, v195, v106 :: v_dual_fma_f32 v57, v194, v106, -v57
	v_dual_add_f32 v55, v55, v69 :: v_dual_add_f32 v53, v53, v226
	s_wait_dscnt 0x0
	v_dual_mul_f32 v69, v207, v119 :: v_dual_fmac_f32 v228, v197, v108
	s_delay_alu instid0(VALU_DEP_2) | instskip(NEXT) | instid1(VALU_DEP_3)
	v_dual_fma_f32 v59, v196, v108, -v59 :: v_dual_add_f32 v55, v55, v57
	v_dual_add_f32 v53, v53, v227 :: v_dual_mul_f32 v230, v200, v113
	v_dual_mul_f32 v231, v202, v115 :: v_dual_mul_f32 v57, v209, v121
	v_fmac_f32_e32 v229, v199, v110
	s_delay_alu instid0(VALU_DEP_3) | instskip(NEXT) | instid1(VALU_DEP_4)
	v_dual_fma_f32 v61, v198, v110, -v61 :: v_dual_add_f32 v53, v53, v228
	v_dual_add_f32 v55, v55, v59 :: v_dual_fmac_f32 v230, v201, v112
	v_dual_mul_f32 v59, v143, v123 :: v_dual_fma_f32 v63, v200, v112, -v63
	s_delay_alu instid0(VALU_DEP_3) | instskip(NEXT) | instid1(VALU_DEP_3)
	v_dual_add_f32 v53, v53, v229 :: v_dual_fmac_f32 v231, v203, v114
	v_dual_add_f32 v55, v55, v61 :: v_dual_fma_f32 v65, v202, v114, -v65
	v_dual_mul_f32 v232, v204, v117 :: v_dual_mul_f32 v233, v206, v119
	s_delay_alu instid0(VALU_DEP_2) | instskip(NEXT) | instid1(VALU_DEP_4)
	v_dual_mul_f32 v61, v145, v125 :: v_dual_add_f32 v55, v55, v63
	v_dual_add_f32 v53, v53, v230 :: v_dual_fma_f32 v63, v204, v116, -v67
	s_delay_alu instid0(VALU_DEP_3) | instskip(SKIP_1) | instid1(VALU_DEP_3)
	v_dual_fmac_f32 v232, v205, v116 :: v_dual_mul_f32 v234, v208, v121
	v_mul_f32_e32 v221, v142, v123
	v_dual_add_f32 v53, v53, v231 :: v_dual_fmac_f32 v233, v207, v118
	s_wait_loadcnt 0x4
	v_dual_add_f32 v55, v55, v65 :: v_dual_mov_b32 v76, v129
	s_delay_alu instid0(VALU_DEP_2) | instskip(SKIP_1) | instid1(VALU_DEP_3)
	v_dual_fma_f32 v65, v206, v118, -v69 :: v_dual_add_f32 v53, v53, v232
	v_dual_fmac_f32 v234, v209, v120 :: v_dual_fma_f32 v57, v208, v120, -v57
	v_add_f32_e32 v55, v55, v63
	v_pk_mul_f32 v[74:75], v[146:147], v[126:127] op_sel:[1,1] op_sel_hi:[0,1]
	s_delay_alu instid0(VALU_DEP_4) | instskip(SKIP_1) | instid1(VALU_DEP_3)
	v_dual_add_f32 v53, v53, v233 :: v_dual_fmac_f32 v221, v143, v122
	s_wait_loadcnt 0x3
	v_dual_mov_b32 v80, v133 :: v_dual_add_f32 v55, v55, v65
	v_fma_f32 v220, v142, v122, -v59
	s_delay_alu instid0(VALU_DEP_3) | instskip(NEXT) | instid1(VALU_DEP_3)
	v_dual_add_f32 v83, v53, v234 :: v_dual_fma_f32 v222, v144, v124, -v61
	v_dual_fmac_f32 v223, v145, v124 :: v_dual_add_f32 v82, v55, v57
	v_pk_fma_f32 v[84:85], v[146:147], v[126:127], v[74:75] op_sel_hi:[1,0,1]
	v_pk_mul_f32 v[76:77], v[212:213], v[76:77] op_sel_hi:[1,0]
	v_pk_fma_f32 v[74:75], v[146:147], v[126:127], v[74:75] neg_lo:[0,0,1] neg_hi:[0,0,1]
	v_pk_mul_f32 v[78:79], v[150:151], v[130:131] op_sel:[1,1] op_sel_hi:[0,1]
	v_pk_add_f32 v[82:83], v[82:83], v[220:221]
	v_mov_b32_e32 v75, v85
	v_pk_fma_f32 v[84:85], v[148:149], v[128:129], v[76:77] op_sel_hi:[1,0,1]
	v_ashrrev_i32_e32 v55, 31, v54
	v_pk_fma_f32 v[76:77], v[148:149], v[128:129], v[76:77] neg_lo:[0,0,1] neg_hi:[0,0,1]
	v_pk_add_f32 v[82:83], v[82:83], v[222:223]
	v_pk_fma_f32 v[88:89], v[150:151], v[130:131], v[78:79] op_sel_hi:[1,0,1]
	v_pk_mul_f32 v[80:81], v[214:215], v[80:81] op_sel_hi:[1,0]
	v_mov_b32_e32 v77, v85
	s_wait_loadcnt 0x2
	v_pk_mul_f32 v[86:87], v[154:155], v[134:135] op_sel:[1,1] op_sel_hi:[0,1]
	v_pk_add_f32 v[74:75], v[82:83], v[74:75]
	v_mov_b32_e32 v82, v137
	v_pk_fma_f32 v[78:79], v[150:151], v[130:131], v[78:79] neg_lo:[0,0,1] neg_hi:[0,0,1]
	v_mov_b32_e32 v79, v89
	v_pk_fma_f32 v[84:85], v[152:153], v[132:133], v[80:81] op_sel_hi:[1,0,1]
	v_pk_add_f32 v[74:75], v[74:75], v[76:77]
	v_pk_fma_f32 v[76:77], v[154:155], v[134:135], v[86:87] op_sel_hi:[1,0,1]
	v_pk_mul_f32 v[82:83], v[216:217], v[82:83] op_sel_hi:[1,0]
	v_pk_fma_f32 v[80:81], v[152:153], v[132:133], v[80:81] neg_lo:[0,0,1] neg_hi:[0,0,1]
	v_mov_b32_e32 v81, v85
	v_pk_add_f32 v[74:75], v[74:75], v[78:79]
	v_pk_fma_f32 v[84:85], v[154:155], v[134:135], v[86:87] neg_lo:[0,0,1] neg_hi:[0,0,1]
	v_mov_b32_e32 v85, v77
	v_pk_fma_f32 v[76:77], v[156:157], v[136:137], v[82:83] op_sel_hi:[1,0,1]
	s_wait_loadcnt 0x1
	v_pk_mul_f32 v[78:79], v[158:159], v[138:139] op_sel:[1,1] op_sel_hi:[0,1]
	v_pk_add_f32 v[74:75], v[74:75], v[80:81]
	v_mov_b32_e32 v76, v141
	v_pk_fma_f32 v[82:83], v[156:157], v[136:137], v[82:83] neg_lo:[0,0,1] neg_hi:[0,0,1]
	v_mov_b32_e32 v83, v77
	v_pk_fma_f32 v[80:81], v[158:159], v[138:139], v[78:79] op_sel_hi:[1,0,1]
	v_pk_add_f32 v[74:75], v[74:75], v[84:85]
	v_pk_mul_f32 v[76:77], v[218:219], v[76:77] op_sel_hi:[1,0]
	v_pk_fma_f32 v[78:79], v[158:159], v[138:139], v[78:79] neg_lo:[0,0,1] neg_hi:[0,0,1]
	s_delay_alu instid0(VALU_DEP_4) | instskip(NEXT) | instid1(VALU_DEP_4)
	v_dual_ashrrev_i32 v53, 31, v52 :: v_dual_mov_b32 v79, v81
	v_pk_add_f32 v[74:75], v[74:75], v[82:83]
	s_delay_alu instid0(VALU_DEP_4)
	v_pk_fma_f32 v[80:81], v[160:161], v[140:141], v[76:77] op_sel_hi:[1,0,1]
	v_pk_fma_f32 v[76:77], v[160:161], v[140:141], v[76:77] neg_lo:[0,0,1] neg_hi:[0,0,1]
	v_dual_ashrrev_i32 v57, 31, v56 :: v_dual_ashrrev_i32 v59, 31, v58
	v_ashrrev_i32_e32 v61, 31, v60
	v_pk_add_f32 v[74:75], v[74:75], v[78:79]
	v_dual_mov_b32 v77, v81 :: v_dual_ashrrev_i32 v63, 31, v62
	v_dual_ashrrev_i32 v65, 31, v64 :: v_dual_ashrrev_i32 v67, 31, v66
	v_ashrrev_i32_e32 v69, 31, v68
	s_delay_alu instid0(VALU_DEP_3) | instskip(SKIP_2) | instid1(VALU_DEP_2)
	v_pk_add_f32 v[74:75], v[74:75], v[76:77]
	v_dual_ashrrev_i32 v71, 31, v70 :: v_dual_ashrrev_i32 v73, 31, v72
	s_wait_loadcnt 0x0
	v_pk_add_f32 v[74:75], v[210:211], v[74:75] neg_lo:[0,1] neg_hi:[0,1]
	scratch_store_b64 off, v[74:75], off offset:8
	s_wait_xcnt 0x0
	v_cmpx_ne_u32_e32 0, v0
	s_cbranch_execz .LBB99_229
; %bb.228:
	scratch_load_b64 v[74:75], off, off
	v_mov_b64_e32 v[76:77], 0
	scratch_store_b64 off, v[76:77], off
	s_wait_loadcnt 0x0
	ds_store_b64 v1, v[74:75]
.LBB99_229:
	s_wait_xcnt 0x0
	s_or_b32 exec_lo, exec_lo, s0
	s_wait_storecnt_dscnt 0x0
	s_barrier_signal -1
	s_barrier_wait -1
	s_clause 0x12
	scratch_load_b128 v[74:77], off, off offset:8
	scratch_load_b128 v[78:81], off, off offset:24
	;; [unrolled: 1-line block ×17, first 2 shown]
	scratch_load_b64 v[210:211], off, off offset:280
	scratch_load_b64 v[212:213], off, off
	v_mov_b32_e32 v0, 0
	ds_load_2addr_b64 v[142:145], v0 offset0:63 offset1:64
	ds_load_2addr_b64 v[146:149], v0 offset0:65 offset1:66
	;; [unrolled: 1-line block ×17, first 2 shown]
	ds_load_b64 v[214:215], v0 offset:568
	s_and_b32 vcc_lo, exec_lo, s12
	s_wait_dscnt 0x11
	v_dual_mov_b32 v216, v145 :: v_dual_mov_b32 v217, v144
	s_wait_dscnt 0x10
	v_dual_mov_b32 v218, v149 :: v_dual_mov_b32 v219, v148
	;; [unrolled: 2-line block ×3, first 2 shown]
	v_dual_mov_b32 v221, v152 :: v_dual_mov_b32 v222, v161
	s_wait_loadcnt_dscnt 0x120c
	v_dual_mul_f32 v1, v162, v75 :: v_dual_mul_f32 v75, v163, v75
	s_wait_loadcnt_dscnt 0x110b
	v_dual_mul_f32 v224, v164, v77 :: v_dual_mul_f32 v226, v166, v79
	;; [unrolled: 2-line block ×3, first 2 shown]
	v_dual_mul_f32 v77, v165, v77 :: v_dual_mul_f32 v87, v175, v87
	v_dual_fmac_f32 v1, v163, v74 :: v_dual_fma_f32 v74, v162, v74, -v75
	v_dual_mul_f32 v79, v167, v79 :: v_dual_mul_f32 v75, v177, v89
	s_delay_alu instid0(VALU_DEP_3) | instskip(NEXT) | instid1(VALU_DEP_3)
	v_dual_fmac_f32 v224, v165, v76 :: v_dual_fma_f32 v76, v164, v76, -v77
	v_dual_add_f32 v1, 0, v1 :: v_dual_add_f32 v74, 0, v74
	v_dual_mul_f32 v228, v168, v81 :: v_dual_mul_f32 v229, v170, v83
	s_wait_loadcnt_dscnt 0xe08
	v_dual_mul_f32 v81, v169, v81 :: v_dual_mul_f32 v77, v179, v91
	s_delay_alu instid0(VALU_DEP_3)
	v_dual_fmac_f32 v226, v167, v78 :: v_dual_add_f32 v1, v1, v224
	v_fma_f32 v78, v166, v78, -v79
	v_dual_add_f32 v74, v74, v76 :: v_dual_mul_f32 v76, v181, v93
	v_dual_mul_f32 v83, v171, v83 :: v_dual_mul_f32 v85, v173, v85
	v_dual_fmac_f32 v228, v169, v80 :: v_dual_fma_f32 v79, v168, v80, -v81
	v_add_f32_e32 v1, v1, v226
	s_wait_loadcnt_dscnt 0xd07
	v_dual_add_f32 v74, v74, v78 :: v_dual_mul_f32 v78, v183, v95
	v_dual_fmac_f32 v229, v171, v82 :: v_dual_fma_f32 v80, v170, v82, -v83
	s_delay_alu instid0(VALU_DEP_2) | instskip(SKIP_2) | instid1(VALU_DEP_3)
	v_dual_add_f32 v1, v1, v228 :: v_dual_add_f32 v74, v74, v79
	v_mul_f32_e32 v79, v185, v97
	v_dual_fmac_f32 v230, v173, v84 :: v_dual_fma_f32 v81, v172, v84, -v85
	v_dual_add_f32 v1, v1, v229 :: v_dual_add_f32 v74, v74, v80
	v_dual_mul_f32 v232, v176, v89 :: v_dual_mul_f32 v233, v178, v91
	s_wait_loadcnt_dscnt 0xc06
	v_dual_mul_f32 v80, v187, v99 :: v_dual_fma_f32 v82, v174, v86, -v87
	s_delay_alu instid0(VALU_DEP_3) | instskip(SKIP_2) | instid1(VALU_DEP_3)
	v_dual_fmac_f32 v231, v175, v86 :: v_dual_add_f32 v74, v74, v81
	v_dual_add_f32 v1, v1, v230 :: v_dual_fma_f32 v75, v176, v88, -v75
	v_mul_f32_e32 v81, v189, v101
	v_dual_fmac_f32 v232, v177, v88 :: v_dual_add_f32 v74, v74, v82
	s_delay_alu instid0(VALU_DEP_3) | instskip(SKIP_3) | instid1(VALU_DEP_3)
	v_dual_add_f32 v1, v1, v231 :: v_dual_fmac_f32 v233, v179, v90
	v_dual_mul_f32 v234, v180, v93 :: v_dual_mul_f32 v235, v182, v95
	s_wait_loadcnt_dscnt 0xb05
	v_dual_mul_f32 v82, v191, v103 :: v_dual_fma_f32 v77, v178, v90, -v77
	v_dual_add_f32 v1, v1, v232 :: v_dual_add_f32 v74, v74, v75
	v_mul_f32_e32 v75, v193, v105
	v_dual_fmac_f32 v234, v181, v92 :: v_dual_fma_f32 v76, v180, v92, -v76
	s_delay_alu instid0(VALU_DEP_3) | instskip(NEXT) | instid1(VALU_DEP_4)
	v_add_f32_e32 v1, v1, v233
	v_dual_add_f32 v74, v74, v77 :: v_dual_fmac_f32 v235, v183, v94
	v_dual_mul_f32 v236, v184, v97 :: v_dual_mul_f32 v237, v186, v99
	s_wait_loadcnt_dscnt 0xa04
	v_dual_mul_f32 v77, v195, v107 :: v_dual_fma_f32 v78, v182, v94, -v78
	s_delay_alu instid0(VALU_DEP_3) | instskip(SKIP_2) | instid1(VALU_DEP_3)
	v_dual_add_f32 v1, v1, v234 :: v_dual_add_f32 v74, v74, v76
	v_mul_f32_e32 v76, v197, v109
	v_dual_fmac_f32 v236, v185, v96 :: v_dual_fma_f32 v79, v184, v96, -v79
	v_dual_add_f32 v1, v1, v235 :: v_dual_add_f32 v74, v74, v78
	v_dual_mul_f32 v238, v188, v101 :: v_dual_mul_f32 v239, v190, v103
	s_wait_loadcnt_dscnt 0x903
	v_dual_mul_f32 v78, v199, v111 :: v_dual_fma_f32 v80, v186, v98, -v80
	s_delay_alu instid0(VALU_DEP_3) | instskip(SKIP_2) | instid1(VALU_DEP_2)
	v_dual_fmac_f32 v237, v187, v98 :: v_dual_add_f32 v1, v1, v236
	v_dual_add_f32 v74, v74, v79 :: v_dual_mul_f32 v79, v201, v113
	v_dual_fmac_f32 v238, v189, v100 :: v_dual_fma_f32 v81, v188, v100, -v81
	v_dual_add_f32 v1, v1, v237 :: v_dual_add_f32 v74, v74, v80
	v_dual_mul_f32 v240, v192, v105 :: v_dual_mul_f32 v241, v194, v107
	s_wait_loadcnt_dscnt 0x802
	v_dual_mul_f32 v80, v203, v115 :: v_dual_fma_f32 v82, v190, v102, -v82
	s_delay_alu instid0(VALU_DEP_3) | instskip(SKIP_2) | instid1(VALU_DEP_3)
	v_dual_fmac_f32 v239, v191, v102 :: v_dual_add_f32 v74, v74, v81
	v_dual_add_f32 v1, v1, v238 :: v_dual_fma_f32 v75, v192, v104, -v75
	v_mul_f32_e32 v81, v205, v117
	v_dual_fmac_f32 v240, v193, v104 :: v_dual_add_f32 v74, v74, v82
	s_delay_alu instid0(VALU_DEP_3) | instskip(SKIP_3) | instid1(VALU_DEP_3)
	v_dual_add_f32 v1, v1, v239 :: v_dual_fmac_f32 v241, v195, v106
	v_dual_mul_f32 v242, v196, v109 :: v_dual_mul_f32 v243, v198, v111
	s_wait_loadcnt_dscnt 0x701
	v_dual_mul_f32 v82, v207, v119 :: v_dual_fma_f32 v77, v194, v106, -v77
	v_dual_add_f32 v1, v1, v240 :: v_dual_add_f32 v74, v74, v75
	v_mul_f32_e32 v75, v209, v121
	v_dual_fmac_f32 v242, v197, v108 :: v_dual_fma_f32 v76, v196, v108, -v76
	s_wait_loadcnt 0x6
	s_delay_alu instid0(VALU_DEP_3) | instskip(SKIP_3) | instid1(VALU_DEP_3)
	v_dual_add_f32 v1, v1, v241 :: v_dual_mul_f32 v83, v155, v123
	v_dual_add_f32 v74, v74, v77 :: v_dual_fmac_f32 v243, v199, v110
	v_dual_mul_f32 v244, v200, v113 :: v_dual_mul_f32 v245, v202, v115
	v_dual_fma_f32 v77, v198, v110, -v78 :: v_dual_mul_f32 v84, v157, v125
	v_dual_add_f32 v1, v1, v242 :: v_dual_add_f32 v74, v74, v76
	s_delay_alu instid0(VALU_DEP_3) | instskip(SKIP_1) | instid1(VALU_DEP_3)
	v_dual_fmac_f32 v244, v201, v112 :: v_dual_fma_f32 v76, v200, v112, -v79
	v_dual_mul_f32 v246, v204, v117 :: v_dual_mul_f32 v247, v206, v119
	v_dual_add_f32 v1, v1, v243 :: v_dual_add_f32 v74, v74, v77
	s_wait_loadcnt 0x5
	v_dual_mul_f32 v79, v143, v127 :: v_dual_fma_f32 v77, v202, v114, -v80
	s_delay_alu instid0(VALU_DEP_2) | instskip(NEXT) | instid1(VALU_DEP_3)
	v_dual_fmac_f32 v245, v203, v114 :: v_dual_add_f32 v1, v1, v244
	v_dual_add_f32 v76, v74, v76 :: v_dual_mov_b32 v74, v129
	v_dual_fmac_f32 v246, v205, v116 :: v_dual_fma_f32 v78, v204, v116, -v81
	s_delay_alu instid0(VALU_DEP_3) | instskip(NEXT) | instid1(VALU_DEP_3)
	v_dual_add_f32 v1, v1, v245 :: v_dual_fmac_f32 v247, v207, v118
	v_dual_add_f32 v80, v76, v77 :: v_dual_fma_f32 v81, v206, v118, -v82
	v_dual_mul_f32 v248, v208, v121 :: v_dual_mul_f32 v249, v154, v123
	s_delay_alu instid0(VALU_DEP_3) | instskip(SKIP_1) | instid1(VALU_DEP_3)
	v_dual_add_f32 v1, v1, v246 :: v_dual_fma_f32 v75, v208, v120, -v75
	s_wait_loadcnt 0x4
	v_dual_add_f32 v80, v80, v78 :: v_dual_mov_b32 v78, v133
	s_delay_alu instid0(VALU_DEP_3) | instskip(NEXT) | instid1(VALU_DEP_3)
	v_fmac_f32_e32 v248, v209, v120
	v_dual_add_f32 v1, v1, v247 :: v_dual_fmac_f32 v249, v155, v122
	s_delay_alu instid0(VALU_DEP_3) | instskip(SKIP_1) | instid1(VALU_DEP_3)
	v_add_f32_e32 v82, v80, v81
	v_dual_mul_f32 v225, v156, v125 :: v_dual_mul_f32 v227, v142, v127
	v_dual_fma_f32 v85, v154, v122, -v83 :: v_dual_add_f32 v1, v1, v248
	s_delay_alu instid0(VALU_DEP_2) | instskip(SKIP_1) | instid1(VALU_DEP_3)
	v_dual_add_f32 v82, v82, v75 :: v_dual_fmac_f32 v225, v157, v124
	v_pk_mul_f32 v[76:77], v[146:147], v[130:131] op_sel:[1,1] op_sel_hi:[0,1]
	v_dual_fma_f32 v224, v156, v124, -v84 :: v_dual_add_f32 v83, v1, v249
	v_pk_mul_f32 v[74:75], v[216:217], v[74:75] op_sel_hi:[1,0]
	s_wait_loadcnt 0x3
	v_dual_add_f32 v82, v82, v85 :: v_dual_mov_b32 v84, v137
	v_pk_fma_f32 v[88:89], v[146:147], v[130:131], v[76:77] op_sel_hi:[1,0,1]
	v_fmac_f32_e32 v227, v143, v126
	v_pk_fma_f32 v[86:87], v[144:145], v[128:129], v[74:75] op_sel_hi:[1,0,1]
	v_fma_f32 v226, v142, v126, -v79
	v_pk_add_f32 v[82:83], v[82:83], v[224:225]
	v_pk_fma_f32 v[74:75], v[144:145], v[128:129], v[74:75] neg_lo:[0,0,1] neg_hi:[0,0,1]
	v_pk_fma_f32 v[76:77], v[146:147], v[130:131], v[76:77] neg_lo:[0,0,1] neg_hi:[0,0,1]
	v_pk_mul_f32 v[78:79], v[218:219], v[78:79] op_sel_hi:[1,0]
	v_dual_mov_b32 v75, v87 :: v_dual_mov_b32 v77, v89
	v_pk_add_f32 v[82:83], v[82:83], v[226:227]
	v_pk_mul_f32 v[80:81], v[150:151], v[134:135] op_sel:[1,1] op_sel_hi:[0,1]
	s_delay_alu instid0(VALU_DEP_4)
	v_pk_fma_f32 v[88:89], v[148:149], v[132:133], v[78:79] op_sel_hi:[1,0,1]
	v_pk_fma_f32 v[78:79], v[148:149], v[132:133], v[78:79] neg_lo:[0,0,1] neg_hi:[0,0,1]
	v_pk_mul_f32 v[84:85], v[220:221], v[84:85] op_sel_hi:[1,0]
	v_pk_add_f32 v[74:75], v[82:83], v[74:75]
	v_pk_fma_f32 v[82:83], v[150:151], v[134:135], v[80:81] op_sel_hi:[1,0,1]
	v_mov_b32_e32 v79, v89
	v_pk_fma_f32 v[80:81], v[150:151], v[134:135], v[80:81] neg_lo:[0,0,1] neg_hi:[0,0,1]
	s_wait_loadcnt 0x2
	v_pk_mul_f32 v[86:87], v[158:159], v[138:139] op_sel:[1,1] op_sel_hi:[0,1]
	v_pk_add_f32 v[74:75], v[74:75], v[76:77]
	v_dual_mov_b32 v76, v141 :: v_dual_mov_b32 v81, v83
	v_pk_fma_f32 v[82:83], v[152:153], v[136:137], v[84:85] op_sel_hi:[1,0,1]
	v_pk_fma_f32 v[84:85], v[152:153], v[136:137], v[84:85] neg_lo:[0,0,1] neg_hi:[0,0,1]
	s_delay_alu instid0(VALU_DEP_4)
	v_pk_add_f32 v[74:75], v[74:75], v[78:79]
	v_pk_fma_f32 v[78:79], v[158:159], v[138:139], v[86:87] op_sel_hi:[1,0,1]
	v_pk_mul_f32 v[76:77], v[222:223], v[76:77] op_sel_hi:[1,0]
	v_mov_b32_e32 v85, v83
	v_pk_fma_f32 v[82:83], v[158:159], v[138:139], v[86:87] neg_lo:[0,0,1] neg_hi:[0,0,1]
	v_pk_add_f32 v[74:75], v[74:75], v[80:81]
	s_wait_loadcnt_dscnt 0x100
	v_pk_mul_f32 v[80:81], v[214:215], v[210:211] op_sel:[1,1] op_sel_hi:[0,1]
	v_mov_b32_e32 v83, v79
	v_pk_fma_f32 v[78:79], v[160:161], v[140:141], v[76:77] op_sel_hi:[1,0,1]
	v_pk_fma_f32 v[76:77], v[160:161], v[140:141], v[76:77] neg_lo:[0,0,1] neg_hi:[0,0,1]
	v_pk_add_f32 v[74:75], v[74:75], v[84:85]
	v_pk_fma_f32 v[84:85], v[214:215], v[210:211], v[80:81] op_sel_hi:[1,0,1]
	s_delay_alu instid0(VALU_DEP_4) | instskip(SKIP_1) | instid1(VALU_DEP_4)
	v_mov_b32_e32 v77, v79
	v_pk_fma_f32 v[78:79], v[214:215], v[210:211], v[80:81] neg_lo:[0,0,1] neg_hi:[0,0,1]
	v_pk_add_f32 v[74:75], v[74:75], v[82:83]
	s_delay_alu instid0(VALU_DEP_4) | instskip(NEXT) | instid1(VALU_DEP_2)
	v_mov_b32_e32 v79, v85
	v_pk_add_f32 v[74:75], v[74:75], v[76:77]
	s_delay_alu instid0(VALU_DEP_1) | instskip(SKIP_1) | instid1(VALU_DEP_1)
	v_pk_add_f32 v[74:75], v[74:75], v[78:79]
	s_wait_loadcnt 0x0
	v_pk_add_f32 v[74:75], v[212:213], v[74:75] neg_lo:[0,1] neg_hi:[0,1]
	scratch_store_b64 off, v[74:75], off
	s_cbranch_vccz .LBB99_300
; %bb.230:
	global_load_b32 v0, v0, s[8:9] offset:136
	s_wait_loadcnt 0x0
	v_cmp_ne_u32_e32 vcc_lo, 35, v0
	s_cbranch_vccz .LBB99_232
; %bb.231:
	s_wait_xcnt 0x0
	v_lshlrev_b32_e32 v0, 3, v0
	s_delay_alu instid0(VALU_DEP_1)
	v_mov_b32_e32 v76, v0
	scratch_load_b64 v[0:1], v76, off offset:-8
	scratch_load_b64 v[74:75], off, off offset:272
	s_wait_loadcnt 0x1
	scratch_store_b64 off, v[0:1], off offset:272
	s_wait_loadcnt 0x0
	scratch_store_b64 v76, v[74:75], off offset:-8
.LBB99_232:
	s_wait_xcnt 0x0
	v_mov_b32_e32 v0, 0
	global_load_b32 v1, v0, s[8:9] offset:132
	s_wait_loadcnt 0x0
	v_cmp_eq_u32_e32 vcc_lo, 34, v1
	s_cbranch_vccnz .LBB99_234
; %bb.233:
	v_lshlrev_b32_e32 v1, 3, v1
	scratch_load_b64 v[74:75], v1, off offset:-8
	scratch_load_b64 v[76:77], off, off offset:264
	s_wait_loadcnt 0x1
	scratch_store_b64 off, v[74:75], off offset:264
	s_wait_loadcnt 0x0
	scratch_store_b64 v1, v[76:77], off offset:-8
.LBB99_234:
	global_load_b32 v0, v0, s[8:9] offset:128
	s_wait_loadcnt 0x0
	v_cmp_eq_u32_e32 vcc_lo, 33, v0
	s_cbranch_vccnz .LBB99_236
; %bb.235:
	s_wait_xcnt 0x0
	v_lshlrev_b32_e32 v0, 3, v0
	s_delay_alu instid0(VALU_DEP_1)
	v_mov_b32_e32 v76, v0
	scratch_load_b64 v[0:1], v76, off offset:-8
	scratch_load_b64 v[74:75], off, off offset:256
	s_wait_loadcnt 0x1
	scratch_store_b64 off, v[0:1], off offset:256
	s_wait_loadcnt 0x0
	scratch_store_b64 v76, v[74:75], off offset:-8
.LBB99_236:
	s_wait_xcnt 0x0
	v_mov_b32_e32 v0, 0
	global_load_b32 v1, v0, s[8:9] offset:124
	s_wait_loadcnt 0x0
	v_cmp_eq_u32_e32 vcc_lo, 32, v1
	s_cbranch_vccnz .LBB99_238
; %bb.237:
	v_lshlrev_b32_e32 v1, 3, v1
	scratch_load_b64 v[74:75], v1, off offset:-8
	scratch_load_b64 v[76:77], off, off offset:248
	s_wait_loadcnt 0x1
	scratch_store_b64 off, v[74:75], off offset:248
	s_wait_loadcnt 0x0
	scratch_store_b64 v1, v[76:77], off offset:-8
.LBB99_238:
	global_load_b32 v0, v0, s[8:9] offset:120
	s_wait_loadcnt 0x0
	v_cmp_eq_u32_e32 vcc_lo, 31, v0
	s_cbranch_vccnz .LBB99_240
; %bb.239:
	s_wait_xcnt 0x0
	v_lshlrev_b32_e32 v0, 3, v0
	s_delay_alu instid0(VALU_DEP_1)
	v_mov_b32_e32 v76, v0
	scratch_load_b64 v[0:1], v76, off offset:-8
	scratch_load_b64 v[74:75], off, off offset:240
	s_wait_loadcnt 0x1
	scratch_store_b64 off, v[0:1], off offset:240
	s_wait_loadcnt 0x0
	scratch_store_b64 v76, v[74:75], off offset:-8
.LBB99_240:
	;; [unrolled: 31-line block ×16, first 2 shown]
	s_wait_xcnt 0x0
	v_mov_b32_e32 v0, 0
	global_load_b32 v1, v0, s[8:9] offset:4
	s_wait_loadcnt 0x0
	v_cmp_eq_u32_e32 vcc_lo, 2, v1
	s_cbranch_vccnz .LBB99_298
; %bb.297:
	v_lshlrev_b32_e32 v1, 3, v1
	scratch_load_b64 v[74:75], v1, off offset:-8
	scratch_load_b64 v[76:77], off, off offset:8
	s_wait_loadcnt 0x1
	scratch_store_b64 off, v[74:75], off offset:8
	s_wait_loadcnt 0x0
	scratch_store_b64 v1, v[76:77], off offset:-8
.LBB99_298:
	global_load_b32 v0, v0, s[8:9]
	scratch_load_b64 v[74:75], off, off
	s_wait_loadcnt 0x1
	v_cmp_eq_u32_e32 vcc_lo, 1, v0
	s_cbranch_vccnz .LBB99_300
; %bb.299:
	s_wait_xcnt 0x1
	v_lshlrev_b32_e32 v0, 3, v0
	s_delay_alu instid0(VALU_DEP_1)
	v_mov_b32_e32 v76, v0
	scratch_load_b64 v[0:1], v76, off offset:-8
	s_wait_loadcnt 0x0
	scratch_store_b64 off, v[0:1], off
	scratch_store_b64 v76, v[74:75], off offset:-8
	scratch_load_b64 v[74:75], off, off
.LBB99_300:
	s_wait_loadcnt 0x0
	flat_store_b64 v[2:3], v[74:75]
	scratch_load_b64 v[2:3], off, off offset:8
	v_lshl_add_u64 v[106:107], v[6:7], 3, s[2:3]
	v_lshl_add_u64 v[104:105], v[8:9], 3, s[2:3]
	;; [unrolled: 1-line block ×34, first 2 shown]
	s_wait_loadcnt 0x0
	flat_store_b64 v[4:5], v[2:3]
	scratch_load_b64 v[2:3], off, off offset:16
	s_wait_loadcnt 0x0
	flat_store_b64 v[106:107], v[2:3]
	scratch_load_b64 v[2:3], off, off offset:24
	;; [unrolled: 3-line block ×34, first 2 shown]
	s_wait_loadcnt 0x0
	flat_store_b64 v[0:1], v[2:3]
	s_sendmsg sendmsg(MSG_DEALLOC_VGPRS)
	s_endpgm
	.section	.rodata,"a",@progbits
	.p2align	6, 0x0
	.amdhsa_kernel _ZN9rocsolver6v33100L18getri_kernel_smallILi36E19rocblas_complex_numIfEPKPS3_EEvT1_iilPiilS8_bb
		.amdhsa_group_segment_fixed_size 580
		.amdhsa_private_segment_fixed_size 304
		.amdhsa_kernarg_size 60
		.amdhsa_user_sgpr_count 2
		.amdhsa_user_sgpr_dispatch_ptr 0
		.amdhsa_user_sgpr_queue_ptr 0
		.amdhsa_user_sgpr_kernarg_segment_ptr 1
		.amdhsa_user_sgpr_dispatch_id 0
		.amdhsa_user_sgpr_kernarg_preload_length 0
		.amdhsa_user_sgpr_kernarg_preload_offset 0
		.amdhsa_user_sgpr_private_segment_size 0
		.amdhsa_wavefront_size32 1
		.amdhsa_uses_dynamic_stack 0
		.amdhsa_enable_private_segment 1
		.amdhsa_system_sgpr_workgroup_id_x 1
		.amdhsa_system_sgpr_workgroup_id_y 0
		.amdhsa_system_sgpr_workgroup_id_z 0
		.amdhsa_system_sgpr_workgroup_info 0
		.amdhsa_system_vgpr_workitem_id 0
		.amdhsa_next_free_vgpr 250
		.amdhsa_next_free_sgpr 19
		.amdhsa_named_barrier_count 0
		.amdhsa_reserve_vcc 1
		.amdhsa_float_round_mode_32 0
		.amdhsa_float_round_mode_16_64 0
		.amdhsa_float_denorm_mode_32 3
		.amdhsa_float_denorm_mode_16_64 3
		.amdhsa_fp16_overflow 0
		.amdhsa_memory_ordered 1
		.amdhsa_forward_progress 1
		.amdhsa_inst_pref_size 255
		.amdhsa_round_robin_scheduling 0
		.amdhsa_exception_fp_ieee_invalid_op 0
		.amdhsa_exception_fp_denorm_src 0
		.amdhsa_exception_fp_ieee_div_zero 0
		.amdhsa_exception_fp_ieee_overflow 0
		.amdhsa_exception_fp_ieee_underflow 0
		.amdhsa_exception_fp_ieee_inexact 0
		.amdhsa_exception_int_div_zero 0
	.end_amdhsa_kernel
	.section	.text._ZN9rocsolver6v33100L18getri_kernel_smallILi36E19rocblas_complex_numIfEPKPS3_EEvT1_iilPiilS8_bb,"axG",@progbits,_ZN9rocsolver6v33100L18getri_kernel_smallILi36E19rocblas_complex_numIfEPKPS3_EEvT1_iilPiilS8_bb,comdat
.Lfunc_end99:
	.size	_ZN9rocsolver6v33100L18getri_kernel_smallILi36E19rocblas_complex_numIfEPKPS3_EEvT1_iilPiilS8_bb, .Lfunc_end99-_ZN9rocsolver6v33100L18getri_kernel_smallILi36E19rocblas_complex_numIfEPKPS3_EEvT1_iilPiilS8_bb
                                        ; -- End function
	.set _ZN9rocsolver6v33100L18getri_kernel_smallILi36E19rocblas_complex_numIfEPKPS3_EEvT1_iilPiilS8_bb.num_vgpr, 250
	.set _ZN9rocsolver6v33100L18getri_kernel_smallILi36E19rocblas_complex_numIfEPKPS3_EEvT1_iilPiilS8_bb.num_agpr, 0
	.set _ZN9rocsolver6v33100L18getri_kernel_smallILi36E19rocblas_complex_numIfEPKPS3_EEvT1_iilPiilS8_bb.numbered_sgpr, 19
	.set _ZN9rocsolver6v33100L18getri_kernel_smallILi36E19rocblas_complex_numIfEPKPS3_EEvT1_iilPiilS8_bb.num_named_barrier, 0
	.set _ZN9rocsolver6v33100L18getri_kernel_smallILi36E19rocblas_complex_numIfEPKPS3_EEvT1_iilPiilS8_bb.private_seg_size, 304
	.set _ZN9rocsolver6v33100L18getri_kernel_smallILi36E19rocblas_complex_numIfEPKPS3_EEvT1_iilPiilS8_bb.uses_vcc, 1
	.set _ZN9rocsolver6v33100L18getri_kernel_smallILi36E19rocblas_complex_numIfEPKPS3_EEvT1_iilPiilS8_bb.uses_flat_scratch, 1
	.set _ZN9rocsolver6v33100L18getri_kernel_smallILi36E19rocblas_complex_numIfEPKPS3_EEvT1_iilPiilS8_bb.has_dyn_sized_stack, 0
	.set _ZN9rocsolver6v33100L18getri_kernel_smallILi36E19rocblas_complex_numIfEPKPS3_EEvT1_iilPiilS8_bb.has_recursion, 0
	.set _ZN9rocsolver6v33100L18getri_kernel_smallILi36E19rocblas_complex_numIfEPKPS3_EEvT1_iilPiilS8_bb.has_indirect_call, 0
	.section	.AMDGPU.csdata,"",@progbits
; Kernel info:
; codeLenInByte = 54152
; TotalNumSgprs: 21
; NumVgprs: 250
; ScratchSize: 304
; MemoryBound: 0
; FloatMode: 240
; IeeeMode: 1
; LDSByteSize: 580 bytes/workgroup (compile time only)
; SGPRBlocks: 0
; VGPRBlocks: 15
; NumSGPRsForWavesPerEU: 21
; NumVGPRsForWavesPerEU: 250
; NamedBarCnt: 0
; Occupancy: 4
; WaveLimiterHint : 1
; COMPUTE_PGM_RSRC2:SCRATCH_EN: 1
; COMPUTE_PGM_RSRC2:USER_SGPR: 2
; COMPUTE_PGM_RSRC2:TRAP_HANDLER: 0
; COMPUTE_PGM_RSRC2:TGID_X_EN: 1
; COMPUTE_PGM_RSRC2:TGID_Y_EN: 0
; COMPUTE_PGM_RSRC2:TGID_Z_EN: 0
; COMPUTE_PGM_RSRC2:TIDIG_COMP_CNT: 0
	.section	.text._ZN9rocsolver6v33100L18getri_kernel_smallILi37E19rocblas_complex_numIfEPKPS3_EEvT1_iilPiilS8_bb,"axG",@progbits,_ZN9rocsolver6v33100L18getri_kernel_smallILi37E19rocblas_complex_numIfEPKPS3_EEvT1_iilPiilS8_bb,comdat
	.globl	_ZN9rocsolver6v33100L18getri_kernel_smallILi37E19rocblas_complex_numIfEPKPS3_EEvT1_iilPiilS8_bb ; -- Begin function _ZN9rocsolver6v33100L18getri_kernel_smallILi37E19rocblas_complex_numIfEPKPS3_EEvT1_iilPiilS8_bb
	.p2align	8
	.type	_ZN9rocsolver6v33100L18getri_kernel_smallILi37E19rocblas_complex_numIfEPKPS3_EEvT1_iilPiilS8_bb,@function
_ZN9rocsolver6v33100L18getri_kernel_smallILi37E19rocblas_complex_numIfEPKPS3_EEvT1_iilPiilS8_bb: ; @_ZN9rocsolver6v33100L18getri_kernel_smallILi37E19rocblas_complex_numIfEPKPS3_EEvT1_iilPiilS8_bb
; %bb.0:
	s_mov_b32 s2, exec_lo
	v_cmpx_gt_u32_e32 37, v0
	s_cbranch_execz .LBB100_162
; %bb.1:
	s_clause 0x1
	s_load_b32 s13, s[0:1], 0x38
	s_load_b64 s[2:3], s[0:1], 0x0
	s_getreg_b32 s6, hwreg(HW_REG_IB_STS2, 6, 4)
	s_wait_kmcnt 0x0
	s_bitcmp1_b32 s13, 8
	s_cselect_b32 s12, -1, 0
	s_bfe_u32 s4, ttmp6, 0x4000c
	s_and_b32 s5, ttmp6, 15
	s_add_co_i32 s4, s4, 1
	s_delay_alu instid0(SALU_CYCLE_1) | instskip(NEXT) | instid1(SALU_CYCLE_1)
	s_mul_i32 s4, ttmp9, s4
	s_add_co_i32 s5, s5, s4
	s_cmp_eq_u32 s6, 0
	s_cselect_b32 s10, ttmp9, s5
	s_load_b128 s[4:7], s[0:1], 0x28
	s_ashr_i32 s11, s10, 31
	s_delay_alu instid0(SALU_CYCLE_1) | instskip(NEXT) | instid1(SALU_CYCLE_1)
	s_lshl_b64 s[8:9], s[10:11], 3
	s_add_nc_u64 s[2:3], s[2:3], s[8:9]
	s_bfe_u32 s8, s13, 0x10008
	s_load_b64 s[2:3], s[2:3], 0x0
	s_cmp_eq_u32 s8, 0
                                        ; implicit-def: $sgpr8_sgpr9
	s_cbranch_scc1 .LBB100_3
; %bb.2:
	s_load_b96 s[16:18], s[0:1], 0x18
	s_wait_kmcnt 0x0
	s_mul_u64 s[4:5], s[4:5], s[10:11]
	s_delay_alu instid0(SALU_CYCLE_1) | instskip(SKIP_4) | instid1(SALU_CYCLE_1)
	s_lshl_b64 s[4:5], s[4:5], 2
	s_ashr_i32 s9, s18, 31
	s_mov_b32 s8, s18
	s_add_nc_u64 s[4:5], s[16:17], s[4:5]
	s_lshl_b64 s[8:9], s[8:9], 2
	s_add_nc_u64 s[8:9], s[4:5], s[8:9]
.LBB100_3:
	s_wait_kmcnt 0x0
	s_clause 0x1
	s_load_b64 s[4:5], s[0:1], 0x8
	s_load_b32 s13, s[0:1], 0x38
	v_dual_mov_b32 v77, 0 :: v_dual_lshlrev_b32 v76, 3, v0
	s_wait_kmcnt 0x0
	s_ashr_i32 s1, s4, 31
	s_mov_b32 s0, s4
	s_delay_alu instid0(SALU_CYCLE_1) | instskip(NEXT) | instid1(SALU_CYCLE_1)
	s_lshl_b64 s[0:1], s[0:1], 3
	s_add_nc_u64 s[2:3], s[2:3], s[0:1]
	s_ashr_i32 s1, s5, 31
	flat_load_b64 v[6:7], v0, s[2:3] scale_offset
	v_add_nc_u64_e32 v[2:3], s[2:3], v[76:77]
	s_mov_b32 s0, s5
	s_bitcmp0_b32 s13, 0
	s_delay_alu instid0(VALU_DEP_1)
	v_lshl_add_u64 v[4:5], s[0:1], 3, v[2:3]
	s_mov_b32 s1, -1
	s_wait_loadcnt_dscnt 0x0
	scratch_store_b64 off, v[6:7], off
	flat_load_b64 v[8:9], v[4:5]
	s_wait_xcnt 0x1
	v_add3_u32 v6, s5, s5, v0
	s_wait_loadcnt_dscnt 0x0
	scratch_store_b64 off, v[8:9], off offset:8
	flat_load_b64 v[10:11], v6, s[2:3] scale_offset
	s_wait_xcnt 0x1
	v_add_nc_u32_e32 v8, s5, v6
	s_wait_loadcnt_dscnt 0x0
	scratch_store_b64 off, v[10:11], off offset:16
	flat_load_b64 v[12:13], v8, s[2:3] scale_offset
	s_wait_xcnt 0x1
	v_add_nc_u32_e32 v10, s5, v8
	;; [unrolled: 5-line block ×34, first 2 shown]
	s_wait_loadcnt_dscnt 0x0
	scratch_store_b64 off, v[78:79], off offset:280
	flat_load_b64 v[78:79], v74, s[2:3] scale_offset
	s_wait_loadcnt_dscnt 0x0
	scratch_store_b64 off, v[78:79], off offset:288
	s_cbranch_scc1 .LBB100_160
; %bb.4:
	v_cmp_eq_u32_e64 s0, 0, v0
	s_wait_xcnt 0x0
	s_and_saveexec_b32 s1, s0
; %bb.5:
	v_mov_b32_e32 v1, 0
	ds_store_b32 v1, v1 offset:296
; %bb.6:
	s_or_b32 exec_lo, exec_lo, s1
	s_wait_storecnt_dscnt 0x0
	s_barrier_signal -1
	s_barrier_wait -1
	scratch_load_b64 v[78:79], v0, off scale_offset
	s_wait_loadcnt 0x0
	v_cmp_eq_f32_e32 vcc_lo, 0, v78
	v_cmp_eq_f32_e64 s1, 0, v79
	s_and_b32 s1, vcc_lo, s1
	s_delay_alu instid0(SALU_CYCLE_1)
	s_and_saveexec_b32 s4, s1
	s_cbranch_execz .LBB100_10
; %bb.7:
	v_mov_b32_e32 v1, 0
	s_mov_b32 s5, 0
	ds_load_b32 v7, v1 offset:296
	s_wait_dscnt 0x0
	v_readfirstlane_b32 s1, v7
	v_add_nc_u32_e32 v7, 1, v0
	s_cmp_eq_u32 s1, 0
	s_delay_alu instid0(VALU_DEP_1) | instskip(SKIP_1) | instid1(SALU_CYCLE_1)
	v_cmp_gt_i32_e32 vcc_lo, s1, v7
	s_cselect_b32 s13, -1, 0
	s_or_b32 s13, s13, vcc_lo
	s_delay_alu instid0(SALU_CYCLE_1)
	s_and_b32 exec_lo, exec_lo, s13
	s_cbranch_execz .LBB100_10
; %bb.8:
	v_mov_b32_e32 v9, s1
.LBB100_9:                              ; =>This Inner Loop Header: Depth=1
	ds_cmpstore_rtn_b32 v9, v1, v7, v9 offset:296
	s_wait_dscnt 0x0
	v_cmp_ne_u32_e32 vcc_lo, 0, v9
	v_cmp_le_i32_e64 s1, v9, v7
	s_and_b32 s1, vcc_lo, s1
	s_delay_alu instid0(SALU_CYCLE_1) | instskip(NEXT) | instid1(SALU_CYCLE_1)
	s_and_b32 s1, exec_lo, s1
	s_or_b32 s5, s1, s5
	s_delay_alu instid0(SALU_CYCLE_1)
	s_and_not1_b32 exec_lo, exec_lo, s5
	s_cbranch_execnz .LBB100_9
.LBB100_10:
	s_or_b32 exec_lo, exec_lo, s4
	v_mov_b32_e32 v1, 0
	s_barrier_signal -1
	s_barrier_wait -1
	ds_load_b32 v7, v1 offset:296
	s_and_saveexec_b32 s1, s0
	s_cbranch_execz .LBB100_12
; %bb.11:
	s_lshl_b64 s[4:5], s[10:11], 2
	s_delay_alu instid0(SALU_CYCLE_1)
	s_add_nc_u64 s[4:5], s[6:7], s[4:5]
	s_wait_dscnt 0x0
	global_store_b32 v1, v7, s[4:5]
.LBB100_12:
	s_wait_xcnt 0x0
	s_or_b32 exec_lo, exec_lo, s1
	s_wait_dscnt 0x0
	v_cmp_ne_u32_e32 vcc_lo, 0, v7
	s_mov_b32 s1, 0
	s_cbranch_vccnz .LBB100_160
; %bb.13:
	v_lshl_add_u32 v7, v0, 3, 0
                                        ; implicit-def: $vgpr81
                                        ; implicit-def: $vgpr82
	scratch_load_b64 v[78:79], v7, off
	s_wait_loadcnt 0x0
	v_cmp_ngt_f32_e64 s1, |v78|, |v79|
	s_wait_xcnt 0x0
	s_and_saveexec_b32 s4, s1
	s_delay_alu instid0(SALU_CYCLE_1)
	s_xor_b32 s1, exec_lo, s4
	s_cbranch_execz .LBB100_15
; %bb.14:
	v_div_scale_f32 v1, null, v79, v79, v78
	v_div_scale_f32 v13, vcc_lo, v78, v79, v78
	s_delay_alu instid0(VALU_DEP_2) | instskip(SKIP_1) | instid1(TRANS32_DEP_1)
	v_rcp_f32_e32 v9, v1
	v_nop
	v_fma_f32 v11, -v1, v9, 1.0
	s_delay_alu instid0(VALU_DEP_1) | instskip(NEXT) | instid1(VALU_DEP_1)
	v_fmac_f32_e32 v9, v11, v9
	v_mul_f32_e32 v11, v13, v9
	s_delay_alu instid0(VALU_DEP_1) | instskip(NEXT) | instid1(VALU_DEP_1)
	v_fma_f32 v15, -v1, v11, v13
	v_fmac_f32_e32 v11, v15, v9
	s_delay_alu instid0(VALU_DEP_1) | instskip(NEXT) | instid1(VALU_DEP_1)
	v_fma_f32 v1, -v1, v11, v13
	v_div_fmas_f32 v1, v1, v9, v11
	s_delay_alu instid0(VALU_DEP_1) | instskip(NEXT) | instid1(VALU_DEP_1)
	v_div_fixup_f32 v1, v1, v79, v78
	v_fmac_f32_e32 v79, v78, v1
	s_delay_alu instid0(VALU_DEP_1) | instskip(NEXT) | instid1(VALU_DEP_1)
	v_div_scale_f32 v9, null, v79, v79, -1.0
	v_rcp_f32_e32 v11, v9
	v_nop
	s_delay_alu instid0(TRANS32_DEP_1) | instskip(NEXT) | instid1(VALU_DEP_1)
	v_fma_f32 v13, -v9, v11, 1.0
	v_fmac_f32_e32 v11, v13, v11
	v_div_scale_f32 v13, vcc_lo, -1.0, v79, -1.0
	s_delay_alu instid0(VALU_DEP_1) | instskip(NEXT) | instid1(VALU_DEP_1)
	v_mul_f32_e32 v15, v13, v11
	v_fma_f32 v17, -v9, v15, v13
	s_delay_alu instid0(VALU_DEP_1) | instskip(NEXT) | instid1(VALU_DEP_1)
	v_fmac_f32_e32 v15, v17, v11
	v_fma_f32 v9, -v9, v15, v13
	s_delay_alu instid0(VALU_DEP_1) | instskip(NEXT) | instid1(VALU_DEP_1)
	v_div_fmas_f32 v9, v9, v11, v15
	v_div_fixup_f32 v81, v9, v79, -1.0
                                        ; implicit-def: $vgpr78_vgpr79
	s_delay_alu instid0(VALU_DEP_1) | instskip(NEXT) | instid1(VALU_DEP_1)
	v_mul_f32_e32 v82, v1, v81
	v_xor_b32_e32 v80, 0x80000000, v82
.LBB100_15:
	s_and_not1_saveexec_b32 s1, s1
	s_cbranch_execz .LBB100_17
; %bb.16:
	v_div_scale_f32 v1, null, v78, v78, v79
	v_div_scale_f32 v13, vcc_lo, v79, v78, v79
	s_delay_alu instid0(VALU_DEP_2) | instskip(SKIP_1) | instid1(TRANS32_DEP_1)
	v_rcp_f32_e32 v9, v1
	v_nop
	v_fma_f32 v11, -v1, v9, 1.0
	s_delay_alu instid0(VALU_DEP_1) | instskip(NEXT) | instid1(VALU_DEP_1)
	v_fmac_f32_e32 v9, v11, v9
	v_mul_f32_e32 v11, v13, v9
	s_delay_alu instid0(VALU_DEP_1) | instskip(NEXT) | instid1(VALU_DEP_1)
	v_fma_f32 v15, -v1, v11, v13
	v_fmac_f32_e32 v11, v15, v9
	s_delay_alu instid0(VALU_DEP_1) | instskip(NEXT) | instid1(VALU_DEP_1)
	v_fma_f32 v1, -v1, v11, v13
	v_div_fmas_f32 v1, v1, v9, v11
	s_delay_alu instid0(VALU_DEP_1) | instskip(NEXT) | instid1(VALU_DEP_1)
	v_div_fixup_f32 v1, v1, v78, v79
	v_fmac_f32_e32 v78, v79, v1
	s_delay_alu instid0(VALU_DEP_1) | instskip(SKIP_1) | instid1(VALU_DEP_2)
	v_div_scale_f32 v9, null, v78, v78, 1.0
	v_div_scale_f32 v15, vcc_lo, 1.0, v78, 1.0
	v_rcp_f32_e32 v11, v9
	v_nop
	s_delay_alu instid0(TRANS32_DEP_1) | instskip(NEXT) | instid1(VALU_DEP_1)
	v_fma_f32 v13, -v9, v11, 1.0
	v_fmac_f32_e32 v11, v13, v11
	s_delay_alu instid0(VALU_DEP_1) | instskip(NEXT) | instid1(VALU_DEP_1)
	v_mul_f32_e32 v13, v15, v11
	v_fma_f32 v17, -v9, v13, v15
	s_delay_alu instid0(VALU_DEP_1) | instskip(NEXT) | instid1(VALU_DEP_1)
	v_fmac_f32_e32 v13, v17, v11
	v_fma_f32 v9, -v9, v13, v15
	s_delay_alu instid0(VALU_DEP_1) | instskip(NEXT) | instid1(VALU_DEP_1)
	v_div_fmas_f32 v9, v9, v11, v13
	v_div_fixup_f32 v80, v9, v78, 1.0
	s_delay_alu instid0(VALU_DEP_1)
	v_xor_b32_e32 v82, 0x80000000, v80
	v_mul_f32_e64 v81, v1, -v80
.LBB100_17:
	s_or_b32 exec_lo, exec_lo, s1
	scratch_store_b64 v7, v[80:81], off
	scratch_load_b64 v[78:79], off, off offset:8
	v_xor_b32_e32 v83, 0x80000000, v81
	v_add_nc_u32_e32 v1, 0x130, v76
	s_wait_loadcnt 0x0
	ds_store_2addr_b64 v76, v[82:83], v[78:79] offset1:38
	s_wait_storecnt_dscnt 0x0
	s_barrier_signal -1
	s_barrier_wait -1
	s_wait_xcnt 0x0
	s_and_saveexec_b32 s1, s0
	s_cbranch_execz .LBB100_19
; %bb.18:
	scratch_load_b64 v[78:79], v7, off
	ds_load_b64 v[80:81], v1
	s_wait_loadcnt_dscnt 0x0
	v_pk_mul_f32 v[84:85], v[80:81], v[78:79] op_sel:[1,1] op_sel_hi:[0,1]
	s_delay_alu instid0(VALU_DEP_1) | instskip(SKIP_2) | instid1(VALU_DEP_3)
	v_pk_fma_f32 v[86:87], v[80:81], v[78:79], v[84:85] op_sel_hi:[1,0,1]
	v_mov_b32_e32 v9, 0
	v_pk_fma_f32 v[78:79], v[80:81], v[78:79], v[84:85] neg_lo:[0,0,1] neg_hi:[0,0,1]
	v_mov_b32_e32 v79, v87
	ds_load_b64 v[82:83], v9 offset:8
	v_pk_add_f32 v[78:79], v[78:79], 0 op_sel_hi:[1,0]
	s_wait_dscnt 0x0
	s_delay_alu instid0(VALU_DEP_1) | instskip(NEXT) | instid1(VALU_DEP_1)
	v_pk_mul_f32 v[80:81], v[78:79], v[82:83] op_sel:[1,1] op_sel_hi:[0,1]
	v_pk_fma_f32 v[84:85], v[78:79], v[82:83], v[80:81] op_sel_hi:[1,0,1]
	v_pk_fma_f32 v[78:79], v[78:79], v[82:83], v[80:81] neg_lo:[0,0,1] neg_hi:[0,0,1]
	s_delay_alu instid0(VALU_DEP_2)
	v_mov_b32_e32 v79, v85
	scratch_store_b64 off, v[78:79], off offset:8
.LBB100_19:
	s_wait_xcnt 0x0
	s_or_b32 exec_lo, exec_lo, s1
	s_wait_storecnt 0x0
	s_barrier_signal -1
	s_barrier_wait -1
	scratch_load_b64 v[78:79], off, off offset:16
	s_mov_b32 s1, exec_lo
	s_wait_loadcnt 0x0
	ds_store_b64 v1, v[78:79]
	s_wait_dscnt 0x0
	s_barrier_signal -1
	s_barrier_wait -1
	v_cmpx_gt_u32_e32 2, v0
	s_cbranch_execz .LBB100_23
; %bb.20:
	scratch_load_b64 v[78:79], v7, off
	ds_load_b64 v[80:81], v1
	s_wait_loadcnt_dscnt 0x0
	v_pk_mul_f32 v[82:83], v[80:81], v[78:79] op_sel:[1,1] op_sel_hi:[0,1]
	s_delay_alu instid0(VALU_DEP_1) | instskip(SKIP_1) | instid1(VALU_DEP_2)
	v_pk_fma_f32 v[84:85], v[80:81], v[78:79], v[82:83] op_sel_hi:[1,0,1]
	v_pk_fma_f32 v[78:79], v[80:81], v[78:79], v[82:83] neg_lo:[0,0,1] neg_hi:[0,0,1]
	v_mov_b32_e32 v79, v85
	s_delay_alu instid0(VALU_DEP_1)
	v_pk_add_f32 v[78:79], v[78:79], 0 op_sel_hi:[1,0]
	s_and_saveexec_b32 s4, s0
	s_cbranch_execz .LBB100_22
; %bb.21:
	scratch_load_b64 v[80:81], off, off offset:8
	v_mov_b32_e32 v7, 0
	ds_load_b64 v[82:83], v7 offset:312
	s_wait_loadcnt_dscnt 0x0
	v_pk_mul_f32 v[84:85], v[82:83], v[80:81] op_sel:[1,1] op_sel_hi:[0,1]
	s_delay_alu instid0(VALU_DEP_1) | instskip(SKIP_1) | instid1(VALU_DEP_2)
	v_pk_fma_f32 v[86:87], v[82:83], v[80:81], v[84:85] op_sel_hi:[1,0,1]
	v_pk_fma_f32 v[80:81], v[82:83], v[80:81], v[84:85] neg_lo:[0,0,1] neg_hi:[0,0,1]
	v_mov_b32_e32 v81, v87
	s_delay_alu instid0(VALU_DEP_1)
	v_pk_add_f32 v[78:79], v[78:79], v[80:81]
.LBB100_22:
	s_or_b32 exec_lo, exec_lo, s4
	v_mov_b32_e32 v7, 0
	ds_load_b64 v[80:81], v7 offset:16
	s_wait_dscnt 0x0
	v_pk_mul_f32 v[82:83], v[78:79], v[80:81] op_sel:[1,1] op_sel_hi:[0,1]
	s_delay_alu instid0(VALU_DEP_1) | instskip(SKIP_1) | instid1(VALU_DEP_2)
	v_pk_fma_f32 v[84:85], v[78:79], v[80:81], v[82:83] op_sel_hi:[1,0,1]
	v_pk_fma_f32 v[78:79], v[78:79], v[80:81], v[82:83] neg_lo:[0,0,1] neg_hi:[0,0,1]
	v_mov_b32_e32 v79, v85
	scratch_store_b64 off, v[78:79], off offset:16
.LBB100_23:
	s_wait_xcnt 0x0
	s_or_b32 exec_lo, exec_lo, s1
	s_wait_storecnt 0x0
	s_barrier_signal -1
	s_barrier_wait -1
	scratch_load_b64 v[78:79], off, off offset:24
	v_add_nc_u32_e32 v7, -1, v0
	s_mov_b32 s0, exec_lo
	s_wait_loadcnt 0x0
	ds_store_b64 v1, v[78:79]
	s_wait_dscnt 0x0
	s_barrier_signal -1
	s_barrier_wait -1
	v_cmpx_gt_u32_e32 3, v0
	s_cbranch_execz .LBB100_27
; %bb.24:
	v_dual_mov_b32 v78, 0 :: v_dual_add_nc_u32 v9, -1, v0
	v_add_nc_u32_e32 v11, 0x130, v76
	v_mov_b32_e32 v13, v76
	s_mov_b32 s1, 0
	s_delay_alu instid0(VALU_DEP_3)
	v_mov_b32_e32 v79, v78
.LBB100_25:                             ; =>This Inner Loop Header: Depth=1
	scratch_load_b64 v[80:81], v13, off
	ds_load_b64 v[82:83], v11
	s_wait_xcnt 0x0
	v_dual_add_nc_u32 v11, 8, v11 :: v_dual_add_nc_u32 v13, 8, v13
	s_wait_loadcnt_dscnt 0x0
	v_pk_mul_f32 v[84:85], v[82:83], v[80:81] op_sel:[1,1] op_sel_hi:[0,1]
	s_delay_alu instid0(VALU_DEP_1) | instskip(SKIP_2) | instid1(VALU_DEP_3)
	v_pk_fma_f32 v[86:87], v[82:83], v[80:81], v[84:85] op_sel_hi:[1,0,1]
	v_add_nc_u32_e32 v9, 1, v9
	v_pk_fma_f32 v[80:81], v[82:83], v[80:81], v[84:85] neg_lo:[0,0,1] neg_hi:[0,0,1]
	v_mov_b32_e32 v81, v87
	s_delay_alu instid0(VALU_DEP_3) | instskip(NEXT) | instid1(VALU_DEP_2)
	v_cmp_lt_u32_e32 vcc_lo, 1, v9
	v_pk_add_f32 v[78:79], v[78:79], v[80:81]
	s_or_b32 s1, vcc_lo, s1
	s_delay_alu instid0(SALU_CYCLE_1)
	s_and_not1_b32 exec_lo, exec_lo, s1
	s_cbranch_execnz .LBB100_25
; %bb.26:
	s_or_b32 exec_lo, exec_lo, s1
	v_mov_b32_e32 v9, 0
	ds_load_b64 v[80:81], v9 offset:24
	s_wait_dscnt 0x0
	v_pk_mul_f32 v[82:83], v[78:79], v[80:81] op_sel:[1,1] op_sel_hi:[0,1]
	s_delay_alu instid0(VALU_DEP_1) | instskip(SKIP_1) | instid1(VALU_DEP_2)
	v_pk_fma_f32 v[84:85], v[78:79], v[80:81], v[82:83] op_sel_hi:[1,0,1]
	v_pk_fma_f32 v[78:79], v[78:79], v[80:81], v[82:83] neg_lo:[0,0,1] neg_hi:[0,0,1]
	v_mov_b32_e32 v79, v85
	scratch_store_b64 off, v[78:79], off offset:24
.LBB100_27:
	s_wait_xcnt 0x0
	s_or_b32 exec_lo, exec_lo, s0
	s_wait_storecnt 0x0
	s_barrier_signal -1
	s_barrier_wait -1
	scratch_load_b64 v[78:79], off, off offset:32
	s_mov_b32 s0, exec_lo
	s_wait_loadcnt 0x0
	ds_store_b64 v1, v[78:79]
	s_wait_dscnt 0x0
	s_barrier_signal -1
	s_barrier_wait -1
	v_cmpx_gt_u32_e32 4, v0
	s_cbranch_execz .LBB100_31
; %bb.28:
	v_dual_mov_b32 v78, 0 :: v_dual_add_nc_u32 v9, -1, v0
	v_add_nc_u32_e32 v11, 0x130, v76
	v_mov_b32_e32 v13, v76
	s_mov_b32 s1, 0
	s_delay_alu instid0(VALU_DEP_3)
	v_mov_b32_e32 v79, v78
.LBB100_29:                             ; =>This Inner Loop Header: Depth=1
	scratch_load_b64 v[80:81], v13, off
	ds_load_b64 v[82:83], v11
	s_wait_xcnt 0x0
	v_dual_add_nc_u32 v11, 8, v11 :: v_dual_add_nc_u32 v13, 8, v13
	s_wait_loadcnt_dscnt 0x0
	v_pk_mul_f32 v[84:85], v[82:83], v[80:81] op_sel:[1,1] op_sel_hi:[0,1]
	s_delay_alu instid0(VALU_DEP_1) | instskip(SKIP_2) | instid1(VALU_DEP_3)
	v_pk_fma_f32 v[86:87], v[82:83], v[80:81], v[84:85] op_sel_hi:[1,0,1]
	v_add_nc_u32_e32 v9, 1, v9
	v_pk_fma_f32 v[80:81], v[82:83], v[80:81], v[84:85] neg_lo:[0,0,1] neg_hi:[0,0,1]
	v_mov_b32_e32 v81, v87
	s_delay_alu instid0(VALU_DEP_3) | instskip(NEXT) | instid1(VALU_DEP_2)
	v_cmp_lt_u32_e32 vcc_lo, 2, v9
	v_pk_add_f32 v[78:79], v[78:79], v[80:81]
	s_or_b32 s1, vcc_lo, s1
	s_delay_alu instid0(SALU_CYCLE_1)
	s_and_not1_b32 exec_lo, exec_lo, s1
	s_cbranch_execnz .LBB100_29
; %bb.30:
	s_or_b32 exec_lo, exec_lo, s1
	v_mov_b32_e32 v9, 0
	ds_load_b64 v[80:81], v9 offset:32
	s_wait_dscnt 0x0
	v_pk_mul_f32 v[82:83], v[78:79], v[80:81] op_sel:[1,1] op_sel_hi:[0,1]
	s_delay_alu instid0(VALU_DEP_1) | instskip(SKIP_1) | instid1(VALU_DEP_2)
	v_pk_fma_f32 v[84:85], v[78:79], v[80:81], v[82:83] op_sel_hi:[1,0,1]
	v_pk_fma_f32 v[78:79], v[78:79], v[80:81], v[82:83] neg_lo:[0,0,1] neg_hi:[0,0,1]
	v_mov_b32_e32 v79, v85
	scratch_store_b64 off, v[78:79], off offset:32
.LBB100_31:
	s_wait_xcnt 0x0
	s_or_b32 exec_lo, exec_lo, s0
	s_wait_storecnt 0x0
	s_barrier_signal -1
	s_barrier_wait -1
	scratch_load_b64 v[78:79], off, off offset:40
	;; [unrolled: 52-line block ×19, first 2 shown]
	s_mov_b32 s0, exec_lo
	s_wait_loadcnt 0x0
	ds_store_b64 v1, v[78:79]
	s_wait_dscnt 0x0
	s_barrier_signal -1
	s_barrier_wait -1
	v_cmpx_gt_u32_e32 22, v0
	s_cbranch_execz .LBB100_103
; %bb.100:
	v_dual_mov_b32 v78, 0 :: v_dual_add_nc_u32 v9, -1, v0
	v_add_nc_u32_e32 v11, 0x130, v76
	v_mov_b32_e32 v13, v76
	s_mov_b32 s1, 0
	s_delay_alu instid0(VALU_DEP_3)
	v_mov_b32_e32 v79, v78
.LBB100_101:                            ; =>This Inner Loop Header: Depth=1
	scratch_load_b64 v[80:81], v13, off
	ds_load_b64 v[82:83], v11
	s_wait_xcnt 0x0
	v_dual_add_nc_u32 v11, 8, v11 :: v_dual_add_nc_u32 v13, 8, v13
	s_wait_loadcnt_dscnt 0x0
	v_pk_mul_f32 v[84:85], v[82:83], v[80:81] op_sel:[1,1] op_sel_hi:[0,1]
	s_delay_alu instid0(VALU_DEP_1) | instskip(SKIP_2) | instid1(VALU_DEP_3)
	v_pk_fma_f32 v[86:87], v[82:83], v[80:81], v[84:85] op_sel_hi:[1,0,1]
	v_add_nc_u32_e32 v9, 1, v9
	v_pk_fma_f32 v[80:81], v[82:83], v[80:81], v[84:85] neg_lo:[0,0,1] neg_hi:[0,0,1]
	v_mov_b32_e32 v81, v87
	s_delay_alu instid0(VALU_DEP_3) | instskip(NEXT) | instid1(VALU_DEP_2)
	v_cmp_lt_u32_e32 vcc_lo, 20, v9
	v_pk_add_f32 v[78:79], v[78:79], v[80:81]
	s_or_b32 s1, vcc_lo, s1
	s_delay_alu instid0(SALU_CYCLE_1)
	s_and_not1_b32 exec_lo, exec_lo, s1
	s_cbranch_execnz .LBB100_101
; %bb.102:
	s_or_b32 exec_lo, exec_lo, s1
	v_mov_b32_e32 v9, 0
	ds_load_b64 v[80:81], v9 offset:176
	s_wait_dscnt 0x0
	v_pk_mul_f32 v[82:83], v[78:79], v[80:81] op_sel:[1,1] op_sel_hi:[0,1]
	s_delay_alu instid0(VALU_DEP_1) | instskip(SKIP_1) | instid1(VALU_DEP_2)
	v_pk_fma_f32 v[84:85], v[78:79], v[80:81], v[82:83] op_sel_hi:[1,0,1]
	v_pk_fma_f32 v[78:79], v[78:79], v[80:81], v[82:83] neg_lo:[0,0,1] neg_hi:[0,0,1]
	v_mov_b32_e32 v79, v85
	scratch_store_b64 off, v[78:79], off offset:176
.LBB100_103:
	s_wait_xcnt 0x0
	s_or_b32 exec_lo, exec_lo, s0
	s_wait_storecnt 0x0
	s_barrier_signal -1
	s_barrier_wait -1
	scratch_load_b64 v[78:79], off, off offset:184
	s_mov_b32 s0, exec_lo
	s_wait_loadcnt 0x0
	ds_store_b64 v1, v[78:79]
	s_wait_dscnt 0x0
	s_barrier_signal -1
	s_barrier_wait -1
	v_cmpx_gt_u32_e32 23, v0
	s_cbranch_execz .LBB100_107
; %bb.104:
	v_dual_mov_b32 v78, 0 :: v_dual_add_nc_u32 v9, -1, v0
	v_add_nc_u32_e32 v11, 0x130, v76
	v_mov_b32_e32 v13, v76
	s_mov_b32 s1, 0
	s_delay_alu instid0(VALU_DEP_3)
	v_mov_b32_e32 v79, v78
.LBB100_105:                            ; =>This Inner Loop Header: Depth=1
	scratch_load_b64 v[80:81], v13, off
	ds_load_b64 v[82:83], v11
	s_wait_xcnt 0x0
	v_dual_add_nc_u32 v11, 8, v11 :: v_dual_add_nc_u32 v13, 8, v13
	s_wait_loadcnt_dscnt 0x0
	v_pk_mul_f32 v[84:85], v[82:83], v[80:81] op_sel:[1,1] op_sel_hi:[0,1]
	s_delay_alu instid0(VALU_DEP_1) | instskip(SKIP_2) | instid1(VALU_DEP_3)
	v_pk_fma_f32 v[86:87], v[82:83], v[80:81], v[84:85] op_sel_hi:[1,0,1]
	v_add_nc_u32_e32 v9, 1, v9
	v_pk_fma_f32 v[80:81], v[82:83], v[80:81], v[84:85] neg_lo:[0,0,1] neg_hi:[0,0,1]
	v_mov_b32_e32 v81, v87
	s_delay_alu instid0(VALU_DEP_3) | instskip(NEXT) | instid1(VALU_DEP_2)
	v_cmp_lt_u32_e32 vcc_lo, 21, v9
	v_pk_add_f32 v[78:79], v[78:79], v[80:81]
	s_or_b32 s1, vcc_lo, s1
	s_delay_alu instid0(SALU_CYCLE_1)
	s_and_not1_b32 exec_lo, exec_lo, s1
	s_cbranch_execnz .LBB100_105
; %bb.106:
	s_or_b32 exec_lo, exec_lo, s1
	v_mov_b32_e32 v9, 0
	ds_load_b64 v[80:81], v9 offset:184
	s_wait_dscnt 0x0
	v_pk_mul_f32 v[82:83], v[78:79], v[80:81] op_sel:[1,1] op_sel_hi:[0,1]
	s_delay_alu instid0(VALU_DEP_1) | instskip(SKIP_1) | instid1(VALU_DEP_2)
	v_pk_fma_f32 v[84:85], v[78:79], v[80:81], v[82:83] op_sel_hi:[1,0,1]
	v_pk_fma_f32 v[78:79], v[78:79], v[80:81], v[82:83] neg_lo:[0,0,1] neg_hi:[0,0,1]
	v_mov_b32_e32 v79, v85
	scratch_store_b64 off, v[78:79], off offset:184
.LBB100_107:
	s_wait_xcnt 0x0
	s_or_b32 exec_lo, exec_lo, s0
	s_wait_storecnt 0x0
	s_barrier_signal -1
	s_barrier_wait -1
	scratch_load_b64 v[78:79], off, off offset:192
	;; [unrolled: 52-line block ×14, first 2 shown]
	s_mov_b32 s0, exec_lo
	s_wait_loadcnt 0x0
	ds_store_b64 v1, v[78:79]
	s_wait_dscnt 0x0
	s_barrier_signal -1
	s_barrier_wait -1
	v_cmpx_ne_u32_e32 36, v0
	s_cbranch_execz .LBB100_159
; %bb.156:
	v_dual_mov_b32 v78, 0 :: v_dual_mov_b32 v9, v76
	s_mov_b32 s1, 0
	s_delay_alu instid0(VALU_DEP_1)
	v_mov_b32_e32 v79, v78
.LBB100_157:                            ; =>This Inner Loop Header: Depth=1
	scratch_load_b64 v[76:77], v9, off
	ds_load_b64 v[80:81], v1
	v_add_nc_u32_e32 v1, 8, v1
	s_wait_xcnt 0x0
	v_add_nc_u32_e32 v9, 8, v9
	s_wait_loadcnt_dscnt 0x0
	v_pk_mul_f32 v[82:83], v[80:81], v[76:77] op_sel:[1,1] op_sel_hi:[0,1]
	s_delay_alu instid0(VALU_DEP_1) | instskip(SKIP_2) | instid1(VALU_DEP_3)
	v_pk_fma_f32 v[84:85], v[80:81], v[76:77], v[82:83] op_sel_hi:[1,0,1]
	v_add_nc_u32_e32 v7, 1, v7
	v_pk_fma_f32 v[76:77], v[80:81], v[76:77], v[82:83] neg_lo:[0,0,1] neg_hi:[0,0,1]
	v_mov_b32_e32 v77, v85
	s_delay_alu instid0(VALU_DEP_3) | instskip(NEXT) | instid1(VALU_DEP_2)
	v_cmp_lt_u32_e32 vcc_lo, 34, v7
	v_pk_add_f32 v[78:79], v[78:79], v[76:77]
	s_or_b32 s1, vcc_lo, s1
	s_delay_alu instid0(SALU_CYCLE_1)
	s_and_not1_b32 exec_lo, exec_lo, s1
	s_cbranch_execnz .LBB100_157
; %bb.158:
	s_or_b32 exec_lo, exec_lo, s1
	v_mov_b32_e32 v1, 0
	ds_load_b64 v[76:77], v1 offset:288
	s_wait_dscnt 0x0
	v_pk_mul_f32 v[80:81], v[78:79], v[76:77] op_sel:[1,1] op_sel_hi:[0,1]
	s_delay_alu instid0(VALU_DEP_1) | instskip(SKIP_1) | instid1(VALU_DEP_2)
	v_pk_fma_f32 v[82:83], v[78:79], v[76:77], v[80:81] op_sel_hi:[1,0,1]
	v_pk_fma_f32 v[76:77], v[78:79], v[76:77], v[80:81] neg_lo:[0,0,1] neg_hi:[0,0,1]
	v_mov_b32_e32 v77, v83
	scratch_store_b64 off, v[76:77], off offset:288
.LBB100_159:
	s_wait_xcnt 0x0
	s_or_b32 exec_lo, exec_lo, s0
	s_mov_b32 s1, -1
	s_wait_storecnt 0x0
	s_barrier_signal -1
	s_barrier_wait -1
.LBB100_160:
	s_and_b32 vcc_lo, exec_lo, s1
	s_cbranch_vccz .LBB100_162
; %bb.161:
	v_mov_b32_e32 v1, 0
	s_lshl_b64 s[0:1], s[10:11], 2
	s_delay_alu instid0(SALU_CYCLE_1)
	s_add_nc_u64 s[0:1], s[6:7], s[0:1]
	global_load_b32 v1, v1, s[0:1]
	s_wait_loadcnt 0x0
	v_cmp_ne_u32_e32 vcc_lo, 0, v1
	s_cbranch_vccz .LBB100_163
.LBB100_162:
	s_sendmsg sendmsg(MSG_DEALLOC_VGPRS)
	s_endpgm
.LBB100_163:
	s_wait_xcnt 0x0
	v_lshl_add_u32 v1, v0, 3, 0x130
	s_mov_b32 s0, exec_lo
	v_cmpx_eq_u32_e32 36, v0
	s_cbranch_execz .LBB100_165
; %bb.164:
	scratch_load_b64 v[76:77], off, off offset:280
	v_mov_b64_e32 v[78:79], 0
	scratch_store_b64 off, v[78:79], off offset:280
	s_wait_loadcnt 0x0
	ds_store_b64 v1, v[76:77]
.LBB100_165:
	s_wait_xcnt 0x0
	s_or_b32 exec_lo, exec_lo, s0
	s_wait_storecnt_dscnt 0x0
	s_barrier_signal -1
	s_barrier_wait -1
	s_clause 0x1
	scratch_load_b64 v[76:77], off, off offset:288
	scratch_load_b64 v[78:79], off, off offset:280
	v_mov_b32_e32 v7, 0
	s_mov_b32 s0, exec_lo
	ds_load_b64 v[80:81], v7 offset:592
	s_wait_loadcnt_dscnt 0x100
	v_pk_mul_f32 v[82:83], v[80:81], v[76:77] op_sel:[1,1] op_sel_hi:[0,1]
	s_delay_alu instid0(VALU_DEP_1) | instskip(SKIP_1) | instid1(VALU_DEP_2)
	v_pk_fma_f32 v[84:85], v[80:81], v[76:77], v[82:83] op_sel_hi:[1,0,1]
	v_pk_fma_f32 v[76:77], v[80:81], v[76:77], v[82:83] neg_lo:[0,0,1] neg_hi:[0,0,1]
	v_mov_b32_e32 v77, v85
	s_delay_alu instid0(VALU_DEP_1) | instskip(SKIP_1) | instid1(VALU_DEP_1)
	v_pk_add_f32 v[76:77], v[76:77], 0 op_sel_hi:[1,0]
	s_wait_loadcnt 0x0
	v_pk_add_f32 v[76:77], v[78:79], v[76:77] neg_lo:[0,1] neg_hi:[0,1]
	scratch_store_b64 off, v[76:77], off offset:280
	s_wait_xcnt 0x0
	v_cmpx_lt_u32_e32 34, v0
	s_cbranch_execz .LBB100_167
; %bb.166:
	scratch_load_b64 v[76:77], off, off offset:272
	v_mov_b64_e32 v[78:79], 0
	scratch_store_b64 off, v[78:79], off offset:272
	s_wait_loadcnt 0x0
	ds_store_b64 v1, v[76:77]
.LBB100_167:
	s_wait_xcnt 0x0
	s_or_b32 exec_lo, exec_lo, s0
	s_wait_storecnt_dscnt 0x0
	s_barrier_signal -1
	s_barrier_wait -1
	s_clause 0x1
	scratch_load_b128 v[76:79], off, off offset:280
	scratch_load_b64 v[84:85], off, off offset:272
	ds_load_2addr_b64 v[80:83], v7 offset0:73 offset1:74
	s_mov_b32 s0, exec_lo
	s_wait_dscnt 0x0
	v_dual_mov_b32 v86, v83 :: v_dual_mov_b32 v87, v82
	s_wait_loadcnt 0x1
	v_pk_mul_f32 v[88:89], v[80:81], v[76:77] op_sel:[1,1] op_sel_hi:[0,1]
	s_delay_alu instid0(VALU_DEP_1) | instskip(SKIP_2) | instid1(VALU_DEP_3)
	v_pk_fma_f32 v[92:93], v[80:81], v[76:77], v[88:89] op_sel_hi:[1,0,1]
	v_mov_b32_e32 v90, v79
	v_pk_fma_f32 v[76:77], v[80:81], v[76:77], v[88:89] neg_lo:[0,0,1] neg_hi:[0,0,1]
	v_mov_b32_e32 v77, v93
	s_delay_alu instid0(VALU_DEP_3) | instskip(NEXT) | instid1(VALU_DEP_2)
	v_pk_mul_f32 v[86:87], v[86:87], v[90:91] op_sel_hi:[1,0]
	v_pk_add_f32 v[76:77], v[76:77], 0 op_sel_hi:[1,0]
	s_delay_alu instid0(VALU_DEP_2) | instskip(SKIP_1) | instid1(VALU_DEP_2)
	v_pk_fma_f32 v[80:81], v[82:83], v[78:79], v[86:87] op_sel_hi:[1,0,1]
	v_pk_fma_f32 v[78:79], v[82:83], v[78:79], v[86:87] neg_lo:[0,0,1] neg_hi:[0,0,1]
	v_mov_b32_e32 v79, v81
	s_delay_alu instid0(VALU_DEP_1) | instskip(SKIP_1) | instid1(VALU_DEP_1)
	v_pk_add_f32 v[76:77], v[76:77], v[78:79]
	s_wait_loadcnt 0x0
	v_pk_add_f32 v[76:77], v[84:85], v[76:77] neg_lo:[0,1] neg_hi:[0,1]
	scratch_store_b64 off, v[76:77], off offset:272
	s_wait_xcnt 0x0
	v_cmpx_lt_u32_e32 33, v0
	s_cbranch_execz .LBB100_169
; %bb.168:
	scratch_load_b64 v[76:77], off, off offset:264
	v_mov_b64_e32 v[78:79], 0
	scratch_store_b64 off, v[78:79], off offset:264
	s_wait_loadcnt 0x0
	ds_store_b64 v1, v[76:77]
.LBB100_169:
	s_wait_xcnt 0x0
	s_or_b32 exec_lo, exec_lo, s0
	s_wait_storecnt_dscnt 0x0
	s_barrier_signal -1
	s_barrier_wait -1
	s_clause 0x2
	scratch_load_b128 v[76:79], off, off offset:272
	scratch_load_b64 v[84:85], off, off offset:288
	scratch_load_b64 v[86:87], off, off offset:264
	v_mov_b32_e32 v7, 0
	ds_load_b128 v[80:83], v7 offset:576
	ds_load_b64 v[88:89], v7 offset:592
	s_mov_b32 s0, exec_lo
	s_wait_dscnt 0x1
	v_dual_mov_b32 v90, v83 :: v_dual_mov_b32 v91, v82
	s_wait_loadcnt 0x2
	v_mov_b32_e32 v94, v79
	v_pk_mul_f32 v[92:93], v[80:81], v[76:77] op_sel:[1,1] op_sel_hi:[0,1]
	s_delay_alu instid0(VALU_DEP_2) | instskip(NEXT) | instid1(VALU_DEP_2)
	v_pk_mul_f32 v[90:91], v[90:91], v[94:95] op_sel_hi:[1,0]
	v_pk_fma_f32 v[96:97], v[80:81], v[76:77], v[92:93] op_sel_hi:[1,0,1]
	v_pk_fma_f32 v[76:77], v[80:81], v[76:77], v[92:93] neg_lo:[0,0,1] neg_hi:[0,0,1]
	s_wait_loadcnt_dscnt 0x100
	v_pk_mul_f32 v[92:93], v[88:89], v[84:85] op_sel:[1,1] op_sel_hi:[0,1]
	v_pk_fma_f32 v[80:81], v[82:83], v[78:79], v[90:91] op_sel_hi:[1,0,1]
	v_mov_b32_e32 v77, v97
	v_pk_fma_f32 v[78:79], v[82:83], v[78:79], v[90:91] neg_lo:[0,0,1] neg_hi:[0,0,1]
	s_delay_alu instid0(VALU_DEP_4) | instskip(NEXT) | instid1(VALU_DEP_4)
	v_pk_fma_f32 v[82:83], v[88:89], v[84:85], v[92:93] neg_lo:[0,0,1] neg_hi:[0,0,1]
	v_mov_b32_e32 v79, v81
	s_delay_alu instid0(VALU_DEP_4) | instskip(SKIP_1) | instid1(VALU_DEP_2)
	v_pk_add_f32 v[76:77], v[76:77], 0 op_sel_hi:[1,0]
	v_pk_fma_f32 v[80:81], v[88:89], v[84:85], v[92:93] op_sel_hi:[1,0,1]
	v_pk_add_f32 v[76:77], v[76:77], v[78:79]
	s_delay_alu instid0(VALU_DEP_2) | instskip(NEXT) | instid1(VALU_DEP_1)
	v_mov_b32_e32 v83, v81
	v_pk_add_f32 v[76:77], v[76:77], v[82:83]
	s_wait_loadcnt 0x0
	s_delay_alu instid0(VALU_DEP_1)
	v_pk_add_f32 v[76:77], v[86:87], v[76:77] neg_lo:[0,1] neg_hi:[0,1]
	scratch_store_b64 off, v[76:77], off offset:264
	s_wait_xcnt 0x0
	v_cmpx_lt_u32_e32 32, v0
	s_cbranch_execz .LBB100_171
; %bb.170:
	scratch_load_b64 v[76:77], off, off offset:256
	v_mov_b64_e32 v[78:79], 0
	scratch_store_b64 off, v[78:79], off offset:256
	s_wait_loadcnt 0x0
	ds_store_b64 v1, v[76:77]
.LBB100_171:
	s_wait_xcnt 0x0
	s_or_b32 exec_lo, exec_lo, s0
	s_wait_storecnt_dscnt 0x0
	s_barrier_signal -1
	s_barrier_wait -1
	s_clause 0x2
	scratch_load_b128 v[76:79], off, off offset:264
	scratch_load_b128 v[80:83], off, off offset:280
	scratch_load_b64 v[92:93], off, off offset:256
	ds_load_2addr_b64 v[84:87], v7 offset0:71 offset1:72
	ds_load_2addr_b64 v[88:91], v7 offset0:73 offset1:74
	s_mov_b32 s0, exec_lo
	s_wait_dscnt 0x1
	v_dual_mov_b32 v94, v87 :: v_dual_mov_b32 v95, v86
	s_wait_loadcnt_dscnt 0x200
	v_dual_mov_b32 v100, v91 :: v_dual_mov_b32 v98, v79
	v_pk_mul_f32 v[96:97], v[84:85], v[76:77] op_sel:[1,1] op_sel_hi:[0,1]
	s_delay_alu instid0(VALU_DEP_2) | instskip(NEXT) | instid1(VALU_DEP_2)
	v_pk_mul_f32 v[94:95], v[94:95], v[98:99] op_sel_hi:[1,0]
	v_pk_fma_f32 v[102:103], v[84:85], v[76:77], v[96:97] op_sel_hi:[1,0,1]
	v_pk_fma_f32 v[76:77], v[84:85], v[76:77], v[96:97] neg_lo:[0,0,1] neg_hi:[0,0,1]
	v_mov_b32_e32 v101, v90
	s_wait_loadcnt 0x1
	v_pk_mul_f32 v[98:99], v[88:89], v[80:81] op_sel:[1,1] op_sel_hi:[0,1]
	v_pk_fma_f32 v[84:85], v[86:87], v[78:79], v[94:95] op_sel_hi:[1,0,1]
	v_dual_mov_b32 v77, v103 :: v_dual_mov_b32 v84, v83
	v_pk_fma_f32 v[78:79], v[86:87], v[78:79], v[94:95] neg_lo:[0,0,1] neg_hi:[0,0,1]
	s_delay_alu instid0(VALU_DEP_4) | instskip(NEXT) | instid1(VALU_DEP_4)
	v_pk_fma_f32 v[96:97], v[88:89], v[80:81], v[98:99] op_sel_hi:[1,0,1]
	v_mov_b32_e32 v79, v85
	s_delay_alu instid0(VALU_DEP_4) | instskip(SKIP_2) | instid1(VALU_DEP_3)
	v_pk_add_f32 v[76:77], v[76:77], 0 op_sel_hi:[1,0]
	v_pk_mul_f32 v[84:85], v[100:101], v[84:85] op_sel_hi:[1,0]
	v_pk_fma_f32 v[80:81], v[88:89], v[80:81], v[98:99] neg_lo:[0,0,1] neg_hi:[0,0,1]
	v_pk_add_f32 v[76:77], v[76:77], v[78:79]
	s_delay_alu instid0(VALU_DEP_3) | instskip(SKIP_2) | instid1(VALU_DEP_3)
	v_pk_fma_f32 v[78:79], v[90:91], v[82:83], v[84:85] op_sel_hi:[1,0,1]
	v_mov_b32_e32 v81, v97
	v_pk_fma_f32 v[82:83], v[90:91], v[82:83], v[84:85] neg_lo:[0,0,1] neg_hi:[0,0,1]
	v_mov_b32_e32 v83, v79
	s_delay_alu instid0(VALU_DEP_3) | instskip(NEXT) | instid1(VALU_DEP_1)
	v_pk_add_f32 v[76:77], v[76:77], v[80:81]
	v_pk_add_f32 v[76:77], v[76:77], v[82:83]
	s_wait_loadcnt 0x0
	s_delay_alu instid0(VALU_DEP_1)
	v_pk_add_f32 v[76:77], v[92:93], v[76:77] neg_lo:[0,1] neg_hi:[0,1]
	scratch_store_b64 off, v[76:77], off offset:256
	s_wait_xcnt 0x0
	v_cmpx_lt_u32_e32 31, v0
	s_cbranch_execz .LBB100_173
; %bb.172:
	scratch_load_b64 v[76:77], off, off offset:248
	v_mov_b64_e32 v[78:79], 0
	scratch_store_b64 off, v[78:79], off offset:248
	s_wait_loadcnt 0x0
	ds_store_b64 v1, v[76:77]
.LBB100_173:
	s_wait_xcnt 0x0
	s_or_b32 exec_lo, exec_lo, s0
	s_wait_storecnt_dscnt 0x0
	s_barrier_signal -1
	s_barrier_wait -1
	s_clause 0x3
	scratch_load_b128 v[76:79], off, off offset:256
	scratch_load_b128 v[80:83], off, off offset:272
	scratch_load_b64 v[92:93], off, off offset:288
	scratch_load_b64 v[94:95], off, off offset:248
	v_mov_b32_e32 v7, 0
	ds_load_b128 v[84:87], v7 offset:560
	ds_load_b128 v[88:91], v7 offset:576
	s_mov_b32 s0, exec_lo
	s_wait_dscnt 0x1
	v_dual_mov_b32 v96, v87 :: v_dual_mov_b32 v97, v86
	ds_load_b64 v[102:103], v7 offset:592
	s_wait_dscnt 0x1
	v_dual_mov_b32 v104, v91 :: v_dual_mov_b32 v105, v90
	s_wait_loadcnt 0x3
	v_pk_mul_f32 v[98:99], v[84:85], v[76:77] op_sel:[1,1] op_sel_hi:[0,1]
	v_mov_b32_e32 v100, v79
	s_delay_alu instid0(VALU_DEP_2) | instskip(NEXT) | instid1(VALU_DEP_2)
	v_pk_fma_f32 v[106:107], v[84:85], v[76:77], v[98:99] op_sel_hi:[1,0,1]
	v_pk_mul_f32 v[96:97], v[96:97], v[100:101] op_sel_hi:[1,0]
	v_pk_fma_f32 v[76:77], v[84:85], v[76:77], v[98:99] neg_lo:[0,0,1] neg_hi:[0,0,1]
	s_wait_loadcnt 0x2
	v_pk_mul_f32 v[100:101], v[88:89], v[80:81] op_sel:[1,1] op_sel_hi:[0,1]
	v_dual_mov_b32 v106, v83 :: v_dual_mov_b32 v77, v107
	v_pk_fma_f32 v[84:85], v[86:87], v[78:79], v[96:97] op_sel_hi:[1,0,1]
	v_pk_fma_f32 v[78:79], v[86:87], v[78:79], v[96:97] neg_lo:[0,0,1] neg_hi:[0,0,1]
	s_delay_alu instid0(VALU_DEP_4) | instskip(NEXT) | instid1(VALU_DEP_4)
	v_pk_fma_f32 v[98:99], v[88:89], v[80:81], v[100:101] op_sel_hi:[1,0,1]
	v_pk_mul_f32 v[104:105], v[104:105], v[106:107] op_sel_hi:[1,0]
	v_pk_add_f32 v[76:77], v[76:77], 0 op_sel_hi:[1,0]
	v_mov_b32_e32 v79, v85
	v_pk_fma_f32 v[80:81], v[88:89], v[80:81], v[100:101] neg_lo:[0,0,1] neg_hi:[0,0,1]
	v_mov_b32_e32 v81, v99
	v_pk_fma_f32 v[84:85], v[90:91], v[82:83], v[104:105] op_sel_hi:[1,0,1]
	v_pk_fma_f32 v[82:83], v[90:91], v[82:83], v[104:105] neg_lo:[0,0,1] neg_hi:[0,0,1]
	v_pk_add_f32 v[76:77], v[76:77], v[78:79]
	s_wait_loadcnt_dscnt 0x100
	v_pk_mul_f32 v[78:79], v[102:103], v[92:93] op_sel:[1,1] op_sel_hi:[0,1]
	s_delay_alu instid0(VALU_DEP_2) | instskip(NEXT) | instid1(VALU_DEP_2)
	v_pk_add_f32 v[76:77], v[76:77], v[80:81]
	v_pk_fma_f32 v[80:81], v[102:103], v[92:93], v[78:79] op_sel_hi:[1,0,1]
	v_mov_b32_e32 v83, v85
	v_pk_fma_f32 v[78:79], v[102:103], v[92:93], v[78:79] neg_lo:[0,0,1] neg_hi:[0,0,1]
	s_delay_alu instid0(VALU_DEP_3) | instskip(NEXT) | instid1(VALU_DEP_3)
	v_mov_b32_e32 v79, v81
	v_pk_add_f32 v[76:77], v[76:77], v[82:83]
	s_delay_alu instid0(VALU_DEP_1) | instskip(SKIP_1) | instid1(VALU_DEP_1)
	v_pk_add_f32 v[76:77], v[76:77], v[78:79]
	s_wait_loadcnt 0x0
	v_pk_add_f32 v[76:77], v[94:95], v[76:77] neg_lo:[0,1] neg_hi:[0,1]
	scratch_store_b64 off, v[76:77], off offset:248
	s_wait_xcnt 0x0
	v_cmpx_lt_u32_e32 30, v0
	s_cbranch_execz .LBB100_175
; %bb.174:
	scratch_load_b64 v[76:77], off, off offset:240
	v_mov_b64_e32 v[78:79], 0
	scratch_store_b64 off, v[78:79], off offset:240
	s_wait_loadcnt 0x0
	ds_store_b64 v1, v[76:77]
.LBB100_175:
	s_wait_xcnt 0x0
	s_or_b32 exec_lo, exec_lo, s0
	s_wait_storecnt_dscnt 0x0
	s_barrier_signal -1
	s_barrier_wait -1
	s_clause 0x3
	scratch_load_b128 v[76:79], off, off offset:248
	scratch_load_b128 v[80:83], off, off offset:264
	;; [unrolled: 1-line block ×3, first 2 shown]
	scratch_load_b64 v[100:101], off, off offset:240
	ds_load_2addr_b64 v[88:91], v7 offset0:69 offset1:70
	ds_load_2addr_b64 v[92:95], v7 offset0:71 offset1:72
	;; [unrolled: 1-line block ×3, first 2 shown]
	s_mov_b32 s0, exec_lo
	s_wait_dscnt 0x2
	v_dual_mov_b32 v102, v91 :: v_dual_mov_b32 v103, v90
	s_wait_dscnt 0x1
	v_dual_mov_b32 v104, v95 :: v_dual_mov_b32 v105, v94
	;; [unrolled: 2-line block ×3, first 2 shown]
	s_wait_loadcnt 0x3
	v_pk_mul_f32 v[106:107], v[88:89], v[76:77] op_sel:[1,1] op_sel_hi:[0,1]
	v_mov_b32_e32 v108, v79
	s_delay_alu instid0(VALU_DEP_2) | instskip(NEXT) | instid1(VALU_DEP_2)
	v_pk_fma_f32 v[112:113], v[88:89], v[76:77], v[106:107] op_sel_hi:[1,0,1]
	v_pk_mul_f32 v[102:103], v[102:103], v[108:109] op_sel_hi:[1,0]
	v_pk_fma_f32 v[76:77], v[88:89], v[76:77], v[106:107] neg_lo:[0,0,1] neg_hi:[0,0,1]
	s_wait_loadcnt 0x2
	v_pk_mul_f32 v[108:109], v[92:93], v[80:81] op_sel:[1,1] op_sel_hi:[0,1]
	v_mov_b32_e32 v112, v83
	v_pk_fma_f32 v[88:89], v[90:91], v[78:79], v[102:103] op_sel_hi:[1,0,1]
	v_mov_b32_e32 v77, v113
	v_pk_fma_f32 v[78:79], v[90:91], v[78:79], v[102:103] neg_lo:[0,0,1] neg_hi:[0,0,1]
	v_pk_fma_f32 v[106:107], v[92:93], v[80:81], v[108:109] op_sel_hi:[1,0,1]
	v_pk_mul_f32 v[104:105], v[104:105], v[112:113] op_sel_hi:[1,0]
	v_mov_b32_e32 v79, v89
	v_pk_add_f32 v[76:77], v[76:77], 0 op_sel_hi:[1,0]
	v_pk_fma_f32 v[80:81], v[92:93], v[80:81], v[108:109] neg_lo:[0,0,1] neg_hi:[0,0,1]
	s_wait_loadcnt 0x1
	v_pk_mul_f32 v[88:89], v[96:97], v[84:85] op_sel:[1,1] op_sel_hi:[0,1]
	v_mov_b32_e32 v81, v107
	v_pk_fma_f32 v[90:91], v[94:95], v[82:83], v[104:105] op_sel_hi:[1,0,1]
	v_pk_add_f32 v[76:77], v[76:77], v[78:79]
	v_mov_b32_e32 v78, v87
	v_pk_fma_f32 v[82:83], v[94:95], v[82:83], v[104:105] neg_lo:[0,0,1] neg_hi:[0,0,1]
	v_pk_fma_f32 v[92:93], v[96:97], v[84:85], v[88:89] op_sel_hi:[1,0,1]
	v_mov_b32_e32 v83, v91
	v_pk_add_f32 v[76:77], v[76:77], v[80:81]
	v_pk_mul_f32 v[78:79], v[110:111], v[78:79] op_sel_hi:[1,0]
	v_pk_fma_f32 v[80:81], v[96:97], v[84:85], v[88:89] neg_lo:[0,0,1] neg_hi:[0,0,1]
	v_mov_b32_e32 v81, v93
	s_delay_alu instid0(VALU_DEP_4) | instskip(NEXT) | instid1(VALU_DEP_4)
	v_pk_add_f32 v[76:77], v[76:77], v[82:83]
	v_pk_fma_f32 v[82:83], v[98:99], v[86:87], v[78:79] op_sel_hi:[1,0,1]
	v_pk_fma_f32 v[78:79], v[98:99], v[86:87], v[78:79] neg_lo:[0,0,1] neg_hi:[0,0,1]
	s_delay_alu instid0(VALU_DEP_3) | instskip(NEXT) | instid1(VALU_DEP_3)
	v_pk_add_f32 v[76:77], v[76:77], v[80:81]
	v_mov_b32_e32 v79, v83
	s_delay_alu instid0(VALU_DEP_1) | instskip(SKIP_1) | instid1(VALU_DEP_1)
	v_pk_add_f32 v[76:77], v[76:77], v[78:79]
	s_wait_loadcnt 0x0
	v_pk_add_f32 v[76:77], v[100:101], v[76:77] neg_lo:[0,1] neg_hi:[0,1]
	scratch_store_b64 off, v[76:77], off offset:240
	s_wait_xcnt 0x0
	v_cmpx_lt_u32_e32 29, v0
	s_cbranch_execz .LBB100_177
; %bb.176:
	scratch_load_b64 v[76:77], off, off offset:232
	v_mov_b64_e32 v[78:79], 0
	scratch_store_b64 off, v[78:79], off offset:232
	s_wait_loadcnt 0x0
	ds_store_b64 v1, v[76:77]
.LBB100_177:
	s_wait_xcnt 0x0
	s_or_b32 exec_lo, exec_lo, s0
	s_wait_storecnt_dscnt 0x0
	s_barrier_signal -1
	s_barrier_wait -1
	s_clause 0x4
	scratch_load_b128 v[76:79], off, off offset:240
	scratch_load_b128 v[80:83], off, off offset:256
	;; [unrolled: 1-line block ×3, first 2 shown]
	scratch_load_b64 v[100:101], off, off offset:288
	scratch_load_b64 v[102:103], off, off offset:232
	v_mov_b32_e32 v7, 0
	ds_load_b128 v[88:91], v7 offset:544
	ds_load_b128 v[92:95], v7 offset:560
	;; [unrolled: 1-line block ×3, first 2 shown]
	ds_load_b64 v[104:105], v7 offset:592
	s_mov_b32 s0, exec_lo
	s_wait_dscnt 0x3
	v_dual_mov_b32 v106, v91 :: v_dual_mov_b32 v107, v90
	s_wait_dscnt 0x2
	v_dual_mov_b32 v108, v95 :: v_dual_mov_b32 v109, v94
	s_wait_dscnt 0x1
	v_dual_mov_b32 v114, v99 :: v_dual_mov_b32 v115, v98
	s_wait_loadcnt 0x4
	v_pk_mul_f32 v[110:111], v[88:89], v[76:77] op_sel:[1,1] op_sel_hi:[0,1]
	v_mov_b32_e32 v112, v79
	s_wait_loadcnt 0x3
	v_pk_mul_f32 v[116:117], v[92:93], v[80:81] op_sel:[1,1] op_sel_hi:[0,1]
	s_wait_loadcnt 0x2
	v_pk_mul_f32 v[120:121], v[96:97], v[84:85] op_sel:[1,1] op_sel_hi:[0,1]
	v_pk_fma_f32 v[118:119], v[88:89], v[76:77], v[110:111] op_sel_hi:[1,0,1]
	v_pk_mul_f32 v[106:107], v[106:107], v[112:113] op_sel_hi:[1,0]
	v_pk_fma_f32 v[76:77], v[88:89], v[76:77], v[110:111] neg_lo:[0,0,1] neg_hi:[0,0,1]
	v_mov_b32_e32 v112, v83
	v_pk_fma_f32 v[110:111], v[92:93], v[80:81], v[116:117] op_sel_hi:[1,0,1]
	v_mov_b32_e32 v77, v119
	v_pk_fma_f32 v[88:89], v[90:91], v[78:79], v[106:107] op_sel_hi:[1,0,1]
	v_pk_fma_f32 v[78:79], v[90:91], v[78:79], v[106:107] neg_lo:[0,0,1] neg_hi:[0,0,1]
	v_pk_mul_f32 v[108:109], v[108:109], v[112:113] op_sel_hi:[1,0]
	v_pk_fma_f32 v[80:81], v[92:93], v[80:81], v[116:117] neg_lo:[0,0,1] neg_hi:[0,0,1]
	v_pk_add_f32 v[76:77], v[76:77], 0 op_sel_hi:[1,0]
	v_dual_mov_b32 v79, v89 :: v_dual_mov_b32 v88, v87
	s_delay_alu instid0(VALU_DEP_4) | instskip(SKIP_2) | instid1(VALU_DEP_4)
	v_pk_fma_f32 v[90:91], v[94:95], v[82:83], v[108:109] op_sel_hi:[1,0,1]
	v_mov_b32_e32 v81, v111
	v_pk_fma_f32 v[82:83], v[94:95], v[82:83], v[108:109] neg_lo:[0,0,1] neg_hi:[0,0,1]
	v_pk_add_f32 v[76:77], v[76:77], v[78:79]
	v_pk_fma_f32 v[78:79], v[96:97], v[84:85], v[120:121] op_sel_hi:[1,0,1]
	v_pk_mul_f32 v[88:89], v[114:115], v[88:89] op_sel_hi:[1,0]
	v_mov_b32_e32 v83, v91
	s_delay_alu instid0(VALU_DEP_4)
	v_pk_add_f32 v[76:77], v[76:77], v[80:81]
	v_pk_fma_f32 v[80:81], v[96:97], v[84:85], v[120:121] neg_lo:[0,0,1] neg_hi:[0,0,1]
	v_mov_b32_e32 v81, v79
	v_pk_fma_f32 v[78:79], v[98:99], v[86:87], v[88:89] op_sel_hi:[1,0,1]
	v_pk_fma_f32 v[84:85], v[98:99], v[86:87], v[88:89] neg_lo:[0,0,1] neg_hi:[0,0,1]
	v_pk_add_f32 v[76:77], v[76:77], v[82:83]
	s_wait_loadcnt_dscnt 0x100
	v_pk_mul_f32 v[82:83], v[104:105], v[100:101] op_sel:[1,1] op_sel_hi:[0,1]
	v_mov_b32_e32 v85, v79
	s_delay_alu instid0(VALU_DEP_3) | instskip(NEXT) | instid1(VALU_DEP_3)
	v_pk_add_f32 v[76:77], v[76:77], v[80:81]
	v_pk_fma_f32 v[78:79], v[104:105], v[100:101], v[82:83] op_sel_hi:[1,0,1]
	v_pk_fma_f32 v[80:81], v[104:105], v[100:101], v[82:83] neg_lo:[0,0,1] neg_hi:[0,0,1]
	s_delay_alu instid0(VALU_DEP_3) | instskip(NEXT) | instid1(VALU_DEP_3)
	v_pk_add_f32 v[76:77], v[76:77], v[84:85]
	v_mov_b32_e32 v81, v79
	s_delay_alu instid0(VALU_DEP_1) | instskip(SKIP_1) | instid1(VALU_DEP_1)
	v_pk_add_f32 v[76:77], v[76:77], v[80:81]
	s_wait_loadcnt 0x0
	v_pk_add_f32 v[76:77], v[102:103], v[76:77] neg_lo:[0,1] neg_hi:[0,1]
	scratch_store_b64 off, v[76:77], off offset:232
	s_wait_xcnt 0x0
	v_cmpx_lt_u32_e32 28, v0
	s_cbranch_execz .LBB100_179
; %bb.178:
	scratch_load_b64 v[76:77], off, off offset:224
	v_mov_b64_e32 v[78:79], 0
	scratch_store_b64 off, v[78:79], off offset:224
	s_wait_loadcnt 0x0
	ds_store_b64 v1, v[76:77]
.LBB100_179:
	s_wait_xcnt 0x0
	s_or_b32 exec_lo, exec_lo, s0
	s_wait_storecnt_dscnt 0x0
	s_barrier_signal -1
	s_barrier_wait -1
	s_clause 0x4
	scratch_load_b128 v[76:79], off, off offset:232
	scratch_load_b128 v[80:83], off, off offset:248
	;; [unrolled: 1-line block ×4, first 2 shown]
	scratch_load_b64 v[108:109], off, off offset:224
	ds_load_2addr_b64 v[92:95], v7 offset0:67 offset1:68
	ds_load_2addr_b64 v[96:99], v7 offset0:69 offset1:70
	ds_load_2addr_b64 v[100:103], v7 offset0:71 offset1:72
	ds_load_2addr_b64 v[104:107], v7 offset0:73 offset1:74
	s_mov_b32 s0, exec_lo
	s_wait_dscnt 0x3
	v_dual_mov_b32 v110, v95 :: v_dual_mov_b32 v111, v94
	s_wait_dscnt 0x2
	v_dual_mov_b32 v112, v99 :: v_dual_mov_b32 v113, v98
	;; [unrolled: 2-line block ×3, first 2 shown]
	v_dual_mov_b32 v115, v102 :: v_dual_mov_b32 v120, v107
	s_wait_loadcnt 0x4
	v_mov_b32_e32 v118, v79
	v_pk_mul_f32 v[116:117], v[92:93], v[76:77] op_sel:[1,1] op_sel_hi:[0,1]
	s_wait_loadcnt 0x3
	v_pk_mul_f32 v[122:123], v[96:97], v[80:81] op_sel:[1,1] op_sel_hi:[0,1]
	s_wait_loadcnt 0x2
	v_pk_mul_f32 v[126:127], v[100:101], v[84:85] op_sel:[1,1] op_sel_hi:[0,1]
	v_pk_mul_f32 v[110:111], v[110:111], v[118:119] op_sel_hi:[1,0]
	v_pk_fma_f32 v[124:125], v[92:93], v[76:77], v[116:117] op_sel_hi:[1,0,1]
	v_pk_fma_f32 v[76:77], v[92:93], v[76:77], v[116:117] neg_lo:[0,0,1] neg_hi:[0,0,1]
	v_mov_b32_e32 v118, v83
	v_pk_fma_f32 v[116:117], v[96:97], v[80:81], v[122:123] op_sel_hi:[1,0,1]
	v_pk_fma_f32 v[92:93], v[94:95], v[78:79], v[110:111] op_sel_hi:[1,0,1]
	v_mov_b32_e32 v77, v125
	v_pk_fma_f32 v[78:79], v[94:95], v[78:79], v[110:111] neg_lo:[0,0,1] neg_hi:[0,0,1]
	v_pk_mul_f32 v[112:113], v[112:113], v[118:119] op_sel_hi:[1,0]
	s_delay_alu instid0(VALU_DEP_4) | instskip(NEXT) | instid1(VALU_DEP_4)
	v_dual_mov_b32 v92, v87 :: v_dual_mov_b32 v79, v93
	v_pk_add_f32 v[76:77], v[76:77], 0 op_sel_hi:[1,0]
	v_pk_fma_f32 v[80:81], v[96:97], v[80:81], v[122:123] neg_lo:[0,0,1] neg_hi:[0,0,1]
	v_mov_b32_e32 v81, v117
	v_pk_fma_f32 v[94:95], v[98:99], v[82:83], v[112:113] op_sel_hi:[1,0,1]
	v_pk_mul_f32 v[92:93], v[114:115], v[92:93] op_sel_hi:[1,0]
	v_pk_add_f32 v[76:77], v[76:77], v[78:79]
	v_pk_fma_f32 v[78:79], v[100:101], v[84:85], v[126:127] op_sel_hi:[1,0,1]
	v_pk_fma_f32 v[82:83], v[98:99], v[82:83], v[112:113] neg_lo:[0,0,1] neg_hi:[0,0,1]
	v_mov_b32_e32 v83, v95
	v_pk_fma_f32 v[84:85], v[100:101], v[84:85], v[126:127] neg_lo:[0,0,1] neg_hi:[0,0,1]
	v_pk_add_f32 v[76:77], v[76:77], v[80:81]
	v_mov_b32_e32 v85, v79
	v_pk_fma_f32 v[78:79], v[102:103], v[86:87], v[92:93] op_sel_hi:[1,0,1]
	s_wait_loadcnt 0x1
	v_pk_mul_f32 v[80:81], v[104:105], v[88:89] op_sel:[1,1] op_sel_hi:[0,1]
	v_mov_b32_e32 v78, v91
	v_pk_add_f32 v[76:77], v[76:77], v[82:83]
	v_pk_fma_f32 v[86:87], v[102:103], v[86:87], v[92:93] neg_lo:[0,0,1] neg_hi:[0,0,1]
	v_mov_b32_e32 v87, v79
	v_pk_fma_f32 v[82:83], v[104:105], v[88:89], v[80:81] op_sel_hi:[1,0,1]
	v_pk_mul_f32 v[78:79], v[120:121], v[78:79] op_sel_hi:[1,0]
	v_pk_add_f32 v[76:77], v[76:77], v[84:85]
	v_pk_fma_f32 v[80:81], v[104:105], v[88:89], v[80:81] neg_lo:[0,0,1] neg_hi:[0,0,1]
	s_delay_alu instid0(VALU_DEP_4) | instskip(NEXT) | instid1(VALU_DEP_4)
	v_mov_b32_e32 v81, v83
	v_pk_fma_f32 v[82:83], v[106:107], v[90:91], v[78:79] op_sel_hi:[1,0,1]
	s_delay_alu instid0(VALU_DEP_4) | instskip(SKIP_1) | instid1(VALU_DEP_3)
	v_pk_add_f32 v[76:77], v[76:77], v[86:87]
	v_pk_fma_f32 v[78:79], v[106:107], v[90:91], v[78:79] neg_lo:[0,0,1] neg_hi:[0,0,1]
	v_mov_b32_e32 v79, v83
	s_delay_alu instid0(VALU_DEP_3) | instskip(NEXT) | instid1(VALU_DEP_1)
	v_pk_add_f32 v[76:77], v[76:77], v[80:81]
	v_pk_add_f32 v[76:77], v[76:77], v[78:79]
	s_wait_loadcnt 0x0
	s_delay_alu instid0(VALU_DEP_1)
	v_pk_add_f32 v[76:77], v[108:109], v[76:77] neg_lo:[0,1] neg_hi:[0,1]
	scratch_store_b64 off, v[76:77], off offset:224
	s_wait_xcnt 0x0
	v_cmpx_lt_u32_e32 27, v0
	s_cbranch_execz .LBB100_181
; %bb.180:
	scratch_load_b64 v[76:77], off, off offset:216
	v_mov_b64_e32 v[78:79], 0
	scratch_store_b64 off, v[78:79], off offset:216
	s_wait_loadcnt 0x0
	ds_store_b64 v1, v[76:77]
.LBB100_181:
	s_wait_xcnt 0x0
	s_or_b32 exec_lo, exec_lo, s0
	s_wait_storecnt_dscnt 0x0
	s_barrier_signal -1
	s_barrier_wait -1
	s_clause 0x5
	scratch_load_b128 v[76:79], off, off offset:224
	scratch_load_b128 v[80:83], off, off offset:240
	;; [unrolled: 1-line block ×4, first 2 shown]
	scratch_load_b64 v[108:109], off, off offset:288
	scratch_load_b64 v[110:111], off, off offset:216
	v_mov_b32_e32 v7, 0
	ds_load_b128 v[92:95], v7 offset:528
	ds_load_b128 v[96:99], v7 offset:544
	;; [unrolled: 1-line block ×4, first 2 shown]
	ds_load_b64 v[112:113], v7 offset:592
	s_mov_b32 s0, exec_lo
	s_wait_dscnt 0x4
	v_dual_mov_b32 v114, v95 :: v_dual_mov_b32 v115, v94
	s_wait_dscnt 0x1
	v_dual_mov_b32 v116, v99 :: v_dual_mov_b32 v121, v106
	v_dual_mov_b32 v117, v98 :: v_dual_mov_b32 v118, v103
	;; [unrolled: 1-line block ×3, first 2 shown]
	s_wait_loadcnt 0x5
	v_dual_mov_b32 v122, v79 :: v_dual_mul_f32 v123, v92, v77
	v_mul_f32_e32 v9, v93, v77
	s_wait_loadcnt 0x4
	v_pk_mul_f32 v[124:125], v[96:97], v[80:81] op_sel:[1,1] op_sel_hi:[0,1]
	v_mov_b32_e32 v126, v83
	s_wait_loadcnt 0x3
	v_pk_mul_f32 v[128:129], v[100:101], v[84:85] op_sel:[1,1] op_sel_hi:[0,1]
	v_pk_mul_f32 v[114:115], v[114:115], v[122:123] op_sel_hi:[1,0]
	v_dual_fmac_f32 v123, v93, v76 :: v_dual_fma_f32 v122, v92, v76, -v9
	v_mov_b32_e32 v76, v87
	v_pk_fma_f32 v[130:131], v[96:97], v[80:81], v[124:125] op_sel_hi:[1,0,1]
	s_delay_alu instid0(VALU_DEP_4)
	v_pk_fma_f32 v[92:93], v[94:95], v[78:79], v[114:115] op_sel_hi:[1,0,1]
	v_pk_fma_f32 v[78:79], v[94:95], v[78:79], v[114:115] neg_lo:[0,0,1] neg_hi:[0,0,1]
	v_pk_mul_f32 v[116:117], v[116:117], v[126:127] op_sel_hi:[1,0]
	v_pk_add_f32 v[122:123], v[122:123], 0 op_sel_hi:[1,0]
	v_pk_fma_f32 v[80:81], v[96:97], v[80:81], v[124:125] neg_lo:[0,0,1] neg_hi:[0,0,1]
	v_dual_mov_b32 v79, v93 :: v_dual_mov_b32 v81, v131
	s_delay_alu instid0(VALU_DEP_4) | instskip(SKIP_2) | instid1(VALU_DEP_4)
	v_pk_fma_f32 v[94:95], v[98:99], v[82:83], v[116:117] op_sel_hi:[1,0,1]
	v_pk_fma_f32 v[82:83], v[98:99], v[82:83], v[116:117] neg_lo:[0,0,1] neg_hi:[0,0,1]
	v_pk_fma_f32 v[96:97], v[100:101], v[84:85], v[128:129] op_sel_hi:[1,0,1]
	v_pk_add_f32 v[78:79], v[122:123], v[78:79]
	v_pk_mul_f32 v[76:77], v[118:119], v[76:77] op_sel_hi:[1,0]
	v_mov_b32_e32 v83, v95
	v_pk_fma_f32 v[84:85], v[100:101], v[84:85], v[128:129] neg_lo:[0,0,1] neg_hi:[0,0,1]
	s_wait_loadcnt 0x2
	v_pk_mul_f32 v[92:93], v[104:105], v[88:89] op_sel:[1,1] op_sel_hi:[0,1]
	v_pk_add_f32 v[78:79], v[78:79], v[80:81]
	v_mov_b32_e32 v80, v91
	v_pk_fma_f32 v[94:95], v[102:103], v[86:87], v[76:77] op_sel_hi:[1,0,1]
	v_mov_b32_e32 v85, v97
	v_pk_fma_f32 v[76:77], v[102:103], v[86:87], v[76:77] neg_lo:[0,0,1] neg_hi:[0,0,1]
	v_pk_add_f32 v[78:79], v[78:79], v[82:83]
	v_pk_fma_f32 v[82:83], v[104:105], v[88:89], v[92:93] op_sel_hi:[1,0,1]
	v_pk_mul_f32 v[80:81], v[120:121], v[80:81] op_sel_hi:[1,0]
	v_mov_b32_e32 v77, v95
	s_delay_alu instid0(VALU_DEP_4)
	v_pk_add_f32 v[78:79], v[78:79], v[84:85]
	v_pk_fma_f32 v[84:85], v[104:105], v[88:89], v[92:93] neg_lo:[0,0,1] neg_hi:[0,0,1]
	v_mov_b32_e32 v85, v83
	v_pk_fma_f32 v[82:83], v[106:107], v[90:91], v[80:81] op_sel_hi:[1,0,1]
	v_pk_fma_f32 v[80:81], v[106:107], v[90:91], v[80:81] neg_lo:[0,0,1] neg_hi:[0,0,1]
	v_pk_add_f32 v[76:77], v[78:79], v[76:77]
	s_wait_loadcnt_dscnt 0x100
	v_pk_mul_f32 v[78:79], v[112:113], v[108:109] op_sel:[1,1] op_sel_hi:[0,1]
	v_mov_b32_e32 v81, v83
	s_delay_alu instid0(VALU_DEP_3) | instskip(NEXT) | instid1(VALU_DEP_3)
	v_pk_add_f32 v[76:77], v[76:77], v[84:85]
	v_pk_fma_f32 v[82:83], v[112:113], v[108:109], v[78:79] op_sel_hi:[1,0,1]
	v_pk_fma_f32 v[78:79], v[112:113], v[108:109], v[78:79] neg_lo:[0,0,1] neg_hi:[0,0,1]
	s_delay_alu instid0(VALU_DEP_3) | instskip(NEXT) | instid1(VALU_DEP_3)
	v_pk_add_f32 v[76:77], v[76:77], v[80:81]
	v_mov_b32_e32 v79, v83
	s_delay_alu instid0(VALU_DEP_1) | instskip(SKIP_1) | instid1(VALU_DEP_1)
	v_pk_add_f32 v[76:77], v[76:77], v[78:79]
	s_wait_loadcnt 0x0
	v_pk_add_f32 v[76:77], v[110:111], v[76:77] neg_lo:[0,1] neg_hi:[0,1]
	scratch_store_b64 off, v[76:77], off offset:216
	s_wait_xcnt 0x0
	v_cmpx_lt_u32_e32 26, v0
	s_cbranch_execz .LBB100_183
; %bb.182:
	scratch_load_b64 v[76:77], off, off offset:208
	v_mov_b64_e32 v[78:79], 0
	scratch_store_b64 off, v[78:79], off offset:208
	s_wait_loadcnt 0x0
	ds_store_b64 v1, v[76:77]
.LBB100_183:
	s_wait_xcnt 0x0
	s_or_b32 exec_lo, exec_lo, s0
	s_wait_storecnt_dscnt 0x0
	s_barrier_signal -1
	s_barrier_wait -1
	s_clause 0x5
	scratch_load_b128 v[76:79], off, off offset:216
	scratch_load_b128 v[80:83], off, off offset:232
	;; [unrolled: 1-line block ×5, first 2 shown]
	scratch_load_b64 v[116:117], off, off offset:208
	ds_load_2addr_b64 v[96:99], v7 offset0:67 offset1:68
	ds_load_2addr_b64 v[100:103], v7 offset0:69 offset1:70
	ds_load_2addr_b64 v[104:107], v7 offset0:71 offset1:72
	ds_load_2addr_b64 v[108:111], v7 offset0:73 offset1:74
	ds_load_2addr_b64 v[112:115], v7 offset0:65 offset1:66
	s_mov_b32 s0, exec_lo
	s_wait_dscnt 0x4
	v_dual_mov_b32 v118, v99 :: v_dual_mov_b32 v119, v98
	s_wait_dscnt 0x3
	v_dual_mov_b32 v120, v103 :: v_dual_mov_b32 v121, v102
	;; [unrolled: 2-line block ×4, first 2 shown]
	s_wait_loadcnt_dscnt 0x500
	v_dual_mul_f32 v127, v112, v77 :: v_dual_mul_f32 v129, v114, v79
	v_dual_mul_f32 v7, v113, v77 :: v_dual_mul_f32 v9, v115, v79
	s_wait_loadcnt 0x4
	v_pk_mul_f32 v[130:131], v[96:97], v[80:81] op_sel:[1,1] op_sel_hi:[0,1]
	s_wait_loadcnt 0x3
	v_dual_mov_b32 v132, v83 :: v_dual_mov_b32 v136, v87
	v_dual_fmac_f32 v127, v113, v76 :: v_dual_fmac_f32 v129, v115, v78
	v_dual_fma_f32 v126, v112, v76, -v7 :: v_dual_fma_f32 v128, v114, v78, -v9
	v_pk_fma_f32 v[76:77], v[96:97], v[80:81], v[130:131] op_sel_hi:[1,0,1]
	s_delay_alu instid0(VALU_DEP_4) | instskip(SKIP_1) | instid1(VALU_DEP_4)
	v_pk_mul_f32 v[78:79], v[118:119], v[132:133] op_sel_hi:[1,0]
	v_pk_fma_f32 v[80:81], v[96:97], v[80:81], v[130:131] neg_lo:[0,0,1] neg_hi:[0,0,1]
	v_pk_add_f32 v[112:113], v[126:127], 0 op_sel_hi:[1,0]
	v_pk_mul_f32 v[134:135], v[100:101], v[84:85] op_sel:[1,1] op_sel_hi:[0,1]
	v_mov_b32_e32 v81, v77
	v_pk_fma_f32 v[76:77], v[98:99], v[82:83], v[78:79] op_sel_hi:[1,0,1]
	v_pk_fma_f32 v[78:79], v[98:99], v[82:83], v[78:79] neg_lo:[0,0,1] neg_hi:[0,0,1]
	v_pk_add_f32 v[96:97], v[112:113], v[128:129]
	v_pk_fma_f32 v[112:113], v[100:101], v[84:85], v[134:135] op_sel_hi:[1,0,1]
	v_pk_mul_f32 v[118:119], v[120:121], v[136:137] op_sel_hi:[1,0]
	v_mov_b32_e32 v79, v77
	s_wait_loadcnt 0x2
	v_pk_mul_f32 v[114:115], v[104:105], v[88:89] op_sel:[1,1] op_sel_hi:[0,1]
	v_pk_add_f32 v[76:77], v[96:97], v[80:81]
	v_mov_b32_e32 v80, v91
	v_pk_fma_f32 v[82:83], v[100:101], v[84:85], v[134:135] neg_lo:[0,0,1] neg_hi:[0,0,1]
	v_mov_b32_e32 v83, v113
	v_pk_fma_f32 v[84:85], v[102:103], v[86:87], v[118:119] op_sel_hi:[1,0,1]
	v_pk_add_f32 v[76:77], v[76:77], v[78:79]
	v_pk_fma_f32 v[78:79], v[104:105], v[88:89], v[114:115] op_sel_hi:[1,0,1]
	v_pk_mul_f32 v[80:81], v[122:123], v[80:81] op_sel_hi:[1,0]
	v_pk_fma_f32 v[86:87], v[102:103], v[86:87], v[118:119] neg_lo:[0,0,1] neg_hi:[0,0,1]
	v_mov_b32_e32 v87, v85
	v_pk_add_f32 v[76:77], v[76:77], v[82:83]
	v_pk_fma_f32 v[84:85], v[104:105], v[88:89], v[114:115] neg_lo:[0,0,1] neg_hi:[0,0,1]
	v_mov_b32_e32 v85, v79
	v_pk_fma_f32 v[78:79], v[106:107], v[90:91], v[80:81] op_sel_hi:[1,0,1]
	s_wait_loadcnt 0x1
	v_pk_mul_f32 v[82:83], v[108:109], v[92:93] op_sel:[1,1] op_sel_hi:[0,1]
	v_pk_add_f32 v[76:77], v[76:77], v[86:87]
	v_mov_b32_e32 v78, v95
	v_pk_fma_f32 v[80:81], v[106:107], v[90:91], v[80:81] neg_lo:[0,0,1] neg_hi:[0,0,1]
	v_mov_b32_e32 v81, v79
	v_pk_fma_f32 v[86:87], v[108:109], v[92:93], v[82:83] op_sel_hi:[1,0,1]
	v_pk_add_f32 v[76:77], v[76:77], v[84:85]
	v_pk_mul_f32 v[78:79], v[124:125], v[78:79] op_sel_hi:[1,0]
	v_pk_fma_f32 v[82:83], v[108:109], v[92:93], v[82:83] neg_lo:[0,0,1] neg_hi:[0,0,1]
	s_delay_alu instid0(VALU_DEP_3) | instskip(NEXT) | instid1(VALU_DEP_3)
	v_pk_add_f32 v[76:77], v[76:77], v[80:81]
	v_pk_fma_f32 v[80:81], v[110:111], v[94:95], v[78:79] op_sel_hi:[1,0,1]
	v_mov_b32_e32 v83, v87
	v_pk_fma_f32 v[78:79], v[110:111], v[94:95], v[78:79] neg_lo:[0,0,1] neg_hi:[0,0,1]
	s_delay_alu instid0(VALU_DEP_3) | instskip(NEXT) | instid1(VALU_DEP_3)
	v_mov_b32_e32 v79, v81
	v_pk_add_f32 v[76:77], v[76:77], v[82:83]
	s_delay_alu instid0(VALU_DEP_1) | instskip(SKIP_1) | instid1(VALU_DEP_1)
	v_pk_add_f32 v[76:77], v[76:77], v[78:79]
	s_wait_loadcnt 0x0
	v_pk_add_f32 v[76:77], v[116:117], v[76:77] neg_lo:[0,1] neg_hi:[0,1]
	scratch_store_b64 off, v[76:77], off offset:208
	s_wait_xcnt 0x0
	v_cmpx_lt_u32_e32 25, v0
	s_cbranch_execz .LBB100_185
; %bb.184:
	scratch_load_b64 v[76:77], off, off offset:200
	v_mov_b64_e32 v[78:79], 0
	scratch_store_b64 off, v[78:79], off offset:200
	s_wait_loadcnt 0x0
	ds_store_b64 v1, v[76:77]
.LBB100_185:
	s_wait_xcnt 0x0
	s_or_b32 exec_lo, exec_lo, s0
	s_wait_storecnt_dscnt 0x0
	s_barrier_signal -1
	s_barrier_wait -1
	s_clause 0x6
	scratch_load_b128 v[76:79], off, off offset:208
	scratch_load_b128 v[80:83], off, off offset:224
	;; [unrolled: 1-line block ×5, first 2 shown]
	scratch_load_b64 v[116:117], off, off offset:288
	scratch_load_b64 v[118:119], off, off offset:200
	v_mov_b32_e32 v7, 0
	ds_load_b128 v[96:99], v7 offset:528
	ds_load_b128 v[100:103], v7 offset:544
	;; [unrolled: 1-line block ×5, first 2 shown]
	ds_load_b64 v[120:121], v7 offset:592
	s_mov_b32 s0, exec_lo
	s_wait_dscnt 0x5
	v_dual_mov_b32 v122, v99 :: v_dual_mov_b32 v123, v98
	s_wait_dscnt 0x2
	v_dual_mov_b32 v124, v103 :: v_dual_mov_b32 v129, v110
	v_dual_mov_b32 v125, v102 :: v_dual_mov_b32 v126, v107
	;; [unrolled: 1-line block ×3, first 2 shown]
	s_wait_loadcnt_dscnt 0x601
	v_dual_mul_f32 v9, v112, v77 :: v_dual_mul_f32 v11, v113, v77
	v_dual_mul_f32 v13, v115, v79 :: v_dual_mul_f32 v131, v114, v79
	s_wait_loadcnt 0x5
	v_dual_mul_f32 v133, v96, v81 :: v_dual_mul_f32 v15, v97, v81
	s_wait_loadcnt 0x4
	v_dual_mov_b32 v132, v83 :: v_dual_mov_b32 v136, v87
	v_dual_fmac_f32 v9, v113, v76 :: v_dual_fma_f32 v11, v112, v76, -v11
	v_dual_fma_f32 v130, v114, v78, -v13 :: v_dual_fmac_f32 v131, v115, v78
	s_delay_alu instid0(VALU_DEP_3) | instskip(NEXT) | instid1(VALU_DEP_3)
	v_pk_mul_f32 v[76:77], v[122:123], v[132:133] op_sel_hi:[1,0]
	v_dual_add_f32 v79, 0, v9 :: v_dual_add_f32 v78, 0, v11
	s_wait_loadcnt 0x3
	v_mov_b32_e32 v112, v91
	v_pk_mul_f32 v[134:135], v[100:101], v[84:85] op_sel:[1,1] op_sel_hi:[0,1]
	v_dual_fmac_f32 v133, v97, v80 :: v_dual_fma_f32 v132, v96, v80, -v15
	v_pk_fma_f32 v[80:81], v[98:99], v[82:83], v[76:77] op_sel_hi:[1,0,1]
	v_pk_add_f32 v[78:79], v[78:79], v[130:131]
	v_pk_fma_f32 v[76:77], v[98:99], v[82:83], v[76:77] neg_lo:[0,0,1] neg_hi:[0,0,1]
	v_pk_fma_f32 v[96:97], v[100:101], v[84:85], v[134:135] op_sel_hi:[1,0,1]
	v_pk_mul_f32 v[114:115], v[124:125], v[136:137] op_sel_hi:[1,0]
	v_mov_b32_e32 v77, v81
	v_pk_add_f32 v[78:79], v[78:79], v[132:133]
	v_pk_fma_f32 v[82:83], v[100:101], v[84:85], v[134:135] neg_lo:[0,0,1] neg_hi:[0,0,1]
	v_pk_mul_f32 v[138:139], v[104:105], v[88:89] op_sel:[1,1] op_sel_hi:[0,1]
	v_mov_b32_e32 v83, v97
	v_pk_fma_f32 v[84:85], v[102:103], v[86:87], v[114:115] op_sel_hi:[1,0,1]
	v_pk_add_f32 v[76:77], v[78:79], v[76:77]
	v_pk_fma_f32 v[86:87], v[102:103], v[86:87], v[114:115] neg_lo:[0,0,1] neg_hi:[0,0,1]
	v_pk_fma_f32 v[78:79], v[104:105], v[88:89], v[138:139] op_sel_hi:[1,0,1]
	v_pk_mul_f32 v[96:97], v[126:127], v[112:113] op_sel_hi:[1,0]
	s_wait_loadcnt 0x2
	v_dual_mov_b32 v87, v85 :: v_dual_mov_b32 v78, v95
	v_pk_add_f32 v[76:77], v[76:77], v[82:83]
	v_pk_fma_f32 v[82:83], v[104:105], v[88:89], v[138:139] neg_lo:[0,0,1] neg_hi:[0,0,1]
	v_pk_mul_f32 v[80:81], v[108:109], v[92:93] op_sel:[1,1] op_sel_hi:[0,1]
	v_pk_fma_f32 v[84:85], v[106:107], v[90:91], v[96:97] op_sel_hi:[1,0,1]
	v_mov_b32_e32 v83, v79
	v_pk_add_f32 v[76:77], v[76:77], v[86:87]
	v_pk_fma_f32 v[88:89], v[106:107], v[90:91], v[96:97] neg_lo:[0,0,1] neg_hi:[0,0,1]
	v_pk_fma_f32 v[86:87], v[108:109], v[92:93], v[80:81] op_sel_hi:[1,0,1]
	v_pk_mul_f32 v[78:79], v[128:129], v[78:79] op_sel_hi:[1,0]
	v_mov_b32_e32 v89, v85
	v_pk_add_f32 v[76:77], v[76:77], v[82:83]
	v_pk_fma_f32 v[80:81], v[108:109], v[92:93], v[80:81] neg_lo:[0,0,1] neg_hi:[0,0,1]
	s_wait_loadcnt_dscnt 0x100
	v_pk_mul_f32 v[84:85], v[120:121], v[116:117] op_sel:[1,1] op_sel_hi:[0,1]
	v_pk_fma_f32 v[82:83], v[110:111], v[94:95], v[78:79] op_sel_hi:[1,0,1]
	v_mov_b32_e32 v81, v87
	v_pk_add_f32 v[76:77], v[76:77], v[88:89]
	v_pk_fma_f32 v[78:79], v[110:111], v[94:95], v[78:79] neg_lo:[0,0,1] neg_hi:[0,0,1]
	s_delay_alu instid0(VALU_DEP_4) | instskip(SKIP_1) | instid1(VALU_DEP_4)
	v_mov_b32_e32 v79, v83
	v_pk_fma_f32 v[82:83], v[120:121], v[116:117], v[84:85] neg_lo:[0,0,1] neg_hi:[0,0,1]
	v_pk_add_f32 v[76:77], v[76:77], v[80:81]
	v_pk_fma_f32 v[80:81], v[120:121], v[116:117], v[84:85] op_sel_hi:[1,0,1]
	s_delay_alu instid0(VALU_DEP_2) | instskip(NEXT) | instid1(VALU_DEP_2)
	v_pk_add_f32 v[76:77], v[76:77], v[78:79]
	v_mov_b32_e32 v83, v81
	s_delay_alu instid0(VALU_DEP_1) | instskip(SKIP_1) | instid1(VALU_DEP_1)
	v_pk_add_f32 v[76:77], v[76:77], v[82:83]
	s_wait_loadcnt 0x0
	v_pk_add_f32 v[76:77], v[118:119], v[76:77] neg_lo:[0,1] neg_hi:[0,1]
	scratch_store_b64 off, v[76:77], off offset:200
	s_wait_xcnt 0x0
	v_cmpx_lt_u32_e32 24, v0
	s_cbranch_execz .LBB100_187
; %bb.186:
	scratch_load_b64 v[76:77], off, off offset:192
	v_mov_b64_e32 v[78:79], 0
	scratch_store_b64 off, v[78:79], off offset:192
	s_wait_loadcnt 0x0
	ds_store_b64 v1, v[76:77]
.LBB100_187:
	s_wait_xcnt 0x0
	s_or_b32 exec_lo, exec_lo, s0
	s_wait_storecnt_dscnt 0x0
	s_barrier_signal -1
	s_barrier_wait -1
	s_clause 0x6
	scratch_load_b128 v[76:79], off, off offset:200
	scratch_load_b128 v[80:83], off, off offset:216
	;; [unrolled: 1-line block ×6, first 2 shown]
	scratch_load_b64 v[124:125], off, off offset:192
	ds_load_2addr_b64 v[100:103], v7 offset0:67 offset1:68
	ds_load_2addr_b64 v[104:107], v7 offset0:69 offset1:70
	;; [unrolled: 1-line block ×6, first 2 shown]
	s_mov_b32 s0, exec_lo
	s_wait_dscnt 0x5
	v_dual_mov_b32 v126, v103 :: v_dual_mov_b32 v127, v102
	s_wait_dscnt 0x4
	v_dual_mov_b32 v128, v107 :: v_dual_mov_b32 v129, v106
	;; [unrolled: 2-line block ×4, first 2 shown]
	s_wait_loadcnt_dscnt 0x601
	v_dual_mul_f32 v7, v116, v77 :: v_dual_mul_f32 v9, v118, v79
	v_dual_mul_f32 v11, v117, v77 :: v_dual_mul_f32 v13, v119, v79
	s_wait_loadcnt 0x4
	s_delay_alu instid0(VALU_DEP_2)
	v_dual_mov_b32 v140, v87 :: v_dual_fmac_f32 v7, v117, v76
	s_wait_dscnt 0x0
	v_dual_mul_f32 v135, v120, v81 :: v_dual_mul_f32 v137, v122, v83
	v_dual_fma_f32 v11, v116, v76, -v11 :: v_dual_fmac_f32 v9, v119, v78
	v_dual_mul_f32 v15, v121, v81 :: v_dual_mul_f32 v17, v123, v83
	v_dual_fma_f32 v13, v118, v78, -v13 :: v_dual_add_f32 v7, 0, v7
	s_wait_loadcnt 0x3
	s_delay_alu instid0(VALU_DEP_3) | instskip(SKIP_3) | instid1(VALU_DEP_4)
	v_dual_add_f32 v11, 0, v11 :: v_dual_mov_b32 v78, v91
	v_pk_mul_f32 v[138:139], v[100:101], v[84:85] op_sel:[1,1] op_sel_hi:[0,1]
	v_pk_mul_f32 v[76:77], v[104:105], v[88:89] op_sel:[1,1] op_sel_hi:[0,1]
	v_dual_fmac_f32 v135, v121, v80 :: v_dual_add_f32 v81, v7, v9
	v_dual_fma_f32 v134, v120, v80, -v15 :: v_dual_add_f32 v80, v11, v13
	v_fmac_f32_e32 v137, v123, v82
	v_fma_f32 v136, v122, v82, -v17
	v_pk_fma_f32 v[82:83], v[100:101], v[84:85], v[138:139] op_sel_hi:[1,0,1]
	v_pk_mul_f32 v[116:117], v[126:127], v[140:141] op_sel_hi:[1,0]
	v_pk_add_f32 v[80:81], v[80:81], v[134:135]
	v_pk_fma_f32 v[84:85], v[100:101], v[84:85], v[138:139] neg_lo:[0,0,1] neg_hi:[0,0,1]
	v_pk_fma_f32 v[100:101], v[104:105], v[88:89], v[76:77] op_sel_hi:[1,0,1]
	v_pk_fma_f32 v[76:77], v[104:105], v[88:89], v[76:77] neg_lo:[0,0,1] neg_hi:[0,0,1]
	v_mov_b32_e32 v85, v83
	v_pk_fma_f32 v[82:83], v[102:103], v[86:87], v[116:117] op_sel_hi:[1,0,1]
	v_pk_fma_f32 v[86:87], v[102:103], v[86:87], v[116:117] neg_lo:[0,0,1] neg_hi:[0,0,1]
	v_mov_b32_e32 v77, v101
	v_pk_add_f32 v[80:81], v[80:81], v[136:137]
	v_pk_mul_f32 v[78:79], v[128:129], v[78:79] op_sel_hi:[1,0]
	s_wait_loadcnt 0x2
	v_dual_mov_b32 v87, v83 :: v_dual_mov_b32 v82, v95
	v_pk_mul_f32 v[118:119], v[108:109], v[92:93] op_sel:[1,1] op_sel_hi:[0,1]
	v_pk_add_f32 v[80:81], v[80:81], v[84:85]
	v_pk_fma_f32 v[84:85], v[106:107], v[90:91], v[78:79] op_sel_hi:[1,0,1]
	v_pk_fma_f32 v[78:79], v[106:107], v[90:91], v[78:79] neg_lo:[0,0,1] neg_hi:[0,0,1]
	v_pk_mul_f32 v[82:83], v[130:131], v[82:83] op_sel_hi:[1,0]
	s_delay_alu instid0(VALU_DEP_4) | instskip(SKIP_3) | instid1(VALU_DEP_4)
	v_pk_add_f32 v[80:81], v[80:81], v[86:87]
	v_pk_fma_f32 v[86:87], v[108:109], v[92:93], v[118:119] op_sel_hi:[1,0,1]
	v_mov_b32_e32 v79, v85
	v_pk_fma_f32 v[84:85], v[108:109], v[92:93], v[118:119] neg_lo:[0,0,1] neg_hi:[0,0,1]
	v_pk_add_f32 v[76:77], v[80:81], v[76:77]
	s_wait_loadcnt 0x1
	v_pk_mul_f32 v[80:81], v[112:113], v[96:97] op_sel:[1,1] op_sel_hi:[0,1]
	v_mov_b32_e32 v85, v87
	v_pk_fma_f32 v[86:87], v[110:111], v[94:95], v[82:83] op_sel_hi:[1,0,1]
	v_pk_fma_f32 v[82:83], v[110:111], v[94:95], v[82:83] neg_lo:[0,0,1] neg_hi:[0,0,1]
	v_pk_add_f32 v[76:77], v[76:77], v[78:79]
	v_mov_b32_e32 v78, v99
	v_pk_fma_f32 v[88:89], v[112:113], v[96:97], v[80:81] op_sel_hi:[1,0,1]
	v_mov_b32_e32 v83, v87
	v_pk_fma_f32 v[80:81], v[112:113], v[96:97], v[80:81] neg_lo:[0,0,1] neg_hi:[0,0,1]
	v_pk_add_f32 v[76:77], v[76:77], v[84:85]
	v_pk_mul_f32 v[78:79], v[132:133], v[78:79] op_sel_hi:[1,0]
	s_delay_alu instid0(VALU_DEP_2) | instskip(NEXT) | instid1(VALU_DEP_2)
	v_pk_add_f32 v[76:77], v[76:77], v[82:83]
	v_pk_fma_f32 v[82:83], v[114:115], v[98:99], v[78:79] op_sel_hi:[1,0,1]
	v_mov_b32_e32 v81, v89
	v_pk_fma_f32 v[78:79], v[114:115], v[98:99], v[78:79] neg_lo:[0,0,1] neg_hi:[0,0,1]
	s_delay_alu instid0(VALU_DEP_3) | instskip(NEXT) | instid1(VALU_DEP_3)
	v_mov_b32_e32 v79, v83
	v_pk_add_f32 v[76:77], v[76:77], v[80:81]
	s_delay_alu instid0(VALU_DEP_1) | instskip(SKIP_1) | instid1(VALU_DEP_1)
	v_pk_add_f32 v[76:77], v[76:77], v[78:79]
	s_wait_loadcnt 0x0
	v_pk_add_f32 v[76:77], v[124:125], v[76:77] neg_lo:[0,1] neg_hi:[0,1]
	scratch_store_b64 off, v[76:77], off offset:192
	s_wait_xcnt 0x0
	v_cmpx_lt_u32_e32 23, v0
	s_cbranch_execz .LBB100_189
; %bb.188:
	scratch_load_b64 v[76:77], off, off offset:184
	v_mov_b64_e32 v[78:79], 0
	scratch_store_b64 off, v[78:79], off offset:184
	s_wait_loadcnt 0x0
	ds_store_b64 v1, v[76:77]
.LBB100_189:
	s_wait_xcnt 0x0
	s_or_b32 exec_lo, exec_lo, s0
	s_wait_storecnt_dscnt 0x0
	s_barrier_signal -1
	s_barrier_wait -1
	s_clause 0x7
	scratch_load_b128 v[76:79], off, off offset:192
	scratch_load_b128 v[80:83], off, off offset:208
	scratch_load_b128 v[84:87], off, off offset:224
	scratch_load_b128 v[88:91], off, off offset:240
	scratch_load_b128 v[92:95], off, off offset:256
	scratch_load_b128 v[96:99], off, off offset:272
	scratch_load_b64 v[124:125], off, off offset:288
	scratch_load_b64 v[126:127], off, off offset:184
	v_mov_b32_e32 v7, 0
	ds_load_b128 v[100:103], v7 offset:528
	ds_load_b128 v[104:107], v7 offset:544
	;; [unrolled: 1-line block ×6, first 2 shown]
	ds_load_b64 v[128:129], v7 offset:592
	s_mov_b32 s0, exec_lo
	s_wait_dscnt 0x6
	v_dual_mov_b32 v130, v103 :: v_dual_mov_b32 v131, v102
	s_wait_dscnt 0x3
	v_dual_mov_b32 v132, v107 :: v_dual_mov_b32 v137, v114
	v_dual_mov_b32 v133, v106 :: v_dual_mov_b32 v134, v111
	;; [unrolled: 1-line block ×3, first 2 shown]
	s_wait_loadcnt_dscnt 0x702
	v_dual_mul_f32 v9, v116, v77 :: v_dual_mul_f32 v15, v117, v77
	v_dual_mul_f32 v17, v119, v79 :: v_dual_mul_f32 v11, v118, v79
	s_wait_loadcnt_dscnt 0x601
	s_delay_alu instid0(VALU_DEP_2) | instskip(NEXT) | instid1(VALU_DEP_3)
	v_dual_mul_f32 v13, v120, v81 :: v_dual_fmac_f32 v9, v117, v76
	v_dual_fma_f32 v15, v116, v76, -v15 :: v_dual_mul_f32 v19, v121, v81
	v_mul_f32_e32 v21, v123, v83
	s_wait_loadcnt 0x4
	v_dual_mov_b32 v76, v91 :: v_dual_fma_f32 v17, v118, v78, -v17
	v_dual_fmac_f32 v11, v119, v78 :: v_dual_add_f32 v9, 0, v9
	v_dual_add_f32 v15, 0, v15 :: v_dual_fmac_f32 v13, v121, v80
	v_dual_mul_f32 v139, v122, v83 :: v_dual_mul_f32 v141, v100, v85
	v_dual_mul_f32 v23, v101, v85 :: v_dual_mov_b32 v140, v87
	s_delay_alu instid0(VALU_DEP_4) | instskip(NEXT) | instid1(VALU_DEP_4)
	v_dual_fma_f32 v19, v120, v80, -v19 :: v_dual_add_f32 v9, v9, v11
	v_dual_add_f32 v11, v15, v17 :: v_dual_fma_f32 v138, v122, v82, -v21
	s_delay_alu instid0(VALU_DEP_4) | instskip(NEXT) | instid1(VALU_DEP_4)
	v_fmac_f32_e32 v139, v123, v82
	v_pk_mul_f32 v[80:81], v[130:131], v[140:141] op_sel_hi:[1,0]
	s_delay_alu instid0(VALU_DEP_3)
	v_dual_add_f32 v83, v9, v13 :: v_dual_add_f32 v82, v11, v19
	v_fmac_f32_e32 v141, v101, v84
	v_pk_mul_f32 v[142:143], v[104:105], v[88:89] op_sel:[1,1] op_sel_hi:[0,1]
	s_wait_loadcnt 0x3
	v_dual_mov_b32 v116, v95 :: v_dual_fma_f32 v140, v100, v84, -v23
	v_pk_fma_f32 v[84:85], v[102:103], v[86:87], v[80:81] op_sel_hi:[1,0,1]
	v_pk_add_f32 v[82:83], v[82:83], v[138:139]
	v_pk_fma_f32 v[80:81], v[102:103], v[86:87], v[80:81] neg_lo:[0,0,1] neg_hi:[0,0,1]
	v_pk_fma_f32 v[100:101], v[104:105], v[88:89], v[142:143] op_sel_hi:[1,0,1]
	v_pk_mul_f32 v[76:77], v[132:133], v[76:77] op_sel_hi:[1,0]
	v_mov_b32_e32 v81, v85
	v_pk_add_f32 v[82:83], v[82:83], v[140:141]
	v_pk_fma_f32 v[86:87], v[104:105], v[88:89], v[142:143] neg_lo:[0,0,1] neg_hi:[0,0,1]
	v_pk_mul_f32 v[78:79], v[108:109], v[92:93] op_sel:[1,1] op_sel_hi:[0,1]
	v_mov_b32_e32 v87, v101
	v_pk_fma_f32 v[88:89], v[106:107], v[90:91], v[76:77] op_sel_hi:[1,0,1]
	v_pk_add_f32 v[80:81], v[82:83], v[80:81]
	v_pk_fma_f32 v[76:77], v[106:107], v[90:91], v[76:77] neg_lo:[0,0,1] neg_hi:[0,0,1]
	v_pk_fma_f32 v[82:83], v[108:109], v[92:93], v[78:79] op_sel_hi:[1,0,1]
	v_pk_mul_f32 v[100:101], v[134:135], v[116:117] op_sel_hi:[1,0]
	s_wait_loadcnt 0x2
	v_dual_mov_b32 v77, v89 :: v_dual_mov_b32 v82, v99
	v_pk_add_f32 v[80:81], v[80:81], v[86:87]
	v_pk_fma_f32 v[78:79], v[108:109], v[92:93], v[78:79] neg_lo:[0,0,1] neg_hi:[0,0,1]
	v_pk_mul_f32 v[84:85], v[112:113], v[96:97] op_sel:[1,1] op_sel_hi:[0,1]
	v_pk_fma_f32 v[86:87], v[110:111], v[94:95], v[100:101] op_sel_hi:[1,0,1]
	v_mov_b32_e32 v79, v83
	v_pk_add_f32 v[76:77], v[80:81], v[76:77]
	v_pk_fma_f32 v[88:89], v[110:111], v[94:95], v[100:101] neg_lo:[0,0,1] neg_hi:[0,0,1]
	v_pk_fma_f32 v[80:81], v[112:113], v[96:97], v[84:85] op_sel_hi:[1,0,1]
	v_pk_mul_f32 v[82:83], v[136:137], v[82:83] op_sel_hi:[1,0]
	v_mov_b32_e32 v89, v87
	v_pk_add_f32 v[76:77], v[76:77], v[78:79]
	v_pk_fma_f32 v[78:79], v[112:113], v[96:97], v[84:85] neg_lo:[0,0,1] neg_hi:[0,0,1]
	v_mov_b32_e32 v79, v81
	v_pk_fma_f32 v[80:81], v[114:115], v[98:99], v[82:83] op_sel_hi:[1,0,1]
	s_wait_loadcnt_dscnt 0x100
	v_pk_mul_f32 v[84:85], v[128:129], v[124:125] op_sel:[1,1] op_sel_hi:[0,1]
	v_pk_add_f32 v[76:77], v[76:77], v[88:89]
	v_pk_fma_f32 v[82:83], v[114:115], v[98:99], v[82:83] neg_lo:[0,0,1] neg_hi:[0,0,1]
	v_mov_b32_e32 v83, v81
	s_delay_alu instid0(VALU_DEP_4) | instskip(NEXT) | instid1(VALU_DEP_4)
	v_pk_fma_f32 v[80:81], v[128:129], v[124:125], v[84:85] neg_lo:[0,0,1] neg_hi:[0,0,1]
	v_pk_add_f32 v[76:77], v[76:77], v[78:79]
	v_pk_fma_f32 v[78:79], v[128:129], v[124:125], v[84:85] op_sel_hi:[1,0,1]
	s_delay_alu instid0(VALU_DEP_2) | instskip(NEXT) | instid1(VALU_DEP_2)
	v_pk_add_f32 v[76:77], v[76:77], v[82:83]
	v_mov_b32_e32 v81, v79
	s_delay_alu instid0(VALU_DEP_1) | instskip(SKIP_1) | instid1(VALU_DEP_1)
	v_pk_add_f32 v[76:77], v[76:77], v[80:81]
	s_wait_loadcnt 0x0
	v_pk_add_f32 v[76:77], v[126:127], v[76:77] neg_lo:[0,1] neg_hi:[0,1]
	scratch_store_b64 off, v[76:77], off offset:184
	s_wait_xcnt 0x0
	v_cmpx_lt_u32_e32 22, v0
	s_cbranch_execz .LBB100_191
; %bb.190:
	scratch_load_b64 v[76:77], off, off offset:176
	v_mov_b64_e32 v[78:79], 0
	scratch_store_b64 off, v[78:79], off offset:176
	s_wait_loadcnt 0x0
	ds_store_b64 v1, v[76:77]
.LBB100_191:
	s_wait_xcnt 0x0
	s_or_b32 exec_lo, exec_lo, s0
	s_wait_storecnt_dscnt 0x0
	s_barrier_signal -1
	s_barrier_wait -1
	s_clause 0x7
	scratch_load_b128 v[76:79], off, off offset:184
	scratch_load_b128 v[80:83], off, off offset:200
	;; [unrolled: 1-line block ×7, first 2 shown]
	scratch_load_b64 v[132:133], off, off offset:176
	ds_load_2addr_b64 v[104:107], v7 offset0:67 offset1:68
	ds_load_2addr_b64 v[108:111], v7 offset0:69 offset1:70
	;; [unrolled: 1-line block ×7, first 2 shown]
	s_mov_b32 s0, exec_lo
	s_wait_dscnt 0x6
	v_dual_mov_b32 v134, v107 :: v_dual_mov_b32 v135, v106
	s_wait_dscnt 0x5
	v_dual_mov_b32 v136, v111 :: v_dual_mov_b32 v137, v110
	;; [unrolled: 2-line block ×4, first 2 shown]
	s_wait_loadcnt_dscnt 0x702
	v_dual_mul_f32 v7, v120, v77 :: v_dual_mul_f32 v9, v122, v79
	v_dual_mul_f32 v15, v121, v77 :: v_dual_mul_f32 v17, v123, v79
	s_wait_loadcnt_dscnt 0x601
	v_dual_mul_f32 v11, v124, v81 :: v_dual_mul_f32 v13, v126, v83
	s_delay_alu instid0(VALU_DEP_3) | instskip(NEXT) | instid1(VALU_DEP_3)
	v_dual_fmac_f32 v7, v121, v76 :: v_dual_fmac_f32 v9, v123, v78
	v_dual_fma_f32 v15, v120, v76, -v15 :: v_dual_fma_f32 v17, v122, v78, -v17
	v_dual_mul_f32 v19, v125, v81 :: v_dual_mul_f32 v21, v127, v83
	s_wait_loadcnt 0x4
	s_delay_alu instid0(VALU_DEP_3) | instskip(NEXT) | instid1(VALU_DEP_3)
	v_dual_add_f32 v7, 0, v7 :: v_dual_mov_b32 v78, v91
	v_dual_add_f32 v15, 0, v15 :: v_dual_fmac_f32 v11, v125, v80
	s_delay_alu instid0(VALU_DEP_2) | instskip(SKIP_2) | instid1(VALU_DEP_3)
	v_dual_fma_f32 v19, v124, v80, -v19 :: v_dual_add_f32 v7, v7, v9
	s_wait_dscnt 0x0
	v_dual_mul_f32 v143, v128, v85 :: v_dual_mul_f32 v145, v130, v87
	v_dual_add_f32 v9, v15, v17 :: v_dual_fma_f32 v15, v126, v82, -v21
	v_dual_mul_f32 v23, v129, v85 :: v_dual_mul_f32 v25, v131, v87
	s_delay_alu instid0(VALU_DEP_2) | instskip(NEXT) | instid1(VALU_DEP_4)
	v_dual_fmac_f32 v13, v127, v82 :: v_dual_add_f32 v9, v9, v19
	v_dual_add_f32 v7, v7, v11 :: v_dual_fmac_f32 v143, v129, v84
	v_pk_mul_f32 v[76:77], v[104:105], v[88:89] op_sel:[1,1] op_sel_hi:[0,1]
	s_wait_loadcnt 0x3
	v_pk_mul_f32 v[80:81], v[108:109], v[92:93] op_sel:[1,1] op_sel_hi:[0,1]
	v_dual_mov_b32 v82, v95 :: v_dual_fma_f32 v142, v128, v84, -v23
	v_dual_add_f32 v85, v7, v13 :: v_dual_add_f32 v84, v9, v15
	v_fmac_f32_e32 v145, v131, v86
	v_fma_f32 v144, v130, v86, -v25
	v_pk_fma_f32 v[86:87], v[104:105], v[88:89], v[76:77] op_sel_hi:[1,0,1]
	v_pk_mul_f32 v[78:79], v[134:135], v[78:79] op_sel_hi:[1,0]
	v_pk_add_f32 v[84:85], v[84:85], v[142:143]
	v_pk_fma_f32 v[76:77], v[104:105], v[88:89], v[76:77] neg_lo:[0,0,1] neg_hi:[0,0,1]
	v_pk_fma_f32 v[88:89], v[108:109], v[92:93], v[80:81] op_sel_hi:[1,0,1]
	v_pk_fma_f32 v[80:81], v[108:109], v[92:93], v[80:81] neg_lo:[0,0,1] neg_hi:[0,0,1]
	v_mov_b32_e32 v77, v87
	v_pk_fma_f32 v[86:87], v[106:107], v[90:91], v[78:79] op_sel_hi:[1,0,1]
	v_pk_fma_f32 v[78:79], v[106:107], v[90:91], v[78:79] neg_lo:[0,0,1] neg_hi:[0,0,1]
	v_mov_b32_e32 v81, v89
	v_pk_add_f32 v[84:85], v[84:85], v[144:145]
	v_pk_mul_f32 v[82:83], v[136:137], v[82:83] op_sel_hi:[1,0]
	v_mov_b32_e32 v79, v87
	s_wait_loadcnt 0x2
	v_pk_mul_f32 v[120:121], v[112:113], v[96:97] op_sel:[1,1] op_sel_hi:[0,1]
	v_pk_add_f32 v[76:77], v[84:85], v[76:77]
	v_mov_b32_e32 v84, v99
	v_pk_fma_f32 v[86:87], v[110:111], v[94:95], v[82:83] op_sel_hi:[1,0,1]
	v_pk_fma_f32 v[82:83], v[110:111], v[94:95], v[82:83] neg_lo:[0,0,1] neg_hi:[0,0,1]
	s_delay_alu instid0(VALU_DEP_4)
	v_pk_add_f32 v[76:77], v[76:77], v[78:79]
	v_pk_fma_f32 v[78:79], v[112:113], v[96:97], v[120:121] op_sel_hi:[1,0,1]
	v_pk_mul_f32 v[84:85], v[138:139], v[84:85] op_sel_hi:[1,0]
	v_mov_b32_e32 v83, v87
	v_pk_fma_f32 v[86:87], v[112:113], v[96:97], v[120:121] neg_lo:[0,0,1] neg_hi:[0,0,1]
	v_pk_add_f32 v[76:77], v[76:77], v[80:81]
	v_mov_b32_e32 v87, v79
	v_pk_fma_f32 v[78:79], v[114:115], v[98:99], v[84:85] op_sel_hi:[1,0,1]
	s_wait_loadcnt 0x1
	v_pk_mul_f32 v[80:81], v[116:117], v[100:101] op_sel:[1,1] op_sel_hi:[0,1]
	v_mov_b32_e32 v78, v103
	v_pk_add_f32 v[76:77], v[76:77], v[82:83]
	v_pk_fma_f32 v[84:85], v[114:115], v[98:99], v[84:85] neg_lo:[0,0,1] neg_hi:[0,0,1]
	v_mov_b32_e32 v85, v79
	v_pk_fma_f32 v[82:83], v[116:117], v[100:101], v[80:81] op_sel_hi:[1,0,1]
	v_pk_mul_f32 v[78:79], v[140:141], v[78:79] op_sel_hi:[1,0]
	v_pk_add_f32 v[76:77], v[76:77], v[86:87]
	v_pk_fma_f32 v[80:81], v[116:117], v[100:101], v[80:81] neg_lo:[0,0,1] neg_hi:[0,0,1]
	s_delay_alu instid0(VALU_DEP_4) | instskip(NEXT) | instid1(VALU_DEP_4)
	v_mov_b32_e32 v81, v83
	v_pk_fma_f32 v[82:83], v[118:119], v[102:103], v[78:79] op_sel_hi:[1,0,1]
	s_delay_alu instid0(VALU_DEP_4) | instskip(SKIP_1) | instid1(VALU_DEP_3)
	v_pk_add_f32 v[76:77], v[76:77], v[84:85]
	v_pk_fma_f32 v[78:79], v[118:119], v[102:103], v[78:79] neg_lo:[0,0,1] neg_hi:[0,0,1]
	v_mov_b32_e32 v79, v83
	s_delay_alu instid0(VALU_DEP_3) | instskip(NEXT) | instid1(VALU_DEP_1)
	v_pk_add_f32 v[76:77], v[76:77], v[80:81]
	v_pk_add_f32 v[76:77], v[76:77], v[78:79]
	s_wait_loadcnt 0x0
	s_delay_alu instid0(VALU_DEP_1)
	v_pk_add_f32 v[76:77], v[132:133], v[76:77] neg_lo:[0,1] neg_hi:[0,1]
	scratch_store_b64 off, v[76:77], off offset:176
	s_wait_xcnt 0x0
	v_cmpx_lt_u32_e32 21, v0
	s_cbranch_execz .LBB100_193
; %bb.192:
	scratch_load_b64 v[76:77], off, off offset:168
	v_mov_b64_e32 v[78:79], 0
	scratch_store_b64 off, v[78:79], off offset:168
	s_wait_loadcnt 0x0
	ds_store_b64 v1, v[76:77]
.LBB100_193:
	s_wait_xcnt 0x0
	s_or_b32 exec_lo, exec_lo, s0
	s_wait_storecnt_dscnt 0x0
	s_barrier_signal -1
	s_barrier_wait -1
	s_clause 0x8
	scratch_load_b128 v[76:79], off, off offset:176
	scratch_load_b128 v[80:83], off, off offset:192
	;; [unrolled: 1-line block ×7, first 2 shown]
	scratch_load_b64 v[132:133], off, off offset:288
	scratch_load_b64 v[134:135], off, off offset:168
	v_mov_b32_e32 v7, 0
	ds_load_b128 v[104:107], v7 offset:528
	ds_load_b128 v[108:111], v7 offset:544
	ds_load_b128 v[112:115], v7 offset:560
	ds_load_b128 v[116:119], v7 offset:576
	ds_load_b128 v[120:123], v7 offset:480
	ds_load_b128 v[124:127], v7 offset:496
	ds_load_b128 v[128:131], v7 offset:512
	ds_load_b64 v[136:137], v7 offset:592
	s_mov_b32 s0, exec_lo
	s_wait_dscnt 0x7
	v_dual_mov_b32 v138, v107 :: v_dual_mov_b32 v139, v106
	s_wait_dscnt 0x4
	v_dual_mov_b32 v140, v111 :: v_dual_mov_b32 v145, v118
	v_dual_mov_b32 v141, v110 :: v_dual_mov_b32 v142, v115
	;; [unrolled: 1-line block ×3, first 2 shown]
	s_wait_loadcnt_dscnt 0x803
	v_dual_mul_f32 v9, v120, v77 :: v_dual_mul_f32 v19, v121, v77
	v_dual_mul_f32 v21, v123, v79 :: v_dual_mul_f32 v11, v122, v79
	s_wait_loadcnt_dscnt 0x702
	v_mul_f32_e32 v13, v124, v81
	s_wait_loadcnt 0x5
	v_dual_mul_f32 v31, v105, v89 :: v_dual_fma_f32 v19, v120, v76, -v19
	v_dual_fmac_f32 v9, v121, v76 :: v_dual_mov_b32 v76, v91
	v_dual_mul_f32 v23, v125, v81 :: v_dual_mul_f32 v25, v127, v83
	v_dual_fmac_f32 v11, v123, v78 :: v_dual_fma_f32 v21, v122, v78, -v21
	s_delay_alu instid0(VALU_DEP_3) | instskip(SKIP_3) | instid1(VALU_DEP_3)
	v_dual_add_f32 v9, 0, v9 :: v_dual_add_f32 v19, 0, v19
	s_wait_dscnt 0x1
	v_dual_mul_f32 v15, v126, v83 :: v_dual_mul_f32 v17, v128, v85
	v_dual_fmac_f32 v13, v125, v80 :: v_dual_fma_f32 v23, v124, v80, -v23
	v_dual_add_f32 v9, v9, v11 :: v_dual_add_f32 v11, v19, v21
	v_dual_mul_f32 v27, v129, v85 :: v_dual_mul_f32 v29, v131, v87
	s_wait_loadcnt 0x4
	v_dual_mov_b32 v80, v95 :: v_dual_fma_f32 v19, v126, v82, -v25
	s_delay_alu instid0(VALU_DEP_3) | instskip(SKIP_2) | instid1(VALU_DEP_3)
	v_dual_fmac_f32 v15, v127, v82 :: v_dual_add_f32 v9, v9, v13
	v_dual_add_f32 v11, v11, v23 :: v_dual_fmac_f32 v17, v129, v84
	v_dual_mul_f32 v147, v130, v87 :: v_dual_mul_f32 v149, v104, v89
	v_dual_fma_f32 v13, v128, v84, -v27 :: v_dual_add_f32 v9, v9, v15
	s_delay_alu instid0(VALU_DEP_3) | instskip(NEXT) | instid1(VALU_DEP_3)
	v_dual_add_f32 v11, v11, v19 :: v_dual_fma_f32 v146, v130, v86, -v29
	v_fmac_f32_e32 v147, v131, v86
	v_pk_mul_f32 v[76:77], v[138:139], v[76:77] op_sel_hi:[1,0]
	s_delay_alu instid0(VALU_DEP_4) | instskip(NEXT) | instid1(VALU_DEP_4)
	v_add_f32_e32 v85, v9, v17
	v_dual_add_f32 v84, v11, v13 :: v_dual_fmac_f32 v149, v105, v88
	v_pk_mul_f32 v[78:79], v[108:109], v[92:93] op_sel:[1,1] op_sel_hi:[0,1]
	s_wait_loadcnt 0x3
	v_dual_mov_b32 v86, v99 :: v_dual_fma_f32 v148, v104, v88, -v31
	v_pk_fma_f32 v[88:89], v[106:107], v[90:91], v[76:77] op_sel_hi:[1,0,1]
	v_pk_add_f32 v[84:85], v[84:85], v[146:147]
	v_pk_fma_f32 v[76:77], v[106:107], v[90:91], v[76:77] neg_lo:[0,0,1] neg_hi:[0,0,1]
	v_pk_fma_f32 v[104:105], v[108:109], v[92:93], v[78:79] op_sel_hi:[1,0,1]
	v_pk_mul_f32 v[80:81], v[140:141], v[80:81] op_sel_hi:[1,0]
	v_mov_b32_e32 v77, v89
	v_pk_add_f32 v[84:85], v[84:85], v[148:149]
	v_pk_fma_f32 v[78:79], v[108:109], v[92:93], v[78:79] neg_lo:[0,0,1] neg_hi:[0,0,1]
	v_pk_mul_f32 v[82:83], v[112:113], v[96:97] op_sel:[1,1] op_sel_hi:[0,1]
	v_mov_b32_e32 v79, v105
	v_pk_fma_f32 v[90:91], v[110:111], v[94:95], v[80:81] op_sel_hi:[1,0,1]
	v_pk_add_f32 v[76:77], v[84:85], v[76:77]
	v_pk_fma_f32 v[80:81], v[110:111], v[94:95], v[80:81] neg_lo:[0,0,1] neg_hi:[0,0,1]
	v_pk_fma_f32 v[84:85], v[112:113], v[96:97], v[82:83] op_sel_hi:[1,0,1]
	v_pk_mul_f32 v[86:87], v[142:143], v[86:87] op_sel_hi:[1,0]
	v_mov_b32_e32 v81, v91
	v_pk_add_f32 v[76:77], v[76:77], v[78:79]
	v_pk_fma_f32 v[82:83], v[112:113], v[96:97], v[82:83] neg_lo:[0,0,1] neg_hi:[0,0,1]
	s_wait_loadcnt 0x2
	v_pk_mul_f32 v[88:89], v[116:117], v[100:101] op_sel:[1,1] op_sel_hi:[0,1]
	v_dual_mov_b32 v78, v103 :: v_dual_mov_b32 v83, v85
	v_pk_fma_f32 v[84:85], v[114:115], v[98:99], v[86:87] op_sel_hi:[1,0,1]
	v_pk_add_f32 v[76:77], v[76:77], v[80:81]
	v_pk_fma_f32 v[86:87], v[114:115], v[98:99], v[86:87] neg_lo:[0,0,1] neg_hi:[0,0,1]
	v_pk_fma_f32 v[80:81], v[116:117], v[100:101], v[88:89] op_sel_hi:[1,0,1]
	v_pk_mul_f32 v[78:79], v[144:145], v[78:79] op_sel_hi:[1,0]
	v_mov_b32_e32 v87, v85
	v_pk_add_f32 v[76:77], v[76:77], v[82:83]
	v_pk_fma_f32 v[82:83], v[116:117], v[100:101], v[88:89] neg_lo:[0,0,1] neg_hi:[0,0,1]
	v_mov_b32_e32 v83, v81
	v_pk_fma_f32 v[80:81], v[118:119], v[102:103], v[78:79] op_sel_hi:[1,0,1]
	s_wait_loadcnt_dscnt 0x100
	v_pk_mul_f32 v[84:85], v[136:137], v[132:133] op_sel:[1,1] op_sel_hi:[0,1]
	v_pk_add_f32 v[76:77], v[76:77], v[86:87]
	v_pk_fma_f32 v[78:79], v[118:119], v[102:103], v[78:79] neg_lo:[0,0,1] neg_hi:[0,0,1]
	v_mov_b32_e32 v79, v81
	s_delay_alu instid0(VALU_DEP_4) | instskip(NEXT) | instid1(VALU_DEP_4)
	v_pk_fma_f32 v[80:81], v[136:137], v[132:133], v[84:85] op_sel_hi:[1,0,1]
	v_pk_add_f32 v[76:77], v[76:77], v[82:83]
	v_pk_fma_f32 v[82:83], v[136:137], v[132:133], v[84:85] neg_lo:[0,0,1] neg_hi:[0,0,1]
	s_delay_alu instid0(VALU_DEP_3) | instskip(NEXT) | instid1(VALU_DEP_3)
	v_mov_b32_e32 v83, v81
	v_pk_add_f32 v[76:77], v[76:77], v[78:79]
	s_delay_alu instid0(VALU_DEP_1) | instskip(SKIP_1) | instid1(VALU_DEP_1)
	v_pk_add_f32 v[76:77], v[76:77], v[82:83]
	s_wait_loadcnt 0x0
	v_pk_add_f32 v[76:77], v[134:135], v[76:77] neg_lo:[0,1] neg_hi:[0,1]
	scratch_store_b64 off, v[76:77], off offset:168
	s_wait_xcnt 0x0
	v_cmpx_lt_u32_e32 20, v0
	s_cbranch_execz .LBB100_195
; %bb.194:
	scratch_load_b64 v[76:77], off, off offset:160
	v_mov_b64_e32 v[78:79], 0
	scratch_store_b64 off, v[78:79], off offset:160
	s_wait_loadcnt 0x0
	ds_store_b64 v1, v[76:77]
.LBB100_195:
	s_wait_xcnt 0x0
	s_or_b32 exec_lo, exec_lo, s0
	s_wait_storecnt_dscnt 0x0
	s_barrier_signal -1
	s_barrier_wait -1
	s_clause 0x8
	scratch_load_b128 v[76:79], off, off offset:168
	scratch_load_b128 v[80:83], off, off offset:184
	;; [unrolled: 1-line block ×8, first 2 shown]
	scratch_load_b64 v[140:141], off, off offset:160
	ds_load_2addr_b64 v[108:111], v7 offset0:67 offset1:68
	ds_load_2addr_b64 v[112:115], v7 offset0:69 offset1:70
	;; [unrolled: 1-line block ×8, first 2 shown]
	s_mov_b32 s0, exec_lo
	s_wait_dscnt 0x7
	v_dual_mov_b32 v142, v111 :: v_dual_mov_b32 v143, v110
	s_wait_dscnt 0x6
	v_dual_mov_b32 v144, v115 :: v_dual_mov_b32 v145, v114
	s_wait_dscnt 0x5
	v_dual_mov_b32 v146, v119 :: v_dual_mov_b32 v147, v118
	s_wait_dscnt 0x4
	v_dual_mov_b32 v148, v123 :: v_dual_mov_b32 v149, v122
	s_wait_loadcnt_dscnt 0x803
	v_dual_mul_f32 v7, v124, v77 :: v_dual_mul_f32 v9, v126, v79
	v_dual_mul_f32 v19, v125, v77 :: v_dual_mul_f32 v21, v127, v79
	s_wait_loadcnt_dscnt 0x702
	v_dual_mul_f32 v11, v128, v81 :: v_dual_mul_f32 v13, v130, v83
	s_delay_alu instid0(VALU_DEP_3) | instskip(SKIP_3) | instid1(VALU_DEP_3)
	v_dual_fmac_f32 v7, v125, v76 :: v_dual_fmac_f32 v9, v127, v78
	s_wait_loadcnt_dscnt 0x500
	v_dual_fma_f32 v19, v124, v76, -v19 :: v_dual_mul_f32 v31, v137, v89
	v_dual_mul_f32 v23, v129, v81 :: v_dual_mul_f32 v25, v131, v83
	v_dual_fma_f32 v21, v126, v78, -v21 :: v_dual_add_f32 v7, 0, v7
	s_delay_alu instid0(VALU_DEP_3) | instskip(SKIP_1) | instid1(VALU_DEP_4)
	v_dual_add_f32 v19, 0, v19 :: v_dual_fmac_f32 v11, v129, v80
	v_dual_mul_f32 v15, v132, v85 :: v_dual_mul_f32 v17, v134, v87
	v_dual_mul_f32 v33, v139, v91 :: v_dual_fma_f32 v23, v128, v80, -v23
	s_delay_alu instid0(VALU_DEP_4) | instskip(NEXT) | instid1(VALU_DEP_3)
	v_add_f32_e32 v7, v7, v9
	v_dual_add_f32 v9, v19, v21 :: v_dual_fmac_f32 v15, v133, v84
	v_dual_mul_f32 v27, v133, v85 :: v_dual_mul_f32 v29, v135, v87
	s_delay_alu instid0(VALU_DEP_2) | instskip(NEXT) | instid1(VALU_DEP_4)
	v_dual_fmac_f32 v13, v131, v82 :: v_dual_add_f32 v9, v9, v23
	v_dual_fma_f32 v19, v130, v82, -v25 :: v_dual_add_f32 v7, v7, v11
	s_wait_loadcnt 0x4
	s_delay_alu instid0(VALU_DEP_3) | instskip(SKIP_1) | instid1(VALU_DEP_3)
	v_dual_fma_f32 v11, v132, v84, -v27 :: v_dual_mov_b32 v78, v95
	v_dual_mul_f32 v151, v136, v89 :: v_dual_mul_f32 v153, v138, v91
	v_dual_add_f32 v7, v7, v13 :: v_dual_fma_f32 v13, v134, v86, -v29
	v_dual_add_f32 v9, v9, v19 :: v_dual_fmac_f32 v17, v135, v86
	v_pk_mul_f32 v[76:77], v[108:109], v[92:93] op_sel:[1,1] op_sel_hi:[0,1]
	s_delay_alu instid0(VALU_DEP_3) | instskip(SKIP_1) | instid1(VALU_DEP_3)
	v_dual_add_f32 v7, v7, v15 :: v_dual_fmac_f32 v151, v137, v88
	s_wait_loadcnt 0x3
	v_dual_add_f32 v9, v9, v11 :: v_dual_mov_b32 v82, v99
	s_delay_alu instid0(VALU_DEP_2) | instskip(NEXT) | instid1(VALU_DEP_2)
	v_dual_fma_f32 v150, v136, v88, -v31 :: v_dual_add_f32 v85, v7, v17
	v_dual_fma_f32 v152, v138, v90, -v33 :: v_dual_add_f32 v84, v9, v13
	v_fmac_f32_e32 v153, v139, v90
	v_pk_fma_f32 v[86:87], v[108:109], v[92:93], v[76:77] op_sel_hi:[1,0,1]
	v_pk_mul_f32 v[78:79], v[142:143], v[78:79] op_sel_hi:[1,0]
	v_pk_fma_f32 v[76:77], v[108:109], v[92:93], v[76:77] neg_lo:[0,0,1] neg_hi:[0,0,1]
	v_pk_add_f32 v[84:85], v[84:85], v[150:151]
	v_pk_mul_f32 v[80:81], v[112:113], v[96:97] op_sel:[1,1] op_sel_hi:[0,1]
	v_mov_b32_e32 v77, v87
	v_pk_fma_f32 v[86:87], v[110:111], v[94:95], v[78:79] op_sel_hi:[1,0,1]
	v_pk_fma_f32 v[78:79], v[110:111], v[94:95], v[78:79] neg_lo:[0,0,1] neg_hi:[0,0,1]
	v_pk_add_f32 v[84:85], v[84:85], v[152:153]
	v_pk_fma_f32 v[90:91], v[112:113], v[96:97], v[80:81] op_sel_hi:[1,0,1]
	v_pk_mul_f32 v[82:83], v[144:145], v[82:83] op_sel_hi:[1,0]
	v_mov_b32_e32 v79, v87
	s_wait_loadcnt 0x2
	v_pk_mul_f32 v[88:89], v[116:117], v[100:101] op_sel:[1,1] op_sel_hi:[0,1]
	v_pk_add_f32 v[76:77], v[84:85], v[76:77]
	v_mov_b32_e32 v84, v103
	v_pk_fma_f32 v[80:81], v[112:113], v[96:97], v[80:81] neg_lo:[0,0,1] neg_hi:[0,0,1]
	v_mov_b32_e32 v81, v91
	v_pk_fma_f32 v[86:87], v[114:115], v[98:99], v[82:83] op_sel_hi:[1,0,1]
	v_pk_add_f32 v[76:77], v[76:77], v[78:79]
	v_pk_fma_f32 v[78:79], v[116:117], v[100:101], v[88:89] op_sel_hi:[1,0,1]
	v_pk_mul_f32 v[84:85], v[146:147], v[84:85] op_sel_hi:[1,0]
	v_pk_fma_f32 v[82:83], v[114:115], v[98:99], v[82:83] neg_lo:[0,0,1] neg_hi:[0,0,1]
	v_mov_b32_e32 v83, v87
	v_pk_add_f32 v[76:77], v[76:77], v[80:81]
	v_pk_fma_f32 v[86:87], v[116:117], v[100:101], v[88:89] neg_lo:[0,0,1] neg_hi:[0,0,1]
	v_mov_b32_e32 v87, v79
	v_pk_fma_f32 v[78:79], v[118:119], v[102:103], v[84:85] op_sel_hi:[1,0,1]
	s_wait_loadcnt 0x1
	v_pk_mul_f32 v[80:81], v[120:121], v[104:105] op_sel:[1,1] op_sel_hi:[0,1]
	v_pk_add_f32 v[76:77], v[76:77], v[82:83]
	v_mov_b32_e32 v78, v107
	v_pk_fma_f32 v[84:85], v[118:119], v[102:103], v[84:85] neg_lo:[0,0,1] neg_hi:[0,0,1]
	v_mov_b32_e32 v85, v79
	v_pk_fma_f32 v[82:83], v[120:121], v[104:105], v[80:81] op_sel_hi:[1,0,1]
	v_pk_add_f32 v[76:77], v[76:77], v[86:87]
	v_pk_mul_f32 v[78:79], v[148:149], v[78:79] op_sel_hi:[1,0]
	v_pk_fma_f32 v[80:81], v[120:121], v[104:105], v[80:81] neg_lo:[0,0,1] neg_hi:[0,0,1]
	s_delay_alu instid0(VALU_DEP_4) | instskip(NEXT) | instid1(VALU_DEP_4)
	v_mov_b32_e32 v81, v83
	v_pk_add_f32 v[76:77], v[76:77], v[84:85]
	s_delay_alu instid0(VALU_DEP_4) | instskip(SKIP_1) | instid1(VALU_DEP_2)
	v_pk_fma_f32 v[82:83], v[122:123], v[106:107], v[78:79] op_sel_hi:[1,0,1]
	v_pk_fma_f32 v[78:79], v[122:123], v[106:107], v[78:79] neg_lo:[0,0,1] neg_hi:[0,0,1]
	v_mov_b32_e32 v79, v83
	s_delay_alu instid0(VALU_DEP_4) | instskip(NEXT) | instid1(VALU_DEP_1)
	v_pk_add_f32 v[76:77], v[76:77], v[80:81]
	v_pk_add_f32 v[76:77], v[76:77], v[78:79]
	s_wait_loadcnt 0x0
	s_delay_alu instid0(VALU_DEP_1)
	v_pk_add_f32 v[76:77], v[140:141], v[76:77] neg_lo:[0,1] neg_hi:[0,1]
	scratch_store_b64 off, v[76:77], off offset:160
	s_wait_xcnt 0x0
	v_cmpx_lt_u32_e32 19, v0
	s_cbranch_execz .LBB100_197
; %bb.196:
	scratch_load_b64 v[76:77], off, off offset:152
	v_mov_b64_e32 v[78:79], 0
	scratch_store_b64 off, v[78:79], off offset:152
	s_wait_loadcnt 0x0
	ds_store_b64 v1, v[76:77]
.LBB100_197:
	s_wait_xcnt 0x0
	s_or_b32 exec_lo, exec_lo, s0
	s_wait_storecnt_dscnt 0x0
	s_barrier_signal -1
	s_barrier_wait -1
	s_clause 0x9
	scratch_load_b128 v[76:79], off, off offset:160
	scratch_load_b128 v[80:83], off, off offset:176
	;; [unrolled: 1-line block ×8, first 2 shown]
	scratch_load_b64 v[140:141], off, off offset:288
	scratch_load_b64 v[142:143], off, off offset:152
	v_mov_b32_e32 v7, 0
	ds_load_b128 v[108:111], v7 offset:528
	ds_load_b128 v[112:115], v7 offset:544
	;; [unrolled: 1-line block ×8, first 2 shown]
	ds_load_b64 v[144:145], v7 offset:592
	s_mov_b32 s0, exec_lo
	s_wait_dscnt 0x8
	v_dual_mov_b32 v146, v111 :: v_dual_mov_b32 v147, v110
	s_wait_dscnt 0x5
	v_dual_mov_b32 v148, v115 :: v_dual_mov_b32 v153, v122
	v_dual_mov_b32 v149, v114 :: v_dual_mov_b32 v150, v119
	v_dual_mov_b32 v151, v118 :: v_dual_mov_b32 v152, v123
	s_wait_loadcnt_dscnt 0x904
	v_dual_mul_f32 v9, v124, v77 :: v_dual_mul_f32 v23, v125, v77
	v_dual_mul_f32 v25, v127, v79 :: v_dual_mul_f32 v11, v126, v79
	s_wait_loadcnt_dscnt 0x803
	v_mul_f32_e32 v13, v128, v81
	s_wait_loadcnt_dscnt 0x601
	v_dual_mul_f32 v35, v137, v89 :: v_dual_fma_f32 v23, v124, v76, -v23
	v_dual_fmac_f32 v9, v125, v76 :: v_dual_mul_f32 v37, v139, v91
	v_dual_mul_f32 v27, v129, v81 :: v_dual_mul_f32 v29, v131, v83
	v_dual_fmac_f32 v11, v127, v78 :: v_dual_fma_f32 v25, v126, v78, -v25
	s_delay_alu instid0(VALU_DEP_3)
	v_dual_add_f32 v9, 0, v9 :: v_dual_add_f32 v23, 0, v23
	v_dual_mul_f32 v15, v130, v83 :: v_dual_mul_f32 v17, v132, v85
	s_wait_loadcnt 0x5
	v_dual_mul_f32 v39, v109, v93 :: v_dual_fma_f32 v27, v128, v80, -v27
	v_fmac_f32_e32 v13, v129, v80
	v_dual_add_f32 v9, v9, v11 :: v_dual_mov_b32 v76, v95
	v_add_f32_e32 v11, v23, v25
	v_dual_mul_f32 v31, v133, v85 :: v_dual_mul_f32 v33, v135, v87
	v_dual_fmac_f32 v15, v131, v82 :: v_dual_fma_f32 v23, v130, v82, -v29
	s_delay_alu instid0(VALU_DEP_3) | instskip(SKIP_1) | instid1(VALU_DEP_4)
	v_dual_add_f32 v9, v9, v13 :: v_dual_add_f32 v11, v11, v27
	v_dual_mul_f32 v19, v134, v87 :: v_dual_mul_f32 v21, v136, v89
	v_dual_fmac_f32 v17, v133, v84 :: v_dual_fma_f32 v13, v132, v84, -v31
	s_wait_loadcnt 0x4
	s_delay_alu instid0(VALU_DEP_3) | instskip(SKIP_1) | instid1(VALU_DEP_2)
	v_dual_add_f32 v9, v9, v15 :: v_dual_mov_b32 v80, v99
	v_dual_add_f32 v11, v11, v23 :: v_dual_fma_f32 v15, v134, v86, -v33
	v_dual_fmac_f32 v19, v135, v86 :: v_dual_add_f32 v9, v9, v17
	v_dual_mul_f32 v155, v138, v91 :: v_dual_mul_f32 v157, v108, v93
	s_delay_alu instid0(VALU_DEP_3) | instskip(NEXT) | instid1(VALU_DEP_3)
	v_dual_add_f32 v11, v11, v13 :: v_dual_fmac_f32 v21, v137, v88
	v_dual_fma_f32 v13, v136, v88, -v35 :: v_dual_add_f32 v9, v9, v19
	s_delay_alu instid0(VALU_DEP_3) | instskip(NEXT) | instid1(VALU_DEP_3)
	v_fmac_f32_e32 v155, v139, v90
	v_dual_add_f32 v11, v11, v15 :: v_dual_fma_f32 v154, v138, v90, -v37
	v_pk_mul_f32 v[76:77], v[146:147], v[76:77] op_sel_hi:[1,0]
	s_delay_alu instid0(VALU_DEP_4) | instskip(SKIP_1) | instid1(VALU_DEP_4)
	v_add_f32_e32 v85, v9, v21
	v_pk_mul_f32 v[78:79], v[112:113], v[96:97] op_sel:[1,1] op_sel_hi:[0,1]
	v_dual_add_f32 v84, v11, v13 :: v_dual_fmac_f32 v157, v109, v92
	s_wait_loadcnt 0x3
	v_dual_mov_b32 v86, v103 :: v_dual_fma_f32 v156, v108, v92, -v39
	v_pk_fma_f32 v[88:89], v[110:111], v[94:95], v[76:77] op_sel_hi:[1,0,1]
	s_delay_alu instid0(VALU_DEP_3)
	v_pk_add_f32 v[84:85], v[84:85], v[154:155]
	v_pk_fma_f32 v[76:77], v[110:111], v[94:95], v[76:77] neg_lo:[0,0,1] neg_hi:[0,0,1]
	v_pk_fma_f32 v[90:91], v[112:113], v[96:97], v[78:79] op_sel_hi:[1,0,1]
	v_pk_mul_f32 v[80:81], v[148:149], v[80:81] op_sel_hi:[1,0]
	v_mov_b32_e32 v77, v89
	v_pk_add_f32 v[84:85], v[84:85], v[156:157]
	v_pk_fma_f32 v[78:79], v[112:113], v[96:97], v[78:79] neg_lo:[0,0,1] neg_hi:[0,0,1]
	v_pk_mul_f32 v[82:83], v[116:117], v[100:101] op_sel:[1,1] op_sel_hi:[0,1]
	v_mov_b32_e32 v79, v91
	v_pk_fma_f32 v[90:91], v[114:115], v[98:99], v[80:81] op_sel_hi:[1,0,1]
	v_pk_add_f32 v[76:77], v[84:85], v[76:77]
	v_pk_fma_f32 v[80:81], v[114:115], v[98:99], v[80:81] neg_lo:[0,0,1] neg_hi:[0,0,1]
	v_pk_fma_f32 v[84:85], v[116:117], v[100:101], v[82:83] op_sel_hi:[1,0,1]
	v_pk_mul_f32 v[86:87], v[150:151], v[86:87] op_sel_hi:[1,0]
	v_mov_b32_e32 v81, v91
	v_pk_add_f32 v[76:77], v[76:77], v[78:79]
	v_pk_fma_f32 v[82:83], v[116:117], v[100:101], v[82:83] neg_lo:[0,0,1] neg_hi:[0,0,1]
	s_wait_loadcnt 0x2
	v_pk_mul_f32 v[88:89], v[120:121], v[104:105] op_sel:[1,1] op_sel_hi:[0,1]
	v_dual_mov_b32 v78, v107 :: v_dual_mov_b32 v83, v85
	v_pk_fma_f32 v[84:85], v[118:119], v[102:103], v[86:87] op_sel_hi:[1,0,1]
	v_pk_add_f32 v[76:77], v[76:77], v[80:81]
	v_pk_fma_f32 v[86:87], v[118:119], v[102:103], v[86:87] neg_lo:[0,0,1] neg_hi:[0,0,1]
	v_pk_fma_f32 v[80:81], v[120:121], v[104:105], v[88:89] op_sel_hi:[1,0,1]
	v_pk_mul_f32 v[78:79], v[152:153], v[78:79] op_sel_hi:[1,0]
	v_mov_b32_e32 v87, v85
	v_pk_add_f32 v[76:77], v[76:77], v[82:83]
	v_pk_fma_f32 v[82:83], v[120:121], v[104:105], v[88:89] neg_lo:[0,0,1] neg_hi:[0,0,1]
	v_mov_b32_e32 v83, v81
	v_pk_fma_f32 v[80:81], v[122:123], v[106:107], v[78:79] op_sel_hi:[1,0,1]
	s_wait_loadcnt_dscnt 0x100
	v_pk_mul_f32 v[84:85], v[144:145], v[140:141] op_sel:[1,1] op_sel_hi:[0,1]
	v_pk_add_f32 v[76:77], v[76:77], v[86:87]
	v_pk_fma_f32 v[78:79], v[122:123], v[106:107], v[78:79] neg_lo:[0,0,1] neg_hi:[0,0,1]
	v_mov_b32_e32 v79, v81
	s_delay_alu instid0(VALU_DEP_4) | instskip(NEXT) | instid1(VALU_DEP_4)
	v_pk_fma_f32 v[80:81], v[144:145], v[140:141], v[84:85] op_sel_hi:[1,0,1]
	v_pk_add_f32 v[76:77], v[76:77], v[82:83]
	v_pk_fma_f32 v[82:83], v[144:145], v[140:141], v[84:85] neg_lo:[0,0,1] neg_hi:[0,0,1]
	s_delay_alu instid0(VALU_DEP_3) | instskip(NEXT) | instid1(VALU_DEP_3)
	v_mov_b32_e32 v83, v81
	v_pk_add_f32 v[76:77], v[76:77], v[78:79]
	s_delay_alu instid0(VALU_DEP_1) | instskip(SKIP_1) | instid1(VALU_DEP_1)
	v_pk_add_f32 v[76:77], v[76:77], v[82:83]
	s_wait_loadcnt 0x0
	v_pk_add_f32 v[76:77], v[142:143], v[76:77] neg_lo:[0,1] neg_hi:[0,1]
	scratch_store_b64 off, v[76:77], off offset:152
	s_wait_xcnt 0x0
	v_cmpx_lt_u32_e32 18, v0
	s_cbranch_execz .LBB100_199
; %bb.198:
	scratch_load_b64 v[76:77], off, off offset:144
	v_mov_b64_e32 v[78:79], 0
	scratch_store_b64 off, v[78:79], off offset:144
	s_wait_loadcnt 0x0
	ds_store_b64 v1, v[76:77]
.LBB100_199:
	s_wait_xcnt 0x0
	s_or_b32 exec_lo, exec_lo, s0
	s_wait_storecnt_dscnt 0x0
	s_barrier_signal -1
	s_barrier_wait -1
	s_clause 0x9
	scratch_load_b128 v[76:79], off, off offset:152
	scratch_load_b128 v[80:83], off, off offset:168
	;; [unrolled: 1-line block ×9, first 2 shown]
	scratch_load_b64 v[148:149], off, off offset:144
	ds_load_2addr_b64 v[112:115], v7 offset0:67 offset1:68
	ds_load_2addr_b64 v[116:119], v7 offset0:69 offset1:70
	;; [unrolled: 1-line block ×9, first 2 shown]
	s_mov_b32 s0, exec_lo
	s_wait_dscnt 0x8
	v_dual_mov_b32 v150, v115 :: v_dual_mov_b32 v151, v114
	s_wait_dscnt 0x7
	v_dual_mov_b32 v152, v119 :: v_dual_mov_b32 v153, v118
	;; [unrolled: 2-line block ×4, first 2 shown]
	s_wait_loadcnt_dscnt 0x904
	v_dual_mul_f32 v7, v128, v77 :: v_dual_mul_f32 v9, v130, v79
	v_dual_mul_f32 v23, v129, v77 :: v_dual_mul_f32 v25, v131, v79
	s_wait_loadcnt_dscnt 0x803
	v_dual_mul_f32 v11, v132, v81 :: v_dual_mul_f32 v13, v134, v83
	s_delay_alu instid0(VALU_DEP_3) | instskip(SKIP_3) | instid1(VALU_DEP_3)
	v_dual_fmac_f32 v7, v129, v76 :: v_dual_fmac_f32 v9, v131, v78
	s_wait_loadcnt_dscnt 0x601
	v_dual_fma_f32 v23, v128, v76, -v23 :: v_dual_mul_f32 v35, v141, v89
	v_dual_mul_f32 v27, v133, v81 :: v_dual_mul_f32 v29, v135, v83
	v_dual_fma_f32 v25, v130, v78, -v25 :: v_dual_add_f32 v7, 0, v7
	s_delay_alu instid0(VALU_DEP_3) | instskip(SKIP_1) | instid1(VALU_DEP_4)
	v_dual_add_f32 v23, 0, v23 :: v_dual_fmac_f32 v11, v133, v80
	v_dual_mul_f32 v15, v136, v85 :: v_dual_mul_f32 v17, v138, v87
	v_dual_mul_f32 v37, v143, v91 :: v_dual_fma_f32 v27, v132, v80, -v27
	s_delay_alu instid0(VALU_DEP_4) | instskip(NEXT) | instid1(VALU_DEP_3)
	v_add_f32_e32 v7, v7, v9
	v_dual_add_f32 v9, v23, v25 :: v_dual_fmac_f32 v15, v137, v84
	v_dual_mul_f32 v31, v137, v85 :: v_dual_mul_f32 v33, v139, v87
	s_wait_loadcnt_dscnt 0x500
	v_dual_mul_f32 v23, v145, v93 :: v_dual_fmac_f32 v13, v135, v82
	v_dual_fma_f32 v25, v134, v82, -v29 :: v_dual_add_f32 v7, v7, v11
	s_delay_alu instid0(VALU_DEP_3) | instskip(SKIP_1) | instid1(VALU_DEP_3)
	v_dual_add_f32 v9, v9, v27 :: v_dual_fma_f32 v27, v136, v84, -v31
	v_dual_mul_f32 v19, v140, v89 :: v_dual_mul_f32 v21, v142, v91
	v_add_f32_e32 v7, v7, v13
	s_delay_alu instid0(VALU_DEP_3) | instskip(SKIP_1) | instid1(VALU_DEP_3)
	v_dual_mul_f32 v11, v147, v95 :: v_dual_add_f32 v9, v9, v25
	v_fmac_f32_e32 v17, v139, v86
	v_dual_fma_f32 v13, v138, v86, -v33 :: v_dual_add_f32 v7, v7, v15
	s_wait_loadcnt 0x4
	v_dual_mov_b32 v78, v99 :: v_dual_fmac_f32 v19, v141, v88
	v_dual_add_f32 v9, v9, v27 :: v_dual_fma_f32 v15, v140, v88, -v35
	s_delay_alu instid0(VALU_DEP_3) | instskip(SKIP_1) | instid1(VALU_DEP_3)
	v_add_f32_e32 v7, v7, v17
	v_dual_mul_f32 v159, v144, v93 :: v_dual_mul_f32 v161, v146, v95
	v_dual_add_f32 v9, v9, v13 :: v_dual_fmac_f32 v21, v143, v90
	s_delay_alu instid0(VALU_DEP_3) | instskip(SKIP_2) | instid1(VALU_DEP_3)
	v_dual_fma_f32 v13, v142, v90, -v37 :: v_dual_add_f32 v7, v7, v19
	v_pk_mul_f32 v[76:77], v[112:113], v[96:97] op_sel:[1,1] op_sel_hi:[0,1]
	s_wait_loadcnt 0x3
	v_dual_add_f32 v9, v9, v15 :: v_dual_mov_b32 v82, v103
	s_delay_alu instid0(VALU_DEP_3) | instskip(NEXT) | instid1(VALU_DEP_2)
	v_dual_fmac_f32 v159, v145, v92 :: v_dual_add_f32 v85, v7, v21
	v_dual_fma_f32 v158, v144, v92, -v23 :: v_dual_add_f32 v84, v9, v13
	v_dual_fmac_f32 v161, v147, v94 :: v_dual_fma_f32 v160, v146, v94, -v11
	v_pk_fma_f32 v[86:87], v[112:113], v[96:97], v[76:77] op_sel_hi:[1,0,1]
	v_pk_mul_f32 v[78:79], v[150:151], v[78:79] op_sel_hi:[1,0]
	s_delay_alu instid0(VALU_DEP_4)
	v_pk_add_f32 v[84:85], v[84:85], v[158:159]
	v_pk_fma_f32 v[76:77], v[112:113], v[96:97], v[76:77] neg_lo:[0,0,1] neg_hi:[0,0,1]
	v_pk_mul_f32 v[80:81], v[116:117], v[100:101] op_sel:[1,1] op_sel_hi:[0,1]
	v_mov_b32_e32 v77, v87
	v_pk_fma_f32 v[86:87], v[114:115], v[98:99], v[78:79] op_sel_hi:[1,0,1]
	v_pk_add_f32 v[84:85], v[84:85], v[160:161]
	v_pk_fma_f32 v[78:79], v[114:115], v[98:99], v[78:79] neg_lo:[0,0,1] neg_hi:[0,0,1]
	v_pk_fma_f32 v[90:91], v[116:117], v[100:101], v[80:81] op_sel_hi:[1,0,1]
	v_pk_mul_f32 v[82:83], v[152:153], v[82:83] op_sel_hi:[1,0]
	v_mov_b32_e32 v79, v87
	v_pk_add_f32 v[76:77], v[84:85], v[76:77]
	s_wait_loadcnt 0x2
	v_pk_mul_f32 v[88:89], v[120:121], v[104:105] op_sel:[1,1] op_sel_hi:[0,1]
	v_mov_b32_e32 v84, v107
	v_pk_fma_f32 v[80:81], v[116:117], v[100:101], v[80:81] neg_lo:[0,0,1] neg_hi:[0,0,1]
	v_mov_b32_e32 v81, v91
	v_pk_fma_f32 v[86:87], v[118:119], v[102:103], v[82:83] op_sel_hi:[1,0,1]
	v_pk_add_f32 v[76:77], v[76:77], v[78:79]
	v_pk_fma_f32 v[78:79], v[120:121], v[104:105], v[88:89] op_sel_hi:[1,0,1]
	v_pk_mul_f32 v[84:85], v[154:155], v[84:85] op_sel_hi:[1,0]
	v_pk_fma_f32 v[82:83], v[118:119], v[102:103], v[82:83] neg_lo:[0,0,1] neg_hi:[0,0,1]
	v_mov_b32_e32 v83, v87
	v_pk_add_f32 v[76:77], v[76:77], v[80:81]
	v_pk_fma_f32 v[86:87], v[120:121], v[104:105], v[88:89] neg_lo:[0,0,1] neg_hi:[0,0,1]
	v_mov_b32_e32 v87, v79
	v_pk_fma_f32 v[78:79], v[122:123], v[106:107], v[84:85] op_sel_hi:[1,0,1]
	s_wait_loadcnt 0x1
	v_pk_mul_f32 v[80:81], v[124:125], v[108:109] op_sel:[1,1] op_sel_hi:[0,1]
	v_pk_add_f32 v[76:77], v[76:77], v[82:83]
	v_mov_b32_e32 v78, v111
	v_pk_fma_f32 v[84:85], v[122:123], v[106:107], v[84:85] neg_lo:[0,0,1] neg_hi:[0,0,1]
	v_mov_b32_e32 v85, v79
	v_pk_fma_f32 v[82:83], v[124:125], v[108:109], v[80:81] op_sel_hi:[1,0,1]
	v_pk_add_f32 v[76:77], v[76:77], v[86:87]
	v_pk_mul_f32 v[78:79], v[156:157], v[78:79] op_sel_hi:[1,0]
	v_pk_fma_f32 v[80:81], v[124:125], v[108:109], v[80:81] neg_lo:[0,0,1] neg_hi:[0,0,1]
	s_delay_alu instid0(VALU_DEP_4) | instskip(NEXT) | instid1(VALU_DEP_4)
	v_mov_b32_e32 v81, v83
	v_pk_add_f32 v[76:77], v[76:77], v[84:85]
	s_delay_alu instid0(VALU_DEP_4) | instskip(SKIP_1) | instid1(VALU_DEP_2)
	v_pk_fma_f32 v[82:83], v[126:127], v[110:111], v[78:79] op_sel_hi:[1,0,1]
	v_pk_fma_f32 v[78:79], v[126:127], v[110:111], v[78:79] neg_lo:[0,0,1] neg_hi:[0,0,1]
	v_mov_b32_e32 v79, v83
	s_delay_alu instid0(VALU_DEP_4) | instskip(NEXT) | instid1(VALU_DEP_1)
	v_pk_add_f32 v[76:77], v[76:77], v[80:81]
	v_pk_add_f32 v[76:77], v[76:77], v[78:79]
	s_wait_loadcnt 0x0
	s_delay_alu instid0(VALU_DEP_1)
	v_pk_add_f32 v[76:77], v[148:149], v[76:77] neg_lo:[0,1] neg_hi:[0,1]
	scratch_store_b64 off, v[76:77], off offset:144
	s_wait_xcnt 0x0
	v_cmpx_lt_u32_e32 17, v0
	s_cbranch_execz .LBB100_201
; %bb.200:
	scratch_load_b64 v[76:77], off, off offset:136
	v_mov_b64_e32 v[78:79], 0
	scratch_store_b64 off, v[78:79], off offset:136
	s_wait_loadcnt 0x0
	ds_store_b64 v1, v[76:77]
.LBB100_201:
	s_wait_xcnt 0x0
	s_or_b32 exec_lo, exec_lo, s0
	s_wait_storecnt_dscnt 0x0
	s_barrier_signal -1
	s_barrier_wait -1
	s_clause 0xa
	scratch_load_b128 v[76:79], off, off offset:144
	scratch_load_b128 v[80:83], off, off offset:160
	;; [unrolled: 1-line block ×9, first 2 shown]
	scratch_load_b64 v[148:149], off, off offset:288
	scratch_load_b64 v[150:151], off, off offset:136
	v_mov_b32_e32 v7, 0
	ds_load_b128 v[112:115], v7 offset:528
	ds_load_b128 v[116:119], v7 offset:544
	ds_load_b128 v[120:123], v7 offset:560
	ds_load_b128 v[124:127], v7 offset:576
	ds_load_b128 v[128:131], v7 offset:448
	ds_load_b128 v[132:135], v7 offset:464
	ds_load_b128 v[136:139], v7 offset:480
	ds_load_b128 v[140:143], v7 offset:496
	ds_load_b128 v[144:147], v7 offset:512
	ds_load_b64 v[152:153], v7 offset:592
	s_mov_b32 s0, exec_lo
	s_wait_dscnt 0x9
	v_dual_mov_b32 v154, v115 :: v_dual_mov_b32 v155, v114
	s_wait_dscnt 0x6
	v_dual_mov_b32 v156, v119 :: v_dual_mov_b32 v161, v126
	v_dual_mov_b32 v157, v118 :: v_dual_mov_b32 v158, v123
	;; [unrolled: 1-line block ×3, first 2 shown]
	s_wait_loadcnt_dscnt 0xa05
	v_dual_mul_f32 v9, v128, v77 :: v_dual_mul_f32 v27, v129, v77
	v_dual_mul_f32 v29, v131, v79 :: v_dual_mul_f32 v11, v130, v79
	s_wait_loadcnt_dscnt 0x904
	v_mul_f32_e32 v13, v132, v81
	s_wait_loadcnt_dscnt 0x702
	v_dual_mul_f32 v39, v141, v89 :: v_dual_fma_f32 v27, v128, v76, -v27
	v_dual_fmac_f32 v9, v129, v76 :: v_dual_mul_f32 v41, v143, v91
	v_dual_mul_f32 v31, v133, v81 :: v_dual_mul_f32 v33, v135, v83
	v_dual_fmac_f32 v11, v131, v78 :: v_dual_fma_f32 v29, v130, v78, -v29
	s_delay_alu instid0(VALU_DEP_3) | instskip(SKIP_4) | instid1(VALU_DEP_3)
	v_dual_add_f32 v9, 0, v9 :: v_dual_add_f32 v27, 0, v27
	v_dual_mul_f32 v15, v134, v83 :: v_dual_mul_f32 v17, v136, v85
	s_wait_loadcnt_dscnt 0x601
	v_dual_mul_f32 v43, v145, v93 :: v_dual_fma_f32 v31, v132, v80, -v31
	v_fmac_f32_e32 v13, v133, v80
	v_dual_add_f32 v9, v9, v11 :: v_dual_fmac_f32 v15, v135, v82
	v_add_f32_e32 v11, v27, v29
	v_dual_mul_f32 v35, v137, v85 :: v_dual_mul_f32 v37, v139, v87
	v_dual_mul_f32 v27, v147, v95 :: v_dual_fma_f32 v29, v134, v82, -v33
	s_delay_alu instid0(VALU_DEP_3) | instskip(SKIP_3) | instid1(VALU_DEP_3)
	v_dual_add_f32 v9, v9, v13 :: v_dual_add_f32 v11, v11, v31
	v_dual_mul_f32 v19, v138, v87 :: v_dual_mul_f32 v21, v140, v89
	s_wait_loadcnt 0x5
	v_dual_mul_f32 v13, v113, v97 :: v_dual_fma_f32 v31, v136, v84, -v35
	v_dual_fmac_f32 v17, v137, v84 :: v_dual_add_f32 v11, v11, v29
	v_dual_add_f32 v9, v9, v15 :: v_dual_mov_b32 v76, v99
	v_dual_fmac_f32 v19, v139, v86 :: v_dual_fma_f32 v15, v138, v86, -v37
	s_delay_alu instid0(VALU_DEP_2) | instskip(SKIP_3) | instid1(VALU_DEP_3)
	v_dual_add_f32 v11, v11, v31 :: v_dual_add_f32 v9, v9, v17
	v_dual_mul_f32 v23, v142, v91 :: v_dual_mul_f32 v25, v144, v93
	v_dual_fmac_f32 v21, v141, v88 :: v_dual_fma_f32 v17, v140, v88, -v39
	s_wait_loadcnt 0x4
	v_dual_add_f32 v9, v9, v19 :: v_dual_mov_b32 v80, v103
	v_dual_add_f32 v11, v11, v15 :: v_dual_fma_f32 v15, v142, v90, -v41
	s_delay_alu instid0(VALU_DEP_2) | instskip(SKIP_1) | instid1(VALU_DEP_3)
	v_dual_fmac_f32 v23, v143, v90 :: v_dual_add_f32 v9, v9, v21
	v_dual_mul_f32 v163, v146, v95 :: v_dual_mul_f32 v165, v112, v97
	v_dual_add_f32 v11, v11, v17 :: v_dual_fmac_f32 v25, v145, v92
	s_delay_alu instid0(VALU_DEP_3) | instskip(NEXT) | instid1(VALU_DEP_3)
	v_dual_fma_f32 v17, v144, v92, -v43 :: v_dual_add_f32 v9, v9, v23
	v_fmac_f32_e32 v163, v147, v94
	s_delay_alu instid0(VALU_DEP_3) | instskip(SKIP_1) | instid1(VALU_DEP_4)
	v_dual_add_f32 v11, v11, v15 :: v_dual_fma_f32 v162, v146, v94, -v27
	v_pk_mul_f32 v[76:77], v[154:155], v[76:77] op_sel_hi:[1,0]
	v_add_f32_e32 v85, v9, v25
	v_pk_mul_f32 v[78:79], v[116:117], v[100:101] op_sel:[1,1] op_sel_hi:[0,1]
	s_delay_alu instid0(VALU_DEP_4) | instskip(SKIP_3) | instid1(VALU_DEP_3)
	v_dual_add_f32 v84, v11, v17 :: v_dual_fmac_f32 v165, v113, v96
	s_wait_loadcnt 0x3
	v_dual_mov_b32 v86, v107 :: v_dual_fma_f32 v164, v112, v96, -v13
	v_pk_fma_f32 v[88:89], v[114:115], v[98:99], v[76:77] op_sel_hi:[1,0,1]
	v_pk_add_f32 v[84:85], v[84:85], v[162:163]
	v_pk_fma_f32 v[76:77], v[114:115], v[98:99], v[76:77] neg_lo:[0,0,1] neg_hi:[0,0,1]
	v_pk_fma_f32 v[90:91], v[116:117], v[100:101], v[78:79] op_sel_hi:[1,0,1]
	v_pk_mul_f32 v[80:81], v[156:157], v[80:81] op_sel_hi:[1,0]
	v_mov_b32_e32 v77, v89
	v_pk_add_f32 v[84:85], v[84:85], v[164:165]
	v_pk_fma_f32 v[78:79], v[116:117], v[100:101], v[78:79] neg_lo:[0,0,1] neg_hi:[0,0,1]
	v_pk_mul_f32 v[82:83], v[120:121], v[104:105] op_sel:[1,1] op_sel_hi:[0,1]
	v_mov_b32_e32 v79, v91
	v_pk_fma_f32 v[90:91], v[118:119], v[102:103], v[80:81] op_sel_hi:[1,0,1]
	v_pk_add_f32 v[76:77], v[84:85], v[76:77]
	v_pk_fma_f32 v[80:81], v[118:119], v[102:103], v[80:81] neg_lo:[0,0,1] neg_hi:[0,0,1]
	v_pk_fma_f32 v[84:85], v[120:121], v[104:105], v[82:83] op_sel_hi:[1,0,1]
	v_pk_mul_f32 v[86:87], v[158:159], v[86:87] op_sel_hi:[1,0]
	v_mov_b32_e32 v81, v91
	v_pk_add_f32 v[76:77], v[76:77], v[78:79]
	v_pk_fma_f32 v[82:83], v[120:121], v[104:105], v[82:83] neg_lo:[0,0,1] neg_hi:[0,0,1]
	s_wait_loadcnt 0x2
	v_pk_mul_f32 v[88:89], v[124:125], v[108:109] op_sel:[1,1] op_sel_hi:[0,1]
	v_dual_mov_b32 v78, v111 :: v_dual_mov_b32 v83, v85
	v_pk_fma_f32 v[84:85], v[122:123], v[106:107], v[86:87] op_sel_hi:[1,0,1]
	v_pk_add_f32 v[76:77], v[76:77], v[80:81]
	v_pk_fma_f32 v[86:87], v[122:123], v[106:107], v[86:87] neg_lo:[0,0,1] neg_hi:[0,0,1]
	v_pk_fma_f32 v[80:81], v[124:125], v[108:109], v[88:89] op_sel_hi:[1,0,1]
	v_pk_mul_f32 v[78:79], v[160:161], v[78:79] op_sel_hi:[1,0]
	v_mov_b32_e32 v87, v85
	v_pk_add_f32 v[76:77], v[76:77], v[82:83]
	v_pk_fma_f32 v[82:83], v[124:125], v[108:109], v[88:89] neg_lo:[0,0,1] neg_hi:[0,0,1]
	v_mov_b32_e32 v83, v81
	v_pk_fma_f32 v[80:81], v[126:127], v[110:111], v[78:79] op_sel_hi:[1,0,1]
	s_wait_loadcnt_dscnt 0x100
	v_pk_mul_f32 v[84:85], v[152:153], v[148:149] op_sel:[1,1] op_sel_hi:[0,1]
	v_pk_add_f32 v[76:77], v[76:77], v[86:87]
	v_pk_fma_f32 v[78:79], v[126:127], v[110:111], v[78:79] neg_lo:[0,0,1] neg_hi:[0,0,1]
	v_mov_b32_e32 v79, v81
	s_delay_alu instid0(VALU_DEP_4) | instskip(NEXT) | instid1(VALU_DEP_4)
	v_pk_fma_f32 v[80:81], v[152:153], v[148:149], v[84:85] op_sel_hi:[1,0,1]
	v_pk_add_f32 v[76:77], v[76:77], v[82:83]
	v_pk_fma_f32 v[82:83], v[152:153], v[148:149], v[84:85] neg_lo:[0,0,1] neg_hi:[0,0,1]
	s_delay_alu instid0(VALU_DEP_3) | instskip(NEXT) | instid1(VALU_DEP_3)
	v_mov_b32_e32 v83, v81
	v_pk_add_f32 v[76:77], v[76:77], v[78:79]
	s_delay_alu instid0(VALU_DEP_1) | instskip(SKIP_1) | instid1(VALU_DEP_1)
	v_pk_add_f32 v[76:77], v[76:77], v[82:83]
	s_wait_loadcnt 0x0
	v_pk_add_f32 v[76:77], v[150:151], v[76:77] neg_lo:[0,1] neg_hi:[0,1]
	scratch_store_b64 off, v[76:77], off offset:136
	s_wait_xcnt 0x0
	v_cmpx_lt_u32_e32 16, v0
	s_cbranch_execz .LBB100_203
; %bb.202:
	scratch_load_b64 v[76:77], off, off offset:128
	v_mov_b64_e32 v[78:79], 0
	scratch_store_b64 off, v[78:79], off offset:128
	s_wait_loadcnt 0x0
	ds_store_b64 v1, v[76:77]
.LBB100_203:
	s_wait_xcnt 0x0
	s_or_b32 exec_lo, exec_lo, s0
	s_wait_storecnt_dscnt 0x0
	s_barrier_signal -1
	s_barrier_wait -1
	s_clause 0xa
	scratch_load_b128 v[76:79], off, off offset:136
	scratch_load_b128 v[80:83], off, off offset:152
	;; [unrolled: 1-line block ×10, first 2 shown]
	scratch_load_b64 v[156:157], off, off offset:128
	ds_load_2addr_b64 v[116:119], v7 offset0:67 offset1:68
	ds_load_2addr_b64 v[120:123], v7 offset0:69 offset1:70
	;; [unrolled: 1-line block ×10, first 2 shown]
	s_mov_b32 s0, exec_lo
	s_wait_dscnt 0x9
	v_dual_mov_b32 v158, v119 :: v_dual_mov_b32 v159, v118
	s_wait_dscnt 0x8
	v_dual_mov_b32 v160, v123 :: v_dual_mov_b32 v161, v122
	;; [unrolled: 2-line block ×4, first 2 shown]
	s_wait_loadcnt_dscnt 0xa05
	v_dual_mul_f32 v7, v132, v77 :: v_dual_mul_f32 v9, v134, v79
	v_dual_mul_f32 v27, v133, v77 :: v_dual_mul_f32 v29, v135, v79
	s_wait_loadcnt_dscnt 0x904
	v_dual_mul_f32 v11, v136, v81 :: v_dual_mul_f32 v13, v138, v83
	s_delay_alu instid0(VALU_DEP_3) | instskip(SKIP_3) | instid1(VALU_DEP_3)
	v_dual_fmac_f32 v7, v133, v76 :: v_dual_fmac_f32 v9, v135, v78
	s_wait_loadcnt_dscnt 0x702
	v_dual_fma_f32 v27, v132, v76, -v27 :: v_dual_mul_f32 v39, v145, v89
	v_dual_mul_f32 v31, v137, v81 :: v_dual_mul_f32 v33, v139, v83
	v_dual_fma_f32 v29, v134, v78, -v29 :: v_dual_add_f32 v7, 0, v7
	s_delay_alu instid0(VALU_DEP_3) | instskip(SKIP_1) | instid1(VALU_DEP_4)
	v_dual_add_f32 v27, 0, v27 :: v_dual_fmac_f32 v11, v137, v80
	v_dual_mul_f32 v15, v140, v85 :: v_dual_mul_f32 v17, v142, v87
	v_dual_mul_f32 v41, v147, v91 :: v_dual_fma_f32 v31, v136, v80, -v31
	s_delay_alu instid0(VALU_DEP_4) | instskip(NEXT) | instid1(VALU_DEP_3)
	v_add_f32_e32 v7, v7, v9
	v_dual_add_f32 v9, v27, v29 :: v_dual_fmac_f32 v15, v141, v84
	v_dual_mul_f32 v35, v141, v85 :: v_dual_mul_f32 v37, v143, v87
	s_wait_loadcnt_dscnt 0x601
	v_dual_mul_f32 v27, v149, v93 :: v_dual_fmac_f32 v13, v139, v82
	v_dual_fma_f32 v29, v138, v82, -v33 :: v_dual_add_f32 v7, v7, v11
	s_delay_alu instid0(VALU_DEP_3) | instskip(SKIP_1) | instid1(VALU_DEP_3)
	v_dual_add_f32 v9, v9, v31 :: v_dual_fma_f32 v31, v140, v84, -v35
	v_dual_mul_f32 v19, v144, v89 :: v_dual_mul_f32 v21, v146, v91
	v_add_f32_e32 v7, v7, v13
	s_delay_alu instid0(VALU_DEP_3) | instskip(SKIP_2) | instid1(VALU_DEP_3)
	v_dual_mul_f32 v11, v151, v95 :: v_dual_add_f32 v9, v9, v29
	s_wait_loadcnt_dscnt 0x500
	v_dual_mul_f32 v13, v153, v97 :: v_dual_fmac_f32 v17, v143, v86
	v_dual_fma_f32 v29, v142, v86, -v37 :: v_dual_add_f32 v7, v7, v15
	s_delay_alu instid0(VALU_DEP_3) | instskip(SKIP_1) | instid1(VALU_DEP_3)
	v_dual_add_f32 v9, v9, v31 :: v_dual_fma_f32 v31, v144, v88, -v39
	v_dual_mul_f32 v15, v155, v99 :: v_dual_fmac_f32 v19, v145, v88
	v_dual_add_f32 v7, v7, v17 :: v_dual_fma_f32 v17, v146, v90, -v41
	s_delay_alu instid0(VALU_DEP_3) | instskip(SKIP_1) | instid1(VALU_DEP_3)
	v_dual_add_f32 v9, v9, v29 :: v_dual_fmac_f32 v21, v147, v90
	v_dual_mul_f32 v23, v148, v93 :: v_dual_mul_f32 v25, v150, v95
	v_add_f32_e32 v7, v7, v19
	s_wait_loadcnt 0x4
	s_delay_alu instid0(VALU_DEP_3) | instskip(NEXT) | instid1(VALU_DEP_3)
	v_dual_add_f32 v9, v9, v31 :: v_dual_mov_b32 v78, v103
	v_fmac_f32_e32 v23, v149, v92
	s_delay_alu instid0(VALU_DEP_3) | instskip(NEXT) | instid1(VALU_DEP_3)
	v_dual_fma_f32 v19, v148, v92, -v27 :: v_dual_add_f32 v7, v7, v21
	v_dual_add_f32 v9, v9, v17 :: v_dual_fmac_f32 v25, v151, v94
	v_dual_mul_f32 v167, v152, v97 :: v_dual_mul_f32 v169, v154, v99
	s_delay_alu instid0(VALU_DEP_3) | instskip(SKIP_1) | instid1(VALU_DEP_3)
	v_dual_fma_f32 v11, v150, v94, -v11 :: v_dual_add_f32 v7, v7, v23
	s_wait_loadcnt 0x3
	v_dual_add_f32 v9, v9, v19 :: v_dual_mov_b32 v82, v107
	v_pk_mul_f32 v[76:77], v[116:117], v[100:101] op_sel:[1,1] op_sel_hi:[0,1]
	v_dual_fmac_f32 v167, v153, v96 :: v_dual_fma_f32 v166, v152, v96, -v13
	s_delay_alu instid0(VALU_DEP_3) | instskip(SKIP_1) | instid1(VALU_DEP_4)
	v_dual_add_f32 v85, v7, v25 :: v_dual_add_f32 v84, v9, v11
	v_dual_fmac_f32 v169, v155, v98 :: v_dual_fma_f32 v168, v154, v98, -v15
	v_pk_fma_f32 v[86:87], v[116:117], v[100:101], v[76:77] op_sel_hi:[1,0,1]
	v_pk_mul_f32 v[78:79], v[158:159], v[78:79] op_sel_hi:[1,0]
	s_delay_alu instid0(VALU_DEP_4)
	v_pk_add_f32 v[84:85], v[84:85], v[166:167]
	v_pk_fma_f32 v[76:77], v[116:117], v[100:101], v[76:77] neg_lo:[0,0,1] neg_hi:[0,0,1]
	v_pk_mul_f32 v[80:81], v[120:121], v[104:105] op_sel:[1,1] op_sel_hi:[0,1]
	v_mov_b32_e32 v77, v87
	v_pk_fma_f32 v[86:87], v[118:119], v[102:103], v[78:79] op_sel_hi:[1,0,1]
	v_pk_add_f32 v[84:85], v[84:85], v[168:169]
	v_pk_fma_f32 v[78:79], v[118:119], v[102:103], v[78:79] neg_lo:[0,0,1] neg_hi:[0,0,1]
	v_pk_fma_f32 v[90:91], v[120:121], v[104:105], v[80:81] op_sel_hi:[1,0,1]
	v_pk_mul_f32 v[82:83], v[160:161], v[82:83] op_sel_hi:[1,0]
	v_mov_b32_e32 v79, v87
	v_pk_add_f32 v[76:77], v[84:85], v[76:77]
	s_wait_loadcnt 0x2
	v_pk_mul_f32 v[88:89], v[124:125], v[108:109] op_sel:[1,1] op_sel_hi:[0,1]
	v_mov_b32_e32 v84, v111
	v_pk_fma_f32 v[80:81], v[120:121], v[104:105], v[80:81] neg_lo:[0,0,1] neg_hi:[0,0,1]
	v_mov_b32_e32 v81, v91
	v_pk_fma_f32 v[86:87], v[122:123], v[106:107], v[82:83] op_sel_hi:[1,0,1]
	v_pk_add_f32 v[76:77], v[76:77], v[78:79]
	v_pk_fma_f32 v[78:79], v[124:125], v[108:109], v[88:89] op_sel_hi:[1,0,1]
	v_pk_mul_f32 v[84:85], v[162:163], v[84:85] op_sel_hi:[1,0]
	v_pk_fma_f32 v[82:83], v[122:123], v[106:107], v[82:83] neg_lo:[0,0,1] neg_hi:[0,0,1]
	v_mov_b32_e32 v83, v87
	v_pk_add_f32 v[76:77], v[76:77], v[80:81]
	v_pk_fma_f32 v[86:87], v[124:125], v[108:109], v[88:89] neg_lo:[0,0,1] neg_hi:[0,0,1]
	v_mov_b32_e32 v87, v79
	v_pk_fma_f32 v[78:79], v[126:127], v[110:111], v[84:85] op_sel_hi:[1,0,1]
	s_wait_loadcnt 0x1
	v_pk_mul_f32 v[80:81], v[128:129], v[112:113] op_sel:[1,1] op_sel_hi:[0,1]
	v_pk_add_f32 v[76:77], v[76:77], v[82:83]
	v_mov_b32_e32 v78, v115
	v_pk_fma_f32 v[84:85], v[126:127], v[110:111], v[84:85] neg_lo:[0,0,1] neg_hi:[0,0,1]
	v_mov_b32_e32 v85, v79
	v_pk_fma_f32 v[82:83], v[128:129], v[112:113], v[80:81] op_sel_hi:[1,0,1]
	v_pk_add_f32 v[76:77], v[76:77], v[86:87]
	v_pk_mul_f32 v[78:79], v[164:165], v[78:79] op_sel_hi:[1,0]
	v_pk_fma_f32 v[80:81], v[128:129], v[112:113], v[80:81] neg_lo:[0,0,1] neg_hi:[0,0,1]
	s_delay_alu instid0(VALU_DEP_4) | instskip(NEXT) | instid1(VALU_DEP_4)
	v_mov_b32_e32 v81, v83
	v_pk_add_f32 v[76:77], v[76:77], v[84:85]
	s_delay_alu instid0(VALU_DEP_4) | instskip(SKIP_1) | instid1(VALU_DEP_2)
	v_pk_fma_f32 v[82:83], v[130:131], v[114:115], v[78:79] op_sel_hi:[1,0,1]
	v_pk_fma_f32 v[78:79], v[130:131], v[114:115], v[78:79] neg_lo:[0,0,1] neg_hi:[0,0,1]
	v_mov_b32_e32 v79, v83
	s_delay_alu instid0(VALU_DEP_4) | instskip(NEXT) | instid1(VALU_DEP_1)
	v_pk_add_f32 v[76:77], v[76:77], v[80:81]
	v_pk_add_f32 v[76:77], v[76:77], v[78:79]
	s_wait_loadcnt 0x0
	s_delay_alu instid0(VALU_DEP_1)
	v_pk_add_f32 v[76:77], v[156:157], v[76:77] neg_lo:[0,1] neg_hi:[0,1]
	scratch_store_b64 off, v[76:77], off offset:128
	s_wait_xcnt 0x0
	v_cmpx_lt_u32_e32 15, v0
	s_cbranch_execz .LBB100_205
; %bb.204:
	scratch_load_b64 v[76:77], off, off offset:120
	v_mov_b64_e32 v[78:79], 0
	scratch_store_b64 off, v[78:79], off offset:120
	s_wait_loadcnt 0x0
	ds_store_b64 v1, v[76:77]
.LBB100_205:
	s_wait_xcnt 0x0
	s_or_b32 exec_lo, exec_lo, s0
	s_wait_storecnt_dscnt 0x0
	s_barrier_signal -1
	s_barrier_wait -1
	s_clause 0xb
	scratch_load_b128 v[76:79], off, off offset:128
	scratch_load_b128 v[80:83], off, off offset:144
	;; [unrolled: 1-line block ×10, first 2 shown]
	scratch_load_b64 v[156:157], off, off offset:288
	scratch_load_b64 v[158:159], off, off offset:120
	v_mov_b32_e32 v7, 0
	ds_load_b128 v[116:119], v7 offset:528
	ds_load_b128 v[120:123], v7 offset:544
	;; [unrolled: 1-line block ×10, first 2 shown]
	ds_load_b64 v[160:161], v7 offset:592
	s_mov_b32 s0, exec_lo
	s_wait_dscnt 0xa
	v_dual_mov_b32 v162, v119 :: v_dual_mov_b32 v163, v118
	s_wait_dscnt 0x7
	v_dual_mov_b32 v164, v123 :: v_dual_mov_b32 v169, v130
	v_dual_mov_b32 v165, v122 :: v_dual_mov_b32 v166, v127
	;; [unrolled: 1-line block ×3, first 2 shown]
	s_wait_loadcnt_dscnt 0xb06
	v_dual_mul_f32 v9, v132, v77 :: v_dual_mul_f32 v31, v133, v77
	v_dual_mul_f32 v33, v135, v79 :: v_dual_mul_f32 v11, v134, v79
	s_wait_loadcnt_dscnt 0xa05
	v_mul_f32_e32 v13, v136, v81
	s_wait_loadcnt_dscnt 0x803
	v_dual_mul_f32 v43, v145, v89 :: v_dual_fma_f32 v31, v132, v76, -v31
	v_dual_fmac_f32 v9, v133, v76 :: v_dual_mul_f32 v45, v147, v91
	v_dual_mul_f32 v35, v137, v81 :: v_dual_mul_f32 v37, v139, v83
	v_dual_fmac_f32 v11, v135, v78 :: v_dual_fma_f32 v33, v134, v78, -v33
	s_delay_alu instid0(VALU_DEP_3) | instskip(SKIP_4) | instid1(VALU_DEP_3)
	v_dual_add_f32 v9, 0, v9 :: v_dual_add_f32 v31, 0, v31
	v_dual_mul_f32 v15, v138, v83 :: v_dual_mul_f32 v17, v140, v85
	s_wait_loadcnt_dscnt 0x702
	v_dual_mul_f32 v47, v149, v93 :: v_dual_fma_f32 v35, v136, v80, -v35
	v_fmac_f32_e32 v13, v137, v80
	v_dual_add_f32 v9, v9, v11 :: v_dual_fmac_f32 v15, v139, v82
	v_add_f32_e32 v11, v31, v33
	v_dual_mul_f32 v39, v141, v85 :: v_dual_mul_f32 v41, v143, v87
	v_dual_mul_f32 v31, v151, v95 :: v_dual_fma_f32 v33, v138, v82, -v37
	s_delay_alu instid0(VALU_DEP_3) | instskip(SKIP_3) | instid1(VALU_DEP_3)
	v_dual_add_f32 v9, v9, v13 :: v_dual_add_f32 v11, v11, v35
	v_dual_mul_f32 v19, v142, v87 :: v_dual_mul_f32 v21, v144, v89
	s_wait_loadcnt_dscnt 0x601
	v_dual_mul_f32 v13, v153, v97 :: v_dual_fma_f32 v35, v140, v84, -v39
	v_dual_fmac_f32 v17, v141, v84 :: v_dual_add_f32 v11, v11, v33
	s_delay_alu instid0(VALU_DEP_3) | instskip(SKIP_1) | instid1(VALU_DEP_2)
	v_dual_add_f32 v9, v9, v15 :: v_dual_fmac_f32 v19, v143, v86
	v_dual_mul_f32 v15, v155, v99 :: v_dual_fma_f32 v33, v142, v86, -v41
	v_dual_add_f32 v11, v11, v35 :: v_dual_add_f32 v9, v9, v17
	v_dual_mul_f32 v23, v146, v91 :: v_dual_mul_f32 v25, v148, v93
	s_wait_loadcnt 0x5
	v_dual_mul_f32 v17, v117, v101 :: v_dual_fma_f32 v35, v144, v88, -v43
	s_delay_alu instid0(VALU_DEP_3) | instskip(SKIP_2) | instid1(VALU_DEP_2)
	v_dual_fmac_f32 v21, v145, v88 :: v_dual_add_f32 v11, v11, v33
	v_dual_add_f32 v9, v9, v19 :: v_dual_mov_b32 v76, v103
	v_dual_fmac_f32 v23, v147, v90 :: v_dual_fma_f32 v19, v146, v90, -v45
	v_dual_add_f32 v11, v11, v35 :: v_dual_add_f32 v9, v9, v21
	v_dual_mul_f32 v27, v150, v95 :: v_dual_mul_f32 v29, v152, v97
	v_dual_fmac_f32 v25, v149, v92 :: v_dual_fma_f32 v21, v148, v92, -v47
	s_wait_loadcnt 0x4
	s_delay_alu instid0(VALU_DEP_3) | instskip(SKIP_1) | instid1(VALU_DEP_2)
	v_dual_add_f32 v9, v9, v23 :: v_dual_mov_b32 v80, v107
	v_dual_add_f32 v11, v11, v19 :: v_dual_fma_f32 v19, v150, v94, -v31
	v_dual_fmac_f32 v27, v151, v94 :: v_dual_add_f32 v9, v9, v25
	v_dual_mul_f32 v171, v154, v99 :: v_dual_mul_f32 v173, v116, v101
	s_delay_alu instid0(VALU_DEP_3) | instskip(NEXT) | instid1(VALU_DEP_3)
	v_dual_add_f32 v11, v11, v21 :: v_dual_fmac_f32 v29, v153, v96
	v_dual_fma_f32 v13, v152, v96, -v13 :: v_dual_add_f32 v9, v9, v27
	s_delay_alu instid0(VALU_DEP_3) | instskip(NEXT) | instid1(VALU_DEP_3)
	v_fmac_f32_e32 v171, v155, v98
	v_dual_add_f32 v11, v11, v19 :: v_dual_fma_f32 v170, v154, v98, -v15
	v_pk_mul_f32 v[76:77], v[162:163], v[76:77] op_sel_hi:[1,0]
	s_delay_alu instid0(VALU_DEP_4) | instskip(SKIP_1) | instid1(VALU_DEP_4)
	v_add_f32_e32 v85, v9, v29
	v_pk_mul_f32 v[78:79], v[120:121], v[104:105] op_sel:[1,1] op_sel_hi:[0,1]
	v_dual_add_f32 v84, v11, v13 :: v_dual_fmac_f32 v173, v117, v100
	s_wait_loadcnt 0x3
	v_dual_mov_b32 v86, v111 :: v_dual_fma_f32 v172, v116, v100, -v17
	v_pk_fma_f32 v[88:89], v[118:119], v[102:103], v[76:77] op_sel_hi:[1,0,1]
	s_delay_alu instid0(VALU_DEP_3)
	v_pk_add_f32 v[84:85], v[84:85], v[170:171]
	v_pk_fma_f32 v[76:77], v[118:119], v[102:103], v[76:77] neg_lo:[0,0,1] neg_hi:[0,0,1]
	v_pk_fma_f32 v[90:91], v[120:121], v[104:105], v[78:79] op_sel_hi:[1,0,1]
	v_pk_mul_f32 v[80:81], v[164:165], v[80:81] op_sel_hi:[1,0]
	v_mov_b32_e32 v77, v89
	v_pk_add_f32 v[84:85], v[84:85], v[172:173]
	v_pk_fma_f32 v[78:79], v[120:121], v[104:105], v[78:79] neg_lo:[0,0,1] neg_hi:[0,0,1]
	v_pk_mul_f32 v[82:83], v[124:125], v[108:109] op_sel:[1,1] op_sel_hi:[0,1]
	v_mov_b32_e32 v79, v91
	v_pk_fma_f32 v[90:91], v[122:123], v[106:107], v[80:81] op_sel_hi:[1,0,1]
	v_pk_add_f32 v[76:77], v[84:85], v[76:77]
	v_pk_fma_f32 v[80:81], v[122:123], v[106:107], v[80:81] neg_lo:[0,0,1] neg_hi:[0,0,1]
	v_pk_fma_f32 v[84:85], v[124:125], v[108:109], v[82:83] op_sel_hi:[1,0,1]
	v_pk_mul_f32 v[86:87], v[166:167], v[86:87] op_sel_hi:[1,0]
	v_mov_b32_e32 v81, v91
	v_pk_add_f32 v[76:77], v[76:77], v[78:79]
	v_pk_fma_f32 v[82:83], v[124:125], v[108:109], v[82:83] neg_lo:[0,0,1] neg_hi:[0,0,1]
	s_wait_loadcnt 0x2
	v_pk_mul_f32 v[88:89], v[128:129], v[112:113] op_sel:[1,1] op_sel_hi:[0,1]
	v_dual_mov_b32 v78, v115 :: v_dual_mov_b32 v83, v85
	v_pk_fma_f32 v[84:85], v[126:127], v[110:111], v[86:87] op_sel_hi:[1,0,1]
	v_pk_add_f32 v[76:77], v[76:77], v[80:81]
	v_pk_fma_f32 v[86:87], v[126:127], v[110:111], v[86:87] neg_lo:[0,0,1] neg_hi:[0,0,1]
	v_pk_fma_f32 v[80:81], v[128:129], v[112:113], v[88:89] op_sel_hi:[1,0,1]
	v_pk_mul_f32 v[78:79], v[168:169], v[78:79] op_sel_hi:[1,0]
	v_mov_b32_e32 v87, v85
	v_pk_add_f32 v[76:77], v[76:77], v[82:83]
	v_pk_fma_f32 v[82:83], v[128:129], v[112:113], v[88:89] neg_lo:[0,0,1] neg_hi:[0,0,1]
	v_mov_b32_e32 v83, v81
	v_pk_fma_f32 v[80:81], v[130:131], v[114:115], v[78:79] op_sel_hi:[1,0,1]
	s_wait_loadcnt_dscnt 0x100
	v_pk_mul_f32 v[84:85], v[160:161], v[156:157] op_sel:[1,1] op_sel_hi:[0,1]
	v_pk_add_f32 v[76:77], v[76:77], v[86:87]
	v_pk_fma_f32 v[78:79], v[130:131], v[114:115], v[78:79] neg_lo:[0,0,1] neg_hi:[0,0,1]
	v_mov_b32_e32 v79, v81
	s_delay_alu instid0(VALU_DEP_4) | instskip(NEXT) | instid1(VALU_DEP_4)
	v_pk_fma_f32 v[80:81], v[160:161], v[156:157], v[84:85] op_sel_hi:[1,0,1]
	v_pk_add_f32 v[76:77], v[76:77], v[82:83]
	v_pk_fma_f32 v[82:83], v[160:161], v[156:157], v[84:85] neg_lo:[0,0,1] neg_hi:[0,0,1]
	s_delay_alu instid0(VALU_DEP_3) | instskip(NEXT) | instid1(VALU_DEP_3)
	v_mov_b32_e32 v83, v81
	v_pk_add_f32 v[76:77], v[76:77], v[78:79]
	s_delay_alu instid0(VALU_DEP_1) | instskip(SKIP_1) | instid1(VALU_DEP_1)
	v_pk_add_f32 v[76:77], v[76:77], v[82:83]
	s_wait_loadcnt 0x0
	v_pk_add_f32 v[76:77], v[158:159], v[76:77] neg_lo:[0,1] neg_hi:[0,1]
	scratch_store_b64 off, v[76:77], off offset:120
	s_wait_xcnt 0x0
	v_cmpx_lt_u32_e32 14, v0
	s_cbranch_execz .LBB100_207
; %bb.206:
	scratch_load_b64 v[76:77], off, off offset:112
	v_mov_b64_e32 v[78:79], 0
	scratch_store_b64 off, v[78:79], off offset:112
	s_wait_loadcnt 0x0
	ds_store_b64 v1, v[76:77]
.LBB100_207:
	s_wait_xcnt 0x0
	s_or_b32 exec_lo, exec_lo, s0
	s_wait_storecnt_dscnt 0x0
	s_barrier_signal -1
	s_barrier_wait -1
	s_clause 0xb
	scratch_load_b128 v[76:79], off, off offset:120
	scratch_load_b128 v[80:83], off, off offset:136
	scratch_load_b128 v[84:87], off, off offset:152
	scratch_load_b128 v[88:91], off, off offset:168
	scratch_load_b128 v[92:95], off, off offset:184
	scratch_load_b128 v[96:99], off, off offset:200
	scratch_load_b128 v[100:103], off, off offset:216
	scratch_load_b128 v[104:107], off, off offset:232
	scratch_load_b128 v[108:111], off, off offset:248
	scratch_load_b128 v[112:115], off, off offset:264
	scratch_load_b128 v[116:119], off, off offset:280
	scratch_load_b64 v[164:165], off, off offset:112
	ds_load_2addr_b64 v[120:123], v7 offset0:67 offset1:68
	ds_load_2addr_b64 v[124:127], v7 offset0:69 offset1:70
	;; [unrolled: 1-line block ×11, first 2 shown]
	s_mov_b32 s0, exec_lo
	s_wait_dscnt 0xa
	v_dual_mov_b32 v166, v123 :: v_dual_mov_b32 v167, v122
	s_wait_dscnt 0x9
	v_dual_mov_b32 v168, v127 :: v_dual_mov_b32 v169, v126
	;; [unrolled: 2-line block ×4, first 2 shown]
	s_wait_loadcnt_dscnt 0xb06
	v_dual_mul_f32 v7, v136, v77 :: v_dual_mul_f32 v9, v138, v79
	v_dual_mul_f32 v31, v137, v77 :: v_dual_mul_f32 v33, v139, v79
	s_wait_loadcnt_dscnt 0xa05
	v_dual_mul_f32 v11, v140, v81 :: v_dual_mul_f32 v13, v142, v83
	s_delay_alu instid0(VALU_DEP_3) | instskip(SKIP_3) | instid1(VALU_DEP_3)
	v_dual_fmac_f32 v7, v137, v76 :: v_dual_fmac_f32 v9, v139, v78
	s_wait_loadcnt_dscnt 0x803
	v_dual_fma_f32 v31, v136, v76, -v31 :: v_dual_mul_f32 v43, v149, v89
	v_dual_mul_f32 v35, v141, v81 :: v_dual_mul_f32 v37, v143, v83
	v_dual_fma_f32 v33, v138, v78, -v33 :: v_dual_add_f32 v7, 0, v7
	s_delay_alu instid0(VALU_DEP_3) | instskip(SKIP_1) | instid1(VALU_DEP_4)
	v_dual_add_f32 v31, 0, v31 :: v_dual_fmac_f32 v11, v141, v80
	v_dual_mul_f32 v15, v144, v85 :: v_dual_mul_f32 v17, v146, v87
	v_dual_mul_f32 v45, v151, v91 :: v_dual_fma_f32 v35, v140, v80, -v35
	s_delay_alu instid0(VALU_DEP_4) | instskip(NEXT) | instid1(VALU_DEP_3)
	v_add_f32_e32 v7, v7, v9
	v_dual_add_f32 v9, v31, v33 :: v_dual_fmac_f32 v15, v145, v84
	v_dual_mul_f32 v39, v145, v85 :: v_dual_mul_f32 v41, v147, v87
	s_wait_loadcnt_dscnt 0x702
	v_dual_mul_f32 v31, v153, v93 :: v_dual_fmac_f32 v13, v143, v82
	v_dual_fma_f32 v33, v142, v82, -v37 :: v_dual_add_f32 v7, v7, v11
	s_delay_alu instid0(VALU_DEP_3) | instskip(SKIP_1) | instid1(VALU_DEP_3)
	v_dual_add_f32 v9, v9, v35 :: v_dual_fma_f32 v35, v144, v84, -v39
	v_dual_mul_f32 v19, v148, v89 :: v_dual_mul_f32 v21, v150, v91
	v_add_f32_e32 v7, v7, v13
	s_delay_alu instid0(VALU_DEP_3) | instskip(SKIP_2) | instid1(VALU_DEP_3)
	v_dual_mul_f32 v11, v155, v95 :: v_dual_add_f32 v9, v9, v33
	s_wait_loadcnt_dscnt 0x601
	v_dual_mul_f32 v13, v157, v97 :: v_dual_fmac_f32 v17, v147, v86
	v_dual_fma_f32 v33, v146, v86, -v41 :: v_dual_add_f32 v7, v7, v15
	s_delay_alu instid0(VALU_DEP_3) | instskip(SKIP_1) | instid1(VALU_DEP_3)
	v_dual_add_f32 v9, v9, v35 :: v_dual_fma_f32 v35, v148, v88, -v43
	v_dual_mul_f32 v15, v159, v99 :: v_dual_fmac_f32 v19, v149, v88
	v_add_f32_e32 v7, v7, v17
	s_delay_alu instid0(VALU_DEP_3)
	v_dual_add_f32 v9, v9, v33 :: v_dual_fmac_f32 v21, v151, v90
	v_dual_mul_f32 v23, v152, v93 :: v_dual_mul_f32 v25, v154, v95
	s_wait_loadcnt_dscnt 0x500
	v_dual_fma_f32 v33, v150, v90, -v45 :: v_dual_mul_f32 v17, v161, v101
	v_add_f32_e32 v7, v7, v19
	v_dual_add_f32 v9, v9, v35 :: v_dual_fma_f32 v31, v152, v92, -v31
	v_dual_mul_f32 v19, v163, v103 :: v_dual_fmac_f32 v23, v153, v92
	s_delay_alu instid0(VALU_DEP_3) | instskip(NEXT) | instid1(VALU_DEP_3)
	v_dual_add_f32 v7, v7, v21 :: v_dual_fma_f32 v11, v154, v94, -v11
	v_dual_add_f32 v9, v9, v33 :: v_dual_fmac_f32 v25, v155, v94
	v_dual_mul_f32 v27, v156, v97 :: v_dual_mul_f32 v29, v158, v99
	s_delay_alu instid0(VALU_DEP_3) | instskip(SKIP_1) | instid1(VALU_DEP_3)
	v_add_f32_e32 v7, v7, v23
	s_wait_loadcnt 0x4
	v_dual_add_f32 v9, v9, v31 :: v_dual_mov_b32 v78, v107
	s_delay_alu instid0(VALU_DEP_3) | instskip(NEXT) | instid1(VALU_DEP_2)
	v_dual_fmac_f32 v27, v157, v96 :: v_dual_fma_f32 v13, v156, v96, -v13
	v_dual_add_f32 v7, v7, v25 :: v_dual_add_f32 v9, v9, v11
	v_dual_fmac_f32 v29, v159, v98 :: v_dual_mul_f32 v175, v160, v101
	v_mul_f32_e32 v177, v162, v103
	s_delay_alu instid0(VALU_DEP_3) | instskip(SKIP_4) | instid1(VALU_DEP_3)
	v_dual_fma_f32 v11, v158, v98, -v15 :: v_dual_add_f32 v7, v7, v27
	s_wait_loadcnt 0x3
	v_dual_add_f32 v9, v9, v13 :: v_dual_mov_b32 v82, v111
	v_pk_mul_f32 v[76:77], v[120:121], v[104:105] op_sel:[1,1] op_sel_hi:[0,1]
	v_dual_fmac_f32 v175, v161, v100 :: v_dual_fma_f32 v174, v160, v100, -v17
	v_dual_add_f32 v85, v7, v29 :: v_dual_add_f32 v84, v9, v11
	v_dual_fmac_f32 v177, v163, v102 :: v_dual_fma_f32 v176, v162, v102, -v19
	s_delay_alu instid0(VALU_DEP_4) | instskip(SKIP_1) | instid1(VALU_DEP_4)
	v_pk_fma_f32 v[86:87], v[120:121], v[104:105], v[76:77] op_sel_hi:[1,0,1]
	v_pk_mul_f32 v[78:79], v[166:167], v[78:79] op_sel_hi:[1,0]
	v_pk_add_f32 v[84:85], v[84:85], v[174:175]
	v_pk_fma_f32 v[76:77], v[120:121], v[104:105], v[76:77] neg_lo:[0,0,1] neg_hi:[0,0,1]
	v_pk_mul_f32 v[80:81], v[124:125], v[108:109] op_sel:[1,1] op_sel_hi:[0,1]
	v_mov_b32_e32 v77, v87
	v_pk_fma_f32 v[86:87], v[122:123], v[106:107], v[78:79] op_sel_hi:[1,0,1]
	v_pk_add_f32 v[84:85], v[84:85], v[176:177]
	v_pk_fma_f32 v[78:79], v[122:123], v[106:107], v[78:79] neg_lo:[0,0,1] neg_hi:[0,0,1]
	v_pk_fma_f32 v[90:91], v[124:125], v[108:109], v[80:81] op_sel_hi:[1,0,1]
	v_pk_mul_f32 v[82:83], v[168:169], v[82:83] op_sel_hi:[1,0]
	v_mov_b32_e32 v79, v87
	v_pk_add_f32 v[76:77], v[84:85], v[76:77]
	s_wait_loadcnt 0x2
	v_pk_mul_f32 v[88:89], v[128:129], v[112:113] op_sel:[1,1] op_sel_hi:[0,1]
	v_mov_b32_e32 v84, v115
	v_pk_fma_f32 v[80:81], v[124:125], v[108:109], v[80:81] neg_lo:[0,0,1] neg_hi:[0,0,1]
	v_mov_b32_e32 v81, v91
	v_pk_fma_f32 v[86:87], v[126:127], v[110:111], v[82:83] op_sel_hi:[1,0,1]
	v_pk_add_f32 v[76:77], v[76:77], v[78:79]
	v_pk_fma_f32 v[78:79], v[128:129], v[112:113], v[88:89] op_sel_hi:[1,0,1]
	v_pk_mul_f32 v[84:85], v[170:171], v[84:85] op_sel_hi:[1,0]
	v_pk_fma_f32 v[82:83], v[126:127], v[110:111], v[82:83] neg_lo:[0,0,1] neg_hi:[0,0,1]
	v_mov_b32_e32 v83, v87
	v_pk_add_f32 v[76:77], v[76:77], v[80:81]
	v_pk_fma_f32 v[86:87], v[128:129], v[112:113], v[88:89] neg_lo:[0,0,1] neg_hi:[0,0,1]
	v_mov_b32_e32 v87, v79
	v_pk_fma_f32 v[78:79], v[130:131], v[114:115], v[84:85] op_sel_hi:[1,0,1]
	s_wait_loadcnt 0x1
	v_pk_mul_f32 v[80:81], v[132:133], v[116:117] op_sel:[1,1] op_sel_hi:[0,1]
	v_pk_add_f32 v[76:77], v[76:77], v[82:83]
	v_mov_b32_e32 v78, v119
	v_pk_fma_f32 v[84:85], v[130:131], v[114:115], v[84:85] neg_lo:[0,0,1] neg_hi:[0,0,1]
	v_mov_b32_e32 v85, v79
	v_pk_fma_f32 v[82:83], v[132:133], v[116:117], v[80:81] op_sel_hi:[1,0,1]
	v_pk_add_f32 v[76:77], v[76:77], v[86:87]
	v_pk_mul_f32 v[78:79], v[172:173], v[78:79] op_sel_hi:[1,0]
	v_pk_fma_f32 v[80:81], v[132:133], v[116:117], v[80:81] neg_lo:[0,0,1] neg_hi:[0,0,1]
	s_delay_alu instid0(VALU_DEP_4) | instskip(NEXT) | instid1(VALU_DEP_4)
	v_mov_b32_e32 v81, v83
	v_pk_add_f32 v[76:77], v[76:77], v[84:85]
	s_delay_alu instid0(VALU_DEP_4) | instskip(SKIP_1) | instid1(VALU_DEP_2)
	v_pk_fma_f32 v[82:83], v[134:135], v[118:119], v[78:79] op_sel_hi:[1,0,1]
	v_pk_fma_f32 v[78:79], v[134:135], v[118:119], v[78:79] neg_lo:[0,0,1] neg_hi:[0,0,1]
	v_mov_b32_e32 v79, v83
	s_delay_alu instid0(VALU_DEP_4) | instskip(NEXT) | instid1(VALU_DEP_1)
	v_pk_add_f32 v[76:77], v[76:77], v[80:81]
	v_pk_add_f32 v[76:77], v[76:77], v[78:79]
	s_wait_loadcnt 0x0
	s_delay_alu instid0(VALU_DEP_1)
	v_pk_add_f32 v[76:77], v[164:165], v[76:77] neg_lo:[0,1] neg_hi:[0,1]
	scratch_store_b64 off, v[76:77], off offset:112
	s_wait_xcnt 0x0
	v_cmpx_lt_u32_e32 13, v0
	s_cbranch_execz .LBB100_209
; %bb.208:
	scratch_load_b64 v[76:77], off, off offset:104
	v_mov_b64_e32 v[78:79], 0
	scratch_store_b64 off, v[78:79], off offset:104
	s_wait_loadcnt 0x0
	ds_store_b64 v1, v[76:77]
.LBB100_209:
	s_wait_xcnt 0x0
	s_or_b32 exec_lo, exec_lo, s0
	s_wait_storecnt_dscnt 0x0
	s_barrier_signal -1
	s_barrier_wait -1
	s_clause 0xc
	scratch_load_b128 v[76:79], off, off offset:112
	scratch_load_b128 v[80:83], off, off offset:128
	;; [unrolled: 1-line block ×11, first 2 shown]
	scratch_load_b64 v[164:165], off, off offset:288
	scratch_load_b64 v[166:167], off, off offset:104
	v_mov_b32_e32 v7, 0
	ds_load_b128 v[120:123], v7 offset:528
	ds_load_b128 v[124:127], v7 offset:544
	;; [unrolled: 1-line block ×11, first 2 shown]
	ds_load_b64 v[168:169], v7 offset:592
	s_mov_b32 s0, exec_lo
	s_wait_dscnt 0xb
	v_dual_mov_b32 v170, v123 :: v_dual_mov_b32 v171, v122
	s_wait_dscnt 0x8
	v_dual_mov_b32 v172, v127 :: v_dual_mov_b32 v177, v134
	v_dual_mov_b32 v173, v126 :: v_dual_mov_b32 v174, v131
	;; [unrolled: 1-line block ×3, first 2 shown]
	s_wait_loadcnt_dscnt 0xc07
	v_dual_mul_f32 v9, v136, v77 :: v_dual_mul_f32 v35, v137, v77
	v_dual_mul_f32 v37, v139, v79 :: v_dual_mul_f32 v11, v138, v79
	s_wait_loadcnt_dscnt 0xb06
	v_mul_f32_e32 v13, v140, v81
	s_wait_loadcnt_dscnt 0x904
	v_dual_mul_f32 v47, v149, v89 :: v_dual_fma_f32 v35, v136, v76, -v35
	v_dual_fmac_f32 v9, v137, v76 :: v_dual_mul_f32 v49, v151, v91
	v_dual_mul_f32 v39, v141, v81 :: v_dual_mul_f32 v41, v143, v83
	v_dual_fmac_f32 v11, v139, v78 :: v_dual_fma_f32 v37, v138, v78, -v37
	s_delay_alu instid0(VALU_DEP_3) | instskip(SKIP_4) | instid1(VALU_DEP_3)
	v_dual_add_f32 v9, 0, v9 :: v_dual_add_f32 v35, 0, v35
	v_dual_mul_f32 v15, v142, v83 :: v_dual_mul_f32 v17, v144, v85
	s_wait_loadcnt_dscnt 0x803
	v_dual_mul_f32 v51, v153, v93 :: v_dual_fma_f32 v39, v140, v80, -v39
	v_fmac_f32_e32 v13, v141, v80
	v_dual_add_f32 v9, v9, v11 :: v_dual_fmac_f32 v15, v143, v82
	v_add_f32_e32 v11, v35, v37
	v_dual_mul_f32 v43, v145, v85 :: v_dual_mul_f32 v45, v147, v87
	v_dual_mul_f32 v35, v155, v95 :: v_dual_fma_f32 v37, v142, v82, -v41
	s_delay_alu instid0(VALU_DEP_3) | instskip(SKIP_3) | instid1(VALU_DEP_3)
	v_dual_add_f32 v9, v9, v13 :: v_dual_add_f32 v11, v11, v39
	v_dual_mul_f32 v19, v146, v87 :: v_dual_mul_f32 v21, v148, v89
	s_wait_loadcnt_dscnt 0x701
	v_dual_mul_f32 v13, v161, v97 :: v_dual_fma_f32 v39, v144, v84, -v43
	v_dual_fmac_f32 v17, v145, v84 :: v_dual_add_f32 v11, v11, v37
	s_delay_alu instid0(VALU_DEP_3) | instskip(SKIP_1) | instid1(VALU_DEP_2)
	v_dual_add_f32 v9, v9, v15 :: v_dual_fmac_f32 v19, v147, v86
	v_dual_mul_f32 v15, v163, v99 :: v_dual_fma_f32 v37, v146, v86, -v45
	v_dual_add_f32 v11, v11, v39 :: v_dual_add_f32 v9, v9, v17
	v_dual_mul_f32 v23, v150, v91 :: v_dual_mul_f32 v25, v152, v93
	s_wait_loadcnt 0x6
	v_dual_mul_f32 v17, v157, v101 :: v_dual_fma_f32 v39, v148, v88, -v47
	s_delay_alu instid0(VALU_DEP_3) | instskip(NEXT) | instid1(VALU_DEP_3)
	v_dual_fmac_f32 v21, v149, v88 :: v_dual_add_f32 v11, v11, v37
	v_dual_add_f32 v9, v9, v19 :: v_dual_fmac_f32 v23, v151, v90
	v_dual_mul_f32 v19, v159, v103 :: v_dual_fma_f32 v37, v150, v90, -v49
	s_delay_alu instid0(VALU_DEP_2) | instskip(SKIP_3) | instid1(VALU_DEP_3)
	v_dual_add_f32 v11, v11, v39 :: v_dual_add_f32 v9, v9, v21
	v_dual_mul_f32 v27, v154, v95 :: v_dual_mul_f32 v29, v160, v97
	s_wait_loadcnt 0x5
	v_dual_mul_f32 v21, v121, v105 :: v_dual_fma_f32 v39, v152, v92, -v51
	v_dual_fmac_f32 v25, v153, v92 :: v_dual_add_f32 v11, v11, v37
	v_dual_add_f32 v9, v9, v23 :: v_dual_mov_b32 v76, v107
	v_fmac_f32_e32 v27, v155, v94
	s_delay_alu instid0(VALU_DEP_3) | instskip(NEXT) | instid1(VALU_DEP_3)
	v_dual_fma_f32 v23, v154, v94, -v35 :: v_dual_add_f32 v11, v11, v39
	v_dual_add_f32 v9, v9, v25 :: v_dual_mul_f32 v31, v162, v99
	v_dual_mul_f32 v33, v156, v101 :: v_dual_fmac_f32 v29, v161, v96
	s_delay_alu instid0(VALU_DEP_3) | instskip(SKIP_1) | instid1(VALU_DEP_3)
	v_dual_add_f32 v11, v11, v23 :: v_dual_fma_f32 v13, v160, v96, -v13
	s_wait_loadcnt 0x4
	v_dual_add_f32 v9, v9, v27 :: v_dual_mov_b32 v80, v111
	v_fma_f32 v15, v162, v98, -v15
	v_fmac_f32_e32 v31, v163, v98
	v_dual_add_f32 v11, v11, v13 :: v_dual_fmac_f32 v33, v157, v100
	s_delay_alu instid0(VALU_DEP_4) | instskip(SKIP_1) | instid1(VALU_DEP_3)
	v_dual_add_f32 v9, v9, v29 :: v_dual_mul_f32 v179, v158, v103
	v_mul_f32_e32 v181, v120, v105
	v_dual_fma_f32 v13, v156, v100, -v17 :: v_dual_add_f32 v11, v11, v15
	s_delay_alu instid0(VALU_DEP_3) | instskip(NEXT) | instid1(VALU_DEP_4)
	v_dual_fma_f32 v178, v158, v102, -v19 :: v_dual_add_f32 v9, v9, v31
	v_fmac_f32_e32 v179, v159, v102
	v_pk_mul_f32 v[76:77], v[170:171], v[76:77] op_sel_hi:[1,0]
	s_delay_alu instid0(VALU_DEP_4) | instskip(NEXT) | instid1(VALU_DEP_4)
	v_dual_add_f32 v84, v11, v13 :: v_dual_fmac_f32 v181, v121, v104
	v_add_f32_e32 v85, v9, v33
	v_pk_mul_f32 v[78:79], v[124:125], v[108:109] op_sel:[1,1] op_sel_hi:[0,1]
	s_wait_loadcnt 0x3
	v_dual_mov_b32 v86, v115 :: v_dual_fma_f32 v180, v120, v104, -v21
	v_pk_fma_f32 v[88:89], v[122:123], v[106:107], v[76:77] op_sel_hi:[1,0,1]
	v_pk_add_f32 v[84:85], v[84:85], v[178:179]
	v_pk_fma_f32 v[76:77], v[122:123], v[106:107], v[76:77] neg_lo:[0,0,1] neg_hi:[0,0,1]
	v_pk_fma_f32 v[90:91], v[124:125], v[108:109], v[78:79] op_sel_hi:[1,0,1]
	v_pk_mul_f32 v[80:81], v[172:173], v[80:81] op_sel_hi:[1,0]
	v_mov_b32_e32 v77, v89
	v_pk_add_f32 v[84:85], v[84:85], v[180:181]
	v_pk_fma_f32 v[78:79], v[124:125], v[108:109], v[78:79] neg_lo:[0,0,1] neg_hi:[0,0,1]
	v_pk_mul_f32 v[82:83], v[128:129], v[112:113] op_sel:[1,1] op_sel_hi:[0,1]
	v_mov_b32_e32 v79, v91
	v_pk_fma_f32 v[90:91], v[126:127], v[110:111], v[80:81] op_sel_hi:[1,0,1]
	v_pk_add_f32 v[76:77], v[84:85], v[76:77]
	v_pk_fma_f32 v[80:81], v[126:127], v[110:111], v[80:81] neg_lo:[0,0,1] neg_hi:[0,0,1]
	v_pk_fma_f32 v[84:85], v[128:129], v[112:113], v[82:83] op_sel_hi:[1,0,1]
	v_pk_mul_f32 v[86:87], v[174:175], v[86:87] op_sel_hi:[1,0]
	v_mov_b32_e32 v81, v91
	v_pk_add_f32 v[76:77], v[76:77], v[78:79]
	v_pk_fma_f32 v[82:83], v[128:129], v[112:113], v[82:83] neg_lo:[0,0,1] neg_hi:[0,0,1]
	s_wait_loadcnt 0x2
	v_pk_mul_f32 v[88:89], v[132:133], v[116:117] op_sel:[1,1] op_sel_hi:[0,1]
	v_dual_mov_b32 v78, v119 :: v_dual_mov_b32 v83, v85
	v_pk_fma_f32 v[84:85], v[130:131], v[114:115], v[86:87] op_sel_hi:[1,0,1]
	v_pk_add_f32 v[76:77], v[76:77], v[80:81]
	v_pk_fma_f32 v[86:87], v[130:131], v[114:115], v[86:87] neg_lo:[0,0,1] neg_hi:[0,0,1]
	v_pk_fma_f32 v[80:81], v[132:133], v[116:117], v[88:89] op_sel_hi:[1,0,1]
	v_pk_mul_f32 v[78:79], v[176:177], v[78:79] op_sel_hi:[1,0]
	v_mov_b32_e32 v87, v85
	v_pk_add_f32 v[76:77], v[76:77], v[82:83]
	v_pk_fma_f32 v[82:83], v[132:133], v[116:117], v[88:89] neg_lo:[0,0,1] neg_hi:[0,0,1]
	v_mov_b32_e32 v83, v81
	v_pk_fma_f32 v[80:81], v[134:135], v[118:119], v[78:79] op_sel_hi:[1,0,1]
	s_wait_loadcnt_dscnt 0x100
	v_pk_mul_f32 v[84:85], v[168:169], v[164:165] op_sel:[1,1] op_sel_hi:[0,1]
	v_pk_add_f32 v[76:77], v[76:77], v[86:87]
	v_pk_fma_f32 v[78:79], v[134:135], v[118:119], v[78:79] neg_lo:[0,0,1] neg_hi:[0,0,1]
	v_mov_b32_e32 v79, v81
	s_delay_alu instid0(VALU_DEP_4) | instskip(NEXT) | instid1(VALU_DEP_4)
	v_pk_fma_f32 v[80:81], v[168:169], v[164:165], v[84:85] op_sel_hi:[1,0,1]
	v_pk_add_f32 v[76:77], v[76:77], v[82:83]
	v_pk_fma_f32 v[82:83], v[168:169], v[164:165], v[84:85] neg_lo:[0,0,1] neg_hi:[0,0,1]
	s_delay_alu instid0(VALU_DEP_3) | instskip(NEXT) | instid1(VALU_DEP_3)
	v_mov_b32_e32 v83, v81
	v_pk_add_f32 v[76:77], v[76:77], v[78:79]
	s_delay_alu instid0(VALU_DEP_1) | instskip(SKIP_1) | instid1(VALU_DEP_1)
	v_pk_add_f32 v[76:77], v[76:77], v[82:83]
	s_wait_loadcnt 0x0
	v_pk_add_f32 v[76:77], v[166:167], v[76:77] neg_lo:[0,1] neg_hi:[0,1]
	scratch_store_b64 off, v[76:77], off offset:104
	s_wait_xcnt 0x0
	v_cmpx_lt_u32_e32 12, v0
	s_cbranch_execz .LBB100_211
; %bb.210:
	scratch_load_b64 v[76:77], off, off offset:96
	v_mov_b64_e32 v[78:79], 0
	scratch_store_b64 off, v[78:79], off offset:96
	s_wait_loadcnt 0x0
	ds_store_b64 v1, v[76:77]
.LBB100_211:
	s_wait_xcnt 0x0
	s_or_b32 exec_lo, exec_lo, s0
	s_wait_storecnt_dscnt 0x0
	s_barrier_signal -1
	s_barrier_wait -1
	s_clause 0xc
	scratch_load_b128 v[76:79], off, off offset:104
	scratch_load_b128 v[80:83], off, off offset:120
	;; [unrolled: 1-line block ×12, first 2 shown]
	scratch_load_b64 v[172:173], off, off offset:96
	ds_load_2addr_b64 v[124:127], v7 offset0:67 offset1:68
	ds_load_2addr_b64 v[128:131], v7 offset0:69 offset1:70
	;; [unrolled: 1-line block ×12, first 2 shown]
	s_mov_b32 s0, exec_lo
	s_wait_dscnt 0xb
	v_dual_mov_b32 v174, v127 :: v_dual_mov_b32 v175, v126
	s_wait_dscnt 0xa
	v_dual_mov_b32 v176, v131 :: v_dual_mov_b32 v177, v130
	;; [unrolled: 2-line block ×4, first 2 shown]
	s_wait_loadcnt_dscnt 0xc07
	v_dual_mul_f32 v7, v140, v77 :: v_dual_mul_f32 v9, v142, v79
	v_dual_mul_f32 v35, v141, v77 :: v_dual_mul_f32 v37, v143, v79
	s_wait_loadcnt_dscnt 0xb06
	v_dual_mul_f32 v11, v144, v81 :: v_dual_mul_f32 v13, v146, v83
	s_delay_alu instid0(VALU_DEP_3) | instskip(SKIP_3) | instid1(VALU_DEP_3)
	v_dual_fmac_f32 v7, v141, v76 :: v_dual_fmac_f32 v9, v143, v78
	s_wait_loadcnt_dscnt 0x904
	v_dual_fma_f32 v35, v140, v76, -v35 :: v_dual_mul_f32 v47, v153, v89
	v_dual_mul_f32 v39, v145, v81 :: v_dual_mul_f32 v41, v147, v83
	v_dual_fma_f32 v37, v142, v78, -v37 :: v_dual_add_f32 v7, 0, v7
	s_delay_alu instid0(VALU_DEP_3) | instskip(SKIP_1) | instid1(VALU_DEP_4)
	v_dual_add_f32 v35, 0, v35 :: v_dual_fmac_f32 v11, v145, v80
	v_dual_mul_f32 v15, v148, v85 :: v_dual_mul_f32 v17, v150, v87
	v_dual_mul_f32 v49, v155, v91 :: v_dual_fma_f32 v39, v144, v80, -v39
	s_delay_alu instid0(VALU_DEP_4) | instskip(NEXT) | instid1(VALU_DEP_3)
	v_add_f32_e32 v7, v7, v9
	v_dual_add_f32 v9, v35, v37 :: v_dual_fmac_f32 v15, v149, v84
	v_dual_mul_f32 v43, v149, v85 :: v_dual_mul_f32 v45, v151, v87
	s_wait_loadcnt_dscnt 0x803
	v_dual_mul_f32 v35, v157, v93 :: v_dual_fmac_f32 v13, v147, v82
	v_dual_fma_f32 v37, v146, v82, -v41 :: v_dual_add_f32 v7, v7, v11
	s_delay_alu instid0(VALU_DEP_3) | instskip(SKIP_1) | instid1(VALU_DEP_3)
	v_dual_add_f32 v9, v9, v39 :: v_dual_fma_f32 v39, v148, v84, -v43
	v_dual_mul_f32 v19, v152, v89 :: v_dual_mul_f32 v21, v154, v91
	v_add_f32_e32 v7, v7, v13
	s_delay_alu instid0(VALU_DEP_3) | instskip(SKIP_2) | instid1(VALU_DEP_3)
	v_dual_mul_f32 v11, v159, v95 :: v_dual_add_f32 v9, v9, v37
	s_wait_loadcnt_dscnt 0x702
	v_dual_mul_f32 v13, v161, v97 :: v_dual_fmac_f32 v17, v151, v86
	v_dual_fma_f32 v37, v150, v86, -v45 :: v_dual_add_f32 v7, v7, v15
	s_delay_alu instid0(VALU_DEP_3) | instskip(SKIP_1) | instid1(VALU_DEP_3)
	v_dual_add_f32 v9, v9, v39 :: v_dual_fma_f32 v39, v152, v88, -v47
	v_dual_mul_f32 v15, v163, v99 :: v_dual_fmac_f32 v19, v153, v88
	v_add_f32_e32 v7, v7, v17
	s_delay_alu instid0(VALU_DEP_3)
	v_dual_add_f32 v9, v9, v37 :: v_dual_fmac_f32 v21, v155, v90
	v_dual_mul_f32 v23, v156, v93 :: v_dual_mul_f32 v25, v158, v95
	s_wait_loadcnt_dscnt 0x601
	v_dual_fma_f32 v37, v154, v90, -v49 :: v_dual_mul_f32 v17, v165, v101
	v_add_f32_e32 v7, v7, v19
	v_dual_add_f32 v9, v9, v39 :: v_dual_fma_f32 v35, v156, v92, -v35
	v_dual_mul_f32 v19, v167, v103 :: v_dual_fmac_f32 v23, v157, v92
	s_delay_alu instid0(VALU_DEP_3) | instskip(NEXT) | instid1(VALU_DEP_3)
	v_dual_add_f32 v7, v7, v21 :: v_dual_fma_f32 v11, v158, v94, -v11
	v_dual_add_f32 v9, v9, v37 :: v_dual_fmac_f32 v25, v159, v94
	v_dual_mul_f32 v27, v160, v97 :: v_dual_mul_f32 v29, v162, v99
	s_wait_loadcnt_dscnt 0x500
	s_delay_alu instid0(VALU_DEP_3) | instskip(NEXT) | instid1(VALU_DEP_3)
	v_dual_mul_f32 v21, v169, v105 :: v_dual_add_f32 v7, v7, v23
	v_dual_add_f32 v9, v9, v35 :: v_dual_fma_f32 v13, v160, v96, -v13
	s_delay_alu instid0(VALU_DEP_3) | instskip(NEXT) | instid1(VALU_DEP_2)
	v_dual_mul_f32 v23, v171, v107 :: v_dual_fmac_f32 v27, v161, v96
	v_dual_add_f32 v7, v7, v25 :: v_dual_add_f32 v9, v9, v11
	v_dual_mul_f32 v31, v164, v101 :: v_dual_mul_f32 v33, v166, v103
	v_dual_fmac_f32 v29, v163, v98 :: v_dual_fma_f32 v11, v162, v98, -v15
	s_delay_alu instid0(VALU_DEP_3) | instskip(SKIP_1) | instid1(VALU_DEP_3)
	v_dual_add_f32 v7, v7, v27 :: v_dual_add_f32 v9, v9, v13
	s_wait_loadcnt 0x4
	v_dual_mov_b32 v78, v111 :: v_dual_fmac_f32 v31, v165, v100
	s_delay_alu instid0(VALU_DEP_2) | instskip(NEXT) | instid1(VALU_DEP_3)
	v_dual_fma_f32 v13, v164, v100, -v17 :: v_dual_add_f32 v7, v7, v29
	v_dual_add_f32 v9, v9, v11 :: v_dual_fmac_f32 v33, v167, v102
	v_dual_mul_f32 v183, v168, v105 :: v_dual_mul_f32 v185, v170, v107
	s_delay_alu instid0(VALU_DEP_3) | instskip(SKIP_1) | instid1(VALU_DEP_3)
	v_dual_fma_f32 v11, v166, v102, -v19 :: v_dual_add_f32 v7, v7, v31
	s_wait_loadcnt 0x3
	v_dual_add_f32 v9, v9, v13 :: v_dual_mov_b32 v82, v115
	v_pk_mul_f32 v[76:77], v[124:125], v[108:109] op_sel:[1,1] op_sel_hi:[0,1]
	v_dual_fmac_f32 v183, v169, v104 :: v_dual_fma_f32 v182, v168, v104, -v21
	s_delay_alu instid0(VALU_DEP_3) | instskip(SKIP_1) | instid1(VALU_DEP_4)
	v_dual_add_f32 v85, v7, v33 :: v_dual_add_f32 v84, v9, v11
	v_dual_fmac_f32 v185, v171, v106 :: v_dual_fma_f32 v184, v170, v106, -v23
	v_pk_fma_f32 v[86:87], v[124:125], v[108:109], v[76:77] op_sel_hi:[1,0,1]
	v_pk_mul_f32 v[78:79], v[174:175], v[78:79] op_sel_hi:[1,0]
	s_delay_alu instid0(VALU_DEP_4)
	v_pk_add_f32 v[84:85], v[84:85], v[182:183]
	v_pk_fma_f32 v[76:77], v[124:125], v[108:109], v[76:77] neg_lo:[0,0,1] neg_hi:[0,0,1]
	v_pk_mul_f32 v[80:81], v[128:129], v[112:113] op_sel:[1,1] op_sel_hi:[0,1]
	v_mov_b32_e32 v77, v87
	v_pk_fma_f32 v[86:87], v[126:127], v[110:111], v[78:79] op_sel_hi:[1,0,1]
	v_pk_add_f32 v[84:85], v[84:85], v[184:185]
	v_pk_fma_f32 v[78:79], v[126:127], v[110:111], v[78:79] neg_lo:[0,0,1] neg_hi:[0,0,1]
	v_pk_fma_f32 v[90:91], v[128:129], v[112:113], v[80:81] op_sel_hi:[1,0,1]
	v_pk_mul_f32 v[82:83], v[176:177], v[82:83] op_sel_hi:[1,0]
	v_mov_b32_e32 v79, v87
	v_pk_add_f32 v[76:77], v[84:85], v[76:77]
	s_wait_loadcnt 0x2
	v_pk_mul_f32 v[88:89], v[132:133], v[116:117] op_sel:[1,1] op_sel_hi:[0,1]
	v_mov_b32_e32 v84, v119
	v_pk_fma_f32 v[80:81], v[128:129], v[112:113], v[80:81] neg_lo:[0,0,1] neg_hi:[0,0,1]
	v_mov_b32_e32 v81, v91
	v_pk_fma_f32 v[86:87], v[130:131], v[114:115], v[82:83] op_sel_hi:[1,0,1]
	v_pk_add_f32 v[76:77], v[76:77], v[78:79]
	v_pk_fma_f32 v[78:79], v[132:133], v[116:117], v[88:89] op_sel_hi:[1,0,1]
	v_pk_mul_f32 v[84:85], v[178:179], v[84:85] op_sel_hi:[1,0]
	v_pk_fma_f32 v[82:83], v[130:131], v[114:115], v[82:83] neg_lo:[0,0,1] neg_hi:[0,0,1]
	v_mov_b32_e32 v83, v87
	v_pk_add_f32 v[76:77], v[76:77], v[80:81]
	v_pk_fma_f32 v[86:87], v[132:133], v[116:117], v[88:89] neg_lo:[0,0,1] neg_hi:[0,0,1]
	v_mov_b32_e32 v87, v79
	v_pk_fma_f32 v[78:79], v[134:135], v[118:119], v[84:85] op_sel_hi:[1,0,1]
	s_wait_loadcnt 0x1
	v_pk_mul_f32 v[80:81], v[136:137], v[120:121] op_sel:[1,1] op_sel_hi:[0,1]
	v_pk_add_f32 v[76:77], v[76:77], v[82:83]
	v_mov_b32_e32 v78, v123
	v_pk_fma_f32 v[84:85], v[134:135], v[118:119], v[84:85] neg_lo:[0,0,1] neg_hi:[0,0,1]
	v_mov_b32_e32 v85, v79
	v_pk_fma_f32 v[82:83], v[136:137], v[120:121], v[80:81] op_sel_hi:[1,0,1]
	v_pk_add_f32 v[76:77], v[76:77], v[86:87]
	v_pk_mul_f32 v[78:79], v[180:181], v[78:79] op_sel_hi:[1,0]
	v_pk_fma_f32 v[80:81], v[136:137], v[120:121], v[80:81] neg_lo:[0,0,1] neg_hi:[0,0,1]
	s_delay_alu instid0(VALU_DEP_4) | instskip(NEXT) | instid1(VALU_DEP_4)
	v_mov_b32_e32 v81, v83
	v_pk_add_f32 v[76:77], v[76:77], v[84:85]
	s_delay_alu instid0(VALU_DEP_4) | instskip(SKIP_1) | instid1(VALU_DEP_2)
	v_pk_fma_f32 v[82:83], v[138:139], v[122:123], v[78:79] op_sel_hi:[1,0,1]
	v_pk_fma_f32 v[78:79], v[138:139], v[122:123], v[78:79] neg_lo:[0,0,1] neg_hi:[0,0,1]
	v_mov_b32_e32 v79, v83
	s_delay_alu instid0(VALU_DEP_4) | instskip(NEXT) | instid1(VALU_DEP_1)
	v_pk_add_f32 v[76:77], v[76:77], v[80:81]
	v_pk_add_f32 v[76:77], v[76:77], v[78:79]
	s_wait_loadcnt 0x0
	s_delay_alu instid0(VALU_DEP_1)
	v_pk_add_f32 v[76:77], v[172:173], v[76:77] neg_lo:[0,1] neg_hi:[0,1]
	scratch_store_b64 off, v[76:77], off offset:96
	s_wait_xcnt 0x0
	v_cmpx_lt_u32_e32 11, v0
	s_cbranch_execz .LBB100_213
; %bb.212:
	scratch_load_b64 v[76:77], off, off offset:88
	v_mov_b64_e32 v[78:79], 0
	scratch_store_b64 off, v[78:79], off offset:88
	s_wait_loadcnt 0x0
	ds_store_b64 v1, v[76:77]
.LBB100_213:
	s_wait_xcnt 0x0
	s_or_b32 exec_lo, exec_lo, s0
	s_wait_storecnt_dscnt 0x0
	s_barrier_signal -1
	s_barrier_wait -1
	s_clause 0xd
	scratch_load_b128 v[76:79], off, off offset:96
	scratch_load_b128 v[80:83], off, off offset:112
	;; [unrolled: 1-line block ×12, first 2 shown]
	scratch_load_b64 v[172:173], off, off offset:288
	scratch_load_b64 v[174:175], off, off offset:88
	v_mov_b32_e32 v7, 0
	ds_load_b128 v[124:127], v7 offset:528
	ds_load_b128 v[128:131], v7 offset:544
	;; [unrolled: 1-line block ×12, first 2 shown]
	ds_load_b64 v[176:177], v7 offset:592
	s_mov_b32 s0, exec_lo
	s_wait_dscnt 0xc
	v_dual_mov_b32 v178, v127 :: v_dual_mov_b32 v179, v126
	s_wait_dscnt 0x9
	v_dual_mov_b32 v180, v131 :: v_dual_mov_b32 v185, v138
	v_dual_mov_b32 v181, v130 :: v_dual_mov_b32 v182, v135
	;; [unrolled: 1-line block ×3, first 2 shown]
	s_wait_loadcnt_dscnt 0xd08
	v_dual_mul_f32 v9, v140, v77 :: v_dual_mul_f32 v39, v141, v77
	v_dual_mul_f32 v41, v143, v79 :: v_dual_mul_f32 v11, v142, v79
	s_wait_loadcnt_dscnt 0xc07
	v_mul_f32_e32 v13, v144, v81
	s_wait_loadcnt_dscnt 0xa05
	v_dual_mul_f32 v51, v153, v89 :: v_dual_fma_f32 v39, v140, v76, -v39
	v_dual_fmac_f32 v9, v141, v76 :: v_dual_mul_f32 v53, v155, v91
	v_dual_mul_f32 v43, v145, v81 :: v_dual_mul_f32 v45, v147, v83
	v_dual_fmac_f32 v11, v143, v78 :: v_dual_fma_f32 v41, v142, v78, -v41
	s_delay_alu instid0(VALU_DEP_3) | instskip(SKIP_4) | instid1(VALU_DEP_3)
	v_dual_add_f32 v9, 0, v9 :: v_dual_add_f32 v39, 0, v39
	v_dual_mul_f32 v15, v146, v83 :: v_dual_mul_f32 v17, v148, v85
	s_wait_loadcnt_dscnt 0x904
	v_dual_mul_f32 v55, v157, v93 :: v_dual_fma_f32 v43, v144, v80, -v43
	v_fmac_f32_e32 v13, v145, v80
	v_dual_add_f32 v9, v9, v11 :: v_dual_fmac_f32 v15, v147, v82
	v_add_f32_e32 v11, v39, v41
	v_dual_mul_f32 v47, v149, v85 :: v_dual_mul_f32 v49, v151, v87
	v_dual_mul_f32 v39, v159, v95 :: v_dual_fma_f32 v41, v146, v82, -v45
	s_delay_alu instid0(VALU_DEP_3) | instskip(SKIP_3) | instid1(VALU_DEP_3)
	v_dual_add_f32 v9, v9, v13 :: v_dual_add_f32 v11, v11, v43
	v_dual_mul_f32 v19, v150, v87 :: v_dual_mul_f32 v21, v152, v89
	s_wait_loadcnt_dscnt 0x803
	v_dual_mul_f32 v13, v161, v97 :: v_dual_fma_f32 v43, v148, v84, -v47
	v_dual_fmac_f32 v17, v149, v84 :: v_dual_add_f32 v11, v11, v41
	s_delay_alu instid0(VALU_DEP_3) | instskip(SKIP_1) | instid1(VALU_DEP_2)
	v_dual_add_f32 v9, v9, v15 :: v_dual_fmac_f32 v19, v151, v86
	v_dual_mul_f32 v15, v163, v99 :: v_dual_fma_f32 v41, v150, v86, -v49
	v_dual_add_f32 v11, v11, v43 :: v_dual_add_f32 v9, v9, v17
	v_dual_mul_f32 v23, v154, v91 :: v_dual_mul_f32 v25, v156, v93
	s_wait_loadcnt_dscnt 0x702
	v_dual_mul_f32 v17, v165, v101 :: v_dual_fma_f32 v43, v152, v88, -v51
	s_delay_alu instid0(VALU_DEP_3) | instskip(NEXT) | instid1(VALU_DEP_3)
	v_dual_fmac_f32 v21, v153, v88 :: v_dual_add_f32 v11, v11, v41
	v_dual_add_f32 v9, v9, v19 :: v_dual_fmac_f32 v23, v155, v90
	v_dual_mul_f32 v19, v167, v103 :: v_dual_fma_f32 v41, v154, v90, -v53
	s_delay_alu instid0(VALU_DEP_2) | instskip(SKIP_3) | instid1(VALU_DEP_3)
	v_dual_add_f32 v11, v11, v43 :: v_dual_add_f32 v9, v9, v21
	v_dual_mul_f32 v27, v158, v95 :: v_dual_mul_f32 v29, v160, v97
	s_wait_loadcnt_dscnt 0x601
	v_dual_mul_f32 v21, v169, v105 :: v_dual_fma_f32 v43, v156, v92, -v55
	v_dual_fmac_f32 v25, v157, v92 :: v_dual_add_f32 v11, v11, v41
	s_delay_alu instid0(VALU_DEP_3) | instskip(SKIP_1) | instid1(VALU_DEP_2)
	v_dual_add_f32 v9, v9, v23 :: v_dual_fmac_f32 v27, v159, v94
	v_dual_mul_f32 v23, v171, v107 :: v_dual_fma_f32 v39, v158, v94, -v39
	v_dual_add_f32 v11, v11, v43 :: v_dual_add_f32 v9, v9, v25
	v_dual_mul_f32 v31, v162, v99 :: v_dual_mul_f32 v33, v164, v101
	s_wait_loadcnt 0x5
	v_dual_mul_f32 v25, v125, v109 :: v_dual_fma_f32 v13, v160, v96, -v13
	s_delay_alu instid0(VALU_DEP_3) | instskip(SKIP_2) | instid1(VALU_DEP_3)
	v_dual_fmac_f32 v29, v161, v96 :: v_dual_add_f32 v11, v11, v39
	v_dual_add_f32 v9, v9, v27 :: v_dual_mov_b32 v76, v111
	v_fmac_f32_e32 v31, v163, v98
	v_dual_fma_f32 v15, v162, v98, -v15 :: v_dual_add_f32 v11, v11, v13
	s_delay_alu instid0(VALU_DEP_3) | instskip(SKIP_1) | instid1(VALU_DEP_3)
	v_dual_add_f32 v9, v9, v29 :: v_dual_mul_f32 v35, v166, v103
	v_dual_mul_f32 v37, v168, v105 :: v_dual_fmac_f32 v33, v165, v100
	v_dual_add_f32 v11, v11, v15 :: v_dual_fma_f32 v13, v164, v100, -v17
	s_wait_loadcnt 0x4
	s_delay_alu instid0(VALU_DEP_3) | instskip(SKIP_3) | instid1(VALU_DEP_4)
	v_dual_add_f32 v9, v9, v31 :: v_dual_mov_b32 v80, v115
	v_fma_f32 v15, v166, v102, -v19
	v_fmac_f32_e32 v35, v167, v102
	v_dual_add_f32 v11, v11, v13 :: v_dual_fmac_f32 v37, v169, v104
	v_dual_add_f32 v9, v9, v33 :: v_dual_mul_f32 v187, v170, v107
	v_mul_f32_e32 v189, v124, v109
	s_delay_alu instid0(VALU_DEP_3) | instskip(NEXT) | instid1(VALU_DEP_3)
	v_dual_fma_f32 v13, v168, v104, -v21 :: v_dual_add_f32 v11, v11, v15
	v_dual_fma_f32 v186, v170, v106, -v23 :: v_dual_add_f32 v9, v9, v35
	s_delay_alu instid0(VALU_DEP_4) | instskip(SKIP_1) | instid1(VALU_DEP_4)
	v_fmac_f32_e32 v187, v171, v106
	v_pk_mul_f32 v[76:77], v[178:179], v[76:77] op_sel_hi:[1,0]
	v_dual_add_f32 v84, v11, v13 :: v_dual_fmac_f32 v189, v125, v108
	s_delay_alu instid0(VALU_DEP_4)
	v_add_f32_e32 v85, v9, v37
	v_pk_mul_f32 v[78:79], v[128:129], v[112:113] op_sel:[1,1] op_sel_hi:[0,1]
	s_wait_loadcnt 0x3
	v_dual_mov_b32 v86, v119 :: v_dual_fma_f32 v188, v124, v108, -v25
	v_pk_fma_f32 v[88:89], v[126:127], v[110:111], v[76:77] op_sel_hi:[1,0,1]
	v_pk_add_f32 v[84:85], v[84:85], v[186:187]
	v_pk_fma_f32 v[76:77], v[126:127], v[110:111], v[76:77] neg_lo:[0,0,1] neg_hi:[0,0,1]
	v_pk_fma_f32 v[90:91], v[128:129], v[112:113], v[78:79] op_sel_hi:[1,0,1]
	v_pk_mul_f32 v[80:81], v[180:181], v[80:81] op_sel_hi:[1,0]
	v_mov_b32_e32 v77, v89
	v_pk_add_f32 v[84:85], v[84:85], v[188:189]
	v_pk_fma_f32 v[78:79], v[128:129], v[112:113], v[78:79] neg_lo:[0,0,1] neg_hi:[0,0,1]
	v_pk_mul_f32 v[82:83], v[132:133], v[116:117] op_sel:[1,1] op_sel_hi:[0,1]
	v_mov_b32_e32 v79, v91
	v_pk_fma_f32 v[90:91], v[130:131], v[114:115], v[80:81] op_sel_hi:[1,0,1]
	v_pk_add_f32 v[76:77], v[84:85], v[76:77]
	v_pk_fma_f32 v[80:81], v[130:131], v[114:115], v[80:81] neg_lo:[0,0,1] neg_hi:[0,0,1]
	v_pk_fma_f32 v[84:85], v[132:133], v[116:117], v[82:83] op_sel_hi:[1,0,1]
	v_pk_mul_f32 v[86:87], v[182:183], v[86:87] op_sel_hi:[1,0]
	v_mov_b32_e32 v81, v91
	v_pk_add_f32 v[76:77], v[76:77], v[78:79]
	v_pk_fma_f32 v[82:83], v[132:133], v[116:117], v[82:83] neg_lo:[0,0,1] neg_hi:[0,0,1]
	s_wait_loadcnt 0x2
	v_pk_mul_f32 v[88:89], v[136:137], v[120:121] op_sel:[1,1] op_sel_hi:[0,1]
	v_dual_mov_b32 v78, v123 :: v_dual_mov_b32 v83, v85
	v_pk_fma_f32 v[84:85], v[134:135], v[118:119], v[86:87] op_sel_hi:[1,0,1]
	v_pk_add_f32 v[76:77], v[76:77], v[80:81]
	v_pk_fma_f32 v[86:87], v[134:135], v[118:119], v[86:87] neg_lo:[0,0,1] neg_hi:[0,0,1]
	v_pk_fma_f32 v[80:81], v[136:137], v[120:121], v[88:89] op_sel_hi:[1,0,1]
	v_pk_mul_f32 v[78:79], v[184:185], v[78:79] op_sel_hi:[1,0]
	v_mov_b32_e32 v87, v85
	v_pk_add_f32 v[76:77], v[76:77], v[82:83]
	v_pk_fma_f32 v[82:83], v[136:137], v[120:121], v[88:89] neg_lo:[0,0,1] neg_hi:[0,0,1]
	v_mov_b32_e32 v83, v81
	v_pk_fma_f32 v[80:81], v[138:139], v[122:123], v[78:79] op_sel_hi:[1,0,1]
	s_wait_loadcnt_dscnt 0x100
	v_pk_mul_f32 v[84:85], v[176:177], v[172:173] op_sel:[1,1] op_sel_hi:[0,1]
	v_pk_add_f32 v[76:77], v[76:77], v[86:87]
	v_pk_fma_f32 v[78:79], v[138:139], v[122:123], v[78:79] neg_lo:[0,0,1] neg_hi:[0,0,1]
	v_mov_b32_e32 v79, v81
	s_delay_alu instid0(VALU_DEP_4) | instskip(NEXT) | instid1(VALU_DEP_4)
	v_pk_fma_f32 v[80:81], v[176:177], v[172:173], v[84:85] op_sel_hi:[1,0,1]
	v_pk_add_f32 v[76:77], v[76:77], v[82:83]
	v_pk_fma_f32 v[82:83], v[176:177], v[172:173], v[84:85] neg_lo:[0,0,1] neg_hi:[0,0,1]
	s_delay_alu instid0(VALU_DEP_3) | instskip(NEXT) | instid1(VALU_DEP_3)
	v_mov_b32_e32 v83, v81
	v_pk_add_f32 v[76:77], v[76:77], v[78:79]
	s_delay_alu instid0(VALU_DEP_1) | instskip(SKIP_1) | instid1(VALU_DEP_1)
	v_pk_add_f32 v[76:77], v[76:77], v[82:83]
	s_wait_loadcnt 0x0
	v_pk_add_f32 v[76:77], v[174:175], v[76:77] neg_lo:[0,1] neg_hi:[0,1]
	scratch_store_b64 off, v[76:77], off offset:88
	s_wait_xcnt 0x0
	v_cmpx_lt_u32_e32 10, v0
	s_cbranch_execz .LBB100_215
; %bb.214:
	scratch_load_b64 v[76:77], off, off offset:80
	v_mov_b64_e32 v[78:79], 0
	scratch_store_b64 off, v[78:79], off offset:80
	s_wait_loadcnt 0x0
	ds_store_b64 v1, v[76:77]
.LBB100_215:
	s_wait_xcnt 0x0
	s_or_b32 exec_lo, exec_lo, s0
	s_wait_storecnt_dscnt 0x0
	s_barrier_signal -1
	s_barrier_wait -1
	s_clause 0xd
	scratch_load_b128 v[76:79], off, off offset:88
	scratch_load_b128 v[80:83], off, off offset:104
	;; [unrolled: 1-line block ×13, first 2 shown]
	scratch_load_b64 v[180:181], off, off offset:80
	ds_load_2addr_b64 v[128:131], v7 offset0:67 offset1:68
	ds_load_2addr_b64 v[132:135], v7 offset0:69 offset1:70
	;; [unrolled: 1-line block ×13, first 2 shown]
	s_mov_b32 s0, exec_lo
	s_wait_dscnt 0xc
	v_dual_mov_b32 v182, v131 :: v_dual_mov_b32 v183, v130
	s_wait_dscnt 0xb
	v_dual_mov_b32 v184, v135 :: v_dual_mov_b32 v185, v134
	s_wait_dscnt 0xa
	v_dual_mov_b32 v186, v139 :: v_dual_mov_b32 v187, v138
	s_wait_dscnt 0x9
	v_dual_mov_b32 v188, v143 :: v_dual_mov_b32 v189, v142
	s_wait_loadcnt_dscnt 0xd08
	v_dual_mul_f32 v7, v144, v77 :: v_dual_mul_f32 v9, v146, v79
	v_dual_mul_f32 v39, v145, v77 :: v_dual_mul_f32 v41, v147, v79
	s_wait_loadcnt_dscnt 0xc07
	v_dual_mul_f32 v11, v148, v81 :: v_dual_mul_f32 v13, v150, v83
	s_delay_alu instid0(VALU_DEP_3) | instskip(SKIP_3) | instid1(VALU_DEP_3)
	v_dual_fmac_f32 v7, v145, v76 :: v_dual_fmac_f32 v9, v147, v78
	s_wait_loadcnt_dscnt 0xa05
	v_dual_fma_f32 v39, v144, v76, -v39 :: v_dual_mul_f32 v51, v157, v89
	v_dual_mul_f32 v43, v149, v81 :: v_dual_mul_f32 v45, v151, v83
	v_dual_fma_f32 v41, v146, v78, -v41 :: v_dual_add_f32 v7, 0, v7
	s_delay_alu instid0(VALU_DEP_3) | instskip(SKIP_1) | instid1(VALU_DEP_4)
	v_dual_add_f32 v39, 0, v39 :: v_dual_fmac_f32 v11, v149, v80
	v_dual_mul_f32 v15, v152, v85 :: v_dual_mul_f32 v17, v154, v87
	v_dual_mul_f32 v53, v159, v91 :: v_dual_fma_f32 v43, v148, v80, -v43
	s_delay_alu instid0(VALU_DEP_4) | instskip(NEXT) | instid1(VALU_DEP_3)
	v_add_f32_e32 v7, v7, v9
	v_dual_add_f32 v9, v39, v41 :: v_dual_fmac_f32 v15, v153, v84
	v_dual_mul_f32 v47, v153, v85 :: v_dual_mul_f32 v49, v155, v87
	s_wait_loadcnt_dscnt 0x903
	v_dual_mul_f32 v39, v165, v93 :: v_dual_fmac_f32 v13, v151, v82
	v_dual_fma_f32 v41, v150, v82, -v45 :: v_dual_add_f32 v7, v7, v11
	s_delay_alu instid0(VALU_DEP_3) | instskip(SKIP_1) | instid1(VALU_DEP_3)
	v_dual_add_f32 v9, v9, v43 :: v_dual_fma_f32 v43, v152, v84, -v47
	v_dual_mul_f32 v19, v156, v89 :: v_dual_mul_f32 v21, v158, v91
	v_add_f32_e32 v7, v7, v13
	s_delay_alu instid0(VALU_DEP_3) | instskip(SKIP_2) | instid1(VALU_DEP_3)
	v_dual_mul_f32 v11, v167, v95 :: v_dual_add_f32 v9, v9, v41
	s_wait_loadcnt_dscnt 0x802
	v_dual_mul_f32 v13, v169, v97 :: v_dual_fmac_f32 v17, v155, v86
	v_dual_fma_f32 v41, v154, v86, -v49 :: v_dual_add_f32 v7, v7, v15
	s_delay_alu instid0(VALU_DEP_3) | instskip(SKIP_1) | instid1(VALU_DEP_3)
	v_dual_add_f32 v9, v9, v43 :: v_dual_fma_f32 v43, v156, v88, -v51
	v_dual_mul_f32 v15, v171, v99 :: v_dual_fmac_f32 v19, v157, v88
	v_add_f32_e32 v7, v7, v17
	s_delay_alu instid0(VALU_DEP_3)
	v_dual_add_f32 v9, v9, v41 :: v_dual_fmac_f32 v21, v159, v90
	v_dual_mul_f32 v23, v164, v93 :: v_dual_mul_f32 v25, v166, v95
	s_wait_loadcnt_dscnt 0x701
	v_dual_fma_f32 v41, v158, v90, -v53 :: v_dual_mul_f32 v17, v173, v101
	v_add_f32_e32 v7, v7, v19
	v_dual_add_f32 v9, v9, v43 :: v_dual_fma_f32 v39, v164, v92, -v39
	v_dual_mul_f32 v19, v175, v103 :: v_dual_fmac_f32 v23, v165, v92
	s_delay_alu instid0(VALU_DEP_3) | instskip(NEXT) | instid1(VALU_DEP_3)
	v_dual_add_f32 v7, v7, v21 :: v_dual_fma_f32 v11, v166, v94, -v11
	v_dual_add_f32 v9, v9, v41 :: v_dual_fmac_f32 v25, v167, v94
	v_dual_mul_f32 v27, v168, v97 :: v_dual_mul_f32 v29, v170, v99
	s_wait_loadcnt_dscnt 0x600
	s_delay_alu instid0(VALU_DEP_3) | instskip(NEXT) | instid1(VALU_DEP_3)
	v_dual_mul_f32 v21, v177, v105 :: v_dual_add_f32 v7, v7, v23
	v_dual_add_f32 v9, v9, v39 :: v_dual_fma_f32 v13, v168, v96, -v13
	s_delay_alu instid0(VALU_DEP_3) | instskip(NEXT) | instid1(VALU_DEP_2)
	v_dual_mul_f32 v23, v179, v107 :: v_dual_fmac_f32 v27, v169, v96
	v_dual_add_f32 v7, v7, v25 :: v_dual_add_f32 v9, v9, v11
	v_dual_mul_f32 v31, v172, v101 :: v_dual_mul_f32 v33, v174, v103
	s_wait_loadcnt 0x5
	v_dual_mul_f32 v11, v161, v109 :: v_dual_fmac_f32 v29, v171, v98
	s_delay_alu instid0(VALU_DEP_3) | instskip(SKIP_2) | instid1(VALU_DEP_2)
	v_dual_fma_f32 v15, v170, v98, -v15 :: v_dual_add_f32 v7, v7, v27
	v_dual_add_f32 v9, v9, v13 :: v_dual_mul_f32 v13, v163, v111
	v_dual_fmac_f32 v31, v173, v100 :: v_dual_fma_f32 v17, v172, v100, -v17
	v_dual_add_f32 v7, v7, v29 :: v_dual_add_f32 v9, v9, v15
	v_dual_mul_f32 v35, v176, v105 :: v_dual_mul_f32 v37, v178, v107
	v_dual_fmac_f32 v33, v175, v102 :: v_dual_fma_f32 v15, v174, v102, -v19
	s_delay_alu instid0(VALU_DEP_3) | instskip(SKIP_1) | instid1(VALU_DEP_3)
	v_dual_add_f32 v7, v7, v31 :: v_dual_add_f32 v9, v9, v17
	s_wait_loadcnt 0x4
	v_dual_mov_b32 v78, v115 :: v_dual_fmac_f32 v35, v177, v104
	s_delay_alu instid0(VALU_DEP_2) | instskip(NEXT) | instid1(VALU_DEP_3)
	v_dual_fma_f32 v17, v176, v104, -v21 :: v_dual_add_f32 v7, v7, v33
	v_dual_add_f32 v9, v9, v15 :: v_dual_fmac_f32 v37, v179, v106
	v_dual_mul_f32 v191, v160, v109 :: v_dual_mul_f32 v193, v162, v111
	s_delay_alu instid0(VALU_DEP_3) | instskip(SKIP_1) | instid1(VALU_DEP_3)
	v_dual_fma_f32 v15, v178, v106, -v23 :: v_dual_add_f32 v7, v7, v35
	s_wait_loadcnt 0x3
	v_dual_add_f32 v9, v9, v17 :: v_dual_mov_b32 v82, v119
	v_pk_mul_f32 v[76:77], v[128:129], v[112:113] op_sel:[1,1] op_sel_hi:[0,1]
	s_delay_alu instid0(VALU_DEP_3) | instskip(NEXT) | instid1(VALU_DEP_3)
	v_dual_fmac_f32 v191, v161, v108 :: v_dual_add_f32 v85, v7, v37
	v_dual_fma_f32 v190, v160, v108, -v11 :: v_dual_add_f32 v84, v9, v15
	v_fmac_f32_e32 v193, v163, v110
	s_delay_alu instid0(VALU_DEP_4)
	v_pk_fma_f32 v[86:87], v[128:129], v[112:113], v[76:77] op_sel_hi:[1,0,1]
	v_fma_f32 v192, v162, v110, -v13
	v_pk_mul_f32 v[78:79], v[182:183], v[78:79] op_sel_hi:[1,0]
	v_pk_add_f32 v[84:85], v[84:85], v[190:191]
	v_pk_fma_f32 v[76:77], v[128:129], v[112:113], v[76:77] neg_lo:[0,0,1] neg_hi:[0,0,1]
	v_pk_mul_f32 v[80:81], v[132:133], v[116:117] op_sel:[1,1] op_sel_hi:[0,1]
	v_mov_b32_e32 v77, v87
	v_pk_fma_f32 v[86:87], v[130:131], v[114:115], v[78:79] op_sel_hi:[1,0,1]
	v_pk_add_f32 v[84:85], v[84:85], v[192:193]
	v_pk_fma_f32 v[78:79], v[130:131], v[114:115], v[78:79] neg_lo:[0,0,1] neg_hi:[0,0,1]
	v_pk_fma_f32 v[90:91], v[132:133], v[116:117], v[80:81] op_sel_hi:[1,0,1]
	v_pk_mul_f32 v[82:83], v[184:185], v[82:83] op_sel_hi:[1,0]
	v_mov_b32_e32 v79, v87
	v_pk_add_f32 v[76:77], v[84:85], v[76:77]
	s_wait_loadcnt 0x2
	v_pk_mul_f32 v[88:89], v[136:137], v[120:121] op_sel:[1,1] op_sel_hi:[0,1]
	v_mov_b32_e32 v84, v123
	v_pk_fma_f32 v[80:81], v[132:133], v[116:117], v[80:81] neg_lo:[0,0,1] neg_hi:[0,0,1]
	v_pk_fma_f32 v[86:87], v[134:135], v[118:119], v[82:83] op_sel_hi:[1,0,1]
	v_mov_b32_e32 v81, v91
	v_pk_add_f32 v[76:77], v[76:77], v[78:79]
	v_pk_fma_f32 v[78:79], v[136:137], v[120:121], v[88:89] op_sel_hi:[1,0,1]
	v_pk_mul_f32 v[84:85], v[186:187], v[84:85] op_sel_hi:[1,0]
	v_pk_fma_f32 v[82:83], v[134:135], v[118:119], v[82:83] neg_lo:[0,0,1] neg_hi:[0,0,1]
	v_mov_b32_e32 v83, v87
	v_pk_add_f32 v[76:77], v[76:77], v[80:81]
	v_pk_fma_f32 v[86:87], v[136:137], v[120:121], v[88:89] neg_lo:[0,0,1] neg_hi:[0,0,1]
	v_mov_b32_e32 v87, v79
	v_pk_fma_f32 v[78:79], v[138:139], v[122:123], v[84:85] op_sel_hi:[1,0,1]
	s_wait_loadcnt 0x1
	v_pk_mul_f32 v[80:81], v[140:141], v[124:125] op_sel:[1,1] op_sel_hi:[0,1]
	v_pk_add_f32 v[76:77], v[76:77], v[82:83]
	v_mov_b32_e32 v78, v127
	v_pk_fma_f32 v[84:85], v[138:139], v[122:123], v[84:85] neg_lo:[0,0,1] neg_hi:[0,0,1]
	s_delay_alu instid0(VALU_DEP_4)
	v_pk_fma_f32 v[82:83], v[140:141], v[124:125], v[80:81] op_sel_hi:[1,0,1]
	v_mov_b32_e32 v85, v79
	v_pk_add_f32 v[76:77], v[76:77], v[86:87]
	v_pk_mul_f32 v[78:79], v[188:189], v[78:79] op_sel_hi:[1,0]
	v_pk_fma_f32 v[80:81], v[140:141], v[124:125], v[80:81] neg_lo:[0,0,1] neg_hi:[0,0,1]
	v_mov_b32_e32 v81, v83
	s_delay_alu instid0(VALU_DEP_4) | instskip(NEXT) | instid1(VALU_DEP_4)
	v_pk_add_f32 v[76:77], v[76:77], v[84:85]
	v_pk_fma_f32 v[82:83], v[142:143], v[126:127], v[78:79] op_sel_hi:[1,0,1]
	v_pk_fma_f32 v[78:79], v[142:143], v[126:127], v[78:79] neg_lo:[0,0,1] neg_hi:[0,0,1]
	s_delay_alu instid0(VALU_DEP_3) | instskip(NEXT) | instid1(VALU_DEP_3)
	v_pk_add_f32 v[76:77], v[76:77], v[80:81]
	v_mov_b32_e32 v79, v83
	s_delay_alu instid0(VALU_DEP_1) | instskip(SKIP_1) | instid1(VALU_DEP_1)
	v_pk_add_f32 v[76:77], v[76:77], v[78:79]
	s_wait_loadcnt 0x0
	v_pk_add_f32 v[76:77], v[180:181], v[76:77] neg_lo:[0,1] neg_hi:[0,1]
	scratch_store_b64 off, v[76:77], off offset:80
	s_wait_xcnt 0x0
	v_cmpx_lt_u32_e32 9, v0
	s_cbranch_execz .LBB100_217
; %bb.216:
	scratch_load_b64 v[76:77], off, off offset:72
	v_mov_b64_e32 v[78:79], 0
	scratch_store_b64 off, v[78:79], off offset:72
	s_wait_loadcnt 0x0
	ds_store_b64 v1, v[76:77]
.LBB100_217:
	s_wait_xcnt 0x0
	s_or_b32 exec_lo, exec_lo, s0
	s_wait_storecnt_dscnt 0x0
	s_barrier_signal -1
	s_barrier_wait -1
	s_clause 0xe
	scratch_load_b128 v[76:79], off, off offset:80
	scratch_load_b128 v[80:83], off, off offset:96
	;; [unrolled: 1-line block ×13, first 2 shown]
	scratch_load_b64 v[180:181], off, off offset:288
	scratch_load_b64 v[182:183], off, off offset:72
	v_mov_b32_e32 v7, 0
	ds_load_b128 v[128:131], v7 offset:528
	ds_load_b128 v[132:135], v7 offset:544
	ds_load_b128 v[136:139], v7 offset:560
	ds_load_b128 v[140:143], v7 offset:576
	ds_load_b128 v[144:147], v7 offset:384
	ds_load_b128 v[148:151], v7 offset:400
	ds_load_b128 v[152:155], v7 offset:416
	ds_load_b128 v[156:159], v7 offset:512
	ds_load_b128 v[160:163], v7 offset:432
	ds_load_b128 v[164:167], v7 offset:448
	ds_load_b128 v[168:171], v7 offset:464
	ds_load_b128 v[172:175], v7 offset:480
	ds_load_b128 v[176:179], v7 offset:496
	ds_load_b64 v[184:185], v7 offset:592
	s_mov_b32 s0, exec_lo
	s_wait_dscnt 0xd
	v_dual_mov_b32 v186, v131 :: v_dual_mov_b32 v187, v130
	s_wait_dscnt 0xa
	v_dual_mov_b32 v188, v135 :: v_dual_mov_b32 v193, v142
	v_dual_mov_b32 v189, v134 :: v_dual_mov_b32 v190, v139
	;; [unrolled: 1-line block ×3, first 2 shown]
	s_wait_loadcnt_dscnt 0xe09
	v_dual_mul_f32 v9, v144, v77 :: v_dual_mul_f32 v43, v145, v77
	v_dual_mul_f32 v45, v147, v79 :: v_dual_mul_f32 v11, v146, v79
	s_wait_loadcnt_dscnt 0xd08
	v_mul_f32_e32 v13, v148, v81
	s_wait_loadcnt_dscnt 0xb05
	v_dual_mul_f32 v55, v161, v89 :: v_dual_fma_f32 v43, v144, v76, -v43
	v_dual_fmac_f32 v9, v145, v76 :: v_dual_mul_f32 v57, v163, v91
	v_dual_mul_f32 v47, v149, v81 :: v_dual_mul_f32 v49, v151, v83
	v_dual_fmac_f32 v11, v147, v78 :: v_dual_fma_f32 v45, v146, v78, -v45
	s_delay_alu instid0(VALU_DEP_3) | instskip(SKIP_4) | instid1(VALU_DEP_3)
	v_dual_add_f32 v9, 0, v9 :: v_dual_add_f32 v43, 0, v43
	v_dual_mul_f32 v15, v150, v83 :: v_dual_mul_f32 v17, v152, v85
	s_wait_loadcnt_dscnt 0xa04
	v_dual_mul_f32 v59, v165, v93 :: v_dual_fma_f32 v47, v148, v80, -v47
	v_fmac_f32_e32 v13, v149, v80
	v_dual_add_f32 v9, v9, v11 :: v_dual_fmac_f32 v15, v151, v82
	v_add_f32_e32 v11, v43, v45
	v_dual_mul_f32 v51, v153, v85 :: v_dual_mul_f32 v53, v155, v87
	v_dual_mul_f32 v43, v167, v95 :: v_dual_fma_f32 v45, v150, v82, -v49
	s_delay_alu instid0(VALU_DEP_3) | instskip(SKIP_3) | instid1(VALU_DEP_3)
	v_dual_add_f32 v9, v9, v13 :: v_dual_add_f32 v11, v11, v47
	v_dual_mul_f32 v19, v154, v87 :: v_dual_mul_f32 v21, v160, v89
	s_wait_loadcnt_dscnt 0x903
	v_dual_mul_f32 v13, v169, v97 :: v_dual_fma_f32 v47, v152, v84, -v51
	v_dual_fmac_f32 v17, v153, v84 :: v_dual_add_f32 v11, v11, v45
	s_delay_alu instid0(VALU_DEP_3) | instskip(SKIP_1) | instid1(VALU_DEP_2)
	v_dual_add_f32 v9, v9, v15 :: v_dual_fmac_f32 v19, v155, v86
	v_dual_mul_f32 v15, v171, v99 :: v_dual_fma_f32 v45, v154, v86, -v53
	v_dual_add_f32 v11, v11, v47 :: v_dual_add_f32 v9, v9, v17
	v_dual_mul_f32 v23, v162, v91 :: v_dual_mul_f32 v25, v164, v93
	s_wait_loadcnt_dscnt 0x802
	v_dual_mul_f32 v17, v173, v101 :: v_dual_fma_f32 v47, v160, v88, -v55
	s_delay_alu instid0(VALU_DEP_3) | instskip(NEXT) | instid1(VALU_DEP_3)
	v_dual_fmac_f32 v21, v161, v88 :: v_dual_add_f32 v11, v11, v45
	v_dual_add_f32 v9, v9, v19 :: v_dual_fmac_f32 v23, v163, v90
	v_dual_mul_f32 v19, v175, v103 :: v_dual_fma_f32 v45, v162, v90, -v57
	s_delay_alu instid0(VALU_DEP_2) | instskip(SKIP_3) | instid1(VALU_DEP_3)
	v_dual_add_f32 v11, v11, v47 :: v_dual_add_f32 v9, v9, v21
	v_dual_mul_f32 v27, v166, v95 :: v_dual_mul_f32 v29, v168, v97
	s_wait_loadcnt_dscnt 0x701
	v_dual_mul_f32 v21, v177, v105 :: v_dual_fma_f32 v47, v164, v92, -v59
	v_dual_fmac_f32 v25, v165, v92 :: v_dual_add_f32 v11, v11, v45
	s_delay_alu instid0(VALU_DEP_3) | instskip(SKIP_1) | instid1(VALU_DEP_2)
	v_dual_add_f32 v9, v9, v23 :: v_dual_fmac_f32 v27, v167, v94
	v_dual_mul_f32 v23, v179, v107 :: v_dual_fma_f32 v43, v166, v94, -v43
	v_dual_add_f32 v11, v11, v47 :: v_dual_add_f32 v9, v9, v25
	v_dual_mul_f32 v31, v170, v99 :: v_dual_mul_f32 v33, v172, v101
	s_wait_loadcnt 0x6
	v_dual_mul_f32 v25, v157, v109 :: v_dual_fma_f32 v13, v168, v96, -v13
	s_delay_alu instid0(VALU_DEP_3) | instskip(NEXT) | instid1(VALU_DEP_3)
	v_dual_fmac_f32 v29, v169, v96 :: v_dual_add_f32 v11, v11, v43
	v_dual_add_f32 v9, v9, v27 :: v_dual_fmac_f32 v31, v171, v98
	v_dual_mul_f32 v27, v159, v111 :: v_dual_fma_f32 v15, v170, v98, -v15
	s_delay_alu instid0(VALU_DEP_3) | instskip(NEXT) | instid1(VALU_DEP_3)
	v_dual_add_f32 v11, v11, v13 :: v_dual_fmac_f32 v33, v173, v100
	v_dual_add_f32 v9, v9, v29 :: v_dual_fma_f32 v17, v172, v100, -v17
	v_dual_mul_f32 v35, v174, v103 :: v_dual_mul_f32 v37, v176, v105
	s_wait_loadcnt 0x5
	s_delay_alu instid0(VALU_DEP_3) | instskip(NEXT) | instid1(VALU_DEP_3)
	v_dual_mul_f32 v13, v129, v113 :: v_dual_add_f32 v11, v11, v15
	v_dual_add_f32 v9, v9, v31 :: v_dual_mov_b32 v76, v115
	s_delay_alu instid0(VALU_DEP_3) | instskip(NEXT) | instid1(VALU_DEP_3)
	v_fmac_f32_e32 v35, v175, v102
	v_dual_fma_f32 v15, v174, v102, -v19 :: v_dual_add_f32 v11, v11, v17
	s_delay_alu instid0(VALU_DEP_3) | instskip(SKIP_1) | instid1(VALU_DEP_3)
	v_dual_add_f32 v9, v9, v33 :: v_dual_mul_f32 v39, v178, v107
	v_dual_mul_f32 v41, v156, v109 :: v_dual_fmac_f32 v37, v177, v104
	v_dual_add_f32 v11, v11, v15 :: v_dual_fma_f32 v17, v176, v104, -v21
	s_wait_loadcnt 0x4
	s_delay_alu instid0(VALU_DEP_3) | instskip(SKIP_3) | instid1(VALU_DEP_4)
	v_dual_add_f32 v9, v9, v35 :: v_dual_mov_b32 v80, v119
	v_fma_f32 v15, v178, v106, -v23
	v_fmac_f32_e32 v39, v179, v106
	v_dual_add_f32 v11, v11, v17 :: v_dual_fmac_f32 v41, v157, v108
	v_dual_add_f32 v9, v9, v37 :: v_dual_mul_f32 v195, v158, v111
	v_mul_f32_e32 v197, v128, v113
	s_delay_alu instid0(VALU_DEP_3) | instskip(NEXT) | instid1(VALU_DEP_3)
	v_dual_fma_f32 v17, v156, v108, -v25 :: v_dual_add_f32 v11, v11, v15
	v_dual_fma_f32 v194, v158, v110, -v27 :: v_dual_add_f32 v9, v9, v39
	s_delay_alu instid0(VALU_DEP_4) | instskip(SKIP_1) | instid1(VALU_DEP_4)
	v_fmac_f32_e32 v195, v159, v110
	v_pk_mul_f32 v[76:77], v[186:187], v[76:77] op_sel_hi:[1,0]
	v_dual_add_f32 v84, v11, v17 :: v_dual_fmac_f32 v197, v129, v112
	s_delay_alu instid0(VALU_DEP_4)
	v_add_f32_e32 v85, v9, v41
	v_pk_mul_f32 v[78:79], v[132:133], v[116:117] op_sel:[1,1] op_sel_hi:[0,1]
	s_wait_loadcnt 0x3
	v_dual_mov_b32 v86, v123 :: v_dual_fma_f32 v196, v128, v112, -v13
	v_pk_fma_f32 v[88:89], v[130:131], v[114:115], v[76:77] op_sel_hi:[1,0,1]
	v_pk_add_f32 v[84:85], v[84:85], v[194:195]
	v_pk_fma_f32 v[76:77], v[130:131], v[114:115], v[76:77] neg_lo:[0,0,1] neg_hi:[0,0,1]
	v_pk_fma_f32 v[90:91], v[132:133], v[116:117], v[78:79] op_sel_hi:[1,0,1]
	v_pk_mul_f32 v[80:81], v[188:189], v[80:81] op_sel_hi:[1,0]
	v_mov_b32_e32 v77, v89
	v_pk_add_f32 v[84:85], v[84:85], v[196:197]
	v_pk_fma_f32 v[78:79], v[132:133], v[116:117], v[78:79] neg_lo:[0,0,1] neg_hi:[0,0,1]
	v_pk_mul_f32 v[82:83], v[136:137], v[120:121] op_sel:[1,1] op_sel_hi:[0,1]
	v_mov_b32_e32 v79, v91
	v_pk_fma_f32 v[90:91], v[134:135], v[118:119], v[80:81] op_sel_hi:[1,0,1]
	v_pk_add_f32 v[76:77], v[84:85], v[76:77]
	v_pk_fma_f32 v[80:81], v[134:135], v[118:119], v[80:81] neg_lo:[0,0,1] neg_hi:[0,0,1]
	v_pk_fma_f32 v[84:85], v[136:137], v[120:121], v[82:83] op_sel_hi:[1,0,1]
	v_pk_mul_f32 v[86:87], v[190:191], v[86:87] op_sel_hi:[1,0]
	v_mov_b32_e32 v81, v91
	v_pk_add_f32 v[76:77], v[76:77], v[78:79]
	v_pk_fma_f32 v[82:83], v[136:137], v[120:121], v[82:83] neg_lo:[0,0,1] neg_hi:[0,0,1]
	s_wait_loadcnt 0x2
	v_pk_mul_f32 v[88:89], v[140:141], v[124:125] op_sel:[1,1] op_sel_hi:[0,1]
	v_dual_mov_b32 v78, v127 :: v_dual_mov_b32 v83, v85
	v_pk_fma_f32 v[84:85], v[138:139], v[122:123], v[86:87] op_sel_hi:[1,0,1]
	v_pk_add_f32 v[76:77], v[76:77], v[80:81]
	v_pk_fma_f32 v[86:87], v[138:139], v[122:123], v[86:87] neg_lo:[0,0,1] neg_hi:[0,0,1]
	v_pk_fma_f32 v[80:81], v[140:141], v[124:125], v[88:89] op_sel_hi:[1,0,1]
	v_pk_mul_f32 v[78:79], v[192:193], v[78:79] op_sel_hi:[1,0]
	v_mov_b32_e32 v87, v85
	v_pk_add_f32 v[76:77], v[76:77], v[82:83]
	v_pk_fma_f32 v[82:83], v[140:141], v[124:125], v[88:89] neg_lo:[0,0,1] neg_hi:[0,0,1]
	v_mov_b32_e32 v83, v81
	v_pk_fma_f32 v[80:81], v[142:143], v[126:127], v[78:79] op_sel_hi:[1,0,1]
	s_wait_loadcnt_dscnt 0x100
	v_pk_mul_f32 v[84:85], v[184:185], v[180:181] op_sel:[1,1] op_sel_hi:[0,1]
	v_pk_add_f32 v[76:77], v[76:77], v[86:87]
	v_pk_fma_f32 v[78:79], v[142:143], v[126:127], v[78:79] neg_lo:[0,0,1] neg_hi:[0,0,1]
	v_mov_b32_e32 v79, v81
	s_delay_alu instid0(VALU_DEP_4) | instskip(NEXT) | instid1(VALU_DEP_4)
	v_pk_fma_f32 v[80:81], v[184:185], v[180:181], v[84:85] op_sel_hi:[1,0,1]
	v_pk_add_f32 v[76:77], v[76:77], v[82:83]
	v_pk_fma_f32 v[82:83], v[184:185], v[180:181], v[84:85] neg_lo:[0,0,1] neg_hi:[0,0,1]
	s_delay_alu instid0(VALU_DEP_3) | instskip(NEXT) | instid1(VALU_DEP_3)
	v_mov_b32_e32 v83, v81
	v_pk_add_f32 v[76:77], v[76:77], v[78:79]
	s_delay_alu instid0(VALU_DEP_1) | instskip(SKIP_1) | instid1(VALU_DEP_1)
	v_pk_add_f32 v[76:77], v[76:77], v[82:83]
	s_wait_loadcnt 0x0
	v_pk_add_f32 v[76:77], v[182:183], v[76:77] neg_lo:[0,1] neg_hi:[0,1]
	scratch_store_b64 off, v[76:77], off offset:72
	s_wait_xcnt 0x0
	v_cmpx_lt_u32_e32 8, v0
	s_cbranch_execz .LBB100_219
; %bb.218:
	scratch_load_b64 v[76:77], off, off offset:64
	v_mov_b64_e32 v[78:79], 0
	scratch_store_b64 off, v[78:79], off offset:64
	s_wait_loadcnt 0x0
	ds_store_b64 v1, v[76:77]
.LBB100_219:
	s_wait_xcnt 0x0
	s_or_b32 exec_lo, exec_lo, s0
	s_wait_storecnt_dscnt 0x0
	s_barrier_signal -1
	s_barrier_wait -1
	s_clause 0xe
	scratch_load_b128 v[76:79], off, off offset:72
	scratch_load_b128 v[80:83], off, off offset:88
	;; [unrolled: 1-line block ×14, first 2 shown]
	scratch_load_b64 v[188:189], off, off offset:64
	ds_load_2addr_b64 v[132:135], v7 offset0:67 offset1:68
	ds_load_2addr_b64 v[136:139], v7 offset0:69 offset1:70
	;; [unrolled: 1-line block ×14, first 2 shown]
	s_mov_b32 s0, exec_lo
	s_wait_dscnt 0xd
	v_dual_mov_b32 v190, v135 :: v_dual_mov_b32 v191, v134
	s_wait_dscnt 0xc
	v_dual_mov_b32 v192, v139 :: v_dual_mov_b32 v193, v138
	;; [unrolled: 2-line block ×4, first 2 shown]
	s_wait_loadcnt_dscnt 0xe09
	v_dual_mul_f32 v7, v148, v77 :: v_dual_mul_f32 v9, v150, v79
	v_dual_mul_f32 v43, v149, v77 :: v_dual_mul_f32 v45, v151, v79
	s_wait_loadcnt_dscnt 0xd08
	v_dual_mul_f32 v11, v152, v81 :: v_dual_mul_f32 v13, v154, v83
	s_delay_alu instid0(VALU_DEP_3) | instskip(SKIP_3) | instid1(VALU_DEP_3)
	v_dual_fmac_f32 v7, v149, v76 :: v_dual_fmac_f32 v9, v151, v78
	s_wait_loadcnt_dscnt 0xb06
	v_dual_fma_f32 v43, v148, v76, -v43 :: v_dual_mul_f32 v55, v161, v89
	v_dual_mul_f32 v47, v153, v81 :: v_dual_mul_f32 v49, v155, v83
	v_dual_fma_f32 v45, v150, v78, -v45 :: v_dual_add_f32 v7, 0, v7
	s_delay_alu instid0(VALU_DEP_3) | instskip(SKIP_1) | instid1(VALU_DEP_4)
	v_dual_add_f32 v43, 0, v43 :: v_dual_fmac_f32 v11, v153, v80
	v_dual_mul_f32 v15, v156, v85 :: v_dual_mul_f32 v17, v158, v87
	v_dual_mul_f32 v57, v163, v91 :: v_dual_fma_f32 v47, v152, v80, -v47
	s_delay_alu instid0(VALU_DEP_4) | instskip(NEXT) | instid1(VALU_DEP_3)
	v_add_f32_e32 v7, v7, v9
	v_dual_add_f32 v9, v43, v45 :: v_dual_fmac_f32 v15, v157, v84
	v_dual_mul_f32 v51, v157, v85 :: v_dual_mul_f32 v53, v159, v87
	s_wait_loadcnt_dscnt 0xa05
	v_dual_mul_f32 v43, v165, v93 :: v_dual_fmac_f32 v13, v155, v82
	v_dual_fma_f32 v45, v154, v82, -v49 :: v_dual_add_f32 v7, v7, v11
	s_delay_alu instid0(VALU_DEP_3) | instskip(SKIP_1) | instid1(VALU_DEP_3)
	v_dual_add_f32 v9, v9, v47 :: v_dual_fma_f32 v47, v156, v84, -v51
	v_dual_mul_f32 v19, v160, v89 :: v_dual_mul_f32 v21, v162, v91
	v_add_f32_e32 v7, v7, v13
	s_delay_alu instid0(VALU_DEP_3) | instskip(SKIP_2) | instid1(VALU_DEP_3)
	v_dual_mul_f32 v11, v167, v95 :: v_dual_add_f32 v9, v9, v45
	s_wait_loadcnt_dscnt 0x904
	v_dual_mul_f32 v13, v169, v97 :: v_dual_fmac_f32 v17, v159, v86
	v_dual_fma_f32 v45, v158, v86, -v53 :: v_dual_add_f32 v7, v7, v15
	s_delay_alu instid0(VALU_DEP_3) | instskip(SKIP_1) | instid1(VALU_DEP_3)
	v_dual_add_f32 v9, v9, v47 :: v_dual_fma_f32 v47, v160, v88, -v55
	v_dual_mul_f32 v15, v171, v99 :: v_dual_fmac_f32 v19, v161, v88
	v_add_f32_e32 v7, v7, v17
	s_delay_alu instid0(VALU_DEP_3)
	v_dual_add_f32 v9, v9, v45 :: v_dual_fmac_f32 v21, v163, v90
	v_dual_mul_f32 v23, v164, v93 :: v_dual_mul_f32 v25, v166, v95
	s_wait_loadcnt_dscnt 0x803
	v_dual_fma_f32 v45, v162, v90, -v57 :: v_dual_mul_f32 v17, v173, v101
	v_add_f32_e32 v7, v7, v19
	v_dual_add_f32 v9, v9, v47 :: v_dual_fma_f32 v43, v164, v92, -v43
	v_dual_mul_f32 v19, v175, v103 :: v_dual_fmac_f32 v23, v165, v92
	s_delay_alu instid0(VALU_DEP_3) | instskip(NEXT) | instid1(VALU_DEP_3)
	v_dual_add_f32 v7, v7, v21 :: v_dual_fma_f32 v11, v166, v94, -v11
	v_dual_add_f32 v9, v9, v45 :: v_dual_fmac_f32 v25, v167, v94
	v_dual_mul_f32 v27, v168, v97 :: v_dual_mul_f32 v29, v170, v99
	s_wait_loadcnt_dscnt 0x702
	s_delay_alu instid0(VALU_DEP_3) | instskip(NEXT) | instid1(VALU_DEP_3)
	v_dual_mul_f32 v21, v177, v105 :: v_dual_add_f32 v7, v7, v23
	v_dual_add_f32 v9, v9, v43 :: v_dual_fma_f32 v13, v168, v96, -v13
	s_delay_alu instid0(VALU_DEP_3) | instskip(NEXT) | instid1(VALU_DEP_2)
	v_dual_mul_f32 v23, v179, v107 :: v_dual_fmac_f32 v27, v169, v96
	v_dual_add_f32 v7, v7, v25 :: v_dual_add_f32 v9, v9, v11
	v_dual_mul_f32 v31, v172, v101 :: v_dual_mul_f32 v33, v174, v103
	s_wait_loadcnt_dscnt 0x601
	v_dual_mul_f32 v11, v181, v109 :: v_dual_fmac_f32 v29, v171, v98
	s_delay_alu instid0(VALU_DEP_3) | instskip(SKIP_2) | instid1(VALU_DEP_2)
	v_dual_fma_f32 v15, v170, v98, -v15 :: v_dual_add_f32 v7, v7, v27
	v_dual_add_f32 v9, v9, v13 :: v_dual_mul_f32 v13, v183, v111
	v_dual_fmac_f32 v31, v173, v100 :: v_dual_fma_f32 v17, v172, v100, -v17
	v_dual_add_f32 v7, v7, v29 :: v_dual_add_f32 v9, v9, v15
	v_dual_mul_f32 v35, v176, v105 :: v_dual_mul_f32 v37, v178, v107
	s_wait_loadcnt_dscnt 0x500
	v_dual_mul_f32 v15, v185, v113 :: v_dual_fmac_f32 v33, v175, v102
	s_delay_alu instid0(VALU_DEP_3) | instskip(SKIP_2) | instid1(VALU_DEP_2)
	v_dual_fma_f32 v19, v174, v102, -v19 :: v_dual_add_f32 v7, v7, v31
	v_dual_add_f32 v9, v9, v17 :: v_dual_mul_f32 v17, v187, v115
	v_dual_fmac_f32 v35, v177, v104 :: v_dual_fma_f32 v21, v176, v104, -v21
	v_dual_add_f32 v7, v7, v33 :: v_dual_add_f32 v9, v9, v19
	v_dual_mul_f32 v39, v180, v109 :: v_dual_mul_f32 v41, v182, v111
	v_dual_fmac_f32 v37, v179, v106 :: v_dual_fma_f32 v19, v178, v106, -v23
	s_delay_alu instid0(VALU_DEP_3) | instskip(SKIP_1) | instid1(VALU_DEP_3)
	v_dual_add_f32 v7, v7, v35 :: v_dual_add_f32 v9, v9, v21
	s_wait_loadcnt 0x4
	v_dual_mov_b32 v78, v119 :: v_dual_fmac_f32 v39, v181, v108
	s_delay_alu instid0(VALU_DEP_2) | instskip(NEXT) | instid1(VALU_DEP_3)
	v_dual_fma_f32 v11, v180, v108, -v11 :: v_dual_add_f32 v7, v7, v37
	v_dual_add_f32 v9, v9, v19 :: v_dual_fmac_f32 v41, v183, v110
	v_dual_mul_f32 v199, v184, v113 :: v_dual_mul_f32 v201, v186, v115
	s_delay_alu instid0(VALU_DEP_3) | instskip(SKIP_1) | instid1(VALU_DEP_3)
	v_dual_fma_f32 v13, v182, v110, -v13 :: v_dual_add_f32 v7, v7, v39
	s_wait_loadcnt 0x3
	v_dual_add_f32 v9, v9, v11 :: v_dual_mov_b32 v82, v123
	v_pk_mul_f32 v[76:77], v[132:133], v[116:117] op_sel:[1,1] op_sel_hi:[0,1]
	s_delay_alu instid0(VALU_DEP_3) | instskip(NEXT) | instid1(VALU_DEP_3)
	v_dual_fmac_f32 v199, v185, v112 :: v_dual_add_f32 v85, v7, v41
	v_dual_fma_f32 v198, v184, v112, -v15 :: v_dual_add_f32 v84, v9, v13
	v_fmac_f32_e32 v201, v187, v114
	s_delay_alu instid0(VALU_DEP_4)
	v_pk_fma_f32 v[86:87], v[132:133], v[116:117], v[76:77] op_sel_hi:[1,0,1]
	v_fma_f32 v200, v186, v114, -v17
	v_pk_mul_f32 v[78:79], v[190:191], v[78:79] op_sel_hi:[1,0]
	v_pk_add_f32 v[84:85], v[84:85], v[198:199]
	v_pk_fma_f32 v[76:77], v[132:133], v[116:117], v[76:77] neg_lo:[0,0,1] neg_hi:[0,0,1]
	v_pk_mul_f32 v[80:81], v[136:137], v[120:121] op_sel:[1,1] op_sel_hi:[0,1]
	v_mov_b32_e32 v77, v87
	v_pk_fma_f32 v[86:87], v[134:135], v[118:119], v[78:79] op_sel_hi:[1,0,1]
	v_pk_add_f32 v[84:85], v[84:85], v[200:201]
	v_pk_fma_f32 v[78:79], v[134:135], v[118:119], v[78:79] neg_lo:[0,0,1] neg_hi:[0,0,1]
	v_pk_fma_f32 v[90:91], v[136:137], v[120:121], v[80:81] op_sel_hi:[1,0,1]
	v_pk_mul_f32 v[82:83], v[192:193], v[82:83] op_sel_hi:[1,0]
	v_mov_b32_e32 v79, v87
	v_pk_add_f32 v[76:77], v[84:85], v[76:77]
	s_wait_loadcnt 0x2
	v_pk_mul_f32 v[88:89], v[140:141], v[124:125] op_sel:[1,1] op_sel_hi:[0,1]
	v_mov_b32_e32 v84, v127
	v_pk_fma_f32 v[80:81], v[136:137], v[120:121], v[80:81] neg_lo:[0,0,1] neg_hi:[0,0,1]
	v_pk_fma_f32 v[86:87], v[138:139], v[122:123], v[82:83] op_sel_hi:[1,0,1]
	v_mov_b32_e32 v81, v91
	v_pk_add_f32 v[76:77], v[76:77], v[78:79]
	v_pk_fma_f32 v[78:79], v[140:141], v[124:125], v[88:89] op_sel_hi:[1,0,1]
	v_pk_mul_f32 v[84:85], v[194:195], v[84:85] op_sel_hi:[1,0]
	v_pk_fma_f32 v[82:83], v[138:139], v[122:123], v[82:83] neg_lo:[0,0,1] neg_hi:[0,0,1]
	v_mov_b32_e32 v83, v87
	v_pk_add_f32 v[76:77], v[76:77], v[80:81]
	v_pk_fma_f32 v[86:87], v[140:141], v[124:125], v[88:89] neg_lo:[0,0,1] neg_hi:[0,0,1]
	v_mov_b32_e32 v87, v79
	v_pk_fma_f32 v[78:79], v[142:143], v[126:127], v[84:85] op_sel_hi:[1,0,1]
	s_wait_loadcnt 0x1
	v_pk_mul_f32 v[80:81], v[144:145], v[128:129] op_sel:[1,1] op_sel_hi:[0,1]
	v_pk_add_f32 v[76:77], v[76:77], v[82:83]
	v_mov_b32_e32 v78, v131
	v_pk_fma_f32 v[84:85], v[142:143], v[126:127], v[84:85] neg_lo:[0,0,1] neg_hi:[0,0,1]
	s_delay_alu instid0(VALU_DEP_4)
	v_pk_fma_f32 v[82:83], v[144:145], v[128:129], v[80:81] op_sel_hi:[1,0,1]
	v_mov_b32_e32 v85, v79
	v_pk_add_f32 v[76:77], v[76:77], v[86:87]
	v_pk_mul_f32 v[78:79], v[196:197], v[78:79] op_sel_hi:[1,0]
	v_pk_fma_f32 v[80:81], v[144:145], v[128:129], v[80:81] neg_lo:[0,0,1] neg_hi:[0,0,1]
	v_mov_b32_e32 v81, v83
	s_delay_alu instid0(VALU_DEP_4) | instskip(NEXT) | instid1(VALU_DEP_4)
	v_pk_add_f32 v[76:77], v[76:77], v[84:85]
	v_pk_fma_f32 v[82:83], v[146:147], v[130:131], v[78:79] op_sel_hi:[1,0,1]
	v_pk_fma_f32 v[78:79], v[146:147], v[130:131], v[78:79] neg_lo:[0,0,1] neg_hi:[0,0,1]
	s_delay_alu instid0(VALU_DEP_3) | instskip(NEXT) | instid1(VALU_DEP_3)
	v_pk_add_f32 v[76:77], v[76:77], v[80:81]
	v_mov_b32_e32 v79, v83
	s_delay_alu instid0(VALU_DEP_1) | instskip(SKIP_1) | instid1(VALU_DEP_1)
	v_pk_add_f32 v[76:77], v[76:77], v[78:79]
	s_wait_loadcnt 0x0
	v_pk_add_f32 v[76:77], v[188:189], v[76:77] neg_lo:[0,1] neg_hi:[0,1]
	scratch_store_b64 off, v[76:77], off offset:64
	s_wait_xcnt 0x0
	v_cmpx_lt_u32_e32 7, v0
	s_cbranch_execz .LBB100_221
; %bb.220:
	scratch_load_b64 v[76:77], off, off offset:56
	v_mov_b64_e32 v[78:79], 0
	scratch_store_b64 off, v[78:79], off offset:56
	s_wait_loadcnt 0x0
	ds_store_b64 v1, v[76:77]
.LBB100_221:
	s_wait_xcnt 0x0
	s_or_b32 exec_lo, exec_lo, s0
	s_wait_storecnt_dscnt 0x0
	s_barrier_signal -1
	s_barrier_wait -1
	s_clause 0xf
	scratch_load_b128 v[76:79], off, off offset:64
	scratch_load_b128 v[80:83], off, off offset:80
	;; [unrolled: 1-line block ×14, first 2 shown]
	scratch_load_b64 v[188:189], off, off offset:288
	scratch_load_b64 v[190:191], off, off offset:56
	v_mov_b32_e32 v7, 0
	ds_load_b128 v[132:135], v7 offset:528
	ds_load_b128 v[136:139], v7 offset:544
	;; [unrolled: 1-line block ×14, first 2 shown]
	ds_load_b64 v[192:193], v7 offset:592
	s_mov_b32 s0, exec_lo
	s_wait_dscnt 0xe
	v_dual_mov_b32 v194, v135 :: v_dual_mov_b32 v195, v134
	s_wait_dscnt 0xb
	v_dual_mov_b32 v196, v139 :: v_dual_mov_b32 v201, v146
	v_dual_mov_b32 v197, v138 :: v_dual_mov_b32 v198, v143
	;; [unrolled: 1-line block ×3, first 2 shown]
	s_wait_loadcnt_dscnt 0xf0a
	v_dual_mul_f32 v9, v148, v77 :: v_dual_mul_f32 v47, v149, v77
	v_dual_mul_f32 v49, v151, v79 :: v_dual_mul_f32 v11, v150, v79
	s_wait_loadcnt_dscnt 0xe09
	v_mul_f32_e32 v13, v152, v81
	s_wait_loadcnt_dscnt 0xc07
	v_dual_mul_f32 v59, v161, v89 :: v_dual_fma_f32 v47, v148, v76, -v47
	v_dual_fmac_f32 v9, v149, v76 :: v_dual_mul_f32 v61, v163, v91
	v_dual_mul_f32 v51, v153, v81 :: v_dual_mul_f32 v53, v155, v83
	v_dual_fmac_f32 v11, v151, v78 :: v_dual_fma_f32 v49, v150, v78, -v49
	s_delay_alu instid0(VALU_DEP_3) | instskip(SKIP_4) | instid1(VALU_DEP_3)
	v_dual_add_f32 v9, 0, v9 :: v_dual_add_f32 v47, 0, v47
	v_dual_mul_f32 v15, v154, v83 :: v_dual_mul_f32 v17, v156, v85
	s_wait_loadcnt_dscnt 0xb06
	v_dual_mul_f32 v63, v165, v93 :: v_dual_fma_f32 v51, v152, v80, -v51
	v_fmac_f32_e32 v13, v153, v80
	v_dual_add_f32 v9, v9, v11 :: v_dual_fmac_f32 v15, v155, v82
	v_add_f32_e32 v11, v47, v49
	v_dual_mul_f32 v55, v157, v85 :: v_dual_mul_f32 v57, v159, v87
	v_dual_mul_f32 v47, v167, v95 :: v_dual_fma_f32 v49, v154, v82, -v53
	s_delay_alu instid0(VALU_DEP_3) | instskip(SKIP_3) | instid1(VALU_DEP_3)
	v_dual_add_f32 v9, v9, v13 :: v_dual_add_f32 v11, v11, v51
	v_dual_mul_f32 v19, v158, v87 :: v_dual_mul_f32 v21, v160, v89
	s_wait_loadcnt_dscnt 0xa05
	v_dual_mul_f32 v13, v169, v97 :: v_dual_fma_f32 v51, v156, v84, -v55
	v_dual_fmac_f32 v17, v157, v84 :: v_dual_add_f32 v11, v11, v49
	s_delay_alu instid0(VALU_DEP_3) | instskip(SKIP_1) | instid1(VALU_DEP_2)
	v_dual_add_f32 v9, v9, v15 :: v_dual_fmac_f32 v19, v159, v86
	v_dual_mul_f32 v15, v171, v99 :: v_dual_fma_f32 v49, v158, v86, -v57
	v_dual_add_f32 v11, v11, v51 :: v_dual_add_f32 v9, v9, v17
	v_dual_mul_f32 v23, v162, v91 :: v_dual_mul_f32 v25, v164, v93
	s_wait_loadcnt_dscnt 0x904
	v_dual_mul_f32 v17, v173, v101 :: v_dual_fma_f32 v51, v160, v88, -v59
	s_delay_alu instid0(VALU_DEP_3) | instskip(NEXT) | instid1(VALU_DEP_3)
	v_dual_fmac_f32 v21, v161, v88 :: v_dual_add_f32 v11, v11, v49
	v_dual_add_f32 v9, v9, v19 :: v_dual_fmac_f32 v23, v163, v90
	v_dual_mul_f32 v19, v175, v103 :: v_dual_fma_f32 v49, v162, v90, -v61
	s_delay_alu instid0(VALU_DEP_2) | instskip(SKIP_3) | instid1(VALU_DEP_3)
	v_dual_add_f32 v11, v11, v51 :: v_dual_add_f32 v9, v9, v21
	v_dual_mul_f32 v27, v166, v95 :: v_dual_mul_f32 v29, v168, v97
	s_wait_loadcnt_dscnt 0x803
	v_dual_mul_f32 v21, v177, v105 :: v_dual_fma_f32 v51, v164, v92, -v63
	v_dual_fmac_f32 v25, v165, v92 :: v_dual_add_f32 v11, v11, v49
	s_delay_alu instid0(VALU_DEP_3) | instskip(SKIP_1) | instid1(VALU_DEP_2)
	v_dual_add_f32 v9, v9, v23 :: v_dual_fmac_f32 v27, v167, v94
	v_dual_mul_f32 v23, v179, v107 :: v_dual_fma_f32 v47, v166, v94, -v47
	v_dual_add_f32 v11, v11, v51 :: v_dual_add_f32 v9, v9, v25
	v_dual_mul_f32 v31, v170, v99 :: v_dual_mul_f32 v33, v172, v101
	s_wait_loadcnt_dscnt 0x702
	v_dual_mul_f32 v25, v181, v109 :: v_dual_fma_f32 v13, v168, v96, -v13
	s_delay_alu instid0(VALU_DEP_3) | instskip(NEXT) | instid1(VALU_DEP_3)
	v_dual_fmac_f32 v29, v169, v96 :: v_dual_add_f32 v11, v11, v47
	v_dual_add_f32 v9, v9, v27 :: v_dual_fmac_f32 v31, v171, v98
	v_dual_mul_f32 v27, v183, v111 :: v_dual_fma_f32 v15, v170, v98, -v15
	s_delay_alu instid0(VALU_DEP_3) | instskip(NEXT) | instid1(VALU_DEP_3)
	v_dual_add_f32 v11, v11, v13 :: v_dual_fmac_f32 v33, v173, v100
	v_dual_add_f32 v9, v9, v29 :: v_dual_fma_f32 v17, v172, v100, -v17
	v_dual_mul_f32 v35, v174, v103 :: v_dual_mul_f32 v37, v176, v105
	s_wait_loadcnt_dscnt 0x601
	s_delay_alu instid0(VALU_DEP_3) | instskip(NEXT) | instid1(VALU_DEP_2)
	v_dual_mul_f32 v13, v185, v113 :: v_dual_add_f32 v11, v11, v15
	v_dual_add_f32 v9, v9, v31 :: v_dual_fmac_f32 v35, v175, v102
	v_dual_mul_f32 v15, v187, v115 :: v_dual_fma_f32 v19, v174, v102, -v19
	s_delay_alu instid0(VALU_DEP_3) | instskip(NEXT) | instid1(VALU_DEP_3)
	v_dual_add_f32 v11, v11, v17 :: v_dual_fmac_f32 v37, v177, v104
	v_dual_add_f32 v9, v9, v33 :: v_dual_fma_f32 v21, v176, v104, -v21
	v_dual_mul_f32 v39, v178, v107 :: v_dual_mul_f32 v41, v180, v109
	s_wait_loadcnt 0x5
	s_delay_alu instid0(VALU_DEP_3) | instskip(NEXT) | instid1(VALU_DEP_3)
	v_dual_mul_f32 v17, v133, v117 :: v_dual_add_f32 v11, v11, v19
	v_dual_add_f32 v9, v9, v35 :: v_dual_mov_b32 v76, v119
	s_delay_alu instid0(VALU_DEP_3) | instskip(NEXT) | instid1(VALU_DEP_3)
	v_fmac_f32_e32 v39, v179, v106
	v_dual_fma_f32 v19, v178, v106, -v23 :: v_dual_add_f32 v11, v11, v21
	s_delay_alu instid0(VALU_DEP_3) | instskip(SKIP_1) | instid1(VALU_DEP_3)
	v_dual_add_f32 v9, v9, v37 :: v_dual_mul_f32 v43, v182, v111
	v_dual_mul_f32 v45, v184, v113 :: v_dual_fmac_f32 v41, v181, v108
	v_dual_add_f32 v11, v11, v19 :: v_dual_fma_f32 v21, v180, v108, -v25
	s_wait_loadcnt 0x4
	s_delay_alu instid0(VALU_DEP_3) | instskip(SKIP_3) | instid1(VALU_DEP_4)
	v_dual_add_f32 v9, v9, v39 :: v_dual_mov_b32 v80, v123
	v_fma_f32 v19, v182, v110, -v27
	v_fmac_f32_e32 v43, v183, v110
	v_dual_add_f32 v11, v11, v21 :: v_dual_fmac_f32 v45, v185, v112
	v_dual_add_f32 v9, v9, v41 :: v_dual_mul_f32 v203, v186, v115
	v_mul_f32_e32 v205, v132, v117
	s_delay_alu instid0(VALU_DEP_3) | instskip(NEXT) | instid1(VALU_DEP_3)
	v_dual_fma_f32 v13, v184, v112, -v13 :: v_dual_add_f32 v11, v11, v19
	v_dual_fma_f32 v202, v186, v114, -v15 :: v_dual_add_f32 v9, v9, v43
	s_delay_alu instid0(VALU_DEP_4) | instskip(SKIP_1) | instid1(VALU_DEP_4)
	v_fmac_f32_e32 v203, v187, v114
	v_pk_mul_f32 v[76:77], v[194:195], v[76:77] op_sel_hi:[1,0]
	v_dual_add_f32 v84, v11, v13 :: v_dual_fmac_f32 v205, v133, v116
	s_delay_alu instid0(VALU_DEP_4)
	v_add_f32_e32 v85, v9, v45
	v_pk_mul_f32 v[78:79], v[136:137], v[120:121] op_sel:[1,1] op_sel_hi:[0,1]
	s_wait_loadcnt 0x3
	v_dual_mov_b32 v86, v127 :: v_dual_fma_f32 v204, v132, v116, -v17
	v_pk_fma_f32 v[88:89], v[134:135], v[118:119], v[76:77] op_sel_hi:[1,0,1]
	v_pk_add_f32 v[84:85], v[84:85], v[202:203]
	v_pk_fma_f32 v[76:77], v[134:135], v[118:119], v[76:77] neg_lo:[0,0,1] neg_hi:[0,0,1]
	v_pk_fma_f32 v[90:91], v[136:137], v[120:121], v[78:79] op_sel_hi:[1,0,1]
	v_pk_mul_f32 v[80:81], v[196:197], v[80:81] op_sel_hi:[1,0]
	v_mov_b32_e32 v77, v89
	v_pk_add_f32 v[84:85], v[84:85], v[204:205]
	v_pk_fma_f32 v[78:79], v[136:137], v[120:121], v[78:79] neg_lo:[0,0,1] neg_hi:[0,0,1]
	v_pk_mul_f32 v[82:83], v[140:141], v[124:125] op_sel:[1,1] op_sel_hi:[0,1]
	v_mov_b32_e32 v79, v91
	v_pk_fma_f32 v[90:91], v[138:139], v[122:123], v[80:81] op_sel_hi:[1,0,1]
	v_pk_add_f32 v[76:77], v[84:85], v[76:77]
	v_pk_fma_f32 v[80:81], v[138:139], v[122:123], v[80:81] neg_lo:[0,0,1] neg_hi:[0,0,1]
	v_pk_fma_f32 v[84:85], v[140:141], v[124:125], v[82:83] op_sel_hi:[1,0,1]
	v_pk_mul_f32 v[86:87], v[198:199], v[86:87] op_sel_hi:[1,0]
	v_mov_b32_e32 v81, v91
	v_pk_add_f32 v[76:77], v[76:77], v[78:79]
	v_pk_fma_f32 v[82:83], v[140:141], v[124:125], v[82:83] neg_lo:[0,0,1] neg_hi:[0,0,1]
	s_wait_loadcnt 0x2
	v_pk_mul_f32 v[88:89], v[144:145], v[128:129] op_sel:[1,1] op_sel_hi:[0,1]
	v_dual_mov_b32 v78, v131 :: v_dual_mov_b32 v83, v85
	v_pk_fma_f32 v[84:85], v[142:143], v[126:127], v[86:87] op_sel_hi:[1,0,1]
	v_pk_add_f32 v[76:77], v[76:77], v[80:81]
	v_pk_fma_f32 v[86:87], v[142:143], v[126:127], v[86:87] neg_lo:[0,0,1] neg_hi:[0,0,1]
	v_pk_fma_f32 v[80:81], v[144:145], v[128:129], v[88:89] op_sel_hi:[1,0,1]
	v_pk_mul_f32 v[78:79], v[200:201], v[78:79] op_sel_hi:[1,0]
	v_mov_b32_e32 v87, v85
	v_pk_add_f32 v[76:77], v[76:77], v[82:83]
	v_pk_fma_f32 v[82:83], v[144:145], v[128:129], v[88:89] neg_lo:[0,0,1] neg_hi:[0,0,1]
	v_mov_b32_e32 v83, v81
	v_pk_fma_f32 v[80:81], v[146:147], v[130:131], v[78:79] op_sel_hi:[1,0,1]
	s_wait_loadcnt_dscnt 0x100
	v_pk_mul_f32 v[84:85], v[192:193], v[188:189] op_sel:[1,1] op_sel_hi:[0,1]
	v_pk_add_f32 v[76:77], v[76:77], v[86:87]
	v_pk_fma_f32 v[78:79], v[146:147], v[130:131], v[78:79] neg_lo:[0,0,1] neg_hi:[0,0,1]
	v_mov_b32_e32 v79, v81
	s_delay_alu instid0(VALU_DEP_4) | instskip(NEXT) | instid1(VALU_DEP_4)
	v_pk_fma_f32 v[80:81], v[192:193], v[188:189], v[84:85] op_sel_hi:[1,0,1]
	v_pk_add_f32 v[76:77], v[76:77], v[82:83]
	v_pk_fma_f32 v[82:83], v[192:193], v[188:189], v[84:85] neg_lo:[0,0,1] neg_hi:[0,0,1]
	s_delay_alu instid0(VALU_DEP_3) | instskip(NEXT) | instid1(VALU_DEP_3)
	v_mov_b32_e32 v83, v81
	v_pk_add_f32 v[76:77], v[76:77], v[78:79]
	s_delay_alu instid0(VALU_DEP_1) | instskip(SKIP_1) | instid1(VALU_DEP_1)
	v_pk_add_f32 v[76:77], v[76:77], v[82:83]
	s_wait_loadcnt 0x0
	v_pk_add_f32 v[76:77], v[190:191], v[76:77] neg_lo:[0,1] neg_hi:[0,1]
	scratch_store_b64 off, v[76:77], off offset:56
	s_wait_xcnt 0x0
	v_cmpx_lt_u32_e32 6, v0
	s_cbranch_execz .LBB100_223
; %bb.222:
	scratch_load_b64 v[76:77], off, off offset:48
	v_mov_b64_e32 v[78:79], 0
	scratch_store_b64 off, v[78:79], off offset:48
	s_wait_loadcnt 0x0
	ds_store_b64 v1, v[76:77]
.LBB100_223:
	s_wait_xcnt 0x0
	s_or_b32 exec_lo, exec_lo, s0
	s_wait_storecnt_dscnt 0x0
	s_barrier_signal -1
	s_barrier_wait -1
	s_clause 0xf
	scratch_load_b128 v[76:79], off, off offset:56
	scratch_load_b128 v[80:83], off, off offset:72
	;; [unrolled: 1-line block ×15, first 2 shown]
	scratch_load_b64 v[196:197], off, off offset:48
	ds_load_2addr_b64 v[136:139], v7 offset0:67 offset1:68
	ds_load_2addr_b64 v[140:143], v7 offset0:69 offset1:70
	;; [unrolled: 1-line block ×15, first 2 shown]
	s_mov_b32 s0, exec_lo
	s_wait_dscnt 0xe
	v_dual_mov_b32 v198, v139 :: v_dual_mov_b32 v199, v138
	s_wait_dscnt 0xd
	v_dual_mov_b32 v200, v143 :: v_dual_mov_b32 v201, v142
	;; [unrolled: 2-line block ×4, first 2 shown]
	s_wait_loadcnt_dscnt 0xf0a
	v_dual_mul_f32 v7, v152, v77 :: v_dual_mul_f32 v9, v154, v79
	v_dual_mul_f32 v47, v153, v77 :: v_dual_mul_f32 v49, v155, v79
	s_wait_loadcnt_dscnt 0xe09
	v_dual_mul_f32 v11, v156, v81 :: v_dual_mul_f32 v13, v158, v83
	s_delay_alu instid0(VALU_DEP_3) | instskip(SKIP_3) | instid1(VALU_DEP_3)
	v_dual_fmac_f32 v7, v153, v76 :: v_dual_fmac_f32 v9, v155, v78
	s_wait_loadcnt_dscnt 0xc06
	v_dual_fma_f32 v47, v152, v76, -v47 :: v_dual_mul_f32 v59, v169, v89
	v_dual_mul_f32 v51, v157, v81 :: v_dual_mul_f32 v53, v159, v83
	v_dual_fma_f32 v49, v154, v78, -v49 :: v_dual_add_f32 v7, 0, v7
	s_delay_alu instid0(VALU_DEP_3) | instskip(SKIP_1) | instid1(VALU_DEP_4)
	v_dual_add_f32 v47, 0, v47 :: v_dual_fmac_f32 v11, v157, v80
	v_dual_mul_f32 v15, v164, v85 :: v_dual_mul_f32 v17, v166, v87
	v_dual_mul_f32 v61, v171, v91 :: v_dual_fma_f32 v51, v156, v80, -v51
	s_delay_alu instid0(VALU_DEP_4) | instskip(NEXT) | instid1(VALU_DEP_3)
	v_add_f32_e32 v7, v7, v9
	v_dual_add_f32 v9, v47, v49 :: v_dual_fmac_f32 v15, v165, v84
	v_dual_mul_f32 v55, v165, v85 :: v_dual_mul_f32 v57, v167, v87
	s_wait_loadcnt_dscnt 0xb05
	v_dual_mul_f32 v47, v173, v93 :: v_dual_fmac_f32 v13, v159, v82
	v_dual_fma_f32 v49, v158, v82, -v53 :: v_dual_add_f32 v7, v7, v11
	s_delay_alu instid0(VALU_DEP_3) | instskip(SKIP_1) | instid1(VALU_DEP_3)
	v_dual_add_f32 v9, v9, v51 :: v_dual_fma_f32 v51, v164, v84, -v55
	v_dual_mul_f32 v19, v168, v89 :: v_dual_mul_f32 v21, v170, v91
	v_add_f32_e32 v7, v7, v13
	s_delay_alu instid0(VALU_DEP_3) | instskip(SKIP_2) | instid1(VALU_DEP_3)
	v_dual_mul_f32 v11, v175, v95 :: v_dual_add_f32 v9, v9, v49
	s_wait_loadcnt_dscnt 0xa04
	v_dual_mul_f32 v13, v177, v97 :: v_dual_fmac_f32 v17, v167, v86
	v_dual_fma_f32 v49, v166, v86, -v57 :: v_dual_add_f32 v7, v7, v15
	s_delay_alu instid0(VALU_DEP_3) | instskip(SKIP_1) | instid1(VALU_DEP_3)
	v_dual_add_f32 v9, v9, v51 :: v_dual_fma_f32 v51, v168, v88, -v59
	v_dual_mul_f32 v15, v179, v99 :: v_dual_fmac_f32 v19, v169, v88
	v_add_f32_e32 v7, v7, v17
	s_delay_alu instid0(VALU_DEP_3)
	v_dual_add_f32 v9, v9, v49 :: v_dual_fmac_f32 v21, v171, v90
	v_dual_mul_f32 v23, v172, v93 :: v_dual_mul_f32 v25, v174, v95
	s_wait_loadcnt_dscnt 0x903
	v_dual_fma_f32 v49, v170, v90, -v61 :: v_dual_mul_f32 v17, v181, v101
	v_add_f32_e32 v7, v7, v19
	v_dual_add_f32 v9, v9, v51 :: v_dual_fma_f32 v47, v172, v92, -v47
	v_dual_mul_f32 v19, v183, v103 :: v_dual_fmac_f32 v23, v173, v92
	s_delay_alu instid0(VALU_DEP_3) | instskip(NEXT) | instid1(VALU_DEP_3)
	v_dual_add_f32 v7, v7, v21 :: v_dual_fma_f32 v11, v174, v94, -v11
	v_dual_add_f32 v9, v9, v49 :: v_dual_fmac_f32 v25, v175, v94
	v_dual_mul_f32 v27, v176, v97 :: v_dual_mul_f32 v29, v178, v99
	s_wait_loadcnt_dscnt 0x802
	s_delay_alu instid0(VALU_DEP_3) | instskip(NEXT) | instid1(VALU_DEP_3)
	v_dual_mul_f32 v21, v185, v105 :: v_dual_add_f32 v7, v7, v23
	v_dual_add_f32 v9, v9, v47 :: v_dual_fma_f32 v13, v176, v96, -v13
	s_delay_alu instid0(VALU_DEP_3) | instskip(NEXT) | instid1(VALU_DEP_2)
	v_dual_mul_f32 v23, v187, v107 :: v_dual_fmac_f32 v27, v177, v96
	v_dual_add_f32 v7, v7, v25 :: v_dual_add_f32 v9, v9, v11
	v_dual_mul_f32 v31, v180, v101 :: v_dual_mul_f32 v33, v182, v103
	s_wait_loadcnt_dscnt 0x701
	v_dual_mul_f32 v11, v189, v109 :: v_dual_fmac_f32 v29, v179, v98
	s_delay_alu instid0(VALU_DEP_3) | instskip(SKIP_2) | instid1(VALU_DEP_2)
	v_dual_fma_f32 v15, v178, v98, -v15 :: v_dual_add_f32 v7, v7, v27
	v_dual_add_f32 v9, v9, v13 :: v_dual_mul_f32 v13, v191, v111
	v_dual_fmac_f32 v31, v181, v100 :: v_dual_fma_f32 v17, v180, v100, -v17
	v_dual_add_f32 v7, v7, v29 :: v_dual_add_f32 v9, v9, v15
	v_dual_mul_f32 v35, v184, v105 :: v_dual_mul_f32 v37, v186, v107
	s_wait_loadcnt_dscnt 0x600
	v_dual_mul_f32 v15, v193, v113 :: v_dual_fmac_f32 v33, v183, v102
	s_delay_alu instid0(VALU_DEP_3) | instskip(SKIP_2) | instid1(VALU_DEP_2)
	v_dual_fma_f32 v19, v182, v102, -v19 :: v_dual_add_f32 v7, v7, v31
	v_dual_add_f32 v9, v9, v17 :: v_dual_mul_f32 v17, v195, v115
	v_dual_fmac_f32 v35, v185, v104 :: v_dual_fma_f32 v21, v184, v104, -v21
	v_dual_add_f32 v7, v7, v33 :: v_dual_add_f32 v9, v9, v19
	v_dual_mul_f32 v39, v188, v109 :: v_dual_mul_f32 v41, v190, v111
	s_wait_loadcnt 0x5
	v_dual_mul_f32 v19, v161, v117 :: v_dual_fmac_f32 v37, v187, v106
	s_delay_alu instid0(VALU_DEP_3) | instskip(SKIP_2) | instid1(VALU_DEP_3)
	v_dual_fma_f32 v23, v186, v106, -v23 :: v_dual_add_f32 v7, v7, v35
	v_dual_add_f32 v9, v9, v21 :: v_dual_mul_f32 v21, v163, v119
	v_fmac_f32_e32 v39, v189, v108
	v_dual_fma_f32 v11, v188, v108, -v11 :: v_dual_add_f32 v7, v7, v37
	s_delay_alu instid0(VALU_DEP_3) | instskip(SKIP_1) | instid1(VALU_DEP_3)
	v_dual_add_f32 v9, v9, v23 :: v_dual_mul_f32 v43, v192, v113
	v_dual_mul_f32 v45, v194, v115 :: v_dual_fmac_f32 v41, v191, v110
	v_dual_fma_f32 v13, v190, v110, -v13 :: v_dual_add_f32 v7, v7, v39
	s_wait_loadcnt 0x4
	s_delay_alu instid0(VALU_DEP_3) | instskip(SKIP_1) | instid1(VALU_DEP_3)
	v_dual_add_f32 v9, v9, v11 :: v_dual_mov_b32 v78, v123
	v_fmac_f32_e32 v43, v193, v112
	v_dual_fma_f32 v11, v192, v112, -v15 :: v_dual_add_f32 v7, v7, v41
	s_delay_alu instid0(VALU_DEP_3) | instskip(SKIP_1) | instid1(VALU_DEP_3)
	v_dual_add_f32 v9, v9, v13 :: v_dual_fmac_f32 v45, v195, v114
	v_dual_mul_f32 v207, v160, v117 :: v_dual_mul_f32 v209, v162, v119
	v_dual_fma_f32 v13, v194, v114, -v17 :: v_dual_add_f32 v7, v7, v43
	s_wait_loadcnt 0x3
	s_delay_alu instid0(VALU_DEP_3) | instskip(SKIP_1) | instid1(VALU_DEP_3)
	v_dual_add_f32 v9, v9, v11 :: v_dual_mov_b32 v82, v127
	v_pk_mul_f32 v[76:77], v[136:137], v[120:121] op_sel:[1,1] op_sel_hi:[0,1]
	v_dual_fmac_f32 v207, v161, v116 :: v_dual_add_f32 v85, v7, v45
	s_delay_alu instid0(VALU_DEP_3) | instskip(SKIP_1) | instid1(VALU_DEP_4)
	v_dual_fma_f32 v206, v160, v116, -v19 :: v_dual_add_f32 v84, v9, v13
	v_fmac_f32_e32 v209, v163, v118
	v_pk_fma_f32 v[86:87], v[136:137], v[120:121], v[76:77] op_sel_hi:[1,0,1]
	v_fma_f32 v208, v162, v118, -v21
	v_pk_mul_f32 v[78:79], v[198:199], v[78:79] op_sel_hi:[1,0]
	v_pk_add_f32 v[84:85], v[84:85], v[206:207]
	v_pk_fma_f32 v[76:77], v[136:137], v[120:121], v[76:77] neg_lo:[0,0,1] neg_hi:[0,0,1]
	v_pk_mul_f32 v[80:81], v[140:141], v[124:125] op_sel:[1,1] op_sel_hi:[0,1]
	v_mov_b32_e32 v77, v87
	v_pk_fma_f32 v[86:87], v[138:139], v[122:123], v[78:79] op_sel_hi:[1,0,1]
	v_pk_add_f32 v[84:85], v[84:85], v[208:209]
	v_pk_fma_f32 v[78:79], v[138:139], v[122:123], v[78:79] neg_lo:[0,0,1] neg_hi:[0,0,1]
	v_pk_fma_f32 v[90:91], v[140:141], v[124:125], v[80:81] op_sel_hi:[1,0,1]
	v_pk_mul_f32 v[82:83], v[200:201], v[82:83] op_sel_hi:[1,0]
	v_mov_b32_e32 v79, v87
	v_pk_add_f32 v[76:77], v[84:85], v[76:77]
	s_wait_loadcnt 0x2
	v_pk_mul_f32 v[88:89], v[144:145], v[128:129] op_sel:[1,1] op_sel_hi:[0,1]
	v_mov_b32_e32 v84, v131
	v_pk_fma_f32 v[80:81], v[140:141], v[124:125], v[80:81] neg_lo:[0,0,1] neg_hi:[0,0,1]
	v_pk_fma_f32 v[86:87], v[142:143], v[126:127], v[82:83] op_sel_hi:[1,0,1]
	v_mov_b32_e32 v81, v91
	v_pk_add_f32 v[76:77], v[76:77], v[78:79]
	v_pk_fma_f32 v[78:79], v[144:145], v[128:129], v[88:89] op_sel_hi:[1,0,1]
	v_pk_mul_f32 v[84:85], v[202:203], v[84:85] op_sel_hi:[1,0]
	v_pk_fma_f32 v[82:83], v[142:143], v[126:127], v[82:83] neg_lo:[0,0,1] neg_hi:[0,0,1]
	v_mov_b32_e32 v83, v87
	v_pk_add_f32 v[76:77], v[76:77], v[80:81]
	v_pk_fma_f32 v[86:87], v[144:145], v[128:129], v[88:89] neg_lo:[0,0,1] neg_hi:[0,0,1]
	v_mov_b32_e32 v87, v79
	v_pk_fma_f32 v[78:79], v[146:147], v[130:131], v[84:85] op_sel_hi:[1,0,1]
	s_wait_loadcnt 0x1
	v_pk_mul_f32 v[80:81], v[148:149], v[132:133] op_sel:[1,1] op_sel_hi:[0,1]
	v_pk_add_f32 v[76:77], v[76:77], v[82:83]
	v_mov_b32_e32 v78, v135
	v_pk_fma_f32 v[84:85], v[146:147], v[130:131], v[84:85] neg_lo:[0,0,1] neg_hi:[0,0,1]
	s_delay_alu instid0(VALU_DEP_4)
	v_pk_fma_f32 v[82:83], v[148:149], v[132:133], v[80:81] op_sel_hi:[1,0,1]
	v_mov_b32_e32 v85, v79
	v_pk_add_f32 v[76:77], v[76:77], v[86:87]
	v_pk_mul_f32 v[78:79], v[204:205], v[78:79] op_sel_hi:[1,0]
	v_pk_fma_f32 v[80:81], v[148:149], v[132:133], v[80:81] neg_lo:[0,0,1] neg_hi:[0,0,1]
	v_mov_b32_e32 v81, v83
	s_delay_alu instid0(VALU_DEP_4) | instskip(NEXT) | instid1(VALU_DEP_4)
	v_pk_add_f32 v[76:77], v[76:77], v[84:85]
	v_pk_fma_f32 v[82:83], v[150:151], v[134:135], v[78:79] op_sel_hi:[1,0,1]
	v_pk_fma_f32 v[78:79], v[150:151], v[134:135], v[78:79] neg_lo:[0,0,1] neg_hi:[0,0,1]
	s_delay_alu instid0(VALU_DEP_3) | instskip(NEXT) | instid1(VALU_DEP_3)
	v_pk_add_f32 v[76:77], v[76:77], v[80:81]
	v_mov_b32_e32 v79, v83
	s_delay_alu instid0(VALU_DEP_1) | instskip(SKIP_1) | instid1(VALU_DEP_1)
	v_pk_add_f32 v[76:77], v[76:77], v[78:79]
	s_wait_loadcnt 0x0
	v_pk_add_f32 v[76:77], v[196:197], v[76:77] neg_lo:[0,1] neg_hi:[0,1]
	scratch_store_b64 off, v[76:77], off offset:48
	s_wait_xcnt 0x0
	v_cmpx_lt_u32_e32 5, v0
	s_cbranch_execz .LBB100_225
; %bb.224:
	scratch_load_b64 v[76:77], off, off offset:40
	v_mov_b64_e32 v[78:79], 0
	scratch_store_b64 off, v[78:79], off offset:40
	s_wait_loadcnt 0x0
	ds_store_b64 v1, v[76:77]
.LBB100_225:
	s_wait_xcnt 0x0
	s_or_b32 exec_lo, exec_lo, s0
	s_wait_storecnt_dscnt 0x0
	s_barrier_signal -1
	s_barrier_wait -1
	s_clause 0x10
	scratch_load_b128 v[76:79], off, off offset:48
	scratch_load_b128 v[80:83], off, off offset:64
	;; [unrolled: 1-line block ×15, first 2 shown]
	scratch_load_b64 v[196:197], off, off offset:288
	scratch_load_b64 v[198:199], off, off offset:40
	v_mov_b32_e32 v7, 0
	ds_load_b128 v[136:139], v7 offset:528
	ds_load_b128 v[140:143], v7 offset:544
	;; [unrolled: 1-line block ×15, first 2 shown]
	ds_load_b64 v[200:201], v7 offset:592
	s_mov_b32 s0, exec_lo
	s_wait_dscnt 0xf
	v_dual_mov_b32 v202, v139 :: v_dual_mov_b32 v203, v138
	s_wait_dscnt 0xc
	v_dual_mov_b32 v204, v143 :: v_dual_mov_b32 v209, v150
	v_dual_mov_b32 v205, v142 :: v_dual_mov_b32 v206, v147
	;; [unrolled: 1-line block ×3, first 2 shown]
	s_wait_loadcnt_dscnt 0x100b
	v_dual_mul_f32 v9, v152, v77 :: v_dual_mul_f32 v51, v153, v77
	v_dual_mul_f32 v53, v155, v79 :: v_dual_mul_f32 v11, v154, v79
	s_wait_loadcnt_dscnt 0xf09
	v_mul_f32_e32 v13, v160, v81
	s_wait_loadcnt_dscnt 0xd07
	v_dual_mul_f32 v63, v169, v89 :: v_dual_fma_f32 v51, v152, v76, -v51
	v_dual_fmac_f32 v9, v153, v76 :: v_dual_mul_f32 v65, v171, v91
	v_dual_mul_f32 v55, v161, v81 :: v_dual_mul_f32 v57, v163, v83
	v_dual_fmac_f32 v11, v155, v78 :: v_dual_fma_f32 v53, v154, v78, -v53
	s_delay_alu instid0(VALU_DEP_3) | instskip(SKIP_4) | instid1(VALU_DEP_3)
	v_dual_add_f32 v9, 0, v9 :: v_dual_add_f32 v51, 0, v51
	v_dual_mul_f32 v15, v162, v83 :: v_dual_mul_f32 v17, v164, v85
	s_wait_loadcnt_dscnt 0xc06
	v_dual_mul_f32 v67, v173, v93 :: v_dual_fma_f32 v55, v160, v80, -v55
	v_fmac_f32_e32 v13, v161, v80
	v_dual_add_f32 v9, v9, v11 :: v_dual_fmac_f32 v15, v163, v82
	v_add_f32_e32 v11, v51, v53
	v_dual_mul_f32 v59, v165, v85 :: v_dual_mul_f32 v61, v167, v87
	v_dual_mul_f32 v51, v175, v95 :: v_dual_fma_f32 v53, v162, v82, -v57
	s_delay_alu instid0(VALU_DEP_3) | instskip(SKIP_3) | instid1(VALU_DEP_3)
	v_dual_add_f32 v9, v9, v13 :: v_dual_add_f32 v11, v11, v55
	v_dual_mul_f32 v19, v166, v87 :: v_dual_mul_f32 v21, v168, v89
	s_wait_loadcnt_dscnt 0xb05
	v_dual_mul_f32 v13, v177, v97 :: v_dual_fma_f32 v55, v164, v84, -v59
	v_dual_fmac_f32 v17, v165, v84 :: v_dual_add_f32 v11, v11, v53
	s_delay_alu instid0(VALU_DEP_3) | instskip(SKIP_1) | instid1(VALU_DEP_2)
	v_dual_add_f32 v9, v9, v15 :: v_dual_fmac_f32 v19, v167, v86
	v_dual_mul_f32 v15, v179, v99 :: v_dual_fma_f32 v53, v166, v86, -v61
	v_dual_add_f32 v11, v11, v55 :: v_dual_add_f32 v9, v9, v17
	v_dual_mul_f32 v23, v170, v91 :: v_dual_mul_f32 v25, v172, v93
	s_wait_loadcnt_dscnt 0xa04
	v_dual_mul_f32 v17, v181, v101 :: v_dual_fma_f32 v55, v168, v88, -v63
	s_delay_alu instid0(VALU_DEP_3) | instskip(NEXT) | instid1(VALU_DEP_3)
	v_dual_fmac_f32 v21, v169, v88 :: v_dual_add_f32 v11, v11, v53
	v_dual_add_f32 v9, v9, v19 :: v_dual_fmac_f32 v23, v171, v90
	v_dual_mul_f32 v19, v183, v103 :: v_dual_fma_f32 v53, v170, v90, -v65
	s_delay_alu instid0(VALU_DEP_2) | instskip(SKIP_3) | instid1(VALU_DEP_3)
	v_dual_add_f32 v11, v11, v55 :: v_dual_add_f32 v9, v9, v21
	v_dual_mul_f32 v27, v174, v95 :: v_dual_mul_f32 v29, v176, v97
	s_wait_loadcnt_dscnt 0x903
	v_dual_mul_f32 v21, v185, v105 :: v_dual_fma_f32 v55, v172, v92, -v67
	v_dual_fmac_f32 v25, v173, v92 :: v_dual_add_f32 v11, v11, v53
	s_delay_alu instid0(VALU_DEP_3) | instskip(SKIP_1) | instid1(VALU_DEP_2)
	v_dual_add_f32 v9, v9, v23 :: v_dual_fmac_f32 v27, v175, v94
	v_dual_mul_f32 v23, v187, v107 :: v_dual_fma_f32 v51, v174, v94, -v51
	v_dual_add_f32 v11, v11, v55 :: v_dual_add_f32 v9, v9, v25
	v_dual_mul_f32 v31, v178, v99 :: v_dual_mul_f32 v33, v180, v101
	s_wait_loadcnt_dscnt 0x802
	v_dual_mul_f32 v25, v189, v109 :: v_dual_fma_f32 v13, v176, v96, -v13
	s_delay_alu instid0(VALU_DEP_3) | instskip(NEXT) | instid1(VALU_DEP_3)
	v_dual_fmac_f32 v29, v177, v96 :: v_dual_add_f32 v11, v11, v51
	v_dual_add_f32 v9, v9, v27 :: v_dual_fmac_f32 v31, v179, v98
	v_dual_mul_f32 v27, v191, v111 :: v_dual_fma_f32 v15, v178, v98, -v15
	s_delay_alu instid0(VALU_DEP_3) | instskip(NEXT) | instid1(VALU_DEP_3)
	v_dual_add_f32 v11, v11, v13 :: v_dual_fmac_f32 v33, v181, v100
	v_dual_add_f32 v9, v9, v29 :: v_dual_fma_f32 v17, v180, v100, -v17
	v_dual_mul_f32 v35, v182, v103 :: v_dual_mul_f32 v37, v184, v105
	s_wait_loadcnt_dscnt 0x701
	s_delay_alu instid0(VALU_DEP_3) | instskip(NEXT) | instid1(VALU_DEP_2)
	v_dual_mul_f32 v13, v193, v113 :: v_dual_add_f32 v11, v11, v15
	v_dual_add_f32 v9, v9, v31 :: v_dual_fmac_f32 v35, v183, v102
	v_dual_mul_f32 v15, v195, v115 :: v_dual_fma_f32 v19, v182, v102, -v19
	s_delay_alu instid0(VALU_DEP_3) | instskip(NEXT) | instid1(VALU_DEP_3)
	v_dual_add_f32 v11, v11, v17 :: v_dual_fmac_f32 v37, v185, v104
	v_dual_add_f32 v9, v9, v33 :: v_dual_fma_f32 v21, v184, v104, -v21
	v_dual_mul_f32 v39, v186, v107 :: v_dual_mul_f32 v41, v188, v109
	s_wait_loadcnt 0x6
	s_delay_alu instid0(VALU_DEP_3) | instskip(NEXT) | instid1(VALU_DEP_2)
	v_dual_mul_f32 v17, v157, v117 :: v_dual_add_f32 v11, v11, v19
	v_dual_add_f32 v9, v9, v35 :: v_dual_fmac_f32 v39, v187, v106
	v_dual_mul_f32 v19, v159, v119 :: v_dual_fma_f32 v23, v186, v106, -v23
	s_delay_alu instid0(VALU_DEP_3) | instskip(NEXT) | instid1(VALU_DEP_3)
	v_dual_add_f32 v11, v11, v21 :: v_dual_fmac_f32 v41, v189, v108
	v_dual_add_f32 v9, v9, v37 :: v_dual_fma_f32 v25, v188, v108, -v25
	v_dual_mul_f32 v43, v190, v111 :: v_dual_mul_f32 v45, v192, v113
	s_wait_loadcnt 0x5
	s_delay_alu instid0(VALU_DEP_3) | instskip(NEXT) | instid1(VALU_DEP_3)
	v_dual_mul_f32 v21, v137, v121 :: v_dual_add_f32 v11, v11, v23
	v_dual_add_f32 v9, v9, v39 :: v_dual_mov_b32 v76, v123
	s_delay_alu instid0(VALU_DEP_3) | instskip(NEXT) | instid1(VALU_DEP_3)
	v_fmac_f32_e32 v43, v191, v110
	v_dual_fma_f32 v23, v190, v110, -v27 :: v_dual_add_f32 v11, v11, v25
	s_delay_alu instid0(VALU_DEP_3) | instskip(SKIP_1) | instid1(VALU_DEP_3)
	v_dual_add_f32 v9, v9, v41 :: v_dual_mul_f32 v47, v194, v115
	v_dual_mul_f32 v49, v156, v117 :: v_dual_fmac_f32 v45, v193, v112
	v_dual_add_f32 v11, v11, v23 :: v_dual_fma_f32 v13, v192, v112, -v13
	s_wait_loadcnt 0x4
	s_delay_alu instid0(VALU_DEP_3) | instskip(SKIP_3) | instid1(VALU_DEP_4)
	v_dual_add_f32 v9, v9, v43 :: v_dual_mov_b32 v80, v127
	v_fma_f32 v15, v194, v114, -v15
	v_fmac_f32_e32 v47, v195, v114
	v_dual_add_f32 v11, v11, v13 :: v_dual_fmac_f32 v49, v157, v116
	v_dual_add_f32 v9, v9, v45 :: v_dual_mul_f32 v211, v158, v119
	v_mul_f32_e32 v213, v136, v121
	s_delay_alu instid0(VALU_DEP_3) | instskip(NEXT) | instid1(VALU_DEP_3)
	v_dual_fma_f32 v13, v156, v116, -v17 :: v_dual_add_f32 v11, v11, v15
	v_dual_fma_f32 v210, v158, v118, -v19 :: v_dual_add_f32 v9, v9, v47
	s_delay_alu instid0(VALU_DEP_4) | instskip(SKIP_1) | instid1(VALU_DEP_4)
	v_fmac_f32_e32 v211, v159, v118
	v_pk_mul_f32 v[76:77], v[202:203], v[76:77] op_sel_hi:[1,0]
	v_dual_add_f32 v84, v11, v13 :: v_dual_fmac_f32 v213, v137, v120
	s_delay_alu instid0(VALU_DEP_4)
	v_add_f32_e32 v85, v9, v49
	v_pk_mul_f32 v[78:79], v[140:141], v[124:125] op_sel:[1,1] op_sel_hi:[0,1]
	s_wait_loadcnt 0x3
	v_dual_mov_b32 v86, v131 :: v_dual_fma_f32 v212, v136, v120, -v21
	v_pk_fma_f32 v[88:89], v[138:139], v[122:123], v[76:77] op_sel_hi:[1,0,1]
	v_pk_add_f32 v[84:85], v[84:85], v[210:211]
	v_pk_fma_f32 v[76:77], v[138:139], v[122:123], v[76:77] neg_lo:[0,0,1] neg_hi:[0,0,1]
	v_pk_fma_f32 v[90:91], v[140:141], v[124:125], v[78:79] op_sel_hi:[1,0,1]
	v_pk_mul_f32 v[80:81], v[204:205], v[80:81] op_sel_hi:[1,0]
	v_mov_b32_e32 v77, v89
	v_pk_add_f32 v[84:85], v[84:85], v[212:213]
	v_pk_fma_f32 v[78:79], v[140:141], v[124:125], v[78:79] neg_lo:[0,0,1] neg_hi:[0,0,1]
	v_pk_mul_f32 v[82:83], v[144:145], v[128:129] op_sel:[1,1] op_sel_hi:[0,1]
	v_mov_b32_e32 v79, v91
	v_pk_fma_f32 v[90:91], v[142:143], v[126:127], v[80:81] op_sel_hi:[1,0,1]
	v_pk_add_f32 v[76:77], v[84:85], v[76:77]
	v_pk_fma_f32 v[80:81], v[142:143], v[126:127], v[80:81] neg_lo:[0,0,1] neg_hi:[0,0,1]
	v_pk_fma_f32 v[84:85], v[144:145], v[128:129], v[82:83] op_sel_hi:[1,0,1]
	v_pk_mul_f32 v[86:87], v[206:207], v[86:87] op_sel_hi:[1,0]
	v_mov_b32_e32 v81, v91
	v_pk_add_f32 v[76:77], v[76:77], v[78:79]
	v_pk_fma_f32 v[82:83], v[144:145], v[128:129], v[82:83] neg_lo:[0,0,1] neg_hi:[0,0,1]
	s_wait_loadcnt 0x2
	v_pk_mul_f32 v[88:89], v[148:149], v[132:133] op_sel:[1,1] op_sel_hi:[0,1]
	v_dual_mov_b32 v78, v135 :: v_dual_mov_b32 v83, v85
	v_pk_fma_f32 v[84:85], v[146:147], v[130:131], v[86:87] op_sel_hi:[1,0,1]
	v_pk_add_f32 v[76:77], v[76:77], v[80:81]
	v_pk_fma_f32 v[86:87], v[146:147], v[130:131], v[86:87] neg_lo:[0,0,1] neg_hi:[0,0,1]
	v_pk_fma_f32 v[80:81], v[148:149], v[132:133], v[88:89] op_sel_hi:[1,0,1]
	v_pk_mul_f32 v[78:79], v[208:209], v[78:79] op_sel_hi:[1,0]
	v_mov_b32_e32 v87, v85
	v_pk_add_f32 v[76:77], v[76:77], v[82:83]
	v_pk_fma_f32 v[82:83], v[148:149], v[132:133], v[88:89] neg_lo:[0,0,1] neg_hi:[0,0,1]
	v_mov_b32_e32 v83, v81
	v_pk_fma_f32 v[80:81], v[150:151], v[134:135], v[78:79] op_sel_hi:[1,0,1]
	s_wait_loadcnt_dscnt 0x100
	v_pk_mul_f32 v[84:85], v[200:201], v[196:197] op_sel:[1,1] op_sel_hi:[0,1]
	v_pk_add_f32 v[76:77], v[76:77], v[86:87]
	v_pk_fma_f32 v[78:79], v[150:151], v[134:135], v[78:79] neg_lo:[0,0,1] neg_hi:[0,0,1]
	v_mov_b32_e32 v79, v81
	s_delay_alu instid0(VALU_DEP_4) | instskip(NEXT) | instid1(VALU_DEP_4)
	v_pk_fma_f32 v[80:81], v[200:201], v[196:197], v[84:85] op_sel_hi:[1,0,1]
	v_pk_add_f32 v[76:77], v[76:77], v[82:83]
	v_pk_fma_f32 v[82:83], v[200:201], v[196:197], v[84:85] neg_lo:[0,0,1] neg_hi:[0,0,1]
	s_delay_alu instid0(VALU_DEP_3) | instskip(NEXT) | instid1(VALU_DEP_3)
	v_mov_b32_e32 v83, v81
	v_pk_add_f32 v[76:77], v[76:77], v[78:79]
	s_delay_alu instid0(VALU_DEP_1) | instskip(SKIP_1) | instid1(VALU_DEP_1)
	v_pk_add_f32 v[76:77], v[76:77], v[82:83]
	s_wait_loadcnt 0x0
	v_pk_add_f32 v[76:77], v[198:199], v[76:77] neg_lo:[0,1] neg_hi:[0,1]
	scratch_store_b64 off, v[76:77], off offset:40
	s_wait_xcnt 0x0
	v_cmpx_lt_u32_e32 4, v0
	s_cbranch_execz .LBB100_227
; %bb.226:
	scratch_load_b64 v[76:77], off, off offset:32
	v_mov_b64_e32 v[78:79], 0
	scratch_store_b64 off, v[78:79], off offset:32
	s_wait_loadcnt 0x0
	ds_store_b64 v1, v[76:77]
.LBB100_227:
	s_wait_xcnt 0x0
	s_or_b32 exec_lo, exec_lo, s0
	s_wait_storecnt_dscnt 0x0
	s_barrier_signal -1
	s_barrier_wait -1
	s_clause 0x10
	scratch_load_b128 v[76:79], off, off offset:40
	scratch_load_b128 v[80:83], off, off offset:56
	;; [unrolled: 1-line block ×16, first 2 shown]
	scratch_load_b64 v[204:205], off, off offset:32
	ds_load_2addr_b64 v[140:143], v7 offset0:67 offset1:68
	ds_load_2addr_b64 v[144:147], v7 offset0:69 offset1:70
	;; [unrolled: 1-line block ×16, first 2 shown]
	s_mov_b32 s0, exec_lo
	s_wait_dscnt 0xf
	v_dual_mov_b32 v206, v143 :: v_dual_mov_b32 v207, v142
	s_wait_dscnt 0xe
	v_dual_mov_b32 v208, v147 :: v_dual_mov_b32 v209, v146
	s_wait_dscnt 0xd
	v_dual_mov_b32 v210, v151 :: v_dual_mov_b32 v211, v150
	s_wait_dscnt 0xc
	v_dual_mov_b32 v212, v155 :: v_dual_mov_b32 v213, v154
	s_wait_loadcnt_dscnt 0x100b
	v_dual_mul_f32 v7, v156, v77 :: v_dual_mul_f32 v9, v158, v79
	v_dual_mul_f32 v51, v157, v77 :: v_dual_mul_f32 v53, v159, v79
	s_wait_loadcnt_dscnt 0xf0a
	v_dual_mul_f32 v11, v160, v81 :: v_dual_mul_f32 v13, v162, v83
	s_delay_alu instid0(VALU_DEP_3) | instskip(SKIP_3) | instid1(VALU_DEP_3)
	v_dual_fmac_f32 v7, v157, v76 :: v_dual_fmac_f32 v9, v159, v78
	s_wait_loadcnt_dscnt 0xd08
	v_dual_fma_f32 v51, v156, v76, -v51 :: v_dual_mul_f32 v63, v169, v89
	v_dual_mul_f32 v55, v161, v81 :: v_dual_mul_f32 v57, v163, v83
	v_dual_fma_f32 v53, v158, v78, -v53 :: v_dual_add_f32 v7, 0, v7
	s_delay_alu instid0(VALU_DEP_3) | instskip(SKIP_1) | instid1(VALU_DEP_4)
	v_dual_add_f32 v51, 0, v51 :: v_dual_fmac_f32 v11, v161, v80
	v_dual_mul_f32 v15, v164, v85 :: v_dual_mul_f32 v17, v166, v87
	v_dual_mul_f32 v65, v171, v91 :: v_dual_fma_f32 v55, v160, v80, -v55
	s_delay_alu instid0(VALU_DEP_4) | instskip(NEXT) | instid1(VALU_DEP_3)
	v_add_f32_e32 v7, v7, v9
	v_dual_add_f32 v9, v51, v53 :: v_dual_fmac_f32 v15, v165, v84
	v_dual_mul_f32 v59, v165, v85 :: v_dual_mul_f32 v61, v167, v87
	s_wait_loadcnt_dscnt 0xc07
	v_dual_mul_f32 v51, v173, v93 :: v_dual_fmac_f32 v13, v163, v82
	v_dual_fma_f32 v53, v162, v82, -v57 :: v_dual_add_f32 v7, v7, v11
	s_delay_alu instid0(VALU_DEP_3) | instskip(SKIP_1) | instid1(VALU_DEP_3)
	v_dual_add_f32 v9, v9, v55 :: v_dual_fma_f32 v55, v164, v84, -v59
	v_dual_mul_f32 v19, v168, v89 :: v_dual_mul_f32 v21, v170, v91
	v_add_f32_e32 v7, v7, v13
	s_delay_alu instid0(VALU_DEP_3) | instskip(SKIP_2) | instid1(VALU_DEP_3)
	v_dual_mul_f32 v11, v175, v95 :: v_dual_add_f32 v9, v9, v53
	s_wait_loadcnt_dscnt 0xb06
	v_dual_mul_f32 v13, v177, v97 :: v_dual_fmac_f32 v17, v167, v86
	v_dual_fma_f32 v53, v166, v86, -v61 :: v_dual_add_f32 v7, v7, v15
	s_delay_alu instid0(VALU_DEP_3) | instskip(SKIP_1) | instid1(VALU_DEP_3)
	v_dual_add_f32 v9, v9, v55 :: v_dual_fma_f32 v55, v168, v88, -v63
	v_dual_mul_f32 v15, v179, v99 :: v_dual_fmac_f32 v19, v169, v88
	v_add_f32_e32 v7, v7, v17
	s_delay_alu instid0(VALU_DEP_3)
	v_dual_add_f32 v9, v9, v53 :: v_dual_fmac_f32 v21, v171, v90
	v_dual_mul_f32 v23, v172, v93 :: v_dual_mul_f32 v25, v174, v95
	s_wait_loadcnt_dscnt 0xa05
	v_dual_fma_f32 v53, v170, v90, -v65 :: v_dual_mul_f32 v17, v181, v101
	v_add_f32_e32 v7, v7, v19
	v_dual_add_f32 v9, v9, v55 :: v_dual_fma_f32 v51, v172, v92, -v51
	v_dual_mul_f32 v19, v183, v103 :: v_dual_fmac_f32 v23, v173, v92
	s_delay_alu instid0(VALU_DEP_3) | instskip(NEXT) | instid1(VALU_DEP_3)
	v_dual_add_f32 v7, v7, v21 :: v_dual_fma_f32 v11, v174, v94, -v11
	v_dual_add_f32 v9, v9, v53 :: v_dual_fmac_f32 v25, v175, v94
	v_dual_mul_f32 v27, v176, v97 :: v_dual_mul_f32 v29, v178, v99
	s_wait_loadcnt_dscnt 0x904
	s_delay_alu instid0(VALU_DEP_3) | instskip(NEXT) | instid1(VALU_DEP_3)
	v_dual_mul_f32 v21, v185, v105 :: v_dual_add_f32 v7, v7, v23
	v_dual_add_f32 v9, v9, v51 :: v_dual_fma_f32 v13, v176, v96, -v13
	s_delay_alu instid0(VALU_DEP_3) | instskip(NEXT) | instid1(VALU_DEP_2)
	v_dual_mul_f32 v23, v187, v107 :: v_dual_fmac_f32 v27, v177, v96
	v_dual_add_f32 v7, v7, v25 :: v_dual_add_f32 v9, v9, v11
	v_dual_mul_f32 v31, v180, v101 :: v_dual_mul_f32 v33, v182, v103
	s_wait_loadcnt_dscnt 0x803
	v_dual_mul_f32 v11, v189, v109 :: v_dual_fmac_f32 v29, v179, v98
	s_delay_alu instid0(VALU_DEP_3) | instskip(SKIP_2) | instid1(VALU_DEP_2)
	v_dual_fma_f32 v15, v178, v98, -v15 :: v_dual_add_f32 v7, v7, v27
	v_dual_add_f32 v9, v9, v13 :: v_dual_mul_f32 v13, v191, v111
	v_dual_fmac_f32 v31, v181, v100 :: v_dual_fma_f32 v17, v180, v100, -v17
	v_dual_add_f32 v7, v7, v29 :: v_dual_add_f32 v9, v9, v15
	v_dual_mul_f32 v35, v184, v105 :: v_dual_mul_f32 v37, v186, v107
	s_wait_loadcnt_dscnt 0x702
	v_dual_mul_f32 v15, v193, v113 :: v_dual_fmac_f32 v33, v183, v102
	s_delay_alu instid0(VALU_DEP_3) | instskip(SKIP_2) | instid1(VALU_DEP_2)
	v_dual_fma_f32 v19, v182, v102, -v19 :: v_dual_add_f32 v7, v7, v31
	v_dual_add_f32 v9, v9, v17 :: v_dual_mul_f32 v17, v195, v115
	v_dual_fmac_f32 v35, v185, v104 :: v_dual_fma_f32 v21, v184, v104, -v21
	v_dual_add_f32 v7, v7, v33 :: v_dual_add_f32 v9, v9, v19
	v_dual_mul_f32 v39, v188, v109 :: v_dual_mul_f32 v41, v190, v111
	s_wait_loadcnt_dscnt 0x601
	v_dual_mul_f32 v19, v197, v117 :: v_dual_fmac_f32 v37, v187, v106
	s_delay_alu instid0(VALU_DEP_3) | instskip(SKIP_2) | instid1(VALU_DEP_3)
	v_dual_fma_f32 v23, v186, v106, -v23 :: v_dual_add_f32 v7, v7, v35
	v_dual_add_f32 v9, v9, v21 :: v_dual_mul_f32 v21, v199, v119
	v_fmac_f32_e32 v39, v189, v108
	v_dual_fma_f32 v11, v188, v108, -v11 :: v_dual_add_f32 v7, v7, v37
	s_delay_alu instid0(VALU_DEP_3)
	v_dual_add_f32 v9, v9, v23 :: v_dual_mul_f32 v43, v192, v113
	s_wait_loadcnt_dscnt 0x500
	v_dual_mul_f32 v45, v194, v115 :: v_dual_mul_f32 v23, v201, v121
	v_fmac_f32_e32 v41, v191, v110
	v_dual_fma_f32 v13, v190, v110, -v13 :: v_dual_add_f32 v7, v7, v39
	v_dual_add_f32 v9, v9, v11 :: v_dual_fma_f32 v15, v192, v112, -v15
	v_dual_mul_f32 v11, v203, v123 :: v_dual_fmac_f32 v43, v193, v112
	s_delay_alu instid0(VALU_DEP_3) | instskip(NEXT) | instid1(VALU_DEP_3)
	v_add_f32_e32 v7, v7, v41
	v_dual_add_f32 v9, v9, v13 :: v_dual_fmac_f32 v45, v195, v114
	v_dual_mul_f32 v47, v196, v117 :: v_dual_mul_f32 v49, v198, v119
	s_delay_alu instid0(VALU_DEP_3) | instskip(SKIP_1) | instid1(VALU_DEP_3)
	v_dual_fma_f32 v13, v194, v114, -v17 :: v_dual_add_f32 v7, v7, v43
	s_wait_loadcnt 0x4
	v_dual_add_f32 v9, v9, v15 :: v_dual_mov_b32 v78, v127
	s_delay_alu instid0(VALU_DEP_3) | instskip(NEXT) | instid1(VALU_DEP_3)
	v_fmac_f32_e32 v47, v197, v116
	v_dual_fma_f32 v15, v196, v116, -v19 :: v_dual_add_f32 v7, v7, v45
	s_delay_alu instid0(VALU_DEP_3) | instskip(SKIP_1) | instid1(VALU_DEP_3)
	v_dual_add_f32 v9, v9, v13 :: v_dual_fmac_f32 v49, v199, v118
	v_dual_mul_f32 v215, v200, v121 :: v_dual_mul_f32 v217, v202, v123
	v_dual_fma_f32 v13, v198, v118, -v21 :: v_dual_add_f32 v7, v7, v47
	s_wait_loadcnt 0x3
	s_delay_alu instid0(VALU_DEP_3) | instskip(SKIP_1) | instid1(VALU_DEP_3)
	v_dual_add_f32 v9, v9, v15 :: v_dual_mov_b32 v82, v131
	v_pk_mul_f32 v[76:77], v[140:141], v[124:125] op_sel:[1,1] op_sel_hi:[0,1]
	v_dual_fmac_f32 v215, v201, v120 :: v_dual_add_f32 v85, v7, v49
	s_delay_alu instid0(VALU_DEP_3) | instskip(SKIP_1) | instid1(VALU_DEP_4)
	v_dual_fma_f32 v214, v200, v120, -v23 :: v_dual_add_f32 v84, v9, v13
	v_dual_fmac_f32 v217, v203, v122 :: v_dual_fma_f32 v216, v202, v122, -v11
	v_pk_fma_f32 v[86:87], v[140:141], v[124:125], v[76:77] op_sel_hi:[1,0,1]
	v_pk_mul_f32 v[78:79], v[206:207], v[78:79] op_sel_hi:[1,0]
	s_delay_alu instid0(VALU_DEP_4)
	v_pk_add_f32 v[84:85], v[84:85], v[214:215]
	v_pk_fma_f32 v[76:77], v[140:141], v[124:125], v[76:77] neg_lo:[0,0,1] neg_hi:[0,0,1]
	v_pk_mul_f32 v[80:81], v[144:145], v[128:129] op_sel:[1,1] op_sel_hi:[0,1]
	v_mov_b32_e32 v77, v87
	v_pk_fma_f32 v[86:87], v[142:143], v[126:127], v[78:79] op_sel_hi:[1,0,1]
	v_pk_add_f32 v[84:85], v[84:85], v[216:217]
	v_pk_fma_f32 v[78:79], v[142:143], v[126:127], v[78:79] neg_lo:[0,0,1] neg_hi:[0,0,1]
	v_pk_fma_f32 v[90:91], v[144:145], v[128:129], v[80:81] op_sel_hi:[1,0,1]
	v_pk_mul_f32 v[82:83], v[208:209], v[82:83] op_sel_hi:[1,0]
	v_mov_b32_e32 v79, v87
	v_pk_add_f32 v[76:77], v[84:85], v[76:77]
	s_wait_loadcnt 0x2
	v_pk_mul_f32 v[88:89], v[148:149], v[132:133] op_sel:[1,1] op_sel_hi:[0,1]
	v_mov_b32_e32 v84, v135
	v_pk_fma_f32 v[80:81], v[144:145], v[128:129], v[80:81] neg_lo:[0,0,1] neg_hi:[0,0,1]
	v_mov_b32_e32 v81, v91
	v_pk_fma_f32 v[86:87], v[146:147], v[130:131], v[82:83] op_sel_hi:[1,0,1]
	v_pk_add_f32 v[76:77], v[76:77], v[78:79]
	v_pk_fma_f32 v[78:79], v[148:149], v[132:133], v[88:89] op_sel_hi:[1,0,1]
	v_pk_mul_f32 v[84:85], v[210:211], v[84:85] op_sel_hi:[1,0]
	v_pk_fma_f32 v[82:83], v[146:147], v[130:131], v[82:83] neg_lo:[0,0,1] neg_hi:[0,0,1]
	v_mov_b32_e32 v83, v87
	v_pk_add_f32 v[76:77], v[76:77], v[80:81]
	v_pk_fma_f32 v[86:87], v[148:149], v[132:133], v[88:89] neg_lo:[0,0,1] neg_hi:[0,0,1]
	v_mov_b32_e32 v87, v79
	v_pk_fma_f32 v[78:79], v[150:151], v[134:135], v[84:85] op_sel_hi:[1,0,1]
	s_wait_loadcnt 0x1
	v_pk_mul_f32 v[80:81], v[152:153], v[136:137] op_sel:[1,1] op_sel_hi:[0,1]
	v_pk_add_f32 v[76:77], v[76:77], v[82:83]
	v_mov_b32_e32 v78, v139
	v_pk_fma_f32 v[84:85], v[150:151], v[134:135], v[84:85] neg_lo:[0,0,1] neg_hi:[0,0,1]
	v_mov_b32_e32 v85, v79
	v_pk_fma_f32 v[82:83], v[152:153], v[136:137], v[80:81] op_sel_hi:[1,0,1]
	v_pk_add_f32 v[76:77], v[76:77], v[86:87]
	v_pk_mul_f32 v[78:79], v[212:213], v[78:79] op_sel_hi:[1,0]
	v_pk_fma_f32 v[80:81], v[152:153], v[136:137], v[80:81] neg_lo:[0,0,1] neg_hi:[0,0,1]
	s_delay_alu instid0(VALU_DEP_4) | instskip(NEXT) | instid1(VALU_DEP_4)
	v_mov_b32_e32 v81, v83
	v_pk_add_f32 v[76:77], v[76:77], v[84:85]
	s_delay_alu instid0(VALU_DEP_4) | instskip(SKIP_1) | instid1(VALU_DEP_2)
	v_pk_fma_f32 v[82:83], v[154:155], v[138:139], v[78:79] op_sel_hi:[1,0,1]
	v_pk_fma_f32 v[78:79], v[154:155], v[138:139], v[78:79] neg_lo:[0,0,1] neg_hi:[0,0,1]
	v_mov_b32_e32 v79, v83
	s_delay_alu instid0(VALU_DEP_4) | instskip(NEXT) | instid1(VALU_DEP_1)
	v_pk_add_f32 v[76:77], v[76:77], v[80:81]
	v_pk_add_f32 v[76:77], v[76:77], v[78:79]
	s_wait_loadcnt 0x0
	s_delay_alu instid0(VALU_DEP_1)
	v_pk_add_f32 v[76:77], v[204:205], v[76:77] neg_lo:[0,1] neg_hi:[0,1]
	scratch_store_b64 off, v[76:77], off offset:32
	s_wait_xcnt 0x0
	v_cmpx_lt_u32_e32 3, v0
	s_cbranch_execz .LBB100_229
; %bb.228:
	scratch_load_b64 v[76:77], off, off offset:24
	v_mov_b64_e32 v[78:79], 0
	scratch_store_b64 off, v[78:79], off offset:24
	s_wait_loadcnt 0x0
	ds_store_b64 v1, v[76:77]
.LBB100_229:
	s_wait_xcnt 0x0
	s_or_b32 exec_lo, exec_lo, s0
	s_wait_storecnt_dscnt 0x0
	s_barrier_signal -1
	s_barrier_wait -1
	s_clause 0x11
	scratch_load_b128 v[76:79], off, off offset:32
	scratch_load_b128 v[80:83], off, off offset:48
	;; [unrolled: 1-line block ×16, first 2 shown]
	scratch_load_b64 v[204:205], off, off offset:288
	scratch_load_b64 v[206:207], off, off offset:24
	v_mov_b32_e32 v7, 0
	ds_load_b128 v[140:143], v7 offset:528
	ds_load_b128 v[144:147], v7 offset:544
	;; [unrolled: 1-line block ×16, first 2 shown]
	ds_load_b64 v[208:209], v7 offset:592
	s_mov_b32 s0, exec_lo
	s_wait_dscnt 0x10
	v_dual_mov_b32 v210, v143 :: v_dual_mov_b32 v211, v142
	s_wait_dscnt 0xd
	v_dual_mov_b32 v212, v147 :: v_dual_mov_b32 v217, v154
	v_dual_mov_b32 v213, v146 :: v_dual_mov_b32 v214, v151
	;; [unrolled: 1-line block ×3, first 2 shown]
	s_wait_loadcnt_dscnt 0x110c
	v_dual_mul_f32 v9, v156, v77 :: v_dual_mul_f32 v55, v157, v77
	v_dual_mul_f32 v57, v159, v79 :: v_dual_mul_f32 v11, v158, v79
	s_wait_loadcnt_dscnt 0x100b
	v_mul_f32_e32 v13, v160, v81
	s_wait_loadcnt_dscnt 0xe09
	v_dual_mul_f32 v67, v169, v89 :: v_dual_fma_f32 v55, v156, v76, -v55
	v_dual_fmac_f32 v9, v157, v76 :: v_dual_mul_f32 v69, v171, v91
	v_dual_mul_f32 v59, v161, v81 :: v_dual_mul_f32 v61, v163, v83
	v_dual_fmac_f32 v11, v159, v78 :: v_dual_fma_f32 v57, v158, v78, -v57
	s_delay_alu instid0(VALU_DEP_3) | instskip(SKIP_4) | instid1(VALU_DEP_3)
	v_dual_add_f32 v9, 0, v9 :: v_dual_add_f32 v55, 0, v55
	v_dual_mul_f32 v15, v162, v83 :: v_dual_mul_f32 v17, v164, v85
	s_wait_loadcnt_dscnt 0xd08
	v_dual_mul_f32 v71, v173, v93 :: v_dual_fma_f32 v59, v160, v80, -v59
	v_fmac_f32_e32 v13, v161, v80
	v_dual_add_f32 v9, v9, v11 :: v_dual_fmac_f32 v15, v163, v82
	v_add_f32_e32 v11, v55, v57
	v_dual_mul_f32 v63, v165, v85 :: v_dual_mul_f32 v65, v167, v87
	v_dual_mul_f32 v55, v175, v95 :: v_dual_fma_f32 v57, v162, v82, -v61
	s_delay_alu instid0(VALU_DEP_3) | instskip(SKIP_3) | instid1(VALU_DEP_3)
	v_dual_add_f32 v9, v9, v13 :: v_dual_add_f32 v11, v11, v59
	v_dual_mul_f32 v19, v166, v87 :: v_dual_mul_f32 v21, v168, v89
	s_wait_loadcnt_dscnt 0xc07
	v_dual_mul_f32 v13, v177, v97 :: v_dual_fma_f32 v59, v164, v84, -v63
	v_dual_fmac_f32 v17, v165, v84 :: v_dual_add_f32 v11, v11, v57
	s_delay_alu instid0(VALU_DEP_3) | instskip(SKIP_1) | instid1(VALU_DEP_2)
	v_dual_add_f32 v9, v9, v15 :: v_dual_fmac_f32 v19, v167, v86
	v_dual_mul_f32 v15, v179, v99 :: v_dual_fma_f32 v57, v166, v86, -v65
	v_dual_add_f32 v11, v11, v59 :: v_dual_add_f32 v9, v9, v17
	v_dual_mul_f32 v23, v170, v91 :: v_dual_mul_f32 v25, v172, v93
	s_wait_loadcnt_dscnt 0xb06
	v_dual_mul_f32 v17, v181, v101 :: v_dual_fma_f32 v59, v168, v88, -v67
	s_delay_alu instid0(VALU_DEP_3) | instskip(NEXT) | instid1(VALU_DEP_3)
	v_dual_fmac_f32 v21, v169, v88 :: v_dual_add_f32 v11, v11, v57
	v_dual_add_f32 v9, v9, v19 :: v_dual_fmac_f32 v23, v171, v90
	v_dual_mul_f32 v19, v183, v103 :: v_dual_fma_f32 v57, v170, v90, -v69
	s_delay_alu instid0(VALU_DEP_2) | instskip(SKIP_3) | instid1(VALU_DEP_3)
	v_dual_add_f32 v11, v11, v59 :: v_dual_add_f32 v9, v9, v21
	v_dual_mul_f32 v27, v174, v95 :: v_dual_mul_f32 v29, v176, v97
	s_wait_loadcnt_dscnt 0xa05
	v_dual_mul_f32 v21, v185, v105 :: v_dual_fma_f32 v59, v172, v92, -v71
	v_dual_fmac_f32 v25, v173, v92 :: v_dual_add_f32 v11, v11, v57
	s_delay_alu instid0(VALU_DEP_3) | instskip(SKIP_1) | instid1(VALU_DEP_2)
	v_dual_add_f32 v9, v9, v23 :: v_dual_fmac_f32 v27, v175, v94
	v_dual_mul_f32 v23, v187, v107 :: v_dual_fma_f32 v55, v174, v94, -v55
	v_dual_add_f32 v11, v11, v59 :: v_dual_add_f32 v9, v9, v25
	v_dual_mul_f32 v31, v178, v99 :: v_dual_mul_f32 v33, v180, v101
	s_wait_loadcnt_dscnt 0x904
	v_dual_mul_f32 v25, v189, v109 :: v_dual_fma_f32 v13, v176, v96, -v13
	s_delay_alu instid0(VALU_DEP_3) | instskip(NEXT) | instid1(VALU_DEP_3)
	v_dual_fmac_f32 v29, v177, v96 :: v_dual_add_f32 v11, v11, v55
	v_dual_add_f32 v9, v9, v27 :: v_dual_fmac_f32 v31, v179, v98
	v_dual_mul_f32 v27, v191, v111 :: v_dual_fma_f32 v15, v178, v98, -v15
	s_delay_alu instid0(VALU_DEP_3) | instskip(NEXT) | instid1(VALU_DEP_3)
	v_dual_add_f32 v11, v11, v13 :: v_dual_fmac_f32 v33, v181, v100
	v_dual_add_f32 v9, v9, v29 :: v_dual_fma_f32 v17, v180, v100, -v17
	v_dual_mul_f32 v35, v182, v103 :: v_dual_mul_f32 v37, v184, v105
	s_wait_loadcnt_dscnt 0x803
	s_delay_alu instid0(VALU_DEP_3) | instskip(NEXT) | instid1(VALU_DEP_2)
	v_dual_mul_f32 v13, v193, v113 :: v_dual_add_f32 v11, v11, v15
	v_dual_add_f32 v9, v9, v31 :: v_dual_fmac_f32 v35, v183, v102
	v_dual_mul_f32 v15, v195, v115 :: v_dual_fma_f32 v19, v182, v102, -v19
	s_delay_alu instid0(VALU_DEP_3) | instskip(NEXT) | instid1(VALU_DEP_3)
	v_dual_add_f32 v11, v11, v17 :: v_dual_fmac_f32 v37, v185, v104
	v_dual_add_f32 v9, v9, v33 :: v_dual_fma_f32 v21, v184, v104, -v21
	v_dual_mul_f32 v39, v186, v107 :: v_dual_mul_f32 v41, v188, v109
	s_wait_loadcnt_dscnt 0x702
	s_delay_alu instid0(VALU_DEP_3) | instskip(NEXT) | instid1(VALU_DEP_2)
	v_dual_mul_f32 v17, v197, v117 :: v_dual_add_f32 v11, v11, v19
	;; [unrolled: 9-line block ×3, first 2 shown]
	v_dual_add_f32 v9, v9, v39 :: v_dual_fmac_f32 v43, v191, v110
	v_dual_mul_f32 v23, v203, v123 :: v_dual_fma_f32 v27, v190, v110, -v27
	s_delay_alu instid0(VALU_DEP_3) | instskip(NEXT) | instid1(VALU_DEP_3)
	v_dual_add_f32 v11, v11, v25 :: v_dual_fmac_f32 v45, v193, v112
	v_dual_add_f32 v9, v9, v41 :: v_dual_fma_f32 v13, v192, v112, -v13
	v_dual_mul_f32 v47, v194, v115 :: v_dual_mul_f32 v49, v196, v117
	s_wait_loadcnt 0x5
	s_delay_alu instid0(VALU_DEP_3) | instskip(NEXT) | instid1(VALU_DEP_3)
	v_dual_mul_f32 v25, v141, v125 :: v_dual_add_f32 v11, v11, v27
	v_dual_add_f32 v9, v9, v43 :: v_dual_mov_b32 v76, v127
	s_delay_alu instid0(VALU_DEP_3) | instskip(NEXT) | instid1(VALU_DEP_3)
	v_fmac_f32_e32 v47, v195, v114
	v_dual_fma_f32 v15, v194, v114, -v15 :: v_dual_add_f32 v11, v11, v13
	s_delay_alu instid0(VALU_DEP_3) | instskip(SKIP_1) | instid1(VALU_DEP_3)
	v_dual_add_f32 v9, v9, v45 :: v_dual_mul_f32 v51, v198, v119
	v_dual_mul_f32 v53, v200, v121 :: v_dual_fmac_f32 v49, v197, v116
	v_dual_add_f32 v11, v11, v15 :: v_dual_fma_f32 v13, v196, v116, -v17
	s_wait_loadcnt 0x4
	s_delay_alu instid0(VALU_DEP_3) | instskip(SKIP_3) | instid1(VALU_DEP_4)
	v_dual_add_f32 v9, v9, v47 :: v_dual_mov_b32 v80, v131
	v_fma_f32 v15, v198, v118, -v19
	v_fmac_f32_e32 v51, v199, v118
	v_dual_add_f32 v11, v11, v13 :: v_dual_fmac_f32 v53, v201, v120
	v_dual_add_f32 v9, v9, v49 :: v_dual_mul_f32 v219, v202, v123
	v_mul_f32_e32 v221, v140, v125
	s_delay_alu instid0(VALU_DEP_3) | instskip(NEXT) | instid1(VALU_DEP_3)
	v_dual_fma_f32 v13, v200, v120, -v21 :: v_dual_add_f32 v11, v11, v15
	v_dual_fma_f32 v218, v202, v122, -v23 :: v_dual_add_f32 v9, v9, v51
	s_delay_alu instid0(VALU_DEP_4) | instskip(SKIP_1) | instid1(VALU_DEP_4)
	v_fmac_f32_e32 v219, v203, v122
	v_pk_mul_f32 v[76:77], v[210:211], v[76:77] op_sel_hi:[1,0]
	v_dual_add_f32 v84, v11, v13 :: v_dual_fmac_f32 v221, v141, v124
	s_delay_alu instid0(VALU_DEP_4)
	v_add_f32_e32 v85, v9, v53
	v_pk_mul_f32 v[78:79], v[144:145], v[128:129] op_sel:[1,1] op_sel_hi:[0,1]
	s_wait_loadcnt 0x3
	v_dual_mov_b32 v86, v135 :: v_dual_fma_f32 v220, v140, v124, -v25
	v_pk_fma_f32 v[88:89], v[142:143], v[126:127], v[76:77] op_sel_hi:[1,0,1]
	v_pk_add_f32 v[84:85], v[84:85], v[218:219]
	v_pk_fma_f32 v[76:77], v[142:143], v[126:127], v[76:77] neg_lo:[0,0,1] neg_hi:[0,0,1]
	v_pk_fma_f32 v[90:91], v[144:145], v[128:129], v[78:79] op_sel_hi:[1,0,1]
	v_pk_mul_f32 v[80:81], v[212:213], v[80:81] op_sel_hi:[1,0]
	v_mov_b32_e32 v77, v89
	v_pk_add_f32 v[84:85], v[84:85], v[220:221]
	v_pk_fma_f32 v[78:79], v[144:145], v[128:129], v[78:79] neg_lo:[0,0,1] neg_hi:[0,0,1]
	v_pk_mul_f32 v[82:83], v[148:149], v[132:133] op_sel:[1,1] op_sel_hi:[0,1]
	v_mov_b32_e32 v79, v91
	v_pk_fma_f32 v[90:91], v[146:147], v[130:131], v[80:81] op_sel_hi:[1,0,1]
	v_pk_add_f32 v[76:77], v[84:85], v[76:77]
	v_pk_fma_f32 v[80:81], v[146:147], v[130:131], v[80:81] neg_lo:[0,0,1] neg_hi:[0,0,1]
	v_pk_fma_f32 v[84:85], v[148:149], v[132:133], v[82:83] op_sel_hi:[1,0,1]
	v_pk_mul_f32 v[86:87], v[214:215], v[86:87] op_sel_hi:[1,0]
	v_mov_b32_e32 v81, v91
	v_pk_add_f32 v[76:77], v[76:77], v[78:79]
	v_pk_fma_f32 v[82:83], v[148:149], v[132:133], v[82:83] neg_lo:[0,0,1] neg_hi:[0,0,1]
	s_wait_loadcnt 0x2
	v_pk_mul_f32 v[88:89], v[152:153], v[136:137] op_sel:[1,1] op_sel_hi:[0,1]
	v_dual_mov_b32 v78, v139 :: v_dual_mov_b32 v83, v85
	v_pk_fma_f32 v[84:85], v[150:151], v[134:135], v[86:87] op_sel_hi:[1,0,1]
	v_pk_add_f32 v[76:77], v[76:77], v[80:81]
	v_pk_fma_f32 v[86:87], v[150:151], v[134:135], v[86:87] neg_lo:[0,0,1] neg_hi:[0,0,1]
	v_pk_fma_f32 v[80:81], v[152:153], v[136:137], v[88:89] op_sel_hi:[1,0,1]
	v_pk_mul_f32 v[78:79], v[216:217], v[78:79] op_sel_hi:[1,0]
	v_mov_b32_e32 v87, v85
	v_pk_add_f32 v[76:77], v[76:77], v[82:83]
	v_pk_fma_f32 v[82:83], v[152:153], v[136:137], v[88:89] neg_lo:[0,0,1] neg_hi:[0,0,1]
	v_mov_b32_e32 v83, v81
	v_pk_fma_f32 v[80:81], v[154:155], v[138:139], v[78:79] op_sel_hi:[1,0,1]
	s_wait_loadcnt_dscnt 0x100
	v_pk_mul_f32 v[84:85], v[208:209], v[204:205] op_sel:[1,1] op_sel_hi:[0,1]
	v_pk_add_f32 v[76:77], v[76:77], v[86:87]
	v_pk_fma_f32 v[78:79], v[154:155], v[138:139], v[78:79] neg_lo:[0,0,1] neg_hi:[0,0,1]
	v_mov_b32_e32 v79, v81
	s_delay_alu instid0(VALU_DEP_4) | instskip(NEXT) | instid1(VALU_DEP_4)
	v_pk_fma_f32 v[80:81], v[208:209], v[204:205], v[84:85] op_sel_hi:[1,0,1]
	v_pk_add_f32 v[76:77], v[76:77], v[82:83]
	v_pk_fma_f32 v[82:83], v[208:209], v[204:205], v[84:85] neg_lo:[0,0,1] neg_hi:[0,0,1]
	s_delay_alu instid0(VALU_DEP_3) | instskip(NEXT) | instid1(VALU_DEP_3)
	v_mov_b32_e32 v83, v81
	v_pk_add_f32 v[76:77], v[76:77], v[78:79]
	s_delay_alu instid0(VALU_DEP_1) | instskip(SKIP_1) | instid1(VALU_DEP_1)
	v_pk_add_f32 v[76:77], v[76:77], v[82:83]
	s_wait_loadcnt 0x0
	v_pk_add_f32 v[76:77], v[206:207], v[76:77] neg_lo:[0,1] neg_hi:[0,1]
	scratch_store_b64 off, v[76:77], off offset:24
	s_wait_xcnt 0x0
	v_cmpx_lt_u32_e32 2, v0
	s_cbranch_execz .LBB100_231
; %bb.230:
	scratch_load_b64 v[76:77], off, off offset:16
	v_mov_b64_e32 v[78:79], 0
	scratch_store_b64 off, v[78:79], off offset:16
	s_wait_loadcnt 0x0
	ds_store_b64 v1, v[76:77]
.LBB100_231:
	s_wait_xcnt 0x0
	s_or_b32 exec_lo, exec_lo, s0
	s_wait_storecnt_dscnt 0x0
	s_barrier_signal -1
	s_barrier_wait -1
	s_clause 0x11
	scratch_load_b128 v[76:79], off, off offset:24
	scratch_load_b128 v[80:83], off, off offset:40
	;; [unrolled: 1-line block ×17, first 2 shown]
	scratch_load_b64 v[212:213], off, off offset:16
	ds_load_2addr_b64 v[144:147], v7 offset0:67 offset1:68
	ds_load_2addr_b64 v[148:151], v7 offset0:69 offset1:70
	;; [unrolled: 1-line block ×17, first 2 shown]
	s_mov_b32 s0, exec_lo
	s_wait_dscnt 0x10
	v_dual_mov_b32 v214, v147 :: v_dual_mov_b32 v215, v146
	s_wait_dscnt 0xf
	v_dual_mov_b32 v216, v151 :: v_dual_mov_b32 v217, v150
	;; [unrolled: 2-line block ×4, first 2 shown]
	s_wait_loadcnt_dscnt 0x110b
	v_dual_mul_f32 v7, v164, v77 :: v_dual_mul_f32 v9, v166, v79
	v_dual_mul_f32 v55, v165, v77 :: v_dual_mul_f32 v57, v167, v79
	s_wait_loadcnt_dscnt 0x100a
	v_dual_mul_f32 v11, v168, v81 :: v_dual_mul_f32 v13, v170, v83
	s_delay_alu instid0(VALU_DEP_3) | instskip(SKIP_3) | instid1(VALU_DEP_3)
	v_dual_fmac_f32 v7, v165, v76 :: v_dual_fmac_f32 v9, v167, v78
	s_wait_loadcnt_dscnt 0xe08
	v_dual_fma_f32 v55, v164, v76, -v55 :: v_dual_mul_f32 v67, v177, v89
	v_dual_mul_f32 v59, v169, v81 :: v_dual_mul_f32 v61, v171, v83
	v_dual_fma_f32 v57, v166, v78, -v57 :: v_dual_add_f32 v7, 0, v7
	s_delay_alu instid0(VALU_DEP_3) | instskip(SKIP_1) | instid1(VALU_DEP_4)
	v_dual_add_f32 v55, 0, v55 :: v_dual_fmac_f32 v11, v169, v80
	v_dual_mul_f32 v15, v172, v85 :: v_dual_mul_f32 v17, v174, v87
	v_dual_mul_f32 v69, v179, v91 :: v_dual_fma_f32 v59, v168, v80, -v59
	s_delay_alu instid0(VALU_DEP_4) | instskip(NEXT) | instid1(VALU_DEP_3)
	v_add_f32_e32 v7, v7, v9
	v_dual_add_f32 v9, v55, v57 :: v_dual_fmac_f32 v15, v173, v84
	v_dual_mul_f32 v63, v173, v85 :: v_dual_mul_f32 v65, v175, v87
	s_wait_loadcnt_dscnt 0xd07
	v_dual_mul_f32 v55, v181, v93 :: v_dual_fmac_f32 v13, v171, v82
	v_dual_fma_f32 v57, v170, v82, -v61 :: v_dual_add_f32 v7, v7, v11
	s_delay_alu instid0(VALU_DEP_3) | instskip(SKIP_1) | instid1(VALU_DEP_3)
	v_dual_add_f32 v9, v9, v59 :: v_dual_fma_f32 v59, v172, v84, -v63
	v_dual_mul_f32 v19, v176, v89 :: v_dual_mul_f32 v21, v178, v91
	v_add_f32_e32 v7, v7, v13
	s_delay_alu instid0(VALU_DEP_3) | instskip(SKIP_2) | instid1(VALU_DEP_3)
	v_dual_mul_f32 v11, v183, v95 :: v_dual_add_f32 v9, v9, v57
	s_wait_loadcnt_dscnt 0xc06
	v_dual_mul_f32 v13, v185, v97 :: v_dual_fmac_f32 v17, v175, v86
	v_dual_fma_f32 v57, v174, v86, -v65 :: v_dual_add_f32 v7, v7, v15
	s_delay_alu instid0(VALU_DEP_3) | instskip(SKIP_1) | instid1(VALU_DEP_3)
	v_dual_add_f32 v9, v9, v59 :: v_dual_fma_f32 v59, v176, v88, -v67
	v_dual_mul_f32 v15, v187, v99 :: v_dual_fmac_f32 v19, v177, v88
	v_add_f32_e32 v7, v7, v17
	s_delay_alu instid0(VALU_DEP_3)
	v_dual_add_f32 v9, v9, v57 :: v_dual_fmac_f32 v21, v179, v90
	v_dual_mul_f32 v23, v180, v93 :: v_dual_mul_f32 v25, v182, v95
	s_wait_loadcnt_dscnt 0xb05
	v_dual_fma_f32 v57, v178, v90, -v69 :: v_dual_mul_f32 v17, v189, v101
	v_add_f32_e32 v7, v7, v19
	v_dual_add_f32 v9, v9, v59 :: v_dual_fma_f32 v55, v180, v92, -v55
	v_dual_mul_f32 v19, v191, v103 :: v_dual_fmac_f32 v23, v181, v92
	s_delay_alu instid0(VALU_DEP_3) | instskip(NEXT) | instid1(VALU_DEP_3)
	v_dual_add_f32 v7, v7, v21 :: v_dual_fma_f32 v11, v182, v94, -v11
	v_dual_add_f32 v9, v9, v57 :: v_dual_fmac_f32 v25, v183, v94
	v_dual_mul_f32 v27, v184, v97 :: v_dual_mul_f32 v29, v186, v99
	s_wait_loadcnt_dscnt 0xa04
	s_delay_alu instid0(VALU_DEP_3) | instskip(NEXT) | instid1(VALU_DEP_3)
	v_dual_mul_f32 v21, v193, v105 :: v_dual_add_f32 v7, v7, v23
	v_dual_add_f32 v9, v9, v55 :: v_dual_fma_f32 v13, v184, v96, -v13
	s_delay_alu instid0(VALU_DEP_3) | instskip(NEXT) | instid1(VALU_DEP_2)
	v_dual_mul_f32 v23, v195, v107 :: v_dual_fmac_f32 v27, v185, v96
	v_dual_add_f32 v7, v7, v25 :: v_dual_add_f32 v9, v9, v11
	v_dual_mul_f32 v31, v188, v101 :: v_dual_mul_f32 v33, v190, v103
	s_wait_loadcnt_dscnt 0x903
	v_dual_mul_f32 v11, v197, v109 :: v_dual_fmac_f32 v29, v187, v98
	s_delay_alu instid0(VALU_DEP_3) | instskip(SKIP_2) | instid1(VALU_DEP_2)
	v_dual_fma_f32 v15, v186, v98, -v15 :: v_dual_add_f32 v7, v7, v27
	v_dual_add_f32 v9, v9, v13 :: v_dual_mul_f32 v13, v199, v111
	v_dual_fmac_f32 v31, v189, v100 :: v_dual_fma_f32 v17, v188, v100, -v17
	v_dual_add_f32 v7, v7, v29 :: v_dual_add_f32 v9, v9, v15
	v_dual_mul_f32 v35, v192, v105 :: v_dual_mul_f32 v37, v194, v107
	s_wait_loadcnt_dscnt 0x802
	v_dual_mul_f32 v15, v201, v113 :: v_dual_fmac_f32 v33, v191, v102
	s_delay_alu instid0(VALU_DEP_3) | instskip(SKIP_2) | instid1(VALU_DEP_2)
	v_dual_fma_f32 v19, v190, v102, -v19 :: v_dual_add_f32 v7, v7, v31
	v_dual_add_f32 v9, v9, v17 :: v_dual_mul_f32 v17, v203, v115
	v_dual_fmac_f32 v35, v193, v104 :: v_dual_fma_f32 v21, v192, v104, -v21
	v_dual_add_f32 v7, v7, v33 :: v_dual_add_f32 v9, v9, v19
	v_dual_mul_f32 v39, v196, v109 :: v_dual_mul_f32 v41, v198, v111
	s_wait_loadcnt_dscnt 0x701
	v_dual_mul_f32 v19, v205, v117 :: v_dual_fmac_f32 v37, v195, v106
	s_delay_alu instid0(VALU_DEP_3) | instskip(SKIP_2) | instid1(VALU_DEP_3)
	v_dual_fma_f32 v23, v194, v106, -v23 :: v_dual_add_f32 v7, v7, v35
	v_dual_add_f32 v9, v9, v21 :: v_dual_mul_f32 v21, v207, v119
	v_fmac_f32_e32 v39, v197, v108
	v_dual_fma_f32 v11, v196, v108, -v11 :: v_dual_add_f32 v7, v7, v37
	s_delay_alu instid0(VALU_DEP_3)
	v_dual_add_f32 v9, v9, v23 :: v_dual_mul_f32 v43, v200, v113
	s_wait_loadcnt_dscnt 0x600
	v_dual_mul_f32 v45, v202, v115 :: v_dual_mul_f32 v23, v209, v121
	v_fmac_f32_e32 v41, v199, v110
	v_dual_fma_f32 v13, v198, v110, -v13 :: v_dual_add_f32 v7, v7, v39
	v_dual_add_f32 v9, v9, v11 :: v_dual_fma_f32 v15, v200, v112, -v15
	v_dual_mul_f32 v11, v211, v123 :: v_dual_fmac_f32 v43, v201, v112
	s_delay_alu instid0(VALU_DEP_3) | instskip(NEXT) | instid1(VALU_DEP_3)
	v_dual_add_f32 v7, v7, v41 :: v_dual_fma_f32 v17, v202, v114, -v17
	v_dual_add_f32 v9, v9, v13 :: v_dual_fmac_f32 v45, v203, v114
	v_dual_mul_f32 v47, v204, v117 :: v_dual_mul_f32 v49, v206, v119
	s_wait_loadcnt 0x5
	s_delay_alu instid0(VALU_DEP_3) | instskip(NEXT) | instid1(VALU_DEP_3)
	v_dual_mul_f32 v13, v161, v125 :: v_dual_add_f32 v7, v7, v43
	v_dual_add_f32 v9, v9, v15 :: v_dual_fma_f32 v19, v204, v116, -v19
	s_delay_alu instid0(VALU_DEP_3) | instskip(NEXT) | instid1(VALU_DEP_3)
	v_dual_mul_f32 v15, v163, v127 :: v_dual_fmac_f32 v47, v205, v116
	v_add_f32_e32 v7, v7, v45
	s_delay_alu instid0(VALU_DEP_3) | instskip(SKIP_1) | instid1(VALU_DEP_3)
	v_dual_add_f32 v9, v9, v17 :: v_dual_fmac_f32 v49, v207, v118
	v_dual_mul_f32 v51, v208, v121 :: v_dual_mul_f32 v53, v210, v123
	v_dual_fma_f32 v17, v206, v118, -v21 :: v_dual_add_f32 v7, v7, v47
	s_wait_loadcnt 0x4
	s_delay_alu instid0(VALU_DEP_3) | instskip(NEXT) | instid1(VALU_DEP_3)
	v_dual_add_f32 v9, v9, v19 :: v_dual_mov_b32 v78, v131
	v_fmac_f32_e32 v51, v209, v120
	s_delay_alu instid0(VALU_DEP_3) | instskip(NEXT) | instid1(VALU_DEP_3)
	v_dual_fma_f32 v19, v208, v120, -v23 :: v_dual_add_f32 v7, v7, v49
	v_dual_add_f32 v9, v9, v17 :: v_dual_fmac_f32 v53, v211, v122
	v_dual_mul_f32 v223, v160, v125 :: v_dual_mul_f32 v225, v162, v127
	s_delay_alu instid0(VALU_DEP_3) | instskip(SKIP_1) | instid1(VALU_DEP_3)
	v_dual_fma_f32 v11, v210, v122, -v11 :: v_dual_add_f32 v7, v7, v51
	s_wait_loadcnt 0x3
	v_dual_add_f32 v9, v9, v19 :: v_dual_mov_b32 v82, v135
	v_pk_mul_f32 v[76:77], v[144:145], v[128:129] op_sel:[1,1] op_sel_hi:[0,1]
	v_dual_fmac_f32 v223, v161, v124 :: v_dual_fma_f32 v222, v160, v124, -v13
	s_delay_alu instid0(VALU_DEP_3) | instskip(SKIP_1) | instid1(VALU_DEP_4)
	v_dual_add_f32 v85, v7, v53 :: v_dual_add_f32 v84, v9, v11
	v_dual_fmac_f32 v225, v163, v126 :: v_dual_fma_f32 v224, v162, v126, -v15
	v_pk_fma_f32 v[86:87], v[144:145], v[128:129], v[76:77] op_sel_hi:[1,0,1]
	v_pk_mul_f32 v[78:79], v[214:215], v[78:79] op_sel_hi:[1,0]
	s_delay_alu instid0(VALU_DEP_4)
	v_pk_add_f32 v[84:85], v[84:85], v[222:223]
	v_pk_fma_f32 v[76:77], v[144:145], v[128:129], v[76:77] neg_lo:[0,0,1] neg_hi:[0,0,1]
	v_pk_mul_f32 v[80:81], v[148:149], v[132:133] op_sel:[1,1] op_sel_hi:[0,1]
	v_mov_b32_e32 v77, v87
	v_pk_fma_f32 v[86:87], v[146:147], v[130:131], v[78:79] op_sel_hi:[1,0,1]
	v_pk_add_f32 v[84:85], v[84:85], v[224:225]
	v_pk_fma_f32 v[78:79], v[146:147], v[130:131], v[78:79] neg_lo:[0,0,1] neg_hi:[0,0,1]
	v_pk_fma_f32 v[90:91], v[148:149], v[132:133], v[80:81] op_sel_hi:[1,0,1]
	v_pk_mul_f32 v[82:83], v[216:217], v[82:83] op_sel_hi:[1,0]
	v_mov_b32_e32 v79, v87
	v_pk_add_f32 v[76:77], v[84:85], v[76:77]
	s_wait_loadcnt 0x2
	v_pk_mul_f32 v[88:89], v[152:153], v[136:137] op_sel:[1,1] op_sel_hi:[0,1]
	v_mov_b32_e32 v84, v139
	v_pk_fma_f32 v[80:81], v[148:149], v[132:133], v[80:81] neg_lo:[0,0,1] neg_hi:[0,0,1]
	v_mov_b32_e32 v81, v91
	v_pk_fma_f32 v[86:87], v[150:151], v[134:135], v[82:83] op_sel_hi:[1,0,1]
	v_pk_add_f32 v[76:77], v[76:77], v[78:79]
	v_pk_fma_f32 v[78:79], v[152:153], v[136:137], v[88:89] op_sel_hi:[1,0,1]
	v_pk_mul_f32 v[84:85], v[218:219], v[84:85] op_sel_hi:[1,0]
	v_pk_fma_f32 v[82:83], v[150:151], v[134:135], v[82:83] neg_lo:[0,0,1] neg_hi:[0,0,1]
	v_mov_b32_e32 v83, v87
	v_pk_add_f32 v[76:77], v[76:77], v[80:81]
	v_pk_fma_f32 v[86:87], v[152:153], v[136:137], v[88:89] neg_lo:[0,0,1] neg_hi:[0,0,1]
	v_mov_b32_e32 v87, v79
	v_pk_fma_f32 v[78:79], v[154:155], v[138:139], v[84:85] op_sel_hi:[1,0,1]
	s_wait_loadcnt 0x1
	v_pk_mul_f32 v[80:81], v[156:157], v[140:141] op_sel:[1,1] op_sel_hi:[0,1]
	v_pk_add_f32 v[76:77], v[76:77], v[82:83]
	v_mov_b32_e32 v78, v143
	v_pk_fma_f32 v[84:85], v[154:155], v[138:139], v[84:85] neg_lo:[0,0,1] neg_hi:[0,0,1]
	v_mov_b32_e32 v85, v79
	v_pk_fma_f32 v[82:83], v[156:157], v[140:141], v[80:81] op_sel_hi:[1,0,1]
	v_pk_add_f32 v[76:77], v[76:77], v[86:87]
	v_pk_mul_f32 v[78:79], v[220:221], v[78:79] op_sel_hi:[1,0]
	v_pk_fma_f32 v[80:81], v[156:157], v[140:141], v[80:81] neg_lo:[0,0,1] neg_hi:[0,0,1]
	s_delay_alu instid0(VALU_DEP_4) | instskip(NEXT) | instid1(VALU_DEP_4)
	v_mov_b32_e32 v81, v83
	v_pk_add_f32 v[76:77], v[76:77], v[84:85]
	s_delay_alu instid0(VALU_DEP_4) | instskip(SKIP_1) | instid1(VALU_DEP_2)
	v_pk_fma_f32 v[82:83], v[158:159], v[142:143], v[78:79] op_sel_hi:[1,0,1]
	v_pk_fma_f32 v[78:79], v[158:159], v[142:143], v[78:79] neg_lo:[0,0,1] neg_hi:[0,0,1]
	v_mov_b32_e32 v79, v83
	s_delay_alu instid0(VALU_DEP_4) | instskip(NEXT) | instid1(VALU_DEP_1)
	v_pk_add_f32 v[76:77], v[76:77], v[80:81]
	v_pk_add_f32 v[76:77], v[76:77], v[78:79]
	s_wait_loadcnt 0x0
	s_delay_alu instid0(VALU_DEP_1)
	v_pk_add_f32 v[76:77], v[212:213], v[76:77] neg_lo:[0,1] neg_hi:[0,1]
	scratch_store_b64 off, v[76:77], off offset:16
	s_wait_xcnt 0x0
	v_cmpx_lt_u32_e32 1, v0
	s_cbranch_execz .LBB100_233
; %bb.232:
	scratch_load_b64 v[76:77], off, off offset:8
	v_mov_b64_e32 v[78:79], 0
	scratch_store_b64 off, v[78:79], off offset:8
	s_wait_loadcnt 0x0
	ds_store_b64 v1, v[76:77]
.LBB100_233:
	s_wait_xcnt 0x0
	s_or_b32 exec_lo, exec_lo, s0
	s_wait_storecnt_dscnt 0x0
	s_barrier_signal -1
	s_barrier_wait -1
	s_clause 0x12
	scratch_load_b128 v[78:81], off, off offset:16
	scratch_load_b128 v[82:85], off, off offset:32
	;; [unrolled: 1-line block ×17, first 2 shown]
	scratch_load_b64 v[214:215], off, off offset:288
	scratch_load_b64 v[216:217], off, off offset:8
	v_dual_mov_b32 v76, 0 :: v_dual_ashrrev_i32 v39, 31, v38
	ds_load_b128 v[146:149], v76 offset:512
	ds_load_b128 v[150:153], v76 offset:528
	;; [unrolled: 1-line block ×17, first 2 shown]
	ds_load_b64 v[218:219], v76 offset:592
	v_dual_ashrrev_i32 v7, 31, v6 :: v_dual_ashrrev_i32 v9, 31, v8
	v_dual_ashrrev_i32 v11, 31, v10 :: v_dual_ashrrev_i32 v13, 31, v12
	;; [unrolled: 1-line block ×3, first 2 shown]
	s_wait_dscnt 0xd
	v_dual_mov_b32 v226, v165 :: v_dual_mov_b32 v227, v164
	v_dual_ashrrev_i32 v19, 31, v18 :: v_dual_ashrrev_i32 v21, 31, v20
	v_dual_ashrrev_i32 v23, 31, v22 :: v_dual_ashrrev_i32 v25, 31, v24
	v_dual_ashrrev_i32 v27, 31, v26 :: v_dual_ashrrev_i32 v29, 31, v28
	v_dual_ashrrev_i32 v31, 31, v30 :: v_dual_ashrrev_i32 v33, 31, v32
	v_dual_mov_b32 v220, v153 :: v_dual_mov_b32 v221, v152
	v_dual_mov_b32 v222, v157 :: v_dual_mov_b32 v223, v156
	v_dual_mov_b32 v224, v161 :: v_dual_mov_b32 v225, v160
	v_dual_ashrrev_i32 v35, 31, v34 :: v_dual_ashrrev_i32 v37, 31, v36
	v_dual_ashrrev_i32 v41, 31, v40 :: v_dual_ashrrev_i32 v43, 31, v42
	v_dual_ashrrev_i32 v45, 31, v44 :: v_dual_ashrrev_i32 v47, 31, v46
	v_dual_ashrrev_i32 v49, 31, v48 :: v_dual_ashrrev_i32 v51, 31, v50
	s_mov_b32 s0, exec_lo
	s_wait_loadcnt_dscnt 0x120c
	v_dual_mul_f32 v53, v166, v79 :: v_dual_mul_f32 v55, v168, v81
	v_mul_f32_e32 v240, v167, v79
	s_wait_loadcnt_dscnt 0x110b
	v_dual_mul_f32 v57, v170, v83 :: v_dual_mul_f32 v59, v172, v85
	s_delay_alu instid0(VALU_DEP_3) | instskip(SKIP_3) | instid1(VALU_DEP_3)
	v_dual_fmac_f32 v53, v167, v78 :: v_dual_fmac_f32 v55, v169, v80
	s_wait_loadcnt_dscnt 0xf09
	v_dual_mul_f32 v65, v178, v91 :: v_dual_mul_f32 v67, v180, v93
	v_dual_mul_f32 v81, v169, v81 :: v_dual_mul_f32 v83, v171, v83
	v_dual_mul_f32 v91, v179, v91 :: v_dual_add_f32 v53, 0, v53
	s_wait_loadcnt 0x6
	v_dual_mul_f32 v239, v146, v127 :: v_dual_mul_f32 v79, v148, v129
	s_delay_alu instid0(VALU_DEP_3) | instskip(SKIP_3) | instid1(VALU_DEP_3)
	v_dual_fma_f32 v78, v166, v78, -v240 :: v_dual_fma_f32 v80, v168, v80, -v81
	v_dual_mul_f32 v61, v174, v87 :: v_dual_mul_f32 v63, v176, v89
	s_wait_dscnt 0x8
	v_dual_mul_f32 v69, v182, v95 :: v_dual_mul_f32 v71, v184, v97
	v_dual_add_f32 v78, 0, v78 :: v_dual_mul_f32 v95, v183, v95
	s_wait_loadcnt 0x5
	v_dual_mul_f32 v81, v150, v131 :: v_dual_mul_f32 v85, v173, v85
	v_dual_mul_f32 v89, v177, v89 :: v_dual_fmac_f32 v57, v171, v82
	v_dual_fma_f32 v82, v170, v82, -v83 :: v_dual_add_f32 v53, v53, v55
	v_dual_add_f32 v55, v78, v80 :: v_dual_mul_f32 v87, v175, v87
	v_mul_f32_e32 v93, v181, v93
	v_dual_mul_f32 v78, v185, v97 :: v_dual_fma_f32 v80, v172, v84, -v85
	s_delay_alu instid0(VALU_DEP_3) | instskip(SKIP_3) | instid1(VALU_DEP_2)
	v_dual_fmac_f32 v59, v173, v84 :: v_dual_add_f32 v55, v55, v82
	s_wait_dscnt 0x7
	v_dual_add_f32 v53, v53, v57 :: v_dual_mul_f32 v57, v187, v99
	v_dual_fmac_f32 v61, v175, v86 :: v_dual_fma_f32 v82, v174, v86, -v87
	v_dual_add_f32 v55, v55, v80 :: v_dual_add_f32 v53, v53, v59
	v_dual_mul_f32 v59, v189, v101 :: v_dual_fma_f32 v80, v176, v88, -v89
	s_delay_alu instid0(VALU_DEP_2) | instskip(SKIP_1) | instid1(VALU_DEP_3)
	v_dual_fmac_f32 v63, v177, v88 :: v_dual_add_f32 v55, v55, v82
	s_wait_dscnt 0x6
	v_dual_add_f32 v53, v53, v61 :: v_dual_mul_f32 v61, v191, v103
	v_dual_fmac_f32 v65, v179, v90 :: v_dual_fma_f32 v82, v178, v90, -v91
	s_delay_alu instid0(VALU_DEP_2) | instskip(SKIP_1) | instid1(VALU_DEP_2)
	v_dual_add_f32 v55, v55, v80 :: v_dual_add_f32 v53, v53, v63
	v_dual_mul_f32 v63, v193, v105 :: v_dual_fma_f32 v80, v180, v92, -v93
	v_dual_fmac_f32 v67, v181, v92 :: v_dual_add_f32 v55, v55, v82
	s_wait_dscnt 0x5
	s_delay_alu instid0(VALU_DEP_3) | instskip(SKIP_1) | instid1(VALU_DEP_2)
	v_dual_add_f32 v53, v53, v65 :: v_dual_mul_f32 v65, v195, v107
	v_dual_fmac_f32 v69, v183, v94 :: v_dual_fma_f32 v82, v182, v94, -v95
	v_dual_add_f32 v55, v55, v80 :: v_dual_add_f32 v53, v53, v67
	v_dual_mul_f32 v73, v186, v99 :: v_dual_mul_f32 v75, v188, v101
	v_dual_mul_f32 v67, v197, v109 :: v_dual_fma_f32 v78, v184, v96, -v78
	s_delay_alu instid0(VALU_DEP_3)
	v_dual_fmac_f32 v71, v185, v96 :: v_dual_add_f32 v55, v55, v82
	s_wait_dscnt 0x4
	v_dual_add_f32 v53, v53, v69 :: v_dual_mul_f32 v69, v199, v111
	v_fmac_f32_e32 v73, v187, v98
	v_fma_f32 v57, v186, v98, -v57
	v_dual_add_f32 v55, v55, v78 :: v_dual_fmac_f32 v75, v189, v100
	s_delay_alu instid0(VALU_DEP_4) | instskip(SKIP_2) | instid1(VALU_DEP_3)
	v_add_f32_e32 v53, v53, v71
	v_dual_mul_f32 v77, v190, v103 :: v_dual_mul_f32 v228, v192, v105
	v_dual_mul_f32 v71, v201, v113 :: v_dual_fma_f32 v59, v188, v100, -v59
	v_add_f32_e32 v53, v53, v73
	v_dual_add_f32 v55, v55, v57 :: v_dual_fma_f32 v61, v190, v102, -v61
	s_delay_alu instid0(VALU_DEP_4) | instskip(NEXT) | instid1(VALU_DEP_3)
	v_dual_fmac_f32 v77, v191, v102 :: v_dual_mul_f32 v229, v194, v107
	v_dual_mul_f32 v230, v196, v109 :: v_dual_add_f32 v53, v53, v75
	s_delay_alu instid0(VALU_DEP_3) | instskip(NEXT) | instid1(VALU_DEP_3)
	v_dual_add_f32 v55, v55, v59 :: v_dual_fmac_f32 v228, v193, v104
	v_dual_fma_f32 v63, v192, v104, -v63 :: v_dual_fmac_f32 v229, v195, v106
	s_delay_alu instid0(VALU_DEP_3) | instskip(NEXT) | instid1(VALU_DEP_3)
	v_add_f32_e32 v53, v53, v77
	v_dual_add_f32 v55, v55, v61 :: v_dual_fma_f32 v65, v194, v106, -v65
	s_wait_dscnt 0x2
	v_mul_f32_e32 v61, v207, v119
	v_dual_mul_f32 v231, v198, v111 :: v_dual_mul_f32 v232, v200, v113
	s_delay_alu instid0(VALU_DEP_3) | instskip(SKIP_2) | instid1(VALU_DEP_3)
	v_dual_add_f32 v53, v53, v228 :: v_dual_add_f32 v55, v55, v63
	v_fmac_f32_e32 v230, v197, v108
	v_dual_mul_f32 v63, v209, v121 :: v_dual_fma_f32 v67, v196, v108, -v67
	v_add_f32_e32 v53, v53, v229
	s_delay_alu instid0(VALU_DEP_4) | instskip(SKIP_3) | instid1(VALU_DEP_3)
	v_dual_add_f32 v55, v55, v65 :: v_dual_fma_f32 v69, v198, v110, -v69
	s_wait_dscnt 0x1
	v_mul_f32_e32 v65, v211, v123
	v_fmac_f32_e32 v231, v199, v110
	v_dual_add_f32 v53, v53, v230 :: v_dual_add_f32 v55, v55, v67
	v_dual_fmac_f32 v232, v201, v112 :: v_dual_mul_f32 v233, v202, v115
	v_dual_mul_f32 v234, v204, v117 :: v_dual_mul_f32 v57, v203, v115
	v_mul_f32_e32 v59, v205, v117
	v_dual_mul_f32 v67, v213, v125 :: v_dual_fma_f32 v71, v200, v112, -v71
	v_dual_add_f32 v53, v53, v231 :: v_dual_add_f32 v55, v55, v69
	s_delay_alu instid0(VALU_DEP_4) | instskip(NEXT) | instid1(VALU_DEP_2)
	v_dual_fma_f32 v57, v202, v114, -v57 :: v_dual_mul_f32 v69, v147, v127
	v_dual_fmac_f32 v233, v203, v114 :: v_dual_add_f32 v53, v53, v232
	s_delay_alu instid0(VALU_DEP_3) | instskip(SKIP_2) | instid1(VALU_DEP_4)
	v_dual_add_f32 v55, v55, v71 :: v_dual_fmac_f32 v234, v205, v116
	v_dual_mul_f32 v235, v206, v119 :: v_dual_mul_f32 v236, v208, v121
	v_dual_mul_f32 v71, v149, v129 :: v_dual_fma_f32 v59, v204, v116, -v59
	v_add_f32_e32 v53, v53, v233
	s_delay_alu instid0(VALU_DEP_4) | instskip(SKIP_2) | instid1(VALU_DEP_3)
	v_dual_add_f32 v55, v55, v57 :: v_dual_fma_f32 v61, v206, v118, -v61
	v_mul_f32_e32 v57, v151, v131
	v_dual_fmac_f32 v235, v207, v118 :: v_dual_mov_b32 v80, v133
	v_dual_add_f32 v53, v53, v234 :: v_dual_add_f32 v55, v55, v59
	v_dual_fmac_f32 v236, v209, v120 :: v_dual_mul_f32 v237, v210, v123
	v_mul_f32_e32 v238, v212, v125
	s_delay_alu instid0(VALU_DEP_3) | instskip(NEXT) | instid1(VALU_DEP_4)
	v_dual_fma_f32 v59, v208, v120, -v63 :: v_dual_add_f32 v53, v53, v235
	v_dual_add_f32 v55, v55, v61 :: v_dual_fma_f32 v61, v210, v122, -v65
	s_wait_loadcnt 0x4
	v_dual_fmac_f32 v237, v211, v122 :: v_dual_mov_b32 v84, v137
	s_delay_alu instid0(VALU_DEP_2) | instskip(SKIP_1) | instid1(VALU_DEP_2)
	v_dual_add_f32 v53, v53, v236 :: v_dual_add_f32 v55, v55, v59
	v_dual_fmac_f32 v238, v213, v124 :: v_dual_fma_f32 v59, v212, v124, -v67
	v_dual_fmac_f32 v239, v147, v126 :: v_dual_add_f32 v53, v53, v237
	s_delay_alu instid0(VALU_DEP_3) | instskip(SKIP_2) | instid1(VALU_DEP_3)
	v_dual_add_f32 v55, v55, v61 :: v_dual_fma_f32 v61, v146, v126, -v69
	v_pk_mul_f32 v[88:89], v[220:221], v[80:81] op_sel_hi:[1,0]
	v_pk_mul_f32 v[82:83], v[154:155], v[134:135] op_sel:[1,1] op_sel_hi:[0,1]
	v_dual_add_f32 v53, v53, v238 :: v_dual_add_f32 v55, v55, v59
	v_fmac_f32_e32 v79, v149, v128
	s_wait_loadcnt 0x3
	v_dual_fma_f32 v78, v148, v128, -v71 :: v_dual_mov_b32 v92, v141
	s_delay_alu instid0(VALU_DEP_3)
	v_dual_fmac_f32 v81, v151, v130 :: v_dual_add_f32 v91, v53, v239
	v_add_f32_e32 v90, v55, v61
	v_pk_fma_f32 v[94:95], v[152:153], v[132:133], v[88:89] op_sel_hi:[1,0,1]
	v_fma_f32 v80, v150, v130, -v57
	v_pk_fma_f32 v[88:89], v[152:153], v[132:133], v[88:89] neg_lo:[0,0,1] neg_hi:[0,0,1]
	v_pk_mul_f32 v[84:85], v[222:223], v[84:85] op_sel_hi:[1,0]
	v_pk_add_f32 v[78:79], v[90:91], v[78:79]
	v_pk_fma_f32 v[90:91], v[154:155], v[134:135], v[82:83] op_sel_hi:[1,0,1]
	v_mov_b32_e32 v89, v95
	v_pk_fma_f32 v[82:83], v[154:155], v[134:135], v[82:83] neg_lo:[0,0,1] neg_hi:[0,0,1]
	v_pk_mul_f32 v[86:87], v[158:159], v[138:139] op_sel:[1,1] op_sel_hi:[0,1]
	v_pk_add_f32 v[78:79], v[78:79], v[80:81]
	v_mov_b32_e32 v83, v91
	v_pk_fma_f32 v[90:91], v[156:157], v[136:137], v[84:85] op_sel_hi:[1,0,1]
	v_pk_fma_f32 v[84:85], v[156:157], v[136:137], v[84:85] neg_lo:[0,0,1] neg_hi:[0,0,1]
	v_pk_mul_f32 v[92:93], v[224:225], v[92:93] op_sel_hi:[1,0]
	v_pk_add_f32 v[78:79], v[78:79], v[88:89]
	v_pk_fma_f32 v[88:89], v[158:159], v[138:139], v[86:87] op_sel_hi:[1,0,1]
	v_mov_b32_e32 v85, v91
	v_pk_fma_f32 v[86:87], v[158:159], v[138:139], v[86:87] neg_lo:[0,0,1] neg_hi:[0,0,1]
	s_wait_loadcnt 0x2
	v_pk_mul_f32 v[80:81], v[162:163], v[142:143] op_sel:[1,1] op_sel_hi:[0,1]
	v_pk_add_f32 v[78:79], v[78:79], v[82:83]
	v_dual_mov_b32 v82, v145 :: v_dual_mov_b32 v87, v89
	v_pk_fma_f32 v[88:89], v[160:161], v[140:141], v[92:93] op_sel_hi:[1,0,1]
	v_pk_fma_f32 v[90:91], v[160:161], v[140:141], v[92:93] neg_lo:[0,0,1] neg_hi:[0,0,1]
	s_delay_alu instid0(VALU_DEP_4) | instskip(SKIP_3) | instid1(VALU_DEP_4)
	v_pk_add_f32 v[78:79], v[78:79], v[84:85]
	v_pk_fma_f32 v[84:85], v[162:163], v[142:143], v[80:81] op_sel_hi:[1,0,1]
	v_pk_mul_f32 v[82:83], v[226:227], v[82:83] op_sel_hi:[1,0]
	v_dual_mov_b32 v91, v89 :: v_dual_ashrrev_i32 v53, 31, v52
	v_pk_add_f32 v[78:79], v[78:79], v[86:87]
	v_pk_fma_f32 v[80:81], v[162:163], v[142:143], v[80:81] neg_lo:[0,0,1] neg_hi:[0,0,1]
	v_dual_mov_b32 v81, v85 :: v_dual_ashrrev_i32 v55, 31, v54
	v_pk_fma_f32 v[84:85], v[164:165], v[144:145], v[82:83] op_sel_hi:[1,0,1]
	s_delay_alu instid0(VALU_DEP_4)
	v_pk_add_f32 v[78:79], v[78:79], v[90:91]
	s_wait_loadcnt_dscnt 0x100
	v_pk_mul_f32 v[86:87], v[218:219], v[214:215] op_sel:[1,1] op_sel_hi:[0,1]
	v_pk_fma_f32 v[82:83], v[164:165], v[144:145], v[82:83] neg_lo:[0,0,1] neg_hi:[0,0,1]
	v_dual_ashrrev_i32 v57, 31, v56 :: v_dual_mov_b32 v83, v85
	v_pk_add_f32 v[78:79], v[78:79], v[80:81]
	s_delay_alu instid0(VALU_DEP_4)
	v_pk_fma_f32 v[80:81], v[218:219], v[214:215], v[86:87] op_sel_hi:[1,0,1]
	v_pk_fma_f32 v[84:85], v[218:219], v[214:215], v[86:87] neg_lo:[0,0,1] neg_hi:[0,0,1]
	v_dual_ashrrev_i32 v59, 31, v58 :: v_dual_ashrrev_i32 v61, 31, v60
	v_ashrrev_i32_e32 v63, 31, v62
	v_pk_add_f32 v[78:79], v[78:79], v[82:83]
	v_dual_mov_b32 v85, v81 :: v_dual_ashrrev_i32 v65, 31, v64
	v_dual_ashrrev_i32 v67, 31, v66 :: v_dual_ashrrev_i32 v69, 31, v68
	v_ashrrev_i32_e32 v71, 31, v70
	s_delay_alu instid0(VALU_DEP_3) | instskip(SKIP_2) | instid1(VALU_DEP_2)
	v_pk_add_f32 v[78:79], v[78:79], v[84:85]
	v_dual_ashrrev_i32 v73, 31, v72 :: v_dual_ashrrev_i32 v75, 31, v74
	s_wait_loadcnt 0x0
	v_pk_add_f32 v[78:79], v[216:217], v[78:79] neg_lo:[0,1] neg_hi:[0,1]
	scratch_store_b64 off, v[78:79], off offset:8
	s_wait_xcnt 0x0
	v_cmpx_ne_u32_e32 0, v0
	s_cbranch_execz .LBB100_235
; %bb.234:
	scratch_load_b64 v[78:79], off, off
	v_mov_b64_e32 v[80:81], 0
	scratch_store_b64 off, v[80:81], off
	s_wait_loadcnt 0x0
	ds_store_b64 v1, v[78:79]
.LBB100_235:
	s_wait_xcnt 0x0
	s_or_b32 exec_lo, exec_lo, s0
	s_wait_storecnt_dscnt 0x0
	s_barrier_signal -1
	s_barrier_wait -1
	s_clause 0xd
	scratch_load_b128 v[82:85], off, off offset:8
	scratch_load_b128 v[90:93], off, off offset:24
	;; [unrolled: 1-line block ×14, first 2 shown]
	ds_load_2addr_b64 v[78:81], v76 offset0:39 offset1:40
	ds_load_2addr_b64 v[86:89], v76 offset0:41 offset1:42
	;; [unrolled: 1-line block ×14, first 2 shown]
	s_clause 0x3
	scratch_load_b128 v[190:193], off, off offset:232
	scratch_load_b128 v[194:197], off, off offset:248
	;; [unrolled: 1-line block ×4, first 2 shown]
	s_and_b32 vcc_lo, exec_lo, s12
	s_wait_loadcnt_dscnt 0x110d
	v_dual_mul_f32 v0, v78, v83 :: v_dual_mul_f32 v1, v80, v85
	s_wait_loadcnt_dscnt 0xe0a
	v_dual_mul_f32 v77, v81, v85 :: v_dual_mul_f32 v207, v182, v187
	s_delay_alu instid0(VALU_DEP_2) | instskip(NEXT) | instid1(VALU_DEP_3)
	v_dual_mul_f32 v209, v184, v189 :: v_dual_fmac_f32 v0, v79, v82
	v_fmac_f32_e32 v1, v81, v84
	s_delay_alu instid0(VALU_DEP_3) | instskip(NEXT) | instid1(VALU_DEP_3)
	v_dual_fma_f32 v77, v80, v84, -v77 :: v_dual_fmac_f32 v207, v183, v186
	v_fmac_f32_e32 v209, v185, v188
	s_delay_alu instid0(VALU_DEP_4) | instskip(NEXT) | instid1(VALU_DEP_1)
	v_add_f32_e32 v0, 0, v0
	v_dual_add_f32 v0, v0, v1 :: v_dual_mul_f32 v1, v86, v91
	s_delay_alu instid0(VALU_DEP_1) | instskip(NEXT) | instid1(VALU_DEP_1)
	v_fmac_f32_e32 v1, v87, v90
	v_add_f32_e32 v0, v0, v1
	v_mul_f32_e32 v1, v88, v93
	s_delay_alu instid0(VALU_DEP_1) | instskip(SKIP_1) | instid1(VALU_DEP_1)
	v_fmac_f32_e32 v1, v89, v92
	s_wait_loadcnt_dscnt 0xd09
	v_dual_add_f32 v0, v0, v1 :: v_dual_mul_f32 v1, v94, v99
	s_delay_alu instid0(VALU_DEP_1) | instskip(NEXT) | instid1(VALU_DEP_1)
	v_fmac_f32_e32 v1, v95, v98
	v_add_f32_e32 v0, v0, v1
	v_mul_f32_e32 v1, v96, v101
	s_delay_alu instid0(VALU_DEP_1) | instskip(SKIP_1) | instid1(VALU_DEP_1)
	v_fmac_f32_e32 v1, v97, v100
	s_wait_loadcnt_dscnt 0xc08
	;; [unrolled: 8-line block ×10, first 2 shown]
	v_dual_add_f32 v0, v0, v1 :: v_dual_mul_f32 v1, v166, v171
	s_delay_alu instid0(VALU_DEP_1) | instskip(NEXT) | instid1(VALU_DEP_1)
	v_fmac_f32_e32 v1, v167, v170
	v_add_f32_e32 v0, v0, v1
	v_mul_f32_e32 v1, v168, v173
	s_delay_alu instid0(VALU_DEP_1) | instskip(NEXT) | instid1(VALU_DEP_1)
	v_fmac_f32_e32 v1, v169, v172
	v_dual_add_f32 v0, v0, v1 :: v_dual_mul_f32 v1, v174, v179
	s_delay_alu instid0(VALU_DEP_1) | instskip(NEXT) | instid1(VALU_DEP_1)
	v_fmac_f32_e32 v1, v175, v178
	v_add_f32_e32 v0, v0, v1
	v_mul_f32_e32 v1, v176, v181
	s_delay_alu instid0(VALU_DEP_1) | instskip(NEXT) | instid1(VALU_DEP_1)
	v_fmac_f32_e32 v1, v177, v180
	v_dual_add_f32 v1, v0, v1 :: v_dual_mul_f32 v0, v79, v83
	s_delay_alu instid0(VALU_DEP_1) | instskip(NEXT) | instid1(VALU_DEP_1)
	v_fma_f32 v0, v78, v82, -v0
	v_add_f32_e32 v0, 0, v0
	s_delay_alu instid0(VALU_DEP_1) | instskip(NEXT) | instid1(VALU_DEP_1)
	v_dual_add_f32 v0, v0, v77 :: v_dual_mul_f32 v77, v87, v91
	v_fma_f32 v77, v86, v90, -v77
	s_delay_alu instid0(VALU_DEP_1) | instskip(SKIP_1) | instid1(VALU_DEP_1)
	v_add_f32_e32 v0, v0, v77
	v_mul_f32_e32 v77, v89, v93
	v_fma_f32 v77, v88, v92, -v77
	ds_load_2addr_b64 v[78:81], v76 offset0:67 offset1:68
	ds_load_2addr_b64 v[82:85], v76 offset0:69 offset1:70
	;; [unrolled: 1-line block ×4, first 2 shown]
	v_dual_add_f32 v0, v0, v77 :: v_dual_mul_f32 v77, v95, v99
	s_delay_alu instid0(VALU_DEP_1) | instskip(NEXT) | instid1(VALU_DEP_1)
	v_fma_f32 v77, v94, v98, -v77
	v_add_f32_e32 v0, v0, v77
	v_mul_f32_e32 v77, v97, v101
	s_delay_alu instid0(VALU_DEP_1) | instskip(NEXT) | instid1(VALU_DEP_1)
	v_fma_f32 v77, v96, v100, -v77
	v_dual_add_f32 v0, v0, v77 :: v_dual_mul_f32 v77, v103, v107
	s_delay_alu instid0(VALU_DEP_1) | instskip(NEXT) | instid1(VALU_DEP_1)
	v_fma_f32 v77, v102, v106, -v77
	v_add_f32_e32 v0, v0, v77
	v_mul_f32_e32 v77, v105, v109
	s_delay_alu instid0(VALU_DEP_1) | instskip(NEXT) | instid1(VALU_DEP_1)
	v_fma_f32 v77, v104, v108, -v77
	;; [unrolled: 7-line block ×11, first 2 shown]
	v_dual_add_f32 v0, v0, v77 :: v_dual_mul_f32 v77, v183, v187
	s_delay_alu instid0(VALU_DEP_1) | instskip(NEXT) | instid1(VALU_DEP_1)
	v_dual_fma_f32 v206, v182, v186, -v77 :: v_dual_mul_f32 v77, v185, v189
	v_fma_f32 v208, v184, v188, -v77
	s_wait_loadcnt_dscnt 0x303
	v_pk_mul_f32 v[76:77], v[78:79], v[190:191] op_sel:[1,1] op_sel_hi:[0,1]
	s_delay_alu instid0(VALU_DEP_1) | instskip(SKIP_2) | instid1(VALU_DEP_2)
	v_pk_fma_f32 v[94:95], v[78:79], v[190:191], v[76:77] neg_lo:[0,0,1] neg_hi:[0,0,1]
	v_pk_fma_f32 v[76:77], v[78:79], v[190:191], v[76:77] op_sel_hi:[1,0,1]
	v_dual_mov_b32 v76, v81 :: v_dual_mov_b32 v78, v193
	v_dual_mov_b32 v95, v77 :: v_dual_mov_b32 v77, v80
	v_pk_add_f32 v[0:1], v[0:1], v[206:207]
	s_delay_alu instid0(VALU_DEP_2) | instskip(NEXT) | instid1(VALU_DEP_1)
	v_pk_mul_f32 v[76:77], v[76:77], v[78:79] op_sel_hi:[1,0]
	v_pk_fma_f32 v[78:79], v[80:81], v[192:193], v[76:77] neg_lo:[0,0,1] neg_hi:[0,0,1]
	v_pk_fma_f32 v[76:77], v[80:81], v[192:193], v[76:77] op_sel_hi:[1,0,1]
	s_delay_alu instid0(VALU_DEP_1) | instskip(SKIP_3) | instid1(VALU_DEP_2)
	v_mov_b32_e32 v79, v77
	v_pk_add_f32 v[0:1], v[0:1], v[208:209]
	s_wait_loadcnt_dscnt 0x202
	v_pk_mul_f32 v[76:77], v[82:83], v[194:195] op_sel:[1,1] op_sel_hi:[0,1]
	v_pk_add_f32 v[0:1], v[0:1], v[94:95]
	s_delay_alu instid0(VALU_DEP_1) | instskip(NEXT) | instid1(VALU_DEP_3)
	v_pk_add_f32 v[0:1], v[0:1], v[78:79]
	v_pk_fma_f32 v[78:79], v[82:83], v[194:195], v[76:77] neg_lo:[0,0,1] neg_hi:[0,0,1]
	v_pk_fma_f32 v[76:77], v[82:83], v[194:195], v[76:77] op_sel_hi:[1,0,1]
	s_delay_alu instid0(VALU_DEP_1) | instskip(SKIP_1) | instid1(VALU_DEP_2)
	v_dual_mov_b32 v76, v85 :: v_dual_mov_b32 v79, v77
	v_mov_b32_e32 v77, v84
	v_pk_add_f32 v[0:1], v[0:1], v[78:79]
	v_mov_b32_e32 v78, v197
	s_delay_alu instid0(VALU_DEP_1) | instskip(NEXT) | instid1(VALU_DEP_1)
	v_pk_mul_f32 v[76:77], v[76:77], v[78:79] op_sel_hi:[1,0]
	v_pk_fma_f32 v[78:79], v[84:85], v[196:197], v[76:77] neg_lo:[0,0,1] neg_hi:[0,0,1]
	v_pk_fma_f32 v[76:77], v[84:85], v[196:197], v[76:77] op_sel_hi:[1,0,1]
	s_delay_alu instid0(VALU_DEP_1) | instskip(SKIP_2) | instid1(VALU_DEP_2)
	v_mov_b32_e32 v79, v77
	s_wait_loadcnt_dscnt 0x101
	v_pk_mul_f32 v[76:77], v[86:87], v[198:199] op_sel:[1,1] op_sel_hi:[0,1]
	v_pk_add_f32 v[0:1], v[0:1], v[78:79]
	s_delay_alu instid0(VALU_DEP_2) | instskip(SKIP_1) | instid1(VALU_DEP_1)
	v_pk_fma_f32 v[78:79], v[86:87], v[198:199], v[76:77] neg_lo:[0,0,1] neg_hi:[0,0,1]
	v_pk_fma_f32 v[76:77], v[86:87], v[198:199], v[76:77] op_sel_hi:[1,0,1]
	v_dual_mov_b32 v76, v89 :: v_dual_mov_b32 v79, v77
	v_mov_b32_e32 v77, v88
	s_delay_alu instid0(VALU_DEP_2) | instskip(SKIP_1) | instid1(VALU_DEP_1)
	v_pk_add_f32 v[0:1], v[0:1], v[78:79]
	v_mov_b32_e32 v78, v201
	v_pk_mul_f32 v[76:77], v[76:77], v[78:79] op_sel_hi:[1,0]
	s_delay_alu instid0(VALU_DEP_1) | instskip(SKIP_1) | instid1(VALU_DEP_1)
	v_pk_fma_f32 v[78:79], v[88:89], v[200:201], v[76:77] neg_lo:[0,0,1] neg_hi:[0,0,1]
	v_pk_fma_f32 v[76:77], v[88:89], v[200:201], v[76:77] op_sel_hi:[1,0,1]
	v_mov_b32_e32 v79, v77
	s_wait_loadcnt_dscnt 0x0
	v_pk_mul_f32 v[76:77], v[90:91], v[202:203] op_sel:[1,1] op_sel_hi:[0,1]
	s_delay_alu instid0(VALU_DEP_2) | instskip(NEXT) | instid1(VALU_DEP_2)
	v_pk_add_f32 v[0:1], v[0:1], v[78:79]
	v_pk_fma_f32 v[78:79], v[90:91], v[202:203], v[76:77] neg_lo:[0,0,1] neg_hi:[0,0,1]
	v_pk_fma_f32 v[76:77], v[90:91], v[202:203], v[76:77] op_sel_hi:[1,0,1]
	s_delay_alu instid0(VALU_DEP_1) | instskip(SKIP_1) | instid1(VALU_DEP_2)
	v_dual_mov_b32 v76, v93 :: v_dual_mov_b32 v79, v77
	v_mov_b32_e32 v77, v92
	v_pk_add_f32 v[0:1], v[0:1], v[78:79]
	v_mov_b32_e32 v78, v205
	s_delay_alu instid0(VALU_DEP_1) | instskip(NEXT) | instid1(VALU_DEP_1)
	v_pk_mul_f32 v[76:77], v[76:77], v[78:79] op_sel_hi:[1,0]
	v_pk_fma_f32 v[78:79], v[92:93], v[204:205], v[76:77] neg_lo:[0,0,1] neg_hi:[0,0,1]
	v_pk_fma_f32 v[76:77], v[92:93], v[204:205], v[76:77] op_sel_hi:[1,0,1]
	s_delay_alu instid0(VALU_DEP_1) | instskip(SKIP_3) | instid1(VALU_DEP_1)
	v_mov_b32_e32 v79, v77
	scratch_load_b64 v[76:77], off, off
	v_pk_add_f32 v[0:1], v[0:1], v[78:79]
	s_wait_loadcnt 0x0
	v_pk_add_f32 v[76:77], v[76:77], v[0:1] neg_lo:[0,1] neg_hi:[0,1]
	scratch_store_b64 off, v[76:77], off
	s_cbranch_vccz .LBB100_308
; %bb.236:
	v_mov_b32_e32 v0, 0
	global_load_b32 v1, v0, s[8:9] offset:140
	s_wait_loadcnt 0x0
	v_cmp_ne_u32_e32 vcc_lo, 36, v1
	s_cbranch_vccz .LBB100_238
; %bb.237:
	v_lshlrev_b32_e32 v1, 3, v1
	scratch_load_b64 v[76:77], v1, off offset:-8
	scratch_load_b64 v[78:79], off, off offset:280
	s_wait_loadcnt 0x1
	scratch_store_b64 off, v[76:77], off offset:280
	s_wait_loadcnt 0x0
	scratch_store_b64 v1, v[78:79], off offset:-8
.LBB100_238:
	global_load_b32 v0, v0, s[8:9] offset:136
	s_wait_loadcnt 0x0
	v_cmp_eq_u32_e32 vcc_lo, 35, v0
	s_cbranch_vccnz .LBB100_240
; %bb.239:
	s_wait_xcnt 0x0
	v_lshlrev_b32_e32 v0, 3, v0
	s_delay_alu instid0(VALU_DEP_1)
	v_mov_b32_e32 v78, v0
	scratch_load_b64 v[0:1], v78, off offset:-8
	scratch_load_b64 v[76:77], off, off offset:272
	s_wait_loadcnt 0x1
	scratch_store_b64 off, v[0:1], off offset:272
	s_wait_loadcnt 0x0
	scratch_store_b64 v78, v[76:77], off offset:-8
.LBB100_240:
	s_wait_xcnt 0x0
	v_mov_b32_e32 v0, 0
	global_load_b32 v1, v0, s[8:9] offset:132
	s_wait_loadcnt 0x0
	v_cmp_eq_u32_e32 vcc_lo, 34, v1
	s_cbranch_vccnz .LBB100_242
; %bb.241:
	v_lshlrev_b32_e32 v1, 3, v1
	scratch_load_b64 v[76:77], v1, off offset:-8
	scratch_load_b64 v[78:79], off, off offset:264
	s_wait_loadcnt 0x1
	scratch_store_b64 off, v[76:77], off offset:264
	s_wait_loadcnt 0x0
	scratch_store_b64 v1, v[78:79], off offset:-8
.LBB100_242:
	global_load_b32 v0, v0, s[8:9] offset:128
	s_wait_loadcnt 0x0
	v_cmp_eq_u32_e32 vcc_lo, 33, v0
	s_cbranch_vccnz .LBB100_244
; %bb.243:
	s_wait_xcnt 0x0
	v_lshlrev_b32_e32 v0, 3, v0
	s_delay_alu instid0(VALU_DEP_1)
	v_mov_b32_e32 v78, v0
	scratch_load_b64 v[0:1], v78, off offset:-8
	scratch_load_b64 v[76:77], off, off offset:256
	s_wait_loadcnt 0x1
	scratch_store_b64 off, v[0:1], off offset:256
	s_wait_loadcnt 0x0
	scratch_store_b64 v78, v[76:77], off offset:-8
.LBB100_244:
	s_wait_xcnt 0x0
	v_mov_b32_e32 v0, 0
	global_load_b32 v1, v0, s[8:9] offset:124
	s_wait_loadcnt 0x0
	v_cmp_eq_u32_e32 vcc_lo, 32, v1
	s_cbranch_vccnz .LBB100_246
; %bb.245:
	v_lshlrev_b32_e32 v1, 3, v1
	scratch_load_b64 v[76:77], v1, off offset:-8
	scratch_load_b64 v[78:79], off, off offset:248
	s_wait_loadcnt 0x1
	scratch_store_b64 off, v[76:77], off offset:248
	s_wait_loadcnt 0x0
	scratch_store_b64 v1, v[78:79], off offset:-8
.LBB100_246:
	;; [unrolled: 31-line block ×17, first 2 shown]
	global_load_b32 v0, v0, s[8:9]
	scratch_load_b64 v[76:77], off, off
	s_wait_loadcnt 0x1
	v_cmp_eq_u32_e32 vcc_lo, 1, v0
	s_cbranch_vccnz .LBB100_308
; %bb.307:
	s_wait_xcnt 0x1
	v_lshlrev_b32_e32 v0, 3, v0
	s_delay_alu instid0(VALU_DEP_1)
	v_mov_b32_e32 v78, v0
	scratch_load_b64 v[0:1], v78, off offset:-8
	s_wait_loadcnt 0x0
	scratch_store_b64 off, v[0:1], off
	scratch_store_b64 v78, v[76:77], off offset:-8
	scratch_load_b64 v[76:77], off, off
.LBB100_308:
	s_wait_loadcnt 0x0
	flat_store_b64 v[2:3], v[76:77]
	scratch_load_b64 v[2:3], off, off offset:8
	v_lshl_add_u64 v[110:111], v[6:7], 3, s[2:3]
	v_lshl_add_u64 v[108:109], v[8:9], 3, s[2:3]
	;; [unrolled: 1-line block ×35, first 2 shown]
	s_wait_loadcnt 0x0
	flat_store_b64 v[4:5], v[2:3]
	scratch_load_b64 v[2:3], off, off offset:16
	s_wait_loadcnt 0x0
	flat_store_b64 v[110:111], v[2:3]
	scratch_load_b64 v[2:3], off, off offset:24
	;; [unrolled: 3-line block ×35, first 2 shown]
	s_wait_loadcnt 0x0
	flat_store_b64 v[0:1], v[2:3]
	s_sendmsg sendmsg(MSG_DEALLOC_VGPRS)
	s_endpgm
	.section	.rodata,"a",@progbits
	.p2align	6, 0x0
	.amdhsa_kernel _ZN9rocsolver6v33100L18getri_kernel_smallILi37E19rocblas_complex_numIfEPKPS3_EEvT1_iilPiilS8_bb
		.amdhsa_group_segment_fixed_size 600
		.amdhsa_private_segment_fixed_size 304
		.amdhsa_kernarg_size 60
		.amdhsa_user_sgpr_count 2
		.amdhsa_user_sgpr_dispatch_ptr 0
		.amdhsa_user_sgpr_queue_ptr 0
		.amdhsa_user_sgpr_kernarg_segment_ptr 1
		.amdhsa_user_sgpr_dispatch_id 0
		.amdhsa_user_sgpr_kernarg_preload_length 0
		.amdhsa_user_sgpr_kernarg_preload_offset 0
		.amdhsa_user_sgpr_private_segment_size 0
		.amdhsa_wavefront_size32 1
		.amdhsa_uses_dynamic_stack 0
		.amdhsa_enable_private_segment 1
		.amdhsa_system_sgpr_workgroup_id_x 1
		.amdhsa_system_sgpr_workgroup_id_y 0
		.amdhsa_system_sgpr_workgroup_id_z 0
		.amdhsa_system_sgpr_workgroup_info 0
		.amdhsa_system_vgpr_workitem_id 0
		.amdhsa_next_free_vgpr 241
		.amdhsa_next_free_sgpr 19
		.amdhsa_named_barrier_count 0
		.amdhsa_reserve_vcc 1
		.amdhsa_float_round_mode_32 0
		.amdhsa_float_round_mode_16_64 0
		.amdhsa_float_denorm_mode_32 3
		.amdhsa_float_denorm_mode_16_64 3
		.amdhsa_fp16_overflow 0
		.amdhsa_memory_ordered 1
		.amdhsa_forward_progress 1
		.amdhsa_inst_pref_size 255
		.amdhsa_round_robin_scheduling 0
		.amdhsa_exception_fp_ieee_invalid_op 0
		.amdhsa_exception_fp_denorm_src 0
		.amdhsa_exception_fp_ieee_div_zero 0
		.amdhsa_exception_fp_ieee_overflow 0
		.amdhsa_exception_fp_ieee_underflow 0
		.amdhsa_exception_fp_ieee_inexact 0
		.amdhsa_exception_int_div_zero 0
	.end_amdhsa_kernel
	.section	.text._ZN9rocsolver6v33100L18getri_kernel_smallILi37E19rocblas_complex_numIfEPKPS3_EEvT1_iilPiilS8_bb,"axG",@progbits,_ZN9rocsolver6v33100L18getri_kernel_smallILi37E19rocblas_complex_numIfEPKPS3_EEvT1_iilPiilS8_bb,comdat
.Lfunc_end100:
	.size	_ZN9rocsolver6v33100L18getri_kernel_smallILi37E19rocblas_complex_numIfEPKPS3_EEvT1_iilPiilS8_bb, .Lfunc_end100-_ZN9rocsolver6v33100L18getri_kernel_smallILi37E19rocblas_complex_numIfEPKPS3_EEvT1_iilPiilS8_bb
                                        ; -- End function
	.set _ZN9rocsolver6v33100L18getri_kernel_smallILi37E19rocblas_complex_numIfEPKPS3_EEvT1_iilPiilS8_bb.num_vgpr, 241
	.set _ZN9rocsolver6v33100L18getri_kernel_smallILi37E19rocblas_complex_numIfEPKPS3_EEvT1_iilPiilS8_bb.num_agpr, 0
	.set _ZN9rocsolver6v33100L18getri_kernel_smallILi37E19rocblas_complex_numIfEPKPS3_EEvT1_iilPiilS8_bb.numbered_sgpr, 19
	.set _ZN9rocsolver6v33100L18getri_kernel_smallILi37E19rocblas_complex_numIfEPKPS3_EEvT1_iilPiilS8_bb.num_named_barrier, 0
	.set _ZN9rocsolver6v33100L18getri_kernel_smallILi37E19rocblas_complex_numIfEPKPS3_EEvT1_iilPiilS8_bb.private_seg_size, 304
	.set _ZN9rocsolver6v33100L18getri_kernel_smallILi37E19rocblas_complex_numIfEPKPS3_EEvT1_iilPiilS8_bb.uses_vcc, 1
	.set _ZN9rocsolver6v33100L18getri_kernel_smallILi37E19rocblas_complex_numIfEPKPS3_EEvT1_iilPiilS8_bb.uses_flat_scratch, 1
	.set _ZN9rocsolver6v33100L18getri_kernel_smallILi37E19rocblas_complex_numIfEPKPS3_EEvT1_iilPiilS8_bb.has_dyn_sized_stack, 0
	.set _ZN9rocsolver6v33100L18getri_kernel_smallILi37E19rocblas_complex_numIfEPKPS3_EEvT1_iilPiilS8_bb.has_recursion, 0
	.set _ZN9rocsolver6v33100L18getri_kernel_smallILi37E19rocblas_complex_numIfEPKPS3_EEvT1_iilPiilS8_bb.has_indirect_call, 0
	.section	.AMDGPU.csdata,"",@progbits
; Kernel info:
; codeLenInByte = 56532
; TotalNumSgprs: 21
; NumVgprs: 241
; ScratchSize: 304
; MemoryBound: 0
; FloatMode: 240
; IeeeMode: 1
; LDSByteSize: 600 bytes/workgroup (compile time only)
; SGPRBlocks: 0
; VGPRBlocks: 15
; NumSGPRsForWavesPerEU: 21
; NumVGPRsForWavesPerEU: 241
; NamedBarCnt: 0
; Occupancy: 4
; WaveLimiterHint : 1
; COMPUTE_PGM_RSRC2:SCRATCH_EN: 1
; COMPUTE_PGM_RSRC2:USER_SGPR: 2
; COMPUTE_PGM_RSRC2:TRAP_HANDLER: 0
; COMPUTE_PGM_RSRC2:TGID_X_EN: 1
; COMPUTE_PGM_RSRC2:TGID_Y_EN: 0
; COMPUTE_PGM_RSRC2:TGID_Z_EN: 0
; COMPUTE_PGM_RSRC2:TIDIG_COMP_CNT: 0
	.section	.text._ZN9rocsolver6v33100L18getri_kernel_smallILi38E19rocblas_complex_numIfEPKPS3_EEvT1_iilPiilS8_bb,"axG",@progbits,_ZN9rocsolver6v33100L18getri_kernel_smallILi38E19rocblas_complex_numIfEPKPS3_EEvT1_iilPiilS8_bb,comdat
	.globl	_ZN9rocsolver6v33100L18getri_kernel_smallILi38E19rocblas_complex_numIfEPKPS3_EEvT1_iilPiilS8_bb ; -- Begin function _ZN9rocsolver6v33100L18getri_kernel_smallILi38E19rocblas_complex_numIfEPKPS3_EEvT1_iilPiilS8_bb
	.p2align	8
	.type	_ZN9rocsolver6v33100L18getri_kernel_smallILi38E19rocblas_complex_numIfEPKPS3_EEvT1_iilPiilS8_bb,@function
_ZN9rocsolver6v33100L18getri_kernel_smallILi38E19rocblas_complex_numIfEPKPS3_EEvT1_iilPiilS8_bb: ; @_ZN9rocsolver6v33100L18getri_kernel_smallILi38E19rocblas_complex_numIfEPKPS3_EEvT1_iilPiilS8_bb
; %bb.0:
	s_mov_b32 s2, exec_lo
	v_cmpx_gt_u32_e32 38, v0
	s_cbranch_execz .LBB101_166
; %bb.1:
	s_clause 0x1
	s_load_b32 s13, s[0:1], 0x38
	s_load_b64 s[2:3], s[0:1], 0x0
	s_getreg_b32 s6, hwreg(HW_REG_IB_STS2, 6, 4)
	s_wait_kmcnt 0x0
	s_bitcmp1_b32 s13, 8
	s_cselect_b32 s12, -1, 0
	s_bfe_u32 s4, ttmp6, 0x4000c
	s_and_b32 s5, ttmp6, 15
	s_add_co_i32 s4, s4, 1
	s_delay_alu instid0(SALU_CYCLE_1) | instskip(NEXT) | instid1(SALU_CYCLE_1)
	s_mul_i32 s4, ttmp9, s4
	s_add_co_i32 s5, s5, s4
	s_cmp_eq_u32 s6, 0
	s_cselect_b32 s10, ttmp9, s5
	s_load_b128 s[4:7], s[0:1], 0x28
	s_ashr_i32 s11, s10, 31
	s_delay_alu instid0(SALU_CYCLE_1) | instskip(NEXT) | instid1(SALU_CYCLE_1)
	s_lshl_b64 s[8:9], s[10:11], 3
	s_add_nc_u64 s[2:3], s[2:3], s[8:9]
	s_bfe_u32 s8, s13, 0x10008
	s_load_b64 s[2:3], s[2:3], 0x0
	s_cmp_eq_u32 s8, 0
                                        ; implicit-def: $sgpr8_sgpr9
	s_cbranch_scc1 .LBB101_3
; %bb.2:
	s_load_b96 s[16:18], s[0:1], 0x18
	s_wait_kmcnt 0x0
	s_mul_u64 s[4:5], s[4:5], s[10:11]
	s_delay_alu instid0(SALU_CYCLE_1) | instskip(SKIP_4) | instid1(SALU_CYCLE_1)
	s_lshl_b64 s[4:5], s[4:5], 2
	s_ashr_i32 s9, s18, 31
	s_mov_b32 s8, s18
	s_add_nc_u64 s[4:5], s[16:17], s[4:5]
	s_lshl_b64 s[8:9], s[8:9], 2
	s_add_nc_u64 s[8:9], s[4:5], s[8:9]
.LBB101_3:
	s_wait_kmcnt 0x0
	s_clause 0x1
	s_load_b64 s[4:5], s[0:1], 0x8
	s_load_b32 s13, s[0:1], 0x38
	v_dual_mov_b32 v79, 0 :: v_dual_lshlrev_b32 v78, 3, v0
	s_wait_kmcnt 0x0
	s_ashr_i32 s1, s4, 31
	s_mov_b32 s0, s4
	s_delay_alu instid0(SALU_CYCLE_1) | instskip(NEXT) | instid1(SALU_CYCLE_1)
	s_lshl_b64 s[0:1], s[0:1], 3
	s_add_nc_u64 s[2:3], s[2:3], s[0:1]
	s_ashr_i32 s1, s5, 31
	flat_load_b64 v[6:7], v0, s[2:3] scale_offset
	v_add_nc_u64_e32 v[2:3], s[2:3], v[78:79]
	s_mov_b32 s0, s5
	s_bitcmp0_b32 s13, 0
	s_delay_alu instid0(VALU_DEP_1)
	v_lshl_add_u64 v[4:5], s[0:1], 3, v[2:3]
	s_mov_b32 s1, -1
	s_wait_loadcnt_dscnt 0x0
	scratch_store_b64 off, v[6:7], off
	flat_load_b64 v[8:9], v[4:5]
	s_wait_xcnt 0x1
	v_add3_u32 v6, s5, s5, v0
	s_wait_loadcnt_dscnt 0x0
	scratch_store_b64 off, v[8:9], off offset:8
	flat_load_b64 v[10:11], v6, s[2:3] scale_offset
	s_wait_xcnt 0x1
	v_add_nc_u32_e32 v8, s5, v6
	s_wait_loadcnt_dscnt 0x0
	scratch_store_b64 off, v[10:11], off offset:16
	flat_load_b64 v[12:13], v8, s[2:3] scale_offset
	s_wait_xcnt 0x1
	v_add_nc_u32_e32 v10, s5, v8
	;; [unrolled: 5-line block ×35, first 2 shown]
	s_wait_loadcnt_dscnt 0x0
	scratch_store_b64 off, v[80:81], off offset:288
	flat_load_b64 v[80:81], v76, s[2:3] scale_offset
	s_wait_loadcnt_dscnt 0x0
	scratch_store_b64 off, v[80:81], off offset:296
	s_cbranch_scc1 .LBB101_164
; %bb.4:
	v_cmp_eq_u32_e64 s0, 0, v0
	s_wait_xcnt 0x0
	s_and_saveexec_b32 s1, s0
; %bb.5:
	v_mov_b32_e32 v1, 0
	ds_store_b32 v1, v1 offset:608
; %bb.6:
	s_or_b32 exec_lo, exec_lo, s1
	s_wait_storecnt_dscnt 0x0
	s_barrier_signal -1
	s_barrier_wait -1
	scratch_load_b64 v[80:81], v0, off scale_offset
	s_wait_loadcnt 0x0
	v_cmp_eq_f32_e32 vcc_lo, 0, v80
	v_cmp_eq_f32_e64 s1, 0, v81
	s_and_b32 s1, vcc_lo, s1
	s_delay_alu instid0(SALU_CYCLE_1)
	s_and_saveexec_b32 s4, s1
	s_cbranch_execz .LBB101_10
; %bb.7:
	v_mov_b32_e32 v1, 0
	s_mov_b32 s5, 0
	ds_load_b32 v7, v1 offset:608
	s_wait_dscnt 0x0
	v_readfirstlane_b32 s1, v7
	v_add_nc_u32_e32 v7, 1, v0
	s_cmp_eq_u32 s1, 0
	s_delay_alu instid0(VALU_DEP_1) | instskip(SKIP_1) | instid1(SALU_CYCLE_1)
	v_cmp_gt_i32_e32 vcc_lo, s1, v7
	s_cselect_b32 s13, -1, 0
	s_or_b32 s13, s13, vcc_lo
	s_delay_alu instid0(SALU_CYCLE_1)
	s_and_b32 exec_lo, exec_lo, s13
	s_cbranch_execz .LBB101_10
; %bb.8:
	v_mov_b32_e32 v9, s1
.LBB101_9:                              ; =>This Inner Loop Header: Depth=1
	ds_cmpstore_rtn_b32 v9, v1, v7, v9 offset:608
	s_wait_dscnt 0x0
	v_cmp_ne_u32_e32 vcc_lo, 0, v9
	v_cmp_le_i32_e64 s1, v9, v7
	s_and_b32 s1, vcc_lo, s1
	s_delay_alu instid0(SALU_CYCLE_1) | instskip(NEXT) | instid1(SALU_CYCLE_1)
	s_and_b32 s1, exec_lo, s1
	s_or_b32 s5, s1, s5
	s_delay_alu instid0(SALU_CYCLE_1)
	s_and_not1_b32 exec_lo, exec_lo, s5
	s_cbranch_execnz .LBB101_9
.LBB101_10:
	s_or_b32 exec_lo, exec_lo, s4
	v_mov_b32_e32 v1, 0
	s_barrier_signal -1
	s_barrier_wait -1
	ds_load_b32 v7, v1 offset:608
	s_and_saveexec_b32 s1, s0
	s_cbranch_execz .LBB101_12
; %bb.11:
	s_lshl_b64 s[4:5], s[10:11], 2
	s_delay_alu instid0(SALU_CYCLE_1)
	s_add_nc_u64 s[4:5], s[6:7], s[4:5]
	s_wait_dscnt 0x0
	global_store_b32 v1, v7, s[4:5]
.LBB101_12:
	s_wait_xcnt 0x0
	s_or_b32 exec_lo, exec_lo, s1
	s_wait_dscnt 0x0
	v_cmp_ne_u32_e32 vcc_lo, 0, v7
	s_mov_b32 s1, 0
	s_cbranch_vccnz .LBB101_164
; %bb.13:
	v_lshl_add_u32 v7, v0, 3, 0
                                        ; implicit-def: $vgpr83
                                        ; implicit-def: $vgpr84
	scratch_load_b64 v[80:81], v7, off
	s_wait_loadcnt 0x0
	v_cmp_ngt_f32_e64 s1, |v80|, |v81|
	s_wait_xcnt 0x0
	s_and_saveexec_b32 s4, s1
	s_delay_alu instid0(SALU_CYCLE_1)
	s_xor_b32 s1, exec_lo, s4
	s_cbranch_execz .LBB101_15
; %bb.14:
	v_div_scale_f32 v1, null, v81, v81, v80
	v_div_scale_f32 v13, vcc_lo, v80, v81, v80
	s_delay_alu instid0(VALU_DEP_2) | instskip(SKIP_1) | instid1(TRANS32_DEP_1)
	v_rcp_f32_e32 v9, v1
	v_nop
	v_fma_f32 v11, -v1, v9, 1.0
	s_delay_alu instid0(VALU_DEP_1) | instskip(NEXT) | instid1(VALU_DEP_1)
	v_fmac_f32_e32 v9, v11, v9
	v_mul_f32_e32 v11, v13, v9
	s_delay_alu instid0(VALU_DEP_1) | instskip(NEXT) | instid1(VALU_DEP_1)
	v_fma_f32 v15, -v1, v11, v13
	v_fmac_f32_e32 v11, v15, v9
	s_delay_alu instid0(VALU_DEP_1) | instskip(NEXT) | instid1(VALU_DEP_1)
	v_fma_f32 v1, -v1, v11, v13
	v_div_fmas_f32 v1, v1, v9, v11
	s_delay_alu instid0(VALU_DEP_1) | instskip(NEXT) | instid1(VALU_DEP_1)
	v_div_fixup_f32 v1, v1, v81, v80
	v_fmac_f32_e32 v81, v80, v1
	s_delay_alu instid0(VALU_DEP_1) | instskip(NEXT) | instid1(VALU_DEP_1)
	v_div_scale_f32 v9, null, v81, v81, -1.0
	v_rcp_f32_e32 v11, v9
	v_nop
	s_delay_alu instid0(TRANS32_DEP_1) | instskip(NEXT) | instid1(VALU_DEP_1)
	v_fma_f32 v13, -v9, v11, 1.0
	v_fmac_f32_e32 v11, v13, v11
	v_div_scale_f32 v13, vcc_lo, -1.0, v81, -1.0
	s_delay_alu instid0(VALU_DEP_1) | instskip(NEXT) | instid1(VALU_DEP_1)
	v_mul_f32_e32 v15, v13, v11
	v_fma_f32 v17, -v9, v15, v13
	s_delay_alu instid0(VALU_DEP_1) | instskip(NEXT) | instid1(VALU_DEP_1)
	v_fmac_f32_e32 v15, v17, v11
	v_fma_f32 v9, -v9, v15, v13
	s_delay_alu instid0(VALU_DEP_1) | instskip(NEXT) | instid1(VALU_DEP_1)
	v_div_fmas_f32 v9, v9, v11, v15
	v_div_fixup_f32 v83, v9, v81, -1.0
                                        ; implicit-def: $vgpr80_vgpr81
	s_delay_alu instid0(VALU_DEP_1) | instskip(NEXT) | instid1(VALU_DEP_1)
	v_mul_f32_e32 v84, v1, v83
	v_xor_b32_e32 v82, 0x80000000, v84
.LBB101_15:
	s_and_not1_saveexec_b32 s1, s1
	s_cbranch_execz .LBB101_17
; %bb.16:
	v_div_scale_f32 v1, null, v80, v80, v81
	v_div_scale_f32 v13, vcc_lo, v81, v80, v81
	s_delay_alu instid0(VALU_DEP_2) | instskip(SKIP_1) | instid1(TRANS32_DEP_1)
	v_rcp_f32_e32 v9, v1
	v_nop
	v_fma_f32 v11, -v1, v9, 1.0
	s_delay_alu instid0(VALU_DEP_1) | instskip(NEXT) | instid1(VALU_DEP_1)
	v_fmac_f32_e32 v9, v11, v9
	v_mul_f32_e32 v11, v13, v9
	s_delay_alu instid0(VALU_DEP_1) | instskip(NEXT) | instid1(VALU_DEP_1)
	v_fma_f32 v15, -v1, v11, v13
	v_fmac_f32_e32 v11, v15, v9
	s_delay_alu instid0(VALU_DEP_1) | instskip(NEXT) | instid1(VALU_DEP_1)
	v_fma_f32 v1, -v1, v11, v13
	v_div_fmas_f32 v1, v1, v9, v11
	s_delay_alu instid0(VALU_DEP_1) | instskip(NEXT) | instid1(VALU_DEP_1)
	v_div_fixup_f32 v1, v1, v80, v81
	v_fmac_f32_e32 v80, v81, v1
	s_delay_alu instid0(VALU_DEP_1) | instskip(SKIP_1) | instid1(VALU_DEP_2)
	v_div_scale_f32 v9, null, v80, v80, 1.0
	v_div_scale_f32 v15, vcc_lo, 1.0, v80, 1.0
	v_rcp_f32_e32 v11, v9
	v_nop
	s_delay_alu instid0(TRANS32_DEP_1) | instskip(NEXT) | instid1(VALU_DEP_1)
	v_fma_f32 v13, -v9, v11, 1.0
	v_fmac_f32_e32 v11, v13, v11
	s_delay_alu instid0(VALU_DEP_1) | instskip(NEXT) | instid1(VALU_DEP_1)
	v_mul_f32_e32 v13, v15, v11
	v_fma_f32 v17, -v9, v13, v15
	s_delay_alu instid0(VALU_DEP_1) | instskip(NEXT) | instid1(VALU_DEP_1)
	v_fmac_f32_e32 v13, v17, v11
	v_fma_f32 v9, -v9, v13, v15
	s_delay_alu instid0(VALU_DEP_1) | instskip(NEXT) | instid1(VALU_DEP_1)
	v_div_fmas_f32 v9, v9, v11, v13
	v_div_fixup_f32 v82, v9, v80, 1.0
	s_delay_alu instid0(VALU_DEP_1)
	v_xor_b32_e32 v84, 0x80000000, v82
	v_mul_f32_e64 v83, v1, -v82
.LBB101_17:
	s_or_b32 exec_lo, exec_lo, s1
	scratch_store_b64 v7, v[82:83], off
	scratch_load_b64 v[80:81], off, off offset:8
	v_xor_b32_e32 v85, 0x80000000, v83
	v_add_nc_u32_e32 v1, 0x130, v78
	s_wait_loadcnt 0x0
	ds_store_2addr_b64 v78, v[84:85], v[80:81] offset1:38
	s_wait_storecnt_dscnt 0x0
	s_barrier_signal -1
	s_barrier_wait -1
	s_wait_xcnt 0x0
	s_and_saveexec_b32 s1, s0
	s_cbranch_execz .LBB101_19
; %bb.18:
	scratch_load_b64 v[80:81], v7, off
	ds_load_b64 v[82:83], v1
	s_wait_loadcnt_dscnt 0x0
	v_pk_mul_f32 v[86:87], v[82:83], v[80:81] op_sel:[1,1] op_sel_hi:[0,1]
	s_delay_alu instid0(VALU_DEP_1) | instskip(SKIP_2) | instid1(VALU_DEP_3)
	v_pk_fma_f32 v[88:89], v[82:83], v[80:81], v[86:87] op_sel_hi:[1,0,1]
	v_mov_b32_e32 v9, 0
	v_pk_fma_f32 v[80:81], v[82:83], v[80:81], v[86:87] neg_lo:[0,0,1] neg_hi:[0,0,1]
	v_mov_b32_e32 v81, v89
	ds_load_b64 v[84:85], v9 offset:8
	v_pk_add_f32 v[80:81], v[80:81], 0 op_sel_hi:[1,0]
	s_wait_dscnt 0x0
	s_delay_alu instid0(VALU_DEP_1) | instskip(NEXT) | instid1(VALU_DEP_1)
	v_pk_mul_f32 v[82:83], v[80:81], v[84:85] op_sel:[1,1] op_sel_hi:[0,1]
	v_pk_fma_f32 v[86:87], v[80:81], v[84:85], v[82:83] op_sel_hi:[1,0,1]
	v_pk_fma_f32 v[80:81], v[80:81], v[84:85], v[82:83] neg_lo:[0,0,1] neg_hi:[0,0,1]
	s_delay_alu instid0(VALU_DEP_2)
	v_mov_b32_e32 v81, v87
	scratch_store_b64 off, v[80:81], off offset:8
.LBB101_19:
	s_wait_xcnt 0x0
	s_or_b32 exec_lo, exec_lo, s1
	s_wait_storecnt 0x0
	s_barrier_signal -1
	s_barrier_wait -1
	scratch_load_b64 v[80:81], off, off offset:16
	s_mov_b32 s1, exec_lo
	s_wait_loadcnt 0x0
	ds_store_b64 v1, v[80:81]
	s_wait_dscnt 0x0
	s_barrier_signal -1
	s_barrier_wait -1
	v_cmpx_gt_u32_e32 2, v0
	s_cbranch_execz .LBB101_23
; %bb.20:
	scratch_load_b64 v[80:81], v7, off
	ds_load_b64 v[82:83], v1
	s_wait_loadcnt_dscnt 0x0
	v_pk_mul_f32 v[84:85], v[82:83], v[80:81] op_sel:[1,1] op_sel_hi:[0,1]
	s_delay_alu instid0(VALU_DEP_1) | instskip(SKIP_1) | instid1(VALU_DEP_2)
	v_pk_fma_f32 v[86:87], v[82:83], v[80:81], v[84:85] op_sel_hi:[1,0,1]
	v_pk_fma_f32 v[80:81], v[82:83], v[80:81], v[84:85] neg_lo:[0,0,1] neg_hi:[0,0,1]
	v_mov_b32_e32 v81, v87
	s_delay_alu instid0(VALU_DEP_1)
	v_pk_add_f32 v[80:81], v[80:81], 0 op_sel_hi:[1,0]
	s_and_saveexec_b32 s4, s0
	s_cbranch_execz .LBB101_22
; %bb.21:
	scratch_load_b64 v[82:83], off, off offset:8
	v_mov_b32_e32 v7, 0
	ds_load_b64 v[84:85], v7 offset:312
	s_wait_loadcnt_dscnt 0x0
	v_pk_mul_f32 v[86:87], v[84:85], v[82:83] op_sel:[1,1] op_sel_hi:[0,1]
	s_delay_alu instid0(VALU_DEP_1) | instskip(SKIP_1) | instid1(VALU_DEP_2)
	v_pk_fma_f32 v[88:89], v[84:85], v[82:83], v[86:87] op_sel_hi:[1,0,1]
	v_pk_fma_f32 v[82:83], v[84:85], v[82:83], v[86:87] neg_lo:[0,0,1] neg_hi:[0,0,1]
	v_mov_b32_e32 v83, v89
	s_delay_alu instid0(VALU_DEP_1)
	v_pk_add_f32 v[80:81], v[80:81], v[82:83]
.LBB101_22:
	s_or_b32 exec_lo, exec_lo, s4
	v_mov_b32_e32 v7, 0
	ds_load_b64 v[82:83], v7 offset:16
	s_wait_dscnt 0x0
	v_pk_mul_f32 v[84:85], v[80:81], v[82:83] op_sel:[1,1] op_sel_hi:[0,1]
	s_delay_alu instid0(VALU_DEP_1) | instskip(SKIP_1) | instid1(VALU_DEP_2)
	v_pk_fma_f32 v[86:87], v[80:81], v[82:83], v[84:85] op_sel_hi:[1,0,1]
	v_pk_fma_f32 v[80:81], v[80:81], v[82:83], v[84:85] neg_lo:[0,0,1] neg_hi:[0,0,1]
	v_mov_b32_e32 v81, v87
	scratch_store_b64 off, v[80:81], off offset:16
.LBB101_23:
	s_wait_xcnt 0x0
	s_or_b32 exec_lo, exec_lo, s1
	s_wait_storecnt 0x0
	s_barrier_signal -1
	s_barrier_wait -1
	scratch_load_b64 v[80:81], off, off offset:24
	v_add_nc_u32_e32 v7, -1, v0
	s_mov_b32 s0, exec_lo
	s_wait_loadcnt 0x0
	ds_store_b64 v1, v[80:81]
	s_wait_dscnt 0x0
	s_barrier_signal -1
	s_barrier_wait -1
	v_cmpx_gt_u32_e32 3, v0
	s_cbranch_execz .LBB101_27
; %bb.24:
	v_dual_mov_b32 v80, 0 :: v_dual_add_nc_u32 v9, -1, v0
	v_add_nc_u32_e32 v11, 0x130, v78
	v_mov_b32_e32 v13, v78
	s_mov_b32 s1, 0
	s_delay_alu instid0(VALU_DEP_3)
	v_mov_b32_e32 v81, v80
.LBB101_25:                             ; =>This Inner Loop Header: Depth=1
	scratch_load_b64 v[82:83], v13, off
	ds_load_b64 v[84:85], v11
	s_wait_xcnt 0x0
	v_dual_add_nc_u32 v11, 8, v11 :: v_dual_add_nc_u32 v13, 8, v13
	s_wait_loadcnt_dscnt 0x0
	v_pk_mul_f32 v[86:87], v[84:85], v[82:83] op_sel:[1,1] op_sel_hi:[0,1]
	s_delay_alu instid0(VALU_DEP_1) | instskip(SKIP_2) | instid1(VALU_DEP_3)
	v_pk_fma_f32 v[88:89], v[84:85], v[82:83], v[86:87] op_sel_hi:[1,0,1]
	v_add_nc_u32_e32 v9, 1, v9
	v_pk_fma_f32 v[82:83], v[84:85], v[82:83], v[86:87] neg_lo:[0,0,1] neg_hi:[0,0,1]
	v_mov_b32_e32 v83, v89
	s_delay_alu instid0(VALU_DEP_3) | instskip(NEXT) | instid1(VALU_DEP_2)
	v_cmp_lt_u32_e32 vcc_lo, 1, v9
	v_pk_add_f32 v[80:81], v[80:81], v[82:83]
	s_or_b32 s1, vcc_lo, s1
	s_delay_alu instid0(SALU_CYCLE_1)
	s_and_not1_b32 exec_lo, exec_lo, s1
	s_cbranch_execnz .LBB101_25
; %bb.26:
	s_or_b32 exec_lo, exec_lo, s1
	v_mov_b32_e32 v9, 0
	ds_load_b64 v[82:83], v9 offset:24
	s_wait_dscnt 0x0
	v_pk_mul_f32 v[84:85], v[80:81], v[82:83] op_sel:[1,1] op_sel_hi:[0,1]
	s_delay_alu instid0(VALU_DEP_1) | instskip(SKIP_1) | instid1(VALU_DEP_2)
	v_pk_fma_f32 v[86:87], v[80:81], v[82:83], v[84:85] op_sel_hi:[1,0,1]
	v_pk_fma_f32 v[80:81], v[80:81], v[82:83], v[84:85] neg_lo:[0,0,1] neg_hi:[0,0,1]
	v_mov_b32_e32 v81, v87
	scratch_store_b64 off, v[80:81], off offset:24
.LBB101_27:
	s_wait_xcnt 0x0
	s_or_b32 exec_lo, exec_lo, s0
	s_wait_storecnt 0x0
	s_barrier_signal -1
	s_barrier_wait -1
	scratch_load_b64 v[80:81], off, off offset:32
	s_mov_b32 s0, exec_lo
	s_wait_loadcnt 0x0
	ds_store_b64 v1, v[80:81]
	s_wait_dscnt 0x0
	s_barrier_signal -1
	s_barrier_wait -1
	v_cmpx_gt_u32_e32 4, v0
	s_cbranch_execz .LBB101_31
; %bb.28:
	v_dual_mov_b32 v80, 0 :: v_dual_add_nc_u32 v9, -1, v0
	v_add_nc_u32_e32 v11, 0x130, v78
	v_mov_b32_e32 v13, v78
	s_mov_b32 s1, 0
	s_delay_alu instid0(VALU_DEP_3)
	v_mov_b32_e32 v81, v80
.LBB101_29:                             ; =>This Inner Loop Header: Depth=1
	scratch_load_b64 v[82:83], v13, off
	ds_load_b64 v[84:85], v11
	s_wait_xcnt 0x0
	v_dual_add_nc_u32 v11, 8, v11 :: v_dual_add_nc_u32 v13, 8, v13
	s_wait_loadcnt_dscnt 0x0
	v_pk_mul_f32 v[86:87], v[84:85], v[82:83] op_sel:[1,1] op_sel_hi:[0,1]
	s_delay_alu instid0(VALU_DEP_1) | instskip(SKIP_2) | instid1(VALU_DEP_3)
	v_pk_fma_f32 v[88:89], v[84:85], v[82:83], v[86:87] op_sel_hi:[1,0,1]
	v_add_nc_u32_e32 v9, 1, v9
	v_pk_fma_f32 v[82:83], v[84:85], v[82:83], v[86:87] neg_lo:[0,0,1] neg_hi:[0,0,1]
	v_mov_b32_e32 v83, v89
	s_delay_alu instid0(VALU_DEP_3) | instskip(NEXT) | instid1(VALU_DEP_2)
	v_cmp_lt_u32_e32 vcc_lo, 2, v9
	v_pk_add_f32 v[80:81], v[80:81], v[82:83]
	s_or_b32 s1, vcc_lo, s1
	s_delay_alu instid0(SALU_CYCLE_1)
	s_and_not1_b32 exec_lo, exec_lo, s1
	s_cbranch_execnz .LBB101_29
; %bb.30:
	s_or_b32 exec_lo, exec_lo, s1
	v_mov_b32_e32 v9, 0
	ds_load_b64 v[82:83], v9 offset:32
	s_wait_dscnt 0x0
	v_pk_mul_f32 v[84:85], v[80:81], v[82:83] op_sel:[1,1] op_sel_hi:[0,1]
	s_delay_alu instid0(VALU_DEP_1) | instskip(SKIP_1) | instid1(VALU_DEP_2)
	v_pk_fma_f32 v[86:87], v[80:81], v[82:83], v[84:85] op_sel_hi:[1,0,1]
	v_pk_fma_f32 v[80:81], v[80:81], v[82:83], v[84:85] neg_lo:[0,0,1] neg_hi:[0,0,1]
	v_mov_b32_e32 v81, v87
	scratch_store_b64 off, v[80:81], off offset:32
.LBB101_31:
	s_wait_xcnt 0x0
	s_or_b32 exec_lo, exec_lo, s0
	s_wait_storecnt 0x0
	s_barrier_signal -1
	s_barrier_wait -1
	scratch_load_b64 v[80:81], off, off offset:40
	;; [unrolled: 52-line block ×19, first 2 shown]
	s_mov_b32 s0, exec_lo
	s_wait_loadcnt 0x0
	ds_store_b64 v1, v[80:81]
	s_wait_dscnt 0x0
	s_barrier_signal -1
	s_barrier_wait -1
	v_cmpx_gt_u32_e32 22, v0
	s_cbranch_execz .LBB101_103
; %bb.100:
	v_dual_mov_b32 v80, 0 :: v_dual_add_nc_u32 v9, -1, v0
	v_add_nc_u32_e32 v11, 0x130, v78
	v_mov_b32_e32 v13, v78
	s_mov_b32 s1, 0
	s_delay_alu instid0(VALU_DEP_3)
	v_mov_b32_e32 v81, v80
.LBB101_101:                            ; =>This Inner Loop Header: Depth=1
	scratch_load_b64 v[82:83], v13, off
	ds_load_b64 v[84:85], v11
	s_wait_xcnt 0x0
	v_dual_add_nc_u32 v11, 8, v11 :: v_dual_add_nc_u32 v13, 8, v13
	s_wait_loadcnt_dscnt 0x0
	v_pk_mul_f32 v[86:87], v[84:85], v[82:83] op_sel:[1,1] op_sel_hi:[0,1]
	s_delay_alu instid0(VALU_DEP_1) | instskip(SKIP_2) | instid1(VALU_DEP_3)
	v_pk_fma_f32 v[88:89], v[84:85], v[82:83], v[86:87] op_sel_hi:[1,0,1]
	v_add_nc_u32_e32 v9, 1, v9
	v_pk_fma_f32 v[82:83], v[84:85], v[82:83], v[86:87] neg_lo:[0,0,1] neg_hi:[0,0,1]
	v_mov_b32_e32 v83, v89
	s_delay_alu instid0(VALU_DEP_3) | instskip(NEXT) | instid1(VALU_DEP_2)
	v_cmp_lt_u32_e32 vcc_lo, 20, v9
	v_pk_add_f32 v[80:81], v[80:81], v[82:83]
	s_or_b32 s1, vcc_lo, s1
	s_delay_alu instid0(SALU_CYCLE_1)
	s_and_not1_b32 exec_lo, exec_lo, s1
	s_cbranch_execnz .LBB101_101
; %bb.102:
	s_or_b32 exec_lo, exec_lo, s1
	v_mov_b32_e32 v9, 0
	ds_load_b64 v[82:83], v9 offset:176
	s_wait_dscnt 0x0
	v_pk_mul_f32 v[84:85], v[80:81], v[82:83] op_sel:[1,1] op_sel_hi:[0,1]
	s_delay_alu instid0(VALU_DEP_1) | instskip(SKIP_1) | instid1(VALU_DEP_2)
	v_pk_fma_f32 v[86:87], v[80:81], v[82:83], v[84:85] op_sel_hi:[1,0,1]
	v_pk_fma_f32 v[80:81], v[80:81], v[82:83], v[84:85] neg_lo:[0,0,1] neg_hi:[0,0,1]
	v_mov_b32_e32 v81, v87
	scratch_store_b64 off, v[80:81], off offset:176
.LBB101_103:
	s_wait_xcnt 0x0
	s_or_b32 exec_lo, exec_lo, s0
	s_wait_storecnt 0x0
	s_barrier_signal -1
	s_barrier_wait -1
	scratch_load_b64 v[80:81], off, off offset:184
	s_mov_b32 s0, exec_lo
	s_wait_loadcnt 0x0
	ds_store_b64 v1, v[80:81]
	s_wait_dscnt 0x0
	s_barrier_signal -1
	s_barrier_wait -1
	v_cmpx_gt_u32_e32 23, v0
	s_cbranch_execz .LBB101_107
; %bb.104:
	v_dual_mov_b32 v80, 0 :: v_dual_add_nc_u32 v9, -1, v0
	v_add_nc_u32_e32 v11, 0x130, v78
	v_mov_b32_e32 v13, v78
	s_mov_b32 s1, 0
	s_delay_alu instid0(VALU_DEP_3)
	v_mov_b32_e32 v81, v80
.LBB101_105:                            ; =>This Inner Loop Header: Depth=1
	scratch_load_b64 v[82:83], v13, off
	ds_load_b64 v[84:85], v11
	s_wait_xcnt 0x0
	v_dual_add_nc_u32 v11, 8, v11 :: v_dual_add_nc_u32 v13, 8, v13
	s_wait_loadcnt_dscnt 0x0
	v_pk_mul_f32 v[86:87], v[84:85], v[82:83] op_sel:[1,1] op_sel_hi:[0,1]
	s_delay_alu instid0(VALU_DEP_1) | instskip(SKIP_2) | instid1(VALU_DEP_3)
	v_pk_fma_f32 v[88:89], v[84:85], v[82:83], v[86:87] op_sel_hi:[1,0,1]
	v_add_nc_u32_e32 v9, 1, v9
	v_pk_fma_f32 v[82:83], v[84:85], v[82:83], v[86:87] neg_lo:[0,0,1] neg_hi:[0,0,1]
	v_mov_b32_e32 v83, v89
	s_delay_alu instid0(VALU_DEP_3) | instskip(NEXT) | instid1(VALU_DEP_2)
	v_cmp_lt_u32_e32 vcc_lo, 21, v9
	v_pk_add_f32 v[80:81], v[80:81], v[82:83]
	s_or_b32 s1, vcc_lo, s1
	s_delay_alu instid0(SALU_CYCLE_1)
	s_and_not1_b32 exec_lo, exec_lo, s1
	s_cbranch_execnz .LBB101_105
; %bb.106:
	s_or_b32 exec_lo, exec_lo, s1
	v_mov_b32_e32 v9, 0
	ds_load_b64 v[82:83], v9 offset:184
	s_wait_dscnt 0x0
	v_pk_mul_f32 v[84:85], v[80:81], v[82:83] op_sel:[1,1] op_sel_hi:[0,1]
	s_delay_alu instid0(VALU_DEP_1) | instskip(SKIP_1) | instid1(VALU_DEP_2)
	v_pk_fma_f32 v[86:87], v[80:81], v[82:83], v[84:85] op_sel_hi:[1,0,1]
	v_pk_fma_f32 v[80:81], v[80:81], v[82:83], v[84:85] neg_lo:[0,0,1] neg_hi:[0,0,1]
	v_mov_b32_e32 v81, v87
	scratch_store_b64 off, v[80:81], off offset:184
.LBB101_107:
	s_wait_xcnt 0x0
	s_or_b32 exec_lo, exec_lo, s0
	s_wait_storecnt 0x0
	s_barrier_signal -1
	s_barrier_wait -1
	scratch_load_b64 v[80:81], off, off offset:192
	;; [unrolled: 52-line block ×15, first 2 shown]
	s_mov_b32 s0, exec_lo
	s_wait_loadcnt 0x0
	ds_store_b64 v1, v[80:81]
	s_wait_dscnt 0x0
	s_barrier_signal -1
	s_barrier_wait -1
	v_cmpx_ne_u32_e32 37, v0
	s_cbranch_execz .LBB101_163
; %bb.160:
	v_dual_mov_b32 v80, 0 :: v_dual_mov_b32 v9, v78
	s_mov_b32 s1, 0
	s_delay_alu instid0(VALU_DEP_1)
	v_mov_b32_e32 v81, v80
.LBB101_161:                            ; =>This Inner Loop Header: Depth=1
	scratch_load_b64 v[78:79], v9, off
	ds_load_b64 v[82:83], v1
	v_add_nc_u32_e32 v1, 8, v1
	s_wait_xcnt 0x0
	v_add_nc_u32_e32 v9, 8, v9
	s_wait_loadcnt_dscnt 0x0
	v_pk_mul_f32 v[84:85], v[82:83], v[78:79] op_sel:[1,1] op_sel_hi:[0,1]
	s_delay_alu instid0(VALU_DEP_1) | instskip(SKIP_2) | instid1(VALU_DEP_3)
	v_pk_fma_f32 v[86:87], v[82:83], v[78:79], v[84:85] op_sel_hi:[1,0,1]
	v_add_nc_u32_e32 v7, 1, v7
	v_pk_fma_f32 v[78:79], v[82:83], v[78:79], v[84:85] neg_lo:[0,0,1] neg_hi:[0,0,1]
	v_mov_b32_e32 v79, v87
	s_delay_alu instid0(VALU_DEP_3) | instskip(NEXT) | instid1(VALU_DEP_2)
	v_cmp_lt_u32_e32 vcc_lo, 35, v7
	v_pk_add_f32 v[80:81], v[80:81], v[78:79]
	s_or_b32 s1, vcc_lo, s1
	s_delay_alu instid0(SALU_CYCLE_1)
	s_and_not1_b32 exec_lo, exec_lo, s1
	s_cbranch_execnz .LBB101_161
; %bb.162:
	s_or_b32 exec_lo, exec_lo, s1
	v_mov_b32_e32 v1, 0
	ds_load_b64 v[78:79], v1 offset:296
	s_wait_dscnt 0x0
	v_pk_mul_f32 v[82:83], v[80:81], v[78:79] op_sel:[1,1] op_sel_hi:[0,1]
	s_delay_alu instid0(VALU_DEP_1) | instskip(SKIP_1) | instid1(VALU_DEP_2)
	v_pk_fma_f32 v[84:85], v[80:81], v[78:79], v[82:83] op_sel_hi:[1,0,1]
	v_pk_fma_f32 v[78:79], v[80:81], v[78:79], v[82:83] neg_lo:[0,0,1] neg_hi:[0,0,1]
	v_mov_b32_e32 v79, v85
	scratch_store_b64 off, v[78:79], off offset:296
.LBB101_163:
	s_wait_xcnt 0x0
	s_or_b32 exec_lo, exec_lo, s0
	s_mov_b32 s1, -1
	s_wait_storecnt 0x0
	s_barrier_signal -1
	s_barrier_wait -1
.LBB101_164:
	s_and_b32 vcc_lo, exec_lo, s1
	s_cbranch_vccz .LBB101_166
; %bb.165:
	v_mov_b32_e32 v1, 0
	s_lshl_b64 s[0:1], s[10:11], 2
	s_delay_alu instid0(SALU_CYCLE_1)
	s_add_nc_u64 s[0:1], s[6:7], s[0:1]
	global_load_b32 v1, v1, s[0:1]
	s_wait_loadcnt 0x0
	v_cmp_ne_u32_e32 vcc_lo, 0, v1
	s_cbranch_vccz .LBB101_167
.LBB101_166:
	s_sendmsg sendmsg(MSG_DEALLOC_VGPRS)
	s_endpgm
.LBB101_167:
	s_wait_xcnt 0x0
	v_lshl_add_u32 v1, v0, 3, 0x130
	s_mov_b32 s0, exec_lo
	v_cmpx_eq_u32_e32 37, v0
	s_cbranch_execz .LBB101_169
; %bb.168:
	scratch_load_b64 v[78:79], off, off offset:288
	v_mov_b64_e32 v[80:81], 0
	scratch_store_b64 off, v[80:81], off offset:288
	s_wait_loadcnt 0x0
	ds_store_b64 v1, v[78:79]
.LBB101_169:
	s_wait_xcnt 0x0
	s_or_b32 exec_lo, exec_lo, s0
	s_wait_storecnt_dscnt 0x0
	s_barrier_signal -1
	s_barrier_wait -1
	s_clause 0x1
	scratch_load_b64 v[78:79], off, off offset:296
	scratch_load_b64 v[80:81], off, off offset:288
	v_mov_b32_e32 v7, 0
	s_mov_b32 s0, exec_lo
	ds_load_b64 v[82:83], v7 offset:600
	s_wait_loadcnt_dscnt 0x100
	v_pk_mul_f32 v[84:85], v[82:83], v[78:79] op_sel:[1,1] op_sel_hi:[0,1]
	s_delay_alu instid0(VALU_DEP_1) | instskip(SKIP_1) | instid1(VALU_DEP_2)
	v_pk_fma_f32 v[86:87], v[82:83], v[78:79], v[84:85] op_sel_hi:[1,0,1]
	v_pk_fma_f32 v[78:79], v[82:83], v[78:79], v[84:85] neg_lo:[0,0,1] neg_hi:[0,0,1]
	v_mov_b32_e32 v79, v87
	s_delay_alu instid0(VALU_DEP_1) | instskip(SKIP_1) | instid1(VALU_DEP_1)
	v_pk_add_f32 v[78:79], v[78:79], 0 op_sel_hi:[1,0]
	s_wait_loadcnt 0x0
	v_pk_add_f32 v[78:79], v[80:81], v[78:79] neg_lo:[0,1] neg_hi:[0,1]
	scratch_store_b64 off, v[78:79], off offset:288
	s_wait_xcnt 0x0
	v_cmpx_lt_u32_e32 35, v0
	s_cbranch_execz .LBB101_171
; %bb.170:
	scratch_load_b64 v[78:79], off, off offset:280
	v_mov_b64_e32 v[80:81], 0
	scratch_store_b64 off, v[80:81], off offset:280
	s_wait_loadcnt 0x0
	ds_store_b64 v1, v[78:79]
.LBB101_171:
	s_wait_xcnt 0x0
	s_or_b32 exec_lo, exec_lo, s0
	s_wait_storecnt_dscnt 0x0
	s_barrier_signal -1
	s_barrier_wait -1
	s_clause 0x1
	scratch_load_b128 v[78:81], off, off offset:288
	scratch_load_b64 v[86:87], off, off offset:280
	ds_load_b128 v[82:85], v7 offset:592
	s_mov_b32 s0, exec_lo
	s_wait_dscnt 0x0
	v_dual_mov_b32 v88, v85 :: v_dual_mov_b32 v89, v84
	s_wait_loadcnt 0x1
	v_pk_mul_f32 v[90:91], v[82:83], v[78:79] op_sel:[1,1] op_sel_hi:[0,1]
	s_delay_alu instid0(VALU_DEP_1) | instskip(SKIP_2) | instid1(VALU_DEP_3)
	v_pk_fma_f32 v[94:95], v[82:83], v[78:79], v[90:91] op_sel_hi:[1,0,1]
	v_mov_b32_e32 v92, v81
	v_pk_fma_f32 v[78:79], v[82:83], v[78:79], v[90:91] neg_lo:[0,0,1] neg_hi:[0,0,1]
	v_mov_b32_e32 v79, v95
	s_delay_alu instid0(VALU_DEP_3) | instskip(NEXT) | instid1(VALU_DEP_2)
	v_pk_mul_f32 v[88:89], v[88:89], v[92:93] op_sel_hi:[1,0]
	v_pk_add_f32 v[78:79], v[78:79], 0 op_sel_hi:[1,0]
	s_delay_alu instid0(VALU_DEP_2) | instskip(SKIP_1) | instid1(VALU_DEP_2)
	v_pk_fma_f32 v[82:83], v[84:85], v[80:81], v[88:89] op_sel_hi:[1,0,1]
	v_pk_fma_f32 v[80:81], v[84:85], v[80:81], v[88:89] neg_lo:[0,0,1] neg_hi:[0,0,1]
	v_mov_b32_e32 v81, v83
	s_delay_alu instid0(VALU_DEP_1) | instskip(SKIP_1) | instid1(VALU_DEP_1)
	v_pk_add_f32 v[78:79], v[78:79], v[80:81]
	s_wait_loadcnt 0x0
	v_pk_add_f32 v[78:79], v[86:87], v[78:79] neg_lo:[0,1] neg_hi:[0,1]
	scratch_store_b64 off, v[78:79], off offset:280
	s_wait_xcnt 0x0
	v_cmpx_lt_u32_e32 34, v0
	s_cbranch_execz .LBB101_173
; %bb.172:
	scratch_load_b64 v[78:79], off, off offset:272
	v_mov_b64_e32 v[80:81], 0
	scratch_store_b64 off, v[80:81], off offset:272
	s_wait_loadcnt 0x0
	ds_store_b64 v1, v[78:79]
.LBB101_173:
	s_wait_xcnt 0x0
	s_or_b32 exec_lo, exec_lo, s0
	s_wait_storecnt_dscnt 0x0
	s_barrier_signal -1
	s_barrier_wait -1
	s_clause 0x2
	scratch_load_b128 v[78:81], off, off offset:280
	scratch_load_b64 v[86:87], off, off offset:296
	scratch_load_b64 v[88:89], off, off offset:272
	v_mov_b32_e32 v7, 0
	ds_load_2addr_b64 v[82:85], v7 offset0:73 offset1:74
	ds_load_b64 v[90:91], v7 offset:600
	s_mov_b32 s0, exec_lo
	s_wait_dscnt 0x1
	v_dual_mov_b32 v92, v85 :: v_dual_mov_b32 v93, v84
	s_wait_loadcnt 0x2
	v_mov_b32_e32 v96, v81
	v_pk_mul_f32 v[94:95], v[82:83], v[78:79] op_sel:[1,1] op_sel_hi:[0,1]
	s_delay_alu instid0(VALU_DEP_2) | instskip(NEXT) | instid1(VALU_DEP_2)
	v_pk_mul_f32 v[92:93], v[92:93], v[96:97] op_sel_hi:[1,0]
	v_pk_fma_f32 v[98:99], v[82:83], v[78:79], v[94:95] op_sel_hi:[1,0,1]
	v_pk_fma_f32 v[78:79], v[82:83], v[78:79], v[94:95] neg_lo:[0,0,1] neg_hi:[0,0,1]
	s_wait_loadcnt_dscnt 0x100
	v_pk_mul_f32 v[94:95], v[90:91], v[86:87] op_sel:[1,1] op_sel_hi:[0,1]
	v_pk_fma_f32 v[82:83], v[84:85], v[80:81], v[92:93] op_sel_hi:[1,0,1]
	v_mov_b32_e32 v79, v99
	v_pk_fma_f32 v[80:81], v[84:85], v[80:81], v[92:93] neg_lo:[0,0,1] neg_hi:[0,0,1]
	s_delay_alu instid0(VALU_DEP_4) | instskip(NEXT) | instid1(VALU_DEP_4)
	v_pk_fma_f32 v[84:85], v[90:91], v[86:87], v[94:95] neg_lo:[0,0,1] neg_hi:[0,0,1]
	v_mov_b32_e32 v81, v83
	s_delay_alu instid0(VALU_DEP_4) | instskip(SKIP_1) | instid1(VALU_DEP_2)
	v_pk_add_f32 v[78:79], v[78:79], 0 op_sel_hi:[1,0]
	v_pk_fma_f32 v[82:83], v[90:91], v[86:87], v[94:95] op_sel_hi:[1,0,1]
	v_pk_add_f32 v[78:79], v[78:79], v[80:81]
	s_delay_alu instid0(VALU_DEP_2) | instskip(NEXT) | instid1(VALU_DEP_1)
	v_mov_b32_e32 v85, v83
	v_pk_add_f32 v[78:79], v[78:79], v[84:85]
	s_wait_loadcnt 0x0
	s_delay_alu instid0(VALU_DEP_1)
	v_pk_add_f32 v[78:79], v[88:89], v[78:79] neg_lo:[0,1] neg_hi:[0,1]
	scratch_store_b64 off, v[78:79], off offset:272
	s_wait_xcnt 0x0
	v_cmpx_lt_u32_e32 33, v0
	s_cbranch_execz .LBB101_175
; %bb.174:
	scratch_load_b64 v[78:79], off, off offset:264
	v_mov_b64_e32 v[80:81], 0
	scratch_store_b64 off, v[80:81], off offset:264
	s_wait_loadcnt 0x0
	ds_store_b64 v1, v[78:79]
.LBB101_175:
	s_wait_xcnt 0x0
	s_or_b32 exec_lo, exec_lo, s0
	s_wait_storecnt_dscnt 0x0
	s_barrier_signal -1
	s_barrier_wait -1
	s_clause 0x2
	scratch_load_b128 v[78:81], off, off offset:272
	scratch_load_b128 v[82:85], off, off offset:288
	scratch_load_b64 v[94:95], off, off offset:264
	ds_load_b128 v[86:89], v7 offset:576
	ds_load_b128 v[90:93], v7 offset:592
	s_mov_b32 s0, exec_lo
	s_wait_dscnt 0x1
	v_dual_mov_b32 v96, v89 :: v_dual_mov_b32 v97, v88
	s_wait_loadcnt_dscnt 0x200
	v_dual_mov_b32 v102, v93 :: v_dual_mov_b32 v100, v81
	v_pk_mul_f32 v[98:99], v[86:87], v[78:79] op_sel:[1,1] op_sel_hi:[0,1]
	s_delay_alu instid0(VALU_DEP_2) | instskip(NEXT) | instid1(VALU_DEP_2)
	v_pk_mul_f32 v[96:97], v[96:97], v[100:101] op_sel_hi:[1,0]
	v_pk_fma_f32 v[104:105], v[86:87], v[78:79], v[98:99] op_sel_hi:[1,0,1]
	v_pk_fma_f32 v[78:79], v[86:87], v[78:79], v[98:99] neg_lo:[0,0,1] neg_hi:[0,0,1]
	v_mov_b32_e32 v103, v92
	s_wait_loadcnt 0x1
	v_pk_mul_f32 v[100:101], v[90:91], v[82:83] op_sel:[1,1] op_sel_hi:[0,1]
	v_pk_fma_f32 v[86:87], v[88:89], v[80:81], v[96:97] op_sel_hi:[1,0,1]
	v_dual_mov_b32 v79, v105 :: v_dual_mov_b32 v86, v85
	v_pk_fma_f32 v[80:81], v[88:89], v[80:81], v[96:97] neg_lo:[0,0,1] neg_hi:[0,0,1]
	s_delay_alu instid0(VALU_DEP_4) | instskip(NEXT) | instid1(VALU_DEP_4)
	v_pk_fma_f32 v[98:99], v[90:91], v[82:83], v[100:101] op_sel_hi:[1,0,1]
	v_mov_b32_e32 v81, v87
	s_delay_alu instid0(VALU_DEP_4) | instskip(SKIP_2) | instid1(VALU_DEP_3)
	v_pk_add_f32 v[78:79], v[78:79], 0 op_sel_hi:[1,0]
	v_pk_mul_f32 v[86:87], v[102:103], v[86:87] op_sel_hi:[1,0]
	v_pk_fma_f32 v[82:83], v[90:91], v[82:83], v[100:101] neg_lo:[0,0,1] neg_hi:[0,0,1]
	v_pk_add_f32 v[78:79], v[78:79], v[80:81]
	s_delay_alu instid0(VALU_DEP_3) | instskip(SKIP_2) | instid1(VALU_DEP_3)
	v_pk_fma_f32 v[80:81], v[92:93], v[84:85], v[86:87] op_sel_hi:[1,0,1]
	v_mov_b32_e32 v83, v99
	v_pk_fma_f32 v[84:85], v[92:93], v[84:85], v[86:87] neg_lo:[0,0,1] neg_hi:[0,0,1]
	v_mov_b32_e32 v85, v81
	s_delay_alu instid0(VALU_DEP_3) | instskip(NEXT) | instid1(VALU_DEP_1)
	v_pk_add_f32 v[78:79], v[78:79], v[82:83]
	v_pk_add_f32 v[78:79], v[78:79], v[84:85]
	s_wait_loadcnt 0x0
	s_delay_alu instid0(VALU_DEP_1)
	v_pk_add_f32 v[78:79], v[94:95], v[78:79] neg_lo:[0,1] neg_hi:[0,1]
	scratch_store_b64 off, v[78:79], off offset:264
	s_wait_xcnt 0x0
	v_cmpx_lt_u32_e32 32, v0
	s_cbranch_execz .LBB101_177
; %bb.176:
	scratch_load_b64 v[78:79], off, off offset:256
	v_mov_b64_e32 v[80:81], 0
	scratch_store_b64 off, v[80:81], off offset:256
	s_wait_loadcnt 0x0
	ds_store_b64 v1, v[78:79]
.LBB101_177:
	s_wait_xcnt 0x0
	s_or_b32 exec_lo, exec_lo, s0
	s_wait_storecnt_dscnt 0x0
	s_barrier_signal -1
	s_barrier_wait -1
	s_clause 0x3
	scratch_load_b128 v[78:81], off, off offset:264
	scratch_load_b128 v[82:85], off, off offset:280
	scratch_load_b64 v[94:95], off, off offset:296
	scratch_load_b64 v[96:97], off, off offset:256
	v_mov_b32_e32 v7, 0
	ds_load_2addr_b64 v[86:89], v7 offset0:71 offset1:72
	ds_load_2addr_b64 v[90:93], v7 offset0:73 offset1:74
	s_mov_b32 s0, exec_lo
	s_wait_dscnt 0x1
	v_dual_mov_b32 v98, v89 :: v_dual_mov_b32 v99, v88
	ds_load_b64 v[104:105], v7 offset:600
	s_wait_dscnt 0x1
	v_dual_mov_b32 v106, v93 :: v_dual_mov_b32 v107, v92
	s_wait_loadcnt 0x3
	v_pk_mul_f32 v[100:101], v[86:87], v[78:79] op_sel:[1,1] op_sel_hi:[0,1]
	v_mov_b32_e32 v102, v81
	s_delay_alu instid0(VALU_DEP_2) | instskip(NEXT) | instid1(VALU_DEP_2)
	v_pk_fma_f32 v[108:109], v[86:87], v[78:79], v[100:101] op_sel_hi:[1,0,1]
	v_pk_mul_f32 v[98:99], v[98:99], v[102:103] op_sel_hi:[1,0]
	v_pk_fma_f32 v[78:79], v[86:87], v[78:79], v[100:101] neg_lo:[0,0,1] neg_hi:[0,0,1]
	s_wait_loadcnt 0x2
	v_pk_mul_f32 v[102:103], v[90:91], v[82:83] op_sel:[1,1] op_sel_hi:[0,1]
	v_dual_mov_b32 v108, v85 :: v_dual_mov_b32 v79, v109
	v_pk_fma_f32 v[86:87], v[88:89], v[80:81], v[98:99] op_sel_hi:[1,0,1]
	v_pk_fma_f32 v[80:81], v[88:89], v[80:81], v[98:99] neg_lo:[0,0,1] neg_hi:[0,0,1]
	s_delay_alu instid0(VALU_DEP_4) | instskip(NEXT) | instid1(VALU_DEP_4)
	v_pk_fma_f32 v[100:101], v[90:91], v[82:83], v[102:103] op_sel_hi:[1,0,1]
	v_pk_mul_f32 v[106:107], v[106:107], v[108:109] op_sel_hi:[1,0]
	v_pk_add_f32 v[78:79], v[78:79], 0 op_sel_hi:[1,0]
	v_mov_b32_e32 v81, v87
	v_pk_fma_f32 v[82:83], v[90:91], v[82:83], v[102:103] neg_lo:[0,0,1] neg_hi:[0,0,1]
	v_mov_b32_e32 v83, v101
	v_pk_fma_f32 v[86:87], v[92:93], v[84:85], v[106:107] op_sel_hi:[1,0,1]
	v_pk_fma_f32 v[84:85], v[92:93], v[84:85], v[106:107] neg_lo:[0,0,1] neg_hi:[0,0,1]
	v_pk_add_f32 v[78:79], v[78:79], v[80:81]
	s_wait_loadcnt_dscnt 0x100
	v_pk_mul_f32 v[80:81], v[104:105], v[94:95] op_sel:[1,1] op_sel_hi:[0,1]
	s_delay_alu instid0(VALU_DEP_2) | instskip(NEXT) | instid1(VALU_DEP_2)
	v_pk_add_f32 v[78:79], v[78:79], v[82:83]
	v_pk_fma_f32 v[82:83], v[104:105], v[94:95], v[80:81] op_sel_hi:[1,0,1]
	v_mov_b32_e32 v85, v87
	v_pk_fma_f32 v[80:81], v[104:105], v[94:95], v[80:81] neg_lo:[0,0,1] neg_hi:[0,0,1]
	s_delay_alu instid0(VALU_DEP_3) | instskip(NEXT) | instid1(VALU_DEP_3)
	v_mov_b32_e32 v81, v83
	v_pk_add_f32 v[78:79], v[78:79], v[84:85]
	s_delay_alu instid0(VALU_DEP_1) | instskip(SKIP_1) | instid1(VALU_DEP_1)
	v_pk_add_f32 v[78:79], v[78:79], v[80:81]
	s_wait_loadcnt 0x0
	v_pk_add_f32 v[78:79], v[96:97], v[78:79] neg_lo:[0,1] neg_hi:[0,1]
	scratch_store_b64 off, v[78:79], off offset:256
	s_wait_xcnt 0x0
	v_cmpx_lt_u32_e32 31, v0
	s_cbranch_execz .LBB101_179
; %bb.178:
	scratch_load_b64 v[78:79], off, off offset:248
	v_mov_b64_e32 v[80:81], 0
	scratch_store_b64 off, v[80:81], off offset:248
	s_wait_loadcnt 0x0
	ds_store_b64 v1, v[78:79]
.LBB101_179:
	s_wait_xcnt 0x0
	s_or_b32 exec_lo, exec_lo, s0
	s_wait_storecnt_dscnt 0x0
	s_barrier_signal -1
	s_barrier_wait -1
	s_clause 0x3
	scratch_load_b128 v[78:81], off, off offset:256
	scratch_load_b128 v[82:85], off, off offset:272
	;; [unrolled: 1-line block ×3, first 2 shown]
	scratch_load_b64 v[102:103], off, off offset:248
	ds_load_b128 v[90:93], v7 offset:560
	ds_load_b128 v[94:97], v7 offset:576
	;; [unrolled: 1-line block ×3, first 2 shown]
	s_mov_b32 s0, exec_lo
	s_wait_dscnt 0x2
	v_dual_mov_b32 v104, v93 :: v_dual_mov_b32 v105, v92
	s_wait_dscnt 0x1
	v_dual_mov_b32 v106, v97 :: v_dual_mov_b32 v107, v96
	;; [unrolled: 2-line block ×3, first 2 shown]
	s_wait_loadcnt 0x3
	v_pk_mul_f32 v[108:109], v[90:91], v[78:79] op_sel:[1,1] op_sel_hi:[0,1]
	v_mov_b32_e32 v110, v81
	s_delay_alu instid0(VALU_DEP_2) | instskip(NEXT) | instid1(VALU_DEP_2)
	v_pk_fma_f32 v[114:115], v[90:91], v[78:79], v[108:109] op_sel_hi:[1,0,1]
	v_pk_mul_f32 v[104:105], v[104:105], v[110:111] op_sel_hi:[1,0]
	v_pk_fma_f32 v[78:79], v[90:91], v[78:79], v[108:109] neg_lo:[0,0,1] neg_hi:[0,0,1]
	s_wait_loadcnt 0x2
	v_pk_mul_f32 v[110:111], v[94:95], v[82:83] op_sel:[1,1] op_sel_hi:[0,1]
	v_mov_b32_e32 v114, v85
	v_pk_fma_f32 v[90:91], v[92:93], v[80:81], v[104:105] op_sel_hi:[1,0,1]
	v_mov_b32_e32 v79, v115
	v_pk_fma_f32 v[80:81], v[92:93], v[80:81], v[104:105] neg_lo:[0,0,1] neg_hi:[0,0,1]
	v_pk_fma_f32 v[108:109], v[94:95], v[82:83], v[110:111] op_sel_hi:[1,0,1]
	v_pk_mul_f32 v[106:107], v[106:107], v[114:115] op_sel_hi:[1,0]
	v_mov_b32_e32 v81, v91
	v_pk_add_f32 v[78:79], v[78:79], 0 op_sel_hi:[1,0]
	v_pk_fma_f32 v[82:83], v[94:95], v[82:83], v[110:111] neg_lo:[0,0,1] neg_hi:[0,0,1]
	s_wait_loadcnt 0x1
	v_pk_mul_f32 v[90:91], v[98:99], v[86:87] op_sel:[1,1] op_sel_hi:[0,1]
	v_mov_b32_e32 v83, v109
	v_pk_fma_f32 v[92:93], v[96:97], v[84:85], v[106:107] op_sel_hi:[1,0,1]
	v_pk_add_f32 v[78:79], v[78:79], v[80:81]
	v_mov_b32_e32 v80, v89
	v_pk_fma_f32 v[84:85], v[96:97], v[84:85], v[106:107] neg_lo:[0,0,1] neg_hi:[0,0,1]
	v_pk_fma_f32 v[94:95], v[98:99], v[86:87], v[90:91] op_sel_hi:[1,0,1]
	v_mov_b32_e32 v85, v93
	v_pk_add_f32 v[78:79], v[78:79], v[82:83]
	v_pk_mul_f32 v[80:81], v[112:113], v[80:81] op_sel_hi:[1,0]
	v_pk_fma_f32 v[82:83], v[98:99], v[86:87], v[90:91] neg_lo:[0,0,1] neg_hi:[0,0,1]
	v_mov_b32_e32 v83, v95
	s_delay_alu instid0(VALU_DEP_4) | instskip(NEXT) | instid1(VALU_DEP_4)
	v_pk_add_f32 v[78:79], v[78:79], v[84:85]
	v_pk_fma_f32 v[84:85], v[100:101], v[88:89], v[80:81] op_sel_hi:[1,0,1]
	v_pk_fma_f32 v[80:81], v[100:101], v[88:89], v[80:81] neg_lo:[0,0,1] neg_hi:[0,0,1]
	s_delay_alu instid0(VALU_DEP_3) | instskip(NEXT) | instid1(VALU_DEP_3)
	v_pk_add_f32 v[78:79], v[78:79], v[82:83]
	v_mov_b32_e32 v81, v85
	s_delay_alu instid0(VALU_DEP_1) | instskip(SKIP_1) | instid1(VALU_DEP_1)
	v_pk_add_f32 v[78:79], v[78:79], v[80:81]
	s_wait_loadcnt 0x0
	v_pk_add_f32 v[78:79], v[102:103], v[78:79] neg_lo:[0,1] neg_hi:[0,1]
	scratch_store_b64 off, v[78:79], off offset:248
	s_wait_xcnt 0x0
	v_cmpx_lt_u32_e32 30, v0
	s_cbranch_execz .LBB101_181
; %bb.180:
	scratch_load_b64 v[78:79], off, off offset:240
	v_mov_b64_e32 v[80:81], 0
	scratch_store_b64 off, v[80:81], off offset:240
	s_wait_loadcnt 0x0
	ds_store_b64 v1, v[78:79]
.LBB101_181:
	s_wait_xcnt 0x0
	s_or_b32 exec_lo, exec_lo, s0
	s_wait_storecnt_dscnt 0x0
	s_barrier_signal -1
	s_barrier_wait -1
	s_clause 0x4
	scratch_load_b128 v[78:81], off, off offset:248
	scratch_load_b128 v[82:85], off, off offset:264
	;; [unrolled: 1-line block ×3, first 2 shown]
	scratch_load_b64 v[102:103], off, off offset:296
	scratch_load_b64 v[104:105], off, off offset:240
	v_mov_b32_e32 v7, 0
	ds_load_2addr_b64 v[90:93], v7 offset0:69 offset1:70
	ds_load_2addr_b64 v[94:97], v7 offset0:71 offset1:72
	;; [unrolled: 1-line block ×3, first 2 shown]
	ds_load_b64 v[106:107], v7 offset:600
	s_mov_b32 s0, exec_lo
	s_wait_dscnt 0x3
	v_dual_mov_b32 v108, v93 :: v_dual_mov_b32 v109, v92
	s_wait_dscnt 0x2
	v_dual_mov_b32 v110, v97 :: v_dual_mov_b32 v111, v96
	s_wait_dscnt 0x1
	v_dual_mov_b32 v116, v101 :: v_dual_mov_b32 v117, v100
	s_wait_loadcnt 0x4
	v_pk_mul_f32 v[112:113], v[90:91], v[78:79] op_sel:[1,1] op_sel_hi:[0,1]
	v_mov_b32_e32 v114, v81
	s_wait_loadcnt 0x3
	v_pk_mul_f32 v[118:119], v[94:95], v[82:83] op_sel:[1,1] op_sel_hi:[0,1]
	s_wait_loadcnt 0x2
	v_pk_mul_f32 v[122:123], v[98:99], v[86:87] op_sel:[1,1] op_sel_hi:[0,1]
	v_pk_fma_f32 v[120:121], v[90:91], v[78:79], v[112:113] op_sel_hi:[1,0,1]
	v_pk_mul_f32 v[108:109], v[108:109], v[114:115] op_sel_hi:[1,0]
	v_pk_fma_f32 v[78:79], v[90:91], v[78:79], v[112:113] neg_lo:[0,0,1] neg_hi:[0,0,1]
	v_mov_b32_e32 v114, v85
	v_pk_fma_f32 v[112:113], v[94:95], v[82:83], v[118:119] op_sel_hi:[1,0,1]
	v_mov_b32_e32 v79, v121
	v_pk_fma_f32 v[90:91], v[92:93], v[80:81], v[108:109] op_sel_hi:[1,0,1]
	v_pk_fma_f32 v[80:81], v[92:93], v[80:81], v[108:109] neg_lo:[0,0,1] neg_hi:[0,0,1]
	v_pk_mul_f32 v[110:111], v[110:111], v[114:115] op_sel_hi:[1,0]
	v_pk_fma_f32 v[82:83], v[94:95], v[82:83], v[118:119] neg_lo:[0,0,1] neg_hi:[0,0,1]
	v_pk_add_f32 v[78:79], v[78:79], 0 op_sel_hi:[1,0]
	v_dual_mov_b32 v81, v91 :: v_dual_mov_b32 v90, v89
	s_delay_alu instid0(VALU_DEP_4) | instskip(SKIP_2) | instid1(VALU_DEP_4)
	v_pk_fma_f32 v[92:93], v[96:97], v[84:85], v[110:111] op_sel_hi:[1,0,1]
	v_mov_b32_e32 v83, v113
	v_pk_fma_f32 v[84:85], v[96:97], v[84:85], v[110:111] neg_lo:[0,0,1] neg_hi:[0,0,1]
	v_pk_add_f32 v[78:79], v[78:79], v[80:81]
	v_pk_fma_f32 v[80:81], v[98:99], v[86:87], v[122:123] op_sel_hi:[1,0,1]
	v_pk_mul_f32 v[90:91], v[116:117], v[90:91] op_sel_hi:[1,0]
	v_mov_b32_e32 v85, v93
	s_delay_alu instid0(VALU_DEP_4)
	v_pk_add_f32 v[78:79], v[78:79], v[82:83]
	v_pk_fma_f32 v[82:83], v[98:99], v[86:87], v[122:123] neg_lo:[0,0,1] neg_hi:[0,0,1]
	v_mov_b32_e32 v83, v81
	v_pk_fma_f32 v[80:81], v[100:101], v[88:89], v[90:91] op_sel_hi:[1,0,1]
	v_pk_fma_f32 v[86:87], v[100:101], v[88:89], v[90:91] neg_lo:[0,0,1] neg_hi:[0,0,1]
	v_pk_add_f32 v[78:79], v[78:79], v[84:85]
	s_wait_loadcnt_dscnt 0x100
	v_pk_mul_f32 v[84:85], v[106:107], v[102:103] op_sel:[1,1] op_sel_hi:[0,1]
	v_mov_b32_e32 v87, v81
	s_delay_alu instid0(VALU_DEP_3) | instskip(NEXT) | instid1(VALU_DEP_3)
	v_pk_add_f32 v[78:79], v[78:79], v[82:83]
	v_pk_fma_f32 v[80:81], v[106:107], v[102:103], v[84:85] op_sel_hi:[1,0,1]
	v_pk_fma_f32 v[82:83], v[106:107], v[102:103], v[84:85] neg_lo:[0,0,1] neg_hi:[0,0,1]
	s_delay_alu instid0(VALU_DEP_3) | instskip(NEXT) | instid1(VALU_DEP_3)
	v_pk_add_f32 v[78:79], v[78:79], v[86:87]
	v_mov_b32_e32 v83, v81
	s_delay_alu instid0(VALU_DEP_1) | instskip(SKIP_1) | instid1(VALU_DEP_1)
	v_pk_add_f32 v[78:79], v[78:79], v[82:83]
	s_wait_loadcnt 0x0
	v_pk_add_f32 v[78:79], v[104:105], v[78:79] neg_lo:[0,1] neg_hi:[0,1]
	scratch_store_b64 off, v[78:79], off offset:240
	s_wait_xcnt 0x0
	v_cmpx_lt_u32_e32 29, v0
	s_cbranch_execz .LBB101_183
; %bb.182:
	scratch_load_b64 v[78:79], off, off offset:232
	v_mov_b64_e32 v[80:81], 0
	scratch_store_b64 off, v[80:81], off offset:232
	s_wait_loadcnt 0x0
	ds_store_b64 v1, v[78:79]
.LBB101_183:
	s_wait_xcnt 0x0
	s_or_b32 exec_lo, exec_lo, s0
	s_wait_storecnt_dscnt 0x0
	s_barrier_signal -1
	s_barrier_wait -1
	s_clause 0x4
	scratch_load_b128 v[78:81], off, off offset:240
	scratch_load_b128 v[82:85], off, off offset:256
	;; [unrolled: 1-line block ×4, first 2 shown]
	scratch_load_b64 v[110:111], off, off offset:232
	ds_load_b128 v[94:97], v7 offset:544
	ds_load_b128 v[98:101], v7 offset:560
	;; [unrolled: 1-line block ×4, first 2 shown]
	s_mov_b32 s0, exec_lo
	s_wait_dscnt 0x3
	v_dual_mov_b32 v112, v97 :: v_dual_mov_b32 v113, v96
	s_wait_dscnt 0x2
	v_dual_mov_b32 v114, v101 :: v_dual_mov_b32 v115, v100
	;; [unrolled: 2-line block ×3, first 2 shown]
	v_dual_mov_b32 v117, v104 :: v_dual_mov_b32 v122, v109
	s_wait_loadcnt 0x4
	v_mov_b32_e32 v120, v81
	v_pk_mul_f32 v[118:119], v[94:95], v[78:79] op_sel:[1,1] op_sel_hi:[0,1]
	s_wait_loadcnt 0x3
	v_pk_mul_f32 v[124:125], v[98:99], v[82:83] op_sel:[1,1] op_sel_hi:[0,1]
	s_wait_loadcnt 0x2
	v_pk_mul_f32 v[128:129], v[102:103], v[86:87] op_sel:[1,1] op_sel_hi:[0,1]
	v_pk_mul_f32 v[112:113], v[112:113], v[120:121] op_sel_hi:[1,0]
	v_pk_fma_f32 v[126:127], v[94:95], v[78:79], v[118:119] op_sel_hi:[1,0,1]
	v_pk_fma_f32 v[78:79], v[94:95], v[78:79], v[118:119] neg_lo:[0,0,1] neg_hi:[0,0,1]
	v_mov_b32_e32 v120, v85
	v_pk_fma_f32 v[118:119], v[98:99], v[82:83], v[124:125] op_sel_hi:[1,0,1]
	v_pk_fma_f32 v[94:95], v[96:97], v[80:81], v[112:113] op_sel_hi:[1,0,1]
	v_mov_b32_e32 v79, v127
	v_pk_fma_f32 v[80:81], v[96:97], v[80:81], v[112:113] neg_lo:[0,0,1] neg_hi:[0,0,1]
	v_pk_mul_f32 v[114:115], v[114:115], v[120:121] op_sel_hi:[1,0]
	s_delay_alu instid0(VALU_DEP_4) | instskip(NEXT) | instid1(VALU_DEP_4)
	v_dual_mov_b32 v94, v89 :: v_dual_mov_b32 v81, v95
	v_pk_add_f32 v[78:79], v[78:79], 0 op_sel_hi:[1,0]
	v_pk_fma_f32 v[82:83], v[98:99], v[82:83], v[124:125] neg_lo:[0,0,1] neg_hi:[0,0,1]
	v_mov_b32_e32 v83, v119
	v_pk_fma_f32 v[96:97], v[100:101], v[84:85], v[114:115] op_sel_hi:[1,0,1]
	v_pk_mul_f32 v[94:95], v[116:117], v[94:95] op_sel_hi:[1,0]
	v_pk_add_f32 v[78:79], v[78:79], v[80:81]
	v_pk_fma_f32 v[80:81], v[102:103], v[86:87], v[128:129] op_sel_hi:[1,0,1]
	v_pk_fma_f32 v[84:85], v[100:101], v[84:85], v[114:115] neg_lo:[0,0,1] neg_hi:[0,0,1]
	v_mov_b32_e32 v85, v97
	v_pk_fma_f32 v[86:87], v[102:103], v[86:87], v[128:129] neg_lo:[0,0,1] neg_hi:[0,0,1]
	v_pk_add_f32 v[78:79], v[78:79], v[82:83]
	v_mov_b32_e32 v87, v81
	v_pk_fma_f32 v[80:81], v[104:105], v[88:89], v[94:95] op_sel_hi:[1,0,1]
	s_wait_loadcnt 0x1
	v_pk_mul_f32 v[82:83], v[106:107], v[90:91] op_sel:[1,1] op_sel_hi:[0,1]
	v_mov_b32_e32 v80, v93
	v_pk_add_f32 v[78:79], v[78:79], v[84:85]
	v_pk_fma_f32 v[88:89], v[104:105], v[88:89], v[94:95] neg_lo:[0,0,1] neg_hi:[0,0,1]
	v_mov_b32_e32 v89, v81
	v_pk_fma_f32 v[84:85], v[106:107], v[90:91], v[82:83] op_sel_hi:[1,0,1]
	v_pk_mul_f32 v[80:81], v[122:123], v[80:81] op_sel_hi:[1,0]
	v_pk_add_f32 v[78:79], v[78:79], v[86:87]
	v_pk_fma_f32 v[82:83], v[106:107], v[90:91], v[82:83] neg_lo:[0,0,1] neg_hi:[0,0,1]
	s_delay_alu instid0(VALU_DEP_4) | instskip(NEXT) | instid1(VALU_DEP_4)
	v_mov_b32_e32 v83, v85
	v_pk_fma_f32 v[84:85], v[108:109], v[92:93], v[80:81] op_sel_hi:[1,0,1]
	s_delay_alu instid0(VALU_DEP_4) | instskip(SKIP_1) | instid1(VALU_DEP_3)
	v_pk_add_f32 v[78:79], v[78:79], v[88:89]
	v_pk_fma_f32 v[80:81], v[108:109], v[92:93], v[80:81] neg_lo:[0,0,1] neg_hi:[0,0,1]
	v_mov_b32_e32 v81, v85
	s_delay_alu instid0(VALU_DEP_3) | instskip(NEXT) | instid1(VALU_DEP_1)
	v_pk_add_f32 v[78:79], v[78:79], v[82:83]
	v_pk_add_f32 v[78:79], v[78:79], v[80:81]
	s_wait_loadcnt 0x0
	s_delay_alu instid0(VALU_DEP_1)
	v_pk_add_f32 v[78:79], v[110:111], v[78:79] neg_lo:[0,1] neg_hi:[0,1]
	scratch_store_b64 off, v[78:79], off offset:232
	s_wait_xcnt 0x0
	v_cmpx_lt_u32_e32 28, v0
	s_cbranch_execz .LBB101_185
; %bb.184:
	scratch_load_b64 v[78:79], off, off offset:224
	v_mov_b64_e32 v[80:81], 0
	scratch_store_b64 off, v[80:81], off offset:224
	s_wait_loadcnt 0x0
	ds_store_b64 v1, v[78:79]
.LBB101_185:
	s_wait_xcnt 0x0
	s_or_b32 exec_lo, exec_lo, s0
	s_wait_storecnt_dscnt 0x0
	s_barrier_signal -1
	s_barrier_wait -1
	s_clause 0x5
	scratch_load_b128 v[78:81], off, off offset:232
	scratch_load_b128 v[82:85], off, off offset:248
	;; [unrolled: 1-line block ×4, first 2 shown]
	scratch_load_b64 v[110:111], off, off offset:296
	scratch_load_b64 v[112:113], off, off offset:224
	v_mov_b32_e32 v7, 0
	ds_load_2addr_b64 v[94:97], v7 offset0:67 offset1:68
	ds_load_2addr_b64 v[98:101], v7 offset0:69 offset1:70
	;; [unrolled: 1-line block ×4, first 2 shown]
	ds_load_b64 v[114:115], v7 offset:600
	s_mov_b32 s0, exec_lo
	s_wait_dscnt 0x4
	v_dual_mov_b32 v116, v97 :: v_dual_mov_b32 v117, v96
	s_wait_dscnt 0x1
	v_dual_mov_b32 v118, v101 :: v_dual_mov_b32 v123, v108
	v_dual_mov_b32 v119, v100 :: v_dual_mov_b32 v120, v105
	;; [unrolled: 1-line block ×3, first 2 shown]
	s_wait_loadcnt 0x5
	v_dual_mov_b32 v124, v81 :: v_dual_mul_f32 v125, v94, v79
	v_mul_f32_e32 v9, v95, v79
	s_wait_loadcnt 0x4
	v_pk_mul_f32 v[126:127], v[98:99], v[82:83] op_sel:[1,1] op_sel_hi:[0,1]
	v_mov_b32_e32 v128, v85
	s_wait_loadcnt 0x3
	v_pk_mul_f32 v[130:131], v[102:103], v[86:87] op_sel:[1,1] op_sel_hi:[0,1]
	v_pk_mul_f32 v[116:117], v[116:117], v[124:125] op_sel_hi:[1,0]
	v_fmac_f32_e32 v125, v95, v78
	v_dual_fma_f32 v124, v94, v78, -v9 :: v_dual_mov_b32 v78, v89
	v_pk_fma_f32 v[132:133], v[98:99], v[82:83], v[126:127] op_sel_hi:[1,0,1]
	s_delay_alu instid0(VALU_DEP_4)
	v_pk_fma_f32 v[94:95], v[96:97], v[80:81], v[116:117] op_sel_hi:[1,0,1]
	v_pk_fma_f32 v[80:81], v[96:97], v[80:81], v[116:117] neg_lo:[0,0,1] neg_hi:[0,0,1]
	v_pk_mul_f32 v[118:119], v[118:119], v[128:129] op_sel_hi:[1,0]
	v_pk_add_f32 v[124:125], v[124:125], 0 op_sel_hi:[1,0]
	v_pk_fma_f32 v[82:83], v[98:99], v[82:83], v[126:127] neg_lo:[0,0,1] neg_hi:[0,0,1]
	v_dual_mov_b32 v81, v95 :: v_dual_mov_b32 v83, v133
	s_delay_alu instid0(VALU_DEP_4) | instskip(SKIP_2) | instid1(VALU_DEP_4)
	v_pk_fma_f32 v[96:97], v[100:101], v[84:85], v[118:119] op_sel_hi:[1,0,1]
	v_pk_fma_f32 v[84:85], v[100:101], v[84:85], v[118:119] neg_lo:[0,0,1] neg_hi:[0,0,1]
	v_pk_fma_f32 v[98:99], v[102:103], v[86:87], v[130:131] op_sel_hi:[1,0,1]
	v_pk_add_f32 v[80:81], v[124:125], v[80:81]
	v_pk_mul_f32 v[78:79], v[120:121], v[78:79] op_sel_hi:[1,0]
	v_mov_b32_e32 v85, v97
	v_pk_fma_f32 v[86:87], v[102:103], v[86:87], v[130:131] neg_lo:[0,0,1] neg_hi:[0,0,1]
	s_wait_loadcnt 0x2
	v_pk_mul_f32 v[94:95], v[106:107], v[90:91] op_sel:[1,1] op_sel_hi:[0,1]
	v_pk_add_f32 v[80:81], v[80:81], v[82:83]
	v_mov_b32_e32 v82, v93
	v_pk_fma_f32 v[96:97], v[104:105], v[88:89], v[78:79] op_sel_hi:[1,0,1]
	v_mov_b32_e32 v87, v99
	v_pk_fma_f32 v[78:79], v[104:105], v[88:89], v[78:79] neg_lo:[0,0,1] neg_hi:[0,0,1]
	v_pk_add_f32 v[80:81], v[80:81], v[84:85]
	v_pk_fma_f32 v[84:85], v[106:107], v[90:91], v[94:95] op_sel_hi:[1,0,1]
	v_pk_mul_f32 v[82:83], v[122:123], v[82:83] op_sel_hi:[1,0]
	v_mov_b32_e32 v79, v97
	s_delay_alu instid0(VALU_DEP_4)
	v_pk_add_f32 v[80:81], v[80:81], v[86:87]
	v_pk_fma_f32 v[86:87], v[106:107], v[90:91], v[94:95] neg_lo:[0,0,1] neg_hi:[0,0,1]
	v_mov_b32_e32 v87, v85
	v_pk_fma_f32 v[84:85], v[108:109], v[92:93], v[82:83] op_sel_hi:[1,0,1]
	v_pk_fma_f32 v[82:83], v[108:109], v[92:93], v[82:83] neg_lo:[0,0,1] neg_hi:[0,0,1]
	v_pk_add_f32 v[78:79], v[80:81], v[78:79]
	s_wait_loadcnt_dscnt 0x100
	v_pk_mul_f32 v[80:81], v[114:115], v[110:111] op_sel:[1,1] op_sel_hi:[0,1]
	v_mov_b32_e32 v83, v85
	s_delay_alu instid0(VALU_DEP_3) | instskip(NEXT) | instid1(VALU_DEP_3)
	v_pk_add_f32 v[78:79], v[78:79], v[86:87]
	v_pk_fma_f32 v[84:85], v[114:115], v[110:111], v[80:81] op_sel_hi:[1,0,1]
	v_pk_fma_f32 v[80:81], v[114:115], v[110:111], v[80:81] neg_lo:[0,0,1] neg_hi:[0,0,1]
	s_delay_alu instid0(VALU_DEP_3) | instskip(NEXT) | instid1(VALU_DEP_3)
	v_pk_add_f32 v[78:79], v[78:79], v[82:83]
	v_mov_b32_e32 v81, v85
	s_delay_alu instid0(VALU_DEP_1) | instskip(SKIP_1) | instid1(VALU_DEP_1)
	v_pk_add_f32 v[78:79], v[78:79], v[80:81]
	s_wait_loadcnt 0x0
	v_pk_add_f32 v[78:79], v[112:113], v[78:79] neg_lo:[0,1] neg_hi:[0,1]
	scratch_store_b64 off, v[78:79], off offset:224
	s_wait_xcnt 0x0
	v_cmpx_lt_u32_e32 27, v0
	s_cbranch_execz .LBB101_187
; %bb.186:
	scratch_load_b64 v[78:79], off, off offset:216
	v_mov_b64_e32 v[80:81], 0
	scratch_store_b64 off, v[80:81], off offset:216
	s_wait_loadcnt 0x0
	ds_store_b64 v1, v[78:79]
.LBB101_187:
	s_wait_xcnt 0x0
	s_or_b32 exec_lo, exec_lo, s0
	s_wait_storecnt_dscnt 0x0
	s_barrier_signal -1
	s_barrier_wait -1
	s_clause 0x5
	scratch_load_b128 v[78:81], off, off offset:224
	scratch_load_b128 v[82:85], off, off offset:240
	;; [unrolled: 1-line block ×5, first 2 shown]
	scratch_load_b64 v[118:119], off, off offset:216
	ds_load_b128 v[98:101], v7 offset:544
	ds_load_b128 v[102:105], v7 offset:560
	;; [unrolled: 1-line block ×5, first 2 shown]
	s_mov_b32 s0, exec_lo
	s_wait_dscnt 0x4
	v_dual_mov_b32 v120, v101 :: v_dual_mov_b32 v121, v100
	s_wait_dscnt 0x3
	v_dual_mov_b32 v122, v105 :: v_dual_mov_b32 v123, v104
	;; [unrolled: 2-line block ×4, first 2 shown]
	s_wait_loadcnt_dscnt 0x500
	v_dual_mul_f32 v129, v114, v79 :: v_dual_mul_f32 v131, v116, v81
	v_dual_mul_f32 v7, v115, v79 :: v_dual_mul_f32 v9, v117, v81
	s_wait_loadcnt 0x4
	v_pk_mul_f32 v[132:133], v[98:99], v[82:83] op_sel:[1,1] op_sel_hi:[0,1]
	s_wait_loadcnt 0x3
	v_dual_mov_b32 v134, v85 :: v_dual_mov_b32 v138, v89
	v_dual_fmac_f32 v129, v115, v78 :: v_dual_fma_f32 v128, v114, v78, -v7
	v_dual_fmac_f32 v131, v117, v80 :: v_dual_fma_f32 v130, v116, v80, -v9
	v_pk_fma_f32 v[78:79], v[98:99], v[82:83], v[132:133] op_sel_hi:[1,0,1]
	s_delay_alu instid0(VALU_DEP_4) | instskip(NEXT) | instid1(VALU_DEP_4)
	v_pk_mul_f32 v[80:81], v[120:121], v[134:135] op_sel_hi:[1,0]
	v_pk_add_f32 v[114:115], v[128:129], 0 op_sel_hi:[1,0]
	v_pk_fma_f32 v[82:83], v[98:99], v[82:83], v[132:133] neg_lo:[0,0,1] neg_hi:[0,0,1]
	v_pk_mul_f32 v[136:137], v[102:103], v[86:87] op_sel:[1,1] op_sel_hi:[0,1]
	v_mov_b32_e32 v83, v79
	v_pk_fma_f32 v[78:79], v[100:101], v[84:85], v[80:81] op_sel_hi:[1,0,1]
	v_pk_add_f32 v[98:99], v[114:115], v[130:131]
	v_pk_fma_f32 v[80:81], v[100:101], v[84:85], v[80:81] neg_lo:[0,0,1] neg_hi:[0,0,1]
	v_pk_fma_f32 v[114:115], v[102:103], v[86:87], v[136:137] op_sel_hi:[1,0,1]
	v_pk_mul_f32 v[120:121], v[122:123], v[138:139] op_sel_hi:[1,0]
	v_mov_b32_e32 v81, v79
	v_pk_add_f32 v[78:79], v[98:99], v[82:83]
	s_wait_loadcnt 0x2
	v_pk_mul_f32 v[116:117], v[106:107], v[90:91] op_sel:[1,1] op_sel_hi:[0,1]
	v_mov_b32_e32 v82, v93
	v_pk_fma_f32 v[84:85], v[102:103], v[86:87], v[136:137] neg_lo:[0,0,1] neg_hi:[0,0,1]
	v_mov_b32_e32 v85, v115
	v_pk_fma_f32 v[86:87], v[104:105], v[88:89], v[120:121] op_sel_hi:[1,0,1]
	v_pk_add_f32 v[78:79], v[78:79], v[80:81]
	v_pk_fma_f32 v[80:81], v[106:107], v[90:91], v[116:117] op_sel_hi:[1,0,1]
	v_pk_mul_f32 v[82:83], v[124:125], v[82:83] op_sel_hi:[1,0]
	v_pk_fma_f32 v[88:89], v[104:105], v[88:89], v[120:121] neg_lo:[0,0,1] neg_hi:[0,0,1]
	v_mov_b32_e32 v89, v87
	v_pk_add_f32 v[78:79], v[78:79], v[84:85]
	v_pk_fma_f32 v[86:87], v[106:107], v[90:91], v[116:117] neg_lo:[0,0,1] neg_hi:[0,0,1]
	v_mov_b32_e32 v87, v81
	v_pk_fma_f32 v[80:81], v[108:109], v[92:93], v[82:83] op_sel_hi:[1,0,1]
	s_wait_loadcnt 0x1
	v_pk_mul_f32 v[84:85], v[110:111], v[94:95] op_sel:[1,1] op_sel_hi:[0,1]
	v_pk_add_f32 v[78:79], v[78:79], v[88:89]
	v_mov_b32_e32 v80, v97
	v_pk_fma_f32 v[82:83], v[108:109], v[92:93], v[82:83] neg_lo:[0,0,1] neg_hi:[0,0,1]
	v_mov_b32_e32 v83, v81
	v_pk_fma_f32 v[88:89], v[110:111], v[94:95], v[84:85] op_sel_hi:[1,0,1]
	v_pk_add_f32 v[78:79], v[78:79], v[86:87]
	v_pk_mul_f32 v[80:81], v[126:127], v[80:81] op_sel_hi:[1,0]
	v_pk_fma_f32 v[84:85], v[110:111], v[94:95], v[84:85] neg_lo:[0,0,1] neg_hi:[0,0,1]
	s_delay_alu instid0(VALU_DEP_3) | instskip(NEXT) | instid1(VALU_DEP_3)
	v_pk_add_f32 v[78:79], v[78:79], v[82:83]
	v_pk_fma_f32 v[82:83], v[112:113], v[96:97], v[80:81] op_sel_hi:[1,0,1]
	v_mov_b32_e32 v85, v89
	v_pk_fma_f32 v[80:81], v[112:113], v[96:97], v[80:81] neg_lo:[0,0,1] neg_hi:[0,0,1]
	s_delay_alu instid0(VALU_DEP_3) | instskip(NEXT) | instid1(VALU_DEP_3)
	v_mov_b32_e32 v81, v83
	v_pk_add_f32 v[78:79], v[78:79], v[84:85]
	s_delay_alu instid0(VALU_DEP_1) | instskip(SKIP_1) | instid1(VALU_DEP_1)
	v_pk_add_f32 v[78:79], v[78:79], v[80:81]
	s_wait_loadcnt 0x0
	v_pk_add_f32 v[78:79], v[118:119], v[78:79] neg_lo:[0,1] neg_hi:[0,1]
	scratch_store_b64 off, v[78:79], off offset:216
	s_wait_xcnt 0x0
	v_cmpx_lt_u32_e32 26, v0
	s_cbranch_execz .LBB101_189
; %bb.188:
	scratch_load_b64 v[78:79], off, off offset:208
	v_mov_b64_e32 v[80:81], 0
	scratch_store_b64 off, v[80:81], off offset:208
	s_wait_loadcnt 0x0
	ds_store_b64 v1, v[78:79]
.LBB101_189:
	s_wait_xcnt 0x0
	s_or_b32 exec_lo, exec_lo, s0
	s_wait_storecnt_dscnt 0x0
	s_barrier_signal -1
	s_barrier_wait -1
	s_clause 0x6
	scratch_load_b128 v[78:81], off, off offset:216
	scratch_load_b128 v[82:85], off, off offset:232
	;; [unrolled: 1-line block ×5, first 2 shown]
	scratch_load_b64 v[118:119], off, off offset:296
	scratch_load_b64 v[120:121], off, off offset:208
	v_mov_b32_e32 v7, 0
	ds_load_2addr_b64 v[98:101], v7 offset0:67 offset1:68
	ds_load_2addr_b64 v[102:105], v7 offset0:69 offset1:70
	;; [unrolled: 1-line block ×5, first 2 shown]
	ds_load_b64 v[122:123], v7 offset:600
	s_mov_b32 s0, exec_lo
	s_wait_dscnt 0x5
	v_dual_mov_b32 v124, v101 :: v_dual_mov_b32 v125, v100
	s_wait_dscnt 0x2
	v_dual_mov_b32 v126, v105 :: v_dual_mov_b32 v131, v112
	v_dual_mov_b32 v127, v104 :: v_dual_mov_b32 v128, v109
	;; [unrolled: 1-line block ×3, first 2 shown]
	s_wait_loadcnt_dscnt 0x601
	v_dual_mul_f32 v9, v114, v79 :: v_dual_mul_f32 v11, v115, v79
	v_dual_mul_f32 v13, v117, v81 :: v_dual_mul_f32 v133, v116, v81
	s_wait_loadcnt 0x5
	v_dual_mul_f32 v135, v98, v83 :: v_dual_mul_f32 v15, v99, v83
	s_wait_loadcnt 0x4
	v_dual_mov_b32 v134, v85 :: v_dual_mov_b32 v138, v89
	v_dual_fmac_f32 v9, v115, v78 :: v_dual_fma_f32 v11, v114, v78, -v11
	v_fmac_f32_e32 v133, v117, v80
	v_pk_mul_f32 v[136:137], v[102:103], v[86:87] op_sel:[1,1] op_sel_hi:[0,1]
	s_delay_alu instid0(VALU_DEP_3)
	v_dual_fma_f32 v132, v116, v80, -v13 :: v_dual_add_f32 v81, 0, v9
	v_pk_mul_f32 v[78:79], v[124:125], v[134:135] op_sel_hi:[1,0]
	s_wait_loadcnt 0x3
	v_dual_add_f32 v80, 0, v11 :: v_dual_mov_b32 v114, v93
	v_fmac_f32_e32 v135, v99, v82
	v_fma_f32 v134, v98, v82, -v15
	v_pk_fma_f32 v[82:83], v[100:101], v[84:85], v[78:79] op_sel_hi:[1,0,1]
	s_delay_alu instid0(VALU_DEP_4) | instskip(SKIP_4) | instid1(VALU_DEP_4)
	v_pk_add_f32 v[80:81], v[80:81], v[132:133]
	v_pk_fma_f32 v[98:99], v[102:103], v[86:87], v[136:137] op_sel_hi:[1,0,1]
	v_pk_fma_f32 v[78:79], v[100:101], v[84:85], v[78:79] neg_lo:[0,0,1] neg_hi:[0,0,1]
	v_pk_fma_f32 v[84:85], v[102:103], v[86:87], v[136:137] neg_lo:[0,0,1] neg_hi:[0,0,1]
	v_pk_mul_f32 v[116:117], v[126:127], v[138:139] op_sel_hi:[1,0]
	v_dual_mov_b32 v79, v83 :: v_dual_mov_b32 v85, v99
	v_pk_add_f32 v[80:81], v[80:81], v[134:135]
	v_pk_mul_f32 v[140:141], v[106:107], v[90:91] op_sel:[1,1] op_sel_hi:[0,1]
	s_delay_alu instid0(VALU_DEP_4)
	v_pk_fma_f32 v[86:87], v[104:105], v[88:89], v[116:117] op_sel_hi:[1,0,1]
	v_pk_fma_f32 v[88:89], v[104:105], v[88:89], v[116:117] neg_lo:[0,0,1] neg_hi:[0,0,1]
	v_pk_mul_f32 v[98:99], v[128:129], v[114:115] op_sel_hi:[1,0]
	v_pk_add_f32 v[78:79], v[80:81], v[78:79]
	v_pk_fma_f32 v[80:81], v[106:107], v[90:91], v[140:141] op_sel_hi:[1,0,1]
	s_wait_loadcnt 0x2
	v_dual_mov_b32 v89, v87 :: v_dual_mov_b32 v80, v97
	v_pk_mul_f32 v[82:83], v[110:111], v[94:95] op_sel:[1,1] op_sel_hi:[0,1]
	v_pk_add_f32 v[78:79], v[78:79], v[84:85]
	v_pk_fma_f32 v[84:85], v[106:107], v[90:91], v[140:141] neg_lo:[0,0,1] neg_hi:[0,0,1]
	v_pk_fma_f32 v[86:87], v[108:109], v[92:93], v[98:99] op_sel_hi:[1,0,1]
	v_mov_b32_e32 v85, v81
	v_pk_fma_f32 v[90:91], v[108:109], v[92:93], v[98:99] neg_lo:[0,0,1] neg_hi:[0,0,1]
	v_pk_add_f32 v[78:79], v[78:79], v[88:89]
	v_pk_fma_f32 v[88:89], v[110:111], v[94:95], v[82:83] op_sel_hi:[1,0,1]
	v_pk_mul_f32 v[80:81], v[130:131], v[80:81] op_sel_hi:[1,0]
	v_mov_b32_e32 v91, v87
	v_pk_fma_f32 v[82:83], v[110:111], v[94:95], v[82:83] neg_lo:[0,0,1] neg_hi:[0,0,1]
	v_pk_add_f32 v[78:79], v[78:79], v[84:85]
	s_wait_loadcnt_dscnt 0x100
	v_pk_mul_f32 v[86:87], v[122:123], v[118:119] op_sel:[1,1] op_sel_hi:[0,1]
	v_pk_fma_f32 v[84:85], v[112:113], v[96:97], v[80:81] op_sel_hi:[1,0,1]
	v_mov_b32_e32 v83, v89
	v_pk_fma_f32 v[80:81], v[112:113], v[96:97], v[80:81] neg_lo:[0,0,1] neg_hi:[0,0,1]
	v_pk_add_f32 v[78:79], v[78:79], v[90:91]
	s_delay_alu instid0(VALU_DEP_4) | instskip(SKIP_1) | instid1(VALU_DEP_3)
	v_mov_b32_e32 v81, v85
	v_pk_fma_f32 v[84:85], v[122:123], v[118:119], v[86:87] neg_lo:[0,0,1] neg_hi:[0,0,1]
	v_pk_add_f32 v[78:79], v[78:79], v[82:83]
	v_pk_fma_f32 v[82:83], v[122:123], v[118:119], v[86:87] op_sel_hi:[1,0,1]
	s_delay_alu instid0(VALU_DEP_2) | instskip(NEXT) | instid1(VALU_DEP_2)
	v_pk_add_f32 v[78:79], v[78:79], v[80:81]
	v_mov_b32_e32 v85, v83
	s_delay_alu instid0(VALU_DEP_1) | instskip(SKIP_1) | instid1(VALU_DEP_1)
	v_pk_add_f32 v[78:79], v[78:79], v[84:85]
	s_wait_loadcnt 0x0
	v_pk_add_f32 v[78:79], v[120:121], v[78:79] neg_lo:[0,1] neg_hi:[0,1]
	scratch_store_b64 off, v[78:79], off offset:208
	s_wait_xcnt 0x0
	v_cmpx_lt_u32_e32 25, v0
	s_cbranch_execz .LBB101_191
; %bb.190:
	scratch_load_b64 v[78:79], off, off offset:200
	v_mov_b64_e32 v[80:81], 0
	scratch_store_b64 off, v[80:81], off offset:200
	s_wait_loadcnt 0x0
	ds_store_b64 v1, v[78:79]
.LBB101_191:
	s_wait_xcnt 0x0
	s_or_b32 exec_lo, exec_lo, s0
	s_wait_storecnt_dscnt 0x0
	s_barrier_signal -1
	s_barrier_wait -1
	s_clause 0x6
	scratch_load_b128 v[78:81], off, off offset:208
	scratch_load_b128 v[82:85], off, off offset:224
	;; [unrolled: 1-line block ×6, first 2 shown]
	scratch_load_b64 v[126:127], off, off offset:200
	ds_load_b128 v[102:105], v7 offset:544
	ds_load_b128 v[106:109], v7 offset:560
	;; [unrolled: 1-line block ×6, first 2 shown]
	s_mov_b32 s0, exec_lo
	s_wait_dscnt 0x5
	v_dual_mov_b32 v128, v105 :: v_dual_mov_b32 v129, v104
	s_wait_dscnt 0x4
	v_dual_mov_b32 v130, v109 :: v_dual_mov_b32 v131, v108
	s_wait_dscnt 0x3
	v_dual_mov_b32 v132, v113 :: v_dual_mov_b32 v133, v112
	s_wait_dscnt 0x2
	v_dual_mov_b32 v134, v117 :: v_dual_mov_b32 v135, v116
	s_wait_loadcnt_dscnt 0x601
	v_dual_mul_f32 v7, v118, v79 :: v_dual_mul_f32 v9, v120, v81
	v_dual_mul_f32 v11, v119, v79 :: v_dual_mul_f32 v13, v121, v81
	s_wait_loadcnt 0x4
	s_delay_alu instid0(VALU_DEP_2)
	v_dual_mov_b32 v142, v89 :: v_dual_fmac_f32 v7, v119, v78
	s_wait_dscnt 0x0
	v_dual_mul_f32 v137, v122, v83 :: v_dual_mul_f32 v139, v124, v85
	v_dual_fma_f32 v11, v118, v78, -v11 :: v_dual_fmac_f32 v9, v121, v80
	v_dual_mul_f32 v15, v123, v83 :: v_dual_mul_f32 v17, v125, v85
	v_dual_fma_f32 v13, v120, v80, -v13 :: v_dual_add_f32 v7, 0, v7
	s_wait_loadcnt 0x3
	s_delay_alu instid0(VALU_DEP_3) | instskip(SKIP_3) | instid1(VALU_DEP_4)
	v_dual_add_f32 v11, 0, v11 :: v_dual_mov_b32 v80, v93
	v_pk_mul_f32 v[140:141], v[102:103], v[86:87] op_sel:[1,1] op_sel_hi:[0,1]
	v_dual_fmac_f32 v137, v123, v82 :: v_dual_fma_f32 v136, v122, v82, -v15
	v_dual_add_f32 v83, v7, v9 :: v_dual_fmac_f32 v139, v125, v84
	v_dual_add_f32 v82, v11, v13 :: v_dual_fma_f32 v138, v124, v84, -v17
	s_delay_alu instid0(VALU_DEP_4) | instskip(SKIP_2) | instid1(VALU_DEP_4)
	v_pk_fma_f32 v[84:85], v[102:103], v[86:87], v[140:141] op_sel_hi:[1,0,1]
	v_pk_mul_f32 v[118:119], v[128:129], v[142:143] op_sel_hi:[1,0]
	v_pk_fma_f32 v[86:87], v[102:103], v[86:87], v[140:141] neg_lo:[0,0,1] neg_hi:[0,0,1]
	v_pk_add_f32 v[82:83], v[82:83], v[136:137]
	v_pk_mul_f32 v[78:79], v[106:107], v[90:91] op_sel:[1,1] op_sel_hi:[0,1]
	v_mov_b32_e32 v87, v85
	v_pk_fma_f32 v[84:85], v[104:105], v[88:89], v[118:119] op_sel_hi:[1,0,1]
	v_pk_fma_f32 v[88:89], v[104:105], v[88:89], v[118:119] neg_lo:[0,0,1] neg_hi:[0,0,1]
	v_pk_add_f32 v[82:83], v[82:83], v[138:139]
	v_pk_fma_f32 v[102:103], v[106:107], v[90:91], v[78:79] op_sel_hi:[1,0,1]
	v_pk_mul_f32 v[80:81], v[130:131], v[80:81] op_sel_hi:[1,0]
	v_mov_b32_e32 v89, v85
	v_pk_fma_f32 v[78:79], v[106:107], v[90:91], v[78:79] neg_lo:[0,0,1] neg_hi:[0,0,1]
	v_pk_add_f32 v[82:83], v[82:83], v[86:87]
	s_wait_loadcnt 0x2
	v_pk_mul_f32 v[120:121], v[110:111], v[94:95] op_sel:[1,1] op_sel_hi:[0,1]
	v_dual_mov_b32 v84, v97 :: v_dual_mov_b32 v79, v103
	v_pk_fma_f32 v[86:87], v[108:109], v[92:93], v[80:81] op_sel_hi:[1,0,1]
	v_pk_add_f32 v[82:83], v[82:83], v[88:89]
	v_pk_fma_f32 v[80:81], v[108:109], v[92:93], v[80:81] neg_lo:[0,0,1] neg_hi:[0,0,1]
	v_pk_fma_f32 v[88:89], v[110:111], v[94:95], v[120:121] op_sel_hi:[1,0,1]
	v_pk_mul_f32 v[84:85], v[132:133], v[84:85] op_sel_hi:[1,0]
	v_mov_b32_e32 v81, v87
	v_pk_add_f32 v[78:79], v[82:83], v[78:79]
	v_pk_fma_f32 v[86:87], v[110:111], v[94:95], v[120:121] neg_lo:[0,0,1] neg_hi:[0,0,1]
	s_wait_loadcnt 0x1
	v_pk_mul_f32 v[82:83], v[114:115], v[98:99] op_sel:[1,1] op_sel_hi:[0,1]
	v_mov_b32_e32 v87, v89
	v_pk_fma_f32 v[88:89], v[112:113], v[96:97], v[84:85] op_sel_hi:[1,0,1]
	v_pk_add_f32 v[78:79], v[78:79], v[80:81]
	v_mov_b32_e32 v80, v101
	v_pk_fma_f32 v[84:85], v[112:113], v[96:97], v[84:85] neg_lo:[0,0,1] neg_hi:[0,0,1]
	v_pk_fma_f32 v[90:91], v[114:115], v[98:99], v[82:83] op_sel_hi:[1,0,1]
	v_mov_b32_e32 v85, v89
	v_pk_add_f32 v[78:79], v[78:79], v[86:87]
	v_pk_mul_f32 v[80:81], v[134:135], v[80:81] op_sel_hi:[1,0]
	v_pk_fma_f32 v[82:83], v[114:115], v[98:99], v[82:83] neg_lo:[0,0,1] neg_hi:[0,0,1]
	s_delay_alu instid0(VALU_DEP_3) | instskip(NEXT) | instid1(VALU_DEP_3)
	v_pk_add_f32 v[78:79], v[78:79], v[84:85]
	v_pk_fma_f32 v[84:85], v[116:117], v[100:101], v[80:81] op_sel_hi:[1,0,1]
	v_mov_b32_e32 v83, v91
	v_pk_fma_f32 v[80:81], v[116:117], v[100:101], v[80:81] neg_lo:[0,0,1] neg_hi:[0,0,1]
	s_delay_alu instid0(VALU_DEP_3) | instskip(NEXT) | instid1(VALU_DEP_3)
	v_mov_b32_e32 v81, v85
	v_pk_add_f32 v[78:79], v[78:79], v[82:83]
	s_delay_alu instid0(VALU_DEP_1) | instskip(SKIP_1) | instid1(VALU_DEP_1)
	v_pk_add_f32 v[78:79], v[78:79], v[80:81]
	s_wait_loadcnt 0x0
	v_pk_add_f32 v[78:79], v[126:127], v[78:79] neg_lo:[0,1] neg_hi:[0,1]
	scratch_store_b64 off, v[78:79], off offset:200
	s_wait_xcnt 0x0
	v_cmpx_lt_u32_e32 24, v0
	s_cbranch_execz .LBB101_193
; %bb.192:
	scratch_load_b64 v[78:79], off, off offset:192
	v_mov_b64_e32 v[80:81], 0
	scratch_store_b64 off, v[80:81], off offset:192
	s_wait_loadcnt 0x0
	ds_store_b64 v1, v[78:79]
.LBB101_193:
	s_wait_xcnt 0x0
	s_or_b32 exec_lo, exec_lo, s0
	s_wait_storecnt_dscnt 0x0
	s_barrier_signal -1
	s_barrier_wait -1
	s_clause 0x7
	scratch_load_b128 v[78:81], off, off offset:200
	scratch_load_b128 v[82:85], off, off offset:216
	;; [unrolled: 1-line block ×6, first 2 shown]
	scratch_load_b64 v[126:127], off, off offset:296
	scratch_load_b64 v[128:129], off, off offset:192
	v_mov_b32_e32 v7, 0
	ds_load_2addr_b64 v[102:105], v7 offset0:67 offset1:68
	ds_load_2addr_b64 v[106:109], v7 offset0:69 offset1:70
	;; [unrolled: 1-line block ×6, first 2 shown]
	ds_load_b64 v[130:131], v7 offset:600
	s_mov_b32 s0, exec_lo
	s_wait_dscnt 0x6
	v_dual_mov_b32 v132, v105 :: v_dual_mov_b32 v133, v104
	s_wait_dscnt 0x3
	v_dual_mov_b32 v134, v109 :: v_dual_mov_b32 v139, v116
	v_dual_mov_b32 v135, v108 :: v_dual_mov_b32 v136, v113
	;; [unrolled: 1-line block ×3, first 2 shown]
	s_wait_loadcnt_dscnt 0x702
	v_dual_mul_f32 v9, v118, v79 :: v_dual_mul_f32 v15, v119, v79
	v_dual_mul_f32 v17, v121, v81 :: v_dual_mul_f32 v11, v120, v81
	s_wait_loadcnt_dscnt 0x601
	s_delay_alu instid0(VALU_DEP_2) | instskip(NEXT) | instid1(VALU_DEP_3)
	v_dual_mul_f32 v13, v122, v83 :: v_dual_fmac_f32 v9, v119, v78
	v_dual_fma_f32 v15, v118, v78, -v15 :: v_dual_mul_f32 v19, v123, v83
	v_mul_f32_e32 v21, v125, v85
	s_wait_loadcnt 0x4
	v_dual_mov_b32 v78, v93 :: v_dual_fma_f32 v17, v120, v80, -v17
	v_dual_fmac_f32 v11, v121, v80 :: v_dual_add_f32 v9, 0, v9
	v_dual_add_f32 v15, 0, v15 :: v_dual_fmac_f32 v13, v123, v82
	v_dual_mul_f32 v141, v124, v85 :: v_dual_mul_f32 v143, v102, v87
	v_dual_mul_f32 v23, v103, v87 :: v_dual_mov_b32 v142, v89
	s_delay_alu instid0(VALU_DEP_4) | instskip(NEXT) | instid1(VALU_DEP_3)
	v_dual_fma_f32 v19, v122, v82, -v19 :: v_dual_add_f32 v9, v9, v11
	v_dual_add_f32 v11, v15, v17 :: v_dual_fmac_f32 v141, v125, v84
	v_pk_mul_f32 v[144:145], v[106:107], v[90:91] op_sel:[1,1] op_sel_hi:[0,1]
	s_delay_alu instid0(VALU_DEP_3)
	v_dual_fma_f32 v140, v124, v84, -v21 :: v_dual_add_f32 v85, v9, v13
	v_pk_mul_f32 v[82:83], v[132:133], v[142:143] op_sel_hi:[1,0]
	s_wait_loadcnt 0x3
	v_dual_add_f32 v84, v11, v19 :: v_dual_mov_b32 v118, v97
	v_fmac_f32_e32 v143, v103, v86
	v_fma_f32 v142, v102, v86, -v23
	v_pk_fma_f32 v[86:87], v[104:105], v[88:89], v[82:83] op_sel_hi:[1,0,1]
	s_delay_alu instid0(VALU_DEP_4) | instskip(SKIP_4) | instid1(VALU_DEP_4)
	v_pk_add_f32 v[84:85], v[84:85], v[140:141]
	v_pk_fma_f32 v[102:103], v[106:107], v[90:91], v[144:145] op_sel_hi:[1,0,1]
	v_pk_fma_f32 v[82:83], v[104:105], v[88:89], v[82:83] neg_lo:[0,0,1] neg_hi:[0,0,1]
	v_pk_fma_f32 v[88:89], v[106:107], v[90:91], v[144:145] neg_lo:[0,0,1] neg_hi:[0,0,1]
	v_pk_mul_f32 v[78:79], v[134:135], v[78:79] op_sel_hi:[1,0]
	v_dual_mov_b32 v83, v87 :: v_dual_mov_b32 v89, v103
	v_pk_add_f32 v[84:85], v[84:85], v[142:143]
	v_pk_mul_f32 v[80:81], v[110:111], v[94:95] op_sel:[1,1] op_sel_hi:[0,1]
	s_delay_alu instid0(VALU_DEP_4)
	v_pk_fma_f32 v[90:91], v[108:109], v[92:93], v[78:79] op_sel_hi:[1,0,1]
	v_pk_fma_f32 v[78:79], v[108:109], v[92:93], v[78:79] neg_lo:[0,0,1] neg_hi:[0,0,1]
	v_pk_mul_f32 v[102:103], v[136:137], v[118:119] op_sel_hi:[1,0]
	v_pk_add_f32 v[82:83], v[84:85], v[82:83]
	v_pk_fma_f32 v[84:85], v[110:111], v[94:95], v[80:81] op_sel_hi:[1,0,1]
	s_wait_loadcnt 0x2
	v_dual_mov_b32 v79, v91 :: v_dual_mov_b32 v84, v101
	v_pk_fma_f32 v[80:81], v[110:111], v[94:95], v[80:81] neg_lo:[0,0,1] neg_hi:[0,0,1]
	v_pk_add_f32 v[82:83], v[82:83], v[88:89]
	v_pk_mul_f32 v[86:87], v[114:115], v[98:99] op_sel:[1,1] op_sel_hi:[0,1]
	v_pk_fma_f32 v[88:89], v[112:113], v[96:97], v[102:103] op_sel_hi:[1,0,1]
	v_mov_b32_e32 v81, v85
	v_pk_fma_f32 v[90:91], v[112:113], v[96:97], v[102:103] neg_lo:[0,0,1] neg_hi:[0,0,1]
	v_pk_add_f32 v[78:79], v[82:83], v[78:79]
	v_pk_fma_f32 v[82:83], v[114:115], v[98:99], v[86:87] op_sel_hi:[1,0,1]
	v_pk_mul_f32 v[84:85], v[138:139], v[84:85] op_sel_hi:[1,0]
	v_mov_b32_e32 v91, v89
	s_delay_alu instid0(VALU_DEP_4)
	v_pk_add_f32 v[78:79], v[78:79], v[80:81]
	v_pk_fma_f32 v[80:81], v[114:115], v[98:99], v[86:87] neg_lo:[0,0,1] neg_hi:[0,0,1]
	v_mov_b32_e32 v81, v83
	v_pk_fma_f32 v[82:83], v[116:117], v[100:101], v[84:85] op_sel_hi:[1,0,1]
	s_wait_loadcnt_dscnt 0x100
	v_pk_mul_f32 v[86:87], v[130:131], v[126:127] op_sel:[1,1] op_sel_hi:[0,1]
	v_pk_add_f32 v[78:79], v[78:79], v[90:91]
	v_pk_fma_f32 v[84:85], v[116:117], v[100:101], v[84:85] neg_lo:[0,0,1] neg_hi:[0,0,1]
	v_mov_b32_e32 v85, v83
	s_delay_alu instid0(VALU_DEP_4) | instskip(NEXT) | instid1(VALU_DEP_4)
	v_pk_fma_f32 v[82:83], v[130:131], v[126:127], v[86:87] neg_lo:[0,0,1] neg_hi:[0,0,1]
	v_pk_add_f32 v[78:79], v[78:79], v[80:81]
	v_pk_fma_f32 v[80:81], v[130:131], v[126:127], v[86:87] op_sel_hi:[1,0,1]
	s_delay_alu instid0(VALU_DEP_2) | instskip(NEXT) | instid1(VALU_DEP_2)
	v_pk_add_f32 v[78:79], v[78:79], v[84:85]
	v_mov_b32_e32 v83, v81
	s_delay_alu instid0(VALU_DEP_1) | instskip(SKIP_1) | instid1(VALU_DEP_1)
	v_pk_add_f32 v[78:79], v[78:79], v[82:83]
	s_wait_loadcnt 0x0
	v_pk_add_f32 v[78:79], v[128:129], v[78:79] neg_lo:[0,1] neg_hi:[0,1]
	scratch_store_b64 off, v[78:79], off offset:192
	s_wait_xcnt 0x0
	v_cmpx_lt_u32_e32 23, v0
	s_cbranch_execz .LBB101_195
; %bb.194:
	scratch_load_b64 v[78:79], off, off offset:184
	v_mov_b64_e32 v[80:81], 0
	scratch_store_b64 off, v[80:81], off offset:184
	s_wait_loadcnt 0x0
	ds_store_b64 v1, v[78:79]
.LBB101_195:
	s_wait_xcnt 0x0
	s_or_b32 exec_lo, exec_lo, s0
	s_wait_storecnt_dscnt 0x0
	s_barrier_signal -1
	s_barrier_wait -1
	s_clause 0x7
	scratch_load_b128 v[78:81], off, off offset:192
	scratch_load_b128 v[82:85], off, off offset:208
	;; [unrolled: 1-line block ×7, first 2 shown]
	scratch_load_b64 v[134:135], off, off offset:184
	ds_load_b128 v[106:109], v7 offset:544
	ds_load_b128 v[110:113], v7 offset:560
	;; [unrolled: 1-line block ×7, first 2 shown]
	s_mov_b32 s0, exec_lo
	s_wait_dscnt 0x6
	v_dual_mov_b32 v136, v109 :: v_dual_mov_b32 v137, v108
	s_wait_dscnt 0x5
	v_dual_mov_b32 v138, v113 :: v_dual_mov_b32 v139, v112
	;; [unrolled: 2-line block ×4, first 2 shown]
	s_wait_loadcnt_dscnt 0x702
	v_dual_mul_f32 v7, v122, v79 :: v_dual_mul_f32 v9, v124, v81
	v_dual_mul_f32 v15, v123, v79 :: v_dual_mul_f32 v17, v125, v81
	s_wait_loadcnt_dscnt 0x601
	v_dual_mul_f32 v11, v126, v83 :: v_dual_mul_f32 v13, v128, v85
	s_delay_alu instid0(VALU_DEP_3) | instskip(NEXT) | instid1(VALU_DEP_3)
	v_dual_fmac_f32 v7, v123, v78 :: v_dual_fmac_f32 v9, v125, v80
	v_dual_fma_f32 v15, v122, v78, -v15 :: v_dual_fma_f32 v17, v124, v80, -v17
	v_dual_mul_f32 v19, v127, v83 :: v_dual_mul_f32 v21, v129, v85
	s_wait_loadcnt 0x4
	s_delay_alu instid0(VALU_DEP_3) | instskip(NEXT) | instid1(VALU_DEP_3)
	v_dual_add_f32 v7, 0, v7 :: v_dual_mov_b32 v80, v93
	v_dual_add_f32 v15, 0, v15 :: v_dual_fmac_f32 v11, v127, v82
	s_delay_alu instid0(VALU_DEP_2) | instskip(SKIP_2) | instid1(VALU_DEP_3)
	v_dual_fma_f32 v19, v126, v82, -v19 :: v_dual_add_f32 v7, v7, v9
	s_wait_dscnt 0x0
	v_dual_mul_f32 v145, v130, v87 :: v_dual_mul_f32 v147, v132, v89
	v_dual_add_f32 v9, v15, v17 :: v_dual_fmac_f32 v13, v129, v84
	v_dual_mul_f32 v23, v131, v87 :: v_dual_mul_f32 v25, v133, v89
	v_dual_fma_f32 v15, v128, v84, -v21 :: v_dual_add_f32 v7, v7, v11
	s_delay_alu instid0(VALU_DEP_3) | instskip(SKIP_3) | instid1(VALU_DEP_3)
	v_dual_add_f32 v9, v9, v19 :: v_dual_fmac_f32 v145, v131, v86
	v_pk_mul_f32 v[78:79], v[106:107], v[90:91] op_sel:[1,1] op_sel_hi:[0,1]
	s_wait_loadcnt 0x3
	v_dual_mov_b32 v84, v97 :: v_dual_fma_f32 v144, v130, v86, -v23
	v_dual_add_f32 v87, v7, v13 :: v_dual_add_f32 v86, v9, v15
	v_dual_fmac_f32 v147, v133, v88 :: v_dual_fma_f32 v146, v132, v88, -v25
	v_pk_fma_f32 v[88:89], v[106:107], v[90:91], v[78:79] op_sel_hi:[1,0,1]
	v_pk_mul_f32 v[80:81], v[136:137], v[80:81] op_sel_hi:[1,0]
	s_delay_alu instid0(VALU_DEP_4)
	v_pk_add_f32 v[86:87], v[86:87], v[144:145]
	v_pk_fma_f32 v[78:79], v[106:107], v[90:91], v[78:79] neg_lo:[0,0,1] neg_hi:[0,0,1]
	v_pk_mul_f32 v[82:83], v[110:111], v[94:95] op_sel:[1,1] op_sel_hi:[0,1]
	v_mov_b32_e32 v79, v89
	v_pk_fma_f32 v[88:89], v[108:109], v[92:93], v[80:81] op_sel_hi:[1,0,1]
	v_pk_add_f32 v[86:87], v[86:87], v[146:147]
	v_pk_fma_f32 v[80:81], v[108:109], v[92:93], v[80:81] neg_lo:[0,0,1] neg_hi:[0,0,1]
	v_pk_fma_f32 v[90:91], v[110:111], v[94:95], v[82:83] op_sel_hi:[1,0,1]
	v_pk_mul_f32 v[84:85], v[138:139], v[84:85] op_sel_hi:[1,0]
	v_mov_b32_e32 v81, v89
	v_pk_add_f32 v[78:79], v[86:87], v[78:79]
	s_wait_loadcnt 0x2
	v_pk_mul_f32 v[122:123], v[114:115], v[98:99] op_sel:[1,1] op_sel_hi:[0,1]
	v_mov_b32_e32 v86, v101
	v_pk_fma_f32 v[82:83], v[110:111], v[94:95], v[82:83] neg_lo:[0,0,1] neg_hi:[0,0,1]
	v_mov_b32_e32 v83, v91
	v_pk_fma_f32 v[88:89], v[112:113], v[96:97], v[84:85] op_sel_hi:[1,0,1]
	v_pk_add_f32 v[78:79], v[78:79], v[80:81]
	v_pk_fma_f32 v[80:81], v[114:115], v[98:99], v[122:123] op_sel_hi:[1,0,1]
	v_pk_mul_f32 v[86:87], v[140:141], v[86:87] op_sel_hi:[1,0]
	v_pk_fma_f32 v[84:85], v[112:113], v[96:97], v[84:85] neg_lo:[0,0,1] neg_hi:[0,0,1]
	v_mov_b32_e32 v85, v89
	v_pk_add_f32 v[78:79], v[78:79], v[82:83]
	v_pk_fma_f32 v[88:89], v[114:115], v[98:99], v[122:123] neg_lo:[0,0,1] neg_hi:[0,0,1]
	v_mov_b32_e32 v89, v81
	v_pk_fma_f32 v[80:81], v[116:117], v[100:101], v[86:87] op_sel_hi:[1,0,1]
	s_wait_loadcnt 0x1
	v_pk_mul_f32 v[82:83], v[118:119], v[102:103] op_sel:[1,1] op_sel_hi:[0,1]
	v_pk_add_f32 v[78:79], v[78:79], v[84:85]
	v_mov_b32_e32 v80, v105
	v_pk_fma_f32 v[86:87], v[116:117], v[100:101], v[86:87] neg_lo:[0,0,1] neg_hi:[0,0,1]
	v_mov_b32_e32 v87, v81
	v_pk_fma_f32 v[84:85], v[118:119], v[102:103], v[82:83] op_sel_hi:[1,0,1]
	v_pk_add_f32 v[78:79], v[78:79], v[88:89]
	v_pk_mul_f32 v[80:81], v[142:143], v[80:81] op_sel_hi:[1,0]
	v_pk_fma_f32 v[82:83], v[118:119], v[102:103], v[82:83] neg_lo:[0,0,1] neg_hi:[0,0,1]
	s_delay_alu instid0(VALU_DEP_4) | instskip(NEXT) | instid1(VALU_DEP_4)
	v_mov_b32_e32 v83, v85
	v_pk_add_f32 v[78:79], v[78:79], v[86:87]
	s_delay_alu instid0(VALU_DEP_4) | instskip(SKIP_1) | instid1(VALU_DEP_2)
	v_pk_fma_f32 v[84:85], v[120:121], v[104:105], v[80:81] op_sel_hi:[1,0,1]
	v_pk_fma_f32 v[80:81], v[120:121], v[104:105], v[80:81] neg_lo:[0,0,1] neg_hi:[0,0,1]
	v_mov_b32_e32 v81, v85
	s_delay_alu instid0(VALU_DEP_4) | instskip(NEXT) | instid1(VALU_DEP_1)
	v_pk_add_f32 v[78:79], v[78:79], v[82:83]
	v_pk_add_f32 v[78:79], v[78:79], v[80:81]
	s_wait_loadcnt 0x0
	s_delay_alu instid0(VALU_DEP_1)
	v_pk_add_f32 v[78:79], v[134:135], v[78:79] neg_lo:[0,1] neg_hi:[0,1]
	scratch_store_b64 off, v[78:79], off offset:184
	s_wait_xcnt 0x0
	v_cmpx_lt_u32_e32 22, v0
	s_cbranch_execz .LBB101_197
; %bb.196:
	scratch_load_b64 v[78:79], off, off offset:176
	v_mov_b64_e32 v[80:81], 0
	scratch_store_b64 off, v[80:81], off offset:176
	s_wait_loadcnt 0x0
	ds_store_b64 v1, v[78:79]
.LBB101_197:
	s_wait_xcnt 0x0
	s_or_b32 exec_lo, exec_lo, s0
	s_wait_storecnt_dscnt 0x0
	s_barrier_signal -1
	s_barrier_wait -1
	s_clause 0x8
	scratch_load_b128 v[78:81], off, off offset:184
	scratch_load_b128 v[82:85], off, off offset:200
	;; [unrolled: 1-line block ×7, first 2 shown]
	scratch_load_b64 v[134:135], off, off offset:296
	scratch_load_b64 v[136:137], off, off offset:176
	v_mov_b32_e32 v7, 0
	ds_load_2addr_b64 v[106:109], v7 offset0:67 offset1:68
	ds_load_2addr_b64 v[110:113], v7 offset0:69 offset1:70
	ds_load_2addr_b64 v[114:117], v7 offset0:71 offset1:72
	ds_load_2addr_b64 v[118:121], v7 offset0:73 offset1:74
	ds_load_2addr_b64 v[122:125], v7 offset0:61 offset1:62
	ds_load_2addr_b64 v[126:129], v7 offset0:63 offset1:64
	ds_load_2addr_b64 v[130:133], v7 offset0:65 offset1:66
	ds_load_b64 v[138:139], v7 offset:600
	s_mov_b32 s0, exec_lo
	s_wait_dscnt 0x7
	v_dual_mov_b32 v140, v109 :: v_dual_mov_b32 v141, v108
	s_wait_dscnt 0x4
	v_dual_mov_b32 v142, v113 :: v_dual_mov_b32 v147, v120
	v_dual_mov_b32 v143, v112 :: v_dual_mov_b32 v144, v117
	;; [unrolled: 1-line block ×3, first 2 shown]
	s_wait_loadcnt_dscnt 0x803
	v_dual_mul_f32 v9, v122, v79 :: v_dual_mul_f32 v19, v123, v79
	v_dual_mul_f32 v21, v125, v81 :: v_dual_mul_f32 v11, v124, v81
	s_wait_loadcnt_dscnt 0x702
	v_mul_f32_e32 v13, v126, v83
	s_wait_loadcnt 0x5
	v_dual_mul_f32 v31, v107, v91 :: v_dual_fma_f32 v19, v122, v78, -v19
	v_dual_fmac_f32 v9, v123, v78 :: v_dual_mov_b32 v78, v93
	v_dual_mul_f32 v23, v127, v83 :: v_dual_mul_f32 v25, v129, v85
	v_dual_fmac_f32 v11, v125, v80 :: v_dual_fma_f32 v21, v124, v80, -v21
	s_delay_alu instid0(VALU_DEP_3) | instskip(SKIP_3) | instid1(VALU_DEP_3)
	v_dual_add_f32 v9, 0, v9 :: v_dual_add_f32 v19, 0, v19
	s_wait_dscnt 0x1
	v_dual_mul_f32 v15, v128, v85 :: v_dual_mul_f32 v17, v130, v87
	v_dual_fmac_f32 v13, v127, v82 :: v_dual_fma_f32 v23, v126, v82, -v23
	v_dual_add_f32 v9, v9, v11 :: v_dual_add_f32 v11, v19, v21
	v_dual_mul_f32 v27, v131, v87 :: v_dual_mul_f32 v29, v133, v89
	s_wait_loadcnt 0x4
	v_dual_mov_b32 v82, v97 :: v_dual_fma_f32 v19, v128, v84, -v25
	s_delay_alu instid0(VALU_DEP_3) | instskip(SKIP_2) | instid1(VALU_DEP_2)
	v_dual_fmac_f32 v15, v129, v84 :: v_dual_add_f32 v11, v11, v23
	v_dual_add_f32 v9, v9, v13 :: v_dual_fmac_f32 v17, v131, v86
	v_dual_mul_f32 v149, v132, v89 :: v_dual_mul_f32 v151, v106, v91
	v_dual_fma_f32 v13, v130, v86, -v27 :: v_dual_add_f32 v9, v9, v15
	s_delay_alu instid0(VALU_DEP_2) | instskip(SKIP_1) | instid1(VALU_DEP_3)
	v_dual_add_f32 v11, v11, v19 :: v_dual_fmac_f32 v149, v133, v88
	v_pk_mul_f32 v[80:81], v[110:111], v[94:95] op_sel:[1,1] op_sel_hi:[0,1]
	v_dual_fma_f32 v148, v132, v88, -v29 :: v_dual_add_f32 v87, v9, v17
	v_pk_mul_f32 v[78:79], v[140:141], v[78:79] op_sel_hi:[1,0]
	s_wait_loadcnt 0x3
	v_dual_add_f32 v86, v11, v13 :: v_dual_mov_b32 v88, v101
	v_fmac_f32_e32 v151, v107, v90
	v_fma_f32 v150, v106, v90, -v31
	v_pk_fma_f32 v[90:91], v[108:109], v[92:93], v[78:79] op_sel_hi:[1,0,1]
	s_delay_alu instid0(VALU_DEP_4) | instskip(SKIP_4) | instid1(VALU_DEP_4)
	v_pk_add_f32 v[86:87], v[86:87], v[148:149]
	v_pk_fma_f32 v[106:107], v[110:111], v[94:95], v[80:81] op_sel_hi:[1,0,1]
	v_pk_fma_f32 v[78:79], v[108:109], v[92:93], v[78:79] neg_lo:[0,0,1] neg_hi:[0,0,1]
	v_pk_fma_f32 v[80:81], v[110:111], v[94:95], v[80:81] neg_lo:[0,0,1] neg_hi:[0,0,1]
	v_pk_mul_f32 v[82:83], v[142:143], v[82:83] op_sel_hi:[1,0]
	v_dual_mov_b32 v79, v91 :: v_dual_mov_b32 v81, v107
	v_pk_add_f32 v[86:87], v[86:87], v[150:151]
	v_pk_mul_f32 v[84:85], v[114:115], v[98:99] op_sel:[1,1] op_sel_hi:[0,1]
	s_delay_alu instid0(VALU_DEP_4)
	v_pk_fma_f32 v[92:93], v[112:113], v[96:97], v[82:83] op_sel_hi:[1,0,1]
	v_pk_fma_f32 v[82:83], v[112:113], v[96:97], v[82:83] neg_lo:[0,0,1] neg_hi:[0,0,1]
	v_pk_mul_f32 v[88:89], v[144:145], v[88:89] op_sel_hi:[1,0]
	v_pk_add_f32 v[78:79], v[86:87], v[78:79]
	v_pk_fma_f32 v[86:87], v[114:115], v[98:99], v[84:85] op_sel_hi:[1,0,1]
	v_mov_b32_e32 v83, v93
	v_pk_fma_f32 v[84:85], v[114:115], v[98:99], v[84:85] neg_lo:[0,0,1] neg_hi:[0,0,1]
	s_wait_loadcnt 0x2
	v_pk_mul_f32 v[90:91], v[118:119], v[102:103] op_sel:[1,1] op_sel_hi:[0,1]
	v_pk_add_f32 v[78:79], v[78:79], v[80:81]
	v_dual_mov_b32 v80, v105 :: v_dual_mov_b32 v85, v87
	v_pk_fma_f32 v[86:87], v[116:117], v[100:101], v[88:89] op_sel_hi:[1,0,1]
	v_pk_fma_f32 v[88:89], v[116:117], v[100:101], v[88:89] neg_lo:[0,0,1] neg_hi:[0,0,1]
	s_delay_alu instid0(VALU_DEP_4)
	v_pk_add_f32 v[78:79], v[78:79], v[82:83]
	v_pk_fma_f32 v[82:83], v[118:119], v[102:103], v[90:91] op_sel_hi:[1,0,1]
	v_pk_mul_f32 v[80:81], v[146:147], v[80:81] op_sel_hi:[1,0]
	v_mov_b32_e32 v89, v87
	s_wait_loadcnt_dscnt 0x100
	v_pk_mul_f32 v[86:87], v[138:139], v[134:135] op_sel:[1,1] op_sel_hi:[0,1]
	v_pk_add_f32 v[78:79], v[78:79], v[84:85]
	v_pk_fma_f32 v[84:85], v[118:119], v[102:103], v[90:91] neg_lo:[0,0,1] neg_hi:[0,0,1]
	v_mov_b32_e32 v85, v83
	v_pk_fma_f32 v[82:83], v[120:121], v[104:105], v[80:81] op_sel_hi:[1,0,1]
	v_pk_fma_f32 v[80:81], v[120:121], v[104:105], v[80:81] neg_lo:[0,0,1] neg_hi:[0,0,1]
	v_pk_add_f32 v[78:79], v[78:79], v[88:89]
	s_delay_alu instid0(VALU_DEP_3) | instskip(SKIP_1) | instid1(VALU_DEP_3)
	v_mov_b32_e32 v81, v83
	v_pk_fma_f32 v[82:83], v[138:139], v[134:135], v[86:87] op_sel_hi:[1,0,1]
	v_pk_add_f32 v[78:79], v[78:79], v[84:85]
	v_pk_fma_f32 v[84:85], v[138:139], v[134:135], v[86:87] neg_lo:[0,0,1] neg_hi:[0,0,1]
	s_delay_alu instid0(VALU_DEP_3) | instskip(NEXT) | instid1(VALU_DEP_3)
	v_mov_b32_e32 v85, v83
	v_pk_add_f32 v[78:79], v[78:79], v[80:81]
	s_delay_alu instid0(VALU_DEP_1) | instskip(SKIP_1) | instid1(VALU_DEP_1)
	v_pk_add_f32 v[78:79], v[78:79], v[84:85]
	s_wait_loadcnt 0x0
	v_pk_add_f32 v[78:79], v[136:137], v[78:79] neg_lo:[0,1] neg_hi:[0,1]
	scratch_store_b64 off, v[78:79], off offset:176
	s_wait_xcnt 0x0
	v_cmpx_lt_u32_e32 21, v0
	s_cbranch_execz .LBB101_199
; %bb.198:
	scratch_load_b64 v[78:79], off, off offset:168
	v_mov_b64_e32 v[80:81], 0
	scratch_store_b64 off, v[80:81], off offset:168
	s_wait_loadcnt 0x0
	ds_store_b64 v1, v[78:79]
.LBB101_199:
	s_wait_xcnt 0x0
	s_or_b32 exec_lo, exec_lo, s0
	s_wait_storecnt_dscnt 0x0
	s_barrier_signal -1
	s_barrier_wait -1
	s_clause 0x8
	scratch_load_b128 v[78:81], off, off offset:176
	scratch_load_b128 v[82:85], off, off offset:192
	;; [unrolled: 1-line block ×8, first 2 shown]
	scratch_load_b64 v[142:143], off, off offset:168
	ds_load_b128 v[110:113], v7 offset:544
	ds_load_b128 v[114:117], v7 offset:560
	;; [unrolled: 1-line block ×8, first 2 shown]
	s_mov_b32 s0, exec_lo
	s_wait_dscnt 0x7
	v_dual_mov_b32 v144, v113 :: v_dual_mov_b32 v145, v112
	s_wait_dscnt 0x6
	v_dual_mov_b32 v146, v117 :: v_dual_mov_b32 v147, v116
	;; [unrolled: 2-line block ×4, first 2 shown]
	s_wait_loadcnt_dscnt 0x803
	v_dual_mul_f32 v7, v126, v79 :: v_dual_mul_f32 v9, v128, v81
	v_dual_mul_f32 v19, v127, v79 :: v_dual_mul_f32 v21, v129, v81
	s_wait_loadcnt_dscnt 0x702
	v_dual_mul_f32 v11, v130, v83 :: v_dual_mul_f32 v13, v132, v85
	s_delay_alu instid0(VALU_DEP_3) | instskip(SKIP_3) | instid1(VALU_DEP_3)
	v_dual_fmac_f32 v7, v127, v78 :: v_dual_fmac_f32 v9, v129, v80
	s_wait_loadcnt_dscnt 0x500
	v_dual_fma_f32 v19, v126, v78, -v19 :: v_dual_mul_f32 v31, v139, v91
	v_dual_mul_f32 v23, v131, v83 :: v_dual_mul_f32 v25, v133, v85
	v_dual_fma_f32 v21, v128, v80, -v21 :: v_dual_add_f32 v7, 0, v7
	s_delay_alu instid0(VALU_DEP_3) | instskip(SKIP_1) | instid1(VALU_DEP_3)
	v_dual_add_f32 v19, 0, v19 :: v_dual_mul_f32 v33, v141, v93
	v_dual_fmac_f32 v11, v131, v82 :: v_dual_fmac_f32 v13, v133, v84
	v_dual_fma_f32 v23, v130, v82, -v23 :: v_dual_add_f32 v7, v7, v9
	s_delay_alu instid0(VALU_DEP_3) | instskip(SKIP_4) | instid1(VALU_DEP_3)
	v_dual_add_f32 v9, v19, v21 :: v_dual_fma_f32 v19, v132, v84, -v25
	v_dual_mul_f32 v15, v134, v87 :: v_dual_mul_f32 v17, v136, v89
	v_dual_mul_f32 v27, v135, v87 :: v_dual_mul_f32 v29, v137, v89
	s_wait_loadcnt 0x4
	v_dual_add_f32 v7, v7, v11 :: v_dual_mov_b32 v80, v97
	v_dual_add_f32 v9, v9, v23 :: v_dual_fmac_f32 v15, v135, v86
	s_delay_alu instid0(VALU_DEP_2) | instskip(SKIP_1) | instid1(VALU_DEP_3)
	v_dual_fma_f32 v11, v134, v86, -v27 :: v_dual_add_f32 v7, v7, v13
	v_dual_mul_f32 v153, v138, v91 :: v_dual_mul_f32 v155, v140, v93
	v_dual_add_f32 v9, v9, v19 :: v_dual_fma_f32 v13, v136, v88, -v29
	s_delay_alu instid0(VALU_DEP_3) | instskip(SKIP_1) | instid1(VALU_DEP_3)
	v_dual_fmac_f32 v17, v137, v88 :: v_dual_add_f32 v7, v7, v15
	v_pk_mul_f32 v[78:79], v[110:111], v[94:95] op_sel:[1,1] op_sel_hi:[0,1]
	v_dual_add_f32 v9, v9, v11 :: v_dual_fmac_f32 v153, v139, v90
	s_wait_loadcnt 0x3
	v_dual_mov_b32 v84, v101 :: v_dual_fma_f32 v152, v138, v90, -v31
	v_dual_add_f32 v87, v7, v17 :: v_dual_fmac_f32 v155, v141, v92
	s_delay_alu instid0(VALU_DEP_3) | instskip(SKIP_3) | instid1(VALU_DEP_4)
	v_dual_add_f32 v86, v9, v13 :: v_dual_fma_f32 v154, v140, v92, -v33
	v_pk_fma_f32 v[88:89], v[110:111], v[94:95], v[78:79] op_sel_hi:[1,0,1]
	v_pk_mul_f32 v[80:81], v[144:145], v[80:81] op_sel_hi:[1,0]
	v_pk_fma_f32 v[78:79], v[110:111], v[94:95], v[78:79] neg_lo:[0,0,1] neg_hi:[0,0,1]
	v_pk_add_f32 v[86:87], v[86:87], v[152:153]
	v_pk_mul_f32 v[82:83], v[114:115], v[98:99] op_sel:[1,1] op_sel_hi:[0,1]
	v_mov_b32_e32 v79, v89
	v_pk_fma_f32 v[88:89], v[112:113], v[96:97], v[80:81] op_sel_hi:[1,0,1]
	v_pk_fma_f32 v[80:81], v[112:113], v[96:97], v[80:81] neg_lo:[0,0,1] neg_hi:[0,0,1]
	v_pk_add_f32 v[86:87], v[86:87], v[154:155]
	v_pk_fma_f32 v[92:93], v[114:115], v[98:99], v[82:83] op_sel_hi:[1,0,1]
	v_pk_mul_f32 v[84:85], v[146:147], v[84:85] op_sel_hi:[1,0]
	v_mov_b32_e32 v81, v89
	s_wait_loadcnt 0x2
	v_pk_mul_f32 v[90:91], v[118:119], v[102:103] op_sel:[1,1] op_sel_hi:[0,1]
	v_pk_add_f32 v[78:79], v[86:87], v[78:79]
	v_mov_b32_e32 v86, v105
	v_pk_fma_f32 v[82:83], v[114:115], v[98:99], v[82:83] neg_lo:[0,0,1] neg_hi:[0,0,1]
	v_mov_b32_e32 v83, v93
	v_pk_fma_f32 v[88:89], v[116:117], v[100:101], v[84:85] op_sel_hi:[1,0,1]
	v_pk_add_f32 v[78:79], v[78:79], v[80:81]
	v_pk_fma_f32 v[80:81], v[118:119], v[102:103], v[90:91] op_sel_hi:[1,0,1]
	v_pk_mul_f32 v[86:87], v[148:149], v[86:87] op_sel_hi:[1,0]
	v_pk_fma_f32 v[84:85], v[116:117], v[100:101], v[84:85] neg_lo:[0,0,1] neg_hi:[0,0,1]
	v_mov_b32_e32 v85, v89
	v_pk_add_f32 v[78:79], v[78:79], v[82:83]
	v_pk_fma_f32 v[88:89], v[118:119], v[102:103], v[90:91] neg_lo:[0,0,1] neg_hi:[0,0,1]
	v_mov_b32_e32 v89, v81
	v_pk_fma_f32 v[80:81], v[120:121], v[104:105], v[86:87] op_sel_hi:[1,0,1]
	s_wait_loadcnt 0x1
	v_pk_mul_f32 v[82:83], v[122:123], v[106:107] op_sel:[1,1] op_sel_hi:[0,1]
	v_pk_add_f32 v[78:79], v[78:79], v[84:85]
	v_mov_b32_e32 v80, v109
	v_pk_fma_f32 v[86:87], v[120:121], v[104:105], v[86:87] neg_lo:[0,0,1] neg_hi:[0,0,1]
	v_mov_b32_e32 v87, v81
	v_pk_fma_f32 v[84:85], v[122:123], v[106:107], v[82:83] op_sel_hi:[1,0,1]
	v_pk_add_f32 v[78:79], v[78:79], v[88:89]
	v_pk_mul_f32 v[80:81], v[150:151], v[80:81] op_sel_hi:[1,0]
	v_pk_fma_f32 v[82:83], v[122:123], v[106:107], v[82:83] neg_lo:[0,0,1] neg_hi:[0,0,1]
	s_delay_alu instid0(VALU_DEP_4) | instskip(NEXT) | instid1(VALU_DEP_4)
	v_mov_b32_e32 v83, v85
	v_pk_add_f32 v[78:79], v[78:79], v[86:87]
	s_delay_alu instid0(VALU_DEP_4) | instskip(SKIP_1) | instid1(VALU_DEP_2)
	v_pk_fma_f32 v[84:85], v[124:125], v[108:109], v[80:81] op_sel_hi:[1,0,1]
	v_pk_fma_f32 v[80:81], v[124:125], v[108:109], v[80:81] neg_lo:[0,0,1] neg_hi:[0,0,1]
	v_mov_b32_e32 v81, v85
	s_delay_alu instid0(VALU_DEP_4) | instskip(NEXT) | instid1(VALU_DEP_1)
	v_pk_add_f32 v[78:79], v[78:79], v[82:83]
	v_pk_add_f32 v[78:79], v[78:79], v[80:81]
	s_wait_loadcnt 0x0
	s_delay_alu instid0(VALU_DEP_1)
	v_pk_add_f32 v[78:79], v[142:143], v[78:79] neg_lo:[0,1] neg_hi:[0,1]
	scratch_store_b64 off, v[78:79], off offset:168
	s_wait_xcnt 0x0
	v_cmpx_lt_u32_e32 20, v0
	s_cbranch_execz .LBB101_201
; %bb.200:
	scratch_load_b64 v[78:79], off, off offset:160
	v_mov_b64_e32 v[80:81], 0
	scratch_store_b64 off, v[80:81], off offset:160
	s_wait_loadcnt 0x0
	ds_store_b64 v1, v[78:79]
.LBB101_201:
	s_wait_xcnt 0x0
	s_or_b32 exec_lo, exec_lo, s0
	s_wait_storecnt_dscnt 0x0
	s_barrier_signal -1
	s_barrier_wait -1
	s_clause 0x9
	scratch_load_b128 v[78:81], off, off offset:168
	scratch_load_b128 v[82:85], off, off offset:184
	;; [unrolled: 1-line block ×8, first 2 shown]
	scratch_load_b64 v[142:143], off, off offset:296
	scratch_load_b64 v[144:145], off, off offset:160
	v_mov_b32_e32 v7, 0
	ds_load_2addr_b64 v[110:113], v7 offset0:67 offset1:68
	ds_load_2addr_b64 v[114:117], v7 offset0:69 offset1:70
	;; [unrolled: 1-line block ×8, first 2 shown]
	ds_load_b64 v[146:147], v7 offset:600
	s_mov_b32 s0, exec_lo
	s_wait_dscnt 0x8
	v_dual_mov_b32 v148, v113 :: v_dual_mov_b32 v149, v112
	s_wait_dscnt 0x5
	v_dual_mov_b32 v150, v117 :: v_dual_mov_b32 v155, v124
	v_dual_mov_b32 v151, v116 :: v_dual_mov_b32 v152, v121
	;; [unrolled: 1-line block ×3, first 2 shown]
	s_wait_loadcnt_dscnt 0x904
	v_dual_mul_f32 v9, v126, v79 :: v_dual_mul_f32 v23, v127, v79
	v_dual_mul_f32 v25, v129, v81 :: v_dual_mul_f32 v11, v128, v81
	s_wait_loadcnt_dscnt 0x803
	v_mul_f32_e32 v13, v130, v83
	s_wait_loadcnt_dscnt 0x601
	v_dual_mul_f32 v35, v139, v91 :: v_dual_fma_f32 v23, v126, v78, -v23
	v_dual_fmac_f32 v9, v127, v78 :: v_dual_mul_f32 v37, v141, v93
	v_dual_mul_f32 v27, v131, v83 :: v_dual_mul_f32 v29, v133, v85
	v_dual_fmac_f32 v11, v129, v80 :: v_dual_fma_f32 v25, v128, v80, -v25
	s_delay_alu instid0(VALU_DEP_3) | instskip(SKIP_3) | instid1(VALU_DEP_3)
	v_dual_add_f32 v9, 0, v9 :: v_dual_add_f32 v23, 0, v23
	v_dual_mul_f32 v15, v132, v85 :: v_dual_mul_f32 v17, v134, v87
	s_wait_loadcnt 0x5
	v_dual_mul_f32 v39, v111, v95 :: v_dual_fma_f32 v27, v130, v82, -v27
	v_dual_fmac_f32 v13, v131, v82 :: v_dual_add_f32 v9, v9, v11
	v_dual_add_f32 v11, v23, v25 :: v_dual_mov_b32 v78, v97
	v_dual_mul_f32 v31, v135, v87 :: v_dual_mul_f32 v33, v137, v89
	v_dual_fmac_f32 v15, v133, v84 :: v_dual_fma_f32 v23, v132, v84, -v29
	s_delay_alu instid0(VALU_DEP_3) | instskip(SKIP_1) | instid1(VALU_DEP_4)
	v_dual_add_f32 v9, v9, v13 :: v_dual_add_f32 v11, v11, v27
	v_dual_mul_f32 v19, v136, v89 :: v_dual_mul_f32 v21, v138, v91
	v_dual_fmac_f32 v17, v135, v86 :: v_dual_fma_f32 v13, v134, v86, -v31
	s_delay_alu instid0(VALU_DEP_3) | instskip(SKIP_3) | instid1(VALU_DEP_3)
	v_dual_add_f32 v9, v9, v15 :: v_dual_fma_f32 v15, v136, v88, -v33
	s_wait_loadcnt 0x4
	v_dual_add_f32 v11, v11, v23 :: v_dual_mov_b32 v82, v101
	v_fmac_f32_e32 v19, v137, v88
	v_dual_add_f32 v9, v9, v17 :: v_dual_fmac_f32 v21, v139, v90
	s_delay_alu instid0(VALU_DEP_3) | instskip(SKIP_1) | instid1(VALU_DEP_3)
	v_add_f32_e32 v11, v11, v13
	v_dual_mul_f32 v157, v140, v93 :: v_dual_mul_f32 v159, v110, v95
	v_dual_fma_f32 v13, v138, v90, -v35 :: v_dual_add_f32 v9, v9, v19
	s_delay_alu instid0(VALU_DEP_2) | instskip(SKIP_1) | instid1(VALU_DEP_3)
	v_dual_add_f32 v11, v11, v15 :: v_dual_fmac_f32 v157, v141, v92
	v_pk_mul_f32 v[80:81], v[114:115], v[98:99] op_sel:[1,1] op_sel_hi:[0,1]
	v_dual_fma_f32 v156, v140, v92, -v37 :: v_dual_add_f32 v87, v9, v21
	v_pk_mul_f32 v[78:79], v[148:149], v[78:79] op_sel_hi:[1,0]
	s_wait_loadcnt 0x3
	v_dual_add_f32 v86, v11, v13 :: v_dual_mov_b32 v88, v105
	v_pk_fma_f32 v[92:93], v[114:115], v[98:99], v[80:81] op_sel_hi:[1,0,1]
	v_fmac_f32_e32 v159, v111, v94
	v_pk_fma_f32 v[90:91], v[112:113], v[96:97], v[78:79] op_sel_hi:[1,0,1]
	v_fma_f32 v158, v110, v94, -v39
	v_pk_add_f32 v[86:87], v[86:87], v[156:157]
	v_pk_fma_f32 v[78:79], v[112:113], v[96:97], v[78:79] neg_lo:[0,0,1] neg_hi:[0,0,1]
	v_pk_fma_f32 v[80:81], v[114:115], v[98:99], v[80:81] neg_lo:[0,0,1] neg_hi:[0,0,1]
	v_pk_mul_f32 v[82:83], v[150:151], v[82:83] op_sel_hi:[1,0]
	v_dual_mov_b32 v79, v91 :: v_dual_mov_b32 v81, v93
	v_pk_add_f32 v[86:87], v[86:87], v[158:159]
	v_pk_mul_f32 v[84:85], v[118:119], v[102:103] op_sel:[1,1] op_sel_hi:[0,1]
	s_delay_alu instid0(VALU_DEP_4)
	v_pk_fma_f32 v[92:93], v[116:117], v[100:101], v[82:83] op_sel_hi:[1,0,1]
	v_pk_fma_f32 v[82:83], v[116:117], v[100:101], v[82:83] neg_lo:[0,0,1] neg_hi:[0,0,1]
	v_pk_mul_f32 v[88:89], v[152:153], v[88:89] op_sel_hi:[1,0]
	v_pk_add_f32 v[78:79], v[86:87], v[78:79]
	v_pk_fma_f32 v[86:87], v[118:119], v[102:103], v[84:85] op_sel_hi:[1,0,1]
	v_mov_b32_e32 v83, v93
	v_pk_fma_f32 v[84:85], v[118:119], v[102:103], v[84:85] neg_lo:[0,0,1] neg_hi:[0,0,1]
	s_wait_loadcnt 0x2
	v_pk_mul_f32 v[90:91], v[122:123], v[106:107] op_sel:[1,1] op_sel_hi:[0,1]
	v_pk_add_f32 v[78:79], v[78:79], v[80:81]
	v_dual_mov_b32 v80, v109 :: v_dual_mov_b32 v85, v87
	v_pk_fma_f32 v[86:87], v[120:121], v[104:105], v[88:89] op_sel_hi:[1,0,1]
	v_pk_fma_f32 v[88:89], v[120:121], v[104:105], v[88:89] neg_lo:[0,0,1] neg_hi:[0,0,1]
	s_delay_alu instid0(VALU_DEP_4)
	v_pk_add_f32 v[78:79], v[78:79], v[82:83]
	v_pk_fma_f32 v[82:83], v[122:123], v[106:107], v[90:91] op_sel_hi:[1,0,1]
	v_pk_mul_f32 v[80:81], v[154:155], v[80:81] op_sel_hi:[1,0]
	v_mov_b32_e32 v89, v87
	s_wait_loadcnt_dscnt 0x100
	v_pk_mul_f32 v[86:87], v[146:147], v[142:143] op_sel:[1,1] op_sel_hi:[0,1]
	v_pk_add_f32 v[78:79], v[78:79], v[84:85]
	v_pk_fma_f32 v[84:85], v[122:123], v[106:107], v[90:91] neg_lo:[0,0,1] neg_hi:[0,0,1]
	v_mov_b32_e32 v85, v83
	v_pk_fma_f32 v[82:83], v[124:125], v[108:109], v[80:81] op_sel_hi:[1,0,1]
	v_pk_fma_f32 v[80:81], v[124:125], v[108:109], v[80:81] neg_lo:[0,0,1] neg_hi:[0,0,1]
	v_pk_add_f32 v[78:79], v[78:79], v[88:89]
	s_delay_alu instid0(VALU_DEP_3) | instskip(SKIP_1) | instid1(VALU_DEP_3)
	v_mov_b32_e32 v81, v83
	v_pk_fma_f32 v[82:83], v[146:147], v[142:143], v[86:87] op_sel_hi:[1,0,1]
	v_pk_add_f32 v[78:79], v[78:79], v[84:85]
	v_pk_fma_f32 v[84:85], v[146:147], v[142:143], v[86:87] neg_lo:[0,0,1] neg_hi:[0,0,1]
	s_delay_alu instid0(VALU_DEP_3) | instskip(NEXT) | instid1(VALU_DEP_3)
	v_mov_b32_e32 v85, v83
	v_pk_add_f32 v[78:79], v[78:79], v[80:81]
	s_delay_alu instid0(VALU_DEP_1) | instskip(SKIP_1) | instid1(VALU_DEP_1)
	v_pk_add_f32 v[78:79], v[78:79], v[84:85]
	s_wait_loadcnt 0x0
	v_pk_add_f32 v[78:79], v[144:145], v[78:79] neg_lo:[0,1] neg_hi:[0,1]
	scratch_store_b64 off, v[78:79], off offset:160
	s_wait_xcnt 0x0
	v_cmpx_lt_u32_e32 19, v0
	s_cbranch_execz .LBB101_203
; %bb.202:
	scratch_load_b64 v[78:79], off, off offset:152
	v_mov_b64_e32 v[80:81], 0
	scratch_store_b64 off, v[80:81], off offset:152
	s_wait_loadcnt 0x0
	ds_store_b64 v1, v[78:79]
.LBB101_203:
	s_wait_xcnt 0x0
	s_or_b32 exec_lo, exec_lo, s0
	s_wait_storecnt_dscnt 0x0
	s_barrier_signal -1
	s_barrier_wait -1
	s_clause 0x9
	scratch_load_b128 v[78:81], off, off offset:160
	scratch_load_b128 v[82:85], off, off offset:176
	;; [unrolled: 1-line block ×9, first 2 shown]
	scratch_load_b64 v[150:151], off, off offset:152
	ds_load_b128 v[114:117], v7 offset:544
	ds_load_b128 v[118:121], v7 offset:560
	;; [unrolled: 1-line block ×9, first 2 shown]
	s_mov_b32 s0, exec_lo
	s_wait_dscnt 0x8
	v_dual_mov_b32 v152, v117 :: v_dual_mov_b32 v153, v116
	s_wait_dscnt 0x7
	v_dual_mov_b32 v154, v121 :: v_dual_mov_b32 v155, v120
	;; [unrolled: 2-line block ×4, first 2 shown]
	s_wait_loadcnt_dscnt 0x904
	v_dual_mul_f32 v7, v130, v79 :: v_dual_mul_f32 v9, v132, v81
	v_dual_mul_f32 v23, v131, v79 :: v_dual_mul_f32 v25, v133, v81
	s_wait_loadcnt_dscnt 0x803
	v_dual_mul_f32 v11, v134, v83 :: v_dual_mul_f32 v13, v136, v85
	s_delay_alu instid0(VALU_DEP_3) | instskip(SKIP_3) | instid1(VALU_DEP_3)
	v_dual_fmac_f32 v7, v131, v78 :: v_dual_fmac_f32 v9, v133, v80
	s_wait_loadcnt_dscnt 0x601
	v_dual_fma_f32 v23, v130, v78, -v23 :: v_dual_mul_f32 v35, v143, v91
	v_dual_mul_f32 v27, v135, v83 :: v_dual_mul_f32 v29, v137, v85
	v_dual_fma_f32 v25, v132, v80, -v25 :: v_dual_add_f32 v7, 0, v7
	s_delay_alu instid0(VALU_DEP_3) | instskip(SKIP_1) | instid1(VALU_DEP_3)
	v_dual_add_f32 v23, 0, v23 :: v_dual_mul_f32 v37, v145, v93
	v_dual_fmac_f32 v11, v135, v82 :: v_dual_fmac_f32 v13, v137, v84
	v_dual_fma_f32 v27, v134, v82, -v27 :: v_dual_add_f32 v7, v7, v9
	s_delay_alu instid0(VALU_DEP_3) | instskip(SKIP_2) | instid1(VALU_DEP_4)
	v_dual_add_f32 v9, v23, v25 :: v_dual_fma_f32 v25, v136, v84, -v29
	v_dual_mul_f32 v15, v138, v87 :: v_dual_mul_f32 v17, v140, v89
	v_dual_mul_f32 v31, v139, v87 :: v_dual_mul_f32 v33, v141, v89
	v_add_f32_e32 v7, v7, v11
	s_delay_alu instid0(VALU_DEP_3) | instskip(NEXT) | instid1(VALU_DEP_3)
	v_dual_add_f32 v9, v9, v27 :: v_dual_fmac_f32 v15, v139, v86
	v_fma_f32 v27, v138, v86, -v31
	v_dual_mul_f32 v19, v142, v91 :: v_dual_mul_f32 v21, v144, v93
	s_delay_alu instid0(VALU_DEP_4) | instskip(NEXT) | instid1(VALU_DEP_4)
	v_dual_add_f32 v7, v7, v13 :: v_dual_fmac_f32 v17, v141, v88
	v_dual_add_f32 v9, v9, v25 :: v_dual_fma_f32 v13, v140, v88, -v33
	s_wait_loadcnt 0x4
	s_delay_alu instid0(VALU_DEP_2) | instskip(NEXT) | instid1(VALU_DEP_2)
	v_dual_mov_b32 v80, v101 :: v_dual_add_f32 v7, v7, v15
	v_dual_fmac_f32 v19, v143, v90 :: v_dual_add_f32 v9, v9, v27
	v_fma_f32 v15, v142, v90, -v35
	s_wait_dscnt 0x0
	v_dual_mul_f32 v161, v146, v95 :: v_dual_mul_f32 v163, v148, v97
	v_add_f32_e32 v7, v7, v17
	v_dual_add_f32 v9, v9, v13 :: v_dual_fma_f32 v13, v144, v92, -v37
	v_dual_mul_f32 v23, v147, v95 :: v_dual_mul_f32 v11, v149, v97
	s_delay_alu instid0(VALU_DEP_3) | instskip(NEXT) | instid1(VALU_DEP_3)
	v_dual_fmac_f32 v21, v145, v92 :: v_dual_add_f32 v7, v7, v19
	v_dual_add_f32 v9, v9, v15 :: v_dual_fmac_f32 v161, v147, v94
	v_pk_mul_f32 v[78:79], v[114:115], v[98:99] op_sel:[1,1] op_sel_hi:[0,1]
	s_wait_loadcnt 0x3
	v_dual_mov_b32 v84, v105 :: v_dual_fma_f32 v160, v146, v94, -v23
	v_dual_add_f32 v87, v7, v21 :: v_dual_fmac_f32 v163, v149, v96
	v_dual_add_f32 v86, v9, v13 :: v_dual_fma_f32 v162, v148, v96, -v11
	v_pk_fma_f32 v[88:89], v[114:115], v[98:99], v[78:79] op_sel_hi:[1,0,1]
	v_pk_mul_f32 v[80:81], v[152:153], v[80:81] op_sel_hi:[1,0]
	v_pk_fma_f32 v[78:79], v[114:115], v[98:99], v[78:79] neg_lo:[0,0,1] neg_hi:[0,0,1]
	s_delay_alu instid0(VALU_DEP_4)
	v_pk_add_f32 v[86:87], v[86:87], v[160:161]
	v_pk_mul_f32 v[82:83], v[118:119], v[102:103] op_sel:[1,1] op_sel_hi:[0,1]
	v_mov_b32_e32 v79, v89
	v_pk_fma_f32 v[88:89], v[116:117], v[100:101], v[80:81] op_sel_hi:[1,0,1]
	v_pk_fma_f32 v[80:81], v[116:117], v[100:101], v[80:81] neg_lo:[0,0,1] neg_hi:[0,0,1]
	v_pk_add_f32 v[86:87], v[86:87], v[162:163]
	v_pk_fma_f32 v[92:93], v[118:119], v[102:103], v[82:83] op_sel_hi:[1,0,1]
	v_pk_mul_f32 v[84:85], v[154:155], v[84:85] op_sel_hi:[1,0]
	v_mov_b32_e32 v81, v89
	s_wait_loadcnt 0x2
	v_pk_mul_f32 v[90:91], v[122:123], v[106:107] op_sel:[1,1] op_sel_hi:[0,1]
	v_pk_add_f32 v[78:79], v[86:87], v[78:79]
	v_mov_b32_e32 v86, v109
	v_pk_fma_f32 v[82:83], v[118:119], v[102:103], v[82:83] neg_lo:[0,0,1] neg_hi:[0,0,1]
	v_mov_b32_e32 v83, v93
	v_pk_fma_f32 v[88:89], v[120:121], v[104:105], v[84:85] op_sel_hi:[1,0,1]
	v_pk_add_f32 v[78:79], v[78:79], v[80:81]
	v_pk_fma_f32 v[80:81], v[122:123], v[106:107], v[90:91] op_sel_hi:[1,0,1]
	v_pk_mul_f32 v[86:87], v[156:157], v[86:87] op_sel_hi:[1,0]
	v_pk_fma_f32 v[84:85], v[120:121], v[104:105], v[84:85] neg_lo:[0,0,1] neg_hi:[0,0,1]
	v_mov_b32_e32 v85, v89
	v_pk_add_f32 v[78:79], v[78:79], v[82:83]
	v_pk_fma_f32 v[88:89], v[122:123], v[106:107], v[90:91] neg_lo:[0,0,1] neg_hi:[0,0,1]
	v_mov_b32_e32 v89, v81
	v_pk_fma_f32 v[80:81], v[124:125], v[108:109], v[86:87] op_sel_hi:[1,0,1]
	s_wait_loadcnt 0x1
	v_pk_mul_f32 v[82:83], v[126:127], v[110:111] op_sel:[1,1] op_sel_hi:[0,1]
	v_pk_add_f32 v[78:79], v[78:79], v[84:85]
	v_mov_b32_e32 v80, v113
	v_pk_fma_f32 v[86:87], v[124:125], v[108:109], v[86:87] neg_lo:[0,0,1] neg_hi:[0,0,1]
	v_mov_b32_e32 v87, v81
	v_pk_fma_f32 v[84:85], v[126:127], v[110:111], v[82:83] op_sel_hi:[1,0,1]
	v_pk_add_f32 v[78:79], v[78:79], v[88:89]
	v_pk_mul_f32 v[80:81], v[158:159], v[80:81] op_sel_hi:[1,0]
	v_pk_fma_f32 v[82:83], v[126:127], v[110:111], v[82:83] neg_lo:[0,0,1] neg_hi:[0,0,1]
	s_delay_alu instid0(VALU_DEP_4) | instskip(NEXT) | instid1(VALU_DEP_4)
	v_mov_b32_e32 v83, v85
	v_pk_add_f32 v[78:79], v[78:79], v[86:87]
	s_delay_alu instid0(VALU_DEP_4) | instskip(SKIP_1) | instid1(VALU_DEP_2)
	v_pk_fma_f32 v[84:85], v[128:129], v[112:113], v[80:81] op_sel_hi:[1,0,1]
	v_pk_fma_f32 v[80:81], v[128:129], v[112:113], v[80:81] neg_lo:[0,0,1] neg_hi:[0,0,1]
	v_mov_b32_e32 v81, v85
	s_delay_alu instid0(VALU_DEP_4) | instskip(NEXT) | instid1(VALU_DEP_1)
	v_pk_add_f32 v[78:79], v[78:79], v[82:83]
	v_pk_add_f32 v[78:79], v[78:79], v[80:81]
	s_wait_loadcnt 0x0
	s_delay_alu instid0(VALU_DEP_1)
	v_pk_add_f32 v[78:79], v[150:151], v[78:79] neg_lo:[0,1] neg_hi:[0,1]
	scratch_store_b64 off, v[78:79], off offset:152
	s_wait_xcnt 0x0
	v_cmpx_lt_u32_e32 18, v0
	s_cbranch_execz .LBB101_205
; %bb.204:
	scratch_load_b64 v[78:79], off, off offset:144
	v_mov_b64_e32 v[80:81], 0
	scratch_store_b64 off, v[80:81], off offset:144
	s_wait_loadcnt 0x0
	ds_store_b64 v1, v[78:79]
.LBB101_205:
	s_wait_xcnt 0x0
	s_or_b32 exec_lo, exec_lo, s0
	s_wait_storecnt_dscnt 0x0
	s_barrier_signal -1
	s_barrier_wait -1
	s_clause 0xa
	scratch_load_b128 v[78:81], off, off offset:152
	scratch_load_b128 v[82:85], off, off offset:168
	scratch_load_b128 v[86:89], off, off offset:184
	scratch_load_b128 v[90:93], off, off offset:200
	scratch_load_b128 v[94:97], off, off offset:216
	scratch_load_b128 v[98:101], off, off offset:232
	scratch_load_b128 v[102:105], off, off offset:248
	scratch_load_b128 v[106:109], off, off offset:264
	scratch_load_b128 v[110:113], off, off offset:280
	scratch_load_b64 v[150:151], off, off offset:296
	scratch_load_b64 v[152:153], off, off offset:144
	v_mov_b32_e32 v7, 0
	ds_load_2addr_b64 v[114:117], v7 offset0:67 offset1:68
	ds_load_2addr_b64 v[118:121], v7 offset0:69 offset1:70
	ds_load_2addr_b64 v[122:125], v7 offset0:71 offset1:72
	ds_load_2addr_b64 v[126:129], v7 offset0:73 offset1:74
	ds_load_2addr_b64 v[130:133], v7 offset0:57 offset1:58
	ds_load_2addr_b64 v[134:137], v7 offset0:59 offset1:60
	ds_load_2addr_b64 v[138:141], v7 offset0:61 offset1:62
	ds_load_2addr_b64 v[142:145], v7 offset0:63 offset1:64
	ds_load_2addr_b64 v[146:149], v7 offset0:65 offset1:66
	ds_load_b64 v[154:155], v7 offset:600
	s_mov_b32 s0, exec_lo
	s_wait_dscnt 0x9
	v_dual_mov_b32 v156, v117 :: v_dual_mov_b32 v157, v116
	s_wait_dscnt 0x6
	v_dual_mov_b32 v158, v121 :: v_dual_mov_b32 v163, v128
	v_dual_mov_b32 v159, v120 :: v_dual_mov_b32 v160, v125
	;; [unrolled: 1-line block ×3, first 2 shown]
	s_wait_loadcnt_dscnt 0xa05
	v_dual_mul_f32 v9, v130, v79 :: v_dual_mul_f32 v27, v131, v79
	v_dual_mul_f32 v29, v133, v81 :: v_dual_mul_f32 v11, v132, v81
	s_wait_loadcnt_dscnt 0x904
	v_mul_f32_e32 v13, v134, v83
	s_wait_loadcnt_dscnt 0x702
	v_dual_mul_f32 v39, v143, v91 :: v_dual_fma_f32 v27, v130, v78, -v27
	v_dual_fmac_f32 v9, v131, v78 :: v_dual_mul_f32 v41, v145, v93
	v_dual_mul_f32 v31, v135, v83 :: v_dual_mul_f32 v33, v137, v85
	v_dual_fmac_f32 v11, v133, v80 :: v_dual_fma_f32 v29, v132, v80, -v29
	s_delay_alu instid0(VALU_DEP_3) | instskip(SKIP_3) | instid1(VALU_DEP_3)
	v_dual_add_f32 v9, 0, v9 :: v_dual_add_f32 v27, 0, v27
	v_dual_mul_f32 v15, v136, v85 :: v_dual_mul_f32 v17, v138, v87
	s_wait_loadcnt_dscnt 0x601
	v_dual_mul_f32 v43, v147, v95 :: v_dual_fma_f32 v31, v134, v82, -v31
	v_dual_fmac_f32 v13, v135, v82 :: v_dual_add_f32 v9, v9, v11
	s_delay_alu instid0(VALU_DEP_3) | instskip(SKIP_2) | instid1(VALU_DEP_3)
	v_dual_add_f32 v11, v27, v29 :: v_dual_fmac_f32 v15, v137, v84
	v_dual_mul_f32 v35, v139, v87 :: v_dual_mul_f32 v37, v141, v89
	v_dual_mul_f32 v27, v149, v97 :: v_dual_fma_f32 v29, v136, v84, -v33
	v_dual_add_f32 v9, v9, v13 :: v_dual_add_f32 v11, v11, v31
	v_dual_mul_f32 v19, v140, v89 :: v_dual_mul_f32 v21, v142, v91
	s_wait_loadcnt 0x5
	v_dual_mul_f32 v13, v115, v99 :: v_dual_fma_f32 v31, v138, v86, -v35
	s_delay_alu instid0(VALU_DEP_3) | instskip(SKIP_2) | instid1(VALU_DEP_2)
	v_dual_fmac_f32 v17, v139, v86 :: v_dual_add_f32 v9, v9, v15
	v_dual_add_f32 v11, v11, v29 :: v_dual_mov_b32 v78, v101
	v_dual_fmac_f32 v19, v141, v88 :: v_dual_fma_f32 v15, v140, v88, -v37
	v_dual_add_f32 v9, v9, v17 :: v_dual_add_f32 v11, v11, v31
	v_dual_mul_f32 v23, v144, v93 :: v_dual_mul_f32 v25, v146, v95
	v_dual_fmac_f32 v21, v143, v90 :: v_dual_fma_f32 v17, v142, v90, -v39
	s_delay_alu instid0(VALU_DEP_3) | instskip(SKIP_3) | instid1(VALU_DEP_3)
	v_add_f32_e32 v9, v9, v19
	s_wait_loadcnt 0x4
	v_dual_add_f32 v11, v11, v15 :: v_dual_mov_b32 v82, v105
	v_dual_fmac_f32 v23, v145, v92 :: v_dual_fma_f32 v15, v144, v92, -v41
	v_dual_add_f32 v9, v9, v21 :: v_dual_fmac_f32 v25, v147, v94
	s_delay_alu instid0(VALU_DEP_3) | instskip(SKIP_1) | instid1(VALU_DEP_3)
	v_add_f32_e32 v11, v11, v17
	v_dual_mul_f32 v165, v148, v97 :: v_dual_mul_f32 v167, v114, v99
	v_dual_fma_f32 v17, v146, v94, -v43 :: v_dual_add_f32 v9, v9, v23
	s_delay_alu instid0(VALU_DEP_2) | instskip(SKIP_2) | instid1(VALU_DEP_4)
	v_dual_add_f32 v11, v11, v15 :: v_dual_fmac_f32 v165, v149, v96
	v_fma_f32 v164, v148, v96, -v27
	v_pk_mul_f32 v[78:79], v[156:157], v[78:79] op_sel_hi:[1,0]
	v_add_f32_e32 v87, v9, v25
	s_wait_loadcnt 0x3
	v_dual_add_f32 v86, v11, v17 :: v_dual_mov_b32 v88, v109
	v_pk_mul_f32 v[80:81], v[118:119], v[102:103] op_sel:[1,1] op_sel_hi:[0,1]
	v_dual_fmac_f32 v167, v115, v98 :: v_dual_fma_f32 v166, v114, v98, -v13
	v_pk_fma_f32 v[90:91], v[116:117], v[100:101], v[78:79] op_sel_hi:[1,0,1]
	s_delay_alu instid0(VALU_DEP_4)
	v_pk_add_f32 v[86:87], v[86:87], v[164:165]
	v_pk_fma_f32 v[78:79], v[116:117], v[100:101], v[78:79] neg_lo:[0,0,1] neg_hi:[0,0,1]
	v_pk_fma_f32 v[92:93], v[118:119], v[102:103], v[80:81] op_sel_hi:[1,0,1]
	v_pk_mul_f32 v[82:83], v[158:159], v[82:83] op_sel_hi:[1,0]
	v_mov_b32_e32 v79, v91
	v_pk_add_f32 v[86:87], v[86:87], v[166:167]
	v_pk_fma_f32 v[80:81], v[118:119], v[102:103], v[80:81] neg_lo:[0,0,1] neg_hi:[0,0,1]
	v_pk_mul_f32 v[84:85], v[122:123], v[106:107] op_sel:[1,1] op_sel_hi:[0,1]
	v_mov_b32_e32 v81, v93
	v_pk_fma_f32 v[92:93], v[120:121], v[104:105], v[82:83] op_sel_hi:[1,0,1]
	v_pk_add_f32 v[78:79], v[86:87], v[78:79]
	v_pk_fma_f32 v[82:83], v[120:121], v[104:105], v[82:83] neg_lo:[0,0,1] neg_hi:[0,0,1]
	v_pk_fma_f32 v[86:87], v[122:123], v[106:107], v[84:85] op_sel_hi:[1,0,1]
	v_pk_mul_f32 v[88:89], v[160:161], v[88:89] op_sel_hi:[1,0]
	v_mov_b32_e32 v83, v93
	v_pk_add_f32 v[78:79], v[78:79], v[80:81]
	v_pk_fma_f32 v[84:85], v[122:123], v[106:107], v[84:85] neg_lo:[0,0,1] neg_hi:[0,0,1]
	s_wait_loadcnt 0x2
	v_pk_mul_f32 v[90:91], v[126:127], v[110:111] op_sel:[1,1] op_sel_hi:[0,1]
	v_dual_mov_b32 v80, v113 :: v_dual_mov_b32 v85, v87
	v_pk_fma_f32 v[86:87], v[124:125], v[108:109], v[88:89] op_sel_hi:[1,0,1]
	v_pk_add_f32 v[78:79], v[78:79], v[82:83]
	v_pk_fma_f32 v[88:89], v[124:125], v[108:109], v[88:89] neg_lo:[0,0,1] neg_hi:[0,0,1]
	v_pk_fma_f32 v[82:83], v[126:127], v[110:111], v[90:91] op_sel_hi:[1,0,1]
	v_pk_mul_f32 v[80:81], v[162:163], v[80:81] op_sel_hi:[1,0]
	v_mov_b32_e32 v89, v87
	v_pk_add_f32 v[78:79], v[78:79], v[84:85]
	v_pk_fma_f32 v[84:85], v[126:127], v[110:111], v[90:91] neg_lo:[0,0,1] neg_hi:[0,0,1]
	v_mov_b32_e32 v85, v83
	v_pk_fma_f32 v[82:83], v[128:129], v[112:113], v[80:81] op_sel_hi:[1,0,1]
	s_wait_loadcnt_dscnt 0x100
	v_pk_mul_f32 v[86:87], v[154:155], v[150:151] op_sel:[1,1] op_sel_hi:[0,1]
	v_pk_add_f32 v[78:79], v[78:79], v[88:89]
	v_pk_fma_f32 v[80:81], v[128:129], v[112:113], v[80:81] neg_lo:[0,0,1] neg_hi:[0,0,1]
	v_mov_b32_e32 v81, v83
	s_delay_alu instid0(VALU_DEP_4) | instskip(NEXT) | instid1(VALU_DEP_4)
	v_pk_fma_f32 v[82:83], v[154:155], v[150:151], v[86:87] op_sel_hi:[1,0,1]
	v_pk_add_f32 v[78:79], v[78:79], v[84:85]
	v_pk_fma_f32 v[84:85], v[154:155], v[150:151], v[86:87] neg_lo:[0,0,1] neg_hi:[0,0,1]
	s_delay_alu instid0(VALU_DEP_3) | instskip(NEXT) | instid1(VALU_DEP_3)
	v_mov_b32_e32 v85, v83
	v_pk_add_f32 v[78:79], v[78:79], v[80:81]
	s_delay_alu instid0(VALU_DEP_1) | instskip(SKIP_1) | instid1(VALU_DEP_1)
	v_pk_add_f32 v[78:79], v[78:79], v[84:85]
	s_wait_loadcnt 0x0
	v_pk_add_f32 v[78:79], v[152:153], v[78:79] neg_lo:[0,1] neg_hi:[0,1]
	scratch_store_b64 off, v[78:79], off offset:144
	s_wait_xcnt 0x0
	v_cmpx_lt_u32_e32 17, v0
	s_cbranch_execz .LBB101_207
; %bb.206:
	scratch_load_b64 v[78:79], off, off offset:136
	v_mov_b64_e32 v[80:81], 0
	scratch_store_b64 off, v[80:81], off offset:136
	s_wait_loadcnt 0x0
	ds_store_b64 v1, v[78:79]
.LBB101_207:
	s_wait_xcnt 0x0
	s_or_b32 exec_lo, exec_lo, s0
	s_wait_storecnt_dscnt 0x0
	s_barrier_signal -1
	s_barrier_wait -1
	s_clause 0xa
	scratch_load_b128 v[78:81], off, off offset:144
	scratch_load_b128 v[82:85], off, off offset:160
	;; [unrolled: 1-line block ×10, first 2 shown]
	scratch_load_b64 v[158:159], off, off offset:136
	ds_load_b128 v[118:121], v7 offset:544
	ds_load_b128 v[122:125], v7 offset:560
	;; [unrolled: 1-line block ×10, first 2 shown]
	s_mov_b32 s0, exec_lo
	s_wait_dscnt 0x9
	v_dual_mov_b32 v160, v121 :: v_dual_mov_b32 v161, v120
	s_wait_dscnt 0x8
	v_dual_mov_b32 v162, v125 :: v_dual_mov_b32 v163, v124
	;; [unrolled: 2-line block ×4, first 2 shown]
	s_wait_loadcnt_dscnt 0xa05
	v_dual_mul_f32 v7, v134, v79 :: v_dual_mul_f32 v9, v136, v81
	v_dual_mul_f32 v27, v135, v79 :: v_dual_mul_f32 v29, v137, v81
	s_wait_loadcnt_dscnt 0x904
	v_dual_mul_f32 v11, v138, v83 :: v_dual_mul_f32 v13, v140, v85
	s_delay_alu instid0(VALU_DEP_3) | instskip(SKIP_3) | instid1(VALU_DEP_3)
	v_dual_fmac_f32 v7, v135, v78 :: v_dual_fmac_f32 v9, v137, v80
	s_wait_loadcnt_dscnt 0x702
	v_dual_fma_f32 v27, v134, v78, -v27 :: v_dual_mul_f32 v39, v147, v91
	v_dual_mul_f32 v31, v139, v83 :: v_dual_mul_f32 v33, v141, v85
	v_dual_fma_f32 v29, v136, v80, -v29 :: v_dual_add_f32 v7, 0, v7
	s_delay_alu instid0(VALU_DEP_3) | instskip(SKIP_1) | instid1(VALU_DEP_3)
	v_dual_add_f32 v27, 0, v27 :: v_dual_mul_f32 v41, v149, v93
	v_dual_fmac_f32 v11, v139, v82 :: v_dual_fmac_f32 v13, v141, v84
	v_dual_fma_f32 v31, v138, v82, -v31 :: v_dual_add_f32 v7, v7, v9
	s_delay_alu instid0(VALU_DEP_3) | instskip(SKIP_2) | instid1(VALU_DEP_4)
	v_dual_add_f32 v9, v27, v29 :: v_dual_fma_f32 v29, v140, v84, -v33
	v_dual_mul_f32 v15, v142, v87 :: v_dual_mul_f32 v17, v144, v89
	v_dual_mul_f32 v35, v143, v87 :: v_dual_mul_f32 v37, v145, v89
	v_add_f32_e32 v7, v7, v11
	s_delay_alu instid0(VALU_DEP_3) | instskip(NEXT) | instid1(VALU_DEP_3)
	v_dual_add_f32 v9, v9, v31 :: v_dual_fmac_f32 v15, v143, v86
	v_fma_f32 v31, v142, v86, -v35
	v_dual_mul_f32 v19, v146, v91 :: v_dual_mul_f32 v21, v148, v93
	s_delay_alu instid0(VALU_DEP_4) | instskip(SKIP_2) | instid1(VALU_DEP_2)
	v_dual_add_f32 v7, v7, v13 :: v_dual_fmac_f32 v17, v145, v88
	s_wait_loadcnt_dscnt 0x500
	v_dual_add_f32 v9, v9, v29 :: v_dual_mul_f32 v13, v155, v99
	v_dual_fma_f32 v29, v144, v88, -v37 :: v_dual_add_f32 v7, v7, v15
	v_mul_f32_e32 v15, v157, v101
	s_delay_alu instid0(VALU_DEP_3) | instskip(NEXT) | instid1(VALU_DEP_3)
	v_dual_add_f32 v9, v9, v31 :: v_dual_fmac_f32 v19, v147, v90
	v_dual_fma_f32 v31, v146, v90, -v39 :: v_dual_add_f32 v7, v7, v17
	v_fmac_f32_e32 v21, v149, v92
	s_delay_alu instid0(VALU_DEP_3) | instskip(SKIP_4) | instid1(VALU_DEP_3)
	v_dual_add_f32 v9, v9, v29 :: v_dual_fma_f32 v17, v148, v92, -v41
	v_dual_mul_f32 v23, v150, v95 :: v_dual_mul_f32 v25, v152, v97
	v_dual_mul_f32 v27, v151, v95 :: v_dual_mul_f32 v11, v153, v97
	s_wait_loadcnt 0x4
	v_dual_add_f32 v7, v7, v19 :: v_dual_mov_b32 v80, v105
	v_dual_add_f32 v9, v9, v31 :: v_dual_fmac_f32 v23, v151, v94
	s_delay_alu instid0(VALU_DEP_2) | instskip(SKIP_1) | instid1(VALU_DEP_3)
	v_dual_fma_f32 v19, v150, v94, -v27 :: v_dual_add_f32 v7, v7, v21
	v_dual_mul_f32 v169, v154, v99 :: v_dual_mul_f32 v171, v156, v101
	v_dual_add_f32 v9, v9, v17 :: v_dual_fma_f32 v11, v152, v96, -v11
	s_delay_alu instid0(VALU_DEP_3) | instskip(SKIP_1) | instid1(VALU_DEP_3)
	v_dual_fmac_f32 v25, v153, v96 :: v_dual_add_f32 v7, v7, v23
	v_pk_mul_f32 v[78:79], v[118:119], v[102:103] op_sel:[1,1] op_sel_hi:[0,1]
	v_dual_add_f32 v9, v9, v19 :: v_dual_fmac_f32 v169, v155, v98
	s_wait_loadcnt 0x3
	v_dual_mov_b32 v84, v109 :: v_dual_fma_f32 v168, v154, v98, -v13
	s_delay_alu instid0(VALU_DEP_2)
	v_dual_add_f32 v87, v7, v25 :: v_dual_add_f32 v86, v9, v11
	v_fmac_f32_e32 v171, v157, v100
	v_pk_fma_f32 v[88:89], v[118:119], v[102:103], v[78:79] op_sel_hi:[1,0,1]
	v_fma_f32 v170, v156, v100, -v15
	v_pk_mul_f32 v[80:81], v[160:161], v[80:81] op_sel_hi:[1,0]
	v_pk_add_f32 v[86:87], v[86:87], v[168:169]
	v_pk_fma_f32 v[78:79], v[118:119], v[102:103], v[78:79] neg_lo:[0,0,1] neg_hi:[0,0,1]
	v_pk_mul_f32 v[82:83], v[122:123], v[106:107] op_sel:[1,1] op_sel_hi:[0,1]
	v_mov_b32_e32 v79, v89
	v_pk_fma_f32 v[88:89], v[120:121], v[104:105], v[80:81] op_sel_hi:[1,0,1]
	v_pk_add_f32 v[86:87], v[86:87], v[170:171]
	v_pk_fma_f32 v[80:81], v[120:121], v[104:105], v[80:81] neg_lo:[0,0,1] neg_hi:[0,0,1]
	v_pk_fma_f32 v[92:93], v[122:123], v[106:107], v[82:83] op_sel_hi:[1,0,1]
	v_pk_mul_f32 v[84:85], v[162:163], v[84:85] op_sel_hi:[1,0]
	v_mov_b32_e32 v81, v89
	v_pk_add_f32 v[78:79], v[86:87], v[78:79]
	s_wait_loadcnt 0x2
	v_pk_mul_f32 v[90:91], v[126:127], v[110:111] op_sel:[1,1] op_sel_hi:[0,1]
	v_mov_b32_e32 v86, v113
	v_pk_fma_f32 v[82:83], v[122:123], v[106:107], v[82:83] neg_lo:[0,0,1] neg_hi:[0,0,1]
	v_pk_fma_f32 v[88:89], v[124:125], v[108:109], v[84:85] op_sel_hi:[1,0,1]
	v_mov_b32_e32 v83, v93
	v_pk_add_f32 v[78:79], v[78:79], v[80:81]
	v_pk_fma_f32 v[80:81], v[126:127], v[110:111], v[90:91] op_sel_hi:[1,0,1]
	v_pk_mul_f32 v[86:87], v[164:165], v[86:87] op_sel_hi:[1,0]
	v_pk_fma_f32 v[84:85], v[124:125], v[108:109], v[84:85] neg_lo:[0,0,1] neg_hi:[0,0,1]
	v_mov_b32_e32 v85, v89
	v_pk_add_f32 v[78:79], v[78:79], v[82:83]
	v_pk_fma_f32 v[88:89], v[126:127], v[110:111], v[90:91] neg_lo:[0,0,1] neg_hi:[0,0,1]
	v_mov_b32_e32 v89, v81
	v_pk_fma_f32 v[80:81], v[128:129], v[112:113], v[86:87] op_sel_hi:[1,0,1]
	s_wait_loadcnt 0x1
	v_pk_mul_f32 v[82:83], v[130:131], v[114:115] op_sel:[1,1] op_sel_hi:[0,1]
	v_pk_add_f32 v[78:79], v[78:79], v[84:85]
	v_mov_b32_e32 v80, v117
	v_pk_fma_f32 v[86:87], v[128:129], v[112:113], v[86:87] neg_lo:[0,0,1] neg_hi:[0,0,1]
	s_delay_alu instid0(VALU_DEP_4)
	v_pk_fma_f32 v[84:85], v[130:131], v[114:115], v[82:83] op_sel_hi:[1,0,1]
	v_mov_b32_e32 v87, v81
	v_pk_add_f32 v[78:79], v[78:79], v[88:89]
	v_pk_mul_f32 v[80:81], v[166:167], v[80:81] op_sel_hi:[1,0]
	v_pk_fma_f32 v[82:83], v[130:131], v[114:115], v[82:83] neg_lo:[0,0,1] neg_hi:[0,0,1]
	v_mov_b32_e32 v83, v85
	s_delay_alu instid0(VALU_DEP_4) | instskip(NEXT) | instid1(VALU_DEP_4)
	v_pk_add_f32 v[78:79], v[78:79], v[86:87]
	v_pk_fma_f32 v[84:85], v[132:133], v[116:117], v[80:81] op_sel_hi:[1,0,1]
	v_pk_fma_f32 v[80:81], v[132:133], v[116:117], v[80:81] neg_lo:[0,0,1] neg_hi:[0,0,1]
	s_delay_alu instid0(VALU_DEP_3) | instskip(NEXT) | instid1(VALU_DEP_3)
	v_pk_add_f32 v[78:79], v[78:79], v[82:83]
	v_mov_b32_e32 v81, v85
	s_delay_alu instid0(VALU_DEP_1) | instskip(SKIP_1) | instid1(VALU_DEP_1)
	v_pk_add_f32 v[78:79], v[78:79], v[80:81]
	s_wait_loadcnt 0x0
	v_pk_add_f32 v[78:79], v[158:159], v[78:79] neg_lo:[0,1] neg_hi:[0,1]
	scratch_store_b64 off, v[78:79], off offset:136
	s_wait_xcnt 0x0
	v_cmpx_lt_u32_e32 16, v0
	s_cbranch_execz .LBB101_209
; %bb.208:
	scratch_load_b64 v[78:79], off, off offset:128
	v_mov_b64_e32 v[80:81], 0
	scratch_store_b64 off, v[80:81], off offset:128
	s_wait_loadcnt 0x0
	ds_store_b64 v1, v[78:79]
.LBB101_209:
	s_wait_xcnt 0x0
	s_or_b32 exec_lo, exec_lo, s0
	s_wait_storecnt_dscnt 0x0
	s_barrier_signal -1
	s_barrier_wait -1
	s_clause 0xb
	scratch_load_b128 v[78:81], off, off offset:136
	scratch_load_b128 v[82:85], off, off offset:152
	;; [unrolled: 1-line block ×10, first 2 shown]
	scratch_load_b64 v[158:159], off, off offset:296
	scratch_load_b64 v[160:161], off, off offset:128
	v_mov_b32_e32 v7, 0
	ds_load_2addr_b64 v[118:121], v7 offset0:67 offset1:68
	ds_load_2addr_b64 v[122:125], v7 offset0:69 offset1:70
	;; [unrolled: 1-line block ×10, first 2 shown]
	ds_load_b64 v[162:163], v7 offset:600
	s_mov_b32 s0, exec_lo
	s_wait_dscnt 0xa
	v_dual_mov_b32 v164, v121 :: v_dual_mov_b32 v165, v120
	s_wait_dscnt 0x7
	v_dual_mov_b32 v166, v125 :: v_dual_mov_b32 v171, v132
	v_dual_mov_b32 v167, v124 :: v_dual_mov_b32 v168, v129
	;; [unrolled: 1-line block ×3, first 2 shown]
	s_wait_loadcnt_dscnt 0xb06
	v_dual_mul_f32 v9, v134, v79 :: v_dual_mul_f32 v31, v135, v79
	v_dual_mul_f32 v33, v137, v81 :: v_dual_mul_f32 v11, v136, v81
	s_wait_loadcnt_dscnt 0xa05
	v_mul_f32_e32 v13, v138, v83
	s_wait_loadcnt_dscnt 0x803
	v_dual_mul_f32 v43, v147, v91 :: v_dual_fma_f32 v31, v134, v78, -v31
	v_dual_fmac_f32 v9, v135, v78 :: v_dual_mul_f32 v45, v149, v93
	v_dual_mul_f32 v35, v139, v83 :: v_dual_mul_f32 v37, v141, v85
	v_dual_fmac_f32 v11, v137, v80 :: v_dual_fma_f32 v33, v136, v80, -v33
	s_delay_alu instid0(VALU_DEP_3) | instskip(SKIP_3) | instid1(VALU_DEP_3)
	v_dual_add_f32 v9, 0, v9 :: v_dual_add_f32 v31, 0, v31
	v_dual_mul_f32 v15, v140, v85 :: v_dual_mul_f32 v17, v142, v87
	s_wait_loadcnt_dscnt 0x702
	v_dual_mul_f32 v47, v151, v95 :: v_dual_fma_f32 v35, v138, v82, -v35
	v_dual_fmac_f32 v13, v139, v82 :: v_dual_add_f32 v9, v9, v11
	s_delay_alu instid0(VALU_DEP_3) | instskip(SKIP_2) | instid1(VALU_DEP_3)
	v_dual_add_f32 v11, v31, v33 :: v_dual_fmac_f32 v15, v141, v84
	v_dual_mul_f32 v39, v143, v87 :: v_dual_mul_f32 v41, v145, v89
	v_dual_mul_f32 v31, v153, v97 :: v_dual_fma_f32 v33, v140, v84, -v37
	v_dual_add_f32 v9, v9, v13 :: v_dual_add_f32 v11, v11, v35
	v_dual_mul_f32 v19, v144, v89 :: v_dual_mul_f32 v21, v146, v91
	s_wait_loadcnt_dscnt 0x601
	v_dual_mul_f32 v13, v155, v99 :: v_dual_fma_f32 v35, v142, v86, -v39
	s_delay_alu instid0(VALU_DEP_3) | instskip(NEXT) | instid1(VALU_DEP_3)
	v_dual_fmac_f32 v17, v143, v86 :: v_dual_add_f32 v9, v9, v15
	v_dual_add_f32 v11, v11, v33 :: v_dual_fmac_f32 v19, v145, v88
	v_dual_mul_f32 v15, v157, v101 :: v_dual_fma_f32 v33, v144, v88, -v41
	s_delay_alu instid0(VALU_DEP_2) | instskip(SKIP_3) | instid1(VALU_DEP_3)
	v_dual_add_f32 v9, v9, v17 :: v_dual_add_f32 v11, v11, v35
	v_dual_mul_f32 v23, v148, v93 :: v_dual_mul_f32 v25, v150, v95
	s_wait_loadcnt 0x5
	v_dual_mul_f32 v17, v119, v103 :: v_dual_fma_f32 v35, v146, v90, -v43
	v_dual_fmac_f32 v21, v147, v90 :: v_dual_add_f32 v9, v9, v19
	v_dual_add_f32 v11, v11, v33 :: v_dual_mov_b32 v78, v105
	v_dual_fmac_f32 v23, v149, v92 :: v_dual_fma_f32 v19, v148, v92, -v45
	s_delay_alu instid0(VALU_DEP_2) | instskip(SKIP_2) | instid1(VALU_DEP_3)
	v_dual_add_f32 v9, v9, v21 :: v_dual_add_f32 v11, v11, v35
	v_dual_mul_f32 v27, v152, v97 :: v_dual_mul_f32 v29, v154, v99
	v_dual_fmac_f32 v25, v151, v94 :: v_dual_fma_f32 v21, v150, v94, -v47
	v_add_f32_e32 v9, v9, v23
	s_wait_loadcnt 0x4
	v_dual_add_f32 v11, v11, v19 :: v_dual_mov_b32 v82, v109
	v_fmac_f32_e32 v27, v153, v96
	s_delay_alu instid0(VALU_DEP_3) | instskip(SKIP_1) | instid1(VALU_DEP_4)
	v_dual_fma_f32 v19, v152, v96, -v31 :: v_dual_add_f32 v9, v9, v25
	v_fmac_f32_e32 v29, v155, v98
	v_add_f32_e32 v11, v11, v21
	v_dual_mul_f32 v173, v156, v101 :: v_dual_mul_f32 v175, v118, v103
	s_delay_alu instid0(VALU_DEP_4) | instskip(NEXT) | instid1(VALU_DEP_2)
	v_dual_fma_f32 v13, v154, v98, -v13 :: v_dual_add_f32 v9, v9, v27
	v_dual_add_f32 v11, v11, v19 :: v_dual_fmac_f32 v173, v157, v100
	v_fma_f32 v172, v156, v100, -v15
	v_pk_mul_f32 v[78:79], v[164:165], v[78:79] op_sel_hi:[1,0]
	s_delay_alu instid0(VALU_DEP_4)
	v_add_f32_e32 v87, v9, v29
	s_wait_loadcnt 0x3
	v_dual_add_f32 v86, v11, v13 :: v_dual_mov_b32 v88, v113
	v_pk_mul_f32 v[80:81], v[122:123], v[106:107] op_sel:[1,1] op_sel_hi:[0,1]
	v_dual_fmac_f32 v175, v119, v102 :: v_dual_fma_f32 v174, v118, v102, -v17
	v_pk_fma_f32 v[90:91], v[120:121], v[104:105], v[78:79] op_sel_hi:[1,0,1]
	s_delay_alu instid0(VALU_DEP_4)
	v_pk_add_f32 v[86:87], v[86:87], v[172:173]
	v_pk_fma_f32 v[78:79], v[120:121], v[104:105], v[78:79] neg_lo:[0,0,1] neg_hi:[0,0,1]
	v_pk_fma_f32 v[92:93], v[122:123], v[106:107], v[80:81] op_sel_hi:[1,0,1]
	v_pk_mul_f32 v[82:83], v[166:167], v[82:83] op_sel_hi:[1,0]
	v_mov_b32_e32 v79, v91
	v_pk_add_f32 v[86:87], v[86:87], v[174:175]
	v_pk_fma_f32 v[80:81], v[122:123], v[106:107], v[80:81] neg_lo:[0,0,1] neg_hi:[0,0,1]
	v_pk_mul_f32 v[84:85], v[126:127], v[110:111] op_sel:[1,1] op_sel_hi:[0,1]
	v_mov_b32_e32 v81, v93
	v_pk_fma_f32 v[92:93], v[124:125], v[108:109], v[82:83] op_sel_hi:[1,0,1]
	v_pk_add_f32 v[78:79], v[86:87], v[78:79]
	v_pk_fma_f32 v[82:83], v[124:125], v[108:109], v[82:83] neg_lo:[0,0,1] neg_hi:[0,0,1]
	v_pk_fma_f32 v[86:87], v[126:127], v[110:111], v[84:85] op_sel_hi:[1,0,1]
	v_pk_mul_f32 v[88:89], v[168:169], v[88:89] op_sel_hi:[1,0]
	v_mov_b32_e32 v83, v93
	v_pk_add_f32 v[78:79], v[78:79], v[80:81]
	v_pk_fma_f32 v[84:85], v[126:127], v[110:111], v[84:85] neg_lo:[0,0,1] neg_hi:[0,0,1]
	s_wait_loadcnt 0x2
	v_pk_mul_f32 v[90:91], v[130:131], v[114:115] op_sel:[1,1] op_sel_hi:[0,1]
	v_dual_mov_b32 v80, v117 :: v_dual_mov_b32 v85, v87
	v_pk_fma_f32 v[86:87], v[128:129], v[112:113], v[88:89] op_sel_hi:[1,0,1]
	v_pk_add_f32 v[78:79], v[78:79], v[82:83]
	v_pk_fma_f32 v[88:89], v[128:129], v[112:113], v[88:89] neg_lo:[0,0,1] neg_hi:[0,0,1]
	v_pk_fma_f32 v[82:83], v[130:131], v[114:115], v[90:91] op_sel_hi:[1,0,1]
	v_pk_mul_f32 v[80:81], v[170:171], v[80:81] op_sel_hi:[1,0]
	v_mov_b32_e32 v89, v87
	v_pk_add_f32 v[78:79], v[78:79], v[84:85]
	v_pk_fma_f32 v[84:85], v[130:131], v[114:115], v[90:91] neg_lo:[0,0,1] neg_hi:[0,0,1]
	v_mov_b32_e32 v85, v83
	v_pk_fma_f32 v[82:83], v[132:133], v[116:117], v[80:81] op_sel_hi:[1,0,1]
	s_wait_loadcnt_dscnt 0x100
	v_pk_mul_f32 v[86:87], v[162:163], v[158:159] op_sel:[1,1] op_sel_hi:[0,1]
	v_pk_add_f32 v[78:79], v[78:79], v[88:89]
	v_pk_fma_f32 v[80:81], v[132:133], v[116:117], v[80:81] neg_lo:[0,0,1] neg_hi:[0,0,1]
	v_mov_b32_e32 v81, v83
	s_delay_alu instid0(VALU_DEP_4) | instskip(NEXT) | instid1(VALU_DEP_4)
	v_pk_fma_f32 v[82:83], v[162:163], v[158:159], v[86:87] op_sel_hi:[1,0,1]
	v_pk_add_f32 v[78:79], v[78:79], v[84:85]
	v_pk_fma_f32 v[84:85], v[162:163], v[158:159], v[86:87] neg_lo:[0,0,1] neg_hi:[0,0,1]
	s_delay_alu instid0(VALU_DEP_3) | instskip(NEXT) | instid1(VALU_DEP_3)
	v_mov_b32_e32 v85, v83
	v_pk_add_f32 v[78:79], v[78:79], v[80:81]
	s_delay_alu instid0(VALU_DEP_1) | instskip(SKIP_1) | instid1(VALU_DEP_1)
	v_pk_add_f32 v[78:79], v[78:79], v[84:85]
	s_wait_loadcnt 0x0
	v_pk_add_f32 v[78:79], v[160:161], v[78:79] neg_lo:[0,1] neg_hi:[0,1]
	scratch_store_b64 off, v[78:79], off offset:128
	s_wait_xcnt 0x0
	v_cmpx_lt_u32_e32 15, v0
	s_cbranch_execz .LBB101_211
; %bb.210:
	scratch_load_b64 v[78:79], off, off offset:120
	v_mov_b64_e32 v[80:81], 0
	scratch_store_b64 off, v[80:81], off offset:120
	s_wait_loadcnt 0x0
	ds_store_b64 v1, v[78:79]
.LBB101_211:
	s_wait_xcnt 0x0
	s_or_b32 exec_lo, exec_lo, s0
	s_wait_storecnt_dscnt 0x0
	s_barrier_signal -1
	s_barrier_wait -1
	s_clause 0xb
	scratch_load_b128 v[78:81], off, off offset:128
	scratch_load_b128 v[82:85], off, off offset:144
	;; [unrolled: 1-line block ×11, first 2 shown]
	scratch_load_b64 v[166:167], off, off offset:120
	ds_load_b128 v[122:125], v7 offset:544
	ds_load_b128 v[126:129], v7 offset:560
	;; [unrolled: 1-line block ×11, first 2 shown]
	s_mov_b32 s0, exec_lo
	s_wait_dscnt 0xa
	v_dual_mov_b32 v168, v125 :: v_dual_mov_b32 v169, v124
	s_wait_dscnt 0x9
	v_dual_mov_b32 v170, v129 :: v_dual_mov_b32 v171, v128
	;; [unrolled: 2-line block ×4, first 2 shown]
	s_wait_loadcnt_dscnt 0xb06
	v_dual_mul_f32 v7, v138, v79 :: v_dual_mul_f32 v9, v140, v81
	v_dual_mul_f32 v31, v139, v79 :: v_dual_mul_f32 v33, v141, v81
	s_wait_loadcnt_dscnt 0xa05
	v_dual_mul_f32 v11, v142, v83 :: v_dual_mul_f32 v13, v144, v85
	s_delay_alu instid0(VALU_DEP_3) | instskip(SKIP_3) | instid1(VALU_DEP_3)
	v_dual_fmac_f32 v7, v139, v78 :: v_dual_fmac_f32 v9, v141, v80
	s_wait_loadcnt_dscnt 0x803
	v_dual_fma_f32 v31, v138, v78, -v31 :: v_dual_mul_f32 v43, v151, v91
	v_dual_mul_f32 v35, v143, v83 :: v_dual_mul_f32 v37, v145, v85
	v_dual_fma_f32 v33, v140, v80, -v33 :: v_dual_add_f32 v7, 0, v7
	s_delay_alu instid0(VALU_DEP_3) | instskip(SKIP_1) | instid1(VALU_DEP_3)
	v_dual_add_f32 v31, 0, v31 :: v_dual_mul_f32 v45, v153, v93
	v_dual_fmac_f32 v11, v143, v82 :: v_dual_fmac_f32 v13, v145, v84
	v_dual_fma_f32 v35, v142, v82, -v35 :: v_dual_add_f32 v7, v7, v9
	s_delay_alu instid0(VALU_DEP_3) | instskip(SKIP_2) | instid1(VALU_DEP_4)
	v_dual_add_f32 v9, v31, v33 :: v_dual_fma_f32 v33, v144, v84, -v37
	v_dual_mul_f32 v15, v146, v87 :: v_dual_mul_f32 v17, v148, v89
	v_dual_mul_f32 v39, v147, v87 :: v_dual_mul_f32 v41, v149, v89
	v_add_f32_e32 v7, v7, v11
	s_delay_alu instid0(VALU_DEP_3) | instskip(NEXT) | instid1(VALU_DEP_3)
	v_dual_add_f32 v9, v9, v35 :: v_dual_fmac_f32 v15, v147, v86
	v_fma_f32 v35, v146, v86, -v39
	v_dual_mul_f32 v19, v150, v91 :: v_dual_mul_f32 v21, v152, v93
	s_delay_alu instid0(VALU_DEP_4) | instskip(SKIP_2) | instid1(VALU_DEP_2)
	v_dual_add_f32 v7, v7, v13 :: v_dual_fmac_f32 v17, v149, v88
	s_wait_loadcnt_dscnt 0x601
	v_dual_add_f32 v9, v9, v33 :: v_dual_mul_f32 v13, v159, v99
	v_dual_fma_f32 v33, v148, v88, -v41 :: v_dual_add_f32 v7, v7, v15
	v_mul_f32_e32 v15, v161, v101
	s_delay_alu instid0(VALU_DEP_3) | instskip(NEXT) | instid1(VALU_DEP_3)
	v_dual_add_f32 v9, v9, v35 :: v_dual_fmac_f32 v19, v151, v90
	v_dual_fma_f32 v35, v150, v90, -v43 :: v_dual_add_f32 v7, v7, v17
	v_fmac_f32_e32 v21, v153, v92
	s_wait_loadcnt_dscnt 0x500
	s_delay_alu instid0(VALU_DEP_3) | instskip(SKIP_3) | instid1(VALU_DEP_3)
	v_dual_add_f32 v9, v9, v33 :: v_dual_mul_f32 v17, v163, v103
	v_dual_mul_f32 v23, v154, v95 :: v_dual_mul_f32 v25, v156, v97
	v_dual_mul_f32 v31, v155, v95 :: v_dual_mul_f32 v11, v157, v97
	v_dual_fma_f32 v33, v152, v92, -v45 :: v_dual_add_f32 v7, v7, v19
	v_dual_add_f32 v9, v9, v35 :: v_dual_fmac_f32 v23, v155, v94
	s_delay_alu instid0(VALU_DEP_3) | instskip(NEXT) | instid1(VALU_DEP_3)
	v_dual_mul_f32 v19, v165, v105 :: v_dual_fma_f32 v31, v154, v94, -v31
	v_dual_add_f32 v7, v7, v21 :: v_dual_fmac_f32 v25, v157, v96
	s_delay_alu instid0(VALU_DEP_3) | instskip(SKIP_2) | instid1(VALU_DEP_3)
	v_dual_add_f32 v9, v9, v33 :: v_dual_fma_f32 v11, v156, v96, -v11
	v_dual_mul_f32 v27, v158, v99 :: v_dual_mul_f32 v29, v160, v101
	s_wait_loadcnt 0x4
	v_dual_add_f32 v7, v7, v23 :: v_dual_mov_b32 v80, v109
	s_delay_alu instid0(VALU_DEP_2) | instskip(NEXT) | instid1(VALU_DEP_2)
	v_dual_add_f32 v9, v9, v31 :: v_dual_fmac_f32 v27, v159, v98
	v_dual_fma_f32 v13, v158, v98, -v13 :: v_dual_add_f32 v7, v7, v25
	v_dual_mul_f32 v177, v162, v103 :: v_dual_mul_f32 v179, v164, v105
	s_delay_alu instid0(VALU_DEP_3) | instskip(NEXT) | instid1(VALU_DEP_3)
	v_dual_add_f32 v9, v9, v11 :: v_dual_fma_f32 v11, v160, v100, -v15
	v_dual_fmac_f32 v29, v161, v100 :: v_dual_add_f32 v7, v7, v27
	v_pk_mul_f32 v[78:79], v[122:123], v[106:107] op_sel:[1,1] op_sel_hi:[0,1]
	s_delay_alu instid0(VALU_DEP_3) | instskip(SKIP_2) | instid1(VALU_DEP_2)
	v_dual_add_f32 v9, v9, v13 :: v_dual_fmac_f32 v177, v163, v102
	s_wait_loadcnt 0x3
	v_dual_mov_b32 v84, v113 :: v_dual_fma_f32 v176, v162, v102, -v17
	v_dual_add_f32 v87, v7, v29 :: v_dual_add_f32 v86, v9, v11
	v_fmac_f32_e32 v179, v165, v104
	v_pk_fma_f32 v[88:89], v[122:123], v[106:107], v[78:79] op_sel_hi:[1,0,1]
	v_fma_f32 v178, v164, v104, -v19
	v_pk_mul_f32 v[80:81], v[168:169], v[80:81] op_sel_hi:[1,0]
	v_pk_add_f32 v[86:87], v[86:87], v[176:177]
	v_pk_fma_f32 v[78:79], v[122:123], v[106:107], v[78:79] neg_lo:[0,0,1] neg_hi:[0,0,1]
	v_pk_mul_f32 v[82:83], v[126:127], v[110:111] op_sel:[1,1] op_sel_hi:[0,1]
	v_mov_b32_e32 v79, v89
	v_pk_fma_f32 v[88:89], v[124:125], v[108:109], v[80:81] op_sel_hi:[1,0,1]
	v_pk_add_f32 v[86:87], v[86:87], v[178:179]
	v_pk_fma_f32 v[80:81], v[124:125], v[108:109], v[80:81] neg_lo:[0,0,1] neg_hi:[0,0,1]
	v_pk_fma_f32 v[92:93], v[126:127], v[110:111], v[82:83] op_sel_hi:[1,0,1]
	v_pk_mul_f32 v[84:85], v[170:171], v[84:85] op_sel_hi:[1,0]
	v_mov_b32_e32 v81, v89
	v_pk_add_f32 v[78:79], v[86:87], v[78:79]
	s_wait_loadcnt 0x2
	v_pk_mul_f32 v[90:91], v[130:131], v[114:115] op_sel:[1,1] op_sel_hi:[0,1]
	v_mov_b32_e32 v86, v117
	v_pk_fma_f32 v[82:83], v[126:127], v[110:111], v[82:83] neg_lo:[0,0,1] neg_hi:[0,0,1]
	v_pk_fma_f32 v[88:89], v[128:129], v[112:113], v[84:85] op_sel_hi:[1,0,1]
	v_mov_b32_e32 v83, v93
	v_pk_add_f32 v[78:79], v[78:79], v[80:81]
	v_pk_fma_f32 v[80:81], v[130:131], v[114:115], v[90:91] op_sel_hi:[1,0,1]
	v_pk_mul_f32 v[86:87], v[172:173], v[86:87] op_sel_hi:[1,0]
	v_pk_fma_f32 v[84:85], v[128:129], v[112:113], v[84:85] neg_lo:[0,0,1] neg_hi:[0,0,1]
	v_mov_b32_e32 v85, v89
	v_pk_add_f32 v[78:79], v[78:79], v[82:83]
	v_pk_fma_f32 v[88:89], v[130:131], v[114:115], v[90:91] neg_lo:[0,0,1] neg_hi:[0,0,1]
	v_mov_b32_e32 v89, v81
	v_pk_fma_f32 v[80:81], v[132:133], v[116:117], v[86:87] op_sel_hi:[1,0,1]
	s_wait_loadcnt 0x1
	v_pk_mul_f32 v[82:83], v[134:135], v[118:119] op_sel:[1,1] op_sel_hi:[0,1]
	v_pk_add_f32 v[78:79], v[78:79], v[84:85]
	v_mov_b32_e32 v80, v121
	v_pk_fma_f32 v[86:87], v[132:133], v[116:117], v[86:87] neg_lo:[0,0,1] neg_hi:[0,0,1]
	s_delay_alu instid0(VALU_DEP_4)
	v_pk_fma_f32 v[84:85], v[134:135], v[118:119], v[82:83] op_sel_hi:[1,0,1]
	v_mov_b32_e32 v87, v81
	v_pk_add_f32 v[78:79], v[78:79], v[88:89]
	v_pk_mul_f32 v[80:81], v[174:175], v[80:81] op_sel_hi:[1,0]
	v_pk_fma_f32 v[82:83], v[134:135], v[118:119], v[82:83] neg_lo:[0,0,1] neg_hi:[0,0,1]
	v_mov_b32_e32 v83, v85
	s_delay_alu instid0(VALU_DEP_4) | instskip(NEXT) | instid1(VALU_DEP_4)
	v_pk_add_f32 v[78:79], v[78:79], v[86:87]
	v_pk_fma_f32 v[84:85], v[136:137], v[120:121], v[80:81] op_sel_hi:[1,0,1]
	v_pk_fma_f32 v[80:81], v[136:137], v[120:121], v[80:81] neg_lo:[0,0,1] neg_hi:[0,0,1]
	s_delay_alu instid0(VALU_DEP_3) | instskip(NEXT) | instid1(VALU_DEP_3)
	v_pk_add_f32 v[78:79], v[78:79], v[82:83]
	v_mov_b32_e32 v81, v85
	s_delay_alu instid0(VALU_DEP_1) | instskip(SKIP_1) | instid1(VALU_DEP_1)
	v_pk_add_f32 v[78:79], v[78:79], v[80:81]
	s_wait_loadcnt 0x0
	v_pk_add_f32 v[78:79], v[166:167], v[78:79] neg_lo:[0,1] neg_hi:[0,1]
	scratch_store_b64 off, v[78:79], off offset:120
	s_wait_xcnt 0x0
	v_cmpx_lt_u32_e32 14, v0
	s_cbranch_execz .LBB101_213
; %bb.212:
	scratch_load_b64 v[78:79], off, off offset:112
	v_mov_b64_e32 v[80:81], 0
	scratch_store_b64 off, v[80:81], off offset:112
	s_wait_loadcnt 0x0
	ds_store_b64 v1, v[78:79]
.LBB101_213:
	s_wait_xcnt 0x0
	s_or_b32 exec_lo, exec_lo, s0
	s_wait_storecnt_dscnt 0x0
	s_barrier_signal -1
	s_barrier_wait -1
	s_clause 0xc
	scratch_load_b128 v[78:81], off, off offset:120
	scratch_load_b128 v[82:85], off, off offset:136
	;; [unrolled: 1-line block ×11, first 2 shown]
	scratch_load_b64 v[166:167], off, off offset:296
	scratch_load_b64 v[168:169], off, off offset:112
	v_mov_b32_e32 v7, 0
	ds_load_2addr_b64 v[122:125], v7 offset0:67 offset1:68
	ds_load_2addr_b64 v[126:129], v7 offset0:69 offset1:70
	;; [unrolled: 1-line block ×11, first 2 shown]
	ds_load_b64 v[170:171], v7 offset:600
	s_mov_b32 s0, exec_lo
	s_wait_dscnt 0xb
	v_dual_mov_b32 v172, v125 :: v_dual_mov_b32 v173, v124
	s_wait_dscnt 0x8
	v_dual_mov_b32 v174, v129 :: v_dual_mov_b32 v179, v136
	v_dual_mov_b32 v175, v128 :: v_dual_mov_b32 v176, v133
	;; [unrolled: 1-line block ×3, first 2 shown]
	s_wait_loadcnt_dscnt 0xc07
	v_dual_mul_f32 v9, v138, v79 :: v_dual_mul_f32 v35, v139, v79
	v_dual_mul_f32 v37, v141, v81 :: v_dual_mul_f32 v11, v140, v81
	s_wait_loadcnt_dscnt 0xb06
	v_mul_f32_e32 v13, v142, v83
	s_wait_loadcnt_dscnt 0x904
	v_dual_mul_f32 v47, v151, v91 :: v_dual_fma_f32 v35, v138, v78, -v35
	v_dual_fmac_f32 v9, v139, v78 :: v_dual_mul_f32 v49, v153, v93
	v_dual_mul_f32 v39, v143, v83 :: v_dual_mul_f32 v41, v145, v85
	v_dual_fmac_f32 v11, v141, v80 :: v_dual_fma_f32 v37, v140, v80, -v37
	s_delay_alu instid0(VALU_DEP_3) | instskip(SKIP_3) | instid1(VALU_DEP_3)
	v_dual_add_f32 v9, 0, v9 :: v_dual_add_f32 v35, 0, v35
	v_dual_mul_f32 v15, v144, v85 :: v_dual_mul_f32 v17, v146, v87
	s_wait_loadcnt_dscnt 0x803
	v_dual_mul_f32 v51, v155, v95 :: v_dual_fma_f32 v39, v142, v82, -v39
	v_dual_fmac_f32 v13, v143, v82 :: v_dual_add_f32 v9, v9, v11
	s_delay_alu instid0(VALU_DEP_3) | instskip(SKIP_2) | instid1(VALU_DEP_3)
	v_dual_add_f32 v11, v35, v37 :: v_dual_fmac_f32 v15, v145, v84
	v_dual_mul_f32 v43, v147, v87 :: v_dual_mul_f32 v45, v149, v89
	v_dual_mul_f32 v35, v157, v97 :: v_dual_fma_f32 v37, v144, v84, -v41
	v_dual_add_f32 v9, v9, v13 :: v_dual_add_f32 v11, v11, v39
	v_dual_mul_f32 v19, v148, v89 :: v_dual_mul_f32 v21, v150, v91
	s_wait_loadcnt_dscnt 0x701
	v_dual_mul_f32 v13, v163, v99 :: v_dual_fma_f32 v39, v146, v86, -v43
	s_delay_alu instid0(VALU_DEP_3) | instskip(NEXT) | instid1(VALU_DEP_3)
	v_dual_fmac_f32 v17, v147, v86 :: v_dual_add_f32 v9, v9, v15
	v_dual_add_f32 v11, v11, v37 :: v_dual_fmac_f32 v19, v149, v88
	v_dual_mul_f32 v15, v165, v101 :: v_dual_fma_f32 v37, v148, v88, -v45
	s_delay_alu instid0(VALU_DEP_2) | instskip(SKIP_3) | instid1(VALU_DEP_3)
	v_dual_add_f32 v9, v9, v17 :: v_dual_add_f32 v11, v11, v39
	v_dual_mul_f32 v23, v152, v93 :: v_dual_mul_f32 v25, v154, v95
	s_wait_loadcnt 0x6
	v_dual_mul_f32 v17, v159, v103 :: v_dual_fma_f32 v39, v150, v90, -v47
	v_dual_fmac_f32 v21, v151, v90 :: v_dual_add_f32 v9, v9, v19
	s_delay_alu instid0(VALU_DEP_3) | instskip(SKIP_1) | instid1(VALU_DEP_2)
	v_dual_add_f32 v11, v11, v37 :: v_dual_fmac_f32 v23, v153, v92
	v_dual_mul_f32 v19, v161, v105 :: v_dual_fma_f32 v37, v152, v92, -v49
	v_dual_add_f32 v9, v9, v21 :: v_dual_add_f32 v11, v11, v39
	v_dual_mul_f32 v27, v156, v97 :: v_dual_mul_f32 v29, v162, v99
	s_wait_loadcnt 0x5
	v_dual_mul_f32 v21, v123, v107 :: v_dual_fma_f32 v39, v154, v94, -v51
	s_delay_alu instid0(VALU_DEP_3) | instskip(SKIP_2) | instid1(VALU_DEP_3)
	v_dual_fmac_f32 v25, v155, v94 :: v_dual_add_f32 v9, v9, v23
	v_dual_add_f32 v11, v11, v37 :: v_dual_mov_b32 v78, v109
	v_fmac_f32_e32 v27, v157, v96
	v_dual_fma_f32 v23, v156, v96, -v35 :: v_dual_add_f32 v9, v9, v25
	s_delay_alu instid0(VALU_DEP_3) | instskip(SKIP_1) | instid1(VALU_DEP_3)
	v_dual_add_f32 v11, v11, v39 :: v_dual_mul_f32 v31, v164, v101
	v_dual_mul_f32 v33, v158, v103 :: v_dual_fmac_f32 v29, v163, v98
	v_dual_add_f32 v9, v9, v27 :: v_dual_fma_f32 v13, v162, v98, -v13
	s_wait_loadcnt 0x4
	s_delay_alu instid0(VALU_DEP_3) | instskip(SKIP_3) | instid1(VALU_DEP_4)
	v_dual_add_f32 v11, v11, v23 :: v_dual_mov_b32 v82, v113
	v_fma_f32 v15, v164, v100, -v15
	v_fmac_f32_e32 v31, v165, v100
	v_dual_add_f32 v9, v9, v29 :: v_dual_fmac_f32 v33, v159, v102
	v_add_f32_e32 v11, v11, v13
	v_dual_mul_f32 v181, v160, v105 :: v_dual_mul_f32 v183, v122, v107
	s_delay_alu instid0(VALU_DEP_3) | instskip(NEXT) | instid1(VALU_DEP_2)
	v_dual_fma_f32 v13, v158, v102, -v17 :: v_dual_add_f32 v9, v9, v31
	v_dual_add_f32 v11, v11, v15 :: v_dual_fmac_f32 v181, v161, v104
	v_fma_f32 v180, v160, v104, -v19
	v_pk_mul_f32 v[78:79], v[172:173], v[78:79] op_sel_hi:[1,0]
	s_delay_alu instid0(VALU_DEP_4)
	v_add_f32_e32 v87, v9, v33
	s_wait_loadcnt 0x3
	v_dual_add_f32 v86, v11, v13 :: v_dual_mov_b32 v88, v117
	v_pk_mul_f32 v[80:81], v[126:127], v[110:111] op_sel:[1,1] op_sel_hi:[0,1]
	v_dual_fmac_f32 v183, v123, v106 :: v_dual_fma_f32 v182, v122, v106, -v21
	v_pk_fma_f32 v[90:91], v[124:125], v[108:109], v[78:79] op_sel_hi:[1,0,1]
	s_delay_alu instid0(VALU_DEP_4)
	v_pk_add_f32 v[86:87], v[86:87], v[180:181]
	v_pk_fma_f32 v[78:79], v[124:125], v[108:109], v[78:79] neg_lo:[0,0,1] neg_hi:[0,0,1]
	v_pk_fma_f32 v[92:93], v[126:127], v[110:111], v[80:81] op_sel_hi:[1,0,1]
	v_pk_mul_f32 v[82:83], v[174:175], v[82:83] op_sel_hi:[1,0]
	v_mov_b32_e32 v79, v91
	v_pk_add_f32 v[86:87], v[86:87], v[182:183]
	v_pk_fma_f32 v[80:81], v[126:127], v[110:111], v[80:81] neg_lo:[0,0,1] neg_hi:[0,0,1]
	v_pk_mul_f32 v[84:85], v[130:131], v[114:115] op_sel:[1,1] op_sel_hi:[0,1]
	v_mov_b32_e32 v81, v93
	v_pk_fma_f32 v[92:93], v[128:129], v[112:113], v[82:83] op_sel_hi:[1,0,1]
	v_pk_add_f32 v[78:79], v[86:87], v[78:79]
	v_pk_fma_f32 v[82:83], v[128:129], v[112:113], v[82:83] neg_lo:[0,0,1] neg_hi:[0,0,1]
	v_pk_fma_f32 v[86:87], v[130:131], v[114:115], v[84:85] op_sel_hi:[1,0,1]
	v_pk_mul_f32 v[88:89], v[176:177], v[88:89] op_sel_hi:[1,0]
	v_mov_b32_e32 v83, v93
	v_pk_add_f32 v[78:79], v[78:79], v[80:81]
	v_pk_fma_f32 v[84:85], v[130:131], v[114:115], v[84:85] neg_lo:[0,0,1] neg_hi:[0,0,1]
	s_wait_loadcnt 0x2
	v_pk_mul_f32 v[90:91], v[134:135], v[118:119] op_sel:[1,1] op_sel_hi:[0,1]
	v_dual_mov_b32 v80, v121 :: v_dual_mov_b32 v85, v87
	v_pk_fma_f32 v[86:87], v[132:133], v[116:117], v[88:89] op_sel_hi:[1,0,1]
	v_pk_add_f32 v[78:79], v[78:79], v[82:83]
	v_pk_fma_f32 v[88:89], v[132:133], v[116:117], v[88:89] neg_lo:[0,0,1] neg_hi:[0,0,1]
	v_pk_fma_f32 v[82:83], v[134:135], v[118:119], v[90:91] op_sel_hi:[1,0,1]
	v_pk_mul_f32 v[80:81], v[178:179], v[80:81] op_sel_hi:[1,0]
	v_mov_b32_e32 v89, v87
	v_pk_add_f32 v[78:79], v[78:79], v[84:85]
	v_pk_fma_f32 v[84:85], v[134:135], v[118:119], v[90:91] neg_lo:[0,0,1] neg_hi:[0,0,1]
	v_mov_b32_e32 v85, v83
	v_pk_fma_f32 v[82:83], v[136:137], v[120:121], v[80:81] op_sel_hi:[1,0,1]
	s_wait_loadcnt_dscnt 0x100
	v_pk_mul_f32 v[86:87], v[170:171], v[166:167] op_sel:[1,1] op_sel_hi:[0,1]
	v_pk_add_f32 v[78:79], v[78:79], v[88:89]
	v_pk_fma_f32 v[80:81], v[136:137], v[120:121], v[80:81] neg_lo:[0,0,1] neg_hi:[0,0,1]
	v_mov_b32_e32 v81, v83
	s_delay_alu instid0(VALU_DEP_4) | instskip(NEXT) | instid1(VALU_DEP_4)
	v_pk_fma_f32 v[82:83], v[170:171], v[166:167], v[86:87] op_sel_hi:[1,0,1]
	v_pk_add_f32 v[78:79], v[78:79], v[84:85]
	v_pk_fma_f32 v[84:85], v[170:171], v[166:167], v[86:87] neg_lo:[0,0,1] neg_hi:[0,0,1]
	s_delay_alu instid0(VALU_DEP_3) | instskip(NEXT) | instid1(VALU_DEP_3)
	v_mov_b32_e32 v85, v83
	v_pk_add_f32 v[78:79], v[78:79], v[80:81]
	s_delay_alu instid0(VALU_DEP_1) | instskip(SKIP_1) | instid1(VALU_DEP_1)
	v_pk_add_f32 v[78:79], v[78:79], v[84:85]
	s_wait_loadcnt 0x0
	v_pk_add_f32 v[78:79], v[168:169], v[78:79] neg_lo:[0,1] neg_hi:[0,1]
	scratch_store_b64 off, v[78:79], off offset:112
	s_wait_xcnt 0x0
	v_cmpx_lt_u32_e32 13, v0
	s_cbranch_execz .LBB101_215
; %bb.214:
	scratch_load_b64 v[78:79], off, off offset:104
	v_mov_b64_e32 v[80:81], 0
	scratch_store_b64 off, v[80:81], off offset:104
	s_wait_loadcnt 0x0
	ds_store_b64 v1, v[78:79]
.LBB101_215:
	s_wait_xcnt 0x0
	s_or_b32 exec_lo, exec_lo, s0
	s_wait_storecnt_dscnt 0x0
	s_barrier_signal -1
	s_barrier_wait -1
	s_clause 0xc
	scratch_load_b128 v[78:81], off, off offset:112
	scratch_load_b128 v[82:85], off, off offset:128
	scratch_load_b128 v[86:89], off, off offset:144
	scratch_load_b128 v[90:93], off, off offset:160
	scratch_load_b128 v[94:97], off, off offset:176
	scratch_load_b128 v[98:101], off, off offset:192
	scratch_load_b128 v[102:105], off, off offset:208
	scratch_load_b128 v[106:109], off, off offset:224
	scratch_load_b128 v[110:113], off, off offset:240
	scratch_load_b128 v[114:117], off, off offset:256
	scratch_load_b128 v[118:121], off, off offset:272
	scratch_load_b128 v[122:125], off, off offset:288
	scratch_load_b64 v[174:175], off, off offset:104
	ds_load_b128 v[126:129], v7 offset:544
	ds_load_b128 v[130:133], v7 offset:560
	;; [unrolled: 1-line block ×12, first 2 shown]
	s_mov_b32 s0, exec_lo
	s_wait_dscnt 0xb
	v_dual_mov_b32 v176, v129 :: v_dual_mov_b32 v177, v128
	s_wait_dscnt 0xa
	v_dual_mov_b32 v178, v133 :: v_dual_mov_b32 v179, v132
	;; [unrolled: 2-line block ×4, first 2 shown]
	s_wait_loadcnt_dscnt 0xc07
	v_dual_mul_f32 v7, v142, v79 :: v_dual_mul_f32 v9, v144, v81
	v_dual_mul_f32 v35, v143, v79 :: v_dual_mul_f32 v37, v145, v81
	s_wait_loadcnt_dscnt 0xb06
	v_dual_mul_f32 v11, v146, v83 :: v_dual_mul_f32 v13, v148, v85
	s_delay_alu instid0(VALU_DEP_3) | instskip(SKIP_3) | instid1(VALU_DEP_3)
	v_dual_fmac_f32 v7, v143, v78 :: v_dual_fmac_f32 v9, v145, v80
	s_wait_loadcnt_dscnt 0x904
	v_dual_fma_f32 v35, v142, v78, -v35 :: v_dual_mul_f32 v47, v155, v91
	v_dual_mul_f32 v39, v147, v83 :: v_dual_mul_f32 v41, v149, v85
	v_dual_fma_f32 v37, v144, v80, -v37 :: v_dual_add_f32 v7, 0, v7
	s_delay_alu instid0(VALU_DEP_3) | instskip(SKIP_1) | instid1(VALU_DEP_3)
	v_dual_add_f32 v35, 0, v35 :: v_dual_mul_f32 v49, v157, v93
	v_dual_fmac_f32 v11, v147, v82 :: v_dual_fmac_f32 v13, v149, v84
	v_dual_fma_f32 v39, v146, v82, -v39 :: v_dual_add_f32 v7, v7, v9
	s_delay_alu instid0(VALU_DEP_3) | instskip(SKIP_2) | instid1(VALU_DEP_4)
	v_dual_add_f32 v9, v35, v37 :: v_dual_fma_f32 v37, v148, v84, -v41
	v_dual_mul_f32 v15, v150, v87 :: v_dual_mul_f32 v17, v152, v89
	v_dual_mul_f32 v43, v151, v87 :: v_dual_mul_f32 v45, v153, v89
	v_add_f32_e32 v7, v7, v11
	s_delay_alu instid0(VALU_DEP_3) | instskip(NEXT) | instid1(VALU_DEP_3)
	v_dual_add_f32 v9, v9, v39 :: v_dual_fmac_f32 v15, v151, v86
	v_fma_f32 v39, v150, v86, -v43
	v_dual_mul_f32 v19, v154, v91 :: v_dual_mul_f32 v21, v156, v93
	s_delay_alu instid0(VALU_DEP_4) | instskip(SKIP_2) | instid1(VALU_DEP_2)
	v_dual_add_f32 v7, v7, v13 :: v_dual_fmac_f32 v17, v153, v88
	s_wait_loadcnt_dscnt 0x702
	v_dual_add_f32 v9, v9, v37 :: v_dual_mul_f32 v13, v163, v99
	v_dual_fma_f32 v37, v152, v88, -v45 :: v_dual_add_f32 v7, v7, v15
	v_mul_f32_e32 v15, v165, v101
	s_delay_alu instid0(VALU_DEP_3) | instskip(NEXT) | instid1(VALU_DEP_3)
	v_dual_add_f32 v9, v9, v39 :: v_dual_fmac_f32 v19, v155, v90
	v_dual_fma_f32 v39, v154, v90, -v47 :: v_dual_add_f32 v7, v7, v17
	v_fmac_f32_e32 v21, v157, v92
	s_wait_loadcnt_dscnt 0x601
	s_delay_alu instid0(VALU_DEP_3) | instskip(SKIP_3) | instid1(VALU_DEP_3)
	v_dual_add_f32 v9, v9, v37 :: v_dual_mul_f32 v17, v167, v103
	v_dual_mul_f32 v23, v158, v95 :: v_dual_mul_f32 v25, v160, v97
	v_dual_mul_f32 v35, v159, v95 :: v_dual_mul_f32 v11, v161, v97
	v_dual_fma_f32 v37, v156, v92, -v49 :: v_dual_add_f32 v7, v7, v19
	v_dual_add_f32 v9, v9, v39 :: v_dual_fmac_f32 v23, v159, v94
	s_delay_alu instid0(VALU_DEP_3) | instskip(NEXT) | instid1(VALU_DEP_3)
	v_dual_mul_f32 v19, v169, v105 :: v_dual_fma_f32 v35, v158, v94, -v35
	v_dual_add_f32 v7, v7, v21 :: v_dual_fmac_f32 v25, v161, v96
	s_wait_loadcnt_dscnt 0x500
	s_delay_alu instid0(VALU_DEP_3) | instskip(SKIP_1) | instid1(VALU_DEP_3)
	v_dual_add_f32 v9, v9, v37 :: v_dual_mul_f32 v21, v171, v107
	v_dual_mul_f32 v27, v162, v99 :: v_dual_mul_f32 v29, v164, v101
	v_dual_fma_f32 v11, v160, v96, -v11 :: v_dual_add_f32 v7, v7, v23
	s_delay_alu instid0(VALU_DEP_2) | instskip(SKIP_1) | instid1(VALU_DEP_2)
	v_dual_add_f32 v9, v9, v35 :: v_dual_fmac_f32 v27, v163, v98
	v_dual_mul_f32 v23, v173, v109 :: v_dual_fma_f32 v13, v162, v98, -v13
	v_dual_add_f32 v7, v7, v25 :: v_dual_add_f32 v9, v9, v11
	v_dual_mul_f32 v31, v166, v103 :: v_dual_mul_f32 v33, v168, v105
	v_dual_fmac_f32 v29, v165, v100 :: v_dual_fma_f32 v11, v164, v100, -v15
	s_delay_alu instid0(VALU_DEP_3) | instskip(SKIP_1) | instid1(VALU_DEP_3)
	v_dual_add_f32 v7, v7, v27 :: v_dual_add_f32 v9, v9, v13
	s_wait_loadcnt 0x4
	v_dual_mov_b32 v80, v113 :: v_dual_fmac_f32 v31, v167, v102
	s_delay_alu instid0(VALU_DEP_2) | instskip(NEXT) | instid1(VALU_DEP_3)
	v_dual_fma_f32 v13, v166, v102, -v17 :: v_dual_add_f32 v7, v7, v29
	v_dual_add_f32 v9, v9, v11 :: v_dual_fma_f32 v11, v168, v104, -v19
	v_dual_mul_f32 v185, v170, v107 :: v_dual_mul_f32 v187, v172, v109
	s_delay_alu instid0(VALU_DEP_3) | instskip(NEXT) | instid1(VALU_DEP_2)
	v_dual_fmac_f32 v33, v169, v104 :: v_dual_add_f32 v7, v7, v31
	v_dual_add_f32 v9, v9, v13 :: v_dual_fmac_f32 v185, v171, v106
	v_pk_mul_f32 v[78:79], v[126:127], v[110:111] op_sel:[1,1] op_sel_hi:[0,1]
	s_wait_loadcnt 0x3
	v_dual_mov_b32 v84, v117 :: v_dual_fma_f32 v184, v170, v106, -v21
	s_delay_alu instid0(VALU_DEP_3)
	v_dual_add_f32 v87, v7, v33 :: v_dual_add_f32 v86, v9, v11
	v_fmac_f32_e32 v187, v173, v108
	v_pk_fma_f32 v[88:89], v[126:127], v[110:111], v[78:79] op_sel_hi:[1,0,1]
	v_fma_f32 v186, v172, v108, -v23
	v_pk_mul_f32 v[80:81], v[176:177], v[80:81] op_sel_hi:[1,0]
	v_pk_add_f32 v[86:87], v[86:87], v[184:185]
	v_pk_fma_f32 v[78:79], v[126:127], v[110:111], v[78:79] neg_lo:[0,0,1] neg_hi:[0,0,1]
	v_pk_mul_f32 v[82:83], v[130:131], v[114:115] op_sel:[1,1] op_sel_hi:[0,1]
	v_mov_b32_e32 v79, v89
	v_pk_fma_f32 v[88:89], v[128:129], v[112:113], v[80:81] op_sel_hi:[1,0,1]
	v_pk_add_f32 v[86:87], v[86:87], v[186:187]
	v_pk_fma_f32 v[80:81], v[128:129], v[112:113], v[80:81] neg_lo:[0,0,1] neg_hi:[0,0,1]
	v_pk_fma_f32 v[92:93], v[130:131], v[114:115], v[82:83] op_sel_hi:[1,0,1]
	v_pk_mul_f32 v[84:85], v[178:179], v[84:85] op_sel_hi:[1,0]
	v_mov_b32_e32 v81, v89
	v_pk_add_f32 v[78:79], v[86:87], v[78:79]
	s_wait_loadcnt 0x2
	v_pk_mul_f32 v[90:91], v[134:135], v[118:119] op_sel:[1,1] op_sel_hi:[0,1]
	v_mov_b32_e32 v86, v121
	v_pk_fma_f32 v[82:83], v[130:131], v[114:115], v[82:83] neg_lo:[0,0,1] neg_hi:[0,0,1]
	v_pk_fma_f32 v[88:89], v[132:133], v[116:117], v[84:85] op_sel_hi:[1,0,1]
	v_mov_b32_e32 v83, v93
	v_pk_add_f32 v[78:79], v[78:79], v[80:81]
	v_pk_fma_f32 v[80:81], v[134:135], v[118:119], v[90:91] op_sel_hi:[1,0,1]
	v_pk_mul_f32 v[86:87], v[180:181], v[86:87] op_sel_hi:[1,0]
	v_pk_fma_f32 v[84:85], v[132:133], v[116:117], v[84:85] neg_lo:[0,0,1] neg_hi:[0,0,1]
	v_mov_b32_e32 v85, v89
	v_pk_add_f32 v[78:79], v[78:79], v[82:83]
	v_pk_fma_f32 v[88:89], v[134:135], v[118:119], v[90:91] neg_lo:[0,0,1] neg_hi:[0,0,1]
	v_mov_b32_e32 v89, v81
	v_pk_fma_f32 v[80:81], v[136:137], v[120:121], v[86:87] op_sel_hi:[1,0,1]
	s_wait_loadcnt 0x1
	v_pk_mul_f32 v[82:83], v[138:139], v[122:123] op_sel:[1,1] op_sel_hi:[0,1]
	v_pk_add_f32 v[78:79], v[78:79], v[84:85]
	v_mov_b32_e32 v80, v125
	v_pk_fma_f32 v[86:87], v[136:137], v[120:121], v[86:87] neg_lo:[0,0,1] neg_hi:[0,0,1]
	s_delay_alu instid0(VALU_DEP_4)
	v_pk_fma_f32 v[84:85], v[138:139], v[122:123], v[82:83] op_sel_hi:[1,0,1]
	v_mov_b32_e32 v87, v81
	v_pk_add_f32 v[78:79], v[78:79], v[88:89]
	v_pk_mul_f32 v[80:81], v[182:183], v[80:81] op_sel_hi:[1,0]
	v_pk_fma_f32 v[82:83], v[138:139], v[122:123], v[82:83] neg_lo:[0,0,1] neg_hi:[0,0,1]
	v_mov_b32_e32 v83, v85
	s_delay_alu instid0(VALU_DEP_4) | instskip(NEXT) | instid1(VALU_DEP_4)
	v_pk_add_f32 v[78:79], v[78:79], v[86:87]
	v_pk_fma_f32 v[84:85], v[140:141], v[124:125], v[80:81] op_sel_hi:[1,0,1]
	v_pk_fma_f32 v[80:81], v[140:141], v[124:125], v[80:81] neg_lo:[0,0,1] neg_hi:[0,0,1]
	s_delay_alu instid0(VALU_DEP_3) | instskip(NEXT) | instid1(VALU_DEP_3)
	v_pk_add_f32 v[78:79], v[78:79], v[82:83]
	v_mov_b32_e32 v81, v85
	s_delay_alu instid0(VALU_DEP_1) | instskip(SKIP_1) | instid1(VALU_DEP_1)
	v_pk_add_f32 v[78:79], v[78:79], v[80:81]
	s_wait_loadcnt 0x0
	v_pk_add_f32 v[78:79], v[174:175], v[78:79] neg_lo:[0,1] neg_hi:[0,1]
	scratch_store_b64 off, v[78:79], off offset:104
	s_wait_xcnt 0x0
	v_cmpx_lt_u32_e32 12, v0
	s_cbranch_execz .LBB101_217
; %bb.216:
	scratch_load_b64 v[78:79], off, off offset:96
	v_mov_b64_e32 v[80:81], 0
	scratch_store_b64 off, v[80:81], off offset:96
	s_wait_loadcnt 0x0
	ds_store_b64 v1, v[78:79]
.LBB101_217:
	s_wait_xcnt 0x0
	s_or_b32 exec_lo, exec_lo, s0
	s_wait_storecnt_dscnt 0x0
	s_barrier_signal -1
	s_barrier_wait -1
	s_clause 0xd
	scratch_load_b128 v[78:81], off, off offset:104
	scratch_load_b128 v[82:85], off, off offset:120
	;; [unrolled: 1-line block ×12, first 2 shown]
	scratch_load_b64 v[174:175], off, off offset:296
	scratch_load_b64 v[176:177], off, off offset:96
	v_mov_b32_e32 v7, 0
	ds_load_2addr_b64 v[126:129], v7 offset0:67 offset1:68
	ds_load_2addr_b64 v[130:133], v7 offset0:69 offset1:70
	;; [unrolled: 1-line block ×12, first 2 shown]
	ds_load_b64 v[178:179], v7 offset:600
	s_mov_b32 s0, exec_lo
	s_wait_dscnt 0xc
	v_dual_mov_b32 v180, v129 :: v_dual_mov_b32 v181, v128
	s_wait_dscnt 0x9
	v_dual_mov_b32 v182, v133 :: v_dual_mov_b32 v187, v140
	v_dual_mov_b32 v183, v132 :: v_dual_mov_b32 v184, v137
	;; [unrolled: 1-line block ×3, first 2 shown]
	s_wait_loadcnt_dscnt 0xd08
	v_dual_mul_f32 v9, v142, v79 :: v_dual_mul_f32 v39, v143, v79
	v_dual_mul_f32 v41, v145, v81 :: v_dual_mul_f32 v11, v144, v81
	s_wait_loadcnt_dscnt 0xc07
	v_mul_f32_e32 v13, v146, v83
	s_wait_loadcnt_dscnt 0xa05
	v_dual_mul_f32 v51, v155, v91 :: v_dual_fma_f32 v39, v142, v78, -v39
	v_dual_fmac_f32 v9, v143, v78 :: v_dual_mul_f32 v53, v157, v93
	v_dual_mul_f32 v43, v147, v83 :: v_dual_mul_f32 v45, v149, v85
	v_dual_fmac_f32 v11, v145, v80 :: v_dual_fma_f32 v41, v144, v80, -v41
	s_delay_alu instid0(VALU_DEP_3) | instskip(SKIP_3) | instid1(VALU_DEP_3)
	v_dual_add_f32 v9, 0, v9 :: v_dual_add_f32 v39, 0, v39
	v_dual_mul_f32 v15, v148, v85 :: v_dual_mul_f32 v17, v150, v87
	s_wait_loadcnt_dscnt 0x904
	v_dual_mul_f32 v55, v159, v95 :: v_dual_fma_f32 v43, v146, v82, -v43
	v_dual_fmac_f32 v13, v147, v82 :: v_dual_add_f32 v9, v9, v11
	s_delay_alu instid0(VALU_DEP_3) | instskip(SKIP_2) | instid1(VALU_DEP_3)
	v_dual_add_f32 v11, v39, v41 :: v_dual_fmac_f32 v15, v149, v84
	v_dual_mul_f32 v47, v151, v87 :: v_dual_mul_f32 v49, v153, v89
	v_dual_mul_f32 v39, v161, v97 :: v_dual_fma_f32 v41, v148, v84, -v45
	v_dual_add_f32 v9, v9, v13 :: v_dual_add_f32 v11, v11, v43
	v_dual_mul_f32 v19, v152, v89 :: v_dual_mul_f32 v21, v154, v91
	s_wait_loadcnt_dscnt 0x803
	v_dual_mul_f32 v13, v163, v99 :: v_dual_fma_f32 v43, v150, v86, -v47
	s_delay_alu instid0(VALU_DEP_3) | instskip(NEXT) | instid1(VALU_DEP_3)
	v_dual_fmac_f32 v17, v151, v86 :: v_dual_add_f32 v9, v9, v15
	v_dual_add_f32 v11, v11, v41 :: v_dual_fmac_f32 v19, v153, v88
	v_dual_mul_f32 v15, v165, v101 :: v_dual_fma_f32 v41, v152, v88, -v49
	s_delay_alu instid0(VALU_DEP_2) | instskip(SKIP_3) | instid1(VALU_DEP_3)
	v_dual_add_f32 v9, v9, v17 :: v_dual_add_f32 v11, v11, v43
	v_dual_mul_f32 v23, v156, v93 :: v_dual_mul_f32 v25, v158, v95
	s_wait_loadcnt_dscnt 0x702
	v_dual_mul_f32 v17, v167, v103 :: v_dual_fma_f32 v43, v154, v90, -v51
	v_dual_fmac_f32 v21, v155, v90 :: v_dual_add_f32 v9, v9, v19
	s_delay_alu instid0(VALU_DEP_3) | instskip(SKIP_1) | instid1(VALU_DEP_2)
	v_dual_add_f32 v11, v11, v41 :: v_dual_fmac_f32 v23, v157, v92
	v_dual_mul_f32 v19, v169, v105 :: v_dual_fma_f32 v41, v156, v92, -v53
	v_dual_add_f32 v9, v9, v21 :: v_dual_add_f32 v11, v11, v43
	v_dual_mul_f32 v27, v160, v97 :: v_dual_mul_f32 v29, v162, v99
	s_wait_loadcnt_dscnt 0x601
	v_dual_mul_f32 v21, v171, v107 :: v_dual_fma_f32 v43, v158, v94, -v55
	s_delay_alu instid0(VALU_DEP_3) | instskip(NEXT) | instid1(VALU_DEP_3)
	v_dual_fmac_f32 v25, v159, v94 :: v_dual_add_f32 v9, v9, v23
	v_dual_add_f32 v11, v11, v41 :: v_dual_fmac_f32 v27, v161, v96
	v_dual_mul_f32 v23, v173, v109 :: v_dual_fma_f32 v39, v160, v96, -v39
	s_delay_alu instid0(VALU_DEP_2) | instskip(SKIP_3) | instid1(VALU_DEP_3)
	v_dual_add_f32 v9, v9, v25 :: v_dual_add_f32 v11, v11, v43
	v_dual_mul_f32 v31, v164, v101 :: v_dual_mul_f32 v33, v166, v103
	s_wait_loadcnt 0x5
	v_dual_mul_f32 v25, v127, v111 :: v_dual_fma_f32 v13, v162, v98, -v13
	v_dual_fmac_f32 v29, v163, v98 :: v_dual_add_f32 v9, v9, v27
	v_dual_add_f32 v11, v11, v39 :: v_dual_mov_b32 v78, v113
	v_fmac_f32_e32 v31, v165, v100
	s_delay_alu instid0(VALU_DEP_3) | instskip(NEXT) | instid1(VALU_DEP_3)
	v_dual_fma_f32 v15, v164, v100, -v15 :: v_dual_add_f32 v9, v9, v29
	v_add_f32_e32 v11, v11, v13
	v_dual_mul_f32 v35, v168, v105 :: v_dual_mul_f32 v37, v170, v107
	s_delay_alu instid0(VALU_DEP_3) | instskip(NEXT) | instid1(VALU_DEP_3)
	v_dual_fmac_f32 v33, v167, v102 :: v_dual_add_f32 v9, v9, v31
	v_dual_fma_f32 v13, v166, v102, -v17 :: v_dual_add_f32 v11, v11, v15
	s_wait_loadcnt 0x4
	v_dual_mov_b32 v82, v117 :: v_dual_fma_f32 v15, v168, v104, -v19
	v_fmac_f32_e32 v35, v169, v104
	v_dual_add_f32 v9, v9, v33 :: v_dual_fmac_f32 v37, v171, v106
	v_add_f32_e32 v11, v11, v13
	v_dual_mul_f32 v189, v172, v109 :: v_dual_mul_f32 v191, v126, v111
	s_delay_alu instid0(VALU_DEP_3) | instskip(NEXT) | instid1(VALU_DEP_2)
	v_dual_fma_f32 v13, v170, v106, -v21 :: v_dual_add_f32 v9, v9, v35
	v_dual_add_f32 v11, v11, v15 :: v_dual_fmac_f32 v189, v173, v108
	v_fma_f32 v188, v172, v108, -v23
	v_pk_mul_f32 v[78:79], v[180:181], v[78:79] op_sel_hi:[1,0]
	s_delay_alu instid0(VALU_DEP_4)
	v_add_f32_e32 v87, v9, v37
	s_wait_loadcnt 0x3
	v_dual_add_f32 v86, v11, v13 :: v_dual_mov_b32 v88, v121
	v_pk_mul_f32 v[80:81], v[130:131], v[114:115] op_sel:[1,1] op_sel_hi:[0,1]
	v_dual_fmac_f32 v191, v127, v110 :: v_dual_fma_f32 v190, v126, v110, -v25
	v_pk_fma_f32 v[90:91], v[128:129], v[112:113], v[78:79] op_sel_hi:[1,0,1]
	s_delay_alu instid0(VALU_DEP_4)
	v_pk_add_f32 v[86:87], v[86:87], v[188:189]
	v_pk_fma_f32 v[78:79], v[128:129], v[112:113], v[78:79] neg_lo:[0,0,1] neg_hi:[0,0,1]
	v_pk_fma_f32 v[92:93], v[130:131], v[114:115], v[80:81] op_sel_hi:[1,0,1]
	v_pk_mul_f32 v[82:83], v[182:183], v[82:83] op_sel_hi:[1,0]
	v_mov_b32_e32 v79, v91
	v_pk_add_f32 v[86:87], v[86:87], v[190:191]
	v_pk_fma_f32 v[80:81], v[130:131], v[114:115], v[80:81] neg_lo:[0,0,1] neg_hi:[0,0,1]
	v_pk_mul_f32 v[84:85], v[134:135], v[118:119] op_sel:[1,1] op_sel_hi:[0,1]
	v_mov_b32_e32 v81, v93
	v_pk_fma_f32 v[92:93], v[132:133], v[116:117], v[82:83] op_sel_hi:[1,0,1]
	v_pk_add_f32 v[78:79], v[86:87], v[78:79]
	v_pk_fma_f32 v[82:83], v[132:133], v[116:117], v[82:83] neg_lo:[0,0,1] neg_hi:[0,0,1]
	v_pk_fma_f32 v[86:87], v[134:135], v[118:119], v[84:85] op_sel_hi:[1,0,1]
	v_pk_mul_f32 v[88:89], v[184:185], v[88:89] op_sel_hi:[1,0]
	v_mov_b32_e32 v83, v93
	v_pk_add_f32 v[78:79], v[78:79], v[80:81]
	v_pk_fma_f32 v[84:85], v[134:135], v[118:119], v[84:85] neg_lo:[0,0,1] neg_hi:[0,0,1]
	s_wait_loadcnt 0x2
	v_pk_mul_f32 v[90:91], v[138:139], v[122:123] op_sel:[1,1] op_sel_hi:[0,1]
	v_dual_mov_b32 v80, v125 :: v_dual_mov_b32 v85, v87
	v_pk_fma_f32 v[86:87], v[136:137], v[120:121], v[88:89] op_sel_hi:[1,0,1]
	v_pk_add_f32 v[78:79], v[78:79], v[82:83]
	v_pk_fma_f32 v[88:89], v[136:137], v[120:121], v[88:89] neg_lo:[0,0,1] neg_hi:[0,0,1]
	v_pk_fma_f32 v[82:83], v[138:139], v[122:123], v[90:91] op_sel_hi:[1,0,1]
	v_pk_mul_f32 v[80:81], v[186:187], v[80:81] op_sel_hi:[1,0]
	v_mov_b32_e32 v89, v87
	v_pk_add_f32 v[78:79], v[78:79], v[84:85]
	v_pk_fma_f32 v[84:85], v[138:139], v[122:123], v[90:91] neg_lo:[0,0,1] neg_hi:[0,0,1]
	v_mov_b32_e32 v85, v83
	v_pk_fma_f32 v[82:83], v[140:141], v[124:125], v[80:81] op_sel_hi:[1,0,1]
	s_wait_loadcnt_dscnt 0x100
	v_pk_mul_f32 v[86:87], v[178:179], v[174:175] op_sel:[1,1] op_sel_hi:[0,1]
	v_pk_add_f32 v[78:79], v[78:79], v[88:89]
	v_pk_fma_f32 v[80:81], v[140:141], v[124:125], v[80:81] neg_lo:[0,0,1] neg_hi:[0,0,1]
	v_mov_b32_e32 v81, v83
	s_delay_alu instid0(VALU_DEP_4) | instskip(NEXT) | instid1(VALU_DEP_4)
	v_pk_fma_f32 v[82:83], v[178:179], v[174:175], v[86:87] op_sel_hi:[1,0,1]
	v_pk_add_f32 v[78:79], v[78:79], v[84:85]
	v_pk_fma_f32 v[84:85], v[178:179], v[174:175], v[86:87] neg_lo:[0,0,1] neg_hi:[0,0,1]
	s_delay_alu instid0(VALU_DEP_3) | instskip(NEXT) | instid1(VALU_DEP_3)
	v_mov_b32_e32 v85, v83
	v_pk_add_f32 v[78:79], v[78:79], v[80:81]
	s_delay_alu instid0(VALU_DEP_1) | instskip(SKIP_1) | instid1(VALU_DEP_1)
	v_pk_add_f32 v[78:79], v[78:79], v[84:85]
	s_wait_loadcnt 0x0
	v_pk_add_f32 v[78:79], v[176:177], v[78:79] neg_lo:[0,1] neg_hi:[0,1]
	scratch_store_b64 off, v[78:79], off offset:96
	s_wait_xcnt 0x0
	v_cmpx_lt_u32_e32 11, v0
	s_cbranch_execz .LBB101_219
; %bb.218:
	scratch_load_b64 v[78:79], off, off offset:88
	v_mov_b64_e32 v[80:81], 0
	scratch_store_b64 off, v[80:81], off offset:88
	s_wait_loadcnt 0x0
	ds_store_b64 v1, v[78:79]
.LBB101_219:
	s_wait_xcnt 0x0
	s_or_b32 exec_lo, exec_lo, s0
	s_wait_storecnt_dscnt 0x0
	s_barrier_signal -1
	s_barrier_wait -1
	s_clause 0xd
	scratch_load_b128 v[78:81], off, off offset:96
	scratch_load_b128 v[82:85], off, off offset:112
	;; [unrolled: 1-line block ×13, first 2 shown]
	scratch_load_b64 v[182:183], off, off offset:88
	ds_load_b128 v[130:133], v7 offset:544
	ds_load_b128 v[134:137], v7 offset:560
	;; [unrolled: 1-line block ×13, first 2 shown]
	s_mov_b32 s0, exec_lo
	s_wait_dscnt 0xc
	v_dual_mov_b32 v184, v133 :: v_dual_mov_b32 v185, v132
	s_wait_dscnt 0xb
	v_dual_mov_b32 v186, v137 :: v_dual_mov_b32 v187, v136
	;; [unrolled: 2-line block ×4, first 2 shown]
	s_wait_loadcnt_dscnt 0xd08
	v_dual_mul_f32 v7, v146, v79 :: v_dual_mul_f32 v9, v148, v81
	v_dual_mul_f32 v39, v147, v79 :: v_dual_mul_f32 v41, v149, v81
	s_wait_loadcnt_dscnt 0xc07
	v_dual_mul_f32 v11, v150, v83 :: v_dual_mul_f32 v13, v152, v85
	s_delay_alu instid0(VALU_DEP_3) | instskip(SKIP_3) | instid1(VALU_DEP_3)
	v_dual_fmac_f32 v7, v147, v78 :: v_dual_fmac_f32 v9, v149, v80
	s_wait_loadcnt_dscnt 0xa05
	v_dual_fma_f32 v39, v146, v78, -v39 :: v_dual_mul_f32 v51, v159, v91
	v_dual_mul_f32 v43, v151, v83 :: v_dual_mul_f32 v45, v153, v85
	v_dual_fma_f32 v41, v148, v80, -v41 :: v_dual_add_f32 v7, 0, v7
	s_delay_alu instid0(VALU_DEP_3) | instskip(SKIP_1) | instid1(VALU_DEP_3)
	v_dual_add_f32 v39, 0, v39 :: v_dual_mul_f32 v53, v161, v93
	v_dual_fmac_f32 v11, v151, v82 :: v_dual_fmac_f32 v13, v153, v84
	v_dual_fma_f32 v43, v150, v82, -v43 :: v_dual_add_f32 v7, v7, v9
	s_delay_alu instid0(VALU_DEP_3) | instskip(SKIP_2) | instid1(VALU_DEP_4)
	v_dual_add_f32 v9, v39, v41 :: v_dual_fma_f32 v41, v152, v84, -v45
	v_dual_mul_f32 v15, v154, v87 :: v_dual_mul_f32 v17, v156, v89
	v_dual_mul_f32 v47, v155, v87 :: v_dual_mul_f32 v49, v157, v89
	v_add_f32_e32 v7, v7, v11
	s_delay_alu instid0(VALU_DEP_3) | instskip(NEXT) | instid1(VALU_DEP_3)
	v_dual_add_f32 v9, v9, v43 :: v_dual_fmac_f32 v15, v155, v86
	v_fma_f32 v43, v154, v86, -v47
	v_dual_mul_f32 v19, v158, v91 :: v_dual_mul_f32 v21, v160, v93
	s_delay_alu instid0(VALU_DEP_4) | instskip(SKIP_2) | instid1(VALU_DEP_2)
	v_dual_add_f32 v7, v7, v13 :: v_dual_fmac_f32 v17, v157, v88
	s_wait_loadcnt_dscnt 0x802
	v_dual_add_f32 v9, v9, v41 :: v_dual_mul_f32 v13, v171, v99
	v_dual_fma_f32 v41, v156, v88, -v49 :: v_dual_add_f32 v7, v7, v15
	v_mul_f32_e32 v15, v173, v101
	s_delay_alu instid0(VALU_DEP_3) | instskip(NEXT) | instid1(VALU_DEP_3)
	v_dual_add_f32 v9, v9, v43 :: v_dual_fmac_f32 v19, v159, v90
	v_dual_fma_f32 v43, v158, v90, -v51 :: v_dual_add_f32 v7, v7, v17
	v_fmac_f32_e32 v21, v161, v92
	s_wait_loadcnt_dscnt 0x701
	s_delay_alu instid0(VALU_DEP_3) | instskip(SKIP_3) | instid1(VALU_DEP_3)
	v_dual_add_f32 v9, v9, v41 :: v_dual_mul_f32 v17, v175, v103
	v_dual_mul_f32 v23, v166, v95 :: v_dual_mul_f32 v25, v168, v97
	v_dual_mul_f32 v39, v167, v95 :: v_dual_mul_f32 v11, v169, v97
	v_dual_fma_f32 v41, v160, v92, -v53 :: v_dual_add_f32 v7, v7, v19
	v_dual_add_f32 v9, v9, v43 :: v_dual_fmac_f32 v23, v167, v94
	s_delay_alu instid0(VALU_DEP_3) | instskip(NEXT) | instid1(VALU_DEP_3)
	v_dual_mul_f32 v19, v177, v105 :: v_dual_fma_f32 v39, v166, v94, -v39
	v_dual_add_f32 v7, v7, v21 :: v_dual_fmac_f32 v25, v169, v96
	s_wait_loadcnt_dscnt 0x600
	s_delay_alu instid0(VALU_DEP_3) | instskip(SKIP_1) | instid1(VALU_DEP_3)
	v_dual_add_f32 v9, v9, v41 :: v_dual_mul_f32 v21, v179, v107
	v_dual_mul_f32 v27, v170, v99 :: v_dual_mul_f32 v29, v172, v101
	v_dual_fma_f32 v11, v168, v96, -v11 :: v_dual_add_f32 v7, v7, v23
	s_delay_alu instid0(VALU_DEP_2) | instskip(SKIP_1) | instid1(VALU_DEP_2)
	v_dual_add_f32 v9, v9, v39 :: v_dual_fmac_f32 v27, v171, v98
	v_dual_mul_f32 v23, v181, v109 :: v_dual_fma_f32 v13, v170, v98, -v13
	v_dual_add_f32 v7, v7, v25 :: v_dual_add_f32 v9, v9, v11
	v_dual_mul_f32 v31, v174, v103 :: v_dual_mul_f32 v33, v176, v105
	s_wait_loadcnt 0x5
	v_dual_mul_f32 v11, v163, v111 :: v_dual_fmac_f32 v29, v173, v100
	s_delay_alu instid0(VALU_DEP_3) | instskip(NEXT) | instid1(VALU_DEP_3)
	v_dual_fma_f32 v15, v172, v100, -v15 :: v_dual_add_f32 v7, v7, v27
	v_dual_add_f32 v9, v9, v13 :: v_dual_fmac_f32 v31, v175, v102
	v_dual_mul_f32 v13, v165, v113 :: v_dual_fma_f32 v17, v174, v102, -v17
	s_delay_alu instid0(VALU_DEP_2) | instskip(SKIP_2) | instid1(VALU_DEP_3)
	v_dual_add_f32 v7, v7, v29 :: v_dual_add_f32 v9, v9, v15
	v_dual_mul_f32 v35, v178, v107 :: v_dual_mul_f32 v37, v180, v109
	v_dual_fmac_f32 v33, v177, v104 :: v_dual_fma_f32 v15, v176, v104, -v19
	v_dual_add_f32 v7, v7, v31 :: v_dual_add_f32 v9, v9, v17
	s_wait_loadcnt 0x4
	s_delay_alu instid0(VALU_DEP_3) | instskip(NEXT) | instid1(VALU_DEP_2)
	v_dual_mov_b32 v80, v117 :: v_dual_fmac_f32 v35, v179, v106
	v_dual_fma_f32 v17, v178, v106, -v21 :: v_dual_add_f32 v7, v7, v33
	s_delay_alu instid0(VALU_DEP_3) | instskip(SKIP_1) | instid1(VALU_DEP_3)
	v_dual_add_f32 v9, v9, v15 :: v_dual_fma_f32 v15, v180, v108, -v23
	v_dual_mul_f32 v193, v162, v111 :: v_dual_mul_f32 v195, v164, v113
	v_dual_fmac_f32 v37, v181, v108 :: v_dual_add_f32 v7, v7, v35
	s_delay_alu instid0(VALU_DEP_2) | instskip(SKIP_3) | instid1(VALU_DEP_3)
	v_dual_add_f32 v9, v9, v17 :: v_dual_fmac_f32 v193, v163, v110
	v_pk_mul_f32 v[78:79], v[130:131], v[114:115] op_sel:[1,1] op_sel_hi:[0,1]
	s_wait_loadcnt 0x3
	v_dual_mov_b32 v84, v121 :: v_dual_fma_f32 v192, v162, v110, -v11
	v_dual_add_f32 v87, v7, v37 :: v_dual_add_f32 v86, v9, v15
	v_dual_fmac_f32 v195, v165, v112 :: v_dual_fma_f32 v194, v164, v112, -v13
	v_pk_fma_f32 v[88:89], v[130:131], v[114:115], v[78:79] op_sel_hi:[1,0,1]
	v_pk_mul_f32 v[80:81], v[184:185], v[80:81] op_sel_hi:[1,0]
	s_delay_alu instid0(VALU_DEP_4)
	v_pk_add_f32 v[86:87], v[86:87], v[192:193]
	v_pk_fma_f32 v[78:79], v[130:131], v[114:115], v[78:79] neg_lo:[0,0,1] neg_hi:[0,0,1]
	v_pk_mul_f32 v[82:83], v[134:135], v[118:119] op_sel:[1,1] op_sel_hi:[0,1]
	v_mov_b32_e32 v79, v89
	v_pk_fma_f32 v[88:89], v[132:133], v[116:117], v[80:81] op_sel_hi:[1,0,1]
	v_pk_add_f32 v[86:87], v[86:87], v[194:195]
	v_pk_fma_f32 v[80:81], v[132:133], v[116:117], v[80:81] neg_lo:[0,0,1] neg_hi:[0,0,1]
	v_pk_fma_f32 v[92:93], v[134:135], v[118:119], v[82:83] op_sel_hi:[1,0,1]
	v_pk_mul_f32 v[84:85], v[186:187], v[84:85] op_sel_hi:[1,0]
	v_mov_b32_e32 v81, v89
	v_pk_add_f32 v[78:79], v[86:87], v[78:79]
	s_wait_loadcnt 0x2
	v_pk_mul_f32 v[90:91], v[138:139], v[122:123] op_sel:[1,1] op_sel_hi:[0,1]
	v_mov_b32_e32 v86, v125
	v_pk_fma_f32 v[82:83], v[134:135], v[118:119], v[82:83] neg_lo:[0,0,1] neg_hi:[0,0,1]
	v_mov_b32_e32 v83, v93
	v_pk_fma_f32 v[88:89], v[136:137], v[120:121], v[84:85] op_sel_hi:[1,0,1]
	v_pk_add_f32 v[78:79], v[78:79], v[80:81]
	v_pk_fma_f32 v[80:81], v[138:139], v[122:123], v[90:91] op_sel_hi:[1,0,1]
	v_pk_mul_f32 v[86:87], v[188:189], v[86:87] op_sel_hi:[1,0]
	v_pk_fma_f32 v[84:85], v[136:137], v[120:121], v[84:85] neg_lo:[0,0,1] neg_hi:[0,0,1]
	v_mov_b32_e32 v85, v89
	v_pk_add_f32 v[78:79], v[78:79], v[82:83]
	v_pk_fma_f32 v[88:89], v[138:139], v[122:123], v[90:91] neg_lo:[0,0,1] neg_hi:[0,0,1]
	v_mov_b32_e32 v89, v81
	v_pk_fma_f32 v[80:81], v[140:141], v[124:125], v[86:87] op_sel_hi:[1,0,1]
	s_wait_loadcnt 0x1
	v_pk_mul_f32 v[82:83], v[142:143], v[126:127] op_sel:[1,1] op_sel_hi:[0,1]
	v_pk_add_f32 v[78:79], v[78:79], v[84:85]
	v_mov_b32_e32 v80, v129
	v_pk_fma_f32 v[86:87], v[140:141], v[124:125], v[86:87] neg_lo:[0,0,1] neg_hi:[0,0,1]
	v_mov_b32_e32 v87, v81
	v_pk_fma_f32 v[84:85], v[142:143], v[126:127], v[82:83] op_sel_hi:[1,0,1]
	v_pk_add_f32 v[78:79], v[78:79], v[88:89]
	v_pk_mul_f32 v[80:81], v[190:191], v[80:81] op_sel_hi:[1,0]
	v_pk_fma_f32 v[82:83], v[142:143], v[126:127], v[82:83] neg_lo:[0,0,1] neg_hi:[0,0,1]
	s_delay_alu instid0(VALU_DEP_4) | instskip(NEXT) | instid1(VALU_DEP_4)
	v_mov_b32_e32 v83, v85
	v_pk_add_f32 v[78:79], v[78:79], v[86:87]
	s_delay_alu instid0(VALU_DEP_4) | instskip(SKIP_1) | instid1(VALU_DEP_2)
	v_pk_fma_f32 v[84:85], v[144:145], v[128:129], v[80:81] op_sel_hi:[1,0,1]
	v_pk_fma_f32 v[80:81], v[144:145], v[128:129], v[80:81] neg_lo:[0,0,1] neg_hi:[0,0,1]
	v_mov_b32_e32 v81, v85
	s_delay_alu instid0(VALU_DEP_4) | instskip(NEXT) | instid1(VALU_DEP_1)
	v_pk_add_f32 v[78:79], v[78:79], v[82:83]
	v_pk_add_f32 v[78:79], v[78:79], v[80:81]
	s_wait_loadcnt 0x0
	s_delay_alu instid0(VALU_DEP_1)
	v_pk_add_f32 v[78:79], v[182:183], v[78:79] neg_lo:[0,1] neg_hi:[0,1]
	scratch_store_b64 off, v[78:79], off offset:88
	s_wait_xcnt 0x0
	v_cmpx_lt_u32_e32 10, v0
	s_cbranch_execz .LBB101_221
; %bb.220:
	scratch_load_b64 v[78:79], off, off offset:80
	v_mov_b64_e32 v[80:81], 0
	scratch_store_b64 off, v[80:81], off offset:80
	s_wait_loadcnt 0x0
	ds_store_b64 v1, v[78:79]
.LBB101_221:
	s_wait_xcnt 0x0
	s_or_b32 exec_lo, exec_lo, s0
	s_wait_storecnt_dscnt 0x0
	s_barrier_signal -1
	s_barrier_wait -1
	s_clause 0xe
	scratch_load_b128 v[78:81], off, off offset:88
	scratch_load_b128 v[82:85], off, off offset:104
	;; [unrolled: 1-line block ×13, first 2 shown]
	scratch_load_b64 v[182:183], off, off offset:296
	scratch_load_b64 v[184:185], off, off offset:80
	v_mov_b32_e32 v7, 0
	ds_load_2addr_b64 v[130:133], v7 offset0:67 offset1:68
	ds_load_2addr_b64 v[134:137], v7 offset0:69 offset1:70
	;; [unrolled: 1-line block ×13, first 2 shown]
	ds_load_b64 v[186:187], v7 offset:600
	s_mov_b32 s0, exec_lo
	s_wait_dscnt 0xd
	v_dual_mov_b32 v188, v133 :: v_dual_mov_b32 v189, v132
	s_wait_dscnt 0xa
	v_dual_mov_b32 v190, v137 :: v_dual_mov_b32 v195, v144
	v_dual_mov_b32 v191, v136 :: v_dual_mov_b32 v192, v141
	;; [unrolled: 1-line block ×3, first 2 shown]
	s_wait_loadcnt_dscnt 0xe09
	v_dual_mul_f32 v9, v146, v79 :: v_dual_mul_f32 v43, v147, v79
	v_dual_mul_f32 v45, v149, v81 :: v_dual_mul_f32 v11, v148, v81
	s_wait_loadcnt_dscnt 0xd08
	v_mul_f32_e32 v13, v150, v83
	s_wait_loadcnt_dscnt 0xb05
	v_dual_mul_f32 v55, v163, v91 :: v_dual_fma_f32 v43, v146, v78, -v43
	v_dual_fmac_f32 v9, v147, v78 :: v_dual_mul_f32 v57, v165, v93
	v_dual_mul_f32 v47, v151, v83 :: v_dual_mul_f32 v49, v153, v85
	v_dual_fmac_f32 v11, v149, v80 :: v_dual_fma_f32 v45, v148, v80, -v45
	s_delay_alu instid0(VALU_DEP_3) | instskip(SKIP_3) | instid1(VALU_DEP_3)
	v_dual_add_f32 v9, 0, v9 :: v_dual_add_f32 v43, 0, v43
	v_dual_mul_f32 v15, v152, v85 :: v_dual_mul_f32 v17, v154, v87
	s_wait_loadcnt_dscnt 0xa04
	v_dual_mul_f32 v59, v167, v95 :: v_dual_fma_f32 v47, v150, v82, -v47
	v_dual_fmac_f32 v13, v151, v82 :: v_dual_add_f32 v9, v9, v11
	s_delay_alu instid0(VALU_DEP_3) | instskip(SKIP_2) | instid1(VALU_DEP_3)
	v_dual_add_f32 v11, v43, v45 :: v_dual_fmac_f32 v15, v153, v84
	v_dual_mul_f32 v51, v155, v87 :: v_dual_mul_f32 v53, v157, v89
	v_dual_mul_f32 v43, v169, v97 :: v_dual_fma_f32 v45, v152, v84, -v49
	v_dual_add_f32 v9, v9, v13 :: v_dual_add_f32 v11, v11, v47
	v_dual_mul_f32 v19, v156, v89 :: v_dual_mul_f32 v21, v162, v91
	s_wait_loadcnt_dscnt 0x903
	v_dual_mul_f32 v13, v171, v99 :: v_dual_fma_f32 v47, v154, v86, -v51
	s_delay_alu instid0(VALU_DEP_3) | instskip(NEXT) | instid1(VALU_DEP_3)
	v_dual_fmac_f32 v17, v155, v86 :: v_dual_add_f32 v9, v9, v15
	v_dual_add_f32 v11, v11, v45 :: v_dual_fmac_f32 v19, v157, v88
	v_dual_mul_f32 v15, v173, v101 :: v_dual_fma_f32 v45, v156, v88, -v53
	s_delay_alu instid0(VALU_DEP_2) | instskip(SKIP_3) | instid1(VALU_DEP_3)
	v_dual_add_f32 v9, v9, v17 :: v_dual_add_f32 v11, v11, v47
	v_dual_mul_f32 v23, v164, v93 :: v_dual_mul_f32 v25, v166, v95
	s_wait_loadcnt_dscnt 0x802
	v_dual_mul_f32 v17, v175, v103 :: v_dual_fma_f32 v47, v162, v90, -v55
	v_dual_fmac_f32 v21, v163, v90 :: v_dual_add_f32 v9, v9, v19
	s_delay_alu instid0(VALU_DEP_3) | instskip(SKIP_1) | instid1(VALU_DEP_2)
	v_dual_add_f32 v11, v11, v45 :: v_dual_fmac_f32 v23, v165, v92
	v_dual_mul_f32 v19, v177, v105 :: v_dual_fma_f32 v45, v164, v92, -v57
	v_dual_add_f32 v9, v9, v21 :: v_dual_add_f32 v11, v11, v47
	v_dual_mul_f32 v27, v168, v97 :: v_dual_mul_f32 v29, v170, v99
	s_wait_loadcnt_dscnt 0x701
	v_dual_mul_f32 v21, v179, v107 :: v_dual_fma_f32 v47, v166, v94, -v59
	s_delay_alu instid0(VALU_DEP_3) | instskip(NEXT) | instid1(VALU_DEP_3)
	v_dual_fmac_f32 v25, v167, v94 :: v_dual_add_f32 v9, v9, v23
	v_dual_add_f32 v11, v11, v45 :: v_dual_fmac_f32 v27, v169, v96
	v_dual_mul_f32 v23, v181, v109 :: v_dual_fma_f32 v43, v168, v96, -v43
	s_delay_alu instid0(VALU_DEP_2) | instskip(SKIP_3) | instid1(VALU_DEP_3)
	v_dual_add_f32 v9, v9, v25 :: v_dual_add_f32 v11, v11, v47
	v_dual_mul_f32 v31, v172, v101 :: v_dual_mul_f32 v33, v174, v103
	s_wait_loadcnt 0x6
	v_dual_mul_f32 v25, v159, v111 :: v_dual_fma_f32 v13, v170, v98, -v13
	v_dual_fmac_f32 v29, v171, v98 :: v_dual_add_f32 v9, v9, v27
	v_dual_add_f32 v11, v11, v43 :: v_dual_mul_f32 v27, v161, v113
	v_fmac_f32_e32 v31, v173, v100
	s_delay_alu instid0(VALU_DEP_3) | instskip(NEXT) | instid1(VALU_DEP_3)
	v_dual_fma_f32 v15, v172, v100, -v15 :: v_dual_add_f32 v9, v9, v29
	v_add_f32_e32 v11, v11, v13
	v_dual_mul_f32 v35, v176, v105 :: v_dual_mul_f32 v37, v178, v107
	s_wait_loadcnt 0x5
	v_dual_mul_f32 v13, v131, v115 :: v_dual_fma_f32 v17, v174, v102, -v17
	v_dual_fmac_f32 v33, v175, v102 :: v_dual_add_f32 v9, v9, v31
	v_dual_add_f32 v11, v11, v15 :: v_dual_mov_b32 v78, v117
	v_fmac_f32_e32 v35, v177, v104
	s_delay_alu instid0(VALU_DEP_3) | instskip(NEXT) | instid1(VALU_DEP_3)
	v_dual_fma_f32 v15, v176, v104, -v19 :: v_dual_add_f32 v9, v9, v33
	v_add_f32_e32 v11, v11, v17
	v_dual_mul_f32 v39, v180, v109 :: v_dual_mul_f32 v41, v158, v111
	s_delay_alu instid0(VALU_DEP_3) | instskip(NEXT) | instid1(VALU_DEP_3)
	v_dual_fmac_f32 v37, v179, v106 :: v_dual_add_f32 v9, v9, v35
	v_dual_fma_f32 v17, v178, v106, -v21 :: v_dual_add_f32 v11, v11, v15
	s_wait_loadcnt 0x4
	v_dual_mov_b32 v82, v121 :: v_dual_fma_f32 v15, v180, v108, -v23
	v_fmac_f32_e32 v39, v181, v108
	v_dual_add_f32 v9, v9, v37 :: v_dual_fmac_f32 v41, v159, v110
	v_add_f32_e32 v11, v11, v17
	v_dual_mul_f32 v197, v160, v113 :: v_dual_mul_f32 v199, v130, v115
	s_delay_alu instid0(VALU_DEP_3) | instskip(NEXT) | instid1(VALU_DEP_2)
	v_dual_fma_f32 v17, v158, v110, -v25 :: v_dual_add_f32 v9, v9, v39
	v_dual_add_f32 v11, v11, v15 :: v_dual_fmac_f32 v197, v161, v112
	v_fma_f32 v196, v160, v112, -v27
	v_pk_mul_f32 v[78:79], v[188:189], v[78:79] op_sel_hi:[1,0]
	s_delay_alu instid0(VALU_DEP_4)
	v_add_f32_e32 v87, v9, v41
	s_wait_loadcnt 0x3
	v_dual_add_f32 v86, v11, v17 :: v_dual_mov_b32 v88, v125
	v_pk_mul_f32 v[80:81], v[134:135], v[118:119] op_sel:[1,1] op_sel_hi:[0,1]
	v_dual_fmac_f32 v199, v131, v114 :: v_dual_fma_f32 v198, v130, v114, -v13
	v_pk_fma_f32 v[90:91], v[132:133], v[116:117], v[78:79] op_sel_hi:[1,0,1]
	s_delay_alu instid0(VALU_DEP_4)
	v_pk_add_f32 v[86:87], v[86:87], v[196:197]
	v_pk_fma_f32 v[78:79], v[132:133], v[116:117], v[78:79] neg_lo:[0,0,1] neg_hi:[0,0,1]
	v_pk_fma_f32 v[92:93], v[134:135], v[118:119], v[80:81] op_sel_hi:[1,0,1]
	v_pk_mul_f32 v[82:83], v[190:191], v[82:83] op_sel_hi:[1,0]
	v_mov_b32_e32 v79, v91
	v_pk_add_f32 v[86:87], v[86:87], v[198:199]
	v_pk_fma_f32 v[80:81], v[134:135], v[118:119], v[80:81] neg_lo:[0,0,1] neg_hi:[0,0,1]
	v_pk_mul_f32 v[84:85], v[138:139], v[122:123] op_sel:[1,1] op_sel_hi:[0,1]
	v_mov_b32_e32 v81, v93
	v_pk_fma_f32 v[92:93], v[136:137], v[120:121], v[82:83] op_sel_hi:[1,0,1]
	v_pk_add_f32 v[78:79], v[86:87], v[78:79]
	v_pk_fma_f32 v[82:83], v[136:137], v[120:121], v[82:83] neg_lo:[0,0,1] neg_hi:[0,0,1]
	v_pk_fma_f32 v[86:87], v[138:139], v[122:123], v[84:85] op_sel_hi:[1,0,1]
	v_pk_mul_f32 v[88:89], v[192:193], v[88:89] op_sel_hi:[1,0]
	v_mov_b32_e32 v83, v93
	v_pk_add_f32 v[78:79], v[78:79], v[80:81]
	v_pk_fma_f32 v[84:85], v[138:139], v[122:123], v[84:85] neg_lo:[0,0,1] neg_hi:[0,0,1]
	s_wait_loadcnt 0x2
	v_pk_mul_f32 v[90:91], v[142:143], v[126:127] op_sel:[1,1] op_sel_hi:[0,1]
	v_dual_mov_b32 v80, v129 :: v_dual_mov_b32 v85, v87
	v_pk_fma_f32 v[86:87], v[140:141], v[124:125], v[88:89] op_sel_hi:[1,0,1]
	v_pk_add_f32 v[78:79], v[78:79], v[82:83]
	v_pk_fma_f32 v[88:89], v[140:141], v[124:125], v[88:89] neg_lo:[0,0,1] neg_hi:[0,0,1]
	v_pk_fma_f32 v[82:83], v[142:143], v[126:127], v[90:91] op_sel_hi:[1,0,1]
	v_pk_mul_f32 v[80:81], v[194:195], v[80:81] op_sel_hi:[1,0]
	v_mov_b32_e32 v89, v87
	v_pk_add_f32 v[78:79], v[78:79], v[84:85]
	v_pk_fma_f32 v[84:85], v[142:143], v[126:127], v[90:91] neg_lo:[0,0,1] neg_hi:[0,0,1]
	v_mov_b32_e32 v85, v83
	v_pk_fma_f32 v[82:83], v[144:145], v[128:129], v[80:81] op_sel_hi:[1,0,1]
	s_wait_loadcnt_dscnt 0x100
	v_pk_mul_f32 v[86:87], v[186:187], v[182:183] op_sel:[1,1] op_sel_hi:[0,1]
	v_pk_add_f32 v[78:79], v[78:79], v[88:89]
	v_pk_fma_f32 v[80:81], v[144:145], v[128:129], v[80:81] neg_lo:[0,0,1] neg_hi:[0,0,1]
	v_mov_b32_e32 v81, v83
	s_delay_alu instid0(VALU_DEP_4) | instskip(NEXT) | instid1(VALU_DEP_4)
	v_pk_fma_f32 v[82:83], v[186:187], v[182:183], v[86:87] op_sel_hi:[1,0,1]
	v_pk_add_f32 v[78:79], v[78:79], v[84:85]
	v_pk_fma_f32 v[84:85], v[186:187], v[182:183], v[86:87] neg_lo:[0,0,1] neg_hi:[0,0,1]
	s_delay_alu instid0(VALU_DEP_3) | instskip(NEXT) | instid1(VALU_DEP_3)
	v_mov_b32_e32 v85, v83
	v_pk_add_f32 v[78:79], v[78:79], v[80:81]
	s_delay_alu instid0(VALU_DEP_1) | instskip(SKIP_1) | instid1(VALU_DEP_1)
	v_pk_add_f32 v[78:79], v[78:79], v[84:85]
	s_wait_loadcnt 0x0
	v_pk_add_f32 v[78:79], v[184:185], v[78:79] neg_lo:[0,1] neg_hi:[0,1]
	scratch_store_b64 off, v[78:79], off offset:80
	s_wait_xcnt 0x0
	v_cmpx_lt_u32_e32 9, v0
	s_cbranch_execz .LBB101_223
; %bb.222:
	scratch_load_b64 v[78:79], off, off offset:72
	v_mov_b64_e32 v[80:81], 0
	scratch_store_b64 off, v[80:81], off offset:72
	s_wait_loadcnt 0x0
	ds_store_b64 v1, v[78:79]
.LBB101_223:
	s_wait_xcnt 0x0
	s_or_b32 exec_lo, exec_lo, s0
	s_wait_storecnt_dscnt 0x0
	s_barrier_signal -1
	s_barrier_wait -1
	s_clause 0xe
	scratch_load_b128 v[78:81], off, off offset:80
	scratch_load_b128 v[82:85], off, off offset:96
	;; [unrolled: 1-line block ×14, first 2 shown]
	scratch_load_b64 v[190:191], off, off offset:72
	ds_load_b128 v[134:137], v7 offset:544
	ds_load_b128 v[138:141], v7 offset:560
	;; [unrolled: 1-line block ×14, first 2 shown]
	s_mov_b32 s0, exec_lo
	s_wait_dscnt 0xd
	v_dual_mov_b32 v192, v137 :: v_dual_mov_b32 v193, v136
	s_wait_dscnt 0xc
	v_dual_mov_b32 v194, v141 :: v_dual_mov_b32 v195, v140
	;; [unrolled: 2-line block ×4, first 2 shown]
	s_wait_loadcnt_dscnt 0xe09
	v_dual_mul_f32 v7, v150, v79 :: v_dual_mul_f32 v9, v152, v81
	v_dual_mul_f32 v43, v151, v79 :: v_dual_mul_f32 v45, v153, v81
	s_wait_loadcnt_dscnt 0xd08
	v_dual_mul_f32 v11, v154, v83 :: v_dual_mul_f32 v13, v156, v85
	s_delay_alu instid0(VALU_DEP_3) | instskip(SKIP_3) | instid1(VALU_DEP_3)
	v_dual_fmac_f32 v7, v151, v78 :: v_dual_fmac_f32 v9, v153, v80
	s_wait_loadcnt_dscnt 0xb06
	v_dual_fma_f32 v43, v150, v78, -v43 :: v_dual_mul_f32 v55, v163, v91
	v_dual_mul_f32 v47, v155, v83 :: v_dual_mul_f32 v49, v157, v85
	v_dual_fma_f32 v45, v152, v80, -v45 :: v_dual_add_f32 v7, 0, v7
	s_delay_alu instid0(VALU_DEP_3) | instskip(SKIP_1) | instid1(VALU_DEP_3)
	v_dual_add_f32 v43, 0, v43 :: v_dual_mul_f32 v57, v165, v93
	v_dual_fmac_f32 v11, v155, v82 :: v_dual_fmac_f32 v13, v157, v84
	v_dual_fma_f32 v47, v154, v82, -v47 :: v_dual_add_f32 v7, v7, v9
	s_delay_alu instid0(VALU_DEP_3) | instskip(SKIP_2) | instid1(VALU_DEP_4)
	v_dual_add_f32 v9, v43, v45 :: v_dual_fma_f32 v45, v156, v84, -v49
	v_dual_mul_f32 v15, v158, v87 :: v_dual_mul_f32 v17, v160, v89
	v_dual_mul_f32 v51, v159, v87 :: v_dual_mul_f32 v53, v161, v89
	v_add_f32_e32 v7, v7, v11
	s_delay_alu instid0(VALU_DEP_3) | instskip(NEXT) | instid1(VALU_DEP_3)
	v_dual_add_f32 v9, v9, v47 :: v_dual_fmac_f32 v15, v159, v86
	v_fma_f32 v47, v158, v86, -v51
	v_dual_mul_f32 v19, v162, v91 :: v_dual_mul_f32 v21, v164, v93
	s_delay_alu instid0(VALU_DEP_4) | instskip(SKIP_2) | instid1(VALU_DEP_2)
	v_dual_add_f32 v7, v7, v13 :: v_dual_fmac_f32 v17, v161, v88
	s_wait_loadcnt_dscnt 0x904
	v_dual_add_f32 v9, v9, v45 :: v_dual_mul_f32 v13, v171, v99
	v_dual_fma_f32 v45, v160, v88, -v53 :: v_dual_add_f32 v7, v7, v15
	v_mul_f32_e32 v15, v173, v101
	s_delay_alu instid0(VALU_DEP_3) | instskip(NEXT) | instid1(VALU_DEP_3)
	v_dual_add_f32 v9, v9, v47 :: v_dual_fmac_f32 v19, v163, v90
	v_dual_fma_f32 v47, v162, v90, -v55 :: v_dual_add_f32 v7, v7, v17
	v_fmac_f32_e32 v21, v165, v92
	s_wait_loadcnt_dscnt 0x803
	s_delay_alu instid0(VALU_DEP_3) | instskip(SKIP_3) | instid1(VALU_DEP_3)
	v_dual_add_f32 v9, v9, v45 :: v_dual_mul_f32 v17, v175, v103
	v_dual_mul_f32 v23, v166, v95 :: v_dual_mul_f32 v25, v168, v97
	v_dual_mul_f32 v43, v167, v95 :: v_dual_mul_f32 v11, v169, v97
	v_dual_fma_f32 v45, v164, v92, -v57 :: v_dual_add_f32 v7, v7, v19
	v_dual_add_f32 v9, v9, v47 :: v_dual_fmac_f32 v23, v167, v94
	s_delay_alu instid0(VALU_DEP_3) | instskip(NEXT) | instid1(VALU_DEP_3)
	v_dual_mul_f32 v19, v177, v105 :: v_dual_fma_f32 v43, v166, v94, -v43
	v_dual_add_f32 v7, v7, v21 :: v_dual_fmac_f32 v25, v169, v96
	s_wait_loadcnt_dscnt 0x702
	s_delay_alu instid0(VALU_DEP_3) | instskip(SKIP_1) | instid1(VALU_DEP_3)
	v_dual_add_f32 v9, v9, v45 :: v_dual_mul_f32 v21, v179, v107
	v_dual_mul_f32 v27, v170, v99 :: v_dual_mul_f32 v29, v172, v101
	v_dual_fma_f32 v11, v168, v96, -v11 :: v_dual_add_f32 v7, v7, v23
	s_delay_alu instid0(VALU_DEP_2) | instskip(SKIP_1) | instid1(VALU_DEP_2)
	v_dual_add_f32 v9, v9, v43 :: v_dual_fmac_f32 v27, v171, v98
	v_dual_mul_f32 v23, v181, v109 :: v_dual_fma_f32 v13, v170, v98, -v13
	v_dual_add_f32 v7, v7, v25 :: v_dual_add_f32 v9, v9, v11
	v_dual_mul_f32 v31, v174, v103 :: v_dual_mul_f32 v33, v176, v105
	s_wait_loadcnt_dscnt 0x601
	v_dual_mul_f32 v11, v183, v111 :: v_dual_fmac_f32 v29, v173, v100
	s_delay_alu instid0(VALU_DEP_3) | instskip(NEXT) | instid1(VALU_DEP_3)
	v_dual_fma_f32 v15, v172, v100, -v15 :: v_dual_add_f32 v7, v7, v27
	v_dual_add_f32 v9, v9, v13 :: v_dual_fmac_f32 v31, v175, v102
	v_dual_mul_f32 v13, v185, v113 :: v_dual_fma_f32 v17, v174, v102, -v17
	s_delay_alu instid0(VALU_DEP_2) | instskip(SKIP_3) | instid1(VALU_DEP_3)
	v_dual_add_f32 v7, v7, v29 :: v_dual_add_f32 v9, v9, v15
	v_dual_mul_f32 v35, v178, v107 :: v_dual_mul_f32 v37, v180, v109
	s_wait_loadcnt_dscnt 0x500
	v_dual_mul_f32 v15, v187, v115 :: v_dual_fmac_f32 v33, v177, v104
	v_dual_fma_f32 v19, v176, v104, -v19 :: v_dual_add_f32 v7, v7, v31
	s_delay_alu instid0(VALU_DEP_3) | instskip(SKIP_1) | instid1(VALU_DEP_2)
	v_dual_add_f32 v9, v9, v17 :: v_dual_fmac_f32 v35, v179, v106
	v_dual_mul_f32 v17, v189, v117 :: v_dual_fma_f32 v21, v178, v106, -v21
	v_dual_add_f32 v7, v7, v33 :: v_dual_add_f32 v9, v9, v19
	v_dual_mul_f32 v39, v182, v111 :: v_dual_mul_f32 v41, v184, v113
	v_dual_fmac_f32 v37, v181, v108 :: v_dual_fma_f32 v19, v180, v108, -v23
	s_delay_alu instid0(VALU_DEP_3) | instskip(SKIP_1) | instid1(VALU_DEP_3)
	v_dual_add_f32 v7, v7, v35 :: v_dual_add_f32 v9, v9, v21
	s_wait_loadcnt 0x4
	v_dual_mov_b32 v80, v121 :: v_dual_fmac_f32 v39, v183, v110
	s_delay_alu instid0(VALU_DEP_2) | instskip(NEXT) | instid1(VALU_DEP_3)
	v_dual_fma_f32 v11, v182, v110, -v11 :: v_dual_add_f32 v7, v7, v37
	v_dual_add_f32 v9, v9, v19 :: v_dual_fma_f32 v13, v184, v112, -v13
	v_dual_mul_f32 v201, v186, v115 :: v_dual_mul_f32 v203, v188, v117
	s_delay_alu instid0(VALU_DEP_3) | instskip(NEXT) | instid1(VALU_DEP_2)
	v_dual_fmac_f32 v41, v185, v112 :: v_dual_add_f32 v7, v7, v39
	v_dual_add_f32 v9, v9, v11 :: v_dual_fmac_f32 v201, v187, v114
	v_pk_mul_f32 v[78:79], v[134:135], v[118:119] op_sel:[1,1] op_sel_hi:[0,1]
	s_wait_loadcnt 0x3
	v_dual_mov_b32 v84, v125 :: v_dual_fma_f32 v200, v186, v114, -v15
	v_dual_add_f32 v87, v7, v41 :: v_dual_fmac_f32 v203, v189, v116
	v_dual_add_f32 v86, v9, v13 :: v_dual_fma_f32 v202, v188, v116, -v17
	v_pk_fma_f32 v[88:89], v[134:135], v[118:119], v[78:79] op_sel_hi:[1,0,1]
	v_pk_mul_f32 v[80:81], v[192:193], v[80:81] op_sel_hi:[1,0]
	v_pk_fma_f32 v[78:79], v[134:135], v[118:119], v[78:79] neg_lo:[0,0,1] neg_hi:[0,0,1]
	s_delay_alu instid0(VALU_DEP_4)
	v_pk_add_f32 v[86:87], v[86:87], v[200:201]
	v_pk_mul_f32 v[82:83], v[138:139], v[122:123] op_sel:[1,1] op_sel_hi:[0,1]
	v_mov_b32_e32 v79, v89
	v_pk_fma_f32 v[88:89], v[136:137], v[120:121], v[80:81] op_sel_hi:[1,0,1]
	v_pk_fma_f32 v[80:81], v[136:137], v[120:121], v[80:81] neg_lo:[0,0,1] neg_hi:[0,0,1]
	v_pk_add_f32 v[86:87], v[86:87], v[202:203]
	v_pk_fma_f32 v[92:93], v[138:139], v[122:123], v[82:83] op_sel_hi:[1,0,1]
	v_pk_mul_f32 v[84:85], v[194:195], v[84:85] op_sel_hi:[1,0]
	v_mov_b32_e32 v81, v89
	s_wait_loadcnt 0x2
	v_pk_mul_f32 v[90:91], v[142:143], v[126:127] op_sel:[1,1] op_sel_hi:[0,1]
	v_pk_add_f32 v[78:79], v[86:87], v[78:79]
	v_mov_b32_e32 v86, v129
	v_pk_fma_f32 v[82:83], v[138:139], v[122:123], v[82:83] neg_lo:[0,0,1] neg_hi:[0,0,1]
	v_mov_b32_e32 v83, v93
	v_pk_fma_f32 v[88:89], v[140:141], v[124:125], v[84:85] op_sel_hi:[1,0,1]
	v_pk_add_f32 v[78:79], v[78:79], v[80:81]
	v_pk_fma_f32 v[80:81], v[142:143], v[126:127], v[90:91] op_sel_hi:[1,0,1]
	v_pk_mul_f32 v[86:87], v[196:197], v[86:87] op_sel_hi:[1,0]
	v_pk_fma_f32 v[84:85], v[140:141], v[124:125], v[84:85] neg_lo:[0,0,1] neg_hi:[0,0,1]
	v_mov_b32_e32 v85, v89
	v_pk_add_f32 v[78:79], v[78:79], v[82:83]
	v_pk_fma_f32 v[88:89], v[142:143], v[126:127], v[90:91] neg_lo:[0,0,1] neg_hi:[0,0,1]
	v_mov_b32_e32 v89, v81
	v_pk_fma_f32 v[80:81], v[144:145], v[128:129], v[86:87] op_sel_hi:[1,0,1]
	s_wait_loadcnt 0x1
	v_pk_mul_f32 v[82:83], v[146:147], v[130:131] op_sel:[1,1] op_sel_hi:[0,1]
	v_pk_add_f32 v[78:79], v[78:79], v[84:85]
	v_mov_b32_e32 v80, v133
	v_pk_fma_f32 v[86:87], v[144:145], v[128:129], v[86:87] neg_lo:[0,0,1] neg_hi:[0,0,1]
	v_mov_b32_e32 v87, v81
	v_pk_fma_f32 v[84:85], v[146:147], v[130:131], v[82:83] op_sel_hi:[1,0,1]
	v_pk_add_f32 v[78:79], v[78:79], v[88:89]
	v_pk_mul_f32 v[80:81], v[198:199], v[80:81] op_sel_hi:[1,0]
	v_pk_fma_f32 v[82:83], v[146:147], v[130:131], v[82:83] neg_lo:[0,0,1] neg_hi:[0,0,1]
	s_delay_alu instid0(VALU_DEP_4) | instskip(NEXT) | instid1(VALU_DEP_4)
	v_mov_b32_e32 v83, v85
	v_pk_add_f32 v[78:79], v[78:79], v[86:87]
	s_delay_alu instid0(VALU_DEP_4) | instskip(SKIP_1) | instid1(VALU_DEP_2)
	v_pk_fma_f32 v[84:85], v[148:149], v[132:133], v[80:81] op_sel_hi:[1,0,1]
	v_pk_fma_f32 v[80:81], v[148:149], v[132:133], v[80:81] neg_lo:[0,0,1] neg_hi:[0,0,1]
	v_mov_b32_e32 v81, v85
	s_delay_alu instid0(VALU_DEP_4) | instskip(NEXT) | instid1(VALU_DEP_1)
	v_pk_add_f32 v[78:79], v[78:79], v[82:83]
	v_pk_add_f32 v[78:79], v[78:79], v[80:81]
	s_wait_loadcnt 0x0
	s_delay_alu instid0(VALU_DEP_1)
	v_pk_add_f32 v[78:79], v[190:191], v[78:79] neg_lo:[0,1] neg_hi:[0,1]
	scratch_store_b64 off, v[78:79], off offset:72
	s_wait_xcnt 0x0
	v_cmpx_lt_u32_e32 8, v0
	s_cbranch_execz .LBB101_225
; %bb.224:
	scratch_load_b64 v[78:79], off, off offset:64
	v_mov_b64_e32 v[80:81], 0
	scratch_store_b64 off, v[80:81], off offset:64
	s_wait_loadcnt 0x0
	ds_store_b64 v1, v[78:79]
.LBB101_225:
	s_wait_xcnt 0x0
	s_or_b32 exec_lo, exec_lo, s0
	s_wait_storecnt_dscnt 0x0
	s_barrier_signal -1
	s_barrier_wait -1
	s_clause 0xf
	scratch_load_b128 v[78:81], off, off offset:72
	scratch_load_b128 v[82:85], off, off offset:88
	;; [unrolled: 1-line block ×14, first 2 shown]
	scratch_load_b64 v[190:191], off, off offset:296
	scratch_load_b64 v[192:193], off, off offset:64
	v_mov_b32_e32 v7, 0
	ds_load_2addr_b64 v[134:137], v7 offset0:67 offset1:68
	ds_load_2addr_b64 v[138:141], v7 offset0:69 offset1:70
	;; [unrolled: 1-line block ×14, first 2 shown]
	ds_load_b64 v[194:195], v7 offset:600
	s_mov_b32 s0, exec_lo
	s_wait_dscnt 0xe
	v_dual_mov_b32 v196, v137 :: v_dual_mov_b32 v197, v136
	s_wait_dscnt 0xb
	v_dual_mov_b32 v198, v141 :: v_dual_mov_b32 v203, v148
	v_dual_mov_b32 v199, v140 :: v_dual_mov_b32 v200, v145
	;; [unrolled: 1-line block ×3, first 2 shown]
	s_wait_loadcnt_dscnt 0xf0a
	v_dual_mul_f32 v9, v150, v79 :: v_dual_mul_f32 v47, v151, v79
	v_dual_mul_f32 v49, v153, v81 :: v_dual_mul_f32 v11, v152, v81
	s_wait_loadcnt_dscnt 0xe09
	v_mul_f32_e32 v13, v154, v83
	s_wait_loadcnt_dscnt 0xc07
	v_dual_mul_f32 v59, v163, v91 :: v_dual_fma_f32 v47, v150, v78, -v47
	v_dual_fmac_f32 v9, v151, v78 :: v_dual_mul_f32 v61, v165, v93
	v_dual_mul_f32 v51, v155, v83 :: v_dual_mul_f32 v53, v157, v85
	v_dual_fmac_f32 v11, v153, v80 :: v_dual_fma_f32 v49, v152, v80, -v49
	s_delay_alu instid0(VALU_DEP_3) | instskip(SKIP_3) | instid1(VALU_DEP_3)
	v_dual_add_f32 v9, 0, v9 :: v_dual_add_f32 v47, 0, v47
	v_dual_mul_f32 v15, v156, v85 :: v_dual_mul_f32 v17, v158, v87
	s_wait_loadcnt_dscnt 0xb06
	v_dual_mul_f32 v63, v167, v95 :: v_dual_fma_f32 v51, v154, v82, -v51
	v_dual_fmac_f32 v13, v155, v82 :: v_dual_add_f32 v9, v9, v11
	s_delay_alu instid0(VALU_DEP_3) | instskip(SKIP_2) | instid1(VALU_DEP_3)
	v_dual_add_f32 v11, v47, v49 :: v_dual_fmac_f32 v15, v157, v84
	v_dual_mul_f32 v55, v159, v87 :: v_dual_mul_f32 v57, v161, v89
	v_dual_mul_f32 v47, v169, v97 :: v_dual_fma_f32 v49, v156, v84, -v53
	v_dual_add_f32 v9, v9, v13 :: v_dual_add_f32 v11, v11, v51
	v_dual_mul_f32 v19, v160, v89 :: v_dual_mul_f32 v21, v162, v91
	s_wait_loadcnt_dscnt 0xa05
	v_dual_mul_f32 v13, v171, v99 :: v_dual_fma_f32 v51, v158, v86, -v55
	s_delay_alu instid0(VALU_DEP_3) | instskip(NEXT) | instid1(VALU_DEP_3)
	v_dual_fmac_f32 v17, v159, v86 :: v_dual_add_f32 v9, v9, v15
	v_dual_add_f32 v11, v11, v49 :: v_dual_fmac_f32 v19, v161, v88
	v_dual_mul_f32 v15, v173, v101 :: v_dual_fma_f32 v49, v160, v88, -v57
	s_delay_alu instid0(VALU_DEP_2) | instskip(SKIP_3) | instid1(VALU_DEP_3)
	v_dual_add_f32 v9, v9, v17 :: v_dual_add_f32 v11, v11, v51
	v_dual_mul_f32 v23, v164, v93 :: v_dual_mul_f32 v25, v166, v95
	s_wait_loadcnt_dscnt 0x904
	v_dual_mul_f32 v17, v175, v103 :: v_dual_fma_f32 v51, v162, v90, -v59
	v_dual_fmac_f32 v21, v163, v90 :: v_dual_add_f32 v9, v9, v19
	s_delay_alu instid0(VALU_DEP_3) | instskip(SKIP_1) | instid1(VALU_DEP_2)
	v_dual_add_f32 v11, v11, v49 :: v_dual_fmac_f32 v23, v165, v92
	v_dual_mul_f32 v19, v177, v105 :: v_dual_fma_f32 v49, v164, v92, -v61
	v_dual_add_f32 v9, v9, v21 :: v_dual_add_f32 v11, v11, v51
	v_dual_mul_f32 v27, v168, v97 :: v_dual_mul_f32 v29, v170, v99
	s_wait_loadcnt_dscnt 0x803
	v_dual_mul_f32 v21, v179, v107 :: v_dual_fma_f32 v51, v166, v94, -v63
	s_delay_alu instid0(VALU_DEP_3) | instskip(NEXT) | instid1(VALU_DEP_3)
	v_dual_fmac_f32 v25, v167, v94 :: v_dual_add_f32 v9, v9, v23
	v_dual_add_f32 v11, v11, v49 :: v_dual_fmac_f32 v27, v169, v96
	v_dual_mul_f32 v23, v181, v109 :: v_dual_fma_f32 v47, v168, v96, -v47
	s_delay_alu instid0(VALU_DEP_2) | instskip(SKIP_3) | instid1(VALU_DEP_3)
	v_dual_add_f32 v9, v9, v25 :: v_dual_add_f32 v11, v11, v51
	v_dual_mul_f32 v31, v172, v101 :: v_dual_mul_f32 v33, v174, v103
	s_wait_loadcnt_dscnt 0x702
	v_dual_mul_f32 v25, v183, v111 :: v_dual_fma_f32 v13, v170, v98, -v13
	v_dual_fmac_f32 v29, v171, v98 :: v_dual_add_f32 v9, v9, v27
	v_dual_add_f32 v11, v11, v47 :: v_dual_mul_f32 v27, v185, v113
	v_fmac_f32_e32 v31, v173, v100
	s_delay_alu instid0(VALU_DEP_3) | instskip(NEXT) | instid1(VALU_DEP_3)
	v_dual_fma_f32 v15, v172, v100, -v15 :: v_dual_add_f32 v9, v9, v29
	v_add_f32_e32 v11, v11, v13
	v_dual_mul_f32 v35, v176, v105 :: v_dual_mul_f32 v37, v178, v107
	s_wait_loadcnt_dscnt 0x601
	v_dual_mul_f32 v13, v187, v115 :: v_dual_fma_f32 v17, v174, v102, -v17
	v_dual_fmac_f32 v33, v175, v102 :: v_dual_add_f32 v9, v9, v31
	v_dual_add_f32 v11, v11, v15 :: v_dual_mul_f32 v15, v189, v117
	v_fmac_f32_e32 v35, v177, v104
	s_delay_alu instid0(VALU_DEP_3) | instskip(NEXT) | instid1(VALU_DEP_3)
	v_dual_fma_f32 v19, v176, v104, -v19 :: v_dual_add_f32 v9, v9, v33
	v_add_f32_e32 v11, v11, v17
	v_dual_mul_f32 v39, v180, v109 :: v_dual_mul_f32 v41, v182, v111
	s_wait_loadcnt 0x5
	v_dual_mul_f32 v17, v135, v119 :: v_dual_fma_f32 v21, v178, v106, -v21
	v_dual_fmac_f32 v37, v179, v106 :: v_dual_add_f32 v9, v9, v35
	v_dual_add_f32 v11, v11, v19 :: v_dual_mov_b32 v78, v121
	v_fmac_f32_e32 v39, v181, v108
	s_delay_alu instid0(VALU_DEP_3) | instskip(NEXT) | instid1(VALU_DEP_3)
	v_dual_fma_f32 v19, v180, v108, -v23 :: v_dual_add_f32 v9, v9, v37
	v_add_f32_e32 v11, v11, v21
	v_dual_mul_f32 v43, v184, v113 :: v_dual_mul_f32 v45, v186, v115
	s_delay_alu instid0(VALU_DEP_3) | instskip(NEXT) | instid1(VALU_DEP_3)
	v_dual_fmac_f32 v41, v183, v110 :: v_dual_add_f32 v9, v9, v39
	v_dual_fma_f32 v21, v182, v110, -v25 :: v_dual_add_f32 v11, v11, v19
	s_wait_loadcnt 0x4
	v_dual_mov_b32 v82, v125 :: v_dual_fma_f32 v19, v184, v112, -v27
	v_fmac_f32_e32 v43, v185, v112
	v_dual_add_f32 v9, v9, v41 :: v_dual_fmac_f32 v45, v187, v114
	v_add_f32_e32 v11, v11, v21
	v_dual_mul_f32 v205, v188, v117 :: v_dual_mul_f32 v207, v134, v119
	s_delay_alu instid0(VALU_DEP_3) | instskip(NEXT) | instid1(VALU_DEP_2)
	v_dual_fma_f32 v13, v186, v114, -v13 :: v_dual_add_f32 v9, v9, v43
	v_dual_add_f32 v11, v11, v19 :: v_dual_fmac_f32 v205, v189, v116
	v_fma_f32 v204, v188, v116, -v15
	v_pk_mul_f32 v[78:79], v[196:197], v[78:79] op_sel_hi:[1,0]
	s_delay_alu instid0(VALU_DEP_4)
	v_add_f32_e32 v87, v9, v45
	s_wait_loadcnt 0x3
	v_dual_add_f32 v86, v11, v13 :: v_dual_mov_b32 v88, v129
	v_pk_mul_f32 v[80:81], v[138:139], v[122:123] op_sel:[1,1] op_sel_hi:[0,1]
	v_dual_fmac_f32 v207, v135, v118 :: v_dual_fma_f32 v206, v134, v118, -v17
	v_pk_fma_f32 v[90:91], v[136:137], v[120:121], v[78:79] op_sel_hi:[1,0,1]
	s_delay_alu instid0(VALU_DEP_4)
	v_pk_add_f32 v[86:87], v[86:87], v[204:205]
	v_pk_fma_f32 v[78:79], v[136:137], v[120:121], v[78:79] neg_lo:[0,0,1] neg_hi:[0,0,1]
	v_pk_fma_f32 v[92:93], v[138:139], v[122:123], v[80:81] op_sel_hi:[1,0,1]
	v_pk_mul_f32 v[82:83], v[198:199], v[82:83] op_sel_hi:[1,0]
	v_mov_b32_e32 v79, v91
	v_pk_add_f32 v[86:87], v[86:87], v[206:207]
	v_pk_fma_f32 v[80:81], v[138:139], v[122:123], v[80:81] neg_lo:[0,0,1] neg_hi:[0,0,1]
	v_pk_mul_f32 v[84:85], v[142:143], v[126:127] op_sel:[1,1] op_sel_hi:[0,1]
	v_mov_b32_e32 v81, v93
	v_pk_fma_f32 v[92:93], v[140:141], v[124:125], v[82:83] op_sel_hi:[1,0,1]
	v_pk_add_f32 v[78:79], v[86:87], v[78:79]
	v_pk_fma_f32 v[82:83], v[140:141], v[124:125], v[82:83] neg_lo:[0,0,1] neg_hi:[0,0,1]
	v_pk_fma_f32 v[86:87], v[142:143], v[126:127], v[84:85] op_sel_hi:[1,0,1]
	v_pk_mul_f32 v[88:89], v[200:201], v[88:89] op_sel_hi:[1,0]
	v_mov_b32_e32 v83, v93
	v_pk_add_f32 v[78:79], v[78:79], v[80:81]
	v_pk_fma_f32 v[84:85], v[142:143], v[126:127], v[84:85] neg_lo:[0,0,1] neg_hi:[0,0,1]
	s_wait_loadcnt 0x2
	v_pk_mul_f32 v[90:91], v[146:147], v[130:131] op_sel:[1,1] op_sel_hi:[0,1]
	v_dual_mov_b32 v80, v133 :: v_dual_mov_b32 v85, v87
	v_pk_fma_f32 v[86:87], v[144:145], v[128:129], v[88:89] op_sel_hi:[1,0,1]
	v_pk_add_f32 v[78:79], v[78:79], v[82:83]
	v_pk_fma_f32 v[88:89], v[144:145], v[128:129], v[88:89] neg_lo:[0,0,1] neg_hi:[0,0,1]
	v_pk_fma_f32 v[82:83], v[146:147], v[130:131], v[90:91] op_sel_hi:[1,0,1]
	v_pk_mul_f32 v[80:81], v[202:203], v[80:81] op_sel_hi:[1,0]
	v_mov_b32_e32 v89, v87
	v_pk_add_f32 v[78:79], v[78:79], v[84:85]
	v_pk_fma_f32 v[84:85], v[146:147], v[130:131], v[90:91] neg_lo:[0,0,1] neg_hi:[0,0,1]
	v_mov_b32_e32 v85, v83
	v_pk_fma_f32 v[82:83], v[148:149], v[132:133], v[80:81] op_sel_hi:[1,0,1]
	s_wait_loadcnt_dscnt 0x100
	v_pk_mul_f32 v[86:87], v[194:195], v[190:191] op_sel:[1,1] op_sel_hi:[0,1]
	v_pk_add_f32 v[78:79], v[78:79], v[88:89]
	v_pk_fma_f32 v[80:81], v[148:149], v[132:133], v[80:81] neg_lo:[0,0,1] neg_hi:[0,0,1]
	v_mov_b32_e32 v81, v83
	s_delay_alu instid0(VALU_DEP_4) | instskip(NEXT) | instid1(VALU_DEP_4)
	v_pk_fma_f32 v[82:83], v[194:195], v[190:191], v[86:87] op_sel_hi:[1,0,1]
	v_pk_add_f32 v[78:79], v[78:79], v[84:85]
	v_pk_fma_f32 v[84:85], v[194:195], v[190:191], v[86:87] neg_lo:[0,0,1] neg_hi:[0,0,1]
	s_delay_alu instid0(VALU_DEP_3) | instskip(NEXT) | instid1(VALU_DEP_3)
	v_mov_b32_e32 v85, v83
	v_pk_add_f32 v[78:79], v[78:79], v[80:81]
	s_delay_alu instid0(VALU_DEP_1) | instskip(SKIP_1) | instid1(VALU_DEP_1)
	v_pk_add_f32 v[78:79], v[78:79], v[84:85]
	s_wait_loadcnt 0x0
	v_pk_add_f32 v[78:79], v[192:193], v[78:79] neg_lo:[0,1] neg_hi:[0,1]
	scratch_store_b64 off, v[78:79], off offset:64
	s_wait_xcnt 0x0
	v_cmpx_lt_u32_e32 7, v0
	s_cbranch_execz .LBB101_227
; %bb.226:
	scratch_load_b64 v[78:79], off, off offset:56
	v_mov_b64_e32 v[80:81], 0
	scratch_store_b64 off, v[80:81], off offset:56
	s_wait_loadcnt 0x0
	ds_store_b64 v1, v[78:79]
.LBB101_227:
	s_wait_xcnt 0x0
	s_or_b32 exec_lo, exec_lo, s0
	s_wait_storecnt_dscnt 0x0
	s_barrier_signal -1
	s_barrier_wait -1
	s_clause 0xf
	scratch_load_b128 v[78:81], off, off offset:64
	scratch_load_b128 v[82:85], off, off offset:80
	;; [unrolled: 1-line block ×15, first 2 shown]
	scratch_load_b64 v[198:199], off, off offset:56
	ds_load_b128 v[138:141], v7 offset:544
	ds_load_b128 v[142:145], v7 offset:560
	;; [unrolled: 1-line block ×15, first 2 shown]
	s_mov_b32 s0, exec_lo
	s_wait_dscnt 0xe
	v_dual_mov_b32 v200, v141 :: v_dual_mov_b32 v201, v140
	s_wait_dscnt 0xd
	v_dual_mov_b32 v202, v145 :: v_dual_mov_b32 v203, v144
	;; [unrolled: 2-line block ×4, first 2 shown]
	s_wait_loadcnt_dscnt 0xf0a
	v_dual_mul_f32 v7, v154, v79 :: v_dual_mul_f32 v9, v156, v81
	v_dual_mul_f32 v47, v155, v79 :: v_dual_mul_f32 v49, v157, v81
	s_wait_loadcnt_dscnt 0xe09
	v_dual_mul_f32 v11, v158, v83 :: v_dual_mul_f32 v13, v160, v85
	s_delay_alu instid0(VALU_DEP_3) | instskip(SKIP_3) | instid1(VALU_DEP_3)
	v_dual_fmac_f32 v7, v155, v78 :: v_dual_fmac_f32 v9, v157, v80
	s_wait_loadcnt_dscnt 0xc06
	v_dual_fma_f32 v47, v154, v78, -v47 :: v_dual_mul_f32 v59, v171, v91
	v_dual_mul_f32 v51, v159, v83 :: v_dual_mul_f32 v53, v161, v85
	v_dual_fma_f32 v49, v156, v80, -v49 :: v_dual_add_f32 v7, 0, v7
	s_delay_alu instid0(VALU_DEP_3) | instskip(SKIP_1) | instid1(VALU_DEP_3)
	v_dual_add_f32 v47, 0, v47 :: v_dual_mul_f32 v61, v173, v93
	v_dual_fmac_f32 v11, v159, v82 :: v_dual_fmac_f32 v13, v161, v84
	v_dual_fma_f32 v51, v158, v82, -v51 :: v_dual_add_f32 v7, v7, v9
	s_delay_alu instid0(VALU_DEP_3) | instskip(SKIP_2) | instid1(VALU_DEP_4)
	v_dual_add_f32 v9, v47, v49 :: v_dual_fma_f32 v49, v160, v84, -v53
	v_dual_mul_f32 v15, v166, v87 :: v_dual_mul_f32 v17, v168, v89
	v_dual_mul_f32 v55, v167, v87 :: v_dual_mul_f32 v57, v169, v89
	v_add_f32_e32 v7, v7, v11
	s_delay_alu instid0(VALU_DEP_3) | instskip(NEXT) | instid1(VALU_DEP_3)
	v_dual_add_f32 v9, v9, v51 :: v_dual_fmac_f32 v15, v167, v86
	v_fma_f32 v51, v166, v86, -v55
	v_dual_mul_f32 v19, v170, v91 :: v_dual_mul_f32 v21, v172, v93
	s_delay_alu instid0(VALU_DEP_4) | instskip(SKIP_2) | instid1(VALU_DEP_2)
	v_dual_add_f32 v7, v7, v13 :: v_dual_fmac_f32 v17, v169, v88
	s_wait_loadcnt_dscnt 0xa04
	v_dual_add_f32 v9, v9, v49 :: v_dual_mul_f32 v13, v179, v99
	v_dual_fma_f32 v49, v168, v88, -v57 :: v_dual_add_f32 v7, v7, v15
	v_mul_f32_e32 v15, v181, v101
	s_delay_alu instid0(VALU_DEP_3) | instskip(NEXT) | instid1(VALU_DEP_3)
	v_dual_add_f32 v9, v9, v51 :: v_dual_fmac_f32 v19, v171, v90
	v_dual_fma_f32 v51, v170, v90, -v59 :: v_dual_add_f32 v7, v7, v17
	v_fmac_f32_e32 v21, v173, v92
	s_wait_loadcnt_dscnt 0x903
	s_delay_alu instid0(VALU_DEP_3) | instskip(SKIP_3) | instid1(VALU_DEP_3)
	v_dual_add_f32 v9, v9, v49 :: v_dual_mul_f32 v17, v183, v103
	v_dual_mul_f32 v23, v174, v95 :: v_dual_mul_f32 v25, v176, v97
	v_dual_mul_f32 v47, v175, v95 :: v_dual_mul_f32 v11, v177, v97
	v_dual_fma_f32 v49, v172, v92, -v61 :: v_dual_add_f32 v7, v7, v19
	v_dual_add_f32 v9, v9, v51 :: v_dual_fmac_f32 v23, v175, v94
	s_delay_alu instid0(VALU_DEP_3) | instskip(NEXT) | instid1(VALU_DEP_3)
	v_dual_mul_f32 v19, v185, v105 :: v_dual_fma_f32 v47, v174, v94, -v47
	v_dual_add_f32 v7, v7, v21 :: v_dual_fmac_f32 v25, v177, v96
	s_wait_loadcnt_dscnt 0x802
	s_delay_alu instid0(VALU_DEP_3) | instskip(SKIP_1) | instid1(VALU_DEP_3)
	v_dual_add_f32 v9, v9, v49 :: v_dual_mul_f32 v21, v187, v107
	v_dual_mul_f32 v27, v178, v99 :: v_dual_mul_f32 v29, v180, v101
	v_dual_fma_f32 v11, v176, v96, -v11 :: v_dual_add_f32 v7, v7, v23
	s_delay_alu instid0(VALU_DEP_2) | instskip(SKIP_1) | instid1(VALU_DEP_2)
	v_dual_add_f32 v9, v9, v47 :: v_dual_fmac_f32 v27, v179, v98
	v_dual_mul_f32 v23, v189, v109 :: v_dual_fma_f32 v13, v178, v98, -v13
	v_dual_add_f32 v7, v7, v25 :: v_dual_add_f32 v9, v9, v11
	v_dual_mul_f32 v31, v182, v103 :: v_dual_mul_f32 v33, v184, v105
	s_wait_loadcnt_dscnt 0x701
	v_dual_mul_f32 v11, v191, v111 :: v_dual_fmac_f32 v29, v181, v100
	s_delay_alu instid0(VALU_DEP_3) | instskip(NEXT) | instid1(VALU_DEP_3)
	v_dual_fma_f32 v15, v180, v100, -v15 :: v_dual_add_f32 v7, v7, v27
	v_dual_add_f32 v9, v9, v13 :: v_dual_fmac_f32 v31, v183, v102
	v_dual_mul_f32 v13, v193, v113 :: v_dual_fma_f32 v17, v182, v102, -v17
	s_delay_alu instid0(VALU_DEP_2) | instskip(SKIP_3) | instid1(VALU_DEP_3)
	v_dual_add_f32 v7, v7, v29 :: v_dual_add_f32 v9, v9, v15
	v_dual_mul_f32 v35, v186, v107 :: v_dual_mul_f32 v37, v188, v109
	s_wait_loadcnt_dscnt 0x600
	v_dual_mul_f32 v15, v195, v115 :: v_dual_fmac_f32 v33, v185, v104
	v_dual_fma_f32 v19, v184, v104, -v19 :: v_dual_add_f32 v7, v7, v31
	s_delay_alu instid0(VALU_DEP_3) | instskip(SKIP_1) | instid1(VALU_DEP_2)
	v_dual_add_f32 v9, v9, v17 :: v_dual_fmac_f32 v35, v187, v106
	v_dual_mul_f32 v17, v197, v117 :: v_dual_fma_f32 v21, v186, v106, -v21
	v_dual_add_f32 v7, v7, v33 :: v_dual_add_f32 v9, v9, v19
	v_dual_mul_f32 v39, v190, v111 :: v_dual_mul_f32 v41, v192, v113
	s_wait_loadcnt 0x5
	v_dual_mul_f32 v19, v163, v119 :: v_dual_fmac_f32 v37, v189, v108
	s_delay_alu instid0(VALU_DEP_3) | instskip(NEXT) | instid1(VALU_DEP_3)
	v_dual_fma_f32 v23, v188, v108, -v23 :: v_dual_add_f32 v7, v7, v35
	v_dual_add_f32 v9, v9, v21 :: v_dual_fmac_f32 v39, v191, v110
	v_dual_mul_f32 v21, v165, v121 :: v_dual_fma_f32 v11, v190, v110, -v11
	s_delay_alu instid0(VALU_DEP_2) | instskip(SKIP_1) | instid1(VALU_DEP_2)
	v_dual_add_f32 v7, v7, v37 :: v_dual_add_f32 v9, v9, v23
	v_dual_mul_f32 v43, v194, v115 :: v_dual_mul_f32 v45, v196, v117
	v_dual_fmac_f32 v41, v193, v112 :: v_dual_add_f32 v7, v7, v39
	s_delay_alu instid0(VALU_DEP_3) | instskip(SKIP_1) | instid1(VALU_DEP_3)
	v_dual_fma_f32 v13, v192, v112, -v13 :: v_dual_add_f32 v9, v9, v11
	s_wait_loadcnt 0x4
	v_dual_mov_b32 v80, v125 :: v_dual_fmac_f32 v43, v195, v114
	s_delay_alu instid0(VALU_DEP_3) | instskip(NEXT) | instid1(VALU_DEP_3)
	v_dual_fma_f32 v11, v194, v114, -v15 :: v_dual_add_f32 v7, v7, v41
	v_dual_add_f32 v9, v9, v13 :: v_dual_fma_f32 v13, v196, v116, -v17
	v_dual_mul_f32 v209, v162, v119 :: v_dual_mul_f32 v211, v164, v121
	s_delay_alu instid0(VALU_DEP_3) | instskip(NEXT) | instid1(VALU_DEP_2)
	v_dual_fmac_f32 v45, v197, v116 :: v_dual_add_f32 v7, v7, v43
	v_dual_add_f32 v9, v9, v11 :: v_dual_fmac_f32 v209, v163, v118
	v_pk_mul_f32 v[78:79], v[138:139], v[122:123] op_sel:[1,1] op_sel_hi:[0,1]
	s_wait_loadcnt 0x3
	v_dual_mov_b32 v84, v129 :: v_dual_fma_f32 v208, v162, v118, -v19
	v_dual_add_f32 v87, v7, v45 :: v_dual_fmac_f32 v211, v165, v120
	v_dual_add_f32 v86, v9, v13 :: v_dual_fma_f32 v210, v164, v120, -v21
	v_pk_fma_f32 v[88:89], v[138:139], v[122:123], v[78:79] op_sel_hi:[1,0,1]
	v_pk_mul_f32 v[80:81], v[200:201], v[80:81] op_sel_hi:[1,0]
	v_pk_fma_f32 v[78:79], v[138:139], v[122:123], v[78:79] neg_lo:[0,0,1] neg_hi:[0,0,1]
	s_delay_alu instid0(VALU_DEP_4)
	v_pk_add_f32 v[86:87], v[86:87], v[208:209]
	v_pk_mul_f32 v[82:83], v[142:143], v[126:127] op_sel:[1,1] op_sel_hi:[0,1]
	v_mov_b32_e32 v79, v89
	v_pk_fma_f32 v[88:89], v[140:141], v[124:125], v[80:81] op_sel_hi:[1,0,1]
	v_pk_fma_f32 v[80:81], v[140:141], v[124:125], v[80:81] neg_lo:[0,0,1] neg_hi:[0,0,1]
	v_pk_add_f32 v[86:87], v[86:87], v[210:211]
	v_pk_fma_f32 v[92:93], v[142:143], v[126:127], v[82:83] op_sel_hi:[1,0,1]
	v_pk_mul_f32 v[84:85], v[202:203], v[84:85] op_sel_hi:[1,0]
	v_mov_b32_e32 v81, v89
	s_wait_loadcnt 0x2
	v_pk_mul_f32 v[90:91], v[146:147], v[130:131] op_sel:[1,1] op_sel_hi:[0,1]
	v_pk_add_f32 v[78:79], v[86:87], v[78:79]
	v_mov_b32_e32 v86, v133
	v_pk_fma_f32 v[82:83], v[142:143], v[126:127], v[82:83] neg_lo:[0,0,1] neg_hi:[0,0,1]
	v_mov_b32_e32 v83, v93
	v_pk_fma_f32 v[88:89], v[144:145], v[128:129], v[84:85] op_sel_hi:[1,0,1]
	v_pk_add_f32 v[78:79], v[78:79], v[80:81]
	v_pk_fma_f32 v[80:81], v[146:147], v[130:131], v[90:91] op_sel_hi:[1,0,1]
	v_pk_mul_f32 v[86:87], v[204:205], v[86:87] op_sel_hi:[1,0]
	v_pk_fma_f32 v[84:85], v[144:145], v[128:129], v[84:85] neg_lo:[0,0,1] neg_hi:[0,0,1]
	v_mov_b32_e32 v85, v89
	v_pk_add_f32 v[78:79], v[78:79], v[82:83]
	v_pk_fma_f32 v[88:89], v[146:147], v[130:131], v[90:91] neg_lo:[0,0,1] neg_hi:[0,0,1]
	v_mov_b32_e32 v89, v81
	v_pk_fma_f32 v[80:81], v[148:149], v[132:133], v[86:87] op_sel_hi:[1,0,1]
	s_wait_loadcnt 0x1
	v_pk_mul_f32 v[82:83], v[150:151], v[134:135] op_sel:[1,1] op_sel_hi:[0,1]
	v_pk_add_f32 v[78:79], v[78:79], v[84:85]
	v_mov_b32_e32 v80, v137
	v_pk_fma_f32 v[86:87], v[148:149], v[132:133], v[86:87] neg_lo:[0,0,1] neg_hi:[0,0,1]
	v_mov_b32_e32 v87, v81
	v_pk_fma_f32 v[84:85], v[150:151], v[134:135], v[82:83] op_sel_hi:[1,0,1]
	v_pk_add_f32 v[78:79], v[78:79], v[88:89]
	v_pk_mul_f32 v[80:81], v[206:207], v[80:81] op_sel_hi:[1,0]
	v_pk_fma_f32 v[82:83], v[150:151], v[134:135], v[82:83] neg_lo:[0,0,1] neg_hi:[0,0,1]
	s_delay_alu instid0(VALU_DEP_4) | instskip(NEXT) | instid1(VALU_DEP_4)
	v_mov_b32_e32 v83, v85
	v_pk_add_f32 v[78:79], v[78:79], v[86:87]
	s_delay_alu instid0(VALU_DEP_4) | instskip(SKIP_1) | instid1(VALU_DEP_2)
	v_pk_fma_f32 v[84:85], v[152:153], v[136:137], v[80:81] op_sel_hi:[1,0,1]
	v_pk_fma_f32 v[80:81], v[152:153], v[136:137], v[80:81] neg_lo:[0,0,1] neg_hi:[0,0,1]
	v_mov_b32_e32 v81, v85
	s_delay_alu instid0(VALU_DEP_4) | instskip(NEXT) | instid1(VALU_DEP_1)
	v_pk_add_f32 v[78:79], v[78:79], v[82:83]
	v_pk_add_f32 v[78:79], v[78:79], v[80:81]
	s_wait_loadcnt 0x0
	s_delay_alu instid0(VALU_DEP_1)
	v_pk_add_f32 v[78:79], v[198:199], v[78:79] neg_lo:[0,1] neg_hi:[0,1]
	scratch_store_b64 off, v[78:79], off offset:56
	s_wait_xcnt 0x0
	v_cmpx_lt_u32_e32 6, v0
	s_cbranch_execz .LBB101_229
; %bb.228:
	scratch_load_b64 v[78:79], off, off offset:48
	v_mov_b64_e32 v[80:81], 0
	scratch_store_b64 off, v[80:81], off offset:48
	s_wait_loadcnt 0x0
	ds_store_b64 v1, v[78:79]
.LBB101_229:
	s_wait_xcnt 0x0
	s_or_b32 exec_lo, exec_lo, s0
	s_wait_storecnt_dscnt 0x0
	s_barrier_signal -1
	s_barrier_wait -1
	s_clause 0x10
	scratch_load_b128 v[78:81], off, off offset:56
	scratch_load_b128 v[82:85], off, off offset:72
	;; [unrolled: 1-line block ×15, first 2 shown]
	scratch_load_b64 v[198:199], off, off offset:296
	scratch_load_b64 v[200:201], off, off offset:48
	v_mov_b32_e32 v7, 0
	ds_load_2addr_b64 v[138:141], v7 offset0:67 offset1:68
	ds_load_2addr_b64 v[142:145], v7 offset0:69 offset1:70
	ds_load_2addr_b64 v[146:149], v7 offset0:71 offset1:72
	ds_load_2addr_b64 v[150:153], v7 offset0:73 offset1:74
	ds_load_2addr_b64 v[154:157], v7 offset0:45 offset1:46
	ds_load_2addr_b64 v[158:161], v7 offset0:65 offset1:66
	ds_load_2addr_b64 v[162:165], v7 offset0:47 offset1:48
	ds_load_2addr_b64 v[166:169], v7 offset0:49 offset1:50
	ds_load_2addr_b64 v[170:173], v7 offset0:51 offset1:52
	ds_load_2addr_b64 v[174:177], v7 offset0:53 offset1:54
	ds_load_2addr_b64 v[178:181], v7 offset0:55 offset1:56
	ds_load_2addr_b64 v[182:185], v7 offset0:57 offset1:58
	ds_load_2addr_b64 v[186:189], v7 offset0:59 offset1:60
	ds_load_2addr_b64 v[190:193], v7 offset0:61 offset1:62
	ds_load_2addr_b64 v[194:197], v7 offset0:63 offset1:64
	ds_load_b64 v[202:203], v7 offset:600
	s_mov_b32 s0, exec_lo
	s_wait_dscnt 0xf
	v_dual_mov_b32 v204, v141 :: v_dual_mov_b32 v205, v140
	s_wait_dscnt 0xc
	v_dual_mov_b32 v206, v145 :: v_dual_mov_b32 v211, v152
	v_dual_mov_b32 v207, v144 :: v_dual_mov_b32 v208, v149
	v_dual_mov_b32 v209, v148 :: v_dual_mov_b32 v210, v153
	s_wait_loadcnt_dscnt 0x100b
	v_dual_mul_f32 v9, v154, v79 :: v_dual_mul_f32 v51, v155, v79
	v_dual_mul_f32 v53, v157, v81 :: v_dual_mul_f32 v11, v156, v81
	s_wait_loadcnt_dscnt 0xf09
	v_mul_f32_e32 v13, v162, v83
	s_wait_loadcnt_dscnt 0xd07
	v_dual_mul_f32 v63, v171, v91 :: v_dual_fma_f32 v51, v154, v78, -v51
	v_dual_fmac_f32 v9, v155, v78 :: v_dual_mul_f32 v65, v173, v93
	v_dual_mul_f32 v55, v163, v83 :: v_dual_mul_f32 v57, v165, v85
	v_dual_fmac_f32 v11, v157, v80 :: v_dual_fma_f32 v53, v156, v80, -v53
	s_delay_alu instid0(VALU_DEP_3) | instskip(SKIP_3) | instid1(VALU_DEP_3)
	v_dual_add_f32 v9, 0, v9 :: v_dual_add_f32 v51, 0, v51
	v_dual_mul_f32 v15, v164, v85 :: v_dual_mul_f32 v17, v166, v87
	s_wait_loadcnt_dscnt 0xc06
	v_dual_mul_f32 v67, v175, v95 :: v_dual_fma_f32 v55, v162, v82, -v55
	v_dual_fmac_f32 v13, v163, v82 :: v_dual_add_f32 v9, v9, v11
	s_delay_alu instid0(VALU_DEP_3) | instskip(SKIP_2) | instid1(VALU_DEP_3)
	v_dual_add_f32 v11, v51, v53 :: v_dual_fmac_f32 v15, v165, v84
	v_dual_mul_f32 v59, v167, v87 :: v_dual_mul_f32 v61, v169, v89
	v_dual_mul_f32 v51, v177, v97 :: v_dual_fma_f32 v53, v164, v84, -v57
	v_dual_add_f32 v9, v9, v13 :: v_dual_add_f32 v11, v11, v55
	v_dual_mul_f32 v19, v168, v89 :: v_dual_mul_f32 v21, v170, v91
	s_wait_loadcnt_dscnt 0xb05
	v_dual_mul_f32 v13, v179, v99 :: v_dual_fma_f32 v55, v166, v86, -v59
	s_delay_alu instid0(VALU_DEP_3) | instskip(NEXT) | instid1(VALU_DEP_3)
	v_dual_fmac_f32 v17, v167, v86 :: v_dual_add_f32 v9, v9, v15
	v_dual_add_f32 v11, v11, v53 :: v_dual_fmac_f32 v19, v169, v88
	v_dual_mul_f32 v15, v181, v101 :: v_dual_fma_f32 v53, v168, v88, -v61
	s_delay_alu instid0(VALU_DEP_2) | instskip(SKIP_3) | instid1(VALU_DEP_3)
	v_dual_add_f32 v9, v9, v17 :: v_dual_add_f32 v11, v11, v55
	v_dual_mul_f32 v23, v172, v93 :: v_dual_mul_f32 v25, v174, v95
	s_wait_loadcnt_dscnt 0xa04
	v_dual_mul_f32 v17, v183, v103 :: v_dual_fma_f32 v55, v170, v90, -v63
	v_dual_fmac_f32 v21, v171, v90 :: v_dual_add_f32 v9, v9, v19
	s_delay_alu instid0(VALU_DEP_3) | instskip(SKIP_1) | instid1(VALU_DEP_2)
	v_dual_add_f32 v11, v11, v53 :: v_dual_fmac_f32 v23, v173, v92
	v_dual_mul_f32 v19, v185, v105 :: v_dual_fma_f32 v53, v172, v92, -v65
	v_dual_add_f32 v9, v9, v21 :: v_dual_add_f32 v11, v11, v55
	v_dual_mul_f32 v27, v176, v97 :: v_dual_mul_f32 v29, v178, v99
	s_wait_loadcnt_dscnt 0x903
	v_dual_mul_f32 v21, v187, v107 :: v_dual_fma_f32 v55, v174, v94, -v67
	s_delay_alu instid0(VALU_DEP_3) | instskip(NEXT) | instid1(VALU_DEP_3)
	v_dual_fmac_f32 v25, v175, v94 :: v_dual_add_f32 v9, v9, v23
	v_dual_add_f32 v11, v11, v53 :: v_dual_fmac_f32 v27, v177, v96
	v_dual_mul_f32 v23, v189, v109 :: v_dual_fma_f32 v51, v176, v96, -v51
	s_delay_alu instid0(VALU_DEP_2) | instskip(SKIP_3) | instid1(VALU_DEP_3)
	v_dual_add_f32 v9, v9, v25 :: v_dual_add_f32 v11, v11, v55
	v_dual_mul_f32 v31, v180, v101 :: v_dual_mul_f32 v33, v182, v103
	s_wait_loadcnt_dscnt 0x802
	v_dual_mul_f32 v25, v191, v111 :: v_dual_fma_f32 v13, v178, v98, -v13
	v_dual_fmac_f32 v29, v179, v98 :: v_dual_add_f32 v9, v9, v27
	v_dual_add_f32 v11, v11, v51 :: v_dual_mul_f32 v27, v193, v113
	v_fmac_f32_e32 v31, v181, v100
	s_delay_alu instid0(VALU_DEP_3) | instskip(NEXT) | instid1(VALU_DEP_3)
	v_dual_fma_f32 v15, v180, v100, -v15 :: v_dual_add_f32 v9, v9, v29
	v_add_f32_e32 v11, v11, v13
	v_dual_mul_f32 v35, v184, v105 :: v_dual_mul_f32 v37, v186, v107
	s_wait_loadcnt_dscnt 0x701
	v_dual_mul_f32 v13, v195, v115 :: v_dual_fma_f32 v17, v182, v102, -v17
	v_dual_fmac_f32 v33, v183, v102 :: v_dual_add_f32 v9, v9, v31
	v_dual_add_f32 v11, v11, v15 :: v_dual_mul_f32 v15, v197, v117
	v_fmac_f32_e32 v35, v185, v104
	s_delay_alu instid0(VALU_DEP_3) | instskip(NEXT) | instid1(VALU_DEP_3)
	v_dual_fma_f32 v19, v184, v104, -v19 :: v_dual_add_f32 v9, v9, v33
	v_add_f32_e32 v11, v11, v17
	v_dual_mul_f32 v39, v188, v109 :: v_dual_mul_f32 v41, v190, v111
	s_wait_loadcnt 0x6
	v_dual_mul_f32 v17, v159, v119 :: v_dual_fma_f32 v21, v186, v106, -v21
	v_dual_fmac_f32 v37, v187, v106 :: v_dual_add_f32 v9, v9, v35
	v_dual_add_f32 v11, v11, v19 :: v_dual_mul_f32 v19, v161, v121
	v_fmac_f32_e32 v39, v189, v108
	s_delay_alu instid0(VALU_DEP_3) | instskip(NEXT) | instid1(VALU_DEP_3)
	v_dual_fma_f32 v23, v188, v108, -v23 :: v_dual_add_f32 v9, v9, v37
	v_add_f32_e32 v11, v11, v21
	v_dual_mul_f32 v43, v192, v113 :: v_dual_mul_f32 v45, v194, v115
	s_wait_loadcnt 0x5
	v_dual_mul_f32 v21, v139, v123 :: v_dual_fma_f32 v25, v190, v110, -v25
	v_dual_fmac_f32 v41, v191, v110 :: v_dual_add_f32 v9, v9, v39
	v_dual_add_f32 v11, v11, v23 :: v_dual_mov_b32 v78, v125
	v_fmac_f32_e32 v43, v193, v112
	s_delay_alu instid0(VALU_DEP_3) | instskip(NEXT) | instid1(VALU_DEP_3)
	v_dual_fma_f32 v23, v192, v112, -v27 :: v_dual_add_f32 v9, v9, v41
	v_add_f32_e32 v11, v11, v25
	v_dual_mul_f32 v47, v196, v117 :: v_dual_mul_f32 v49, v158, v119
	s_delay_alu instid0(VALU_DEP_3) | instskip(NEXT) | instid1(VALU_DEP_3)
	v_dual_fmac_f32 v45, v195, v114 :: v_dual_add_f32 v9, v9, v43
	v_dual_fma_f32 v13, v194, v114, -v13 :: v_dual_add_f32 v11, v11, v23
	s_wait_loadcnt 0x4
	v_dual_mov_b32 v82, v129 :: v_dual_fma_f32 v15, v196, v116, -v15
	v_fmac_f32_e32 v47, v197, v116
	v_dual_add_f32 v9, v9, v45 :: v_dual_fmac_f32 v49, v159, v118
	v_add_f32_e32 v11, v11, v13
	v_dual_mul_f32 v213, v160, v121 :: v_dual_mul_f32 v215, v138, v123
	s_delay_alu instid0(VALU_DEP_3) | instskip(NEXT) | instid1(VALU_DEP_2)
	v_dual_fma_f32 v13, v158, v118, -v17 :: v_dual_add_f32 v9, v9, v47
	v_dual_add_f32 v11, v11, v15 :: v_dual_fmac_f32 v213, v161, v120
	v_fma_f32 v212, v160, v120, -v19
	v_pk_mul_f32 v[78:79], v[204:205], v[78:79] op_sel_hi:[1,0]
	s_delay_alu instid0(VALU_DEP_4)
	v_add_f32_e32 v87, v9, v49
	s_wait_loadcnt 0x3
	v_dual_add_f32 v86, v11, v13 :: v_dual_mov_b32 v88, v133
	v_pk_mul_f32 v[80:81], v[142:143], v[126:127] op_sel:[1,1] op_sel_hi:[0,1]
	v_dual_fmac_f32 v215, v139, v122 :: v_dual_fma_f32 v214, v138, v122, -v21
	v_pk_fma_f32 v[90:91], v[140:141], v[124:125], v[78:79] op_sel_hi:[1,0,1]
	s_delay_alu instid0(VALU_DEP_4)
	v_pk_add_f32 v[86:87], v[86:87], v[212:213]
	v_pk_fma_f32 v[78:79], v[140:141], v[124:125], v[78:79] neg_lo:[0,0,1] neg_hi:[0,0,1]
	v_pk_fma_f32 v[92:93], v[142:143], v[126:127], v[80:81] op_sel_hi:[1,0,1]
	v_pk_mul_f32 v[82:83], v[206:207], v[82:83] op_sel_hi:[1,0]
	v_mov_b32_e32 v79, v91
	v_pk_add_f32 v[86:87], v[86:87], v[214:215]
	v_pk_fma_f32 v[80:81], v[142:143], v[126:127], v[80:81] neg_lo:[0,0,1] neg_hi:[0,0,1]
	v_pk_mul_f32 v[84:85], v[146:147], v[130:131] op_sel:[1,1] op_sel_hi:[0,1]
	v_mov_b32_e32 v81, v93
	v_pk_fma_f32 v[92:93], v[144:145], v[128:129], v[82:83] op_sel_hi:[1,0,1]
	v_pk_add_f32 v[78:79], v[86:87], v[78:79]
	v_pk_fma_f32 v[82:83], v[144:145], v[128:129], v[82:83] neg_lo:[0,0,1] neg_hi:[0,0,1]
	v_pk_fma_f32 v[86:87], v[146:147], v[130:131], v[84:85] op_sel_hi:[1,0,1]
	v_pk_mul_f32 v[88:89], v[208:209], v[88:89] op_sel_hi:[1,0]
	v_mov_b32_e32 v83, v93
	v_pk_add_f32 v[78:79], v[78:79], v[80:81]
	v_pk_fma_f32 v[84:85], v[146:147], v[130:131], v[84:85] neg_lo:[0,0,1] neg_hi:[0,0,1]
	s_wait_loadcnt 0x2
	v_pk_mul_f32 v[90:91], v[150:151], v[134:135] op_sel:[1,1] op_sel_hi:[0,1]
	v_dual_mov_b32 v80, v137 :: v_dual_mov_b32 v85, v87
	v_pk_fma_f32 v[86:87], v[148:149], v[132:133], v[88:89] op_sel_hi:[1,0,1]
	v_pk_add_f32 v[78:79], v[78:79], v[82:83]
	v_pk_fma_f32 v[88:89], v[148:149], v[132:133], v[88:89] neg_lo:[0,0,1] neg_hi:[0,0,1]
	v_pk_fma_f32 v[82:83], v[150:151], v[134:135], v[90:91] op_sel_hi:[1,0,1]
	v_pk_mul_f32 v[80:81], v[210:211], v[80:81] op_sel_hi:[1,0]
	v_mov_b32_e32 v89, v87
	v_pk_add_f32 v[78:79], v[78:79], v[84:85]
	v_pk_fma_f32 v[84:85], v[150:151], v[134:135], v[90:91] neg_lo:[0,0,1] neg_hi:[0,0,1]
	v_mov_b32_e32 v85, v83
	v_pk_fma_f32 v[82:83], v[152:153], v[136:137], v[80:81] op_sel_hi:[1,0,1]
	s_wait_loadcnt_dscnt 0x100
	v_pk_mul_f32 v[86:87], v[202:203], v[198:199] op_sel:[1,1] op_sel_hi:[0,1]
	v_pk_add_f32 v[78:79], v[78:79], v[88:89]
	v_pk_fma_f32 v[80:81], v[152:153], v[136:137], v[80:81] neg_lo:[0,0,1] neg_hi:[0,0,1]
	v_mov_b32_e32 v81, v83
	s_delay_alu instid0(VALU_DEP_4) | instskip(NEXT) | instid1(VALU_DEP_4)
	v_pk_fma_f32 v[82:83], v[202:203], v[198:199], v[86:87] op_sel_hi:[1,0,1]
	v_pk_add_f32 v[78:79], v[78:79], v[84:85]
	v_pk_fma_f32 v[84:85], v[202:203], v[198:199], v[86:87] neg_lo:[0,0,1] neg_hi:[0,0,1]
	s_delay_alu instid0(VALU_DEP_3) | instskip(NEXT) | instid1(VALU_DEP_3)
	v_mov_b32_e32 v85, v83
	v_pk_add_f32 v[78:79], v[78:79], v[80:81]
	s_delay_alu instid0(VALU_DEP_1) | instskip(SKIP_1) | instid1(VALU_DEP_1)
	v_pk_add_f32 v[78:79], v[78:79], v[84:85]
	s_wait_loadcnt 0x0
	v_pk_add_f32 v[78:79], v[200:201], v[78:79] neg_lo:[0,1] neg_hi:[0,1]
	scratch_store_b64 off, v[78:79], off offset:48
	s_wait_xcnt 0x0
	v_cmpx_lt_u32_e32 5, v0
	s_cbranch_execz .LBB101_231
; %bb.230:
	scratch_load_b64 v[78:79], off, off offset:40
	v_mov_b64_e32 v[80:81], 0
	scratch_store_b64 off, v[80:81], off offset:40
	s_wait_loadcnt 0x0
	ds_store_b64 v1, v[78:79]
.LBB101_231:
	s_wait_xcnt 0x0
	s_or_b32 exec_lo, exec_lo, s0
	s_wait_storecnt_dscnt 0x0
	s_barrier_signal -1
	s_barrier_wait -1
	s_clause 0x10
	scratch_load_b128 v[78:81], off, off offset:48
	scratch_load_b128 v[82:85], off, off offset:64
	;; [unrolled: 1-line block ×16, first 2 shown]
	scratch_load_b64 v[206:207], off, off offset:40
	ds_load_b128 v[142:145], v7 offset:544
	ds_load_b128 v[146:149], v7 offset:560
	;; [unrolled: 1-line block ×16, first 2 shown]
	s_mov_b32 s0, exec_lo
	s_wait_dscnt 0xf
	v_dual_mov_b32 v208, v145 :: v_dual_mov_b32 v209, v144
	s_wait_dscnt 0xe
	v_dual_mov_b32 v210, v149 :: v_dual_mov_b32 v211, v148
	;; [unrolled: 2-line block ×4, first 2 shown]
	s_wait_loadcnt_dscnt 0x100b
	v_dual_mul_f32 v7, v158, v79 :: v_dual_mul_f32 v9, v160, v81
	v_dual_mul_f32 v51, v159, v79 :: v_dual_mul_f32 v53, v161, v81
	s_wait_loadcnt_dscnt 0xf0a
	v_dual_mul_f32 v11, v162, v83 :: v_dual_mul_f32 v13, v164, v85
	s_delay_alu instid0(VALU_DEP_3) | instskip(SKIP_3) | instid1(VALU_DEP_3)
	v_dual_fmac_f32 v7, v159, v78 :: v_dual_fmac_f32 v9, v161, v80
	s_wait_loadcnt_dscnt 0xd08
	v_dual_fma_f32 v51, v158, v78, -v51 :: v_dual_mul_f32 v63, v171, v91
	v_dual_mul_f32 v55, v163, v83 :: v_dual_mul_f32 v57, v165, v85
	v_dual_fma_f32 v53, v160, v80, -v53 :: v_dual_add_f32 v7, 0, v7
	s_delay_alu instid0(VALU_DEP_3) | instskip(SKIP_1) | instid1(VALU_DEP_3)
	v_dual_add_f32 v51, 0, v51 :: v_dual_mul_f32 v65, v173, v93
	v_dual_fmac_f32 v11, v163, v82 :: v_dual_fmac_f32 v13, v165, v84
	v_dual_fma_f32 v55, v162, v82, -v55 :: v_dual_add_f32 v7, v7, v9
	s_delay_alu instid0(VALU_DEP_3) | instskip(SKIP_2) | instid1(VALU_DEP_4)
	v_dual_add_f32 v9, v51, v53 :: v_dual_fma_f32 v53, v164, v84, -v57
	v_dual_mul_f32 v15, v166, v87 :: v_dual_mul_f32 v17, v168, v89
	v_dual_mul_f32 v59, v167, v87 :: v_dual_mul_f32 v61, v169, v89
	v_add_f32_e32 v7, v7, v11
	s_delay_alu instid0(VALU_DEP_3) | instskip(NEXT) | instid1(VALU_DEP_3)
	v_dual_add_f32 v9, v9, v55 :: v_dual_fmac_f32 v15, v167, v86
	v_fma_f32 v55, v166, v86, -v59
	v_dual_mul_f32 v19, v170, v91 :: v_dual_mul_f32 v21, v172, v93
	s_delay_alu instid0(VALU_DEP_4) | instskip(SKIP_2) | instid1(VALU_DEP_2)
	v_dual_add_f32 v7, v7, v13 :: v_dual_fmac_f32 v17, v169, v88
	s_wait_loadcnt_dscnt 0xb06
	v_dual_add_f32 v9, v9, v53 :: v_dual_mul_f32 v13, v179, v99
	v_dual_fma_f32 v53, v168, v88, -v61 :: v_dual_add_f32 v7, v7, v15
	v_mul_f32_e32 v15, v181, v101
	s_delay_alu instid0(VALU_DEP_3) | instskip(NEXT) | instid1(VALU_DEP_3)
	v_dual_add_f32 v9, v9, v55 :: v_dual_fmac_f32 v19, v171, v90
	v_dual_fma_f32 v55, v170, v90, -v63 :: v_dual_add_f32 v7, v7, v17
	v_fmac_f32_e32 v21, v173, v92
	s_wait_loadcnt_dscnt 0xa05
	s_delay_alu instid0(VALU_DEP_3) | instskip(SKIP_3) | instid1(VALU_DEP_3)
	v_dual_add_f32 v9, v9, v53 :: v_dual_mul_f32 v17, v183, v103
	v_dual_mul_f32 v23, v174, v95 :: v_dual_mul_f32 v25, v176, v97
	v_dual_mul_f32 v51, v175, v95 :: v_dual_mul_f32 v11, v177, v97
	v_dual_fma_f32 v53, v172, v92, -v65 :: v_dual_add_f32 v7, v7, v19
	v_dual_add_f32 v9, v9, v55 :: v_dual_fmac_f32 v23, v175, v94
	s_delay_alu instid0(VALU_DEP_3) | instskip(NEXT) | instid1(VALU_DEP_3)
	v_dual_mul_f32 v19, v185, v105 :: v_dual_fma_f32 v51, v174, v94, -v51
	v_dual_add_f32 v7, v7, v21 :: v_dual_fmac_f32 v25, v177, v96
	s_wait_loadcnt_dscnt 0x904
	s_delay_alu instid0(VALU_DEP_3) | instskip(SKIP_1) | instid1(VALU_DEP_3)
	v_dual_add_f32 v9, v9, v53 :: v_dual_mul_f32 v21, v187, v107
	v_dual_mul_f32 v27, v178, v99 :: v_dual_mul_f32 v29, v180, v101
	v_dual_fma_f32 v11, v176, v96, -v11 :: v_dual_add_f32 v7, v7, v23
	s_delay_alu instid0(VALU_DEP_2) | instskip(SKIP_1) | instid1(VALU_DEP_2)
	v_dual_add_f32 v9, v9, v51 :: v_dual_fmac_f32 v27, v179, v98
	v_dual_mul_f32 v23, v189, v109 :: v_dual_fma_f32 v13, v178, v98, -v13
	v_dual_add_f32 v7, v7, v25 :: v_dual_add_f32 v9, v9, v11
	v_dual_mul_f32 v31, v182, v103 :: v_dual_mul_f32 v33, v184, v105
	s_wait_loadcnt_dscnt 0x803
	v_dual_mul_f32 v11, v191, v111 :: v_dual_fmac_f32 v29, v181, v100
	s_delay_alu instid0(VALU_DEP_3) | instskip(NEXT) | instid1(VALU_DEP_3)
	v_dual_fma_f32 v15, v180, v100, -v15 :: v_dual_add_f32 v7, v7, v27
	v_dual_add_f32 v9, v9, v13 :: v_dual_fmac_f32 v31, v183, v102
	v_dual_mul_f32 v13, v193, v113 :: v_dual_fma_f32 v17, v182, v102, -v17
	s_delay_alu instid0(VALU_DEP_2) | instskip(SKIP_3) | instid1(VALU_DEP_3)
	v_dual_add_f32 v7, v7, v29 :: v_dual_add_f32 v9, v9, v15
	v_dual_mul_f32 v35, v186, v107 :: v_dual_mul_f32 v37, v188, v109
	s_wait_loadcnt_dscnt 0x702
	v_dual_mul_f32 v15, v195, v115 :: v_dual_fmac_f32 v33, v185, v104
	v_dual_fma_f32 v19, v184, v104, -v19 :: v_dual_add_f32 v7, v7, v31
	s_delay_alu instid0(VALU_DEP_3) | instskip(SKIP_1) | instid1(VALU_DEP_2)
	v_dual_add_f32 v9, v9, v17 :: v_dual_fmac_f32 v35, v187, v106
	v_dual_mul_f32 v17, v197, v117 :: v_dual_fma_f32 v21, v186, v106, -v21
	v_dual_add_f32 v7, v7, v33 :: v_dual_add_f32 v9, v9, v19
	v_dual_mul_f32 v39, v190, v111 :: v_dual_mul_f32 v41, v192, v113
	s_wait_loadcnt_dscnt 0x601
	v_dual_mul_f32 v19, v199, v119 :: v_dual_fmac_f32 v37, v189, v108
	s_delay_alu instid0(VALU_DEP_3) | instskip(NEXT) | instid1(VALU_DEP_3)
	v_dual_fma_f32 v23, v188, v108, -v23 :: v_dual_add_f32 v7, v7, v35
	v_dual_add_f32 v9, v9, v21 :: v_dual_fmac_f32 v39, v191, v110
	v_dual_mul_f32 v21, v201, v121 :: v_dual_fma_f32 v11, v190, v110, -v11
	s_delay_alu instid0(VALU_DEP_2) | instskip(SKIP_3) | instid1(VALU_DEP_3)
	v_dual_add_f32 v7, v7, v37 :: v_dual_add_f32 v9, v9, v23
	v_dual_mul_f32 v43, v194, v115 :: v_dual_mul_f32 v45, v196, v117
	s_wait_loadcnt_dscnt 0x500
	v_dual_mul_f32 v23, v203, v123 :: v_dual_fmac_f32 v41, v193, v112
	v_dual_fma_f32 v13, v192, v112, -v13 :: v_dual_add_f32 v7, v7, v39
	s_delay_alu instid0(VALU_DEP_3) | instskip(SKIP_1) | instid1(VALU_DEP_3)
	v_dual_add_f32 v9, v9, v11 :: v_dual_fmac_f32 v43, v195, v114
	v_dual_mul_f32 v11, v205, v125 :: v_dual_fma_f32 v15, v194, v114, -v15
	v_dual_add_f32 v7, v7, v41 :: v_dual_fmac_f32 v45, v197, v116
	s_delay_alu instid0(VALU_DEP_3) | instskip(SKIP_2) | instid1(VALU_DEP_3)
	v_dual_add_f32 v9, v9, v13 :: v_dual_fma_f32 v13, v196, v116, -v17
	v_dual_mul_f32 v47, v198, v119 :: v_dual_mul_f32 v49, v200, v121
	s_wait_loadcnt 0x4
	v_dual_add_f32 v7, v7, v43 :: v_dual_mov_b32 v80, v129
	s_delay_alu instid0(VALU_DEP_2) | instskip(NEXT) | instid1(VALU_DEP_2)
	v_dual_add_f32 v9, v9, v15 :: v_dual_fmac_f32 v47, v199, v118
	v_dual_fma_f32 v15, v198, v118, -v19 :: v_dual_add_f32 v7, v7, v45
	v_dual_mul_f32 v217, v202, v123 :: v_dual_mul_f32 v219, v204, v125
	s_delay_alu instid0(VALU_DEP_3) | instskip(NEXT) | instid1(VALU_DEP_3)
	v_dual_add_f32 v9, v9, v13 :: v_dual_fma_f32 v13, v200, v120, -v21
	v_dual_fmac_f32 v49, v201, v120 :: v_dual_add_f32 v7, v7, v47
	v_pk_mul_f32 v[78:79], v[142:143], v[126:127] op_sel:[1,1] op_sel_hi:[0,1]
	s_delay_alu instid0(VALU_DEP_3) | instskip(SKIP_3) | instid1(VALU_DEP_3)
	v_dual_add_f32 v9, v9, v15 :: v_dual_fmac_f32 v217, v203, v122
	s_wait_loadcnt 0x3
	v_dual_mov_b32 v84, v133 :: v_dual_fma_f32 v216, v202, v122, -v23
	v_dual_add_f32 v87, v7, v49 :: v_dual_fmac_f32 v219, v205, v124
	v_dual_add_f32 v86, v9, v13 :: v_dual_fma_f32 v218, v204, v124, -v11
	v_pk_fma_f32 v[88:89], v[142:143], v[126:127], v[78:79] op_sel_hi:[1,0,1]
	v_pk_mul_f32 v[80:81], v[208:209], v[80:81] op_sel_hi:[1,0]
	v_pk_fma_f32 v[78:79], v[142:143], v[126:127], v[78:79] neg_lo:[0,0,1] neg_hi:[0,0,1]
	s_delay_alu instid0(VALU_DEP_4)
	v_pk_add_f32 v[86:87], v[86:87], v[216:217]
	v_pk_mul_f32 v[82:83], v[146:147], v[130:131] op_sel:[1,1] op_sel_hi:[0,1]
	v_mov_b32_e32 v79, v89
	v_pk_fma_f32 v[88:89], v[144:145], v[128:129], v[80:81] op_sel_hi:[1,0,1]
	v_pk_fma_f32 v[80:81], v[144:145], v[128:129], v[80:81] neg_lo:[0,0,1] neg_hi:[0,0,1]
	v_pk_add_f32 v[86:87], v[86:87], v[218:219]
	v_pk_fma_f32 v[92:93], v[146:147], v[130:131], v[82:83] op_sel_hi:[1,0,1]
	v_pk_mul_f32 v[84:85], v[210:211], v[84:85] op_sel_hi:[1,0]
	v_mov_b32_e32 v81, v89
	s_wait_loadcnt 0x2
	v_pk_mul_f32 v[90:91], v[150:151], v[134:135] op_sel:[1,1] op_sel_hi:[0,1]
	v_pk_add_f32 v[78:79], v[86:87], v[78:79]
	v_mov_b32_e32 v86, v137
	v_pk_fma_f32 v[82:83], v[146:147], v[130:131], v[82:83] neg_lo:[0,0,1] neg_hi:[0,0,1]
	v_mov_b32_e32 v83, v93
	v_pk_fma_f32 v[88:89], v[148:149], v[132:133], v[84:85] op_sel_hi:[1,0,1]
	v_pk_add_f32 v[78:79], v[78:79], v[80:81]
	v_pk_fma_f32 v[80:81], v[150:151], v[134:135], v[90:91] op_sel_hi:[1,0,1]
	v_pk_mul_f32 v[86:87], v[212:213], v[86:87] op_sel_hi:[1,0]
	v_pk_fma_f32 v[84:85], v[148:149], v[132:133], v[84:85] neg_lo:[0,0,1] neg_hi:[0,0,1]
	v_mov_b32_e32 v85, v89
	v_pk_add_f32 v[78:79], v[78:79], v[82:83]
	v_pk_fma_f32 v[88:89], v[150:151], v[134:135], v[90:91] neg_lo:[0,0,1] neg_hi:[0,0,1]
	v_mov_b32_e32 v89, v81
	v_pk_fma_f32 v[80:81], v[152:153], v[136:137], v[86:87] op_sel_hi:[1,0,1]
	s_wait_loadcnt 0x1
	v_pk_mul_f32 v[82:83], v[154:155], v[138:139] op_sel:[1,1] op_sel_hi:[0,1]
	v_pk_add_f32 v[78:79], v[78:79], v[84:85]
	v_mov_b32_e32 v80, v141
	v_pk_fma_f32 v[86:87], v[152:153], v[136:137], v[86:87] neg_lo:[0,0,1] neg_hi:[0,0,1]
	v_mov_b32_e32 v87, v81
	v_pk_fma_f32 v[84:85], v[154:155], v[138:139], v[82:83] op_sel_hi:[1,0,1]
	v_pk_add_f32 v[78:79], v[78:79], v[88:89]
	v_pk_mul_f32 v[80:81], v[214:215], v[80:81] op_sel_hi:[1,0]
	v_pk_fma_f32 v[82:83], v[154:155], v[138:139], v[82:83] neg_lo:[0,0,1] neg_hi:[0,0,1]
	s_delay_alu instid0(VALU_DEP_4) | instskip(NEXT) | instid1(VALU_DEP_4)
	v_mov_b32_e32 v83, v85
	v_pk_add_f32 v[78:79], v[78:79], v[86:87]
	s_delay_alu instid0(VALU_DEP_4) | instskip(SKIP_1) | instid1(VALU_DEP_2)
	v_pk_fma_f32 v[84:85], v[156:157], v[140:141], v[80:81] op_sel_hi:[1,0,1]
	v_pk_fma_f32 v[80:81], v[156:157], v[140:141], v[80:81] neg_lo:[0,0,1] neg_hi:[0,0,1]
	v_mov_b32_e32 v81, v85
	s_delay_alu instid0(VALU_DEP_4) | instskip(NEXT) | instid1(VALU_DEP_1)
	v_pk_add_f32 v[78:79], v[78:79], v[82:83]
	v_pk_add_f32 v[78:79], v[78:79], v[80:81]
	s_wait_loadcnt 0x0
	s_delay_alu instid0(VALU_DEP_1)
	v_pk_add_f32 v[78:79], v[206:207], v[78:79] neg_lo:[0,1] neg_hi:[0,1]
	scratch_store_b64 off, v[78:79], off offset:40
	s_wait_xcnt 0x0
	v_cmpx_lt_u32_e32 4, v0
	s_cbranch_execz .LBB101_233
; %bb.232:
	scratch_load_b64 v[78:79], off, off offset:32
	v_mov_b64_e32 v[80:81], 0
	scratch_store_b64 off, v[80:81], off offset:32
	s_wait_loadcnt 0x0
	ds_store_b64 v1, v[78:79]
.LBB101_233:
	s_wait_xcnt 0x0
	s_or_b32 exec_lo, exec_lo, s0
	s_wait_storecnt_dscnt 0x0
	s_barrier_signal -1
	s_barrier_wait -1
	s_clause 0x11
	scratch_load_b128 v[78:81], off, off offset:40
	scratch_load_b128 v[82:85], off, off offset:56
	;; [unrolled: 1-line block ×16, first 2 shown]
	scratch_load_b64 v[206:207], off, off offset:296
	scratch_load_b64 v[208:209], off, off offset:32
	v_mov_b32_e32 v7, 0
	ds_load_2addr_b64 v[142:145], v7 offset0:67 offset1:68
	ds_load_2addr_b64 v[146:149], v7 offset0:69 offset1:70
	;; [unrolled: 1-line block ×16, first 2 shown]
	ds_load_b64 v[210:211], v7 offset:600
	s_mov_b32 s0, exec_lo
	s_wait_dscnt 0x10
	v_dual_mov_b32 v212, v145 :: v_dual_mov_b32 v213, v144
	s_wait_dscnt 0xd
	v_dual_mov_b32 v214, v149 :: v_dual_mov_b32 v219, v156
	v_dual_mov_b32 v215, v148 :: v_dual_mov_b32 v216, v153
	;; [unrolled: 1-line block ×3, first 2 shown]
	s_wait_loadcnt_dscnt 0x110c
	v_dual_mul_f32 v9, v158, v79 :: v_dual_mul_f32 v55, v159, v79
	v_dual_mul_f32 v57, v161, v81 :: v_dual_mul_f32 v11, v160, v81
	s_wait_loadcnt_dscnt 0x100b
	v_mul_f32_e32 v13, v162, v83
	s_wait_loadcnt_dscnt 0xe09
	v_dual_mul_f32 v67, v171, v91 :: v_dual_fma_f32 v55, v158, v78, -v55
	v_dual_fmac_f32 v9, v159, v78 :: v_dual_mul_f32 v69, v173, v93
	v_dual_mul_f32 v59, v163, v83 :: v_dual_mul_f32 v61, v165, v85
	v_dual_fmac_f32 v11, v161, v80 :: v_dual_fma_f32 v57, v160, v80, -v57
	s_delay_alu instid0(VALU_DEP_3) | instskip(SKIP_3) | instid1(VALU_DEP_3)
	v_dual_add_f32 v9, 0, v9 :: v_dual_add_f32 v55, 0, v55
	v_dual_mul_f32 v15, v164, v85 :: v_dual_mul_f32 v17, v166, v87
	s_wait_loadcnt_dscnt 0xd08
	v_dual_mul_f32 v71, v175, v95 :: v_dual_fma_f32 v59, v162, v82, -v59
	v_dual_fmac_f32 v13, v163, v82 :: v_dual_add_f32 v9, v9, v11
	s_delay_alu instid0(VALU_DEP_3) | instskip(SKIP_2) | instid1(VALU_DEP_3)
	v_dual_add_f32 v11, v55, v57 :: v_dual_fmac_f32 v15, v165, v84
	v_dual_mul_f32 v63, v167, v87 :: v_dual_mul_f32 v65, v169, v89
	v_dual_mul_f32 v55, v177, v97 :: v_dual_fma_f32 v57, v164, v84, -v61
	v_dual_add_f32 v9, v9, v13 :: v_dual_add_f32 v11, v11, v59
	v_dual_mul_f32 v19, v168, v89 :: v_dual_mul_f32 v21, v170, v91
	s_wait_loadcnt_dscnt 0xc07
	v_dual_mul_f32 v13, v179, v99 :: v_dual_fma_f32 v59, v166, v86, -v63
	s_delay_alu instid0(VALU_DEP_3) | instskip(NEXT) | instid1(VALU_DEP_3)
	v_dual_fmac_f32 v17, v167, v86 :: v_dual_add_f32 v9, v9, v15
	v_dual_add_f32 v11, v11, v57 :: v_dual_fmac_f32 v19, v169, v88
	v_dual_mul_f32 v15, v181, v101 :: v_dual_fma_f32 v57, v168, v88, -v65
	s_delay_alu instid0(VALU_DEP_2) | instskip(SKIP_3) | instid1(VALU_DEP_3)
	v_dual_add_f32 v9, v9, v17 :: v_dual_add_f32 v11, v11, v59
	v_dual_mul_f32 v23, v172, v93 :: v_dual_mul_f32 v25, v174, v95
	s_wait_loadcnt_dscnt 0xb06
	v_dual_mul_f32 v17, v183, v103 :: v_dual_fma_f32 v59, v170, v90, -v67
	v_dual_fmac_f32 v21, v171, v90 :: v_dual_add_f32 v9, v9, v19
	s_delay_alu instid0(VALU_DEP_3) | instskip(SKIP_1) | instid1(VALU_DEP_2)
	v_dual_add_f32 v11, v11, v57 :: v_dual_fmac_f32 v23, v173, v92
	v_dual_mul_f32 v19, v185, v105 :: v_dual_fma_f32 v57, v172, v92, -v69
	v_dual_add_f32 v9, v9, v21 :: v_dual_add_f32 v11, v11, v59
	v_dual_mul_f32 v27, v176, v97 :: v_dual_mul_f32 v29, v178, v99
	s_wait_loadcnt_dscnt 0xa05
	v_dual_mul_f32 v21, v187, v107 :: v_dual_fma_f32 v59, v174, v94, -v71
	s_delay_alu instid0(VALU_DEP_3) | instskip(NEXT) | instid1(VALU_DEP_3)
	v_dual_fmac_f32 v25, v175, v94 :: v_dual_add_f32 v9, v9, v23
	v_dual_add_f32 v11, v11, v57 :: v_dual_fmac_f32 v27, v177, v96
	v_dual_mul_f32 v23, v189, v109 :: v_dual_fma_f32 v55, v176, v96, -v55
	s_delay_alu instid0(VALU_DEP_2) | instskip(SKIP_3) | instid1(VALU_DEP_3)
	v_dual_add_f32 v9, v9, v25 :: v_dual_add_f32 v11, v11, v59
	v_dual_mul_f32 v31, v180, v101 :: v_dual_mul_f32 v33, v182, v103
	s_wait_loadcnt_dscnt 0x904
	v_dual_mul_f32 v25, v191, v111 :: v_dual_fma_f32 v13, v178, v98, -v13
	v_dual_fmac_f32 v29, v179, v98 :: v_dual_add_f32 v9, v9, v27
	v_dual_add_f32 v11, v11, v55 :: v_dual_mul_f32 v27, v193, v113
	v_fmac_f32_e32 v31, v181, v100
	s_delay_alu instid0(VALU_DEP_3) | instskip(NEXT) | instid1(VALU_DEP_3)
	v_dual_fma_f32 v15, v180, v100, -v15 :: v_dual_add_f32 v9, v9, v29
	v_add_f32_e32 v11, v11, v13
	v_dual_mul_f32 v35, v184, v105 :: v_dual_mul_f32 v37, v186, v107
	s_wait_loadcnt_dscnt 0x803
	v_dual_mul_f32 v13, v195, v115 :: v_dual_fma_f32 v17, v182, v102, -v17
	v_dual_fmac_f32 v33, v183, v102 :: v_dual_add_f32 v9, v9, v31
	v_dual_add_f32 v11, v11, v15 :: v_dual_mul_f32 v15, v197, v117
	v_fmac_f32_e32 v35, v185, v104
	s_delay_alu instid0(VALU_DEP_3) | instskip(NEXT) | instid1(VALU_DEP_3)
	v_dual_fma_f32 v19, v184, v104, -v19 :: v_dual_add_f32 v9, v9, v33
	v_add_f32_e32 v11, v11, v17
	;; [unrolled: 9-line block ×4, first 2 shown]
	v_dual_mul_f32 v47, v196, v117 :: v_dual_mul_f32 v49, v198, v119
	s_wait_loadcnt 0x5
	v_dual_mul_f32 v25, v143, v127 :: v_dual_fma_f32 v13, v194, v114, -v13
	v_dual_fmac_f32 v45, v195, v114 :: v_dual_add_f32 v9, v9, v43
	v_dual_add_f32 v11, v11, v27 :: v_dual_mov_b32 v78, v129
	v_fmac_f32_e32 v47, v197, v116
	s_delay_alu instid0(VALU_DEP_3) | instskip(NEXT) | instid1(VALU_DEP_3)
	v_dual_fma_f32 v15, v196, v116, -v15 :: v_dual_add_f32 v9, v9, v45
	v_add_f32_e32 v11, v11, v13
	v_dual_mul_f32 v51, v200, v121 :: v_dual_mul_f32 v53, v202, v123
	s_delay_alu instid0(VALU_DEP_3) | instskip(NEXT) | instid1(VALU_DEP_3)
	v_dual_fmac_f32 v49, v199, v118 :: v_dual_add_f32 v9, v9, v47
	v_dual_fma_f32 v13, v198, v118, -v17 :: v_dual_add_f32 v11, v11, v15
	s_wait_loadcnt 0x4
	v_dual_mov_b32 v82, v133 :: v_dual_fma_f32 v15, v200, v120, -v19
	v_fmac_f32_e32 v51, v201, v120
	v_dual_add_f32 v9, v9, v49 :: v_dual_fmac_f32 v53, v203, v122
	v_add_f32_e32 v11, v11, v13
	v_dual_mul_f32 v221, v204, v125 :: v_dual_mul_f32 v223, v142, v127
	s_delay_alu instid0(VALU_DEP_3) | instskip(NEXT) | instid1(VALU_DEP_2)
	v_dual_fma_f32 v13, v202, v122, -v21 :: v_dual_add_f32 v9, v9, v51
	v_dual_add_f32 v11, v11, v15 :: v_dual_fmac_f32 v221, v205, v124
	v_fma_f32 v220, v204, v124, -v23
	v_pk_mul_f32 v[78:79], v[212:213], v[78:79] op_sel_hi:[1,0]
	s_delay_alu instid0(VALU_DEP_4)
	v_add_f32_e32 v87, v9, v53
	s_wait_loadcnt 0x3
	v_dual_add_f32 v86, v11, v13 :: v_dual_mov_b32 v88, v137
	v_pk_mul_f32 v[80:81], v[146:147], v[130:131] op_sel:[1,1] op_sel_hi:[0,1]
	v_dual_fmac_f32 v223, v143, v126 :: v_dual_fma_f32 v222, v142, v126, -v25
	v_pk_fma_f32 v[90:91], v[144:145], v[128:129], v[78:79] op_sel_hi:[1,0,1]
	s_delay_alu instid0(VALU_DEP_4)
	v_pk_add_f32 v[86:87], v[86:87], v[220:221]
	v_pk_fma_f32 v[78:79], v[144:145], v[128:129], v[78:79] neg_lo:[0,0,1] neg_hi:[0,0,1]
	v_pk_fma_f32 v[92:93], v[146:147], v[130:131], v[80:81] op_sel_hi:[1,0,1]
	v_pk_mul_f32 v[82:83], v[214:215], v[82:83] op_sel_hi:[1,0]
	v_mov_b32_e32 v79, v91
	v_pk_add_f32 v[86:87], v[86:87], v[222:223]
	v_pk_fma_f32 v[80:81], v[146:147], v[130:131], v[80:81] neg_lo:[0,0,1] neg_hi:[0,0,1]
	v_pk_mul_f32 v[84:85], v[150:151], v[134:135] op_sel:[1,1] op_sel_hi:[0,1]
	v_mov_b32_e32 v81, v93
	v_pk_fma_f32 v[92:93], v[148:149], v[132:133], v[82:83] op_sel_hi:[1,0,1]
	v_pk_add_f32 v[78:79], v[86:87], v[78:79]
	v_pk_fma_f32 v[82:83], v[148:149], v[132:133], v[82:83] neg_lo:[0,0,1] neg_hi:[0,0,1]
	v_pk_fma_f32 v[86:87], v[150:151], v[134:135], v[84:85] op_sel_hi:[1,0,1]
	v_pk_mul_f32 v[88:89], v[216:217], v[88:89] op_sel_hi:[1,0]
	v_mov_b32_e32 v83, v93
	v_pk_add_f32 v[78:79], v[78:79], v[80:81]
	v_pk_fma_f32 v[84:85], v[150:151], v[134:135], v[84:85] neg_lo:[0,0,1] neg_hi:[0,0,1]
	s_wait_loadcnt 0x2
	v_pk_mul_f32 v[90:91], v[154:155], v[138:139] op_sel:[1,1] op_sel_hi:[0,1]
	v_dual_mov_b32 v80, v141 :: v_dual_mov_b32 v85, v87
	v_pk_fma_f32 v[86:87], v[152:153], v[136:137], v[88:89] op_sel_hi:[1,0,1]
	v_pk_add_f32 v[78:79], v[78:79], v[82:83]
	v_pk_fma_f32 v[88:89], v[152:153], v[136:137], v[88:89] neg_lo:[0,0,1] neg_hi:[0,0,1]
	v_pk_fma_f32 v[82:83], v[154:155], v[138:139], v[90:91] op_sel_hi:[1,0,1]
	v_pk_mul_f32 v[80:81], v[218:219], v[80:81] op_sel_hi:[1,0]
	v_mov_b32_e32 v89, v87
	v_pk_add_f32 v[78:79], v[78:79], v[84:85]
	v_pk_fma_f32 v[84:85], v[154:155], v[138:139], v[90:91] neg_lo:[0,0,1] neg_hi:[0,0,1]
	v_mov_b32_e32 v85, v83
	v_pk_fma_f32 v[82:83], v[156:157], v[140:141], v[80:81] op_sel_hi:[1,0,1]
	s_wait_loadcnt_dscnt 0x100
	v_pk_mul_f32 v[86:87], v[210:211], v[206:207] op_sel:[1,1] op_sel_hi:[0,1]
	v_pk_add_f32 v[78:79], v[78:79], v[88:89]
	v_pk_fma_f32 v[80:81], v[156:157], v[140:141], v[80:81] neg_lo:[0,0,1] neg_hi:[0,0,1]
	v_mov_b32_e32 v81, v83
	s_delay_alu instid0(VALU_DEP_4) | instskip(NEXT) | instid1(VALU_DEP_4)
	v_pk_fma_f32 v[82:83], v[210:211], v[206:207], v[86:87] op_sel_hi:[1,0,1]
	v_pk_add_f32 v[78:79], v[78:79], v[84:85]
	v_pk_fma_f32 v[84:85], v[210:211], v[206:207], v[86:87] neg_lo:[0,0,1] neg_hi:[0,0,1]
	s_delay_alu instid0(VALU_DEP_3) | instskip(NEXT) | instid1(VALU_DEP_3)
	v_mov_b32_e32 v85, v83
	v_pk_add_f32 v[78:79], v[78:79], v[80:81]
	s_delay_alu instid0(VALU_DEP_1) | instskip(SKIP_1) | instid1(VALU_DEP_1)
	v_pk_add_f32 v[78:79], v[78:79], v[84:85]
	s_wait_loadcnt 0x0
	v_pk_add_f32 v[78:79], v[208:209], v[78:79] neg_lo:[0,1] neg_hi:[0,1]
	scratch_store_b64 off, v[78:79], off offset:32
	s_wait_xcnt 0x0
	v_cmpx_lt_u32_e32 3, v0
	s_cbranch_execz .LBB101_235
; %bb.234:
	scratch_load_b64 v[78:79], off, off offset:24
	v_mov_b64_e32 v[80:81], 0
	scratch_store_b64 off, v[80:81], off offset:24
	s_wait_loadcnt 0x0
	ds_store_b64 v1, v[78:79]
.LBB101_235:
	s_wait_xcnt 0x0
	s_or_b32 exec_lo, exec_lo, s0
	s_wait_storecnt_dscnt 0x0
	s_barrier_signal -1
	s_barrier_wait -1
	s_clause 0x11
	scratch_load_b128 v[78:81], off, off offset:32
	scratch_load_b128 v[82:85], off, off offset:48
	;; [unrolled: 1-line block ×17, first 2 shown]
	scratch_load_b64 v[214:215], off, off offset:24
	ds_load_b128 v[146:149], v7 offset:544
	ds_load_b128 v[150:153], v7 offset:560
	;; [unrolled: 1-line block ×17, first 2 shown]
	s_mov_b32 s0, exec_lo
	s_wait_dscnt 0x10
	v_dual_mov_b32 v216, v149 :: v_dual_mov_b32 v217, v148
	s_wait_dscnt 0xf
	v_dual_mov_b32 v218, v153 :: v_dual_mov_b32 v219, v152
	;; [unrolled: 2-line block ×4, first 2 shown]
	s_wait_loadcnt_dscnt 0x110b
	v_dual_mul_f32 v7, v166, v79 :: v_dual_mul_f32 v9, v168, v81
	v_dual_mul_f32 v55, v167, v79 :: v_dual_mul_f32 v57, v169, v81
	s_wait_loadcnt_dscnt 0x100a
	v_dual_mul_f32 v11, v170, v83 :: v_dual_mul_f32 v13, v172, v85
	s_delay_alu instid0(VALU_DEP_3) | instskip(SKIP_3) | instid1(VALU_DEP_3)
	v_dual_fmac_f32 v7, v167, v78 :: v_dual_fmac_f32 v9, v169, v80
	s_wait_loadcnt_dscnt 0xe08
	v_dual_fma_f32 v55, v166, v78, -v55 :: v_dual_mul_f32 v67, v179, v91
	v_dual_mul_f32 v59, v171, v83 :: v_dual_mul_f32 v61, v173, v85
	v_dual_fma_f32 v57, v168, v80, -v57 :: v_dual_add_f32 v7, 0, v7
	s_delay_alu instid0(VALU_DEP_3) | instskip(SKIP_1) | instid1(VALU_DEP_3)
	v_dual_add_f32 v55, 0, v55 :: v_dual_mul_f32 v69, v181, v93
	v_dual_fmac_f32 v11, v171, v82 :: v_dual_fmac_f32 v13, v173, v84
	v_dual_fma_f32 v59, v170, v82, -v59 :: v_dual_add_f32 v7, v7, v9
	s_delay_alu instid0(VALU_DEP_3) | instskip(SKIP_2) | instid1(VALU_DEP_4)
	v_dual_add_f32 v9, v55, v57 :: v_dual_fma_f32 v57, v172, v84, -v61
	v_dual_mul_f32 v15, v174, v87 :: v_dual_mul_f32 v17, v176, v89
	v_dual_mul_f32 v63, v175, v87 :: v_dual_mul_f32 v65, v177, v89
	v_add_f32_e32 v7, v7, v11
	s_delay_alu instid0(VALU_DEP_3) | instskip(NEXT) | instid1(VALU_DEP_3)
	v_dual_add_f32 v9, v9, v59 :: v_dual_fmac_f32 v15, v175, v86
	v_fma_f32 v59, v174, v86, -v63
	v_dual_mul_f32 v19, v178, v91 :: v_dual_mul_f32 v21, v180, v93
	s_delay_alu instid0(VALU_DEP_4) | instskip(SKIP_2) | instid1(VALU_DEP_2)
	v_dual_add_f32 v7, v7, v13 :: v_dual_fmac_f32 v17, v177, v88
	s_wait_loadcnt_dscnt 0xc06
	v_dual_add_f32 v9, v9, v57 :: v_dual_mul_f32 v13, v187, v99
	v_dual_fma_f32 v57, v176, v88, -v65 :: v_dual_add_f32 v7, v7, v15
	v_mul_f32_e32 v15, v189, v101
	s_delay_alu instid0(VALU_DEP_3) | instskip(NEXT) | instid1(VALU_DEP_3)
	v_dual_add_f32 v9, v9, v59 :: v_dual_fmac_f32 v19, v179, v90
	v_dual_fma_f32 v59, v178, v90, -v67 :: v_dual_add_f32 v7, v7, v17
	v_fmac_f32_e32 v21, v181, v92
	s_wait_loadcnt_dscnt 0xb05
	s_delay_alu instid0(VALU_DEP_3) | instskip(SKIP_3) | instid1(VALU_DEP_3)
	v_dual_add_f32 v9, v9, v57 :: v_dual_mul_f32 v17, v191, v103
	v_dual_mul_f32 v23, v182, v95 :: v_dual_mul_f32 v25, v184, v97
	v_dual_mul_f32 v55, v183, v95 :: v_dual_mul_f32 v11, v185, v97
	v_dual_fma_f32 v57, v180, v92, -v69 :: v_dual_add_f32 v7, v7, v19
	v_dual_add_f32 v9, v9, v59 :: v_dual_fmac_f32 v23, v183, v94
	s_delay_alu instid0(VALU_DEP_3) | instskip(NEXT) | instid1(VALU_DEP_3)
	v_dual_mul_f32 v19, v193, v105 :: v_dual_fma_f32 v55, v182, v94, -v55
	v_dual_add_f32 v7, v7, v21 :: v_dual_fmac_f32 v25, v185, v96
	s_wait_loadcnt_dscnt 0xa04
	s_delay_alu instid0(VALU_DEP_3) | instskip(SKIP_1) | instid1(VALU_DEP_3)
	v_dual_add_f32 v9, v9, v57 :: v_dual_mul_f32 v21, v195, v107
	v_dual_mul_f32 v27, v186, v99 :: v_dual_mul_f32 v29, v188, v101
	v_dual_fma_f32 v11, v184, v96, -v11 :: v_dual_add_f32 v7, v7, v23
	s_delay_alu instid0(VALU_DEP_2) | instskip(SKIP_1) | instid1(VALU_DEP_2)
	v_dual_add_f32 v9, v9, v55 :: v_dual_fmac_f32 v27, v187, v98
	v_dual_mul_f32 v23, v197, v109 :: v_dual_fma_f32 v13, v186, v98, -v13
	v_dual_add_f32 v7, v7, v25 :: v_dual_add_f32 v9, v9, v11
	v_dual_mul_f32 v31, v190, v103 :: v_dual_mul_f32 v33, v192, v105
	s_wait_loadcnt_dscnt 0x903
	v_dual_mul_f32 v11, v199, v111 :: v_dual_fmac_f32 v29, v189, v100
	s_delay_alu instid0(VALU_DEP_3) | instskip(NEXT) | instid1(VALU_DEP_3)
	v_dual_fma_f32 v15, v188, v100, -v15 :: v_dual_add_f32 v7, v7, v27
	v_dual_add_f32 v9, v9, v13 :: v_dual_fmac_f32 v31, v191, v102
	v_dual_mul_f32 v13, v201, v113 :: v_dual_fma_f32 v17, v190, v102, -v17
	s_delay_alu instid0(VALU_DEP_2) | instskip(SKIP_3) | instid1(VALU_DEP_3)
	v_dual_add_f32 v7, v7, v29 :: v_dual_add_f32 v9, v9, v15
	v_dual_mul_f32 v35, v194, v107 :: v_dual_mul_f32 v37, v196, v109
	s_wait_loadcnt_dscnt 0x802
	v_dual_mul_f32 v15, v203, v115 :: v_dual_fmac_f32 v33, v193, v104
	v_dual_fma_f32 v19, v192, v104, -v19 :: v_dual_add_f32 v7, v7, v31
	s_delay_alu instid0(VALU_DEP_3) | instskip(SKIP_1) | instid1(VALU_DEP_2)
	v_dual_add_f32 v9, v9, v17 :: v_dual_fmac_f32 v35, v195, v106
	v_dual_mul_f32 v17, v205, v117 :: v_dual_fma_f32 v21, v194, v106, -v21
	v_dual_add_f32 v7, v7, v33 :: v_dual_add_f32 v9, v9, v19
	v_dual_mul_f32 v39, v198, v111 :: v_dual_mul_f32 v41, v200, v113
	s_wait_loadcnt_dscnt 0x701
	v_dual_mul_f32 v19, v207, v119 :: v_dual_fmac_f32 v37, v197, v108
	s_delay_alu instid0(VALU_DEP_3) | instskip(NEXT) | instid1(VALU_DEP_3)
	v_dual_fma_f32 v23, v196, v108, -v23 :: v_dual_add_f32 v7, v7, v35
	v_dual_add_f32 v9, v9, v21 :: v_dual_fmac_f32 v39, v199, v110
	v_dual_mul_f32 v21, v209, v121 :: v_dual_fma_f32 v11, v198, v110, -v11
	s_delay_alu instid0(VALU_DEP_2) | instskip(SKIP_3) | instid1(VALU_DEP_3)
	v_dual_add_f32 v7, v7, v37 :: v_dual_add_f32 v9, v9, v23
	v_dual_mul_f32 v43, v202, v115 :: v_dual_mul_f32 v45, v204, v117
	s_wait_loadcnt_dscnt 0x600
	v_dual_mul_f32 v23, v211, v123 :: v_dual_fmac_f32 v41, v201, v112
	v_dual_fma_f32 v13, v200, v112, -v13 :: v_dual_add_f32 v7, v7, v39
	s_delay_alu instid0(VALU_DEP_3) | instskip(SKIP_1) | instid1(VALU_DEP_3)
	v_dual_add_f32 v9, v9, v11 :: v_dual_fmac_f32 v43, v203, v114
	v_dual_mul_f32 v11, v213, v125 :: v_dual_fma_f32 v15, v202, v114, -v15
	v_dual_add_f32 v7, v7, v41 :: v_dual_fmac_f32 v45, v205, v116
	s_wait_loadcnt 0x5
	s_delay_alu instid0(VALU_DEP_3) | instskip(SKIP_1) | instid1(VALU_DEP_3)
	v_dual_add_f32 v9, v9, v13 :: v_dual_mul_f32 v13, v163, v127
	v_dual_mul_f32 v47, v206, v119 :: v_dual_mul_f32 v49, v208, v121
	v_dual_fma_f32 v17, v204, v116, -v17 :: v_dual_add_f32 v7, v7, v43
	s_delay_alu instid0(VALU_DEP_2) | instskip(SKIP_1) | instid1(VALU_DEP_3)
	v_dual_add_f32 v9, v9, v15 :: v_dual_fmac_f32 v47, v207, v118
	v_dual_mul_f32 v15, v165, v129 :: v_dual_fma_f32 v19, v206, v118, -v19
	v_dual_add_f32 v7, v7, v45 :: v_dual_fmac_f32 v49, v209, v120
	s_delay_alu instid0(VALU_DEP_3) | instskip(SKIP_2) | instid1(VALU_DEP_3)
	v_dual_add_f32 v9, v9, v17 :: v_dual_fma_f32 v17, v208, v120, -v21
	v_dual_mul_f32 v51, v210, v123 :: v_dual_mul_f32 v53, v212, v125
	s_wait_loadcnt 0x4
	v_dual_add_f32 v7, v7, v47 :: v_dual_mov_b32 v80, v133
	s_delay_alu instid0(VALU_DEP_2) | instskip(NEXT) | instid1(VALU_DEP_2)
	v_dual_add_f32 v9, v9, v19 :: v_dual_fmac_f32 v51, v211, v122
	v_dual_fma_f32 v19, v210, v122, -v23 :: v_dual_add_f32 v7, v7, v49
	v_dual_mul_f32 v225, v162, v127 :: v_dual_mul_f32 v227, v164, v129
	s_delay_alu instid0(VALU_DEP_3) | instskip(NEXT) | instid1(VALU_DEP_3)
	v_dual_add_f32 v9, v9, v17 :: v_dual_fma_f32 v11, v212, v124, -v11
	v_dual_fmac_f32 v53, v213, v124 :: v_dual_add_f32 v7, v7, v51
	v_pk_mul_f32 v[78:79], v[146:147], v[130:131] op_sel:[1,1] op_sel_hi:[0,1]
	s_delay_alu instid0(VALU_DEP_3) | instskip(SKIP_2) | instid1(VALU_DEP_2)
	v_dual_add_f32 v9, v9, v19 :: v_dual_fmac_f32 v225, v163, v126
	s_wait_loadcnt 0x3
	v_dual_mov_b32 v84, v137 :: v_dual_fma_f32 v224, v162, v126, -v13
	v_dual_add_f32 v87, v7, v53 :: v_dual_add_f32 v86, v9, v11
	v_fmac_f32_e32 v227, v165, v128
	v_pk_fma_f32 v[88:89], v[146:147], v[130:131], v[78:79] op_sel_hi:[1,0,1]
	v_fma_f32 v226, v164, v128, -v15
	v_pk_mul_f32 v[80:81], v[216:217], v[80:81] op_sel_hi:[1,0]
	v_pk_add_f32 v[86:87], v[86:87], v[224:225]
	v_pk_fma_f32 v[78:79], v[146:147], v[130:131], v[78:79] neg_lo:[0,0,1] neg_hi:[0,0,1]
	v_pk_mul_f32 v[82:83], v[150:151], v[134:135] op_sel:[1,1] op_sel_hi:[0,1]
	v_mov_b32_e32 v79, v89
	v_pk_fma_f32 v[88:89], v[148:149], v[132:133], v[80:81] op_sel_hi:[1,0,1]
	v_pk_add_f32 v[86:87], v[86:87], v[226:227]
	v_pk_fma_f32 v[80:81], v[148:149], v[132:133], v[80:81] neg_lo:[0,0,1] neg_hi:[0,0,1]
	v_pk_fma_f32 v[92:93], v[150:151], v[134:135], v[82:83] op_sel_hi:[1,0,1]
	v_pk_mul_f32 v[84:85], v[218:219], v[84:85] op_sel_hi:[1,0]
	v_mov_b32_e32 v81, v89
	v_pk_add_f32 v[78:79], v[86:87], v[78:79]
	s_wait_loadcnt 0x2
	v_pk_mul_f32 v[90:91], v[154:155], v[138:139] op_sel:[1,1] op_sel_hi:[0,1]
	v_mov_b32_e32 v86, v141
	v_pk_fma_f32 v[82:83], v[150:151], v[134:135], v[82:83] neg_lo:[0,0,1] neg_hi:[0,0,1]
	v_pk_fma_f32 v[88:89], v[152:153], v[136:137], v[84:85] op_sel_hi:[1,0,1]
	v_mov_b32_e32 v83, v93
	v_pk_add_f32 v[78:79], v[78:79], v[80:81]
	v_pk_fma_f32 v[80:81], v[154:155], v[138:139], v[90:91] op_sel_hi:[1,0,1]
	v_pk_mul_f32 v[86:87], v[220:221], v[86:87] op_sel_hi:[1,0]
	v_pk_fma_f32 v[84:85], v[152:153], v[136:137], v[84:85] neg_lo:[0,0,1] neg_hi:[0,0,1]
	v_mov_b32_e32 v85, v89
	v_pk_add_f32 v[78:79], v[78:79], v[82:83]
	v_pk_fma_f32 v[88:89], v[154:155], v[138:139], v[90:91] neg_lo:[0,0,1] neg_hi:[0,0,1]
	v_mov_b32_e32 v89, v81
	v_pk_fma_f32 v[80:81], v[156:157], v[140:141], v[86:87] op_sel_hi:[1,0,1]
	s_wait_loadcnt 0x1
	v_pk_mul_f32 v[82:83], v[158:159], v[142:143] op_sel:[1,1] op_sel_hi:[0,1]
	v_pk_add_f32 v[78:79], v[78:79], v[84:85]
	v_mov_b32_e32 v80, v145
	v_pk_fma_f32 v[86:87], v[156:157], v[140:141], v[86:87] neg_lo:[0,0,1] neg_hi:[0,0,1]
	s_delay_alu instid0(VALU_DEP_4)
	v_pk_fma_f32 v[84:85], v[158:159], v[142:143], v[82:83] op_sel_hi:[1,0,1]
	v_mov_b32_e32 v87, v81
	v_pk_add_f32 v[78:79], v[78:79], v[88:89]
	v_pk_mul_f32 v[80:81], v[222:223], v[80:81] op_sel_hi:[1,0]
	v_pk_fma_f32 v[82:83], v[158:159], v[142:143], v[82:83] neg_lo:[0,0,1] neg_hi:[0,0,1]
	v_mov_b32_e32 v83, v85
	s_delay_alu instid0(VALU_DEP_4) | instskip(NEXT) | instid1(VALU_DEP_4)
	v_pk_add_f32 v[78:79], v[78:79], v[86:87]
	v_pk_fma_f32 v[84:85], v[160:161], v[144:145], v[80:81] op_sel_hi:[1,0,1]
	v_pk_fma_f32 v[80:81], v[160:161], v[144:145], v[80:81] neg_lo:[0,0,1] neg_hi:[0,0,1]
	s_delay_alu instid0(VALU_DEP_3) | instskip(NEXT) | instid1(VALU_DEP_3)
	v_pk_add_f32 v[78:79], v[78:79], v[82:83]
	v_mov_b32_e32 v81, v85
	s_delay_alu instid0(VALU_DEP_1) | instskip(SKIP_1) | instid1(VALU_DEP_1)
	v_pk_add_f32 v[78:79], v[78:79], v[80:81]
	s_wait_loadcnt 0x0
	v_pk_add_f32 v[78:79], v[214:215], v[78:79] neg_lo:[0,1] neg_hi:[0,1]
	scratch_store_b64 off, v[78:79], off offset:24
	s_wait_xcnt 0x0
	v_cmpx_lt_u32_e32 2, v0
	s_cbranch_execz .LBB101_237
; %bb.236:
	scratch_load_b64 v[78:79], off, off offset:16
	v_mov_b64_e32 v[80:81], 0
	scratch_store_b64 off, v[80:81], off offset:16
	s_wait_loadcnt 0x0
	ds_store_b64 v1, v[78:79]
.LBB101_237:
	s_wait_xcnt 0x0
	s_or_b32 exec_lo, exec_lo, s0
	s_wait_storecnt_dscnt 0x0
	s_barrier_signal -1
	s_barrier_wait -1
	s_clause 0x12
	scratch_load_b128 v[78:81], off, off offset:24
	scratch_load_b128 v[82:85], off, off offset:40
	;; [unrolled: 1-line block ×17, first 2 shown]
	scratch_load_b64 v[214:215], off, off offset:296
	scratch_load_b64 v[216:217], off, off offset:16
	v_mov_b32_e32 v57, 0
	ds_load_2addr_b64 v[146:149], v57 offset0:67 offset1:68
	ds_load_2addr_b64 v[150:153], v57 offset0:69 offset1:70
	;; [unrolled: 1-line block ×17, first 2 shown]
	ds_load_b64 v[218:219], v57 offset:600
	s_mov_b32 s0, exec_lo
	s_wait_dscnt 0x11
	v_dual_mov_b32 v220, v149 :: v_dual_mov_b32 v221, v148
	s_wait_dscnt 0x10
	v_dual_mov_b32 v222, v153 :: v_dual_mov_b32 v223, v152
	;; [unrolled: 2-line block ×3, first 2 shown]
	v_dual_mov_b32 v225, v156 :: v_dual_mov_b32 v226, v165
	s_wait_loadcnt_dscnt 0x120c
	v_dual_mul_f32 v7, v166, v79 :: v_dual_mul_f32 v59, v167, v79
	v_dual_mul_f32 v61, v169, v81 :: v_dual_mul_f32 v9, v168, v81
	s_wait_loadcnt_dscnt 0x110b
	v_mul_f32_e32 v11, v170, v83
	s_wait_loadcnt_dscnt 0xf09
	v_dual_mul_f32 v71, v179, v91 :: v_dual_fma_f32 v59, v166, v78, -v59
	v_dual_fmac_f32 v7, v167, v78 :: v_dual_mul_f32 v73, v181, v93
	v_dual_mul_f32 v63, v171, v83 :: v_dual_mul_f32 v65, v173, v85
	s_delay_alu instid0(VALU_DEP_2) | instskip(NEXT) | instid1(VALU_DEP_4)
	v_dual_fmac_f32 v9, v169, v80 :: v_dual_add_f32 v7, 0, v7
	v_dual_fma_f32 v61, v168, v80, -v61 :: v_dual_add_f32 v59, 0, v59
	v_dual_mul_f32 v13, v172, v85 :: v_dual_mul_f32 v15, v174, v87
	s_wait_loadcnt_dscnt 0xe08
	v_dual_mul_f32 v75, v183, v95 :: v_dual_fma_f32 v63, v170, v82, -v63
	v_fmac_f32_e32 v11, v171, v82
	s_delay_alu instid0(VALU_DEP_3) | instskip(SKIP_2) | instid1(VALU_DEP_3)
	v_dual_add_f32 v7, v7, v9 :: v_dual_fmac_f32 v13, v173, v84
	v_dual_add_f32 v9, v59, v61 :: v_dual_fma_f32 v61, v172, v84, -v65
	v_dual_mul_f32 v67, v175, v87 :: v_dual_mul_f32 v69, v177, v89
	v_dual_mul_f32 v59, v185, v97 :: v_dual_add_f32 v7, v7, v11
	s_delay_alu instid0(VALU_DEP_3) | instskip(SKIP_2) | instid1(VALU_DEP_2)
	v_dual_add_f32 v9, v9, v63 :: v_dual_fmac_f32 v15, v175, v86
	v_dual_mul_f32 v17, v176, v89 :: v_dual_mul_f32 v19, v178, v91
	s_wait_loadcnt_dscnt 0xd07
	v_dual_mul_f32 v11, v187, v99 :: v_dual_add_f32 v9, v9, v61
	v_dual_fma_f32 v63, v174, v86, -v67 :: v_dual_add_f32 v7, v7, v13
	s_delay_alu instid0(VALU_DEP_3) | instskip(SKIP_1) | instid1(VALU_DEP_3)
	v_fmac_f32_e32 v17, v177, v88
	v_dual_mul_f32 v13, v189, v101 :: v_dual_fma_f32 v61, v176, v88, -v69
	v_dual_add_f32 v9, v9, v63 :: v_dual_fmac_f32 v19, v179, v90
	s_delay_alu instid0(VALU_DEP_4) | instskip(SKIP_2) | instid1(VALU_DEP_3)
	v_dual_add_f32 v7, v7, v15 :: v_dual_fma_f32 v63, v178, v90, -v71
	v_dual_mul_f32 v21, v180, v93 :: v_dual_mul_f32 v23, v182, v95
	s_wait_loadcnt_dscnt 0xc06
	v_dual_mul_f32 v15, v191, v103 :: v_dual_add_f32 v9, v9, v61
	s_delay_alu instid0(VALU_DEP_2) | instskip(SKIP_1) | instid1(VALU_DEP_3)
	v_dual_add_f32 v7, v7, v17 :: v_dual_fmac_f32 v21, v181, v92
	v_dual_mul_f32 v17, v193, v105 :: v_dual_fma_f32 v61, v180, v92, -v73
	v_dual_add_f32 v9, v9, v63 :: v_dual_fmac_f32 v23, v183, v94
	s_delay_alu instid0(VALU_DEP_3) | instskip(SKIP_2) | instid1(VALU_DEP_3)
	v_dual_add_f32 v7, v7, v19 :: v_dual_fma_f32 v63, v182, v94, -v75
	v_dual_mul_f32 v25, v184, v97 :: v_dual_mul_f32 v27, v186, v99
	s_wait_loadcnt_dscnt 0xb05
	v_dual_mul_f32 v19, v195, v107 :: v_dual_add_f32 v9, v9, v61
	s_delay_alu instid0(VALU_DEP_2) | instskip(SKIP_1) | instid1(VALU_DEP_3)
	v_dual_add_f32 v7, v7, v21 :: v_dual_fmac_f32 v25, v185, v96
	v_dual_mul_f32 v21, v197, v109 :: v_dual_fma_f32 v59, v184, v96, -v59
	v_dual_add_f32 v9, v9, v63 :: v_dual_fmac_f32 v27, v187, v98
	s_delay_alu instid0(VALU_DEP_3) | instskip(SKIP_1) | instid1(VALU_DEP_2)
	v_dual_add_f32 v7, v7, v23 :: v_dual_fma_f32 v11, v186, v98, -v11
	v_dual_mul_f32 v29, v188, v101 :: v_dual_mul_f32 v31, v190, v103
	v_dual_add_f32 v9, v9, v59 :: v_dual_add_f32 v7, v7, v25
	v_fma_f32 v13, v188, v100, -v13
	s_delay_alu instid0(VALU_DEP_3) | instskip(SKIP_1) | instid1(VALU_DEP_4)
	v_dual_fmac_f32 v29, v189, v100 :: v_dual_mul_f32 v33, v192, v105
	v_mul_f32_e32 v35, v194, v107
	v_add_f32_e32 v7, v7, v27
	v_add_f32_e32 v9, v9, v11
	s_wait_loadcnt_dscnt 0x903
	v_dual_mul_f32 v11, v203, v115 :: v_dual_fma_f32 v15, v190, v102, -v15
	v_fmac_f32_e32 v31, v191, v102
	v_dual_add_f32 v7, v7, v29 :: v_dual_fmac_f32 v33, v193, v104
	v_add_f32_e32 v9, v9, v13
	v_dual_mul_f32 v13, v205, v117 :: v_dual_fma_f32 v17, v192, v104, -v17
	s_delay_alu instid0(VALU_DEP_3) | instskip(NEXT) | instid1(VALU_DEP_3)
	v_dual_add_f32 v7, v7, v31 :: v_dual_fma_f32 v19, v194, v106, -v19
	v_dual_add_f32 v9, v9, v15 :: v_dual_fmac_f32 v35, v195, v106
	v_dual_mul_f32 v37, v196, v109 :: v_dual_mul_f32 v39, v198, v111
	s_wait_loadcnt_dscnt 0x802
	s_delay_alu instid0(VALU_DEP_2) | instskip(NEXT) | instid1(VALU_DEP_2)
	v_dual_mul_f32 v15, v207, v119 :: v_dual_add_f32 v9, v9, v17
	v_dual_add_f32 v7, v7, v33 :: v_dual_fmac_f32 v37, v197, v108
	v_dual_mul_f32 v23, v199, v111 :: v_dual_mul_f32 v25, v201, v113
	v_dual_mul_f32 v17, v209, v121 :: v_dual_fma_f32 v21, v196, v108, -v21
	s_delay_alu instid0(VALU_DEP_2) | instskip(SKIP_3) | instid1(VALU_DEP_2)
	v_dual_add_f32 v7, v7, v35 :: v_dual_fma_f32 v23, v198, v110, -v23
	v_dual_add_f32 v9, v9, v19 :: v_dual_fmac_f32 v39, v199, v110
	v_dual_mul_f32 v41, v200, v113 :: v_dual_mul_f32 v43, v202, v115
	s_wait_loadcnt_dscnt 0x701
	v_dual_mul_f32 v19, v211, v123 :: v_dual_add_f32 v9, v9, v21
	s_delay_alu instid0(VALU_DEP_2) | instskip(SKIP_1) | instid1(VALU_DEP_3)
	v_dual_add_f32 v7, v7, v37 :: v_dual_fmac_f32 v41, v201, v112
	v_dual_mul_f32 v21, v213, v125 :: v_dual_fma_f32 v25, v200, v112, -v25
	v_dual_add_f32 v9, v9, v23 :: v_dual_fmac_f32 v43, v203, v114
	s_delay_alu instid0(VALU_DEP_3) | instskip(SKIP_2) | instid1(VALU_DEP_3)
	v_dual_add_f32 v7, v7, v39 :: v_dual_fma_f32 v11, v202, v114, -v11
	v_dual_mul_f32 v45, v204, v117 :: v_dual_mul_f32 v47, v206, v119
	s_wait_loadcnt 0x6
	v_dual_mul_f32 v23, v159, v127 :: v_dual_add_f32 v9, v9, v25
	s_delay_alu instid0(VALU_DEP_2) | instskip(SKIP_1) | instid1(VALU_DEP_3)
	v_dual_add_f32 v7, v7, v41 :: v_dual_fmac_f32 v45, v205, v116
	v_dual_mul_f32 v25, v161, v129 :: v_dual_fma_f32 v13, v204, v116, -v13
	v_dual_add_f32 v9, v9, v11 :: v_dual_fmac_f32 v47, v207, v118
	s_delay_alu instid0(VALU_DEP_3) | instskip(SKIP_2) | instid1(VALU_DEP_3)
	v_dual_add_f32 v7, v7, v43 :: v_dual_fma_f32 v15, v206, v118, -v15
	v_dual_mul_f32 v49, v208, v121 :: v_dual_mul_f32 v51, v210, v123
	s_wait_loadcnt 0x5
	v_dual_mul_f32 v11, v147, v131 :: v_dual_add_f32 v9, v9, v13
	s_delay_alu instid0(VALU_DEP_3) | instskip(NEXT) | instid1(VALU_DEP_3)
	v_dual_add_f32 v7, v7, v45 :: v_dual_mov_b32 v78, v133
	v_fmac_f32_e32 v49, v209, v120
	s_delay_alu instid0(VALU_DEP_3) | instskip(NEXT) | instid1(VALU_DEP_3)
	v_dual_fma_f32 v13, v208, v120, -v17 :: v_dual_add_f32 v9, v9, v15
	v_dual_add_f32 v7, v7, v47 :: v_dual_mul_f32 v53, v212, v125
	v_dual_mul_f32 v55, v158, v127 :: v_dual_fmac_f32 v51, v211, v122
	s_delay_alu instid0(VALU_DEP_3) | instskip(SKIP_1) | instid1(VALU_DEP_3)
	v_dual_add_f32 v9, v9, v13 :: v_dual_fma_f32 v15, v210, v122, -v19
	s_wait_loadcnt 0x4
	v_dual_add_f32 v7, v7, v49 :: v_dual_mov_b32 v82, v137
	v_fma_f32 v13, v212, v124, -v21
	v_fmac_f32_e32 v53, v213, v124
	v_dual_add_f32 v9, v9, v15 :: v_dual_fmac_f32 v55, v159, v126
	s_delay_alu instid0(VALU_DEP_4) | instskip(SKIP_1) | instid1(VALU_DEP_3)
	v_dual_add_f32 v7, v7, v51 :: v_dual_mul_f32 v229, v160, v129
	v_mul_f32_e32 v231, v146, v131
	v_dual_fma_f32 v15, v158, v126, -v23 :: v_dual_add_f32 v9, v9, v13
	s_delay_alu instid0(VALU_DEP_3) | instskip(NEXT) | instid1(VALU_DEP_4)
	v_dual_fma_f32 v228, v160, v128, -v25 :: v_dual_add_f32 v7, v7, v53
	v_fmac_f32_e32 v229, v161, v128
	v_pk_mul_f32 v[78:79], v[220:221], v[78:79] op_sel_hi:[1,0]
	s_delay_alu instid0(VALU_DEP_4) | instskip(NEXT) | instid1(VALU_DEP_4)
	v_dual_add_f32 v86, v9, v15 :: v_dual_fmac_f32 v231, v147, v130
	v_add_f32_e32 v87, v7, v55
	v_pk_mul_f32 v[80:81], v[150:151], v[134:135] op_sel:[1,1] op_sel_hi:[0,1]
	s_wait_loadcnt 0x3
	v_dual_mov_b32 v88, v141 :: v_dual_fma_f32 v230, v146, v130, -v11
	v_pk_fma_f32 v[90:91], v[148:149], v[132:133], v[78:79] op_sel_hi:[1,0,1]
	v_pk_add_f32 v[86:87], v[86:87], v[228:229]
	v_pk_fma_f32 v[78:79], v[148:149], v[132:133], v[78:79] neg_lo:[0,0,1] neg_hi:[0,0,1]
	v_pk_fma_f32 v[92:93], v[150:151], v[134:135], v[80:81] op_sel_hi:[1,0,1]
	v_pk_mul_f32 v[82:83], v[222:223], v[82:83] op_sel_hi:[1,0]
	v_mov_b32_e32 v79, v91
	v_pk_add_f32 v[86:87], v[86:87], v[230:231]
	v_pk_fma_f32 v[80:81], v[150:151], v[134:135], v[80:81] neg_lo:[0,0,1] neg_hi:[0,0,1]
	v_pk_mul_f32 v[84:85], v[154:155], v[138:139] op_sel:[1,1] op_sel_hi:[0,1]
	v_mov_b32_e32 v81, v93
	v_pk_fma_f32 v[92:93], v[152:153], v[136:137], v[82:83] op_sel_hi:[1,0,1]
	v_pk_add_f32 v[78:79], v[86:87], v[78:79]
	v_pk_fma_f32 v[82:83], v[152:153], v[136:137], v[82:83] neg_lo:[0,0,1] neg_hi:[0,0,1]
	v_pk_fma_f32 v[86:87], v[154:155], v[138:139], v[84:85] op_sel_hi:[1,0,1]
	v_pk_mul_f32 v[88:89], v[224:225], v[88:89] op_sel_hi:[1,0]
	v_mov_b32_e32 v83, v93
	v_pk_add_f32 v[78:79], v[78:79], v[80:81]
	v_pk_fma_f32 v[84:85], v[154:155], v[138:139], v[84:85] neg_lo:[0,0,1] neg_hi:[0,0,1]
	s_wait_loadcnt 0x2
	v_pk_mul_f32 v[90:91], v[162:163], v[142:143] op_sel:[1,1] op_sel_hi:[0,1]
	v_dual_mov_b32 v80, v145 :: v_dual_mov_b32 v85, v87
	v_pk_fma_f32 v[86:87], v[156:157], v[140:141], v[88:89] op_sel_hi:[1,0,1]
	v_pk_add_f32 v[78:79], v[78:79], v[82:83]
	v_pk_fma_f32 v[88:89], v[156:157], v[140:141], v[88:89] neg_lo:[0,0,1] neg_hi:[0,0,1]
	v_pk_fma_f32 v[82:83], v[162:163], v[142:143], v[90:91] op_sel_hi:[1,0,1]
	v_pk_mul_f32 v[80:81], v[226:227], v[80:81] op_sel_hi:[1,0]
	v_mov_b32_e32 v89, v87
	v_pk_add_f32 v[78:79], v[78:79], v[84:85]
	v_pk_fma_f32 v[84:85], v[162:163], v[142:143], v[90:91] neg_lo:[0,0,1] neg_hi:[0,0,1]
	v_mov_b32_e32 v85, v83
	v_pk_fma_f32 v[82:83], v[164:165], v[144:145], v[80:81] op_sel_hi:[1,0,1]
	s_wait_loadcnt_dscnt 0x100
	v_pk_mul_f32 v[86:87], v[218:219], v[214:215] op_sel:[1,1] op_sel_hi:[0,1]
	v_pk_add_f32 v[78:79], v[78:79], v[88:89]
	v_pk_fma_f32 v[80:81], v[164:165], v[144:145], v[80:81] neg_lo:[0,0,1] neg_hi:[0,0,1]
	v_mov_b32_e32 v81, v83
	s_delay_alu instid0(VALU_DEP_4) | instskip(NEXT) | instid1(VALU_DEP_4)
	v_pk_fma_f32 v[82:83], v[218:219], v[214:215], v[86:87] op_sel_hi:[1,0,1]
	v_pk_add_f32 v[78:79], v[78:79], v[84:85]
	v_pk_fma_f32 v[84:85], v[218:219], v[214:215], v[86:87] neg_lo:[0,0,1] neg_hi:[0,0,1]
	s_delay_alu instid0(VALU_DEP_3) | instskip(NEXT) | instid1(VALU_DEP_3)
	v_mov_b32_e32 v85, v83
	v_pk_add_f32 v[78:79], v[78:79], v[80:81]
	s_delay_alu instid0(VALU_DEP_1) | instskip(SKIP_1) | instid1(VALU_DEP_1)
	v_pk_add_f32 v[78:79], v[78:79], v[84:85]
	s_wait_loadcnt 0x0
	v_pk_add_f32 v[78:79], v[216:217], v[78:79] neg_lo:[0,1] neg_hi:[0,1]
	scratch_store_b64 off, v[78:79], off offset:16
	s_wait_xcnt 0x0
	v_cmpx_lt_u32_e32 1, v0
	s_cbranch_execz .LBB101_239
; %bb.238:
	scratch_load_b64 v[78:79], off, off offset:8
	v_mov_b64_e32 v[80:81], 0
	scratch_store_b64 off, v[80:81], off offset:8
	s_wait_loadcnt 0x0
	ds_store_b64 v1, v[78:79]
.LBB101_239:
	s_wait_xcnt 0x0
	s_or_b32 exec_lo, exec_lo, s0
	s_wait_storecnt_dscnt 0x0
	s_barrier_signal -1
	s_barrier_wait -1
	s_clause 0x12
	scratch_load_b128 v[78:81], off, off offset:16
	scratch_load_b128 v[82:85], off, off offset:32
	;; [unrolled: 1-line block ×18, first 2 shown]
	scratch_load_b64 v[222:223], off, off offset:8
	ds_load_b128 v[150:153], v57 offset:544
	ds_load_b128 v[154:157], v57 offset:560
	;; [unrolled: 1-line block ×18, first 2 shown]
	v_ashrrev_i32_e32 v55, 31, v54
	v_dual_ashrrev_i32 v7, 31, v6 :: v_dual_ashrrev_i32 v9, 31, v8
	v_dual_ashrrev_i32 v11, 31, v10 :: v_dual_ashrrev_i32 v13, 31, v12
	s_wait_dscnt 0xe
	v_dual_mov_b32 v231, v164 :: v_dual_mov_b32 v229, v160
	v_dual_mov_b32 v230, v165 :: v_dual_ashrrev_i32 v15, 31, v14
	v_dual_ashrrev_i32 v17, 31, v16 :: v_dual_ashrrev_i32 v19, 31, v18
	v_dual_mov_b32 v228, v161 :: v_dual_ashrrev_i32 v21, 31, v20
	v_dual_ashrrev_i32 v23, 31, v22 :: v_dual_ashrrev_i32 v25, 31, v24
	v_dual_ashrrev_i32 v27, 31, v26 :: v_dual_ashrrev_i32 v29, 31, v28
	v_dual_mov_b32 v224, v153 :: v_dual_mov_b32 v225, v152
	v_dual_mov_b32 v226, v157 :: v_dual_mov_b32 v227, v156
	v_dual_ashrrev_i32 v31, 31, v30 :: v_dual_ashrrev_i32 v33, 31, v32
	v_dual_ashrrev_i32 v35, 31, v34 :: v_dual_ashrrev_i32 v37, 31, v36
	;; [unrolled: 1-line block ×6, first 2 shown]
	s_mov_b32 s0, exec_lo
	s_wait_loadcnt_dscnt 0x120d
	v_dual_mul_f32 v57, v166, v79 :: v_dual_mul_f32 v59, v168, v81
	s_wait_loadcnt_dscnt 0x110c
	v_dual_mul_f32 v61, v170, v83 :: v_dual_mul_f32 v81, v169, v81
	;; [unrolled: 2-line block ×3, first 2 shown]
	v_dual_mul_f32 v79, v167, v79 :: v_dual_fmac_f32 v57, v167, v78
	s_delay_alu instid0(VALU_DEP_3) | instskip(SKIP_1) | instid1(VALU_DEP_3)
	v_dual_fmac_f32 v59, v169, v80 :: v_dual_fmac_f32 v61, v171, v82
	s_wait_loadcnt_dscnt 0x803
	v_dual_fmac_f32 v63, v173, v84 :: v_dual_mul_f32 v242, v208, v121
	s_wait_loadcnt_dscnt 0x702
	v_mul_f32_e32 v243, v210, v123
	v_dual_fma_f32 v78, v166, v78, -v79 :: v_dual_fma_f32 v80, v168, v80, -v81
	s_wait_loadcnt_dscnt 0x601
	v_dual_mul_f32 v168, v216, v129 :: v_dual_mul_f32 v81, v171, v83
	s_wait_loadcnt_dscnt 0x500
	v_dual_mul_f32 v83, v173, v85 :: v_dual_mul_f32 v79, v218, v131
	v_dual_add_f32 v57, 0, v57 :: v_dual_add_f32 v78, 0, v78
	s_delay_alu instid0(VALU_DEP_2) | instskip(SKIP_1) | instid1(VALU_DEP_3)
	v_dual_fma_f32 v82, v170, v82, -v81 :: v_dual_fma_f32 v83, v172, v84, -v83
	v_mul_f32_e32 v85, v177, v89
	v_dual_add_f32 v57, v57, v59 :: v_dual_add_f32 v59, v78, v80
	v_dual_mul_f32 v81, v220, v133 :: v_dual_mul_f32 v84, v175, v87
	v_dual_mul_f32 v67, v176, v89 :: v_dual_mul_f32 v69, v178, v91
	s_delay_alu instid0(VALU_DEP_3) | instskip(NEXT) | instid1(VALU_DEP_4)
	v_add_f32_e32 v59, v59, v82
	v_dual_mul_f32 v87, v183, v95 :: v_dual_add_f32 v57, v57, v61
	v_dual_mul_f32 v61, v185, v97 :: v_dual_fmac_f32 v65, v175, v86
	s_delay_alu instid0(VALU_DEP_3) | instskip(SKIP_1) | instid1(VALU_DEP_4)
	v_dual_fma_f32 v82, v174, v86, -v84 :: v_dual_add_f32 v59, v59, v83
	v_fmac_f32_e32 v67, v177, v88
	v_add_f32_e32 v57, v57, v63
	v_dual_mul_f32 v78, v179, v91 :: v_dual_mul_f32 v80, v181, v93
	v_dual_mul_f32 v63, v187, v99 :: v_dual_fma_f32 v83, v176, v88, -v85
	s_delay_alu instid0(VALU_DEP_3) | instskip(SKIP_2) | instid1(VALU_DEP_3)
	v_dual_add_f32 v57, v57, v65 :: v_dual_add_f32 v59, v59, v82
	v_dual_mul_f32 v71, v180, v93 :: v_dual_mul_f32 v73, v182, v95
	v_dual_mul_f32 v65, v189, v101 :: v_dual_fmac_f32 v69, v179, v90
	v_dual_fma_f32 v78, v178, v90, -v78 :: v_dual_add_f32 v57, v57, v67
	s_delay_alu instid0(VALU_DEP_3) | instskip(SKIP_1) | instid1(VALU_DEP_2)
	v_dual_add_f32 v59, v59, v83 :: v_dual_fmac_f32 v71, v181, v92
	v_dual_mul_f32 v67, v191, v103 :: v_dual_fma_f32 v80, v180, v92, -v80
	v_dual_add_f32 v57, v57, v69 :: v_dual_add_f32 v59, v59, v78
	v_dual_mul_f32 v75, v184, v97 :: v_dual_mul_f32 v77, v186, v99
	v_dual_mul_f32 v69, v193, v105 :: v_dual_fmac_f32 v73, v183, v94
	s_delay_alu instid0(VALU_DEP_3) | instskip(NEXT) | instid1(VALU_DEP_4)
	v_dual_fma_f32 v78, v182, v94, -v87 :: v_dual_add_f32 v57, v57, v71
	v_add_f32_e32 v59, v59, v80
	s_delay_alu instid0(VALU_DEP_4) | instskip(SKIP_1) | instid1(VALU_DEP_4)
	v_dual_mul_f32 v71, v195, v107 :: v_dual_fmac_f32 v75, v185, v96
	v_dual_mul_f32 v232, v188, v101 :: v_dual_mul_f32 v233, v190, v103
	v_dual_add_f32 v57, v57, v73 :: v_dual_fma_f32 v61, v184, v96, -v61
	s_delay_alu instid0(VALU_DEP_4) | instskip(SKIP_1) | instid1(VALU_DEP_2)
	v_dual_add_f32 v59, v59, v78 :: v_dual_mul_f32 v73, v197, v109
	v_dual_fmac_f32 v77, v187, v98 :: v_dual_fma_f32 v63, v186, v98, -v63
	v_dual_add_f32 v57, v57, v75 :: v_dual_add_f32 v59, v59, v61
	v_dual_fmac_f32 v232, v189, v100 :: v_dual_mul_f32 v61, v199, v111
	s_delay_alu instid0(VALU_DEP_2) | instskip(NEXT) | instid1(VALU_DEP_3)
	v_dual_fma_f32 v65, v188, v100, -v65 :: v_dual_add_f32 v57, v57, v77
	v_dual_add_f32 v59, v59, v63 :: v_dual_mul_f32 v234, v192, v105
	v_dual_mul_f32 v235, v194, v107 :: v_dual_mul_f32 v63, v201, v113
	v_dual_fmac_f32 v233, v191, v102 :: v_dual_fma_f32 v67, v190, v102, -v67
	s_delay_alu instid0(VALU_DEP_3) | instskip(NEXT) | instid1(VALU_DEP_4)
	v_dual_add_f32 v57, v57, v232 :: v_dual_add_f32 v59, v59, v65
	v_dual_fmac_f32 v234, v193, v104 :: v_dual_mul_f32 v65, v203, v115
	s_delay_alu instid0(VALU_DEP_2) | instskip(NEXT) | instid1(VALU_DEP_3)
	v_dual_fma_f32 v69, v192, v104, -v69 :: v_dual_add_f32 v57, v57, v233
	v_dual_add_f32 v59, v59, v67 :: v_dual_mul_f32 v236, v196, v109
	v_dual_mul_f32 v237, v198, v111 :: v_dual_mul_f32 v67, v205, v117
	v_fmac_f32_e32 v235, v195, v106
	s_delay_alu instid0(VALU_DEP_3) | instskip(SKIP_2) | instid1(VALU_DEP_3)
	v_dual_fma_f32 v71, v194, v106, -v71 :: v_dual_add_f32 v59, v59, v69
	v_dual_add_f32 v57, v57, v234 :: v_dual_mul_f32 v69, v207, v119
	v_dual_fmac_f32 v236, v197, v108 :: v_dual_fma_f32 v73, v196, v108, -v73
	v_dual_add_f32 v59, v59, v71 :: v_dual_mul_f32 v71, v209, v121
	s_delay_alu instid0(VALU_DEP_3) | instskip(SKIP_1) | instid1(VALU_DEP_2)
	v_dual_add_f32 v57, v57, v235 :: v_dual_fmac_f32 v237, v199, v110
	v_dual_mul_f32 v238, v200, v113 :: v_dual_mul_f32 v239, v202, v115
	v_dual_fma_f32 v61, v198, v110, -v61 :: v_dual_add_f32 v57, v57, v236
	s_delay_alu instid0(VALU_DEP_2) | instskip(SKIP_1) | instid1(VALU_DEP_3)
	v_dual_add_f32 v59, v59, v73 :: v_dual_fmac_f32 v238, v201, v112
	v_dual_mul_f32 v73, v211, v123 :: v_dual_fma_f32 v63, v200, v112, -v63
	v_dual_add_f32 v57, v57, v237 :: v_dual_fmac_f32 v239, v203, v114
	s_delay_alu instid0(VALU_DEP_3) | instskip(SKIP_1) | instid1(VALU_DEP_2)
	v_dual_add_f32 v59, v59, v61 :: v_dual_fma_f32 v65, v202, v114, -v65
	v_dual_mul_f32 v240, v204, v117 :: v_dual_mul_f32 v241, v206, v119
	v_dual_mul_f32 v61, v213, v125 :: v_dual_add_f32 v59, v59, v63
	s_delay_alu instid0(VALU_DEP_4) | instskip(NEXT) | instid1(VALU_DEP_3)
	v_dual_add_f32 v57, v57, v238 :: v_dual_mul_f32 v63, v215, v127
	v_dual_fmac_f32 v240, v205, v116 :: v_dual_fma_f32 v67, v204, v116, -v67
	s_delay_alu instid0(VALU_DEP_2) | instskip(SKIP_1) | instid1(VALU_DEP_2)
	v_dual_add_f32 v59, v59, v65 :: v_dual_add_f32 v57, v57, v239
	v_dual_mul_f32 v65, v217, v129 :: v_dual_fmac_f32 v241, v207, v118
	v_dual_fma_f32 v69, v206, v118, -v69 :: v_dual_add_f32 v59, v59, v67
	v_fmac_f32_e32 v242, v209, v120
	s_delay_alu instid0(VALU_DEP_4) | instskip(NEXT) | instid1(VALU_DEP_3)
	v_dual_add_f32 v57, v57, v240 :: v_dual_mul_f32 v67, v219, v131
	v_dual_fma_f32 v71, v208, v120, -v71 :: v_dual_add_f32 v59, v59, v69
	s_delay_alu instid0(VALU_DEP_2) | instskip(SKIP_2) | instid1(VALU_DEP_3)
	v_dual_fma_f32 v73, v210, v122, -v73 :: v_dual_add_f32 v57, v57, v241
	v_dual_fmac_f32 v243, v211, v122 :: v_dual_mul_f32 v166, v212, v125
	v_dual_mul_f32 v167, v214, v127 :: v_dual_mul_f32 v69, v221, v133
	v_dual_add_f32 v59, v59, v71 :: v_dual_add_f32 v57, v57, v242
	s_delay_alu instid0(VALU_DEP_3) | instskip(SKIP_2) | instid1(VALU_DEP_3)
	v_dual_fma_f32 v61, v212, v124, -v61 :: v_dual_fmac_f32 v166, v213, v124
	s_wait_loadcnt 0x4
	v_dual_mov_b32 v84, v137 :: v_dual_fma_f32 v63, v214, v126, -v63
	v_dual_add_f32 v57, v57, v243 :: v_dual_fmac_f32 v167, v215, v126
	v_dual_add_f32 v59, v59, v73 :: v_dual_fmac_f32 v168, v217, v128
	v_pk_mul_f32 v[82:83], v[150:151], v[134:135] op_sel:[1,1] op_sel_hi:[0,1]
	s_delay_alu instid0(VALU_DEP_3) | instskip(SKIP_1) | instid1(VALU_DEP_3)
	v_add_f32_e32 v57, v57, v166
	s_wait_loadcnt 0x3
	v_dual_mov_b32 v88, v141 :: v_dual_add_f32 v59, v59, v61
	v_dual_fma_f32 v61, v216, v128, -v65 :: v_dual_fmac_f32 v79, v219, v130
	s_delay_alu instid0(VALU_DEP_3) | instskip(NEXT) | instid1(VALU_DEP_3)
	v_dual_add_f32 v57, v57, v167 :: v_dual_fma_f32 v78, v218, v130, -v67
	v_dual_add_f32 v59, v59, v63 :: v_dual_fmac_f32 v81, v221, v132
	v_pk_fma_f32 v[92:93], v[150:151], v[134:135], v[82:83] op_sel_hi:[1,0,1]
	s_delay_alu instid0(VALU_DEP_3) | instskip(NEXT) | instid1(VALU_DEP_3)
	v_add_f32_e32 v91, v57, v168
	v_dual_fma_f32 v80, v220, v132, -v69 :: v_dual_add_f32 v90, v59, v61
	v_pk_mul_f32 v[84:85], v[224:225], v[84:85] op_sel_hi:[1,0]
	v_pk_fma_f32 v[82:83], v[150:151], v[134:135], v[82:83] neg_lo:[0,0,1] neg_hi:[0,0,1]
	v_pk_mul_f32 v[86:87], v[154:155], v[138:139] op_sel:[1,1] op_sel_hi:[0,1]
	v_mov_b32_e32 v83, v93
	v_pk_add_f32 v[78:79], v[90:91], v[78:79]
	v_pk_fma_f32 v[92:93], v[152:153], v[136:137], v[84:85] op_sel_hi:[1,0,1]
	v_pk_fma_f32 v[84:85], v[152:153], v[136:137], v[84:85] neg_lo:[0,0,1] neg_hi:[0,0,1]
	v_pk_mul_f32 v[88:89], v[226:227], v[88:89] op_sel_hi:[1,0]
	s_wait_loadcnt 0x2
	v_pk_mul_f32 v[90:91], v[158:159], v[142:143] op_sel:[1,1] op_sel_hi:[0,1]
	v_pk_add_f32 v[78:79], v[78:79], v[80:81]
	v_pk_fma_f32 v[80:81], v[154:155], v[138:139], v[86:87] op_sel_hi:[1,0,1]
	v_dual_mov_b32 v85, v93 :: v_dual_mov_b32 v80, v145
	v_ashrrev_i32_e32 v57, 31, v56
	s_delay_alu instid0(VALU_DEP_4)
	v_pk_add_f32 v[78:79], v[78:79], v[82:83]
	v_pk_fma_f32 v[82:83], v[154:155], v[138:139], v[86:87] neg_lo:[0,0,1] neg_hi:[0,0,1]
	v_pk_fma_f32 v[86:87], v[156:157], v[140:141], v[88:89] op_sel_hi:[1,0,1]
	v_mov_b32_e32 v83, v81
	v_pk_mul_f32 v[80:81], v[228:229], v[80:81] op_sel_hi:[1,0]
	v_pk_add_f32 v[78:79], v[78:79], v[84:85]
	v_pk_fma_f32 v[84:85], v[158:159], v[142:143], v[90:91] op_sel_hi:[1,0,1]
	v_pk_fma_f32 v[88:89], v[156:157], v[140:141], v[88:89] neg_lo:[0,0,1] neg_hi:[0,0,1]
	v_mov_b32_e32 v89, v87
	v_pk_fma_f32 v[86:87], v[158:159], v[142:143], v[90:91] neg_lo:[0,0,1] neg_hi:[0,0,1]
	v_pk_add_f32 v[78:79], v[78:79], v[82:83]
	v_mov_b32_e32 v87, v85
	v_pk_fma_f32 v[84:85], v[160:161], v[144:145], v[80:81] op_sel_hi:[1,0,1]
	s_wait_loadcnt 0x1
	v_pk_mul_f32 v[82:83], v[162:163], v[146:147] op_sel:[1,1] op_sel_hi:[0,1]
	v_mov_b32_e32 v84, v149
	v_pk_add_f32 v[78:79], v[78:79], v[88:89]
	v_pk_fma_f32 v[80:81], v[160:161], v[144:145], v[80:81] neg_lo:[0,0,1] neg_hi:[0,0,1]
	v_mov_b32_e32 v81, v85
	v_pk_fma_f32 v[88:89], v[162:163], v[146:147], v[82:83] op_sel_hi:[1,0,1]
	v_pk_mul_f32 v[84:85], v[230:231], v[84:85] op_sel_hi:[1,0]
	v_pk_add_f32 v[78:79], v[78:79], v[86:87]
	v_pk_fma_f32 v[82:83], v[162:163], v[146:147], v[82:83] neg_lo:[0,0,1] neg_hi:[0,0,1]
	s_delay_alu instid0(VALU_DEP_4) | instskip(SKIP_1) | instid1(VALU_DEP_4)
	v_dual_ashrrev_i32 v59, 31, v58 :: v_dual_mov_b32 v83, v89
	v_dual_ashrrev_i32 v63, 31, v62 :: v_dual_ashrrev_i32 v65, 31, v64
	v_pk_add_f32 v[78:79], v[78:79], v[80:81]
	v_pk_fma_f32 v[80:81], v[164:165], v[148:149], v[84:85] op_sel_hi:[1,0,1]
	v_pk_fma_f32 v[84:85], v[164:165], v[148:149], v[84:85] neg_lo:[0,0,1] neg_hi:[0,0,1]
	v_dual_ashrrev_i32 v61, 31, v60 :: v_dual_ashrrev_i32 v67, 31, v66
	v_ashrrev_i32_e32 v69, 31, v68
	v_pk_add_f32 v[78:79], v[78:79], v[82:83]
	v_dual_mov_b32 v85, v81 :: v_dual_ashrrev_i32 v71, 31, v70
	v_dual_ashrrev_i32 v73, 31, v72 :: v_dual_ashrrev_i32 v75, 31, v74
	v_ashrrev_i32_e32 v77, 31, v76
	s_delay_alu instid0(VALU_DEP_3) | instskip(SKIP_1) | instid1(VALU_DEP_1)
	v_pk_add_f32 v[78:79], v[78:79], v[84:85]
	s_wait_loadcnt 0x0
	v_pk_add_f32 v[78:79], v[222:223], v[78:79] neg_lo:[0,1] neg_hi:[0,1]
	scratch_store_b64 off, v[78:79], off offset:8
	s_wait_xcnt 0x0
	v_cmpx_ne_u32_e32 0, v0
	s_cbranch_execz .LBB101_241
; %bb.240:
	scratch_load_b64 v[78:79], off, off
	v_mov_b64_e32 v[80:81], 0
	scratch_store_b64 off, v[80:81], off
	s_wait_loadcnt 0x0
	ds_store_b64 v1, v[78:79]
.LBB101_241:
	s_wait_xcnt 0x0
	s_or_b32 exec_lo, exec_lo, s0
	s_wait_storecnt_dscnt 0x0
	s_barrier_signal -1
	s_barrier_wait -1
	s_clause 0x7
	scratch_load_b128 v[82:85], off, off offset:8
	scratch_load_b128 v[90:93], off, off offset:24
	;; [unrolled: 1-line block ×8, first 2 shown]
	v_mov_b32_e32 v0, 0
	s_clause 0x3
	scratch_load_b128 v[146:149], off, off offset:136
	scratch_load_b128 v[154:157], off, off offset:152
	;; [unrolled: 1-line block ×4, first 2 shown]
	ds_load_2addr_b64 v[78:81], v0 offset0:39 offset1:40
	s_clause 0x2
	scratch_load_b128 v[178:181], off, off offset:200
	scratch_load_b128 v[186:189], off, off offset:216
	;; [unrolled: 1-line block ×3, first 2 shown]
	s_and_b32 vcc_lo, exec_lo, s12
	s_wait_loadcnt_dscnt 0xe00
	v_dual_mul_f32 v1, v78, v83 :: v_dual_mul_f32 v86, v80, v85
	s_delay_alu instid0(VALU_DEP_1) | instskip(NEXT) | instid1(VALU_DEP_1)
	v_dual_fmac_f32 v1, v79, v82 :: v_dual_fmac_f32 v86, v81, v84
	v_add_f32_e32 v1, 0, v1
	s_delay_alu instid0(VALU_DEP_1) | instskip(SKIP_3) | instid1(VALU_DEP_1)
	v_add_f32_e32 v1, v1, v86
	ds_load_2addr_b64 v[86:89], v0 offset0:41 offset1:42
	s_wait_loadcnt_dscnt 0xd00
	v_mul_f32_e32 v94, v86, v91
	v_fmac_f32_e32 v94, v87, v90
	s_delay_alu instid0(VALU_DEP_1) | instskip(NEXT) | instid1(VALU_DEP_1)
	v_dual_add_f32 v1, v1, v94 :: v_dual_mul_f32 v94, v88, v93
	v_fmac_f32_e32 v94, v89, v92
	s_delay_alu instid0(VALU_DEP_1) | instskip(SKIP_3) | instid1(VALU_DEP_1)
	v_add_f32_e32 v1, v1, v94
	ds_load_2addr_b64 v[94:97], v0 offset0:43 offset1:44
	s_wait_loadcnt_dscnt 0xc00
	v_mul_f32_e32 v102, v94, v99
	v_fmac_f32_e32 v102, v95, v98
	s_delay_alu instid0(VALU_DEP_1) | instskip(NEXT) | instid1(VALU_DEP_1)
	v_dual_add_f32 v1, v1, v102 :: v_dual_mul_f32 v102, v96, v101
	v_fmac_f32_e32 v102, v97, v100
	;; [unrolled: 9-line block ×12, first 2 shown]
	s_delay_alu instid0(VALU_DEP_1) | instskip(SKIP_3) | instid1(VALU_DEP_1)
	v_add_f32_e32 v1, v1, v182
	ds_load_2addr_b64 v[182:185], v0 offset0:65 offset1:66
	s_wait_loadcnt_dscnt 0x100
	v_dual_mul_f32 v190, v182, v187 :: v_dual_mul_f32 v213, v184, v189
	v_dual_fmac_f32 v190, v183, v186 :: v_dual_fmac_f32 v213, v185, v188
	s_delay_alu instid0(VALU_DEP_1)
	v_add_f32_e32 v211, v1, v190
	ds_load_2addr_b64 v[190:193], v0 offset0:67 offset1:68
	s_clause 0x3
	scratch_load_b128 v[198:201], off, off offset:248
	scratch_load_b128 v[202:205], off, off offset:264
	scratch_load_b128 v[206:209], off, off offset:280
	scratch_load_b64 v[216:217], off, off offset:296
	v_mul_f32_e32 v1, v79, v83
	s_delay_alu instid0(VALU_DEP_1) | instskip(NEXT) | instid1(VALU_DEP_1)
	v_dual_fma_f32 v1, v78, v82, -v1 :: v_dual_mul_f32 v78, v81, v85
	v_dual_add_f32 v1, 0, v1 :: v_dual_fma_f32 v78, v80, v84, -v78
	s_delay_alu instid0(VALU_DEP_1) | instskip(SKIP_2) | instid1(VALU_DEP_2)
	v_dual_add_f32 v1, v1, v78 :: v_dual_mul_f32 v78, v87, v91
	s_wait_loadcnt_dscnt 0x400
	v_mul_f32_e32 v215, v190, v195
	v_fma_f32 v78, v86, v90, -v78
	s_delay_alu instid0(VALU_DEP_2) | instskip(NEXT) | instid1(VALU_DEP_2)
	v_fmac_f32_e32 v215, v191, v194
	v_add_f32_e32 v1, v1, v78
	v_mul_f32_e32 v78, v89, v93
	s_delay_alu instid0(VALU_DEP_1) | instskip(NEXT) | instid1(VALU_DEP_1)
	v_fma_f32 v78, v88, v92, -v78
	v_dual_add_f32 v1, v1, v78 :: v_dual_mul_f32 v78, v95, v99
	s_delay_alu instid0(VALU_DEP_1) | instskip(SKIP_1) | instid1(VALU_DEP_2)
	v_dual_mov_b32 v95, v192 :: v_dual_fma_f32 v78, v94, v98, -v78
	v_mov_b32_e32 v94, v193
	v_add_f32_e32 v1, v1, v78
	v_mul_f32_e32 v78, v97, v101
	s_delay_alu instid0(VALU_DEP_1) | instskip(NEXT) | instid1(VALU_DEP_1)
	v_dual_fma_f32 v78, v96, v100, -v78 :: v_dual_mov_b32 v96, v197
	v_dual_add_f32 v1, v1, v78 :: v_dual_mul_f32 v78, v103, v107
	s_delay_alu instid0(VALU_DEP_2) | instskip(NEXT) | instid1(VALU_DEP_2)
	v_pk_mul_f32 v[94:95], v[94:95], v[96:97] op_sel_hi:[1,0]
	v_fma_f32 v78, v102, v106, -v78
	s_delay_alu instid0(VALU_DEP_2) | instskip(SKIP_1) | instid1(VALU_DEP_3)
	v_pk_fma_f32 v[96:97], v[192:193], v[196:197], v[94:95] neg_lo:[0,0,1] neg_hi:[0,0,1]
	v_pk_fma_f32 v[94:95], v[192:193], v[196:197], v[94:95] op_sel_hi:[1,0,1]
	v_add_f32_e32 v1, v1, v78
	s_delay_alu instid0(VALU_DEP_2) | instskip(NEXT) | instid1(VALU_DEP_1)
	v_dual_mul_f32 v78, v105, v109 :: v_dual_mov_b32 v97, v95
	v_fma_f32 v78, v104, v108, -v78
	s_delay_alu instid0(VALU_DEP_1) | instskip(NEXT) | instid1(VALU_DEP_1)
	v_dual_add_f32 v1, v1, v78 :: v_dual_mul_f32 v78, v111, v115
	v_fma_f32 v78, v110, v114, -v78
	s_delay_alu instid0(VALU_DEP_1) | instskip(SKIP_1) | instid1(VALU_DEP_1)
	v_add_f32_e32 v1, v1, v78
	v_mul_f32_e32 v78, v113, v117
	v_fma_f32 v78, v112, v116, -v78
	s_delay_alu instid0(VALU_DEP_1) | instskip(NEXT) | instid1(VALU_DEP_1)
	v_dual_add_f32 v1, v1, v78 :: v_dual_mul_f32 v78, v119, v123
	v_fma_f32 v78, v118, v122, -v78
	s_delay_alu instid0(VALU_DEP_1) | instskip(SKIP_1) | instid1(VALU_DEP_1)
	v_add_f32_e32 v1, v1, v78
	v_mul_f32_e32 v78, v121, v125
	;; [unrolled: 7-line block ×9, first 2 shown]
	v_fma_f32 v78, v176, v180, -v78
	s_delay_alu instid0(VALU_DEP_1) | instskip(NEXT) | instid1(VALU_DEP_1)
	v_dual_add_f32 v1, v1, v78 :: v_dual_mul_f32 v78, v183, v187
	v_fma_f32 v78, v182, v186, -v78
	s_delay_alu instid0(VALU_DEP_1)
	v_add_f32_e32 v210, v1, v78
	ds_load_2addr_b64 v[78:81], v0 offset0:69 offset1:70
	ds_load_2addr_b64 v[82:85], v0 offset0:71 offset1:72
	ds_load_2addr_b64 v[86:89], v0 offset0:73 offset1:74
	ds_load_b64 v[90:91], v0 offset:600
	v_mul_f32_e32 v1, v185, v189
	s_delay_alu instid0(VALU_DEP_1) | instskip(NEXT) | instid1(VALU_DEP_1)
	v_dual_fma_f32 v212, v184, v188, -v1 :: v_dual_mul_f32 v1, v191, v195
	v_pk_add_f32 v[92:93], v[210:211], v[212:213]
	s_delay_alu instid0(VALU_DEP_2) | instskip(NEXT) | instid1(VALU_DEP_1)
	v_fma_f32 v214, v190, v194, -v1
	v_pk_add_f32 v[92:93], v[92:93], v[214:215]
	s_delay_alu instid0(VALU_DEP_1) | instskip(SKIP_2) | instid1(VALU_DEP_1)
	v_pk_add_f32 v[92:93], v[92:93], v[96:97]
	s_wait_loadcnt_dscnt 0x303
	v_pk_mul_f32 v[94:95], v[78:79], v[198:199] op_sel:[1,1] op_sel_hi:[0,1]
	v_pk_fma_f32 v[96:97], v[78:79], v[198:199], v[94:95] neg_lo:[0,0,1] neg_hi:[0,0,1]
	v_pk_fma_f32 v[78:79], v[78:79], v[198:199], v[94:95] op_sel_hi:[1,0,1]
	s_delay_alu instid0(VALU_DEP_1) | instskip(NEXT) | instid1(VALU_DEP_1)
	v_dual_mov_b32 v94, v201 :: v_dual_mov_b32 v97, v79
	v_pk_add_f32 v[78:79], v[92:93], v[96:97]
	v_dual_mov_b32 v92, v81 :: v_dual_mov_b32 v93, v80
	s_delay_alu instid0(VALU_DEP_1) | instskip(NEXT) | instid1(VALU_DEP_1)
	v_pk_mul_f32 v[92:93], v[92:93], v[94:95] op_sel_hi:[1,0]
	v_pk_fma_f32 v[94:95], v[80:81], v[200:201], v[92:93] neg_lo:[0,0,1] neg_hi:[0,0,1]
	v_pk_fma_f32 v[80:81], v[80:81], v[200:201], v[92:93] op_sel_hi:[1,0,1]
	s_delay_alu instid0(VALU_DEP_1) | instskip(SKIP_2) | instid1(VALU_DEP_2)
	v_mov_b32_e32 v95, v81
	s_wait_loadcnt_dscnt 0x202
	v_pk_mul_f32 v[80:81], v[82:83], v[202:203] op_sel:[1,1] op_sel_hi:[0,1]
	v_pk_add_f32 v[78:79], v[78:79], v[94:95]
	s_delay_alu instid0(VALU_DEP_2) | instskip(SKIP_2) | instid1(VALU_DEP_2)
	v_pk_fma_f32 v[92:93], v[82:83], v[202:203], v[80:81] neg_lo:[0,0,1] neg_hi:[0,0,1]
	v_pk_fma_f32 v[80:81], v[82:83], v[202:203], v[80:81] op_sel_hi:[1,0,1]
	v_dual_mov_b32 v80, v85 :: v_dual_mov_b32 v82, v205
	v_dual_mov_b32 v93, v81 :: v_dual_mov_b32 v81, v84
	s_delay_alu instid0(VALU_DEP_1) | instskip(NEXT) | instid1(VALU_DEP_2)
	v_pk_add_f32 v[78:79], v[78:79], v[92:93]
	v_pk_mul_f32 v[80:81], v[80:81], v[82:83] op_sel_hi:[1,0]
	s_delay_alu instid0(VALU_DEP_1) | instskip(SKIP_1) | instid1(VALU_DEP_1)
	v_pk_fma_f32 v[82:83], v[84:85], v[204:205], v[80:81] neg_lo:[0,0,1] neg_hi:[0,0,1]
	v_pk_fma_f32 v[80:81], v[84:85], v[204:205], v[80:81] op_sel_hi:[1,0,1]
	v_mov_b32_e32 v83, v81
	s_wait_loadcnt_dscnt 0x101
	v_pk_mul_f32 v[80:81], v[86:87], v[206:207] op_sel:[1,1] op_sel_hi:[0,1]
	s_delay_alu instid0(VALU_DEP_2) | instskip(NEXT) | instid1(VALU_DEP_2)
	v_pk_add_f32 v[78:79], v[78:79], v[82:83]
	v_pk_fma_f32 v[82:83], v[86:87], v[206:207], v[80:81] neg_lo:[0,0,1] neg_hi:[0,0,1]
	v_pk_fma_f32 v[80:81], v[86:87], v[206:207], v[80:81] op_sel_hi:[1,0,1]
	s_delay_alu instid0(VALU_DEP_1) | instskip(SKIP_1) | instid1(VALU_DEP_2)
	v_dual_mov_b32 v80, v89 :: v_dual_mov_b32 v83, v81
	v_mov_b32_e32 v81, v88
	v_pk_add_f32 v[78:79], v[78:79], v[82:83]
	v_mov_b32_e32 v82, v209
	s_delay_alu instid0(VALU_DEP_1) | instskip(NEXT) | instid1(VALU_DEP_1)
	v_pk_mul_f32 v[80:81], v[80:81], v[82:83] op_sel_hi:[1,0]
	v_pk_fma_f32 v[82:83], v[88:89], v[208:209], v[80:81] neg_lo:[0,0,1] neg_hi:[0,0,1]
	v_pk_fma_f32 v[80:81], v[88:89], v[208:209], v[80:81] op_sel_hi:[1,0,1]
	s_delay_alu instid0(VALU_DEP_1) | instskip(SKIP_2) | instid1(VALU_DEP_2)
	v_mov_b32_e32 v83, v81
	s_wait_loadcnt_dscnt 0x0
	v_pk_mul_f32 v[80:81], v[90:91], v[216:217] op_sel:[1,1] op_sel_hi:[0,1]
	v_pk_add_f32 v[78:79], v[78:79], v[82:83]
	s_delay_alu instid0(VALU_DEP_2) | instskip(SKIP_1) | instid1(VALU_DEP_1)
	v_pk_fma_f32 v[82:83], v[90:91], v[216:217], v[80:81] neg_lo:[0,0,1] neg_hi:[0,0,1]
	v_pk_fma_f32 v[80:81], v[90:91], v[216:217], v[80:81] op_sel_hi:[1,0,1]
	v_mov_b32_e32 v83, v81
	scratch_load_b64 v[80:81], off, off
	v_pk_add_f32 v[78:79], v[78:79], v[82:83]
	s_wait_loadcnt 0x0
	s_delay_alu instid0(VALU_DEP_1)
	v_pk_add_f32 v[78:79], v[80:81], v[78:79] neg_lo:[0,1] neg_hi:[0,1]
	scratch_store_b64 off, v[78:79], off
	s_cbranch_vccz .LBB101_316
; %bb.242:
	global_load_b32 v0, v0, s[8:9] offset:144
	s_wait_loadcnt 0x0
	v_cmp_ne_u32_e32 vcc_lo, 37, v0
	s_cbranch_vccz .LBB101_244
; %bb.243:
	s_wait_xcnt 0x0
	v_lshlrev_b32_e32 v0, 3, v0
	s_delay_alu instid0(VALU_DEP_1)
	v_mov_b32_e32 v80, v0
	scratch_load_b64 v[0:1], v80, off offset:-8
	scratch_load_b64 v[78:79], off, off offset:288
	s_wait_loadcnt 0x1
	scratch_store_b64 off, v[0:1], off offset:288
	s_wait_loadcnt 0x0
	scratch_store_b64 v80, v[78:79], off offset:-8
.LBB101_244:
	s_wait_xcnt 0x0
	v_mov_b32_e32 v0, 0
	global_load_b32 v1, v0, s[8:9] offset:140
	s_wait_loadcnt 0x0
	v_cmp_eq_u32_e32 vcc_lo, 36, v1
	s_cbranch_vccnz .LBB101_246
; %bb.245:
	v_lshlrev_b32_e32 v1, 3, v1
	scratch_load_b64 v[78:79], v1, off offset:-8
	scratch_load_b64 v[80:81], off, off offset:280
	s_wait_loadcnt 0x1
	scratch_store_b64 off, v[78:79], off offset:280
	s_wait_loadcnt 0x0
	scratch_store_b64 v1, v[80:81], off offset:-8
.LBB101_246:
	global_load_b32 v0, v0, s[8:9] offset:136
	s_wait_loadcnt 0x0
	v_cmp_eq_u32_e32 vcc_lo, 35, v0
	s_cbranch_vccnz .LBB101_248
; %bb.247:
	s_wait_xcnt 0x0
	v_lshlrev_b32_e32 v0, 3, v0
	s_delay_alu instid0(VALU_DEP_1)
	v_mov_b32_e32 v80, v0
	scratch_load_b64 v[0:1], v80, off offset:-8
	scratch_load_b64 v[78:79], off, off offset:272
	s_wait_loadcnt 0x1
	scratch_store_b64 off, v[0:1], off offset:272
	s_wait_loadcnt 0x0
	scratch_store_b64 v80, v[78:79], off offset:-8
.LBB101_248:
	s_wait_xcnt 0x0
	v_mov_b32_e32 v0, 0
	global_load_b32 v1, v0, s[8:9] offset:132
	s_wait_loadcnt 0x0
	v_cmp_eq_u32_e32 vcc_lo, 34, v1
	s_cbranch_vccnz .LBB101_250
; %bb.249:
	v_lshlrev_b32_e32 v1, 3, v1
	scratch_load_b64 v[78:79], v1, off offset:-8
	scratch_load_b64 v[80:81], off, off offset:264
	s_wait_loadcnt 0x1
	scratch_store_b64 off, v[78:79], off offset:264
	s_wait_loadcnt 0x0
	scratch_store_b64 v1, v[80:81], off offset:-8
.LBB101_250:
	global_load_b32 v0, v0, s[8:9] offset:128
	s_wait_loadcnt 0x0
	v_cmp_eq_u32_e32 vcc_lo, 33, v0
	s_cbranch_vccnz .LBB101_252
; %bb.251:
	s_wait_xcnt 0x0
	v_lshlrev_b32_e32 v0, 3, v0
	s_delay_alu instid0(VALU_DEP_1)
	v_mov_b32_e32 v80, v0
	scratch_load_b64 v[0:1], v80, off offset:-8
	scratch_load_b64 v[78:79], off, off offset:256
	s_wait_loadcnt 0x1
	scratch_store_b64 off, v[0:1], off offset:256
	s_wait_loadcnt 0x0
	scratch_store_b64 v80, v[78:79], off offset:-8
.LBB101_252:
	;; [unrolled: 31-line block ×17, first 2 shown]
	s_wait_xcnt 0x0
	v_mov_b32_e32 v0, 0
	global_load_b32 v1, v0, s[8:9] offset:4
	s_wait_loadcnt 0x0
	v_cmp_eq_u32_e32 vcc_lo, 2, v1
	s_cbranch_vccnz .LBB101_314
; %bb.313:
	v_lshlrev_b32_e32 v1, 3, v1
	scratch_load_b64 v[78:79], v1, off offset:-8
	scratch_load_b64 v[80:81], off, off offset:8
	s_wait_loadcnt 0x1
	scratch_store_b64 off, v[78:79], off offset:8
	s_wait_loadcnt 0x0
	scratch_store_b64 v1, v[80:81], off offset:-8
.LBB101_314:
	global_load_b32 v0, v0, s[8:9]
	scratch_load_b64 v[78:79], off, off
	s_wait_loadcnt 0x1
	v_cmp_eq_u32_e32 vcc_lo, 1, v0
	s_cbranch_vccnz .LBB101_316
; %bb.315:
	s_wait_xcnt 0x1
	v_lshlrev_b32_e32 v0, 3, v0
	s_delay_alu instid0(VALU_DEP_1)
	v_mov_b32_e32 v80, v0
	scratch_load_b64 v[0:1], v80, off offset:-8
	s_wait_loadcnt 0x0
	scratch_store_b64 off, v[0:1], off
	scratch_store_b64 v80, v[78:79], off offset:-8
	scratch_load_b64 v[78:79], off, off
.LBB101_316:
	s_wait_loadcnt 0x0
	flat_store_b64 v[2:3], v[78:79]
	scratch_load_b64 v[2:3], off, off offset:8
	v_lshl_add_u64 v[112:113], v[6:7], 3, s[2:3]
	v_lshl_add_u64 v[110:111], v[8:9], 3, s[2:3]
	;; [unrolled: 1-line block ×36, first 2 shown]
	s_wait_loadcnt 0x0
	flat_store_b64 v[4:5], v[2:3]
	scratch_load_b64 v[2:3], off, off offset:16
	s_wait_loadcnt 0x0
	flat_store_b64 v[112:113], v[2:3]
	scratch_load_b64 v[2:3], off, off offset:24
	;; [unrolled: 3-line block ×36, first 2 shown]
	s_wait_loadcnt 0x0
	flat_store_b64 v[0:1], v[2:3]
	s_sendmsg sendmsg(MSG_DEALLOC_VGPRS)
	s_endpgm
	.section	.rodata,"a",@progbits
	.p2align	6, 0x0
	.amdhsa_kernel _ZN9rocsolver6v33100L18getri_kernel_smallILi38E19rocblas_complex_numIfEPKPS3_EEvT1_iilPiilS8_bb
		.amdhsa_group_segment_fixed_size 612
		.amdhsa_private_segment_fixed_size 320
		.amdhsa_kernarg_size 60
		.amdhsa_user_sgpr_count 2
		.amdhsa_user_sgpr_dispatch_ptr 0
		.amdhsa_user_sgpr_queue_ptr 0
		.amdhsa_user_sgpr_kernarg_segment_ptr 1
		.amdhsa_user_sgpr_dispatch_id 0
		.amdhsa_user_sgpr_kernarg_preload_length 0
		.amdhsa_user_sgpr_kernarg_preload_offset 0
		.amdhsa_user_sgpr_private_segment_size 0
		.amdhsa_wavefront_size32 1
		.amdhsa_uses_dynamic_stack 0
		.amdhsa_enable_private_segment 1
		.amdhsa_system_sgpr_workgroup_id_x 1
		.amdhsa_system_sgpr_workgroup_id_y 0
		.amdhsa_system_sgpr_workgroup_id_z 0
		.amdhsa_system_sgpr_workgroup_info 0
		.amdhsa_system_vgpr_workitem_id 0
		.amdhsa_next_free_vgpr 244
		.amdhsa_next_free_sgpr 19
		.amdhsa_named_barrier_count 0
		.amdhsa_reserve_vcc 1
		.amdhsa_float_round_mode_32 0
		.amdhsa_float_round_mode_16_64 0
		.amdhsa_float_denorm_mode_32 3
		.amdhsa_float_denorm_mode_16_64 3
		.amdhsa_fp16_overflow 0
		.amdhsa_memory_ordered 1
		.amdhsa_forward_progress 1
		.amdhsa_inst_pref_size 255
		.amdhsa_round_robin_scheduling 0
		.amdhsa_exception_fp_ieee_invalid_op 0
		.amdhsa_exception_fp_denorm_src 0
		.amdhsa_exception_fp_ieee_div_zero 0
		.amdhsa_exception_fp_ieee_overflow 0
		.amdhsa_exception_fp_ieee_underflow 0
		.amdhsa_exception_fp_ieee_inexact 0
		.amdhsa_exception_int_div_zero 0
	.end_amdhsa_kernel
	.section	.text._ZN9rocsolver6v33100L18getri_kernel_smallILi38E19rocblas_complex_numIfEPKPS3_EEvT1_iilPiilS8_bb,"axG",@progbits,_ZN9rocsolver6v33100L18getri_kernel_smallILi38E19rocblas_complex_numIfEPKPS3_EEvT1_iilPiilS8_bb,comdat
.Lfunc_end101:
	.size	_ZN9rocsolver6v33100L18getri_kernel_smallILi38E19rocblas_complex_numIfEPKPS3_EEvT1_iilPiilS8_bb, .Lfunc_end101-_ZN9rocsolver6v33100L18getri_kernel_smallILi38E19rocblas_complex_numIfEPKPS3_EEvT1_iilPiilS8_bb
                                        ; -- End function
	.set _ZN9rocsolver6v33100L18getri_kernel_smallILi38E19rocblas_complex_numIfEPKPS3_EEvT1_iilPiilS8_bb.num_vgpr, 244
	.set _ZN9rocsolver6v33100L18getri_kernel_smallILi38E19rocblas_complex_numIfEPKPS3_EEvT1_iilPiilS8_bb.num_agpr, 0
	.set _ZN9rocsolver6v33100L18getri_kernel_smallILi38E19rocblas_complex_numIfEPKPS3_EEvT1_iilPiilS8_bb.numbered_sgpr, 19
	.set _ZN9rocsolver6v33100L18getri_kernel_smallILi38E19rocblas_complex_numIfEPKPS3_EEvT1_iilPiilS8_bb.num_named_barrier, 0
	.set _ZN9rocsolver6v33100L18getri_kernel_smallILi38E19rocblas_complex_numIfEPKPS3_EEvT1_iilPiilS8_bb.private_seg_size, 320
	.set _ZN9rocsolver6v33100L18getri_kernel_smallILi38E19rocblas_complex_numIfEPKPS3_EEvT1_iilPiilS8_bb.uses_vcc, 1
	.set _ZN9rocsolver6v33100L18getri_kernel_smallILi38E19rocblas_complex_numIfEPKPS3_EEvT1_iilPiilS8_bb.uses_flat_scratch, 1
	.set _ZN9rocsolver6v33100L18getri_kernel_smallILi38E19rocblas_complex_numIfEPKPS3_EEvT1_iilPiilS8_bb.has_dyn_sized_stack, 0
	.set _ZN9rocsolver6v33100L18getri_kernel_smallILi38E19rocblas_complex_numIfEPKPS3_EEvT1_iilPiilS8_bb.has_recursion, 0
	.set _ZN9rocsolver6v33100L18getri_kernel_smallILi38E19rocblas_complex_numIfEPKPS3_EEvT1_iilPiilS8_bb.has_indirect_call, 0
	.section	.AMDGPU.csdata,"",@progbits
; Kernel info:
; codeLenInByte = 59120
; TotalNumSgprs: 21
; NumVgprs: 244
; ScratchSize: 320
; MemoryBound: 0
; FloatMode: 240
; IeeeMode: 1
; LDSByteSize: 612 bytes/workgroup (compile time only)
; SGPRBlocks: 0
; VGPRBlocks: 15
; NumSGPRsForWavesPerEU: 21
; NumVGPRsForWavesPerEU: 244
; NamedBarCnt: 0
; Occupancy: 4
; WaveLimiterHint : 1
; COMPUTE_PGM_RSRC2:SCRATCH_EN: 1
; COMPUTE_PGM_RSRC2:USER_SGPR: 2
; COMPUTE_PGM_RSRC2:TRAP_HANDLER: 0
; COMPUTE_PGM_RSRC2:TGID_X_EN: 1
; COMPUTE_PGM_RSRC2:TGID_Y_EN: 0
; COMPUTE_PGM_RSRC2:TGID_Z_EN: 0
; COMPUTE_PGM_RSRC2:TIDIG_COMP_CNT: 0
	.section	.text._ZN9rocsolver6v33100L18getri_kernel_smallILi39E19rocblas_complex_numIfEPKPS3_EEvT1_iilPiilS8_bb,"axG",@progbits,_ZN9rocsolver6v33100L18getri_kernel_smallILi39E19rocblas_complex_numIfEPKPS3_EEvT1_iilPiilS8_bb,comdat
	.globl	_ZN9rocsolver6v33100L18getri_kernel_smallILi39E19rocblas_complex_numIfEPKPS3_EEvT1_iilPiilS8_bb ; -- Begin function _ZN9rocsolver6v33100L18getri_kernel_smallILi39E19rocblas_complex_numIfEPKPS3_EEvT1_iilPiilS8_bb
	.p2align	8
	.type	_ZN9rocsolver6v33100L18getri_kernel_smallILi39E19rocblas_complex_numIfEPKPS3_EEvT1_iilPiilS8_bb,@function
_ZN9rocsolver6v33100L18getri_kernel_smallILi39E19rocblas_complex_numIfEPKPS3_EEvT1_iilPiilS8_bb: ; @_ZN9rocsolver6v33100L18getri_kernel_smallILi39E19rocblas_complex_numIfEPKPS3_EEvT1_iilPiilS8_bb
; %bb.0:
	s_mov_b32 s2, exec_lo
	v_cmpx_gt_u32_e32 39, v0
	s_cbranch_execz .LBB102_170
; %bb.1:
	s_clause 0x1
	s_load_b32 s13, s[0:1], 0x38
	s_load_b64 s[2:3], s[0:1], 0x0
	s_getreg_b32 s6, hwreg(HW_REG_IB_STS2, 6, 4)
	s_wait_kmcnt 0x0
	s_bitcmp1_b32 s13, 8
	s_cselect_b32 s12, -1, 0
	s_bfe_u32 s4, ttmp6, 0x4000c
	s_and_b32 s5, ttmp6, 15
	s_add_co_i32 s4, s4, 1
	s_delay_alu instid0(SALU_CYCLE_1) | instskip(NEXT) | instid1(SALU_CYCLE_1)
	s_mul_i32 s4, ttmp9, s4
	s_add_co_i32 s5, s5, s4
	s_cmp_eq_u32 s6, 0
	s_cselect_b32 s10, ttmp9, s5
	s_load_b128 s[4:7], s[0:1], 0x28
	s_ashr_i32 s11, s10, 31
	s_delay_alu instid0(SALU_CYCLE_1) | instskip(NEXT) | instid1(SALU_CYCLE_1)
	s_lshl_b64 s[8:9], s[10:11], 3
	s_add_nc_u64 s[2:3], s[2:3], s[8:9]
	s_bfe_u32 s8, s13, 0x10008
	s_load_b64 s[2:3], s[2:3], 0x0
	s_cmp_eq_u32 s8, 0
                                        ; implicit-def: $sgpr8_sgpr9
	s_cbranch_scc1 .LBB102_3
; %bb.2:
	s_load_b96 s[16:18], s[0:1], 0x18
	s_wait_kmcnt 0x0
	s_mul_u64 s[4:5], s[4:5], s[10:11]
	s_delay_alu instid0(SALU_CYCLE_1) | instskip(SKIP_4) | instid1(SALU_CYCLE_1)
	s_lshl_b64 s[4:5], s[4:5], 2
	s_ashr_i32 s9, s18, 31
	s_mov_b32 s8, s18
	s_add_nc_u64 s[4:5], s[16:17], s[4:5]
	s_lshl_b64 s[8:9], s[8:9], 2
	s_add_nc_u64 s[8:9], s[4:5], s[8:9]
.LBB102_3:
	s_wait_kmcnt 0x0
	s_clause 0x1
	s_load_b64 s[4:5], s[0:1], 0x8
	s_load_b32 s13, s[0:1], 0x38
	v_dual_mov_b32 v81, 0 :: v_dual_lshlrev_b32 v80, 3, v0
	s_wait_kmcnt 0x0
	s_ashr_i32 s1, s4, 31
	s_mov_b32 s0, s4
	s_delay_alu instid0(SALU_CYCLE_1) | instskip(NEXT) | instid1(SALU_CYCLE_1)
	s_lshl_b64 s[0:1], s[0:1], 3
	s_add_nc_u64 s[2:3], s[2:3], s[0:1]
	s_ashr_i32 s1, s5, 31
	flat_load_b64 v[6:7], v0, s[2:3] scale_offset
	v_add_nc_u64_e32 v[2:3], s[2:3], v[80:81]
	s_mov_b32 s0, s5
	s_bitcmp0_b32 s13, 0
	s_delay_alu instid0(VALU_DEP_1)
	v_lshl_add_u64 v[4:5], s[0:1], 3, v[2:3]
	s_mov_b32 s1, -1
	s_wait_loadcnt_dscnt 0x0
	scratch_store_b64 off, v[6:7], off
	flat_load_b64 v[8:9], v[4:5]
	s_wait_xcnt 0x1
	v_add3_u32 v6, s5, s5, v0
	s_wait_loadcnt_dscnt 0x0
	scratch_store_b64 off, v[8:9], off offset:8
	flat_load_b64 v[10:11], v6, s[2:3] scale_offset
	s_wait_xcnt 0x1
	v_add_nc_u32_e32 v8, s5, v6
	s_wait_loadcnt_dscnt 0x0
	scratch_store_b64 off, v[10:11], off offset:16
	flat_load_b64 v[12:13], v8, s[2:3] scale_offset
	s_wait_xcnt 0x1
	v_add_nc_u32_e32 v10, s5, v8
	;; [unrolled: 5-line block ×36, first 2 shown]
	s_wait_loadcnt_dscnt 0x0
	scratch_store_b64 off, v[82:83], off offset:296
	flat_load_b64 v[82:83], v78, s[2:3] scale_offset
	s_wait_loadcnt_dscnt 0x0
	scratch_store_b64 off, v[82:83], off offset:304
	s_cbranch_scc1 .LBB102_168
; %bb.4:
	v_cmp_eq_u32_e64 s0, 0, v0
	s_wait_xcnt 0x0
	s_and_saveexec_b32 s1, s0
; %bb.5:
	v_mov_b32_e32 v1, 0
	ds_store_b32 v1, v1 offset:312
; %bb.6:
	s_or_b32 exec_lo, exec_lo, s1
	s_wait_storecnt_dscnt 0x0
	s_barrier_signal -1
	s_barrier_wait -1
	scratch_load_b64 v[82:83], v0, off scale_offset
	s_wait_loadcnt 0x0
	v_cmp_eq_f32_e32 vcc_lo, 0, v82
	v_cmp_eq_f32_e64 s1, 0, v83
	s_and_b32 s1, vcc_lo, s1
	s_delay_alu instid0(SALU_CYCLE_1)
	s_and_saveexec_b32 s4, s1
	s_cbranch_execz .LBB102_10
; %bb.7:
	v_mov_b32_e32 v1, 0
	s_mov_b32 s5, 0
	ds_load_b32 v7, v1 offset:312
	s_wait_dscnt 0x0
	v_readfirstlane_b32 s1, v7
	v_add_nc_u32_e32 v7, 1, v0
	s_cmp_eq_u32 s1, 0
	s_delay_alu instid0(VALU_DEP_1) | instskip(SKIP_1) | instid1(SALU_CYCLE_1)
	v_cmp_gt_i32_e32 vcc_lo, s1, v7
	s_cselect_b32 s13, -1, 0
	s_or_b32 s13, s13, vcc_lo
	s_delay_alu instid0(SALU_CYCLE_1)
	s_and_b32 exec_lo, exec_lo, s13
	s_cbranch_execz .LBB102_10
; %bb.8:
	v_mov_b32_e32 v9, s1
.LBB102_9:                              ; =>This Inner Loop Header: Depth=1
	ds_cmpstore_rtn_b32 v9, v1, v7, v9 offset:312
	s_wait_dscnt 0x0
	v_cmp_ne_u32_e32 vcc_lo, 0, v9
	v_cmp_le_i32_e64 s1, v9, v7
	s_and_b32 s1, vcc_lo, s1
	s_delay_alu instid0(SALU_CYCLE_1) | instskip(NEXT) | instid1(SALU_CYCLE_1)
	s_and_b32 s1, exec_lo, s1
	s_or_b32 s5, s1, s5
	s_delay_alu instid0(SALU_CYCLE_1)
	s_and_not1_b32 exec_lo, exec_lo, s5
	s_cbranch_execnz .LBB102_9
.LBB102_10:
	s_or_b32 exec_lo, exec_lo, s4
	v_mov_b32_e32 v1, 0
	s_barrier_signal -1
	s_barrier_wait -1
	ds_load_b32 v7, v1 offset:312
	s_and_saveexec_b32 s1, s0
	s_cbranch_execz .LBB102_12
; %bb.11:
	s_lshl_b64 s[4:5], s[10:11], 2
	s_delay_alu instid0(SALU_CYCLE_1)
	s_add_nc_u64 s[4:5], s[6:7], s[4:5]
	s_wait_dscnt 0x0
	global_store_b32 v1, v7, s[4:5]
.LBB102_12:
	s_wait_xcnt 0x0
	s_or_b32 exec_lo, exec_lo, s1
	s_wait_dscnt 0x0
	v_cmp_ne_u32_e32 vcc_lo, 0, v7
	s_mov_b32 s1, 0
	s_cbranch_vccnz .LBB102_168
; %bb.13:
	v_lshl_add_u32 v7, v0, 3, 0
                                        ; implicit-def: $vgpr85
                                        ; implicit-def: $vgpr86
	scratch_load_b64 v[82:83], v7, off
	s_wait_loadcnt 0x0
	v_cmp_ngt_f32_e64 s1, |v82|, |v83|
	s_wait_xcnt 0x0
	s_and_saveexec_b32 s4, s1
	s_delay_alu instid0(SALU_CYCLE_1)
	s_xor_b32 s1, exec_lo, s4
	s_cbranch_execz .LBB102_15
; %bb.14:
	v_div_scale_f32 v1, null, v83, v83, v82
	v_div_scale_f32 v13, vcc_lo, v82, v83, v82
	s_delay_alu instid0(VALU_DEP_2) | instskip(SKIP_1) | instid1(TRANS32_DEP_1)
	v_rcp_f32_e32 v9, v1
	v_nop
	v_fma_f32 v11, -v1, v9, 1.0
	s_delay_alu instid0(VALU_DEP_1) | instskip(NEXT) | instid1(VALU_DEP_1)
	v_fmac_f32_e32 v9, v11, v9
	v_mul_f32_e32 v11, v13, v9
	s_delay_alu instid0(VALU_DEP_1) | instskip(NEXT) | instid1(VALU_DEP_1)
	v_fma_f32 v15, -v1, v11, v13
	v_fmac_f32_e32 v11, v15, v9
	s_delay_alu instid0(VALU_DEP_1) | instskip(NEXT) | instid1(VALU_DEP_1)
	v_fma_f32 v1, -v1, v11, v13
	v_div_fmas_f32 v1, v1, v9, v11
	s_delay_alu instid0(VALU_DEP_1) | instskip(NEXT) | instid1(VALU_DEP_1)
	v_div_fixup_f32 v1, v1, v83, v82
	v_fmac_f32_e32 v83, v82, v1
	s_delay_alu instid0(VALU_DEP_1) | instskip(NEXT) | instid1(VALU_DEP_1)
	v_div_scale_f32 v9, null, v83, v83, -1.0
	v_rcp_f32_e32 v11, v9
	v_nop
	s_delay_alu instid0(TRANS32_DEP_1) | instskip(NEXT) | instid1(VALU_DEP_1)
	v_fma_f32 v13, -v9, v11, 1.0
	v_fmac_f32_e32 v11, v13, v11
	v_div_scale_f32 v13, vcc_lo, -1.0, v83, -1.0
	s_delay_alu instid0(VALU_DEP_1) | instskip(NEXT) | instid1(VALU_DEP_1)
	v_mul_f32_e32 v15, v13, v11
	v_fma_f32 v17, -v9, v15, v13
	s_delay_alu instid0(VALU_DEP_1) | instskip(NEXT) | instid1(VALU_DEP_1)
	v_fmac_f32_e32 v15, v17, v11
	v_fma_f32 v9, -v9, v15, v13
	s_delay_alu instid0(VALU_DEP_1) | instskip(NEXT) | instid1(VALU_DEP_1)
	v_div_fmas_f32 v9, v9, v11, v15
	v_div_fixup_f32 v85, v9, v83, -1.0
                                        ; implicit-def: $vgpr82_vgpr83
	s_delay_alu instid0(VALU_DEP_1) | instskip(NEXT) | instid1(VALU_DEP_1)
	v_mul_f32_e32 v86, v1, v85
	v_xor_b32_e32 v84, 0x80000000, v86
.LBB102_15:
	s_and_not1_saveexec_b32 s1, s1
	s_cbranch_execz .LBB102_17
; %bb.16:
	v_div_scale_f32 v1, null, v82, v82, v83
	v_div_scale_f32 v13, vcc_lo, v83, v82, v83
	s_delay_alu instid0(VALU_DEP_2) | instskip(SKIP_1) | instid1(TRANS32_DEP_1)
	v_rcp_f32_e32 v9, v1
	v_nop
	v_fma_f32 v11, -v1, v9, 1.0
	s_delay_alu instid0(VALU_DEP_1) | instskip(NEXT) | instid1(VALU_DEP_1)
	v_fmac_f32_e32 v9, v11, v9
	v_mul_f32_e32 v11, v13, v9
	s_delay_alu instid0(VALU_DEP_1) | instskip(NEXT) | instid1(VALU_DEP_1)
	v_fma_f32 v15, -v1, v11, v13
	v_fmac_f32_e32 v11, v15, v9
	s_delay_alu instid0(VALU_DEP_1) | instskip(NEXT) | instid1(VALU_DEP_1)
	v_fma_f32 v1, -v1, v11, v13
	v_div_fmas_f32 v1, v1, v9, v11
	s_delay_alu instid0(VALU_DEP_1) | instskip(NEXT) | instid1(VALU_DEP_1)
	v_div_fixup_f32 v1, v1, v82, v83
	v_fmac_f32_e32 v82, v83, v1
	s_delay_alu instid0(VALU_DEP_1) | instskip(SKIP_1) | instid1(VALU_DEP_2)
	v_div_scale_f32 v9, null, v82, v82, 1.0
	v_div_scale_f32 v15, vcc_lo, 1.0, v82, 1.0
	v_rcp_f32_e32 v11, v9
	v_nop
	s_delay_alu instid0(TRANS32_DEP_1) | instskip(NEXT) | instid1(VALU_DEP_1)
	v_fma_f32 v13, -v9, v11, 1.0
	v_fmac_f32_e32 v11, v13, v11
	s_delay_alu instid0(VALU_DEP_1) | instskip(NEXT) | instid1(VALU_DEP_1)
	v_mul_f32_e32 v13, v15, v11
	v_fma_f32 v17, -v9, v13, v15
	s_delay_alu instid0(VALU_DEP_1) | instskip(NEXT) | instid1(VALU_DEP_1)
	v_fmac_f32_e32 v13, v17, v11
	v_fma_f32 v9, -v9, v13, v15
	s_delay_alu instid0(VALU_DEP_1) | instskip(NEXT) | instid1(VALU_DEP_1)
	v_div_fmas_f32 v9, v9, v11, v13
	v_div_fixup_f32 v84, v9, v82, 1.0
	s_delay_alu instid0(VALU_DEP_1)
	v_xor_b32_e32 v86, 0x80000000, v84
	v_mul_f32_e64 v85, v1, -v84
.LBB102_17:
	s_or_b32 exec_lo, exec_lo, s1
	scratch_store_b64 v7, v[84:85], off
	scratch_load_b64 v[82:83], off, off offset:8
	v_xor_b32_e32 v87, 0x80000000, v85
	v_add_nc_u32_e32 v1, 0x140, v80
	s_wait_loadcnt 0x0
	ds_store_2addr_b64 v80, v[86:87], v[82:83] offset1:40
	s_wait_storecnt_dscnt 0x0
	s_barrier_signal -1
	s_barrier_wait -1
	s_wait_xcnt 0x0
	s_and_saveexec_b32 s1, s0
	s_cbranch_execz .LBB102_19
; %bb.18:
	scratch_load_b64 v[82:83], v7, off
	ds_load_b64 v[84:85], v1
	s_wait_loadcnt_dscnt 0x0
	v_pk_mul_f32 v[88:89], v[84:85], v[82:83] op_sel:[1,1] op_sel_hi:[0,1]
	s_delay_alu instid0(VALU_DEP_1) | instskip(SKIP_2) | instid1(VALU_DEP_3)
	v_pk_fma_f32 v[90:91], v[84:85], v[82:83], v[88:89] op_sel_hi:[1,0,1]
	v_mov_b32_e32 v9, 0
	v_pk_fma_f32 v[82:83], v[84:85], v[82:83], v[88:89] neg_lo:[0,0,1] neg_hi:[0,0,1]
	v_mov_b32_e32 v83, v91
	ds_load_b64 v[86:87], v9 offset:8
	v_pk_add_f32 v[82:83], v[82:83], 0 op_sel_hi:[1,0]
	s_wait_dscnt 0x0
	s_delay_alu instid0(VALU_DEP_1) | instskip(NEXT) | instid1(VALU_DEP_1)
	v_pk_mul_f32 v[84:85], v[82:83], v[86:87] op_sel:[1,1] op_sel_hi:[0,1]
	v_pk_fma_f32 v[88:89], v[82:83], v[86:87], v[84:85] op_sel_hi:[1,0,1]
	v_pk_fma_f32 v[82:83], v[82:83], v[86:87], v[84:85] neg_lo:[0,0,1] neg_hi:[0,0,1]
	s_delay_alu instid0(VALU_DEP_2)
	v_mov_b32_e32 v83, v89
	scratch_store_b64 off, v[82:83], off offset:8
.LBB102_19:
	s_wait_xcnt 0x0
	s_or_b32 exec_lo, exec_lo, s1
	s_wait_storecnt 0x0
	s_barrier_signal -1
	s_barrier_wait -1
	scratch_load_b64 v[82:83], off, off offset:16
	s_mov_b32 s1, exec_lo
	s_wait_loadcnt 0x0
	ds_store_b64 v1, v[82:83]
	s_wait_dscnt 0x0
	s_barrier_signal -1
	s_barrier_wait -1
	v_cmpx_gt_u32_e32 2, v0
	s_cbranch_execz .LBB102_23
; %bb.20:
	scratch_load_b64 v[82:83], v7, off
	ds_load_b64 v[84:85], v1
	s_wait_loadcnt_dscnt 0x0
	v_pk_mul_f32 v[86:87], v[84:85], v[82:83] op_sel:[1,1] op_sel_hi:[0,1]
	s_delay_alu instid0(VALU_DEP_1) | instskip(SKIP_1) | instid1(VALU_DEP_2)
	v_pk_fma_f32 v[88:89], v[84:85], v[82:83], v[86:87] op_sel_hi:[1,0,1]
	v_pk_fma_f32 v[82:83], v[84:85], v[82:83], v[86:87] neg_lo:[0,0,1] neg_hi:[0,0,1]
	v_mov_b32_e32 v83, v89
	s_delay_alu instid0(VALU_DEP_1)
	v_pk_add_f32 v[82:83], v[82:83], 0 op_sel_hi:[1,0]
	s_and_saveexec_b32 s4, s0
	s_cbranch_execz .LBB102_22
; %bb.21:
	scratch_load_b64 v[84:85], off, off offset:8
	v_mov_b32_e32 v7, 0
	ds_load_b64 v[86:87], v7 offset:328
	s_wait_loadcnt_dscnt 0x0
	v_pk_mul_f32 v[88:89], v[86:87], v[84:85] op_sel:[1,1] op_sel_hi:[0,1]
	s_delay_alu instid0(VALU_DEP_1) | instskip(SKIP_1) | instid1(VALU_DEP_2)
	v_pk_fma_f32 v[90:91], v[86:87], v[84:85], v[88:89] op_sel_hi:[1,0,1]
	v_pk_fma_f32 v[84:85], v[86:87], v[84:85], v[88:89] neg_lo:[0,0,1] neg_hi:[0,0,1]
	v_mov_b32_e32 v85, v91
	s_delay_alu instid0(VALU_DEP_1)
	v_pk_add_f32 v[82:83], v[82:83], v[84:85]
.LBB102_22:
	s_or_b32 exec_lo, exec_lo, s4
	v_mov_b32_e32 v7, 0
	ds_load_b64 v[84:85], v7 offset:16
	s_wait_dscnt 0x0
	v_pk_mul_f32 v[86:87], v[82:83], v[84:85] op_sel:[1,1] op_sel_hi:[0,1]
	s_delay_alu instid0(VALU_DEP_1) | instskip(SKIP_1) | instid1(VALU_DEP_2)
	v_pk_fma_f32 v[88:89], v[82:83], v[84:85], v[86:87] op_sel_hi:[1,0,1]
	v_pk_fma_f32 v[82:83], v[82:83], v[84:85], v[86:87] neg_lo:[0,0,1] neg_hi:[0,0,1]
	v_mov_b32_e32 v83, v89
	scratch_store_b64 off, v[82:83], off offset:16
.LBB102_23:
	s_wait_xcnt 0x0
	s_or_b32 exec_lo, exec_lo, s1
	s_wait_storecnt 0x0
	s_barrier_signal -1
	s_barrier_wait -1
	scratch_load_b64 v[82:83], off, off offset:24
	v_add_nc_u32_e32 v7, -1, v0
	s_mov_b32 s0, exec_lo
	s_wait_loadcnt 0x0
	ds_store_b64 v1, v[82:83]
	s_wait_dscnt 0x0
	s_barrier_signal -1
	s_barrier_wait -1
	v_cmpx_gt_u32_e32 3, v0
	s_cbranch_execz .LBB102_27
; %bb.24:
	v_dual_mov_b32 v82, 0 :: v_dual_add_nc_u32 v9, -1, v0
	v_add_nc_u32_e32 v11, 0x140, v80
	v_mov_b32_e32 v13, v80
	s_mov_b32 s1, 0
	s_delay_alu instid0(VALU_DEP_3)
	v_mov_b32_e32 v83, v82
.LBB102_25:                             ; =>This Inner Loop Header: Depth=1
	scratch_load_b64 v[84:85], v13, off
	ds_load_b64 v[86:87], v11
	s_wait_xcnt 0x0
	v_dual_add_nc_u32 v11, 8, v11 :: v_dual_add_nc_u32 v13, 8, v13
	s_wait_loadcnt_dscnt 0x0
	v_pk_mul_f32 v[88:89], v[86:87], v[84:85] op_sel:[1,1] op_sel_hi:[0,1]
	s_delay_alu instid0(VALU_DEP_1) | instskip(SKIP_2) | instid1(VALU_DEP_3)
	v_pk_fma_f32 v[90:91], v[86:87], v[84:85], v[88:89] op_sel_hi:[1,0,1]
	v_add_nc_u32_e32 v9, 1, v9
	v_pk_fma_f32 v[84:85], v[86:87], v[84:85], v[88:89] neg_lo:[0,0,1] neg_hi:[0,0,1]
	v_mov_b32_e32 v85, v91
	s_delay_alu instid0(VALU_DEP_3) | instskip(NEXT) | instid1(VALU_DEP_2)
	v_cmp_lt_u32_e32 vcc_lo, 1, v9
	v_pk_add_f32 v[82:83], v[82:83], v[84:85]
	s_or_b32 s1, vcc_lo, s1
	s_delay_alu instid0(SALU_CYCLE_1)
	s_and_not1_b32 exec_lo, exec_lo, s1
	s_cbranch_execnz .LBB102_25
; %bb.26:
	s_or_b32 exec_lo, exec_lo, s1
	v_mov_b32_e32 v9, 0
	ds_load_b64 v[84:85], v9 offset:24
	s_wait_dscnt 0x0
	v_pk_mul_f32 v[86:87], v[82:83], v[84:85] op_sel:[1,1] op_sel_hi:[0,1]
	s_delay_alu instid0(VALU_DEP_1) | instskip(SKIP_1) | instid1(VALU_DEP_2)
	v_pk_fma_f32 v[88:89], v[82:83], v[84:85], v[86:87] op_sel_hi:[1,0,1]
	v_pk_fma_f32 v[82:83], v[82:83], v[84:85], v[86:87] neg_lo:[0,0,1] neg_hi:[0,0,1]
	v_mov_b32_e32 v83, v89
	scratch_store_b64 off, v[82:83], off offset:24
.LBB102_27:
	s_wait_xcnt 0x0
	s_or_b32 exec_lo, exec_lo, s0
	s_wait_storecnt 0x0
	s_barrier_signal -1
	s_barrier_wait -1
	scratch_load_b64 v[82:83], off, off offset:32
	s_mov_b32 s0, exec_lo
	s_wait_loadcnt 0x0
	ds_store_b64 v1, v[82:83]
	s_wait_dscnt 0x0
	s_barrier_signal -1
	s_barrier_wait -1
	v_cmpx_gt_u32_e32 4, v0
	s_cbranch_execz .LBB102_31
; %bb.28:
	v_dual_mov_b32 v82, 0 :: v_dual_add_nc_u32 v9, -1, v0
	v_add_nc_u32_e32 v11, 0x140, v80
	v_mov_b32_e32 v13, v80
	s_mov_b32 s1, 0
	s_delay_alu instid0(VALU_DEP_3)
	v_mov_b32_e32 v83, v82
.LBB102_29:                             ; =>This Inner Loop Header: Depth=1
	scratch_load_b64 v[84:85], v13, off
	ds_load_b64 v[86:87], v11
	s_wait_xcnt 0x0
	v_dual_add_nc_u32 v11, 8, v11 :: v_dual_add_nc_u32 v13, 8, v13
	s_wait_loadcnt_dscnt 0x0
	v_pk_mul_f32 v[88:89], v[86:87], v[84:85] op_sel:[1,1] op_sel_hi:[0,1]
	s_delay_alu instid0(VALU_DEP_1) | instskip(SKIP_2) | instid1(VALU_DEP_3)
	v_pk_fma_f32 v[90:91], v[86:87], v[84:85], v[88:89] op_sel_hi:[1,0,1]
	v_add_nc_u32_e32 v9, 1, v9
	v_pk_fma_f32 v[84:85], v[86:87], v[84:85], v[88:89] neg_lo:[0,0,1] neg_hi:[0,0,1]
	v_mov_b32_e32 v85, v91
	s_delay_alu instid0(VALU_DEP_3) | instskip(NEXT) | instid1(VALU_DEP_2)
	v_cmp_lt_u32_e32 vcc_lo, 2, v9
	v_pk_add_f32 v[82:83], v[82:83], v[84:85]
	s_or_b32 s1, vcc_lo, s1
	s_delay_alu instid0(SALU_CYCLE_1)
	s_and_not1_b32 exec_lo, exec_lo, s1
	s_cbranch_execnz .LBB102_29
; %bb.30:
	s_or_b32 exec_lo, exec_lo, s1
	v_mov_b32_e32 v9, 0
	ds_load_b64 v[84:85], v9 offset:32
	s_wait_dscnt 0x0
	v_pk_mul_f32 v[86:87], v[82:83], v[84:85] op_sel:[1,1] op_sel_hi:[0,1]
	s_delay_alu instid0(VALU_DEP_1) | instskip(SKIP_1) | instid1(VALU_DEP_2)
	v_pk_fma_f32 v[88:89], v[82:83], v[84:85], v[86:87] op_sel_hi:[1,0,1]
	v_pk_fma_f32 v[82:83], v[82:83], v[84:85], v[86:87] neg_lo:[0,0,1] neg_hi:[0,0,1]
	v_mov_b32_e32 v83, v89
	scratch_store_b64 off, v[82:83], off offset:32
.LBB102_31:
	s_wait_xcnt 0x0
	s_or_b32 exec_lo, exec_lo, s0
	s_wait_storecnt 0x0
	s_barrier_signal -1
	s_barrier_wait -1
	scratch_load_b64 v[82:83], off, off offset:40
	;; [unrolled: 52-line block ×19, first 2 shown]
	s_mov_b32 s0, exec_lo
	s_wait_loadcnt 0x0
	ds_store_b64 v1, v[82:83]
	s_wait_dscnt 0x0
	s_barrier_signal -1
	s_barrier_wait -1
	v_cmpx_gt_u32_e32 22, v0
	s_cbranch_execz .LBB102_103
; %bb.100:
	v_dual_mov_b32 v82, 0 :: v_dual_add_nc_u32 v9, -1, v0
	v_add_nc_u32_e32 v11, 0x140, v80
	v_mov_b32_e32 v13, v80
	s_mov_b32 s1, 0
	s_delay_alu instid0(VALU_DEP_3)
	v_mov_b32_e32 v83, v82
.LBB102_101:                            ; =>This Inner Loop Header: Depth=1
	scratch_load_b64 v[84:85], v13, off
	ds_load_b64 v[86:87], v11
	s_wait_xcnt 0x0
	v_dual_add_nc_u32 v11, 8, v11 :: v_dual_add_nc_u32 v13, 8, v13
	s_wait_loadcnt_dscnt 0x0
	v_pk_mul_f32 v[88:89], v[86:87], v[84:85] op_sel:[1,1] op_sel_hi:[0,1]
	s_delay_alu instid0(VALU_DEP_1) | instskip(SKIP_2) | instid1(VALU_DEP_3)
	v_pk_fma_f32 v[90:91], v[86:87], v[84:85], v[88:89] op_sel_hi:[1,0,1]
	v_add_nc_u32_e32 v9, 1, v9
	v_pk_fma_f32 v[84:85], v[86:87], v[84:85], v[88:89] neg_lo:[0,0,1] neg_hi:[0,0,1]
	v_mov_b32_e32 v85, v91
	s_delay_alu instid0(VALU_DEP_3) | instskip(NEXT) | instid1(VALU_DEP_2)
	v_cmp_lt_u32_e32 vcc_lo, 20, v9
	v_pk_add_f32 v[82:83], v[82:83], v[84:85]
	s_or_b32 s1, vcc_lo, s1
	s_delay_alu instid0(SALU_CYCLE_1)
	s_and_not1_b32 exec_lo, exec_lo, s1
	s_cbranch_execnz .LBB102_101
; %bb.102:
	s_or_b32 exec_lo, exec_lo, s1
	v_mov_b32_e32 v9, 0
	ds_load_b64 v[84:85], v9 offset:176
	s_wait_dscnt 0x0
	v_pk_mul_f32 v[86:87], v[82:83], v[84:85] op_sel:[1,1] op_sel_hi:[0,1]
	s_delay_alu instid0(VALU_DEP_1) | instskip(SKIP_1) | instid1(VALU_DEP_2)
	v_pk_fma_f32 v[88:89], v[82:83], v[84:85], v[86:87] op_sel_hi:[1,0,1]
	v_pk_fma_f32 v[82:83], v[82:83], v[84:85], v[86:87] neg_lo:[0,0,1] neg_hi:[0,0,1]
	v_mov_b32_e32 v83, v89
	scratch_store_b64 off, v[82:83], off offset:176
.LBB102_103:
	s_wait_xcnt 0x0
	s_or_b32 exec_lo, exec_lo, s0
	s_wait_storecnt 0x0
	s_barrier_signal -1
	s_barrier_wait -1
	scratch_load_b64 v[82:83], off, off offset:184
	s_mov_b32 s0, exec_lo
	s_wait_loadcnt 0x0
	ds_store_b64 v1, v[82:83]
	s_wait_dscnt 0x0
	s_barrier_signal -1
	s_barrier_wait -1
	v_cmpx_gt_u32_e32 23, v0
	s_cbranch_execz .LBB102_107
; %bb.104:
	v_dual_mov_b32 v82, 0 :: v_dual_add_nc_u32 v9, -1, v0
	v_add_nc_u32_e32 v11, 0x140, v80
	v_mov_b32_e32 v13, v80
	s_mov_b32 s1, 0
	s_delay_alu instid0(VALU_DEP_3)
	v_mov_b32_e32 v83, v82
.LBB102_105:                            ; =>This Inner Loop Header: Depth=1
	scratch_load_b64 v[84:85], v13, off
	ds_load_b64 v[86:87], v11
	s_wait_xcnt 0x0
	v_dual_add_nc_u32 v11, 8, v11 :: v_dual_add_nc_u32 v13, 8, v13
	s_wait_loadcnt_dscnt 0x0
	v_pk_mul_f32 v[88:89], v[86:87], v[84:85] op_sel:[1,1] op_sel_hi:[0,1]
	s_delay_alu instid0(VALU_DEP_1) | instskip(SKIP_2) | instid1(VALU_DEP_3)
	v_pk_fma_f32 v[90:91], v[86:87], v[84:85], v[88:89] op_sel_hi:[1,0,1]
	v_add_nc_u32_e32 v9, 1, v9
	v_pk_fma_f32 v[84:85], v[86:87], v[84:85], v[88:89] neg_lo:[0,0,1] neg_hi:[0,0,1]
	v_mov_b32_e32 v85, v91
	s_delay_alu instid0(VALU_DEP_3) | instskip(NEXT) | instid1(VALU_DEP_2)
	v_cmp_lt_u32_e32 vcc_lo, 21, v9
	v_pk_add_f32 v[82:83], v[82:83], v[84:85]
	s_or_b32 s1, vcc_lo, s1
	s_delay_alu instid0(SALU_CYCLE_1)
	s_and_not1_b32 exec_lo, exec_lo, s1
	s_cbranch_execnz .LBB102_105
; %bb.106:
	s_or_b32 exec_lo, exec_lo, s1
	v_mov_b32_e32 v9, 0
	ds_load_b64 v[84:85], v9 offset:184
	s_wait_dscnt 0x0
	v_pk_mul_f32 v[86:87], v[82:83], v[84:85] op_sel:[1,1] op_sel_hi:[0,1]
	s_delay_alu instid0(VALU_DEP_1) | instskip(SKIP_1) | instid1(VALU_DEP_2)
	v_pk_fma_f32 v[88:89], v[82:83], v[84:85], v[86:87] op_sel_hi:[1,0,1]
	v_pk_fma_f32 v[82:83], v[82:83], v[84:85], v[86:87] neg_lo:[0,0,1] neg_hi:[0,0,1]
	v_mov_b32_e32 v83, v89
	scratch_store_b64 off, v[82:83], off offset:184
.LBB102_107:
	s_wait_xcnt 0x0
	s_or_b32 exec_lo, exec_lo, s0
	s_wait_storecnt 0x0
	s_barrier_signal -1
	s_barrier_wait -1
	scratch_load_b64 v[82:83], off, off offset:192
	;; [unrolled: 52-line block ×16, first 2 shown]
	s_mov_b32 s0, exec_lo
	s_wait_loadcnt 0x0
	ds_store_b64 v1, v[82:83]
	s_wait_dscnt 0x0
	s_barrier_signal -1
	s_barrier_wait -1
	v_cmpx_ne_u32_e32 38, v0
	s_cbranch_execz .LBB102_167
; %bb.164:
	v_dual_mov_b32 v82, 0 :: v_dual_mov_b32 v9, v80
	s_mov_b32 s1, 0
	s_delay_alu instid0(VALU_DEP_1)
	v_mov_b32_e32 v83, v82
.LBB102_165:                            ; =>This Inner Loop Header: Depth=1
	scratch_load_b64 v[80:81], v9, off
	ds_load_b64 v[84:85], v1
	v_add_nc_u32_e32 v1, 8, v1
	s_wait_xcnt 0x0
	v_add_nc_u32_e32 v9, 8, v9
	s_wait_loadcnt_dscnt 0x0
	v_pk_mul_f32 v[86:87], v[84:85], v[80:81] op_sel:[1,1] op_sel_hi:[0,1]
	s_delay_alu instid0(VALU_DEP_1) | instskip(SKIP_2) | instid1(VALU_DEP_3)
	v_pk_fma_f32 v[88:89], v[84:85], v[80:81], v[86:87] op_sel_hi:[1,0,1]
	v_add_nc_u32_e32 v7, 1, v7
	v_pk_fma_f32 v[80:81], v[84:85], v[80:81], v[86:87] neg_lo:[0,0,1] neg_hi:[0,0,1]
	v_mov_b32_e32 v81, v89
	s_delay_alu instid0(VALU_DEP_3) | instskip(NEXT) | instid1(VALU_DEP_2)
	v_cmp_lt_u32_e32 vcc_lo, 36, v7
	v_pk_add_f32 v[82:83], v[82:83], v[80:81]
	s_or_b32 s1, vcc_lo, s1
	s_delay_alu instid0(SALU_CYCLE_1)
	s_and_not1_b32 exec_lo, exec_lo, s1
	s_cbranch_execnz .LBB102_165
; %bb.166:
	s_or_b32 exec_lo, exec_lo, s1
	v_mov_b32_e32 v1, 0
	ds_load_b64 v[80:81], v1 offset:304
	s_wait_dscnt 0x0
	v_pk_mul_f32 v[84:85], v[82:83], v[80:81] op_sel:[1,1] op_sel_hi:[0,1]
	s_delay_alu instid0(VALU_DEP_1) | instskip(SKIP_1) | instid1(VALU_DEP_2)
	v_pk_fma_f32 v[86:87], v[82:83], v[80:81], v[84:85] op_sel_hi:[1,0,1]
	v_pk_fma_f32 v[80:81], v[82:83], v[80:81], v[84:85] neg_lo:[0,0,1] neg_hi:[0,0,1]
	v_mov_b32_e32 v81, v87
	scratch_store_b64 off, v[80:81], off offset:304
.LBB102_167:
	s_wait_xcnt 0x0
	s_or_b32 exec_lo, exec_lo, s0
	s_mov_b32 s1, -1
	s_wait_storecnt 0x0
	s_barrier_signal -1
	s_barrier_wait -1
.LBB102_168:
	s_and_b32 vcc_lo, exec_lo, s1
	s_cbranch_vccz .LBB102_170
; %bb.169:
	v_mov_b32_e32 v1, 0
	s_lshl_b64 s[0:1], s[10:11], 2
	s_delay_alu instid0(SALU_CYCLE_1)
	s_add_nc_u64 s[0:1], s[6:7], s[0:1]
	global_load_b32 v1, v1, s[0:1]
	s_wait_loadcnt 0x0
	v_cmp_ne_u32_e32 vcc_lo, 0, v1
	s_cbranch_vccz .LBB102_171
.LBB102_170:
	s_sendmsg sendmsg(MSG_DEALLOC_VGPRS)
	s_endpgm
.LBB102_171:
	s_wait_xcnt 0x0
	v_lshl_add_u32 v1, v0, 3, 0x140
	s_mov_b32 s0, exec_lo
	v_cmpx_eq_u32_e32 38, v0
	s_cbranch_execz .LBB102_173
; %bb.172:
	scratch_load_b64 v[80:81], off, off offset:296
	v_mov_b64_e32 v[82:83], 0
	scratch_store_b64 off, v[82:83], off offset:296
	s_wait_loadcnt 0x0
	ds_store_b64 v1, v[80:81]
.LBB102_173:
	s_wait_xcnt 0x0
	s_or_b32 exec_lo, exec_lo, s0
	s_wait_storecnt_dscnt 0x0
	s_barrier_signal -1
	s_barrier_wait -1
	s_clause 0x1
	scratch_load_b64 v[80:81], off, off offset:304
	scratch_load_b64 v[82:83], off, off offset:296
	v_mov_b32_e32 v7, 0
	s_mov_b32 s0, exec_lo
	ds_load_b64 v[84:85], v7 offset:624
	s_wait_loadcnt_dscnt 0x100
	v_pk_mul_f32 v[86:87], v[84:85], v[80:81] op_sel:[1,1] op_sel_hi:[0,1]
	s_delay_alu instid0(VALU_DEP_1) | instskip(SKIP_1) | instid1(VALU_DEP_2)
	v_pk_fma_f32 v[88:89], v[84:85], v[80:81], v[86:87] op_sel_hi:[1,0,1]
	v_pk_fma_f32 v[80:81], v[84:85], v[80:81], v[86:87] neg_lo:[0,0,1] neg_hi:[0,0,1]
	v_mov_b32_e32 v81, v89
	s_delay_alu instid0(VALU_DEP_1) | instskip(SKIP_1) | instid1(VALU_DEP_1)
	v_pk_add_f32 v[80:81], v[80:81], 0 op_sel_hi:[1,0]
	s_wait_loadcnt 0x0
	v_pk_add_f32 v[80:81], v[82:83], v[80:81] neg_lo:[0,1] neg_hi:[0,1]
	scratch_store_b64 off, v[80:81], off offset:296
	s_wait_xcnt 0x0
	v_cmpx_lt_u32_e32 36, v0
	s_cbranch_execz .LBB102_175
; %bb.174:
	scratch_load_b64 v[80:81], off, off offset:288
	v_mov_b64_e32 v[82:83], 0
	scratch_store_b64 off, v[82:83], off offset:288
	s_wait_loadcnt 0x0
	ds_store_b64 v1, v[80:81]
.LBB102_175:
	s_wait_xcnt 0x0
	s_or_b32 exec_lo, exec_lo, s0
	s_wait_storecnt_dscnt 0x0
	s_barrier_signal -1
	s_barrier_wait -1
	s_clause 0x1
	scratch_load_b128 v[80:83], off, off offset:296
	scratch_load_b64 v[88:89], off, off offset:288
	ds_load_2addr_b64 v[84:87], v7 offset0:77 offset1:78
	s_mov_b32 s0, exec_lo
	s_wait_dscnt 0x0
	v_dual_mov_b32 v90, v87 :: v_dual_mov_b32 v91, v86
	s_wait_loadcnt 0x1
	v_pk_mul_f32 v[92:93], v[84:85], v[80:81] op_sel:[1,1] op_sel_hi:[0,1]
	s_delay_alu instid0(VALU_DEP_1) | instskip(SKIP_2) | instid1(VALU_DEP_3)
	v_pk_fma_f32 v[96:97], v[84:85], v[80:81], v[92:93] op_sel_hi:[1,0,1]
	v_mov_b32_e32 v94, v83
	v_pk_fma_f32 v[80:81], v[84:85], v[80:81], v[92:93] neg_lo:[0,0,1] neg_hi:[0,0,1]
	v_mov_b32_e32 v81, v97
	s_delay_alu instid0(VALU_DEP_3) | instskip(NEXT) | instid1(VALU_DEP_2)
	v_pk_mul_f32 v[90:91], v[90:91], v[94:95] op_sel_hi:[1,0]
	v_pk_add_f32 v[80:81], v[80:81], 0 op_sel_hi:[1,0]
	s_delay_alu instid0(VALU_DEP_2) | instskip(SKIP_1) | instid1(VALU_DEP_2)
	v_pk_fma_f32 v[84:85], v[86:87], v[82:83], v[90:91] op_sel_hi:[1,0,1]
	v_pk_fma_f32 v[82:83], v[86:87], v[82:83], v[90:91] neg_lo:[0,0,1] neg_hi:[0,0,1]
	v_mov_b32_e32 v83, v85
	s_delay_alu instid0(VALU_DEP_1) | instskip(SKIP_1) | instid1(VALU_DEP_1)
	v_pk_add_f32 v[80:81], v[80:81], v[82:83]
	s_wait_loadcnt 0x0
	v_pk_add_f32 v[80:81], v[88:89], v[80:81] neg_lo:[0,1] neg_hi:[0,1]
	scratch_store_b64 off, v[80:81], off offset:288
	s_wait_xcnt 0x0
	v_cmpx_lt_u32_e32 35, v0
	s_cbranch_execz .LBB102_177
; %bb.176:
	scratch_load_b64 v[80:81], off, off offset:280
	v_mov_b64_e32 v[82:83], 0
	scratch_store_b64 off, v[82:83], off offset:280
	s_wait_loadcnt 0x0
	ds_store_b64 v1, v[80:81]
.LBB102_177:
	s_wait_xcnt 0x0
	s_or_b32 exec_lo, exec_lo, s0
	s_wait_storecnt_dscnt 0x0
	s_barrier_signal -1
	s_barrier_wait -1
	s_clause 0x2
	scratch_load_b128 v[80:83], off, off offset:288
	scratch_load_b64 v[88:89], off, off offset:304
	scratch_load_b64 v[90:91], off, off offset:280
	v_mov_b32_e32 v7, 0
	ds_load_b128 v[84:87], v7 offset:608
	ds_load_b64 v[92:93], v7 offset:624
	s_mov_b32 s0, exec_lo
	s_wait_dscnt 0x1
	v_dual_mov_b32 v94, v87 :: v_dual_mov_b32 v95, v86
	s_wait_loadcnt 0x2
	v_mov_b32_e32 v98, v83
	v_pk_mul_f32 v[96:97], v[84:85], v[80:81] op_sel:[1,1] op_sel_hi:[0,1]
	s_delay_alu instid0(VALU_DEP_2) | instskip(NEXT) | instid1(VALU_DEP_2)
	v_pk_mul_f32 v[94:95], v[94:95], v[98:99] op_sel_hi:[1,0]
	v_pk_fma_f32 v[100:101], v[84:85], v[80:81], v[96:97] op_sel_hi:[1,0,1]
	v_pk_fma_f32 v[80:81], v[84:85], v[80:81], v[96:97] neg_lo:[0,0,1] neg_hi:[0,0,1]
	s_wait_loadcnt_dscnt 0x100
	v_pk_mul_f32 v[96:97], v[92:93], v[88:89] op_sel:[1,1] op_sel_hi:[0,1]
	v_pk_fma_f32 v[84:85], v[86:87], v[82:83], v[94:95] op_sel_hi:[1,0,1]
	v_mov_b32_e32 v81, v101
	v_pk_fma_f32 v[82:83], v[86:87], v[82:83], v[94:95] neg_lo:[0,0,1] neg_hi:[0,0,1]
	s_delay_alu instid0(VALU_DEP_4) | instskip(NEXT) | instid1(VALU_DEP_4)
	v_pk_fma_f32 v[86:87], v[92:93], v[88:89], v[96:97] neg_lo:[0,0,1] neg_hi:[0,0,1]
	v_mov_b32_e32 v83, v85
	s_delay_alu instid0(VALU_DEP_4) | instskip(SKIP_1) | instid1(VALU_DEP_2)
	v_pk_add_f32 v[80:81], v[80:81], 0 op_sel_hi:[1,0]
	v_pk_fma_f32 v[84:85], v[92:93], v[88:89], v[96:97] op_sel_hi:[1,0,1]
	v_pk_add_f32 v[80:81], v[80:81], v[82:83]
	s_delay_alu instid0(VALU_DEP_2) | instskip(NEXT) | instid1(VALU_DEP_1)
	v_mov_b32_e32 v87, v85
	v_pk_add_f32 v[80:81], v[80:81], v[86:87]
	s_wait_loadcnt 0x0
	s_delay_alu instid0(VALU_DEP_1)
	v_pk_add_f32 v[80:81], v[90:91], v[80:81] neg_lo:[0,1] neg_hi:[0,1]
	scratch_store_b64 off, v[80:81], off offset:280
	s_wait_xcnt 0x0
	v_cmpx_lt_u32_e32 34, v0
	s_cbranch_execz .LBB102_179
; %bb.178:
	scratch_load_b64 v[80:81], off, off offset:272
	v_mov_b64_e32 v[82:83], 0
	scratch_store_b64 off, v[82:83], off offset:272
	s_wait_loadcnt 0x0
	ds_store_b64 v1, v[80:81]
.LBB102_179:
	s_wait_xcnt 0x0
	s_or_b32 exec_lo, exec_lo, s0
	s_wait_storecnt_dscnt 0x0
	s_barrier_signal -1
	s_barrier_wait -1
	s_clause 0x2
	scratch_load_b128 v[80:83], off, off offset:280
	scratch_load_b128 v[84:87], off, off offset:296
	scratch_load_b64 v[96:97], off, off offset:272
	ds_load_2addr_b64 v[88:91], v7 offset0:75 offset1:76
	ds_load_2addr_b64 v[92:95], v7 offset0:77 offset1:78
	s_mov_b32 s0, exec_lo
	s_wait_dscnt 0x1
	v_dual_mov_b32 v98, v91 :: v_dual_mov_b32 v99, v90
	s_wait_loadcnt_dscnt 0x200
	v_dual_mov_b32 v104, v95 :: v_dual_mov_b32 v102, v83
	v_pk_mul_f32 v[100:101], v[88:89], v[80:81] op_sel:[1,1] op_sel_hi:[0,1]
	s_delay_alu instid0(VALU_DEP_2) | instskip(NEXT) | instid1(VALU_DEP_2)
	v_pk_mul_f32 v[98:99], v[98:99], v[102:103] op_sel_hi:[1,0]
	v_pk_fma_f32 v[106:107], v[88:89], v[80:81], v[100:101] op_sel_hi:[1,0,1]
	v_pk_fma_f32 v[80:81], v[88:89], v[80:81], v[100:101] neg_lo:[0,0,1] neg_hi:[0,0,1]
	v_mov_b32_e32 v105, v94
	s_wait_loadcnt 0x1
	v_pk_mul_f32 v[102:103], v[92:93], v[84:85] op_sel:[1,1] op_sel_hi:[0,1]
	v_pk_fma_f32 v[88:89], v[90:91], v[82:83], v[98:99] op_sel_hi:[1,0,1]
	v_dual_mov_b32 v81, v107 :: v_dual_mov_b32 v88, v87
	v_pk_fma_f32 v[82:83], v[90:91], v[82:83], v[98:99] neg_lo:[0,0,1] neg_hi:[0,0,1]
	s_delay_alu instid0(VALU_DEP_4) | instskip(NEXT) | instid1(VALU_DEP_4)
	v_pk_fma_f32 v[100:101], v[92:93], v[84:85], v[102:103] op_sel_hi:[1,0,1]
	v_mov_b32_e32 v83, v89
	s_delay_alu instid0(VALU_DEP_4) | instskip(SKIP_2) | instid1(VALU_DEP_3)
	v_pk_add_f32 v[80:81], v[80:81], 0 op_sel_hi:[1,0]
	v_pk_mul_f32 v[88:89], v[104:105], v[88:89] op_sel_hi:[1,0]
	v_pk_fma_f32 v[84:85], v[92:93], v[84:85], v[102:103] neg_lo:[0,0,1] neg_hi:[0,0,1]
	v_pk_add_f32 v[80:81], v[80:81], v[82:83]
	s_delay_alu instid0(VALU_DEP_3) | instskip(SKIP_2) | instid1(VALU_DEP_3)
	v_pk_fma_f32 v[82:83], v[94:95], v[86:87], v[88:89] op_sel_hi:[1,0,1]
	v_mov_b32_e32 v85, v101
	v_pk_fma_f32 v[86:87], v[94:95], v[86:87], v[88:89] neg_lo:[0,0,1] neg_hi:[0,0,1]
	v_mov_b32_e32 v87, v83
	s_delay_alu instid0(VALU_DEP_3) | instskip(NEXT) | instid1(VALU_DEP_1)
	v_pk_add_f32 v[80:81], v[80:81], v[84:85]
	v_pk_add_f32 v[80:81], v[80:81], v[86:87]
	s_wait_loadcnt 0x0
	s_delay_alu instid0(VALU_DEP_1)
	v_pk_add_f32 v[80:81], v[96:97], v[80:81] neg_lo:[0,1] neg_hi:[0,1]
	scratch_store_b64 off, v[80:81], off offset:272
	s_wait_xcnt 0x0
	v_cmpx_lt_u32_e32 33, v0
	s_cbranch_execz .LBB102_181
; %bb.180:
	scratch_load_b64 v[80:81], off, off offset:264
	v_mov_b64_e32 v[82:83], 0
	scratch_store_b64 off, v[82:83], off offset:264
	s_wait_loadcnt 0x0
	ds_store_b64 v1, v[80:81]
.LBB102_181:
	s_wait_xcnt 0x0
	s_or_b32 exec_lo, exec_lo, s0
	s_wait_storecnt_dscnt 0x0
	s_barrier_signal -1
	s_barrier_wait -1
	s_clause 0x3
	scratch_load_b128 v[80:83], off, off offset:272
	scratch_load_b128 v[84:87], off, off offset:288
	scratch_load_b64 v[96:97], off, off offset:304
	scratch_load_b64 v[98:99], off, off offset:264
	v_mov_b32_e32 v7, 0
	ds_load_b128 v[88:91], v7 offset:592
	ds_load_b128 v[92:95], v7 offset:608
	s_mov_b32 s0, exec_lo
	s_wait_dscnt 0x1
	v_dual_mov_b32 v100, v91 :: v_dual_mov_b32 v101, v90
	ds_load_b64 v[106:107], v7 offset:624
	s_wait_dscnt 0x1
	v_dual_mov_b32 v108, v95 :: v_dual_mov_b32 v109, v94
	s_wait_loadcnt 0x3
	v_pk_mul_f32 v[102:103], v[88:89], v[80:81] op_sel:[1,1] op_sel_hi:[0,1]
	v_mov_b32_e32 v104, v83
	s_delay_alu instid0(VALU_DEP_2) | instskip(NEXT) | instid1(VALU_DEP_2)
	v_pk_fma_f32 v[110:111], v[88:89], v[80:81], v[102:103] op_sel_hi:[1,0,1]
	v_pk_mul_f32 v[100:101], v[100:101], v[104:105] op_sel_hi:[1,0]
	v_pk_fma_f32 v[80:81], v[88:89], v[80:81], v[102:103] neg_lo:[0,0,1] neg_hi:[0,0,1]
	s_wait_loadcnt 0x2
	v_pk_mul_f32 v[104:105], v[92:93], v[84:85] op_sel:[1,1] op_sel_hi:[0,1]
	v_dual_mov_b32 v110, v87 :: v_dual_mov_b32 v81, v111
	v_pk_fma_f32 v[88:89], v[90:91], v[82:83], v[100:101] op_sel_hi:[1,0,1]
	v_pk_fma_f32 v[82:83], v[90:91], v[82:83], v[100:101] neg_lo:[0,0,1] neg_hi:[0,0,1]
	s_delay_alu instid0(VALU_DEP_4) | instskip(NEXT) | instid1(VALU_DEP_4)
	v_pk_fma_f32 v[102:103], v[92:93], v[84:85], v[104:105] op_sel_hi:[1,0,1]
	v_pk_mul_f32 v[108:109], v[108:109], v[110:111] op_sel_hi:[1,0]
	v_pk_add_f32 v[80:81], v[80:81], 0 op_sel_hi:[1,0]
	v_mov_b32_e32 v83, v89
	v_pk_fma_f32 v[84:85], v[92:93], v[84:85], v[104:105] neg_lo:[0,0,1] neg_hi:[0,0,1]
	v_mov_b32_e32 v85, v103
	v_pk_fma_f32 v[88:89], v[94:95], v[86:87], v[108:109] op_sel_hi:[1,0,1]
	v_pk_fma_f32 v[86:87], v[94:95], v[86:87], v[108:109] neg_lo:[0,0,1] neg_hi:[0,0,1]
	v_pk_add_f32 v[80:81], v[80:81], v[82:83]
	s_wait_loadcnt_dscnt 0x100
	v_pk_mul_f32 v[82:83], v[106:107], v[96:97] op_sel:[1,1] op_sel_hi:[0,1]
	s_delay_alu instid0(VALU_DEP_2) | instskip(NEXT) | instid1(VALU_DEP_2)
	v_pk_add_f32 v[80:81], v[80:81], v[84:85]
	v_pk_fma_f32 v[84:85], v[106:107], v[96:97], v[82:83] op_sel_hi:[1,0,1]
	v_mov_b32_e32 v87, v89
	v_pk_fma_f32 v[82:83], v[106:107], v[96:97], v[82:83] neg_lo:[0,0,1] neg_hi:[0,0,1]
	s_delay_alu instid0(VALU_DEP_3) | instskip(NEXT) | instid1(VALU_DEP_3)
	v_mov_b32_e32 v83, v85
	v_pk_add_f32 v[80:81], v[80:81], v[86:87]
	s_delay_alu instid0(VALU_DEP_1) | instskip(SKIP_1) | instid1(VALU_DEP_1)
	v_pk_add_f32 v[80:81], v[80:81], v[82:83]
	s_wait_loadcnt 0x0
	v_pk_add_f32 v[80:81], v[98:99], v[80:81] neg_lo:[0,1] neg_hi:[0,1]
	scratch_store_b64 off, v[80:81], off offset:264
	s_wait_xcnt 0x0
	v_cmpx_lt_u32_e32 32, v0
	s_cbranch_execz .LBB102_183
; %bb.182:
	scratch_load_b64 v[80:81], off, off offset:256
	v_mov_b64_e32 v[82:83], 0
	scratch_store_b64 off, v[82:83], off offset:256
	s_wait_loadcnt 0x0
	ds_store_b64 v1, v[80:81]
.LBB102_183:
	s_wait_xcnt 0x0
	s_or_b32 exec_lo, exec_lo, s0
	s_wait_storecnt_dscnt 0x0
	s_barrier_signal -1
	s_barrier_wait -1
	s_clause 0x3
	scratch_load_b128 v[80:83], off, off offset:264
	scratch_load_b128 v[84:87], off, off offset:280
	;; [unrolled: 1-line block ×3, first 2 shown]
	scratch_load_b64 v[104:105], off, off offset:256
	ds_load_2addr_b64 v[92:95], v7 offset0:73 offset1:74
	ds_load_2addr_b64 v[96:99], v7 offset0:75 offset1:76
	ds_load_2addr_b64 v[100:103], v7 offset0:77 offset1:78
	s_mov_b32 s0, exec_lo
	s_wait_dscnt 0x2
	v_dual_mov_b32 v106, v95 :: v_dual_mov_b32 v107, v94
	s_wait_dscnt 0x1
	v_dual_mov_b32 v108, v99 :: v_dual_mov_b32 v109, v98
	;; [unrolled: 2-line block ×3, first 2 shown]
	s_wait_loadcnt 0x3
	v_pk_mul_f32 v[110:111], v[92:93], v[80:81] op_sel:[1,1] op_sel_hi:[0,1]
	v_mov_b32_e32 v112, v83
	s_delay_alu instid0(VALU_DEP_2) | instskip(NEXT) | instid1(VALU_DEP_2)
	v_pk_fma_f32 v[116:117], v[92:93], v[80:81], v[110:111] op_sel_hi:[1,0,1]
	v_pk_mul_f32 v[106:107], v[106:107], v[112:113] op_sel_hi:[1,0]
	v_pk_fma_f32 v[80:81], v[92:93], v[80:81], v[110:111] neg_lo:[0,0,1] neg_hi:[0,0,1]
	s_wait_loadcnt 0x2
	v_pk_mul_f32 v[112:113], v[96:97], v[84:85] op_sel:[1,1] op_sel_hi:[0,1]
	v_mov_b32_e32 v116, v87
	v_pk_fma_f32 v[92:93], v[94:95], v[82:83], v[106:107] op_sel_hi:[1,0,1]
	v_mov_b32_e32 v81, v117
	v_pk_fma_f32 v[82:83], v[94:95], v[82:83], v[106:107] neg_lo:[0,0,1] neg_hi:[0,0,1]
	v_pk_fma_f32 v[110:111], v[96:97], v[84:85], v[112:113] op_sel_hi:[1,0,1]
	v_pk_mul_f32 v[108:109], v[108:109], v[116:117] op_sel_hi:[1,0]
	v_mov_b32_e32 v83, v93
	v_pk_add_f32 v[80:81], v[80:81], 0 op_sel_hi:[1,0]
	v_pk_fma_f32 v[84:85], v[96:97], v[84:85], v[112:113] neg_lo:[0,0,1] neg_hi:[0,0,1]
	s_wait_loadcnt 0x1
	v_pk_mul_f32 v[92:93], v[100:101], v[88:89] op_sel:[1,1] op_sel_hi:[0,1]
	v_mov_b32_e32 v85, v111
	v_pk_fma_f32 v[94:95], v[98:99], v[86:87], v[108:109] op_sel_hi:[1,0,1]
	v_pk_add_f32 v[80:81], v[80:81], v[82:83]
	v_mov_b32_e32 v82, v91
	v_pk_fma_f32 v[86:87], v[98:99], v[86:87], v[108:109] neg_lo:[0,0,1] neg_hi:[0,0,1]
	v_pk_fma_f32 v[96:97], v[100:101], v[88:89], v[92:93] op_sel_hi:[1,0,1]
	v_mov_b32_e32 v87, v95
	v_pk_add_f32 v[80:81], v[80:81], v[84:85]
	v_pk_mul_f32 v[82:83], v[114:115], v[82:83] op_sel_hi:[1,0]
	v_pk_fma_f32 v[84:85], v[100:101], v[88:89], v[92:93] neg_lo:[0,0,1] neg_hi:[0,0,1]
	v_mov_b32_e32 v85, v97
	s_delay_alu instid0(VALU_DEP_4) | instskip(NEXT) | instid1(VALU_DEP_4)
	v_pk_add_f32 v[80:81], v[80:81], v[86:87]
	v_pk_fma_f32 v[86:87], v[102:103], v[90:91], v[82:83] op_sel_hi:[1,0,1]
	v_pk_fma_f32 v[82:83], v[102:103], v[90:91], v[82:83] neg_lo:[0,0,1] neg_hi:[0,0,1]
	s_delay_alu instid0(VALU_DEP_3) | instskip(NEXT) | instid1(VALU_DEP_3)
	v_pk_add_f32 v[80:81], v[80:81], v[84:85]
	v_mov_b32_e32 v83, v87
	s_delay_alu instid0(VALU_DEP_1) | instskip(SKIP_1) | instid1(VALU_DEP_1)
	v_pk_add_f32 v[80:81], v[80:81], v[82:83]
	s_wait_loadcnt 0x0
	v_pk_add_f32 v[80:81], v[104:105], v[80:81] neg_lo:[0,1] neg_hi:[0,1]
	scratch_store_b64 off, v[80:81], off offset:256
	s_wait_xcnt 0x0
	v_cmpx_lt_u32_e32 31, v0
	s_cbranch_execz .LBB102_185
; %bb.184:
	scratch_load_b64 v[80:81], off, off offset:248
	v_mov_b64_e32 v[82:83], 0
	scratch_store_b64 off, v[82:83], off offset:248
	s_wait_loadcnt 0x0
	ds_store_b64 v1, v[80:81]
.LBB102_185:
	s_wait_xcnt 0x0
	s_or_b32 exec_lo, exec_lo, s0
	s_wait_storecnt_dscnt 0x0
	s_barrier_signal -1
	s_barrier_wait -1
	s_clause 0x4
	scratch_load_b128 v[80:83], off, off offset:256
	scratch_load_b128 v[84:87], off, off offset:272
	;; [unrolled: 1-line block ×3, first 2 shown]
	scratch_load_b64 v[104:105], off, off offset:304
	scratch_load_b64 v[106:107], off, off offset:248
	v_mov_b32_e32 v7, 0
	ds_load_b128 v[92:95], v7 offset:576
	ds_load_b128 v[96:99], v7 offset:592
	;; [unrolled: 1-line block ×3, first 2 shown]
	ds_load_b64 v[108:109], v7 offset:624
	s_mov_b32 s0, exec_lo
	s_wait_dscnt 0x3
	v_dual_mov_b32 v110, v95 :: v_dual_mov_b32 v111, v94
	s_wait_dscnt 0x2
	v_dual_mov_b32 v112, v99 :: v_dual_mov_b32 v113, v98
	;; [unrolled: 2-line block ×3, first 2 shown]
	s_wait_loadcnt 0x4
	v_pk_mul_f32 v[114:115], v[92:93], v[80:81] op_sel:[1,1] op_sel_hi:[0,1]
	v_mov_b32_e32 v116, v83
	s_wait_loadcnt 0x3
	v_pk_mul_f32 v[120:121], v[96:97], v[84:85] op_sel:[1,1] op_sel_hi:[0,1]
	s_wait_loadcnt 0x2
	v_pk_mul_f32 v[124:125], v[100:101], v[88:89] op_sel:[1,1] op_sel_hi:[0,1]
	v_pk_fma_f32 v[122:123], v[92:93], v[80:81], v[114:115] op_sel_hi:[1,0,1]
	v_pk_mul_f32 v[110:111], v[110:111], v[116:117] op_sel_hi:[1,0]
	v_pk_fma_f32 v[80:81], v[92:93], v[80:81], v[114:115] neg_lo:[0,0,1] neg_hi:[0,0,1]
	v_mov_b32_e32 v116, v87
	v_pk_fma_f32 v[114:115], v[96:97], v[84:85], v[120:121] op_sel_hi:[1,0,1]
	v_mov_b32_e32 v81, v123
	v_pk_fma_f32 v[92:93], v[94:95], v[82:83], v[110:111] op_sel_hi:[1,0,1]
	v_pk_fma_f32 v[82:83], v[94:95], v[82:83], v[110:111] neg_lo:[0,0,1] neg_hi:[0,0,1]
	v_pk_mul_f32 v[112:113], v[112:113], v[116:117] op_sel_hi:[1,0]
	v_pk_fma_f32 v[84:85], v[96:97], v[84:85], v[120:121] neg_lo:[0,0,1] neg_hi:[0,0,1]
	v_pk_add_f32 v[80:81], v[80:81], 0 op_sel_hi:[1,0]
	v_dual_mov_b32 v83, v93 :: v_dual_mov_b32 v92, v91
	s_delay_alu instid0(VALU_DEP_4) | instskip(SKIP_2) | instid1(VALU_DEP_4)
	v_pk_fma_f32 v[94:95], v[98:99], v[86:87], v[112:113] op_sel_hi:[1,0,1]
	v_mov_b32_e32 v85, v115
	v_pk_fma_f32 v[86:87], v[98:99], v[86:87], v[112:113] neg_lo:[0,0,1] neg_hi:[0,0,1]
	v_pk_add_f32 v[80:81], v[80:81], v[82:83]
	v_pk_fma_f32 v[82:83], v[100:101], v[88:89], v[124:125] op_sel_hi:[1,0,1]
	v_pk_mul_f32 v[92:93], v[118:119], v[92:93] op_sel_hi:[1,0]
	v_mov_b32_e32 v87, v95
	s_delay_alu instid0(VALU_DEP_4)
	v_pk_add_f32 v[80:81], v[80:81], v[84:85]
	v_pk_fma_f32 v[84:85], v[100:101], v[88:89], v[124:125] neg_lo:[0,0,1] neg_hi:[0,0,1]
	v_mov_b32_e32 v85, v83
	v_pk_fma_f32 v[82:83], v[102:103], v[90:91], v[92:93] op_sel_hi:[1,0,1]
	v_pk_fma_f32 v[88:89], v[102:103], v[90:91], v[92:93] neg_lo:[0,0,1] neg_hi:[0,0,1]
	v_pk_add_f32 v[80:81], v[80:81], v[86:87]
	s_wait_loadcnt_dscnt 0x100
	v_pk_mul_f32 v[86:87], v[108:109], v[104:105] op_sel:[1,1] op_sel_hi:[0,1]
	v_mov_b32_e32 v89, v83
	s_delay_alu instid0(VALU_DEP_3) | instskip(NEXT) | instid1(VALU_DEP_3)
	v_pk_add_f32 v[80:81], v[80:81], v[84:85]
	v_pk_fma_f32 v[82:83], v[108:109], v[104:105], v[86:87] op_sel_hi:[1,0,1]
	v_pk_fma_f32 v[84:85], v[108:109], v[104:105], v[86:87] neg_lo:[0,0,1] neg_hi:[0,0,1]
	s_delay_alu instid0(VALU_DEP_3) | instskip(NEXT) | instid1(VALU_DEP_3)
	v_pk_add_f32 v[80:81], v[80:81], v[88:89]
	v_mov_b32_e32 v85, v83
	s_delay_alu instid0(VALU_DEP_1) | instskip(SKIP_1) | instid1(VALU_DEP_1)
	v_pk_add_f32 v[80:81], v[80:81], v[84:85]
	s_wait_loadcnt 0x0
	v_pk_add_f32 v[80:81], v[106:107], v[80:81] neg_lo:[0,1] neg_hi:[0,1]
	scratch_store_b64 off, v[80:81], off offset:248
	s_wait_xcnt 0x0
	v_cmpx_lt_u32_e32 30, v0
	s_cbranch_execz .LBB102_187
; %bb.186:
	scratch_load_b64 v[80:81], off, off offset:240
	v_mov_b64_e32 v[82:83], 0
	scratch_store_b64 off, v[82:83], off offset:240
	s_wait_loadcnt 0x0
	ds_store_b64 v1, v[80:81]
.LBB102_187:
	s_wait_xcnt 0x0
	s_or_b32 exec_lo, exec_lo, s0
	s_wait_storecnt_dscnt 0x0
	s_barrier_signal -1
	s_barrier_wait -1
	s_clause 0x4
	scratch_load_b128 v[80:83], off, off offset:248
	scratch_load_b128 v[84:87], off, off offset:264
	;; [unrolled: 1-line block ×4, first 2 shown]
	scratch_load_b64 v[112:113], off, off offset:240
	ds_load_2addr_b64 v[96:99], v7 offset0:71 offset1:72
	ds_load_2addr_b64 v[100:103], v7 offset0:73 offset1:74
	;; [unrolled: 1-line block ×4, first 2 shown]
	s_mov_b32 s0, exec_lo
	s_wait_dscnt 0x3
	v_dual_mov_b32 v114, v99 :: v_dual_mov_b32 v115, v98
	s_wait_dscnt 0x2
	v_dual_mov_b32 v116, v103 :: v_dual_mov_b32 v117, v102
	;; [unrolled: 2-line block ×3, first 2 shown]
	v_dual_mov_b32 v119, v106 :: v_dual_mov_b32 v124, v111
	s_wait_loadcnt 0x4
	v_mov_b32_e32 v122, v83
	v_pk_mul_f32 v[120:121], v[96:97], v[80:81] op_sel:[1,1] op_sel_hi:[0,1]
	s_wait_loadcnt 0x3
	v_pk_mul_f32 v[126:127], v[100:101], v[84:85] op_sel:[1,1] op_sel_hi:[0,1]
	s_wait_loadcnt 0x2
	v_pk_mul_f32 v[130:131], v[104:105], v[88:89] op_sel:[1,1] op_sel_hi:[0,1]
	v_pk_mul_f32 v[114:115], v[114:115], v[122:123] op_sel_hi:[1,0]
	v_pk_fma_f32 v[128:129], v[96:97], v[80:81], v[120:121] op_sel_hi:[1,0,1]
	v_pk_fma_f32 v[80:81], v[96:97], v[80:81], v[120:121] neg_lo:[0,0,1] neg_hi:[0,0,1]
	v_mov_b32_e32 v122, v87
	v_pk_fma_f32 v[120:121], v[100:101], v[84:85], v[126:127] op_sel_hi:[1,0,1]
	v_pk_fma_f32 v[96:97], v[98:99], v[82:83], v[114:115] op_sel_hi:[1,0,1]
	v_mov_b32_e32 v81, v129
	v_pk_fma_f32 v[82:83], v[98:99], v[82:83], v[114:115] neg_lo:[0,0,1] neg_hi:[0,0,1]
	v_pk_mul_f32 v[116:117], v[116:117], v[122:123] op_sel_hi:[1,0]
	s_delay_alu instid0(VALU_DEP_4) | instskip(NEXT) | instid1(VALU_DEP_4)
	v_dual_mov_b32 v96, v91 :: v_dual_mov_b32 v83, v97
	v_pk_add_f32 v[80:81], v[80:81], 0 op_sel_hi:[1,0]
	v_pk_fma_f32 v[84:85], v[100:101], v[84:85], v[126:127] neg_lo:[0,0,1] neg_hi:[0,0,1]
	v_mov_b32_e32 v85, v121
	v_pk_fma_f32 v[98:99], v[102:103], v[86:87], v[116:117] op_sel_hi:[1,0,1]
	v_pk_mul_f32 v[96:97], v[118:119], v[96:97] op_sel_hi:[1,0]
	v_pk_add_f32 v[80:81], v[80:81], v[82:83]
	v_pk_fma_f32 v[82:83], v[104:105], v[88:89], v[130:131] op_sel_hi:[1,0,1]
	v_pk_fma_f32 v[86:87], v[102:103], v[86:87], v[116:117] neg_lo:[0,0,1] neg_hi:[0,0,1]
	v_mov_b32_e32 v87, v99
	v_pk_fma_f32 v[88:89], v[104:105], v[88:89], v[130:131] neg_lo:[0,0,1] neg_hi:[0,0,1]
	v_pk_add_f32 v[80:81], v[80:81], v[84:85]
	v_mov_b32_e32 v89, v83
	v_pk_fma_f32 v[82:83], v[106:107], v[90:91], v[96:97] op_sel_hi:[1,0,1]
	s_wait_loadcnt 0x1
	v_pk_mul_f32 v[84:85], v[108:109], v[92:93] op_sel:[1,1] op_sel_hi:[0,1]
	v_mov_b32_e32 v82, v95
	v_pk_add_f32 v[80:81], v[80:81], v[86:87]
	v_pk_fma_f32 v[90:91], v[106:107], v[90:91], v[96:97] neg_lo:[0,0,1] neg_hi:[0,0,1]
	v_mov_b32_e32 v91, v83
	v_pk_fma_f32 v[86:87], v[108:109], v[92:93], v[84:85] op_sel_hi:[1,0,1]
	v_pk_mul_f32 v[82:83], v[124:125], v[82:83] op_sel_hi:[1,0]
	v_pk_add_f32 v[80:81], v[80:81], v[88:89]
	v_pk_fma_f32 v[84:85], v[108:109], v[92:93], v[84:85] neg_lo:[0,0,1] neg_hi:[0,0,1]
	s_delay_alu instid0(VALU_DEP_4) | instskip(NEXT) | instid1(VALU_DEP_4)
	v_mov_b32_e32 v85, v87
	v_pk_fma_f32 v[86:87], v[110:111], v[94:95], v[82:83] op_sel_hi:[1,0,1]
	s_delay_alu instid0(VALU_DEP_4) | instskip(SKIP_1) | instid1(VALU_DEP_3)
	v_pk_add_f32 v[80:81], v[80:81], v[90:91]
	v_pk_fma_f32 v[82:83], v[110:111], v[94:95], v[82:83] neg_lo:[0,0,1] neg_hi:[0,0,1]
	v_mov_b32_e32 v83, v87
	s_delay_alu instid0(VALU_DEP_3) | instskip(NEXT) | instid1(VALU_DEP_1)
	v_pk_add_f32 v[80:81], v[80:81], v[84:85]
	v_pk_add_f32 v[80:81], v[80:81], v[82:83]
	s_wait_loadcnt 0x0
	s_delay_alu instid0(VALU_DEP_1)
	v_pk_add_f32 v[80:81], v[112:113], v[80:81] neg_lo:[0,1] neg_hi:[0,1]
	scratch_store_b64 off, v[80:81], off offset:240
	s_wait_xcnt 0x0
	v_cmpx_lt_u32_e32 29, v0
	s_cbranch_execz .LBB102_189
; %bb.188:
	scratch_load_b64 v[80:81], off, off offset:232
	v_mov_b64_e32 v[82:83], 0
	scratch_store_b64 off, v[82:83], off offset:232
	s_wait_loadcnt 0x0
	ds_store_b64 v1, v[80:81]
.LBB102_189:
	s_wait_xcnt 0x0
	s_or_b32 exec_lo, exec_lo, s0
	s_wait_storecnt_dscnt 0x0
	s_barrier_signal -1
	s_barrier_wait -1
	s_clause 0x5
	scratch_load_b128 v[80:83], off, off offset:240
	scratch_load_b128 v[84:87], off, off offset:256
	;; [unrolled: 1-line block ×4, first 2 shown]
	scratch_load_b64 v[112:113], off, off offset:304
	scratch_load_b64 v[114:115], off, off offset:232
	v_mov_b32_e32 v7, 0
	ds_load_b128 v[96:99], v7 offset:560
	ds_load_b128 v[100:103], v7 offset:576
	;; [unrolled: 1-line block ×4, first 2 shown]
	ds_load_b64 v[116:117], v7 offset:624
	s_mov_b32 s0, exec_lo
	s_wait_dscnt 0x4
	v_dual_mov_b32 v118, v99 :: v_dual_mov_b32 v119, v98
	s_wait_dscnt 0x1
	v_dual_mov_b32 v120, v103 :: v_dual_mov_b32 v125, v110
	v_dual_mov_b32 v121, v102 :: v_dual_mov_b32 v122, v107
	;; [unrolled: 1-line block ×3, first 2 shown]
	s_wait_loadcnt 0x5
	v_dual_mov_b32 v126, v83 :: v_dual_mul_f32 v127, v96, v81
	v_mul_f32_e32 v9, v97, v81
	s_wait_loadcnt 0x4
	v_pk_mul_f32 v[128:129], v[100:101], v[84:85] op_sel:[1,1] op_sel_hi:[0,1]
	v_mov_b32_e32 v130, v87
	s_wait_loadcnt 0x3
	v_pk_mul_f32 v[132:133], v[104:105], v[88:89] op_sel:[1,1] op_sel_hi:[0,1]
	v_pk_mul_f32 v[118:119], v[118:119], v[126:127] op_sel_hi:[1,0]
	v_dual_fmac_f32 v127, v97, v80 :: v_dual_fma_f32 v126, v96, v80, -v9
	v_mov_b32_e32 v80, v91
	v_pk_fma_f32 v[134:135], v[100:101], v[84:85], v[128:129] op_sel_hi:[1,0,1]
	s_delay_alu instid0(VALU_DEP_4)
	v_pk_fma_f32 v[96:97], v[98:99], v[82:83], v[118:119] op_sel_hi:[1,0,1]
	v_pk_fma_f32 v[82:83], v[98:99], v[82:83], v[118:119] neg_lo:[0,0,1] neg_hi:[0,0,1]
	v_pk_mul_f32 v[120:121], v[120:121], v[130:131] op_sel_hi:[1,0]
	v_pk_add_f32 v[126:127], v[126:127], 0 op_sel_hi:[1,0]
	v_pk_fma_f32 v[84:85], v[100:101], v[84:85], v[128:129] neg_lo:[0,0,1] neg_hi:[0,0,1]
	v_dual_mov_b32 v83, v97 :: v_dual_mov_b32 v85, v135
	s_delay_alu instid0(VALU_DEP_4) | instskip(SKIP_2) | instid1(VALU_DEP_4)
	v_pk_fma_f32 v[98:99], v[102:103], v[86:87], v[120:121] op_sel_hi:[1,0,1]
	v_pk_fma_f32 v[86:87], v[102:103], v[86:87], v[120:121] neg_lo:[0,0,1] neg_hi:[0,0,1]
	v_pk_fma_f32 v[100:101], v[104:105], v[88:89], v[132:133] op_sel_hi:[1,0,1]
	v_pk_add_f32 v[82:83], v[126:127], v[82:83]
	v_pk_mul_f32 v[80:81], v[122:123], v[80:81] op_sel_hi:[1,0]
	v_mov_b32_e32 v87, v99
	v_pk_fma_f32 v[88:89], v[104:105], v[88:89], v[132:133] neg_lo:[0,0,1] neg_hi:[0,0,1]
	s_wait_loadcnt 0x2
	v_pk_mul_f32 v[96:97], v[108:109], v[92:93] op_sel:[1,1] op_sel_hi:[0,1]
	v_pk_add_f32 v[82:83], v[82:83], v[84:85]
	v_mov_b32_e32 v84, v95
	v_pk_fma_f32 v[98:99], v[106:107], v[90:91], v[80:81] op_sel_hi:[1,0,1]
	v_mov_b32_e32 v89, v101
	v_pk_fma_f32 v[80:81], v[106:107], v[90:91], v[80:81] neg_lo:[0,0,1] neg_hi:[0,0,1]
	v_pk_add_f32 v[82:83], v[82:83], v[86:87]
	v_pk_fma_f32 v[86:87], v[108:109], v[92:93], v[96:97] op_sel_hi:[1,0,1]
	v_pk_mul_f32 v[84:85], v[124:125], v[84:85] op_sel_hi:[1,0]
	v_mov_b32_e32 v81, v99
	s_delay_alu instid0(VALU_DEP_4)
	v_pk_add_f32 v[82:83], v[82:83], v[88:89]
	v_pk_fma_f32 v[88:89], v[108:109], v[92:93], v[96:97] neg_lo:[0,0,1] neg_hi:[0,0,1]
	v_mov_b32_e32 v89, v87
	v_pk_fma_f32 v[86:87], v[110:111], v[94:95], v[84:85] op_sel_hi:[1,0,1]
	v_pk_fma_f32 v[84:85], v[110:111], v[94:95], v[84:85] neg_lo:[0,0,1] neg_hi:[0,0,1]
	v_pk_add_f32 v[80:81], v[82:83], v[80:81]
	s_wait_loadcnt_dscnt 0x100
	v_pk_mul_f32 v[82:83], v[116:117], v[112:113] op_sel:[1,1] op_sel_hi:[0,1]
	v_mov_b32_e32 v85, v87
	s_delay_alu instid0(VALU_DEP_3) | instskip(NEXT) | instid1(VALU_DEP_3)
	v_pk_add_f32 v[80:81], v[80:81], v[88:89]
	v_pk_fma_f32 v[86:87], v[116:117], v[112:113], v[82:83] op_sel_hi:[1,0,1]
	v_pk_fma_f32 v[82:83], v[116:117], v[112:113], v[82:83] neg_lo:[0,0,1] neg_hi:[0,0,1]
	s_delay_alu instid0(VALU_DEP_3) | instskip(NEXT) | instid1(VALU_DEP_3)
	v_pk_add_f32 v[80:81], v[80:81], v[84:85]
	v_mov_b32_e32 v83, v87
	s_delay_alu instid0(VALU_DEP_1) | instskip(SKIP_1) | instid1(VALU_DEP_1)
	v_pk_add_f32 v[80:81], v[80:81], v[82:83]
	s_wait_loadcnt 0x0
	v_pk_add_f32 v[80:81], v[114:115], v[80:81] neg_lo:[0,1] neg_hi:[0,1]
	scratch_store_b64 off, v[80:81], off offset:232
	s_wait_xcnt 0x0
	v_cmpx_lt_u32_e32 28, v0
	s_cbranch_execz .LBB102_191
; %bb.190:
	scratch_load_b64 v[80:81], off, off offset:224
	v_mov_b64_e32 v[82:83], 0
	scratch_store_b64 off, v[82:83], off offset:224
	s_wait_loadcnt 0x0
	ds_store_b64 v1, v[80:81]
.LBB102_191:
	s_wait_xcnt 0x0
	s_or_b32 exec_lo, exec_lo, s0
	s_wait_storecnt_dscnt 0x0
	s_barrier_signal -1
	s_barrier_wait -1
	s_clause 0x5
	scratch_load_b128 v[80:83], off, off offset:232
	scratch_load_b128 v[84:87], off, off offset:248
	;; [unrolled: 1-line block ×5, first 2 shown]
	scratch_load_b64 v[120:121], off, off offset:224
	ds_load_2addr_b64 v[100:103], v7 offset0:71 offset1:72
	ds_load_2addr_b64 v[104:107], v7 offset0:73 offset1:74
	;; [unrolled: 1-line block ×5, first 2 shown]
	s_mov_b32 s0, exec_lo
	s_wait_dscnt 0x4
	v_dual_mov_b32 v122, v103 :: v_dual_mov_b32 v123, v102
	s_wait_dscnt 0x3
	v_dual_mov_b32 v124, v107 :: v_dual_mov_b32 v125, v106
	;; [unrolled: 2-line block ×4, first 2 shown]
	s_wait_loadcnt_dscnt 0x500
	v_dual_mul_f32 v131, v116, v81 :: v_dual_mul_f32 v133, v118, v83
	v_dual_mul_f32 v7, v117, v81 :: v_dual_mul_f32 v9, v119, v83
	s_wait_loadcnt 0x4
	v_pk_mul_f32 v[134:135], v[100:101], v[84:85] op_sel:[1,1] op_sel_hi:[0,1]
	s_wait_loadcnt 0x3
	v_dual_mov_b32 v136, v87 :: v_dual_mov_b32 v140, v91
	v_dual_fmac_f32 v131, v117, v80 :: v_dual_fmac_f32 v133, v119, v82
	v_dual_fma_f32 v130, v116, v80, -v7 :: v_dual_fma_f32 v132, v118, v82, -v9
	v_pk_fma_f32 v[80:81], v[100:101], v[84:85], v[134:135] op_sel_hi:[1,0,1]
	s_delay_alu instid0(VALU_DEP_4) | instskip(SKIP_1) | instid1(VALU_DEP_4)
	v_pk_mul_f32 v[82:83], v[122:123], v[136:137] op_sel_hi:[1,0]
	v_pk_fma_f32 v[84:85], v[100:101], v[84:85], v[134:135] neg_lo:[0,0,1] neg_hi:[0,0,1]
	v_pk_add_f32 v[116:117], v[130:131], 0 op_sel_hi:[1,0]
	v_pk_mul_f32 v[138:139], v[104:105], v[88:89] op_sel:[1,1] op_sel_hi:[0,1]
	v_mov_b32_e32 v85, v81
	v_pk_fma_f32 v[80:81], v[102:103], v[86:87], v[82:83] op_sel_hi:[1,0,1]
	v_pk_fma_f32 v[82:83], v[102:103], v[86:87], v[82:83] neg_lo:[0,0,1] neg_hi:[0,0,1]
	v_pk_add_f32 v[100:101], v[116:117], v[132:133]
	v_pk_fma_f32 v[116:117], v[104:105], v[88:89], v[138:139] op_sel_hi:[1,0,1]
	v_pk_mul_f32 v[122:123], v[124:125], v[140:141] op_sel_hi:[1,0]
	v_mov_b32_e32 v83, v81
	s_wait_loadcnt 0x2
	v_pk_mul_f32 v[118:119], v[108:109], v[92:93] op_sel:[1,1] op_sel_hi:[0,1]
	v_pk_add_f32 v[80:81], v[100:101], v[84:85]
	v_mov_b32_e32 v84, v95
	v_pk_fma_f32 v[86:87], v[104:105], v[88:89], v[138:139] neg_lo:[0,0,1] neg_hi:[0,0,1]
	v_mov_b32_e32 v87, v117
	v_pk_fma_f32 v[88:89], v[106:107], v[90:91], v[122:123] op_sel_hi:[1,0,1]
	v_pk_add_f32 v[80:81], v[80:81], v[82:83]
	v_pk_fma_f32 v[82:83], v[108:109], v[92:93], v[118:119] op_sel_hi:[1,0,1]
	v_pk_mul_f32 v[84:85], v[126:127], v[84:85] op_sel_hi:[1,0]
	v_pk_fma_f32 v[90:91], v[106:107], v[90:91], v[122:123] neg_lo:[0,0,1] neg_hi:[0,0,1]
	v_mov_b32_e32 v91, v89
	v_pk_add_f32 v[80:81], v[80:81], v[86:87]
	v_pk_fma_f32 v[88:89], v[108:109], v[92:93], v[118:119] neg_lo:[0,0,1] neg_hi:[0,0,1]
	v_mov_b32_e32 v89, v83
	v_pk_fma_f32 v[82:83], v[110:111], v[94:95], v[84:85] op_sel_hi:[1,0,1]
	s_wait_loadcnt 0x1
	v_pk_mul_f32 v[86:87], v[112:113], v[96:97] op_sel:[1,1] op_sel_hi:[0,1]
	v_pk_add_f32 v[80:81], v[80:81], v[90:91]
	v_mov_b32_e32 v82, v99
	v_pk_fma_f32 v[84:85], v[110:111], v[94:95], v[84:85] neg_lo:[0,0,1] neg_hi:[0,0,1]
	v_mov_b32_e32 v85, v83
	v_pk_fma_f32 v[90:91], v[112:113], v[96:97], v[86:87] op_sel_hi:[1,0,1]
	v_pk_add_f32 v[80:81], v[80:81], v[88:89]
	v_pk_mul_f32 v[82:83], v[128:129], v[82:83] op_sel_hi:[1,0]
	v_pk_fma_f32 v[86:87], v[112:113], v[96:97], v[86:87] neg_lo:[0,0,1] neg_hi:[0,0,1]
	s_delay_alu instid0(VALU_DEP_3) | instskip(NEXT) | instid1(VALU_DEP_3)
	v_pk_add_f32 v[80:81], v[80:81], v[84:85]
	v_pk_fma_f32 v[84:85], v[114:115], v[98:99], v[82:83] op_sel_hi:[1,0,1]
	v_mov_b32_e32 v87, v91
	v_pk_fma_f32 v[82:83], v[114:115], v[98:99], v[82:83] neg_lo:[0,0,1] neg_hi:[0,0,1]
	s_delay_alu instid0(VALU_DEP_3) | instskip(NEXT) | instid1(VALU_DEP_3)
	v_mov_b32_e32 v83, v85
	v_pk_add_f32 v[80:81], v[80:81], v[86:87]
	s_delay_alu instid0(VALU_DEP_1) | instskip(SKIP_1) | instid1(VALU_DEP_1)
	v_pk_add_f32 v[80:81], v[80:81], v[82:83]
	s_wait_loadcnt 0x0
	v_pk_add_f32 v[80:81], v[120:121], v[80:81] neg_lo:[0,1] neg_hi:[0,1]
	scratch_store_b64 off, v[80:81], off offset:224
	s_wait_xcnt 0x0
	v_cmpx_lt_u32_e32 27, v0
	s_cbranch_execz .LBB102_193
; %bb.192:
	scratch_load_b64 v[80:81], off, off offset:216
	v_mov_b64_e32 v[82:83], 0
	scratch_store_b64 off, v[82:83], off offset:216
	s_wait_loadcnt 0x0
	ds_store_b64 v1, v[80:81]
.LBB102_193:
	s_wait_xcnt 0x0
	s_or_b32 exec_lo, exec_lo, s0
	s_wait_storecnt_dscnt 0x0
	s_barrier_signal -1
	s_barrier_wait -1
	s_clause 0x6
	scratch_load_b128 v[80:83], off, off offset:224
	scratch_load_b128 v[84:87], off, off offset:240
	;; [unrolled: 1-line block ×5, first 2 shown]
	scratch_load_b64 v[120:121], off, off offset:304
	scratch_load_b64 v[122:123], off, off offset:216
	v_mov_b32_e32 v7, 0
	ds_load_b128 v[100:103], v7 offset:560
	ds_load_b128 v[104:107], v7 offset:576
	;; [unrolled: 1-line block ×5, first 2 shown]
	ds_load_b64 v[124:125], v7 offset:624
	s_mov_b32 s0, exec_lo
	s_wait_dscnt 0x5
	v_dual_mov_b32 v126, v103 :: v_dual_mov_b32 v127, v102
	s_wait_dscnt 0x2
	v_dual_mov_b32 v128, v107 :: v_dual_mov_b32 v133, v114
	v_dual_mov_b32 v129, v106 :: v_dual_mov_b32 v130, v111
	;; [unrolled: 1-line block ×3, first 2 shown]
	s_wait_loadcnt_dscnt 0x601
	v_dual_mul_f32 v9, v116, v81 :: v_dual_mul_f32 v11, v117, v81
	v_dual_mul_f32 v13, v119, v83 :: v_dual_mul_f32 v135, v118, v83
	s_wait_loadcnt 0x5
	v_dual_mul_f32 v137, v100, v85 :: v_dual_mul_f32 v15, v101, v85
	s_wait_loadcnt 0x4
	v_dual_mov_b32 v136, v87 :: v_dual_mov_b32 v140, v91
	v_dual_fmac_f32 v9, v117, v80 :: v_dual_fma_f32 v11, v116, v80, -v11
	v_dual_fma_f32 v134, v118, v82, -v13 :: v_dual_fmac_f32 v135, v119, v82
	s_delay_alu instid0(VALU_DEP_3) | instskip(NEXT) | instid1(VALU_DEP_3)
	v_pk_mul_f32 v[80:81], v[126:127], v[136:137] op_sel_hi:[1,0]
	v_dual_add_f32 v83, 0, v9 :: v_dual_add_f32 v82, 0, v11
	s_wait_loadcnt 0x3
	v_mov_b32_e32 v116, v95
	v_pk_mul_f32 v[138:139], v[104:105], v[88:89] op_sel:[1,1] op_sel_hi:[0,1]
	v_dual_fmac_f32 v137, v101, v84 :: v_dual_fma_f32 v136, v100, v84, -v15
	v_pk_fma_f32 v[84:85], v[102:103], v[86:87], v[80:81] op_sel_hi:[1,0,1]
	v_pk_add_f32 v[82:83], v[82:83], v[134:135]
	v_pk_fma_f32 v[80:81], v[102:103], v[86:87], v[80:81] neg_lo:[0,0,1] neg_hi:[0,0,1]
	v_pk_fma_f32 v[100:101], v[104:105], v[88:89], v[138:139] op_sel_hi:[1,0,1]
	v_pk_mul_f32 v[118:119], v[128:129], v[140:141] op_sel_hi:[1,0]
	v_mov_b32_e32 v81, v85
	v_pk_add_f32 v[82:83], v[82:83], v[136:137]
	v_pk_fma_f32 v[86:87], v[104:105], v[88:89], v[138:139] neg_lo:[0,0,1] neg_hi:[0,0,1]
	v_pk_mul_f32 v[142:143], v[108:109], v[92:93] op_sel:[1,1] op_sel_hi:[0,1]
	v_mov_b32_e32 v87, v101
	v_pk_fma_f32 v[88:89], v[106:107], v[90:91], v[118:119] op_sel_hi:[1,0,1]
	v_pk_add_f32 v[80:81], v[82:83], v[80:81]
	v_pk_fma_f32 v[90:91], v[106:107], v[90:91], v[118:119] neg_lo:[0,0,1] neg_hi:[0,0,1]
	v_pk_fma_f32 v[82:83], v[108:109], v[92:93], v[142:143] op_sel_hi:[1,0,1]
	v_pk_mul_f32 v[100:101], v[130:131], v[116:117] op_sel_hi:[1,0]
	s_wait_loadcnt 0x2
	v_dual_mov_b32 v91, v89 :: v_dual_mov_b32 v82, v99
	v_pk_add_f32 v[80:81], v[80:81], v[86:87]
	v_pk_fma_f32 v[86:87], v[108:109], v[92:93], v[142:143] neg_lo:[0,0,1] neg_hi:[0,0,1]
	v_pk_mul_f32 v[84:85], v[112:113], v[96:97] op_sel:[1,1] op_sel_hi:[0,1]
	v_pk_fma_f32 v[88:89], v[110:111], v[94:95], v[100:101] op_sel_hi:[1,0,1]
	v_mov_b32_e32 v87, v83
	v_pk_add_f32 v[80:81], v[80:81], v[90:91]
	v_pk_fma_f32 v[92:93], v[110:111], v[94:95], v[100:101] neg_lo:[0,0,1] neg_hi:[0,0,1]
	v_pk_fma_f32 v[90:91], v[112:113], v[96:97], v[84:85] op_sel_hi:[1,0,1]
	v_pk_mul_f32 v[82:83], v[132:133], v[82:83] op_sel_hi:[1,0]
	v_mov_b32_e32 v93, v89
	v_pk_add_f32 v[80:81], v[80:81], v[86:87]
	v_pk_fma_f32 v[84:85], v[112:113], v[96:97], v[84:85] neg_lo:[0,0,1] neg_hi:[0,0,1]
	s_wait_loadcnt_dscnt 0x100
	v_pk_mul_f32 v[88:89], v[124:125], v[120:121] op_sel:[1,1] op_sel_hi:[0,1]
	v_pk_fma_f32 v[86:87], v[114:115], v[98:99], v[82:83] op_sel_hi:[1,0,1]
	v_mov_b32_e32 v85, v91
	v_pk_add_f32 v[80:81], v[80:81], v[92:93]
	v_pk_fma_f32 v[82:83], v[114:115], v[98:99], v[82:83] neg_lo:[0,0,1] neg_hi:[0,0,1]
	s_delay_alu instid0(VALU_DEP_4) | instskip(SKIP_1) | instid1(VALU_DEP_4)
	v_mov_b32_e32 v83, v87
	v_pk_fma_f32 v[86:87], v[124:125], v[120:121], v[88:89] neg_lo:[0,0,1] neg_hi:[0,0,1]
	v_pk_add_f32 v[80:81], v[80:81], v[84:85]
	v_pk_fma_f32 v[84:85], v[124:125], v[120:121], v[88:89] op_sel_hi:[1,0,1]
	s_delay_alu instid0(VALU_DEP_2) | instskip(NEXT) | instid1(VALU_DEP_2)
	v_pk_add_f32 v[80:81], v[80:81], v[82:83]
	v_mov_b32_e32 v87, v85
	s_delay_alu instid0(VALU_DEP_1) | instskip(SKIP_1) | instid1(VALU_DEP_1)
	v_pk_add_f32 v[80:81], v[80:81], v[86:87]
	s_wait_loadcnt 0x0
	v_pk_add_f32 v[80:81], v[122:123], v[80:81] neg_lo:[0,1] neg_hi:[0,1]
	scratch_store_b64 off, v[80:81], off offset:216
	s_wait_xcnt 0x0
	v_cmpx_lt_u32_e32 26, v0
	s_cbranch_execz .LBB102_195
; %bb.194:
	scratch_load_b64 v[80:81], off, off offset:208
	v_mov_b64_e32 v[82:83], 0
	scratch_store_b64 off, v[82:83], off offset:208
	s_wait_loadcnt 0x0
	ds_store_b64 v1, v[80:81]
.LBB102_195:
	s_wait_xcnt 0x0
	s_or_b32 exec_lo, exec_lo, s0
	s_wait_storecnt_dscnt 0x0
	s_barrier_signal -1
	s_barrier_wait -1
	s_clause 0x6
	scratch_load_b128 v[80:83], off, off offset:216
	scratch_load_b128 v[84:87], off, off offset:232
	;; [unrolled: 1-line block ×6, first 2 shown]
	scratch_load_b64 v[128:129], off, off offset:208
	ds_load_2addr_b64 v[104:107], v7 offset0:71 offset1:72
	ds_load_2addr_b64 v[108:111], v7 offset0:73 offset1:74
	;; [unrolled: 1-line block ×6, first 2 shown]
	s_mov_b32 s0, exec_lo
	s_wait_dscnt 0x5
	v_dual_mov_b32 v130, v107 :: v_dual_mov_b32 v131, v106
	s_wait_dscnt 0x4
	v_dual_mov_b32 v132, v111 :: v_dual_mov_b32 v133, v110
	;; [unrolled: 2-line block ×4, first 2 shown]
	s_wait_loadcnt_dscnt 0x601
	v_dual_mul_f32 v7, v120, v81 :: v_dual_mul_f32 v9, v122, v83
	v_dual_mul_f32 v11, v121, v81 :: v_dual_mul_f32 v13, v123, v83
	s_wait_loadcnt 0x4
	s_delay_alu instid0(VALU_DEP_2)
	v_dual_mov_b32 v144, v91 :: v_dual_fmac_f32 v7, v121, v80
	s_wait_dscnt 0x0
	v_dual_mul_f32 v139, v124, v85 :: v_dual_mul_f32 v141, v126, v87
	v_dual_fma_f32 v11, v120, v80, -v11 :: v_dual_fmac_f32 v9, v123, v82
	v_dual_mul_f32 v15, v125, v85 :: v_dual_mul_f32 v17, v127, v87
	v_dual_fma_f32 v13, v122, v82, -v13 :: v_dual_add_f32 v7, 0, v7
	s_wait_loadcnt 0x3
	s_delay_alu instid0(VALU_DEP_3) | instskip(SKIP_3) | instid1(VALU_DEP_4)
	v_dual_add_f32 v11, 0, v11 :: v_dual_mov_b32 v82, v95
	v_pk_mul_f32 v[142:143], v[104:105], v[88:89] op_sel:[1,1] op_sel_hi:[0,1]
	v_pk_mul_f32 v[80:81], v[108:109], v[92:93] op_sel:[1,1] op_sel_hi:[0,1]
	v_dual_fmac_f32 v139, v125, v84 :: v_dual_add_f32 v85, v7, v9
	v_dual_fma_f32 v138, v124, v84, -v15 :: v_dual_add_f32 v84, v11, v13
	v_fmac_f32_e32 v141, v127, v86
	v_fma_f32 v140, v126, v86, -v17
	v_pk_fma_f32 v[86:87], v[104:105], v[88:89], v[142:143] op_sel_hi:[1,0,1]
	v_pk_mul_f32 v[120:121], v[130:131], v[144:145] op_sel_hi:[1,0]
	v_pk_add_f32 v[84:85], v[84:85], v[138:139]
	v_pk_fma_f32 v[88:89], v[104:105], v[88:89], v[142:143] neg_lo:[0,0,1] neg_hi:[0,0,1]
	v_pk_fma_f32 v[104:105], v[108:109], v[92:93], v[80:81] op_sel_hi:[1,0,1]
	v_pk_fma_f32 v[80:81], v[108:109], v[92:93], v[80:81] neg_lo:[0,0,1] neg_hi:[0,0,1]
	v_mov_b32_e32 v89, v87
	v_pk_fma_f32 v[86:87], v[106:107], v[90:91], v[120:121] op_sel_hi:[1,0,1]
	v_pk_fma_f32 v[90:91], v[106:107], v[90:91], v[120:121] neg_lo:[0,0,1] neg_hi:[0,0,1]
	v_mov_b32_e32 v81, v105
	v_pk_add_f32 v[84:85], v[84:85], v[140:141]
	v_pk_mul_f32 v[82:83], v[132:133], v[82:83] op_sel_hi:[1,0]
	s_wait_loadcnt 0x2
	v_dual_mov_b32 v91, v87 :: v_dual_mov_b32 v86, v99
	v_pk_mul_f32 v[122:123], v[112:113], v[96:97] op_sel:[1,1] op_sel_hi:[0,1]
	v_pk_add_f32 v[84:85], v[84:85], v[88:89]
	v_pk_fma_f32 v[88:89], v[110:111], v[94:95], v[82:83] op_sel_hi:[1,0,1]
	v_pk_fma_f32 v[82:83], v[110:111], v[94:95], v[82:83] neg_lo:[0,0,1] neg_hi:[0,0,1]
	v_pk_mul_f32 v[86:87], v[134:135], v[86:87] op_sel_hi:[1,0]
	s_delay_alu instid0(VALU_DEP_4) | instskip(SKIP_3) | instid1(VALU_DEP_4)
	v_pk_add_f32 v[84:85], v[84:85], v[90:91]
	v_pk_fma_f32 v[90:91], v[112:113], v[96:97], v[122:123] op_sel_hi:[1,0,1]
	v_mov_b32_e32 v83, v89
	v_pk_fma_f32 v[88:89], v[112:113], v[96:97], v[122:123] neg_lo:[0,0,1] neg_hi:[0,0,1]
	v_pk_add_f32 v[80:81], v[84:85], v[80:81]
	s_wait_loadcnt 0x1
	v_pk_mul_f32 v[84:85], v[116:117], v[100:101] op_sel:[1,1] op_sel_hi:[0,1]
	v_mov_b32_e32 v89, v91
	v_pk_fma_f32 v[90:91], v[114:115], v[98:99], v[86:87] op_sel_hi:[1,0,1]
	v_pk_fma_f32 v[86:87], v[114:115], v[98:99], v[86:87] neg_lo:[0,0,1] neg_hi:[0,0,1]
	v_pk_add_f32 v[80:81], v[80:81], v[82:83]
	v_mov_b32_e32 v82, v103
	v_pk_fma_f32 v[92:93], v[116:117], v[100:101], v[84:85] op_sel_hi:[1,0,1]
	v_mov_b32_e32 v87, v91
	v_pk_fma_f32 v[84:85], v[116:117], v[100:101], v[84:85] neg_lo:[0,0,1] neg_hi:[0,0,1]
	v_pk_add_f32 v[80:81], v[80:81], v[88:89]
	v_pk_mul_f32 v[82:83], v[136:137], v[82:83] op_sel_hi:[1,0]
	s_delay_alu instid0(VALU_DEP_2) | instskip(NEXT) | instid1(VALU_DEP_2)
	v_pk_add_f32 v[80:81], v[80:81], v[86:87]
	v_pk_fma_f32 v[86:87], v[118:119], v[102:103], v[82:83] op_sel_hi:[1,0,1]
	v_mov_b32_e32 v85, v93
	v_pk_fma_f32 v[82:83], v[118:119], v[102:103], v[82:83] neg_lo:[0,0,1] neg_hi:[0,0,1]
	s_delay_alu instid0(VALU_DEP_3) | instskip(NEXT) | instid1(VALU_DEP_3)
	v_mov_b32_e32 v83, v87
	v_pk_add_f32 v[80:81], v[80:81], v[84:85]
	s_delay_alu instid0(VALU_DEP_1) | instskip(SKIP_1) | instid1(VALU_DEP_1)
	v_pk_add_f32 v[80:81], v[80:81], v[82:83]
	s_wait_loadcnt 0x0
	v_pk_add_f32 v[80:81], v[128:129], v[80:81] neg_lo:[0,1] neg_hi:[0,1]
	scratch_store_b64 off, v[80:81], off offset:208
	s_wait_xcnt 0x0
	v_cmpx_lt_u32_e32 25, v0
	s_cbranch_execz .LBB102_197
; %bb.196:
	scratch_load_b64 v[80:81], off, off offset:200
	v_mov_b64_e32 v[82:83], 0
	scratch_store_b64 off, v[82:83], off offset:200
	s_wait_loadcnt 0x0
	ds_store_b64 v1, v[80:81]
.LBB102_197:
	s_wait_xcnt 0x0
	s_or_b32 exec_lo, exec_lo, s0
	s_wait_storecnt_dscnt 0x0
	s_barrier_signal -1
	s_barrier_wait -1
	s_clause 0x7
	scratch_load_b128 v[80:83], off, off offset:208
	scratch_load_b128 v[84:87], off, off offset:224
	;; [unrolled: 1-line block ×6, first 2 shown]
	scratch_load_b64 v[128:129], off, off offset:304
	scratch_load_b64 v[130:131], off, off offset:200
	v_mov_b32_e32 v7, 0
	ds_load_b128 v[104:107], v7 offset:560
	ds_load_b128 v[108:111], v7 offset:576
	;; [unrolled: 1-line block ×6, first 2 shown]
	ds_load_b64 v[132:133], v7 offset:624
	s_mov_b32 s0, exec_lo
	s_wait_dscnt 0x6
	v_dual_mov_b32 v134, v107 :: v_dual_mov_b32 v135, v106
	s_wait_dscnt 0x3
	v_dual_mov_b32 v136, v111 :: v_dual_mov_b32 v141, v118
	v_dual_mov_b32 v137, v110 :: v_dual_mov_b32 v138, v115
	;; [unrolled: 1-line block ×3, first 2 shown]
	s_wait_loadcnt_dscnt 0x702
	v_dual_mul_f32 v9, v120, v81 :: v_dual_mul_f32 v15, v121, v81
	v_dual_mul_f32 v17, v123, v83 :: v_dual_mul_f32 v11, v122, v83
	s_wait_loadcnt_dscnt 0x601
	s_delay_alu instid0(VALU_DEP_2) | instskip(NEXT) | instid1(VALU_DEP_3)
	v_dual_mul_f32 v13, v124, v85 :: v_dual_fmac_f32 v9, v121, v80
	v_dual_fma_f32 v15, v120, v80, -v15 :: v_dual_mul_f32 v19, v125, v85
	v_mul_f32_e32 v21, v127, v87
	s_wait_loadcnt 0x4
	v_dual_mov_b32 v80, v95 :: v_dual_fma_f32 v17, v122, v82, -v17
	v_dual_fmac_f32 v11, v123, v82 :: v_dual_add_f32 v9, 0, v9
	v_dual_add_f32 v15, 0, v15 :: v_dual_fmac_f32 v13, v125, v84
	v_dual_mul_f32 v143, v126, v87 :: v_dual_mul_f32 v145, v104, v89
	v_dual_mul_f32 v23, v105, v89 :: v_dual_mov_b32 v144, v91
	s_delay_alu instid0(VALU_DEP_4) | instskip(NEXT) | instid1(VALU_DEP_4)
	v_dual_fma_f32 v19, v124, v84, -v19 :: v_dual_add_f32 v9, v9, v11
	v_dual_add_f32 v11, v15, v17 :: v_dual_fma_f32 v142, v126, v86, -v21
	s_delay_alu instid0(VALU_DEP_4) | instskip(NEXT) | instid1(VALU_DEP_4)
	v_fmac_f32_e32 v143, v127, v86
	v_pk_mul_f32 v[84:85], v[134:135], v[144:145] op_sel_hi:[1,0]
	s_delay_alu instid0(VALU_DEP_3)
	v_dual_add_f32 v87, v9, v13 :: v_dual_add_f32 v86, v11, v19
	v_fmac_f32_e32 v145, v105, v88
	v_pk_mul_f32 v[146:147], v[108:109], v[92:93] op_sel:[1,1] op_sel_hi:[0,1]
	s_wait_loadcnt 0x3
	v_dual_mov_b32 v120, v99 :: v_dual_fma_f32 v144, v104, v88, -v23
	v_pk_fma_f32 v[88:89], v[106:107], v[90:91], v[84:85] op_sel_hi:[1,0,1]
	v_pk_add_f32 v[86:87], v[86:87], v[142:143]
	v_pk_fma_f32 v[84:85], v[106:107], v[90:91], v[84:85] neg_lo:[0,0,1] neg_hi:[0,0,1]
	v_pk_fma_f32 v[104:105], v[108:109], v[92:93], v[146:147] op_sel_hi:[1,0,1]
	v_pk_mul_f32 v[80:81], v[136:137], v[80:81] op_sel_hi:[1,0]
	v_mov_b32_e32 v85, v89
	v_pk_add_f32 v[86:87], v[86:87], v[144:145]
	v_pk_fma_f32 v[90:91], v[108:109], v[92:93], v[146:147] neg_lo:[0,0,1] neg_hi:[0,0,1]
	v_pk_mul_f32 v[82:83], v[112:113], v[96:97] op_sel:[1,1] op_sel_hi:[0,1]
	v_mov_b32_e32 v91, v105
	v_pk_fma_f32 v[92:93], v[110:111], v[94:95], v[80:81] op_sel_hi:[1,0,1]
	v_pk_add_f32 v[84:85], v[86:87], v[84:85]
	v_pk_fma_f32 v[80:81], v[110:111], v[94:95], v[80:81] neg_lo:[0,0,1] neg_hi:[0,0,1]
	v_pk_fma_f32 v[86:87], v[112:113], v[96:97], v[82:83] op_sel_hi:[1,0,1]
	v_pk_mul_f32 v[104:105], v[138:139], v[120:121] op_sel_hi:[1,0]
	s_wait_loadcnt 0x2
	v_dual_mov_b32 v81, v93 :: v_dual_mov_b32 v86, v103
	v_pk_add_f32 v[84:85], v[84:85], v[90:91]
	v_pk_fma_f32 v[82:83], v[112:113], v[96:97], v[82:83] neg_lo:[0,0,1] neg_hi:[0,0,1]
	v_pk_mul_f32 v[88:89], v[116:117], v[100:101] op_sel:[1,1] op_sel_hi:[0,1]
	v_pk_fma_f32 v[90:91], v[114:115], v[98:99], v[104:105] op_sel_hi:[1,0,1]
	v_mov_b32_e32 v83, v87
	v_pk_add_f32 v[80:81], v[84:85], v[80:81]
	v_pk_fma_f32 v[92:93], v[114:115], v[98:99], v[104:105] neg_lo:[0,0,1] neg_hi:[0,0,1]
	v_pk_fma_f32 v[84:85], v[116:117], v[100:101], v[88:89] op_sel_hi:[1,0,1]
	v_pk_mul_f32 v[86:87], v[140:141], v[86:87] op_sel_hi:[1,0]
	v_mov_b32_e32 v93, v91
	v_pk_add_f32 v[80:81], v[80:81], v[82:83]
	v_pk_fma_f32 v[82:83], v[116:117], v[100:101], v[88:89] neg_lo:[0,0,1] neg_hi:[0,0,1]
	v_mov_b32_e32 v83, v85
	v_pk_fma_f32 v[84:85], v[118:119], v[102:103], v[86:87] op_sel_hi:[1,0,1]
	s_wait_loadcnt_dscnt 0x100
	v_pk_mul_f32 v[88:89], v[132:133], v[128:129] op_sel:[1,1] op_sel_hi:[0,1]
	v_pk_add_f32 v[80:81], v[80:81], v[92:93]
	v_pk_fma_f32 v[86:87], v[118:119], v[102:103], v[86:87] neg_lo:[0,0,1] neg_hi:[0,0,1]
	v_mov_b32_e32 v87, v85
	s_delay_alu instid0(VALU_DEP_4) | instskip(NEXT) | instid1(VALU_DEP_4)
	v_pk_fma_f32 v[84:85], v[132:133], v[128:129], v[88:89] neg_lo:[0,0,1] neg_hi:[0,0,1]
	v_pk_add_f32 v[80:81], v[80:81], v[82:83]
	v_pk_fma_f32 v[82:83], v[132:133], v[128:129], v[88:89] op_sel_hi:[1,0,1]
	s_delay_alu instid0(VALU_DEP_2) | instskip(NEXT) | instid1(VALU_DEP_2)
	v_pk_add_f32 v[80:81], v[80:81], v[86:87]
	v_mov_b32_e32 v85, v83
	s_delay_alu instid0(VALU_DEP_1) | instskip(SKIP_1) | instid1(VALU_DEP_1)
	v_pk_add_f32 v[80:81], v[80:81], v[84:85]
	s_wait_loadcnt 0x0
	v_pk_add_f32 v[80:81], v[130:131], v[80:81] neg_lo:[0,1] neg_hi:[0,1]
	scratch_store_b64 off, v[80:81], off offset:200
	s_wait_xcnt 0x0
	v_cmpx_lt_u32_e32 24, v0
	s_cbranch_execz .LBB102_199
; %bb.198:
	scratch_load_b64 v[80:81], off, off offset:192
	v_mov_b64_e32 v[82:83], 0
	scratch_store_b64 off, v[82:83], off offset:192
	s_wait_loadcnt 0x0
	ds_store_b64 v1, v[80:81]
.LBB102_199:
	s_wait_xcnt 0x0
	s_or_b32 exec_lo, exec_lo, s0
	s_wait_storecnt_dscnt 0x0
	s_barrier_signal -1
	s_barrier_wait -1
	s_clause 0x7
	scratch_load_b128 v[80:83], off, off offset:200
	scratch_load_b128 v[84:87], off, off offset:216
	;; [unrolled: 1-line block ×7, first 2 shown]
	scratch_load_b64 v[136:137], off, off offset:192
	ds_load_2addr_b64 v[108:111], v7 offset0:71 offset1:72
	ds_load_2addr_b64 v[112:115], v7 offset0:73 offset1:74
	;; [unrolled: 1-line block ×7, first 2 shown]
	s_mov_b32 s0, exec_lo
	s_wait_dscnt 0x6
	v_dual_mov_b32 v138, v111 :: v_dual_mov_b32 v139, v110
	s_wait_dscnt 0x5
	v_dual_mov_b32 v140, v115 :: v_dual_mov_b32 v141, v114
	;; [unrolled: 2-line block ×4, first 2 shown]
	s_wait_loadcnt_dscnt 0x702
	v_dual_mul_f32 v7, v124, v81 :: v_dual_mul_f32 v9, v126, v83
	v_dual_mul_f32 v15, v125, v81 :: v_dual_mul_f32 v17, v127, v83
	s_wait_loadcnt_dscnt 0x601
	v_dual_mul_f32 v11, v128, v85 :: v_dual_mul_f32 v13, v130, v87
	s_delay_alu instid0(VALU_DEP_3) | instskip(NEXT) | instid1(VALU_DEP_3)
	v_dual_fmac_f32 v7, v125, v80 :: v_dual_fmac_f32 v9, v127, v82
	v_dual_fma_f32 v15, v124, v80, -v15 :: v_dual_fma_f32 v17, v126, v82, -v17
	v_dual_mul_f32 v19, v129, v85 :: v_dual_mul_f32 v21, v131, v87
	s_wait_loadcnt 0x4
	s_delay_alu instid0(VALU_DEP_3) | instskip(NEXT) | instid1(VALU_DEP_3)
	v_dual_add_f32 v7, 0, v7 :: v_dual_mov_b32 v82, v95
	v_dual_add_f32 v15, 0, v15 :: v_dual_fmac_f32 v11, v129, v84
	s_delay_alu instid0(VALU_DEP_2) | instskip(SKIP_2) | instid1(VALU_DEP_3)
	v_dual_fma_f32 v19, v128, v84, -v19 :: v_dual_add_f32 v7, v7, v9
	s_wait_dscnt 0x0
	v_dual_mul_f32 v147, v132, v89 :: v_dual_mul_f32 v149, v134, v91
	v_dual_add_f32 v9, v15, v17 :: v_dual_fma_f32 v15, v130, v86, -v21
	v_dual_mul_f32 v23, v133, v89 :: v_dual_mul_f32 v25, v135, v91
	s_delay_alu instid0(VALU_DEP_2) | instskip(NEXT) | instid1(VALU_DEP_4)
	v_dual_fmac_f32 v13, v131, v86 :: v_dual_add_f32 v9, v9, v19
	v_dual_add_f32 v7, v7, v11 :: v_dual_fmac_f32 v147, v133, v88
	v_pk_mul_f32 v[80:81], v[108:109], v[92:93] op_sel:[1,1] op_sel_hi:[0,1]
	s_wait_loadcnt 0x3
	v_pk_mul_f32 v[84:85], v[112:113], v[96:97] op_sel:[1,1] op_sel_hi:[0,1]
	v_dual_mov_b32 v86, v99 :: v_dual_fma_f32 v146, v132, v88, -v23
	v_dual_add_f32 v89, v7, v13 :: v_dual_add_f32 v88, v9, v15
	v_fmac_f32_e32 v149, v135, v90
	v_fma_f32 v148, v134, v90, -v25
	v_pk_fma_f32 v[90:91], v[108:109], v[92:93], v[80:81] op_sel_hi:[1,0,1]
	v_pk_mul_f32 v[82:83], v[138:139], v[82:83] op_sel_hi:[1,0]
	v_pk_add_f32 v[88:89], v[88:89], v[146:147]
	v_pk_fma_f32 v[80:81], v[108:109], v[92:93], v[80:81] neg_lo:[0,0,1] neg_hi:[0,0,1]
	v_pk_fma_f32 v[92:93], v[112:113], v[96:97], v[84:85] op_sel_hi:[1,0,1]
	v_pk_fma_f32 v[84:85], v[112:113], v[96:97], v[84:85] neg_lo:[0,0,1] neg_hi:[0,0,1]
	v_mov_b32_e32 v81, v91
	v_pk_fma_f32 v[90:91], v[110:111], v[94:95], v[82:83] op_sel_hi:[1,0,1]
	v_pk_fma_f32 v[82:83], v[110:111], v[94:95], v[82:83] neg_lo:[0,0,1] neg_hi:[0,0,1]
	v_mov_b32_e32 v85, v93
	v_pk_add_f32 v[88:89], v[88:89], v[148:149]
	v_pk_mul_f32 v[86:87], v[140:141], v[86:87] op_sel_hi:[1,0]
	v_mov_b32_e32 v83, v91
	s_wait_loadcnt 0x2
	v_pk_mul_f32 v[124:125], v[116:117], v[100:101] op_sel:[1,1] op_sel_hi:[0,1]
	v_pk_add_f32 v[80:81], v[88:89], v[80:81]
	v_mov_b32_e32 v88, v103
	v_pk_fma_f32 v[90:91], v[114:115], v[98:99], v[86:87] op_sel_hi:[1,0,1]
	v_pk_fma_f32 v[86:87], v[114:115], v[98:99], v[86:87] neg_lo:[0,0,1] neg_hi:[0,0,1]
	s_delay_alu instid0(VALU_DEP_4)
	v_pk_add_f32 v[80:81], v[80:81], v[82:83]
	v_pk_fma_f32 v[82:83], v[116:117], v[100:101], v[124:125] op_sel_hi:[1,0,1]
	v_pk_mul_f32 v[88:89], v[142:143], v[88:89] op_sel_hi:[1,0]
	v_mov_b32_e32 v87, v91
	v_pk_fma_f32 v[90:91], v[116:117], v[100:101], v[124:125] neg_lo:[0,0,1] neg_hi:[0,0,1]
	v_pk_add_f32 v[80:81], v[80:81], v[84:85]
	v_mov_b32_e32 v91, v83
	v_pk_fma_f32 v[82:83], v[118:119], v[102:103], v[88:89] op_sel_hi:[1,0,1]
	s_wait_loadcnt 0x1
	v_pk_mul_f32 v[84:85], v[120:121], v[104:105] op_sel:[1,1] op_sel_hi:[0,1]
	v_mov_b32_e32 v82, v107
	v_pk_add_f32 v[80:81], v[80:81], v[86:87]
	v_pk_fma_f32 v[88:89], v[118:119], v[102:103], v[88:89] neg_lo:[0,0,1] neg_hi:[0,0,1]
	v_mov_b32_e32 v89, v83
	v_pk_fma_f32 v[86:87], v[120:121], v[104:105], v[84:85] op_sel_hi:[1,0,1]
	v_pk_mul_f32 v[82:83], v[144:145], v[82:83] op_sel_hi:[1,0]
	v_pk_add_f32 v[80:81], v[80:81], v[90:91]
	v_pk_fma_f32 v[84:85], v[120:121], v[104:105], v[84:85] neg_lo:[0,0,1] neg_hi:[0,0,1]
	s_delay_alu instid0(VALU_DEP_4) | instskip(NEXT) | instid1(VALU_DEP_4)
	v_mov_b32_e32 v85, v87
	v_pk_fma_f32 v[86:87], v[122:123], v[106:107], v[82:83] op_sel_hi:[1,0,1]
	s_delay_alu instid0(VALU_DEP_4) | instskip(SKIP_1) | instid1(VALU_DEP_3)
	v_pk_add_f32 v[80:81], v[80:81], v[88:89]
	v_pk_fma_f32 v[82:83], v[122:123], v[106:107], v[82:83] neg_lo:[0,0,1] neg_hi:[0,0,1]
	v_mov_b32_e32 v83, v87
	s_delay_alu instid0(VALU_DEP_3) | instskip(NEXT) | instid1(VALU_DEP_1)
	v_pk_add_f32 v[80:81], v[80:81], v[84:85]
	v_pk_add_f32 v[80:81], v[80:81], v[82:83]
	s_wait_loadcnt 0x0
	s_delay_alu instid0(VALU_DEP_1)
	v_pk_add_f32 v[80:81], v[136:137], v[80:81] neg_lo:[0,1] neg_hi:[0,1]
	scratch_store_b64 off, v[80:81], off offset:192
	s_wait_xcnt 0x0
	v_cmpx_lt_u32_e32 23, v0
	s_cbranch_execz .LBB102_201
; %bb.200:
	scratch_load_b64 v[80:81], off, off offset:184
	v_mov_b64_e32 v[82:83], 0
	scratch_store_b64 off, v[82:83], off offset:184
	s_wait_loadcnt 0x0
	ds_store_b64 v1, v[80:81]
.LBB102_201:
	s_wait_xcnt 0x0
	s_or_b32 exec_lo, exec_lo, s0
	s_wait_storecnt_dscnt 0x0
	s_barrier_signal -1
	s_barrier_wait -1
	s_clause 0x8
	scratch_load_b128 v[80:83], off, off offset:192
	scratch_load_b128 v[84:87], off, off offset:208
	;; [unrolled: 1-line block ×7, first 2 shown]
	scratch_load_b64 v[136:137], off, off offset:304
	scratch_load_b64 v[138:139], off, off offset:184
	v_mov_b32_e32 v7, 0
	ds_load_b128 v[108:111], v7 offset:560
	ds_load_b128 v[112:115], v7 offset:576
	;; [unrolled: 1-line block ×7, first 2 shown]
	ds_load_b64 v[140:141], v7 offset:624
	s_mov_b32 s0, exec_lo
	s_wait_dscnt 0x7
	v_dual_mov_b32 v142, v111 :: v_dual_mov_b32 v143, v110
	s_wait_dscnt 0x4
	v_dual_mov_b32 v144, v115 :: v_dual_mov_b32 v149, v122
	v_dual_mov_b32 v145, v114 :: v_dual_mov_b32 v146, v119
	;; [unrolled: 1-line block ×3, first 2 shown]
	s_wait_loadcnt_dscnt 0x803
	v_dual_mul_f32 v9, v124, v81 :: v_dual_mul_f32 v19, v125, v81
	v_dual_mul_f32 v21, v127, v83 :: v_dual_mul_f32 v11, v126, v83
	s_wait_loadcnt_dscnt 0x702
	v_mul_f32_e32 v13, v128, v85
	s_wait_loadcnt 0x5
	v_dual_mul_f32 v31, v109, v93 :: v_dual_fma_f32 v19, v124, v80, -v19
	v_dual_fmac_f32 v9, v125, v80 :: v_dual_mov_b32 v80, v95
	v_dual_mul_f32 v23, v129, v85 :: v_dual_mul_f32 v25, v131, v87
	v_dual_fmac_f32 v11, v127, v82 :: v_dual_fma_f32 v21, v126, v82, -v21
	s_delay_alu instid0(VALU_DEP_3) | instskip(SKIP_3) | instid1(VALU_DEP_3)
	v_dual_add_f32 v9, 0, v9 :: v_dual_add_f32 v19, 0, v19
	s_wait_dscnt 0x1
	v_dual_mul_f32 v15, v130, v87 :: v_dual_mul_f32 v17, v132, v89
	v_dual_fmac_f32 v13, v129, v84 :: v_dual_fma_f32 v23, v128, v84, -v23
	v_dual_add_f32 v9, v9, v11 :: v_dual_add_f32 v11, v19, v21
	v_dual_mul_f32 v27, v133, v89 :: v_dual_mul_f32 v29, v135, v91
	s_wait_loadcnt 0x4
	v_dual_mov_b32 v84, v99 :: v_dual_fma_f32 v19, v130, v86, -v25
	s_delay_alu instid0(VALU_DEP_3) | instskip(SKIP_2) | instid1(VALU_DEP_3)
	v_dual_fmac_f32 v15, v131, v86 :: v_dual_add_f32 v9, v9, v13
	v_dual_add_f32 v11, v11, v23 :: v_dual_fmac_f32 v17, v133, v88
	v_dual_mul_f32 v151, v134, v91 :: v_dual_mul_f32 v153, v108, v93
	v_dual_fma_f32 v13, v132, v88, -v27 :: v_dual_add_f32 v9, v9, v15
	s_delay_alu instid0(VALU_DEP_3) | instskip(NEXT) | instid1(VALU_DEP_3)
	v_dual_add_f32 v11, v11, v19 :: v_dual_fma_f32 v150, v134, v90, -v29
	v_fmac_f32_e32 v151, v135, v90
	v_pk_mul_f32 v[80:81], v[142:143], v[80:81] op_sel_hi:[1,0]
	s_delay_alu instid0(VALU_DEP_4) | instskip(NEXT) | instid1(VALU_DEP_4)
	v_add_f32_e32 v89, v9, v17
	v_dual_add_f32 v88, v11, v13 :: v_dual_fmac_f32 v153, v109, v92
	v_pk_mul_f32 v[82:83], v[112:113], v[96:97] op_sel:[1,1] op_sel_hi:[0,1]
	s_wait_loadcnt 0x3
	v_dual_mov_b32 v90, v103 :: v_dual_fma_f32 v152, v108, v92, -v31
	v_pk_fma_f32 v[92:93], v[110:111], v[94:95], v[80:81] op_sel_hi:[1,0,1]
	v_pk_add_f32 v[88:89], v[88:89], v[150:151]
	v_pk_fma_f32 v[80:81], v[110:111], v[94:95], v[80:81] neg_lo:[0,0,1] neg_hi:[0,0,1]
	v_pk_fma_f32 v[108:109], v[112:113], v[96:97], v[82:83] op_sel_hi:[1,0,1]
	v_pk_mul_f32 v[84:85], v[144:145], v[84:85] op_sel_hi:[1,0]
	v_mov_b32_e32 v81, v93
	v_pk_add_f32 v[88:89], v[88:89], v[152:153]
	v_pk_fma_f32 v[82:83], v[112:113], v[96:97], v[82:83] neg_lo:[0,0,1] neg_hi:[0,0,1]
	v_pk_mul_f32 v[86:87], v[116:117], v[100:101] op_sel:[1,1] op_sel_hi:[0,1]
	v_mov_b32_e32 v83, v109
	v_pk_fma_f32 v[94:95], v[114:115], v[98:99], v[84:85] op_sel_hi:[1,0,1]
	v_pk_add_f32 v[80:81], v[88:89], v[80:81]
	v_pk_fma_f32 v[84:85], v[114:115], v[98:99], v[84:85] neg_lo:[0,0,1] neg_hi:[0,0,1]
	v_pk_fma_f32 v[88:89], v[116:117], v[100:101], v[86:87] op_sel_hi:[1,0,1]
	v_pk_mul_f32 v[90:91], v[146:147], v[90:91] op_sel_hi:[1,0]
	v_mov_b32_e32 v85, v95
	v_pk_add_f32 v[80:81], v[80:81], v[82:83]
	v_pk_fma_f32 v[86:87], v[116:117], v[100:101], v[86:87] neg_lo:[0,0,1] neg_hi:[0,0,1]
	s_wait_loadcnt 0x2
	v_pk_mul_f32 v[92:93], v[120:121], v[104:105] op_sel:[1,1] op_sel_hi:[0,1]
	v_dual_mov_b32 v82, v107 :: v_dual_mov_b32 v87, v89
	v_pk_fma_f32 v[88:89], v[118:119], v[102:103], v[90:91] op_sel_hi:[1,0,1]
	v_pk_add_f32 v[80:81], v[80:81], v[84:85]
	v_pk_fma_f32 v[90:91], v[118:119], v[102:103], v[90:91] neg_lo:[0,0,1] neg_hi:[0,0,1]
	v_pk_fma_f32 v[84:85], v[120:121], v[104:105], v[92:93] op_sel_hi:[1,0,1]
	v_pk_mul_f32 v[82:83], v[148:149], v[82:83] op_sel_hi:[1,0]
	v_mov_b32_e32 v91, v89
	v_pk_add_f32 v[80:81], v[80:81], v[86:87]
	v_pk_fma_f32 v[86:87], v[120:121], v[104:105], v[92:93] neg_lo:[0,0,1] neg_hi:[0,0,1]
	v_mov_b32_e32 v87, v85
	v_pk_fma_f32 v[84:85], v[122:123], v[106:107], v[82:83] op_sel_hi:[1,0,1]
	s_wait_loadcnt_dscnt 0x100
	v_pk_mul_f32 v[88:89], v[140:141], v[136:137] op_sel:[1,1] op_sel_hi:[0,1]
	v_pk_add_f32 v[80:81], v[80:81], v[90:91]
	v_pk_fma_f32 v[82:83], v[122:123], v[106:107], v[82:83] neg_lo:[0,0,1] neg_hi:[0,0,1]
	v_mov_b32_e32 v83, v85
	s_delay_alu instid0(VALU_DEP_4) | instskip(NEXT) | instid1(VALU_DEP_4)
	v_pk_fma_f32 v[84:85], v[140:141], v[136:137], v[88:89] op_sel_hi:[1,0,1]
	v_pk_add_f32 v[80:81], v[80:81], v[86:87]
	v_pk_fma_f32 v[86:87], v[140:141], v[136:137], v[88:89] neg_lo:[0,0,1] neg_hi:[0,0,1]
	s_delay_alu instid0(VALU_DEP_3) | instskip(NEXT) | instid1(VALU_DEP_3)
	v_mov_b32_e32 v87, v85
	v_pk_add_f32 v[80:81], v[80:81], v[82:83]
	s_delay_alu instid0(VALU_DEP_1) | instskip(SKIP_1) | instid1(VALU_DEP_1)
	v_pk_add_f32 v[80:81], v[80:81], v[86:87]
	s_wait_loadcnt 0x0
	v_pk_add_f32 v[80:81], v[138:139], v[80:81] neg_lo:[0,1] neg_hi:[0,1]
	scratch_store_b64 off, v[80:81], off offset:184
	s_wait_xcnt 0x0
	v_cmpx_lt_u32_e32 22, v0
	s_cbranch_execz .LBB102_203
; %bb.202:
	scratch_load_b64 v[80:81], off, off offset:176
	v_mov_b64_e32 v[82:83], 0
	scratch_store_b64 off, v[82:83], off offset:176
	s_wait_loadcnt 0x0
	ds_store_b64 v1, v[80:81]
.LBB102_203:
	s_wait_xcnt 0x0
	s_or_b32 exec_lo, exec_lo, s0
	s_wait_storecnt_dscnt 0x0
	s_barrier_signal -1
	s_barrier_wait -1
	s_clause 0x8
	scratch_load_b128 v[80:83], off, off offset:184
	scratch_load_b128 v[84:87], off, off offset:200
	;; [unrolled: 1-line block ×8, first 2 shown]
	scratch_load_b64 v[144:145], off, off offset:176
	ds_load_2addr_b64 v[112:115], v7 offset0:71 offset1:72
	ds_load_2addr_b64 v[116:119], v7 offset0:73 offset1:74
	;; [unrolled: 1-line block ×8, first 2 shown]
	s_mov_b32 s0, exec_lo
	s_wait_dscnt 0x7
	v_dual_mov_b32 v146, v115 :: v_dual_mov_b32 v147, v114
	s_wait_dscnt 0x6
	v_dual_mov_b32 v148, v119 :: v_dual_mov_b32 v149, v118
	;; [unrolled: 2-line block ×4, first 2 shown]
	s_wait_loadcnt_dscnt 0x803
	v_dual_mul_f32 v7, v128, v81 :: v_dual_mul_f32 v9, v130, v83
	v_dual_mul_f32 v19, v129, v81 :: v_dual_mul_f32 v21, v131, v83
	s_wait_loadcnt_dscnt 0x702
	v_dual_mul_f32 v11, v132, v85 :: v_dual_mul_f32 v13, v134, v87
	s_delay_alu instid0(VALU_DEP_3) | instskip(SKIP_3) | instid1(VALU_DEP_3)
	v_dual_fmac_f32 v7, v129, v80 :: v_dual_fmac_f32 v9, v131, v82
	s_wait_loadcnt_dscnt 0x500
	v_dual_fma_f32 v19, v128, v80, -v19 :: v_dual_mul_f32 v31, v141, v93
	v_dual_mul_f32 v23, v133, v85 :: v_dual_mul_f32 v25, v135, v87
	v_dual_fma_f32 v21, v130, v82, -v21 :: v_dual_add_f32 v7, 0, v7
	s_delay_alu instid0(VALU_DEP_3) | instskip(SKIP_1) | instid1(VALU_DEP_4)
	v_dual_add_f32 v19, 0, v19 :: v_dual_fmac_f32 v11, v133, v84
	v_dual_mul_f32 v15, v136, v89 :: v_dual_mul_f32 v17, v138, v91
	v_dual_mul_f32 v33, v143, v95 :: v_dual_fma_f32 v23, v132, v84, -v23
	s_delay_alu instid0(VALU_DEP_4) | instskip(NEXT) | instid1(VALU_DEP_3)
	v_add_f32_e32 v7, v7, v9
	v_dual_add_f32 v9, v19, v21 :: v_dual_fmac_f32 v15, v137, v88
	v_dual_mul_f32 v27, v137, v89 :: v_dual_mul_f32 v29, v139, v91
	s_delay_alu instid0(VALU_DEP_2) | instskip(NEXT) | instid1(VALU_DEP_4)
	v_dual_fmac_f32 v13, v135, v86 :: v_dual_add_f32 v9, v9, v23
	v_dual_fma_f32 v19, v134, v86, -v25 :: v_dual_add_f32 v7, v7, v11
	s_wait_loadcnt 0x4
	s_delay_alu instid0(VALU_DEP_3) | instskip(SKIP_1) | instid1(VALU_DEP_3)
	v_dual_fma_f32 v11, v136, v88, -v27 :: v_dual_mov_b32 v82, v99
	v_dual_mul_f32 v155, v140, v93 :: v_dual_mul_f32 v157, v142, v95
	v_dual_add_f32 v7, v7, v13 :: v_dual_fma_f32 v13, v138, v90, -v29
	v_dual_add_f32 v9, v9, v19 :: v_dual_fmac_f32 v17, v139, v90
	v_pk_mul_f32 v[80:81], v[112:113], v[96:97] op_sel:[1,1] op_sel_hi:[0,1]
	s_delay_alu instid0(VALU_DEP_3) | instskip(SKIP_1) | instid1(VALU_DEP_3)
	v_dual_add_f32 v7, v7, v15 :: v_dual_fmac_f32 v155, v141, v92
	s_wait_loadcnt 0x3
	v_dual_add_f32 v9, v9, v11 :: v_dual_mov_b32 v86, v103
	s_delay_alu instid0(VALU_DEP_2) | instskip(NEXT) | instid1(VALU_DEP_2)
	v_dual_fma_f32 v154, v140, v92, -v31 :: v_dual_add_f32 v89, v7, v17
	v_dual_fma_f32 v156, v142, v94, -v33 :: v_dual_add_f32 v88, v9, v13
	v_fmac_f32_e32 v157, v143, v94
	v_pk_fma_f32 v[90:91], v[112:113], v[96:97], v[80:81] op_sel_hi:[1,0,1]
	v_pk_mul_f32 v[82:83], v[146:147], v[82:83] op_sel_hi:[1,0]
	v_pk_fma_f32 v[80:81], v[112:113], v[96:97], v[80:81] neg_lo:[0,0,1] neg_hi:[0,0,1]
	v_pk_add_f32 v[88:89], v[88:89], v[154:155]
	v_pk_mul_f32 v[84:85], v[116:117], v[100:101] op_sel:[1,1] op_sel_hi:[0,1]
	v_mov_b32_e32 v81, v91
	v_pk_fma_f32 v[90:91], v[114:115], v[98:99], v[82:83] op_sel_hi:[1,0,1]
	v_pk_fma_f32 v[82:83], v[114:115], v[98:99], v[82:83] neg_lo:[0,0,1] neg_hi:[0,0,1]
	v_pk_add_f32 v[88:89], v[88:89], v[156:157]
	v_pk_fma_f32 v[94:95], v[116:117], v[100:101], v[84:85] op_sel_hi:[1,0,1]
	v_pk_mul_f32 v[86:87], v[148:149], v[86:87] op_sel_hi:[1,0]
	v_mov_b32_e32 v83, v91
	s_wait_loadcnt 0x2
	v_pk_mul_f32 v[92:93], v[120:121], v[104:105] op_sel:[1,1] op_sel_hi:[0,1]
	v_pk_add_f32 v[80:81], v[88:89], v[80:81]
	v_mov_b32_e32 v88, v107
	v_pk_fma_f32 v[84:85], v[116:117], v[100:101], v[84:85] neg_lo:[0,0,1] neg_hi:[0,0,1]
	v_mov_b32_e32 v85, v95
	v_pk_fma_f32 v[90:91], v[118:119], v[102:103], v[86:87] op_sel_hi:[1,0,1]
	v_pk_add_f32 v[80:81], v[80:81], v[82:83]
	v_pk_fma_f32 v[82:83], v[120:121], v[104:105], v[92:93] op_sel_hi:[1,0,1]
	v_pk_mul_f32 v[88:89], v[150:151], v[88:89] op_sel_hi:[1,0]
	v_pk_fma_f32 v[86:87], v[118:119], v[102:103], v[86:87] neg_lo:[0,0,1] neg_hi:[0,0,1]
	v_mov_b32_e32 v87, v91
	v_pk_add_f32 v[80:81], v[80:81], v[84:85]
	v_pk_fma_f32 v[90:91], v[120:121], v[104:105], v[92:93] neg_lo:[0,0,1] neg_hi:[0,0,1]
	v_mov_b32_e32 v91, v83
	v_pk_fma_f32 v[82:83], v[122:123], v[106:107], v[88:89] op_sel_hi:[1,0,1]
	s_wait_loadcnt 0x1
	v_pk_mul_f32 v[84:85], v[124:125], v[108:109] op_sel:[1,1] op_sel_hi:[0,1]
	v_pk_add_f32 v[80:81], v[80:81], v[86:87]
	v_mov_b32_e32 v82, v111
	v_pk_fma_f32 v[88:89], v[122:123], v[106:107], v[88:89] neg_lo:[0,0,1] neg_hi:[0,0,1]
	v_mov_b32_e32 v89, v83
	v_pk_fma_f32 v[86:87], v[124:125], v[108:109], v[84:85] op_sel_hi:[1,0,1]
	v_pk_add_f32 v[80:81], v[80:81], v[90:91]
	v_pk_mul_f32 v[82:83], v[152:153], v[82:83] op_sel_hi:[1,0]
	v_pk_fma_f32 v[84:85], v[124:125], v[108:109], v[84:85] neg_lo:[0,0,1] neg_hi:[0,0,1]
	s_delay_alu instid0(VALU_DEP_4) | instskip(NEXT) | instid1(VALU_DEP_4)
	v_mov_b32_e32 v85, v87
	v_pk_add_f32 v[80:81], v[80:81], v[88:89]
	s_delay_alu instid0(VALU_DEP_4) | instskip(SKIP_1) | instid1(VALU_DEP_2)
	v_pk_fma_f32 v[86:87], v[126:127], v[110:111], v[82:83] op_sel_hi:[1,0,1]
	v_pk_fma_f32 v[82:83], v[126:127], v[110:111], v[82:83] neg_lo:[0,0,1] neg_hi:[0,0,1]
	v_mov_b32_e32 v83, v87
	s_delay_alu instid0(VALU_DEP_4) | instskip(NEXT) | instid1(VALU_DEP_1)
	v_pk_add_f32 v[80:81], v[80:81], v[84:85]
	v_pk_add_f32 v[80:81], v[80:81], v[82:83]
	s_wait_loadcnt 0x0
	s_delay_alu instid0(VALU_DEP_1)
	v_pk_add_f32 v[80:81], v[144:145], v[80:81] neg_lo:[0,1] neg_hi:[0,1]
	scratch_store_b64 off, v[80:81], off offset:176
	s_wait_xcnt 0x0
	v_cmpx_lt_u32_e32 21, v0
	s_cbranch_execz .LBB102_205
; %bb.204:
	scratch_load_b64 v[80:81], off, off offset:168
	v_mov_b64_e32 v[82:83], 0
	scratch_store_b64 off, v[82:83], off offset:168
	s_wait_loadcnt 0x0
	ds_store_b64 v1, v[80:81]
.LBB102_205:
	s_wait_xcnt 0x0
	s_or_b32 exec_lo, exec_lo, s0
	s_wait_storecnt_dscnt 0x0
	s_barrier_signal -1
	s_barrier_wait -1
	s_clause 0x9
	scratch_load_b128 v[80:83], off, off offset:176
	scratch_load_b128 v[84:87], off, off offset:192
	;; [unrolled: 1-line block ×8, first 2 shown]
	scratch_load_b64 v[144:145], off, off offset:304
	scratch_load_b64 v[146:147], off, off offset:168
	v_mov_b32_e32 v7, 0
	ds_load_b128 v[112:115], v7 offset:560
	ds_load_b128 v[116:119], v7 offset:576
	;; [unrolled: 1-line block ×8, first 2 shown]
	ds_load_b64 v[148:149], v7 offset:624
	s_mov_b32 s0, exec_lo
	s_wait_dscnt 0x8
	v_dual_mov_b32 v150, v115 :: v_dual_mov_b32 v151, v114
	s_wait_dscnt 0x5
	v_dual_mov_b32 v152, v119 :: v_dual_mov_b32 v157, v126
	v_dual_mov_b32 v153, v118 :: v_dual_mov_b32 v154, v123
	;; [unrolled: 1-line block ×3, first 2 shown]
	s_wait_loadcnt_dscnt 0x904
	v_dual_mul_f32 v9, v128, v81 :: v_dual_mul_f32 v23, v129, v81
	v_dual_mul_f32 v25, v131, v83 :: v_dual_mul_f32 v11, v130, v83
	s_wait_loadcnt_dscnt 0x803
	v_mul_f32_e32 v13, v132, v85
	s_wait_loadcnt_dscnt 0x601
	v_dual_mul_f32 v35, v141, v93 :: v_dual_fma_f32 v23, v128, v80, -v23
	v_dual_fmac_f32 v9, v129, v80 :: v_dual_mul_f32 v37, v143, v95
	v_dual_mul_f32 v27, v133, v85 :: v_dual_mul_f32 v29, v135, v87
	v_dual_fmac_f32 v11, v131, v82 :: v_dual_fma_f32 v25, v130, v82, -v25
	s_delay_alu instid0(VALU_DEP_3)
	v_dual_add_f32 v9, 0, v9 :: v_dual_add_f32 v23, 0, v23
	v_dual_mul_f32 v15, v134, v87 :: v_dual_mul_f32 v17, v136, v89
	s_wait_loadcnt 0x5
	v_dual_mul_f32 v39, v113, v97 :: v_dual_fma_f32 v27, v132, v84, -v27
	v_fmac_f32_e32 v13, v133, v84
	v_dual_add_f32 v9, v9, v11 :: v_dual_mov_b32 v80, v99
	v_add_f32_e32 v11, v23, v25
	v_dual_mul_f32 v31, v137, v89 :: v_dual_mul_f32 v33, v139, v91
	v_dual_fmac_f32 v15, v135, v86 :: v_dual_fma_f32 v23, v134, v86, -v29
	s_delay_alu instid0(VALU_DEP_3) | instskip(SKIP_1) | instid1(VALU_DEP_4)
	v_dual_add_f32 v9, v9, v13 :: v_dual_add_f32 v11, v11, v27
	v_dual_mul_f32 v19, v138, v91 :: v_dual_mul_f32 v21, v140, v93
	v_dual_fmac_f32 v17, v137, v88 :: v_dual_fma_f32 v13, v136, v88, -v31
	s_wait_loadcnt 0x4
	s_delay_alu instid0(VALU_DEP_3) | instskip(SKIP_1) | instid1(VALU_DEP_2)
	v_dual_add_f32 v9, v9, v15 :: v_dual_mov_b32 v84, v103
	v_dual_add_f32 v11, v11, v23 :: v_dual_fma_f32 v15, v138, v90, -v33
	v_dual_fmac_f32 v19, v139, v90 :: v_dual_add_f32 v9, v9, v17
	v_dual_mul_f32 v159, v142, v95 :: v_dual_mul_f32 v161, v112, v97
	s_delay_alu instid0(VALU_DEP_3) | instskip(NEXT) | instid1(VALU_DEP_3)
	v_dual_add_f32 v11, v11, v13 :: v_dual_fmac_f32 v21, v141, v92
	v_dual_fma_f32 v13, v140, v92, -v35 :: v_dual_add_f32 v9, v9, v19
	s_delay_alu instid0(VALU_DEP_3) | instskip(NEXT) | instid1(VALU_DEP_3)
	v_fmac_f32_e32 v159, v143, v94
	v_dual_add_f32 v11, v11, v15 :: v_dual_fma_f32 v158, v142, v94, -v37
	v_pk_mul_f32 v[80:81], v[150:151], v[80:81] op_sel_hi:[1,0]
	s_delay_alu instid0(VALU_DEP_4) | instskip(SKIP_1) | instid1(VALU_DEP_4)
	v_add_f32_e32 v89, v9, v21
	v_pk_mul_f32 v[82:83], v[116:117], v[100:101] op_sel:[1,1] op_sel_hi:[0,1]
	v_dual_add_f32 v88, v11, v13 :: v_dual_fmac_f32 v161, v113, v96
	s_wait_loadcnt 0x3
	v_dual_mov_b32 v90, v107 :: v_dual_fma_f32 v160, v112, v96, -v39
	v_pk_fma_f32 v[92:93], v[114:115], v[98:99], v[80:81] op_sel_hi:[1,0,1]
	s_delay_alu instid0(VALU_DEP_3)
	v_pk_add_f32 v[88:89], v[88:89], v[158:159]
	v_pk_fma_f32 v[80:81], v[114:115], v[98:99], v[80:81] neg_lo:[0,0,1] neg_hi:[0,0,1]
	v_pk_fma_f32 v[94:95], v[116:117], v[100:101], v[82:83] op_sel_hi:[1,0,1]
	v_pk_mul_f32 v[84:85], v[152:153], v[84:85] op_sel_hi:[1,0]
	v_mov_b32_e32 v81, v93
	v_pk_add_f32 v[88:89], v[88:89], v[160:161]
	v_pk_fma_f32 v[82:83], v[116:117], v[100:101], v[82:83] neg_lo:[0,0,1] neg_hi:[0,0,1]
	v_pk_mul_f32 v[86:87], v[120:121], v[104:105] op_sel:[1,1] op_sel_hi:[0,1]
	v_mov_b32_e32 v83, v95
	v_pk_fma_f32 v[94:95], v[118:119], v[102:103], v[84:85] op_sel_hi:[1,0,1]
	v_pk_add_f32 v[80:81], v[88:89], v[80:81]
	v_pk_fma_f32 v[84:85], v[118:119], v[102:103], v[84:85] neg_lo:[0,0,1] neg_hi:[0,0,1]
	v_pk_fma_f32 v[88:89], v[120:121], v[104:105], v[86:87] op_sel_hi:[1,0,1]
	v_pk_mul_f32 v[90:91], v[154:155], v[90:91] op_sel_hi:[1,0]
	v_mov_b32_e32 v85, v95
	v_pk_add_f32 v[80:81], v[80:81], v[82:83]
	v_pk_fma_f32 v[86:87], v[120:121], v[104:105], v[86:87] neg_lo:[0,0,1] neg_hi:[0,0,1]
	s_wait_loadcnt 0x2
	v_pk_mul_f32 v[92:93], v[124:125], v[108:109] op_sel:[1,1] op_sel_hi:[0,1]
	v_dual_mov_b32 v82, v111 :: v_dual_mov_b32 v87, v89
	v_pk_fma_f32 v[88:89], v[122:123], v[106:107], v[90:91] op_sel_hi:[1,0,1]
	v_pk_add_f32 v[80:81], v[80:81], v[84:85]
	v_pk_fma_f32 v[90:91], v[122:123], v[106:107], v[90:91] neg_lo:[0,0,1] neg_hi:[0,0,1]
	v_pk_fma_f32 v[84:85], v[124:125], v[108:109], v[92:93] op_sel_hi:[1,0,1]
	v_pk_mul_f32 v[82:83], v[156:157], v[82:83] op_sel_hi:[1,0]
	v_mov_b32_e32 v91, v89
	v_pk_add_f32 v[80:81], v[80:81], v[86:87]
	v_pk_fma_f32 v[86:87], v[124:125], v[108:109], v[92:93] neg_lo:[0,0,1] neg_hi:[0,0,1]
	v_mov_b32_e32 v87, v85
	v_pk_fma_f32 v[84:85], v[126:127], v[110:111], v[82:83] op_sel_hi:[1,0,1]
	s_wait_loadcnt_dscnt 0x100
	v_pk_mul_f32 v[88:89], v[148:149], v[144:145] op_sel:[1,1] op_sel_hi:[0,1]
	v_pk_add_f32 v[80:81], v[80:81], v[90:91]
	v_pk_fma_f32 v[82:83], v[126:127], v[110:111], v[82:83] neg_lo:[0,0,1] neg_hi:[0,0,1]
	v_mov_b32_e32 v83, v85
	s_delay_alu instid0(VALU_DEP_4) | instskip(NEXT) | instid1(VALU_DEP_4)
	v_pk_fma_f32 v[84:85], v[148:149], v[144:145], v[88:89] op_sel_hi:[1,0,1]
	v_pk_add_f32 v[80:81], v[80:81], v[86:87]
	v_pk_fma_f32 v[86:87], v[148:149], v[144:145], v[88:89] neg_lo:[0,0,1] neg_hi:[0,0,1]
	s_delay_alu instid0(VALU_DEP_3) | instskip(NEXT) | instid1(VALU_DEP_3)
	v_mov_b32_e32 v87, v85
	v_pk_add_f32 v[80:81], v[80:81], v[82:83]
	s_delay_alu instid0(VALU_DEP_1) | instskip(SKIP_1) | instid1(VALU_DEP_1)
	v_pk_add_f32 v[80:81], v[80:81], v[86:87]
	s_wait_loadcnt 0x0
	v_pk_add_f32 v[80:81], v[146:147], v[80:81] neg_lo:[0,1] neg_hi:[0,1]
	scratch_store_b64 off, v[80:81], off offset:168
	s_wait_xcnt 0x0
	v_cmpx_lt_u32_e32 20, v0
	s_cbranch_execz .LBB102_207
; %bb.206:
	scratch_load_b64 v[80:81], off, off offset:160
	v_mov_b64_e32 v[82:83], 0
	scratch_store_b64 off, v[82:83], off offset:160
	s_wait_loadcnt 0x0
	ds_store_b64 v1, v[80:81]
.LBB102_207:
	s_wait_xcnt 0x0
	s_or_b32 exec_lo, exec_lo, s0
	s_wait_storecnt_dscnt 0x0
	s_barrier_signal -1
	s_barrier_wait -1
	s_clause 0x9
	scratch_load_b128 v[80:83], off, off offset:168
	scratch_load_b128 v[84:87], off, off offset:184
	;; [unrolled: 1-line block ×9, first 2 shown]
	scratch_load_b64 v[152:153], off, off offset:160
	ds_load_2addr_b64 v[116:119], v7 offset0:71 offset1:72
	ds_load_2addr_b64 v[120:123], v7 offset0:73 offset1:74
	;; [unrolled: 1-line block ×9, first 2 shown]
	s_mov_b32 s0, exec_lo
	s_wait_dscnt 0x8
	v_dual_mov_b32 v154, v119 :: v_dual_mov_b32 v155, v118
	s_wait_dscnt 0x7
	v_dual_mov_b32 v156, v123 :: v_dual_mov_b32 v157, v122
	;; [unrolled: 2-line block ×4, first 2 shown]
	s_wait_loadcnt_dscnt 0x904
	v_dual_mul_f32 v7, v132, v81 :: v_dual_mul_f32 v9, v134, v83
	v_dual_mul_f32 v23, v133, v81 :: v_dual_mul_f32 v25, v135, v83
	s_wait_loadcnt_dscnt 0x803
	v_dual_mul_f32 v11, v136, v85 :: v_dual_mul_f32 v13, v138, v87
	s_delay_alu instid0(VALU_DEP_3) | instskip(SKIP_3) | instid1(VALU_DEP_3)
	v_dual_fmac_f32 v7, v133, v80 :: v_dual_fmac_f32 v9, v135, v82
	s_wait_loadcnt_dscnt 0x601
	v_dual_fma_f32 v23, v132, v80, -v23 :: v_dual_mul_f32 v35, v145, v93
	v_dual_mul_f32 v27, v137, v85 :: v_dual_mul_f32 v29, v139, v87
	v_dual_fma_f32 v25, v134, v82, -v25 :: v_dual_add_f32 v7, 0, v7
	s_delay_alu instid0(VALU_DEP_3) | instskip(SKIP_1) | instid1(VALU_DEP_4)
	v_dual_add_f32 v23, 0, v23 :: v_dual_fmac_f32 v11, v137, v84
	v_dual_mul_f32 v15, v140, v89 :: v_dual_mul_f32 v17, v142, v91
	v_dual_mul_f32 v37, v147, v95 :: v_dual_fma_f32 v27, v136, v84, -v27
	s_delay_alu instid0(VALU_DEP_4) | instskip(NEXT) | instid1(VALU_DEP_3)
	v_add_f32_e32 v7, v7, v9
	v_dual_add_f32 v9, v23, v25 :: v_dual_fmac_f32 v15, v141, v88
	v_dual_mul_f32 v31, v141, v89 :: v_dual_mul_f32 v33, v143, v91
	s_wait_loadcnt_dscnt 0x500
	v_dual_mul_f32 v23, v149, v97 :: v_dual_fmac_f32 v13, v139, v86
	v_dual_fma_f32 v25, v138, v86, -v29 :: v_dual_add_f32 v7, v7, v11
	s_delay_alu instid0(VALU_DEP_3) | instskip(SKIP_1) | instid1(VALU_DEP_3)
	v_dual_add_f32 v9, v9, v27 :: v_dual_fma_f32 v27, v140, v88, -v31
	v_dual_mul_f32 v19, v144, v93 :: v_dual_mul_f32 v21, v146, v95
	v_add_f32_e32 v7, v7, v13
	s_delay_alu instid0(VALU_DEP_3) | instskip(SKIP_1) | instid1(VALU_DEP_3)
	v_dual_mul_f32 v11, v151, v99 :: v_dual_add_f32 v9, v9, v25
	v_fmac_f32_e32 v17, v143, v90
	v_dual_fma_f32 v13, v142, v90, -v33 :: v_dual_add_f32 v7, v7, v15
	s_wait_loadcnt 0x4
	v_dual_mov_b32 v82, v103 :: v_dual_fmac_f32 v19, v145, v92
	v_dual_add_f32 v9, v9, v27 :: v_dual_fma_f32 v15, v144, v92, -v35
	s_delay_alu instid0(VALU_DEP_3) | instskip(SKIP_1) | instid1(VALU_DEP_3)
	v_add_f32_e32 v7, v7, v17
	v_dual_mul_f32 v163, v148, v97 :: v_dual_mul_f32 v165, v150, v99
	v_dual_add_f32 v9, v9, v13 :: v_dual_fmac_f32 v21, v147, v94
	s_delay_alu instid0(VALU_DEP_3) | instskip(SKIP_2) | instid1(VALU_DEP_3)
	v_dual_fma_f32 v13, v146, v94, -v37 :: v_dual_add_f32 v7, v7, v19
	v_pk_mul_f32 v[80:81], v[116:117], v[100:101] op_sel:[1,1] op_sel_hi:[0,1]
	s_wait_loadcnt 0x3
	v_dual_add_f32 v9, v9, v15 :: v_dual_mov_b32 v86, v107
	s_delay_alu instid0(VALU_DEP_3) | instskip(NEXT) | instid1(VALU_DEP_2)
	v_dual_fmac_f32 v163, v149, v96 :: v_dual_add_f32 v89, v7, v21
	v_dual_fma_f32 v162, v148, v96, -v23 :: v_dual_add_f32 v88, v9, v13
	v_dual_fmac_f32 v165, v151, v98 :: v_dual_fma_f32 v164, v150, v98, -v11
	v_pk_fma_f32 v[90:91], v[116:117], v[100:101], v[80:81] op_sel_hi:[1,0,1]
	v_pk_mul_f32 v[82:83], v[154:155], v[82:83] op_sel_hi:[1,0]
	s_delay_alu instid0(VALU_DEP_4)
	v_pk_add_f32 v[88:89], v[88:89], v[162:163]
	v_pk_fma_f32 v[80:81], v[116:117], v[100:101], v[80:81] neg_lo:[0,0,1] neg_hi:[0,0,1]
	v_pk_mul_f32 v[84:85], v[120:121], v[104:105] op_sel:[1,1] op_sel_hi:[0,1]
	v_mov_b32_e32 v81, v91
	v_pk_fma_f32 v[90:91], v[118:119], v[102:103], v[82:83] op_sel_hi:[1,0,1]
	v_pk_add_f32 v[88:89], v[88:89], v[164:165]
	v_pk_fma_f32 v[82:83], v[118:119], v[102:103], v[82:83] neg_lo:[0,0,1] neg_hi:[0,0,1]
	v_pk_fma_f32 v[94:95], v[120:121], v[104:105], v[84:85] op_sel_hi:[1,0,1]
	v_pk_mul_f32 v[86:87], v[156:157], v[86:87] op_sel_hi:[1,0]
	v_mov_b32_e32 v83, v91
	v_pk_add_f32 v[80:81], v[88:89], v[80:81]
	s_wait_loadcnt 0x2
	v_pk_mul_f32 v[92:93], v[124:125], v[108:109] op_sel:[1,1] op_sel_hi:[0,1]
	v_mov_b32_e32 v88, v111
	v_pk_fma_f32 v[84:85], v[120:121], v[104:105], v[84:85] neg_lo:[0,0,1] neg_hi:[0,0,1]
	v_mov_b32_e32 v85, v95
	v_pk_fma_f32 v[90:91], v[122:123], v[106:107], v[86:87] op_sel_hi:[1,0,1]
	v_pk_add_f32 v[80:81], v[80:81], v[82:83]
	v_pk_fma_f32 v[82:83], v[124:125], v[108:109], v[92:93] op_sel_hi:[1,0,1]
	v_pk_mul_f32 v[88:89], v[158:159], v[88:89] op_sel_hi:[1,0]
	v_pk_fma_f32 v[86:87], v[122:123], v[106:107], v[86:87] neg_lo:[0,0,1] neg_hi:[0,0,1]
	v_mov_b32_e32 v87, v91
	v_pk_add_f32 v[80:81], v[80:81], v[84:85]
	v_pk_fma_f32 v[90:91], v[124:125], v[108:109], v[92:93] neg_lo:[0,0,1] neg_hi:[0,0,1]
	v_mov_b32_e32 v91, v83
	v_pk_fma_f32 v[82:83], v[126:127], v[110:111], v[88:89] op_sel_hi:[1,0,1]
	s_wait_loadcnt 0x1
	v_pk_mul_f32 v[84:85], v[128:129], v[112:113] op_sel:[1,1] op_sel_hi:[0,1]
	v_pk_add_f32 v[80:81], v[80:81], v[86:87]
	v_mov_b32_e32 v82, v115
	v_pk_fma_f32 v[88:89], v[126:127], v[110:111], v[88:89] neg_lo:[0,0,1] neg_hi:[0,0,1]
	v_mov_b32_e32 v89, v83
	v_pk_fma_f32 v[86:87], v[128:129], v[112:113], v[84:85] op_sel_hi:[1,0,1]
	v_pk_add_f32 v[80:81], v[80:81], v[90:91]
	v_pk_mul_f32 v[82:83], v[160:161], v[82:83] op_sel_hi:[1,0]
	v_pk_fma_f32 v[84:85], v[128:129], v[112:113], v[84:85] neg_lo:[0,0,1] neg_hi:[0,0,1]
	s_delay_alu instid0(VALU_DEP_4) | instskip(NEXT) | instid1(VALU_DEP_4)
	v_mov_b32_e32 v85, v87
	v_pk_add_f32 v[80:81], v[80:81], v[88:89]
	s_delay_alu instid0(VALU_DEP_4) | instskip(SKIP_1) | instid1(VALU_DEP_2)
	v_pk_fma_f32 v[86:87], v[130:131], v[114:115], v[82:83] op_sel_hi:[1,0,1]
	v_pk_fma_f32 v[82:83], v[130:131], v[114:115], v[82:83] neg_lo:[0,0,1] neg_hi:[0,0,1]
	v_mov_b32_e32 v83, v87
	s_delay_alu instid0(VALU_DEP_4) | instskip(NEXT) | instid1(VALU_DEP_1)
	v_pk_add_f32 v[80:81], v[80:81], v[84:85]
	v_pk_add_f32 v[80:81], v[80:81], v[82:83]
	s_wait_loadcnt 0x0
	s_delay_alu instid0(VALU_DEP_1)
	v_pk_add_f32 v[80:81], v[152:153], v[80:81] neg_lo:[0,1] neg_hi:[0,1]
	scratch_store_b64 off, v[80:81], off offset:160
	s_wait_xcnt 0x0
	v_cmpx_lt_u32_e32 19, v0
	s_cbranch_execz .LBB102_209
; %bb.208:
	scratch_load_b64 v[80:81], off, off offset:152
	v_mov_b64_e32 v[82:83], 0
	scratch_store_b64 off, v[82:83], off offset:152
	s_wait_loadcnt 0x0
	ds_store_b64 v1, v[80:81]
.LBB102_209:
	s_wait_xcnt 0x0
	s_or_b32 exec_lo, exec_lo, s0
	s_wait_storecnt_dscnt 0x0
	s_barrier_signal -1
	s_barrier_wait -1
	s_clause 0xa
	scratch_load_b128 v[80:83], off, off offset:160
	scratch_load_b128 v[84:87], off, off offset:176
	;; [unrolled: 1-line block ×9, first 2 shown]
	scratch_load_b64 v[152:153], off, off offset:304
	scratch_load_b64 v[154:155], off, off offset:152
	v_mov_b32_e32 v7, 0
	ds_load_b128 v[116:119], v7 offset:560
	ds_load_b128 v[120:123], v7 offset:576
	;; [unrolled: 1-line block ×9, first 2 shown]
	ds_load_b64 v[156:157], v7 offset:624
	s_mov_b32 s0, exec_lo
	s_wait_dscnt 0x9
	v_dual_mov_b32 v158, v119 :: v_dual_mov_b32 v159, v118
	s_wait_dscnt 0x6
	v_dual_mov_b32 v160, v123 :: v_dual_mov_b32 v165, v130
	v_dual_mov_b32 v161, v122 :: v_dual_mov_b32 v162, v127
	;; [unrolled: 1-line block ×3, first 2 shown]
	s_wait_loadcnt_dscnt 0xa05
	v_dual_mul_f32 v9, v132, v81 :: v_dual_mul_f32 v27, v133, v81
	v_dual_mul_f32 v29, v135, v83 :: v_dual_mul_f32 v11, v134, v83
	s_wait_loadcnt_dscnt 0x904
	v_mul_f32_e32 v13, v136, v85
	s_wait_loadcnt_dscnt 0x702
	v_dual_mul_f32 v39, v145, v93 :: v_dual_fma_f32 v27, v132, v80, -v27
	v_dual_fmac_f32 v9, v133, v80 :: v_dual_mul_f32 v41, v147, v95
	v_dual_mul_f32 v31, v137, v85 :: v_dual_mul_f32 v33, v139, v87
	v_dual_fmac_f32 v11, v135, v82 :: v_dual_fma_f32 v29, v134, v82, -v29
	s_delay_alu instid0(VALU_DEP_3) | instskip(SKIP_4) | instid1(VALU_DEP_3)
	v_dual_add_f32 v9, 0, v9 :: v_dual_add_f32 v27, 0, v27
	v_dual_mul_f32 v15, v138, v87 :: v_dual_mul_f32 v17, v140, v89
	s_wait_loadcnt_dscnt 0x601
	v_dual_mul_f32 v43, v149, v97 :: v_dual_fma_f32 v31, v136, v84, -v31
	v_fmac_f32_e32 v13, v137, v84
	v_dual_add_f32 v9, v9, v11 :: v_dual_fmac_f32 v15, v139, v86
	v_add_f32_e32 v11, v27, v29
	v_dual_mul_f32 v35, v141, v89 :: v_dual_mul_f32 v37, v143, v91
	v_dual_mul_f32 v27, v151, v99 :: v_dual_fma_f32 v29, v138, v86, -v33
	s_delay_alu instid0(VALU_DEP_3) | instskip(SKIP_3) | instid1(VALU_DEP_3)
	v_dual_add_f32 v9, v9, v13 :: v_dual_add_f32 v11, v11, v31
	v_dual_mul_f32 v19, v142, v91 :: v_dual_mul_f32 v21, v144, v93
	s_wait_loadcnt 0x5
	v_dual_mul_f32 v13, v117, v101 :: v_dual_fma_f32 v31, v140, v88, -v35
	v_dual_fmac_f32 v17, v141, v88 :: v_dual_add_f32 v11, v11, v29
	v_dual_add_f32 v9, v9, v15 :: v_dual_mov_b32 v80, v103
	v_dual_fmac_f32 v19, v143, v90 :: v_dual_fma_f32 v15, v142, v90, -v37
	s_delay_alu instid0(VALU_DEP_2) | instskip(SKIP_3) | instid1(VALU_DEP_3)
	v_dual_add_f32 v11, v11, v31 :: v_dual_add_f32 v9, v9, v17
	v_dual_mul_f32 v23, v146, v95 :: v_dual_mul_f32 v25, v148, v97
	v_dual_fmac_f32 v21, v145, v92 :: v_dual_fma_f32 v17, v144, v92, -v39
	s_wait_loadcnt 0x4
	v_dual_add_f32 v9, v9, v19 :: v_dual_mov_b32 v84, v107
	v_dual_add_f32 v11, v11, v15 :: v_dual_fma_f32 v15, v146, v94, -v41
	s_delay_alu instid0(VALU_DEP_2) | instskip(SKIP_1) | instid1(VALU_DEP_3)
	v_dual_fmac_f32 v23, v147, v94 :: v_dual_add_f32 v9, v9, v21
	v_dual_mul_f32 v167, v150, v99 :: v_dual_mul_f32 v169, v116, v101
	v_dual_add_f32 v11, v11, v17 :: v_dual_fmac_f32 v25, v149, v96
	s_delay_alu instid0(VALU_DEP_3) | instskip(NEXT) | instid1(VALU_DEP_3)
	v_dual_fma_f32 v17, v148, v96, -v43 :: v_dual_add_f32 v9, v9, v23
	v_fmac_f32_e32 v167, v151, v98
	s_delay_alu instid0(VALU_DEP_3) | instskip(SKIP_1) | instid1(VALU_DEP_4)
	v_dual_add_f32 v11, v11, v15 :: v_dual_fma_f32 v166, v150, v98, -v27
	v_pk_mul_f32 v[80:81], v[158:159], v[80:81] op_sel_hi:[1,0]
	v_add_f32_e32 v89, v9, v25
	v_pk_mul_f32 v[82:83], v[120:121], v[104:105] op_sel:[1,1] op_sel_hi:[0,1]
	s_delay_alu instid0(VALU_DEP_4) | instskip(SKIP_3) | instid1(VALU_DEP_3)
	v_dual_add_f32 v88, v11, v17 :: v_dual_fmac_f32 v169, v117, v100
	s_wait_loadcnt 0x3
	v_dual_mov_b32 v90, v111 :: v_dual_fma_f32 v168, v116, v100, -v13
	v_pk_fma_f32 v[92:93], v[118:119], v[102:103], v[80:81] op_sel_hi:[1,0,1]
	v_pk_add_f32 v[88:89], v[88:89], v[166:167]
	v_pk_fma_f32 v[80:81], v[118:119], v[102:103], v[80:81] neg_lo:[0,0,1] neg_hi:[0,0,1]
	v_pk_fma_f32 v[94:95], v[120:121], v[104:105], v[82:83] op_sel_hi:[1,0,1]
	v_pk_mul_f32 v[84:85], v[160:161], v[84:85] op_sel_hi:[1,0]
	v_mov_b32_e32 v81, v93
	v_pk_add_f32 v[88:89], v[88:89], v[168:169]
	v_pk_fma_f32 v[82:83], v[120:121], v[104:105], v[82:83] neg_lo:[0,0,1] neg_hi:[0,0,1]
	v_pk_mul_f32 v[86:87], v[124:125], v[108:109] op_sel:[1,1] op_sel_hi:[0,1]
	v_mov_b32_e32 v83, v95
	v_pk_fma_f32 v[94:95], v[122:123], v[106:107], v[84:85] op_sel_hi:[1,0,1]
	v_pk_add_f32 v[80:81], v[88:89], v[80:81]
	v_pk_fma_f32 v[84:85], v[122:123], v[106:107], v[84:85] neg_lo:[0,0,1] neg_hi:[0,0,1]
	v_pk_fma_f32 v[88:89], v[124:125], v[108:109], v[86:87] op_sel_hi:[1,0,1]
	v_pk_mul_f32 v[90:91], v[162:163], v[90:91] op_sel_hi:[1,0]
	v_mov_b32_e32 v85, v95
	v_pk_add_f32 v[80:81], v[80:81], v[82:83]
	v_pk_fma_f32 v[86:87], v[124:125], v[108:109], v[86:87] neg_lo:[0,0,1] neg_hi:[0,0,1]
	s_wait_loadcnt 0x2
	v_pk_mul_f32 v[92:93], v[128:129], v[112:113] op_sel:[1,1] op_sel_hi:[0,1]
	v_dual_mov_b32 v82, v115 :: v_dual_mov_b32 v87, v89
	v_pk_fma_f32 v[88:89], v[126:127], v[110:111], v[90:91] op_sel_hi:[1,0,1]
	v_pk_add_f32 v[80:81], v[80:81], v[84:85]
	v_pk_fma_f32 v[90:91], v[126:127], v[110:111], v[90:91] neg_lo:[0,0,1] neg_hi:[0,0,1]
	v_pk_fma_f32 v[84:85], v[128:129], v[112:113], v[92:93] op_sel_hi:[1,0,1]
	v_pk_mul_f32 v[82:83], v[164:165], v[82:83] op_sel_hi:[1,0]
	v_mov_b32_e32 v91, v89
	v_pk_add_f32 v[80:81], v[80:81], v[86:87]
	v_pk_fma_f32 v[86:87], v[128:129], v[112:113], v[92:93] neg_lo:[0,0,1] neg_hi:[0,0,1]
	v_mov_b32_e32 v87, v85
	v_pk_fma_f32 v[84:85], v[130:131], v[114:115], v[82:83] op_sel_hi:[1,0,1]
	s_wait_loadcnt_dscnt 0x100
	v_pk_mul_f32 v[88:89], v[156:157], v[152:153] op_sel:[1,1] op_sel_hi:[0,1]
	v_pk_add_f32 v[80:81], v[80:81], v[90:91]
	v_pk_fma_f32 v[82:83], v[130:131], v[114:115], v[82:83] neg_lo:[0,0,1] neg_hi:[0,0,1]
	v_mov_b32_e32 v83, v85
	s_delay_alu instid0(VALU_DEP_4) | instskip(NEXT) | instid1(VALU_DEP_4)
	v_pk_fma_f32 v[84:85], v[156:157], v[152:153], v[88:89] op_sel_hi:[1,0,1]
	v_pk_add_f32 v[80:81], v[80:81], v[86:87]
	v_pk_fma_f32 v[86:87], v[156:157], v[152:153], v[88:89] neg_lo:[0,0,1] neg_hi:[0,0,1]
	s_delay_alu instid0(VALU_DEP_3) | instskip(NEXT) | instid1(VALU_DEP_3)
	v_mov_b32_e32 v87, v85
	v_pk_add_f32 v[80:81], v[80:81], v[82:83]
	s_delay_alu instid0(VALU_DEP_1) | instskip(SKIP_1) | instid1(VALU_DEP_1)
	v_pk_add_f32 v[80:81], v[80:81], v[86:87]
	s_wait_loadcnt 0x0
	v_pk_add_f32 v[80:81], v[154:155], v[80:81] neg_lo:[0,1] neg_hi:[0,1]
	scratch_store_b64 off, v[80:81], off offset:152
	s_wait_xcnt 0x0
	v_cmpx_lt_u32_e32 18, v0
	s_cbranch_execz .LBB102_211
; %bb.210:
	scratch_load_b64 v[80:81], off, off offset:144
	v_mov_b64_e32 v[82:83], 0
	scratch_store_b64 off, v[82:83], off offset:144
	s_wait_loadcnt 0x0
	ds_store_b64 v1, v[80:81]
.LBB102_211:
	s_wait_xcnt 0x0
	s_or_b32 exec_lo, exec_lo, s0
	s_wait_storecnt_dscnt 0x0
	s_barrier_signal -1
	s_barrier_wait -1
	s_clause 0xa
	scratch_load_b128 v[80:83], off, off offset:152
	scratch_load_b128 v[84:87], off, off offset:168
	;; [unrolled: 1-line block ×10, first 2 shown]
	scratch_load_b64 v[160:161], off, off offset:144
	ds_load_2addr_b64 v[120:123], v7 offset0:71 offset1:72
	ds_load_2addr_b64 v[124:127], v7 offset0:73 offset1:74
	;; [unrolled: 1-line block ×10, first 2 shown]
	s_mov_b32 s0, exec_lo
	s_wait_dscnt 0x9
	v_dual_mov_b32 v162, v123 :: v_dual_mov_b32 v163, v122
	s_wait_dscnt 0x8
	v_dual_mov_b32 v164, v127 :: v_dual_mov_b32 v165, v126
	;; [unrolled: 2-line block ×4, first 2 shown]
	s_wait_loadcnt_dscnt 0xa05
	v_dual_mul_f32 v7, v136, v81 :: v_dual_mul_f32 v9, v138, v83
	v_dual_mul_f32 v27, v137, v81 :: v_dual_mul_f32 v29, v139, v83
	s_wait_loadcnt_dscnt 0x904
	v_dual_mul_f32 v11, v140, v85 :: v_dual_mul_f32 v13, v142, v87
	s_delay_alu instid0(VALU_DEP_3) | instskip(SKIP_3) | instid1(VALU_DEP_3)
	v_dual_fmac_f32 v7, v137, v80 :: v_dual_fmac_f32 v9, v139, v82
	s_wait_loadcnt_dscnt 0x702
	v_dual_fma_f32 v27, v136, v80, -v27 :: v_dual_mul_f32 v39, v149, v93
	v_dual_mul_f32 v31, v141, v85 :: v_dual_mul_f32 v33, v143, v87
	v_dual_fma_f32 v29, v138, v82, -v29 :: v_dual_add_f32 v7, 0, v7
	s_delay_alu instid0(VALU_DEP_3) | instskip(SKIP_1) | instid1(VALU_DEP_4)
	v_dual_add_f32 v27, 0, v27 :: v_dual_fmac_f32 v11, v141, v84
	v_dual_mul_f32 v15, v144, v89 :: v_dual_mul_f32 v17, v146, v91
	v_dual_mul_f32 v41, v151, v95 :: v_dual_fma_f32 v31, v140, v84, -v31
	s_delay_alu instid0(VALU_DEP_4) | instskip(NEXT) | instid1(VALU_DEP_3)
	v_add_f32_e32 v7, v7, v9
	v_dual_add_f32 v9, v27, v29 :: v_dual_fmac_f32 v15, v145, v88
	v_dual_mul_f32 v35, v145, v89 :: v_dual_mul_f32 v37, v147, v91
	s_wait_loadcnt_dscnt 0x601
	v_dual_mul_f32 v27, v153, v97 :: v_dual_fmac_f32 v13, v143, v86
	v_dual_fma_f32 v29, v142, v86, -v33 :: v_dual_add_f32 v7, v7, v11
	s_delay_alu instid0(VALU_DEP_3) | instskip(SKIP_1) | instid1(VALU_DEP_3)
	v_dual_add_f32 v9, v9, v31 :: v_dual_fma_f32 v31, v144, v88, -v35
	v_dual_mul_f32 v19, v148, v93 :: v_dual_mul_f32 v21, v150, v95
	v_add_f32_e32 v7, v7, v13
	s_delay_alu instid0(VALU_DEP_3) | instskip(SKIP_2) | instid1(VALU_DEP_3)
	v_dual_mul_f32 v11, v155, v99 :: v_dual_add_f32 v9, v9, v29
	s_wait_loadcnt_dscnt 0x500
	v_dual_mul_f32 v13, v157, v101 :: v_dual_fmac_f32 v17, v147, v90
	v_dual_fma_f32 v29, v146, v90, -v37 :: v_dual_add_f32 v7, v7, v15
	s_delay_alu instid0(VALU_DEP_3) | instskip(SKIP_1) | instid1(VALU_DEP_3)
	v_dual_add_f32 v9, v9, v31 :: v_dual_fma_f32 v31, v148, v92, -v39
	v_dual_mul_f32 v15, v159, v103 :: v_dual_fmac_f32 v19, v149, v92
	v_dual_add_f32 v7, v7, v17 :: v_dual_fma_f32 v17, v150, v94, -v41
	s_delay_alu instid0(VALU_DEP_3) | instskip(SKIP_1) | instid1(VALU_DEP_3)
	v_dual_add_f32 v9, v9, v29 :: v_dual_fmac_f32 v21, v151, v94
	v_dual_mul_f32 v23, v152, v97 :: v_dual_mul_f32 v25, v154, v99
	v_add_f32_e32 v7, v7, v19
	s_wait_loadcnt 0x4
	s_delay_alu instid0(VALU_DEP_3) | instskip(NEXT) | instid1(VALU_DEP_3)
	v_dual_add_f32 v9, v9, v31 :: v_dual_mov_b32 v82, v107
	v_fmac_f32_e32 v23, v153, v96
	s_delay_alu instid0(VALU_DEP_3) | instskip(NEXT) | instid1(VALU_DEP_3)
	v_dual_fma_f32 v19, v152, v96, -v27 :: v_dual_add_f32 v7, v7, v21
	v_dual_add_f32 v9, v9, v17 :: v_dual_fmac_f32 v25, v155, v98
	v_dual_mul_f32 v171, v156, v101 :: v_dual_mul_f32 v173, v158, v103
	s_delay_alu instid0(VALU_DEP_3) | instskip(SKIP_1) | instid1(VALU_DEP_3)
	v_dual_fma_f32 v11, v154, v98, -v11 :: v_dual_add_f32 v7, v7, v23
	s_wait_loadcnt 0x3
	v_dual_add_f32 v9, v9, v19 :: v_dual_mov_b32 v86, v111
	v_pk_mul_f32 v[80:81], v[120:121], v[104:105] op_sel:[1,1] op_sel_hi:[0,1]
	v_dual_fmac_f32 v171, v157, v100 :: v_dual_fma_f32 v170, v156, v100, -v13
	s_delay_alu instid0(VALU_DEP_3) | instskip(SKIP_1) | instid1(VALU_DEP_4)
	v_dual_add_f32 v89, v7, v25 :: v_dual_add_f32 v88, v9, v11
	v_dual_fmac_f32 v173, v159, v102 :: v_dual_fma_f32 v172, v158, v102, -v15
	v_pk_fma_f32 v[90:91], v[120:121], v[104:105], v[80:81] op_sel_hi:[1,0,1]
	v_pk_mul_f32 v[82:83], v[162:163], v[82:83] op_sel_hi:[1,0]
	s_delay_alu instid0(VALU_DEP_4)
	v_pk_add_f32 v[88:89], v[88:89], v[170:171]
	v_pk_fma_f32 v[80:81], v[120:121], v[104:105], v[80:81] neg_lo:[0,0,1] neg_hi:[0,0,1]
	v_pk_mul_f32 v[84:85], v[124:125], v[108:109] op_sel:[1,1] op_sel_hi:[0,1]
	v_mov_b32_e32 v81, v91
	v_pk_fma_f32 v[90:91], v[122:123], v[106:107], v[82:83] op_sel_hi:[1,0,1]
	v_pk_add_f32 v[88:89], v[88:89], v[172:173]
	v_pk_fma_f32 v[82:83], v[122:123], v[106:107], v[82:83] neg_lo:[0,0,1] neg_hi:[0,0,1]
	v_pk_fma_f32 v[94:95], v[124:125], v[108:109], v[84:85] op_sel_hi:[1,0,1]
	v_pk_mul_f32 v[86:87], v[164:165], v[86:87] op_sel_hi:[1,0]
	v_mov_b32_e32 v83, v91
	v_pk_add_f32 v[80:81], v[88:89], v[80:81]
	s_wait_loadcnt 0x2
	v_pk_mul_f32 v[92:93], v[128:129], v[112:113] op_sel:[1,1] op_sel_hi:[0,1]
	v_mov_b32_e32 v88, v115
	v_pk_fma_f32 v[84:85], v[124:125], v[108:109], v[84:85] neg_lo:[0,0,1] neg_hi:[0,0,1]
	v_mov_b32_e32 v85, v95
	v_pk_fma_f32 v[90:91], v[126:127], v[110:111], v[86:87] op_sel_hi:[1,0,1]
	v_pk_add_f32 v[80:81], v[80:81], v[82:83]
	v_pk_fma_f32 v[82:83], v[128:129], v[112:113], v[92:93] op_sel_hi:[1,0,1]
	v_pk_mul_f32 v[88:89], v[166:167], v[88:89] op_sel_hi:[1,0]
	v_pk_fma_f32 v[86:87], v[126:127], v[110:111], v[86:87] neg_lo:[0,0,1] neg_hi:[0,0,1]
	v_mov_b32_e32 v87, v91
	v_pk_add_f32 v[80:81], v[80:81], v[84:85]
	v_pk_fma_f32 v[90:91], v[128:129], v[112:113], v[92:93] neg_lo:[0,0,1] neg_hi:[0,0,1]
	v_mov_b32_e32 v91, v83
	v_pk_fma_f32 v[82:83], v[130:131], v[114:115], v[88:89] op_sel_hi:[1,0,1]
	s_wait_loadcnt 0x1
	v_pk_mul_f32 v[84:85], v[132:133], v[116:117] op_sel:[1,1] op_sel_hi:[0,1]
	v_pk_add_f32 v[80:81], v[80:81], v[86:87]
	v_mov_b32_e32 v82, v119
	v_pk_fma_f32 v[88:89], v[130:131], v[114:115], v[88:89] neg_lo:[0,0,1] neg_hi:[0,0,1]
	v_mov_b32_e32 v89, v83
	v_pk_fma_f32 v[86:87], v[132:133], v[116:117], v[84:85] op_sel_hi:[1,0,1]
	v_pk_add_f32 v[80:81], v[80:81], v[90:91]
	v_pk_mul_f32 v[82:83], v[168:169], v[82:83] op_sel_hi:[1,0]
	v_pk_fma_f32 v[84:85], v[132:133], v[116:117], v[84:85] neg_lo:[0,0,1] neg_hi:[0,0,1]
	s_delay_alu instid0(VALU_DEP_4) | instskip(NEXT) | instid1(VALU_DEP_4)
	v_mov_b32_e32 v85, v87
	v_pk_add_f32 v[80:81], v[80:81], v[88:89]
	s_delay_alu instid0(VALU_DEP_4) | instskip(SKIP_1) | instid1(VALU_DEP_2)
	v_pk_fma_f32 v[86:87], v[134:135], v[118:119], v[82:83] op_sel_hi:[1,0,1]
	v_pk_fma_f32 v[82:83], v[134:135], v[118:119], v[82:83] neg_lo:[0,0,1] neg_hi:[0,0,1]
	v_mov_b32_e32 v83, v87
	s_delay_alu instid0(VALU_DEP_4) | instskip(NEXT) | instid1(VALU_DEP_1)
	v_pk_add_f32 v[80:81], v[80:81], v[84:85]
	v_pk_add_f32 v[80:81], v[80:81], v[82:83]
	s_wait_loadcnt 0x0
	s_delay_alu instid0(VALU_DEP_1)
	v_pk_add_f32 v[80:81], v[160:161], v[80:81] neg_lo:[0,1] neg_hi:[0,1]
	scratch_store_b64 off, v[80:81], off offset:144
	s_wait_xcnt 0x0
	v_cmpx_lt_u32_e32 17, v0
	s_cbranch_execz .LBB102_213
; %bb.212:
	scratch_load_b64 v[80:81], off, off offset:136
	v_mov_b64_e32 v[82:83], 0
	scratch_store_b64 off, v[82:83], off offset:136
	s_wait_loadcnt 0x0
	ds_store_b64 v1, v[80:81]
.LBB102_213:
	s_wait_xcnt 0x0
	s_or_b32 exec_lo, exec_lo, s0
	s_wait_storecnt_dscnt 0x0
	s_barrier_signal -1
	s_barrier_wait -1
	s_clause 0xb
	scratch_load_b128 v[80:83], off, off offset:144
	scratch_load_b128 v[84:87], off, off offset:160
	;; [unrolled: 1-line block ×10, first 2 shown]
	scratch_load_b64 v[160:161], off, off offset:304
	scratch_load_b64 v[162:163], off, off offset:136
	v_mov_b32_e32 v7, 0
	ds_load_b128 v[120:123], v7 offset:560
	ds_load_b128 v[124:127], v7 offset:576
	;; [unrolled: 1-line block ×10, first 2 shown]
	ds_load_b64 v[164:165], v7 offset:624
	s_mov_b32 s0, exec_lo
	s_wait_dscnt 0xa
	v_dual_mov_b32 v166, v123 :: v_dual_mov_b32 v167, v122
	s_wait_dscnt 0x7
	v_dual_mov_b32 v168, v127 :: v_dual_mov_b32 v173, v134
	v_dual_mov_b32 v169, v126 :: v_dual_mov_b32 v170, v131
	;; [unrolled: 1-line block ×3, first 2 shown]
	s_wait_loadcnt_dscnt 0xb06
	v_dual_mul_f32 v9, v136, v81 :: v_dual_mul_f32 v31, v137, v81
	v_dual_mul_f32 v33, v139, v83 :: v_dual_mul_f32 v11, v138, v83
	s_wait_loadcnt_dscnt 0xa05
	v_mul_f32_e32 v13, v140, v85
	s_wait_loadcnt_dscnt 0x803
	v_dual_mul_f32 v43, v149, v93 :: v_dual_fma_f32 v31, v136, v80, -v31
	v_dual_fmac_f32 v9, v137, v80 :: v_dual_mul_f32 v45, v151, v95
	v_dual_mul_f32 v35, v141, v85 :: v_dual_mul_f32 v37, v143, v87
	v_dual_fmac_f32 v11, v139, v82 :: v_dual_fma_f32 v33, v138, v82, -v33
	s_delay_alu instid0(VALU_DEP_3) | instskip(SKIP_4) | instid1(VALU_DEP_3)
	v_dual_add_f32 v9, 0, v9 :: v_dual_add_f32 v31, 0, v31
	v_dual_mul_f32 v15, v142, v87 :: v_dual_mul_f32 v17, v144, v89
	s_wait_loadcnt_dscnt 0x702
	v_dual_mul_f32 v47, v153, v97 :: v_dual_fma_f32 v35, v140, v84, -v35
	v_fmac_f32_e32 v13, v141, v84
	v_dual_add_f32 v9, v9, v11 :: v_dual_fmac_f32 v15, v143, v86
	v_add_f32_e32 v11, v31, v33
	v_dual_mul_f32 v39, v145, v89 :: v_dual_mul_f32 v41, v147, v91
	v_dual_mul_f32 v31, v155, v99 :: v_dual_fma_f32 v33, v142, v86, -v37
	s_delay_alu instid0(VALU_DEP_3) | instskip(SKIP_3) | instid1(VALU_DEP_3)
	v_dual_add_f32 v9, v9, v13 :: v_dual_add_f32 v11, v11, v35
	v_dual_mul_f32 v19, v146, v91 :: v_dual_mul_f32 v21, v148, v93
	s_wait_loadcnt_dscnt 0x601
	v_dual_mul_f32 v13, v157, v101 :: v_dual_fma_f32 v35, v144, v88, -v39
	v_dual_fmac_f32 v17, v145, v88 :: v_dual_add_f32 v11, v11, v33
	s_delay_alu instid0(VALU_DEP_3) | instskip(SKIP_1) | instid1(VALU_DEP_2)
	v_dual_add_f32 v9, v9, v15 :: v_dual_fmac_f32 v19, v147, v90
	v_dual_mul_f32 v15, v159, v103 :: v_dual_fma_f32 v33, v146, v90, -v41
	v_dual_add_f32 v11, v11, v35 :: v_dual_add_f32 v9, v9, v17
	v_dual_mul_f32 v23, v150, v95 :: v_dual_mul_f32 v25, v152, v97
	s_wait_loadcnt 0x5
	v_dual_mul_f32 v17, v121, v105 :: v_dual_fma_f32 v35, v148, v92, -v43
	s_delay_alu instid0(VALU_DEP_3) | instskip(SKIP_2) | instid1(VALU_DEP_2)
	v_dual_fmac_f32 v21, v149, v92 :: v_dual_add_f32 v11, v11, v33
	v_dual_add_f32 v9, v9, v19 :: v_dual_mov_b32 v80, v107
	v_dual_fmac_f32 v23, v151, v94 :: v_dual_fma_f32 v19, v150, v94, -v45
	v_dual_add_f32 v11, v11, v35 :: v_dual_add_f32 v9, v9, v21
	v_dual_mul_f32 v27, v154, v99 :: v_dual_mul_f32 v29, v156, v101
	v_dual_fmac_f32 v25, v153, v96 :: v_dual_fma_f32 v21, v152, v96, -v47
	s_wait_loadcnt 0x4
	s_delay_alu instid0(VALU_DEP_3) | instskip(SKIP_1) | instid1(VALU_DEP_2)
	v_dual_add_f32 v9, v9, v23 :: v_dual_mov_b32 v84, v111
	v_dual_add_f32 v11, v11, v19 :: v_dual_fma_f32 v19, v154, v98, -v31
	v_dual_fmac_f32 v27, v155, v98 :: v_dual_add_f32 v9, v9, v25
	v_dual_mul_f32 v175, v158, v103 :: v_dual_mul_f32 v177, v120, v105
	s_delay_alu instid0(VALU_DEP_3) | instskip(NEXT) | instid1(VALU_DEP_3)
	v_dual_add_f32 v11, v11, v21 :: v_dual_fmac_f32 v29, v157, v100
	v_dual_fma_f32 v13, v156, v100, -v13 :: v_dual_add_f32 v9, v9, v27
	s_delay_alu instid0(VALU_DEP_3) | instskip(NEXT) | instid1(VALU_DEP_3)
	v_fmac_f32_e32 v175, v159, v102
	v_dual_add_f32 v11, v11, v19 :: v_dual_fma_f32 v174, v158, v102, -v15
	v_pk_mul_f32 v[80:81], v[166:167], v[80:81] op_sel_hi:[1,0]
	s_delay_alu instid0(VALU_DEP_4) | instskip(SKIP_1) | instid1(VALU_DEP_4)
	v_add_f32_e32 v89, v9, v29
	v_pk_mul_f32 v[82:83], v[124:125], v[108:109] op_sel:[1,1] op_sel_hi:[0,1]
	v_dual_add_f32 v88, v11, v13 :: v_dual_fmac_f32 v177, v121, v104
	s_wait_loadcnt 0x3
	v_dual_mov_b32 v90, v115 :: v_dual_fma_f32 v176, v120, v104, -v17
	v_pk_fma_f32 v[92:93], v[122:123], v[106:107], v[80:81] op_sel_hi:[1,0,1]
	s_delay_alu instid0(VALU_DEP_3)
	v_pk_add_f32 v[88:89], v[88:89], v[174:175]
	v_pk_fma_f32 v[80:81], v[122:123], v[106:107], v[80:81] neg_lo:[0,0,1] neg_hi:[0,0,1]
	v_pk_fma_f32 v[94:95], v[124:125], v[108:109], v[82:83] op_sel_hi:[1,0,1]
	v_pk_mul_f32 v[84:85], v[168:169], v[84:85] op_sel_hi:[1,0]
	v_mov_b32_e32 v81, v93
	v_pk_add_f32 v[88:89], v[88:89], v[176:177]
	v_pk_fma_f32 v[82:83], v[124:125], v[108:109], v[82:83] neg_lo:[0,0,1] neg_hi:[0,0,1]
	v_pk_mul_f32 v[86:87], v[128:129], v[112:113] op_sel:[1,1] op_sel_hi:[0,1]
	v_mov_b32_e32 v83, v95
	v_pk_fma_f32 v[94:95], v[126:127], v[110:111], v[84:85] op_sel_hi:[1,0,1]
	v_pk_add_f32 v[80:81], v[88:89], v[80:81]
	v_pk_fma_f32 v[84:85], v[126:127], v[110:111], v[84:85] neg_lo:[0,0,1] neg_hi:[0,0,1]
	v_pk_fma_f32 v[88:89], v[128:129], v[112:113], v[86:87] op_sel_hi:[1,0,1]
	v_pk_mul_f32 v[90:91], v[170:171], v[90:91] op_sel_hi:[1,0]
	v_mov_b32_e32 v85, v95
	v_pk_add_f32 v[80:81], v[80:81], v[82:83]
	v_pk_fma_f32 v[86:87], v[128:129], v[112:113], v[86:87] neg_lo:[0,0,1] neg_hi:[0,0,1]
	s_wait_loadcnt 0x2
	v_pk_mul_f32 v[92:93], v[132:133], v[116:117] op_sel:[1,1] op_sel_hi:[0,1]
	v_dual_mov_b32 v82, v119 :: v_dual_mov_b32 v87, v89
	v_pk_fma_f32 v[88:89], v[130:131], v[114:115], v[90:91] op_sel_hi:[1,0,1]
	v_pk_add_f32 v[80:81], v[80:81], v[84:85]
	v_pk_fma_f32 v[90:91], v[130:131], v[114:115], v[90:91] neg_lo:[0,0,1] neg_hi:[0,0,1]
	v_pk_fma_f32 v[84:85], v[132:133], v[116:117], v[92:93] op_sel_hi:[1,0,1]
	v_pk_mul_f32 v[82:83], v[172:173], v[82:83] op_sel_hi:[1,0]
	v_mov_b32_e32 v91, v89
	v_pk_add_f32 v[80:81], v[80:81], v[86:87]
	v_pk_fma_f32 v[86:87], v[132:133], v[116:117], v[92:93] neg_lo:[0,0,1] neg_hi:[0,0,1]
	v_mov_b32_e32 v87, v85
	v_pk_fma_f32 v[84:85], v[134:135], v[118:119], v[82:83] op_sel_hi:[1,0,1]
	s_wait_loadcnt_dscnt 0x100
	v_pk_mul_f32 v[88:89], v[164:165], v[160:161] op_sel:[1,1] op_sel_hi:[0,1]
	v_pk_add_f32 v[80:81], v[80:81], v[90:91]
	v_pk_fma_f32 v[82:83], v[134:135], v[118:119], v[82:83] neg_lo:[0,0,1] neg_hi:[0,0,1]
	v_mov_b32_e32 v83, v85
	s_delay_alu instid0(VALU_DEP_4) | instskip(NEXT) | instid1(VALU_DEP_4)
	v_pk_fma_f32 v[84:85], v[164:165], v[160:161], v[88:89] op_sel_hi:[1,0,1]
	v_pk_add_f32 v[80:81], v[80:81], v[86:87]
	v_pk_fma_f32 v[86:87], v[164:165], v[160:161], v[88:89] neg_lo:[0,0,1] neg_hi:[0,0,1]
	s_delay_alu instid0(VALU_DEP_3) | instskip(NEXT) | instid1(VALU_DEP_3)
	v_mov_b32_e32 v87, v85
	v_pk_add_f32 v[80:81], v[80:81], v[82:83]
	s_delay_alu instid0(VALU_DEP_1) | instskip(SKIP_1) | instid1(VALU_DEP_1)
	v_pk_add_f32 v[80:81], v[80:81], v[86:87]
	s_wait_loadcnt 0x0
	v_pk_add_f32 v[80:81], v[162:163], v[80:81] neg_lo:[0,1] neg_hi:[0,1]
	scratch_store_b64 off, v[80:81], off offset:136
	s_wait_xcnt 0x0
	v_cmpx_lt_u32_e32 16, v0
	s_cbranch_execz .LBB102_215
; %bb.214:
	scratch_load_b64 v[80:81], off, off offset:128
	v_mov_b64_e32 v[82:83], 0
	scratch_store_b64 off, v[82:83], off offset:128
	s_wait_loadcnt 0x0
	ds_store_b64 v1, v[80:81]
.LBB102_215:
	s_wait_xcnt 0x0
	s_or_b32 exec_lo, exec_lo, s0
	s_wait_storecnt_dscnt 0x0
	s_barrier_signal -1
	s_barrier_wait -1
	s_clause 0xb
	scratch_load_b128 v[80:83], off, off offset:136
	scratch_load_b128 v[84:87], off, off offset:152
	scratch_load_b128 v[88:91], off, off offset:168
	scratch_load_b128 v[92:95], off, off offset:184
	scratch_load_b128 v[96:99], off, off offset:200
	scratch_load_b128 v[100:103], off, off offset:216
	scratch_load_b128 v[104:107], off, off offset:232
	scratch_load_b128 v[108:111], off, off offset:248
	scratch_load_b128 v[112:115], off, off offset:264
	scratch_load_b128 v[116:119], off, off offset:280
	scratch_load_b128 v[120:123], off, off offset:296
	scratch_load_b64 v[168:169], off, off offset:128
	ds_load_2addr_b64 v[124:127], v7 offset0:71 offset1:72
	ds_load_2addr_b64 v[128:131], v7 offset0:73 offset1:74
	;; [unrolled: 1-line block ×11, first 2 shown]
	s_mov_b32 s0, exec_lo
	s_wait_dscnt 0xa
	v_dual_mov_b32 v170, v127 :: v_dual_mov_b32 v171, v126
	s_wait_dscnt 0x9
	v_dual_mov_b32 v172, v131 :: v_dual_mov_b32 v173, v130
	;; [unrolled: 2-line block ×4, first 2 shown]
	s_wait_loadcnt_dscnt 0xb06
	v_dual_mul_f32 v7, v140, v81 :: v_dual_mul_f32 v9, v142, v83
	v_dual_mul_f32 v31, v141, v81 :: v_dual_mul_f32 v33, v143, v83
	s_wait_loadcnt_dscnt 0xa05
	v_dual_mul_f32 v11, v144, v85 :: v_dual_mul_f32 v13, v146, v87
	s_delay_alu instid0(VALU_DEP_3) | instskip(SKIP_3) | instid1(VALU_DEP_3)
	v_dual_fmac_f32 v7, v141, v80 :: v_dual_fmac_f32 v9, v143, v82
	s_wait_loadcnt_dscnt 0x803
	v_dual_fma_f32 v31, v140, v80, -v31 :: v_dual_mul_f32 v43, v153, v93
	v_dual_mul_f32 v35, v145, v85 :: v_dual_mul_f32 v37, v147, v87
	v_dual_fma_f32 v33, v142, v82, -v33 :: v_dual_add_f32 v7, 0, v7
	s_delay_alu instid0(VALU_DEP_3) | instskip(SKIP_1) | instid1(VALU_DEP_4)
	v_dual_add_f32 v31, 0, v31 :: v_dual_fmac_f32 v11, v145, v84
	v_dual_mul_f32 v15, v148, v89 :: v_dual_mul_f32 v17, v150, v91
	v_dual_mul_f32 v45, v155, v95 :: v_dual_fma_f32 v35, v144, v84, -v35
	s_delay_alu instid0(VALU_DEP_4) | instskip(NEXT) | instid1(VALU_DEP_3)
	v_add_f32_e32 v7, v7, v9
	v_dual_add_f32 v9, v31, v33 :: v_dual_fmac_f32 v15, v149, v88
	v_dual_mul_f32 v39, v149, v89 :: v_dual_mul_f32 v41, v151, v91
	s_wait_loadcnt_dscnt 0x702
	v_dual_mul_f32 v31, v157, v97 :: v_dual_fmac_f32 v13, v147, v86
	v_dual_fma_f32 v33, v146, v86, -v37 :: v_dual_add_f32 v7, v7, v11
	s_delay_alu instid0(VALU_DEP_3) | instskip(SKIP_1) | instid1(VALU_DEP_3)
	v_dual_add_f32 v9, v9, v35 :: v_dual_fma_f32 v35, v148, v88, -v39
	v_dual_mul_f32 v19, v152, v93 :: v_dual_mul_f32 v21, v154, v95
	v_add_f32_e32 v7, v7, v13
	s_delay_alu instid0(VALU_DEP_3) | instskip(SKIP_2) | instid1(VALU_DEP_3)
	v_dual_mul_f32 v11, v159, v99 :: v_dual_add_f32 v9, v9, v33
	s_wait_loadcnt_dscnt 0x601
	v_dual_mul_f32 v13, v161, v101 :: v_dual_fmac_f32 v17, v151, v90
	v_dual_fma_f32 v33, v150, v90, -v41 :: v_dual_add_f32 v7, v7, v15
	s_delay_alu instid0(VALU_DEP_3) | instskip(SKIP_1) | instid1(VALU_DEP_3)
	v_dual_add_f32 v9, v9, v35 :: v_dual_fma_f32 v35, v152, v92, -v43
	v_dual_mul_f32 v15, v163, v103 :: v_dual_fmac_f32 v19, v153, v92
	v_add_f32_e32 v7, v7, v17
	s_delay_alu instid0(VALU_DEP_3)
	v_dual_add_f32 v9, v9, v33 :: v_dual_fmac_f32 v21, v155, v94
	v_dual_mul_f32 v23, v156, v97 :: v_dual_mul_f32 v25, v158, v99
	s_wait_loadcnt_dscnt 0x500
	v_dual_fma_f32 v33, v154, v94, -v45 :: v_dual_mul_f32 v17, v165, v105
	v_add_f32_e32 v7, v7, v19
	v_dual_add_f32 v9, v9, v35 :: v_dual_fma_f32 v31, v156, v96, -v31
	v_dual_mul_f32 v19, v167, v107 :: v_dual_fmac_f32 v23, v157, v96
	s_delay_alu instid0(VALU_DEP_3) | instskip(NEXT) | instid1(VALU_DEP_3)
	v_dual_add_f32 v7, v7, v21 :: v_dual_fma_f32 v11, v158, v98, -v11
	v_dual_add_f32 v9, v9, v33 :: v_dual_fmac_f32 v25, v159, v98
	v_dual_mul_f32 v27, v160, v101 :: v_dual_mul_f32 v29, v162, v103
	s_delay_alu instid0(VALU_DEP_3) | instskip(SKIP_1) | instid1(VALU_DEP_3)
	v_add_f32_e32 v7, v7, v23
	s_wait_loadcnt 0x4
	v_dual_add_f32 v9, v9, v31 :: v_dual_mov_b32 v82, v111
	s_delay_alu instid0(VALU_DEP_3) | instskip(NEXT) | instid1(VALU_DEP_2)
	v_dual_fmac_f32 v27, v161, v100 :: v_dual_fma_f32 v13, v160, v100, -v13
	v_dual_add_f32 v7, v7, v25 :: v_dual_add_f32 v9, v9, v11
	v_dual_fmac_f32 v29, v163, v102 :: v_dual_mul_f32 v179, v164, v105
	v_mul_f32_e32 v181, v166, v107
	s_delay_alu instid0(VALU_DEP_3) | instskip(SKIP_4) | instid1(VALU_DEP_3)
	v_dual_fma_f32 v11, v162, v102, -v15 :: v_dual_add_f32 v7, v7, v27
	s_wait_loadcnt 0x3
	v_dual_add_f32 v9, v9, v13 :: v_dual_mov_b32 v86, v115
	v_pk_mul_f32 v[80:81], v[124:125], v[108:109] op_sel:[1,1] op_sel_hi:[0,1]
	v_dual_fmac_f32 v179, v165, v104 :: v_dual_fma_f32 v178, v164, v104, -v17
	v_dual_add_f32 v89, v7, v29 :: v_dual_add_f32 v88, v9, v11
	v_dual_fmac_f32 v181, v167, v106 :: v_dual_fma_f32 v180, v166, v106, -v19
	s_delay_alu instid0(VALU_DEP_4) | instskip(SKIP_1) | instid1(VALU_DEP_4)
	v_pk_fma_f32 v[90:91], v[124:125], v[108:109], v[80:81] op_sel_hi:[1,0,1]
	v_pk_mul_f32 v[82:83], v[170:171], v[82:83] op_sel_hi:[1,0]
	v_pk_add_f32 v[88:89], v[88:89], v[178:179]
	v_pk_fma_f32 v[80:81], v[124:125], v[108:109], v[80:81] neg_lo:[0,0,1] neg_hi:[0,0,1]
	v_pk_mul_f32 v[84:85], v[128:129], v[112:113] op_sel:[1,1] op_sel_hi:[0,1]
	v_mov_b32_e32 v81, v91
	v_pk_fma_f32 v[90:91], v[126:127], v[110:111], v[82:83] op_sel_hi:[1,0,1]
	v_pk_add_f32 v[88:89], v[88:89], v[180:181]
	v_pk_fma_f32 v[82:83], v[126:127], v[110:111], v[82:83] neg_lo:[0,0,1] neg_hi:[0,0,1]
	v_pk_fma_f32 v[94:95], v[128:129], v[112:113], v[84:85] op_sel_hi:[1,0,1]
	v_pk_mul_f32 v[86:87], v[172:173], v[86:87] op_sel_hi:[1,0]
	v_mov_b32_e32 v83, v91
	v_pk_add_f32 v[80:81], v[88:89], v[80:81]
	s_wait_loadcnt 0x2
	v_pk_mul_f32 v[92:93], v[132:133], v[116:117] op_sel:[1,1] op_sel_hi:[0,1]
	v_mov_b32_e32 v88, v119
	v_pk_fma_f32 v[84:85], v[128:129], v[112:113], v[84:85] neg_lo:[0,0,1] neg_hi:[0,0,1]
	v_mov_b32_e32 v85, v95
	v_pk_fma_f32 v[90:91], v[130:131], v[114:115], v[86:87] op_sel_hi:[1,0,1]
	v_pk_add_f32 v[80:81], v[80:81], v[82:83]
	v_pk_fma_f32 v[82:83], v[132:133], v[116:117], v[92:93] op_sel_hi:[1,0,1]
	v_pk_mul_f32 v[88:89], v[174:175], v[88:89] op_sel_hi:[1,0]
	v_pk_fma_f32 v[86:87], v[130:131], v[114:115], v[86:87] neg_lo:[0,0,1] neg_hi:[0,0,1]
	v_mov_b32_e32 v87, v91
	v_pk_add_f32 v[80:81], v[80:81], v[84:85]
	v_pk_fma_f32 v[90:91], v[132:133], v[116:117], v[92:93] neg_lo:[0,0,1] neg_hi:[0,0,1]
	v_mov_b32_e32 v91, v83
	v_pk_fma_f32 v[82:83], v[134:135], v[118:119], v[88:89] op_sel_hi:[1,0,1]
	s_wait_loadcnt 0x1
	v_pk_mul_f32 v[84:85], v[136:137], v[120:121] op_sel:[1,1] op_sel_hi:[0,1]
	v_pk_add_f32 v[80:81], v[80:81], v[86:87]
	v_mov_b32_e32 v82, v123
	v_pk_fma_f32 v[88:89], v[134:135], v[118:119], v[88:89] neg_lo:[0,0,1] neg_hi:[0,0,1]
	v_mov_b32_e32 v89, v83
	v_pk_fma_f32 v[86:87], v[136:137], v[120:121], v[84:85] op_sel_hi:[1,0,1]
	v_pk_add_f32 v[80:81], v[80:81], v[90:91]
	v_pk_mul_f32 v[82:83], v[176:177], v[82:83] op_sel_hi:[1,0]
	v_pk_fma_f32 v[84:85], v[136:137], v[120:121], v[84:85] neg_lo:[0,0,1] neg_hi:[0,0,1]
	s_delay_alu instid0(VALU_DEP_4) | instskip(NEXT) | instid1(VALU_DEP_4)
	v_mov_b32_e32 v85, v87
	v_pk_add_f32 v[80:81], v[80:81], v[88:89]
	s_delay_alu instid0(VALU_DEP_4) | instskip(SKIP_1) | instid1(VALU_DEP_2)
	v_pk_fma_f32 v[86:87], v[138:139], v[122:123], v[82:83] op_sel_hi:[1,0,1]
	v_pk_fma_f32 v[82:83], v[138:139], v[122:123], v[82:83] neg_lo:[0,0,1] neg_hi:[0,0,1]
	v_mov_b32_e32 v83, v87
	s_delay_alu instid0(VALU_DEP_4) | instskip(NEXT) | instid1(VALU_DEP_1)
	v_pk_add_f32 v[80:81], v[80:81], v[84:85]
	v_pk_add_f32 v[80:81], v[80:81], v[82:83]
	s_wait_loadcnt 0x0
	s_delay_alu instid0(VALU_DEP_1)
	v_pk_add_f32 v[80:81], v[168:169], v[80:81] neg_lo:[0,1] neg_hi:[0,1]
	scratch_store_b64 off, v[80:81], off offset:128
	s_wait_xcnt 0x0
	v_cmpx_lt_u32_e32 15, v0
	s_cbranch_execz .LBB102_217
; %bb.216:
	scratch_load_b64 v[80:81], off, off offset:120
	v_mov_b64_e32 v[82:83], 0
	scratch_store_b64 off, v[82:83], off offset:120
	s_wait_loadcnt 0x0
	ds_store_b64 v1, v[80:81]
.LBB102_217:
	s_wait_xcnt 0x0
	s_or_b32 exec_lo, exec_lo, s0
	s_wait_storecnt_dscnt 0x0
	s_barrier_signal -1
	s_barrier_wait -1
	s_clause 0xc
	scratch_load_b128 v[80:83], off, off offset:128
	scratch_load_b128 v[84:87], off, off offset:144
	;; [unrolled: 1-line block ×11, first 2 shown]
	scratch_load_b64 v[168:169], off, off offset:304
	scratch_load_b64 v[170:171], off, off offset:120
	v_mov_b32_e32 v7, 0
	ds_load_b128 v[124:127], v7 offset:560
	ds_load_b128 v[128:131], v7 offset:576
	;; [unrolled: 1-line block ×11, first 2 shown]
	ds_load_b64 v[172:173], v7 offset:624
	s_mov_b32 s0, exec_lo
	s_wait_dscnt 0xb
	v_dual_mov_b32 v174, v127 :: v_dual_mov_b32 v175, v126
	s_wait_dscnt 0x8
	v_dual_mov_b32 v176, v131 :: v_dual_mov_b32 v181, v138
	v_dual_mov_b32 v177, v130 :: v_dual_mov_b32 v178, v135
	;; [unrolled: 1-line block ×3, first 2 shown]
	s_wait_loadcnt_dscnt 0xc07
	v_dual_mul_f32 v9, v140, v81 :: v_dual_mul_f32 v35, v141, v81
	v_dual_mul_f32 v37, v143, v83 :: v_dual_mul_f32 v11, v142, v83
	s_wait_loadcnt_dscnt 0xb06
	v_mul_f32_e32 v13, v144, v85
	s_wait_loadcnt_dscnt 0x904
	v_dual_mul_f32 v47, v153, v93 :: v_dual_fma_f32 v35, v140, v80, -v35
	v_dual_fmac_f32 v9, v141, v80 :: v_dual_mul_f32 v49, v155, v95
	v_dual_mul_f32 v39, v145, v85 :: v_dual_mul_f32 v41, v147, v87
	v_dual_fmac_f32 v11, v143, v82 :: v_dual_fma_f32 v37, v142, v82, -v37
	s_delay_alu instid0(VALU_DEP_3) | instskip(SKIP_4) | instid1(VALU_DEP_3)
	v_dual_add_f32 v9, 0, v9 :: v_dual_add_f32 v35, 0, v35
	v_dual_mul_f32 v15, v146, v87 :: v_dual_mul_f32 v17, v148, v89
	s_wait_loadcnt_dscnt 0x803
	v_dual_mul_f32 v51, v157, v97 :: v_dual_fma_f32 v39, v144, v84, -v39
	v_fmac_f32_e32 v13, v145, v84
	v_dual_add_f32 v9, v9, v11 :: v_dual_fmac_f32 v15, v147, v86
	v_add_f32_e32 v11, v35, v37
	v_dual_mul_f32 v43, v149, v89 :: v_dual_mul_f32 v45, v151, v91
	v_dual_mul_f32 v35, v159, v99 :: v_dual_fma_f32 v37, v146, v86, -v41
	s_delay_alu instid0(VALU_DEP_3) | instskip(SKIP_3) | instid1(VALU_DEP_3)
	v_dual_add_f32 v9, v9, v13 :: v_dual_add_f32 v11, v11, v39
	v_dual_mul_f32 v19, v150, v91 :: v_dual_mul_f32 v21, v152, v93
	s_wait_loadcnt_dscnt 0x701
	v_dual_mul_f32 v13, v165, v101 :: v_dual_fma_f32 v39, v148, v88, -v43
	v_dual_fmac_f32 v17, v149, v88 :: v_dual_add_f32 v11, v11, v37
	s_delay_alu instid0(VALU_DEP_3) | instskip(SKIP_1) | instid1(VALU_DEP_2)
	v_dual_add_f32 v9, v9, v15 :: v_dual_fmac_f32 v19, v151, v90
	v_dual_mul_f32 v15, v167, v103 :: v_dual_fma_f32 v37, v150, v90, -v45
	v_dual_add_f32 v11, v11, v39 :: v_dual_add_f32 v9, v9, v17
	v_dual_mul_f32 v23, v154, v95 :: v_dual_mul_f32 v25, v156, v97
	s_wait_loadcnt 0x6
	v_dual_mul_f32 v17, v161, v105 :: v_dual_fma_f32 v39, v152, v92, -v47
	s_delay_alu instid0(VALU_DEP_3) | instskip(NEXT) | instid1(VALU_DEP_3)
	v_dual_fmac_f32 v21, v153, v92 :: v_dual_add_f32 v11, v11, v37
	v_dual_add_f32 v9, v9, v19 :: v_dual_fmac_f32 v23, v155, v94
	v_dual_mul_f32 v19, v163, v107 :: v_dual_fma_f32 v37, v154, v94, -v49
	s_delay_alu instid0(VALU_DEP_2) | instskip(SKIP_3) | instid1(VALU_DEP_3)
	v_dual_add_f32 v11, v11, v39 :: v_dual_add_f32 v9, v9, v21
	v_dual_mul_f32 v27, v158, v99 :: v_dual_mul_f32 v29, v164, v101
	s_wait_loadcnt 0x5
	v_dual_mul_f32 v21, v125, v109 :: v_dual_fma_f32 v39, v156, v96, -v51
	v_dual_fmac_f32 v25, v157, v96 :: v_dual_add_f32 v11, v11, v37
	v_dual_add_f32 v9, v9, v23 :: v_dual_mov_b32 v80, v111
	v_fmac_f32_e32 v27, v159, v98
	s_delay_alu instid0(VALU_DEP_3) | instskip(NEXT) | instid1(VALU_DEP_3)
	v_dual_fma_f32 v23, v158, v98, -v35 :: v_dual_add_f32 v11, v11, v39
	v_dual_add_f32 v9, v9, v25 :: v_dual_mul_f32 v31, v166, v103
	v_dual_mul_f32 v33, v160, v105 :: v_dual_fmac_f32 v29, v165, v100
	s_delay_alu instid0(VALU_DEP_3) | instskip(SKIP_1) | instid1(VALU_DEP_3)
	v_dual_add_f32 v11, v11, v23 :: v_dual_fma_f32 v13, v164, v100, -v13
	s_wait_loadcnt 0x4
	v_dual_add_f32 v9, v9, v27 :: v_dual_mov_b32 v84, v115
	v_fma_f32 v15, v166, v102, -v15
	v_fmac_f32_e32 v31, v167, v102
	v_dual_add_f32 v11, v11, v13 :: v_dual_fmac_f32 v33, v161, v104
	s_delay_alu instid0(VALU_DEP_4) | instskip(SKIP_1) | instid1(VALU_DEP_3)
	v_dual_add_f32 v9, v9, v29 :: v_dual_mul_f32 v183, v162, v107
	v_mul_f32_e32 v185, v124, v109
	v_dual_fma_f32 v13, v160, v104, -v17 :: v_dual_add_f32 v11, v11, v15
	s_delay_alu instid0(VALU_DEP_3) | instskip(NEXT) | instid1(VALU_DEP_4)
	v_dual_fma_f32 v182, v162, v106, -v19 :: v_dual_add_f32 v9, v9, v31
	v_fmac_f32_e32 v183, v163, v106
	v_pk_mul_f32 v[80:81], v[174:175], v[80:81] op_sel_hi:[1,0]
	s_delay_alu instid0(VALU_DEP_4) | instskip(NEXT) | instid1(VALU_DEP_4)
	v_dual_add_f32 v88, v11, v13 :: v_dual_fmac_f32 v185, v125, v108
	v_add_f32_e32 v89, v9, v33
	v_pk_mul_f32 v[82:83], v[128:129], v[112:113] op_sel:[1,1] op_sel_hi:[0,1]
	s_wait_loadcnt 0x3
	v_dual_mov_b32 v90, v119 :: v_dual_fma_f32 v184, v124, v108, -v21
	v_pk_fma_f32 v[92:93], v[126:127], v[110:111], v[80:81] op_sel_hi:[1,0,1]
	v_pk_add_f32 v[88:89], v[88:89], v[182:183]
	v_pk_fma_f32 v[80:81], v[126:127], v[110:111], v[80:81] neg_lo:[0,0,1] neg_hi:[0,0,1]
	v_pk_fma_f32 v[94:95], v[128:129], v[112:113], v[82:83] op_sel_hi:[1,0,1]
	v_pk_mul_f32 v[84:85], v[176:177], v[84:85] op_sel_hi:[1,0]
	v_mov_b32_e32 v81, v93
	v_pk_add_f32 v[88:89], v[88:89], v[184:185]
	v_pk_fma_f32 v[82:83], v[128:129], v[112:113], v[82:83] neg_lo:[0,0,1] neg_hi:[0,0,1]
	v_pk_mul_f32 v[86:87], v[132:133], v[116:117] op_sel:[1,1] op_sel_hi:[0,1]
	v_mov_b32_e32 v83, v95
	v_pk_fma_f32 v[94:95], v[130:131], v[114:115], v[84:85] op_sel_hi:[1,0,1]
	v_pk_add_f32 v[80:81], v[88:89], v[80:81]
	v_pk_fma_f32 v[84:85], v[130:131], v[114:115], v[84:85] neg_lo:[0,0,1] neg_hi:[0,0,1]
	v_pk_fma_f32 v[88:89], v[132:133], v[116:117], v[86:87] op_sel_hi:[1,0,1]
	v_pk_mul_f32 v[90:91], v[178:179], v[90:91] op_sel_hi:[1,0]
	v_mov_b32_e32 v85, v95
	v_pk_add_f32 v[80:81], v[80:81], v[82:83]
	v_pk_fma_f32 v[86:87], v[132:133], v[116:117], v[86:87] neg_lo:[0,0,1] neg_hi:[0,0,1]
	s_wait_loadcnt 0x2
	v_pk_mul_f32 v[92:93], v[136:137], v[120:121] op_sel:[1,1] op_sel_hi:[0,1]
	v_dual_mov_b32 v82, v123 :: v_dual_mov_b32 v87, v89
	v_pk_fma_f32 v[88:89], v[134:135], v[118:119], v[90:91] op_sel_hi:[1,0,1]
	v_pk_add_f32 v[80:81], v[80:81], v[84:85]
	v_pk_fma_f32 v[90:91], v[134:135], v[118:119], v[90:91] neg_lo:[0,0,1] neg_hi:[0,0,1]
	v_pk_fma_f32 v[84:85], v[136:137], v[120:121], v[92:93] op_sel_hi:[1,0,1]
	v_pk_mul_f32 v[82:83], v[180:181], v[82:83] op_sel_hi:[1,0]
	v_mov_b32_e32 v91, v89
	v_pk_add_f32 v[80:81], v[80:81], v[86:87]
	v_pk_fma_f32 v[86:87], v[136:137], v[120:121], v[92:93] neg_lo:[0,0,1] neg_hi:[0,0,1]
	v_mov_b32_e32 v87, v85
	v_pk_fma_f32 v[84:85], v[138:139], v[122:123], v[82:83] op_sel_hi:[1,0,1]
	s_wait_loadcnt_dscnt 0x100
	v_pk_mul_f32 v[88:89], v[172:173], v[168:169] op_sel:[1,1] op_sel_hi:[0,1]
	v_pk_add_f32 v[80:81], v[80:81], v[90:91]
	v_pk_fma_f32 v[82:83], v[138:139], v[122:123], v[82:83] neg_lo:[0,0,1] neg_hi:[0,0,1]
	v_mov_b32_e32 v83, v85
	s_delay_alu instid0(VALU_DEP_4) | instskip(NEXT) | instid1(VALU_DEP_4)
	v_pk_fma_f32 v[84:85], v[172:173], v[168:169], v[88:89] op_sel_hi:[1,0,1]
	v_pk_add_f32 v[80:81], v[80:81], v[86:87]
	v_pk_fma_f32 v[86:87], v[172:173], v[168:169], v[88:89] neg_lo:[0,0,1] neg_hi:[0,0,1]
	s_delay_alu instid0(VALU_DEP_3) | instskip(NEXT) | instid1(VALU_DEP_3)
	v_mov_b32_e32 v87, v85
	v_pk_add_f32 v[80:81], v[80:81], v[82:83]
	s_delay_alu instid0(VALU_DEP_1) | instskip(SKIP_1) | instid1(VALU_DEP_1)
	v_pk_add_f32 v[80:81], v[80:81], v[86:87]
	s_wait_loadcnt 0x0
	v_pk_add_f32 v[80:81], v[170:171], v[80:81] neg_lo:[0,1] neg_hi:[0,1]
	scratch_store_b64 off, v[80:81], off offset:120
	s_wait_xcnt 0x0
	v_cmpx_lt_u32_e32 14, v0
	s_cbranch_execz .LBB102_219
; %bb.218:
	scratch_load_b64 v[80:81], off, off offset:112
	v_mov_b64_e32 v[82:83], 0
	scratch_store_b64 off, v[82:83], off offset:112
	s_wait_loadcnt 0x0
	ds_store_b64 v1, v[80:81]
.LBB102_219:
	s_wait_xcnt 0x0
	s_or_b32 exec_lo, exec_lo, s0
	s_wait_storecnt_dscnt 0x0
	s_barrier_signal -1
	s_barrier_wait -1
	s_clause 0xc
	scratch_load_b128 v[80:83], off, off offset:120
	scratch_load_b128 v[84:87], off, off offset:136
	;; [unrolled: 1-line block ×12, first 2 shown]
	scratch_load_b64 v[176:177], off, off offset:112
	ds_load_2addr_b64 v[128:131], v7 offset0:71 offset1:72
	ds_load_2addr_b64 v[132:135], v7 offset0:73 offset1:74
	;; [unrolled: 1-line block ×12, first 2 shown]
	s_mov_b32 s0, exec_lo
	s_wait_dscnt 0xb
	v_dual_mov_b32 v178, v131 :: v_dual_mov_b32 v179, v130
	s_wait_dscnt 0xa
	v_dual_mov_b32 v180, v135 :: v_dual_mov_b32 v181, v134
	s_wait_dscnt 0x9
	v_dual_mov_b32 v182, v139 :: v_dual_mov_b32 v183, v138
	s_wait_dscnt 0x8
	v_dual_mov_b32 v184, v143 :: v_dual_mov_b32 v185, v142
	s_wait_loadcnt_dscnt 0xc07
	v_dual_mul_f32 v7, v144, v81 :: v_dual_mul_f32 v9, v146, v83
	v_dual_mul_f32 v35, v145, v81 :: v_dual_mul_f32 v37, v147, v83
	s_wait_loadcnt_dscnt 0xb06
	v_dual_mul_f32 v11, v148, v85 :: v_dual_mul_f32 v13, v150, v87
	s_delay_alu instid0(VALU_DEP_3) | instskip(SKIP_3) | instid1(VALU_DEP_3)
	v_dual_fmac_f32 v7, v145, v80 :: v_dual_fmac_f32 v9, v147, v82
	s_wait_loadcnt_dscnt 0x904
	v_dual_fma_f32 v35, v144, v80, -v35 :: v_dual_mul_f32 v47, v157, v93
	v_dual_mul_f32 v39, v149, v85 :: v_dual_mul_f32 v41, v151, v87
	v_dual_fma_f32 v37, v146, v82, -v37 :: v_dual_add_f32 v7, 0, v7
	s_delay_alu instid0(VALU_DEP_3) | instskip(SKIP_1) | instid1(VALU_DEP_4)
	v_dual_add_f32 v35, 0, v35 :: v_dual_fmac_f32 v11, v149, v84
	v_dual_mul_f32 v15, v152, v89 :: v_dual_mul_f32 v17, v154, v91
	v_dual_mul_f32 v49, v159, v95 :: v_dual_fma_f32 v39, v148, v84, -v39
	s_delay_alu instid0(VALU_DEP_4) | instskip(NEXT) | instid1(VALU_DEP_3)
	v_add_f32_e32 v7, v7, v9
	v_dual_add_f32 v9, v35, v37 :: v_dual_fmac_f32 v15, v153, v88
	v_dual_mul_f32 v43, v153, v89 :: v_dual_mul_f32 v45, v155, v91
	s_wait_loadcnt_dscnt 0x803
	v_dual_mul_f32 v35, v161, v97 :: v_dual_fmac_f32 v13, v151, v86
	v_dual_fma_f32 v37, v150, v86, -v41 :: v_dual_add_f32 v7, v7, v11
	s_delay_alu instid0(VALU_DEP_3) | instskip(SKIP_1) | instid1(VALU_DEP_3)
	v_dual_add_f32 v9, v9, v39 :: v_dual_fma_f32 v39, v152, v88, -v43
	v_dual_mul_f32 v19, v156, v93 :: v_dual_mul_f32 v21, v158, v95
	v_add_f32_e32 v7, v7, v13
	s_delay_alu instid0(VALU_DEP_3) | instskip(SKIP_2) | instid1(VALU_DEP_3)
	v_dual_mul_f32 v11, v163, v99 :: v_dual_add_f32 v9, v9, v37
	s_wait_loadcnt_dscnt 0x702
	v_dual_mul_f32 v13, v165, v101 :: v_dual_fmac_f32 v17, v155, v90
	v_dual_fma_f32 v37, v154, v90, -v45 :: v_dual_add_f32 v7, v7, v15
	s_delay_alu instid0(VALU_DEP_3) | instskip(SKIP_1) | instid1(VALU_DEP_3)
	v_dual_add_f32 v9, v9, v39 :: v_dual_fma_f32 v39, v156, v92, -v47
	v_dual_mul_f32 v15, v167, v103 :: v_dual_fmac_f32 v19, v157, v92
	v_add_f32_e32 v7, v7, v17
	s_delay_alu instid0(VALU_DEP_3)
	v_dual_add_f32 v9, v9, v37 :: v_dual_fmac_f32 v21, v159, v94
	v_dual_mul_f32 v23, v160, v97 :: v_dual_mul_f32 v25, v162, v99
	s_wait_loadcnt_dscnt 0x601
	v_dual_fma_f32 v37, v158, v94, -v49 :: v_dual_mul_f32 v17, v169, v105
	v_add_f32_e32 v7, v7, v19
	v_dual_add_f32 v9, v9, v39 :: v_dual_fma_f32 v35, v160, v96, -v35
	v_dual_mul_f32 v19, v171, v107 :: v_dual_fmac_f32 v23, v161, v96
	s_delay_alu instid0(VALU_DEP_3) | instskip(NEXT) | instid1(VALU_DEP_3)
	v_dual_add_f32 v7, v7, v21 :: v_dual_fma_f32 v11, v162, v98, -v11
	v_dual_add_f32 v9, v9, v37 :: v_dual_fmac_f32 v25, v163, v98
	v_dual_mul_f32 v27, v164, v101 :: v_dual_mul_f32 v29, v166, v103
	s_wait_loadcnt_dscnt 0x500
	s_delay_alu instid0(VALU_DEP_3) | instskip(NEXT) | instid1(VALU_DEP_3)
	v_dual_mul_f32 v21, v173, v109 :: v_dual_add_f32 v7, v7, v23
	v_dual_add_f32 v9, v9, v35 :: v_dual_fma_f32 v13, v164, v100, -v13
	s_delay_alu instid0(VALU_DEP_3) | instskip(NEXT) | instid1(VALU_DEP_2)
	v_dual_mul_f32 v23, v175, v111 :: v_dual_fmac_f32 v27, v165, v100
	v_dual_add_f32 v7, v7, v25 :: v_dual_add_f32 v9, v9, v11
	v_dual_mul_f32 v31, v168, v105 :: v_dual_mul_f32 v33, v170, v107
	v_dual_fmac_f32 v29, v167, v102 :: v_dual_fma_f32 v11, v166, v102, -v15
	s_delay_alu instid0(VALU_DEP_3) | instskip(SKIP_1) | instid1(VALU_DEP_3)
	v_dual_add_f32 v7, v7, v27 :: v_dual_add_f32 v9, v9, v13
	s_wait_loadcnt 0x4
	v_dual_mov_b32 v82, v115 :: v_dual_fmac_f32 v31, v169, v104
	s_delay_alu instid0(VALU_DEP_2) | instskip(NEXT) | instid1(VALU_DEP_3)
	v_dual_fma_f32 v13, v168, v104, -v17 :: v_dual_add_f32 v7, v7, v29
	v_dual_add_f32 v9, v9, v11 :: v_dual_fmac_f32 v33, v171, v106
	v_dual_mul_f32 v187, v172, v109 :: v_dual_mul_f32 v189, v174, v111
	s_delay_alu instid0(VALU_DEP_3) | instskip(SKIP_1) | instid1(VALU_DEP_3)
	v_dual_fma_f32 v11, v170, v106, -v19 :: v_dual_add_f32 v7, v7, v31
	s_wait_loadcnt 0x3
	v_dual_add_f32 v9, v9, v13 :: v_dual_mov_b32 v86, v119
	v_pk_mul_f32 v[80:81], v[128:129], v[112:113] op_sel:[1,1] op_sel_hi:[0,1]
	v_dual_fmac_f32 v187, v173, v108 :: v_dual_fma_f32 v186, v172, v108, -v21
	s_delay_alu instid0(VALU_DEP_3) | instskip(SKIP_1) | instid1(VALU_DEP_4)
	v_dual_add_f32 v89, v7, v33 :: v_dual_add_f32 v88, v9, v11
	v_dual_fmac_f32 v189, v175, v110 :: v_dual_fma_f32 v188, v174, v110, -v23
	v_pk_fma_f32 v[90:91], v[128:129], v[112:113], v[80:81] op_sel_hi:[1,0,1]
	v_pk_mul_f32 v[82:83], v[178:179], v[82:83] op_sel_hi:[1,0]
	s_delay_alu instid0(VALU_DEP_4)
	v_pk_add_f32 v[88:89], v[88:89], v[186:187]
	v_pk_fma_f32 v[80:81], v[128:129], v[112:113], v[80:81] neg_lo:[0,0,1] neg_hi:[0,0,1]
	v_pk_mul_f32 v[84:85], v[132:133], v[116:117] op_sel:[1,1] op_sel_hi:[0,1]
	v_mov_b32_e32 v81, v91
	v_pk_fma_f32 v[90:91], v[130:131], v[114:115], v[82:83] op_sel_hi:[1,0,1]
	v_pk_add_f32 v[88:89], v[88:89], v[188:189]
	v_pk_fma_f32 v[82:83], v[130:131], v[114:115], v[82:83] neg_lo:[0,0,1] neg_hi:[0,0,1]
	v_pk_fma_f32 v[94:95], v[132:133], v[116:117], v[84:85] op_sel_hi:[1,0,1]
	v_pk_mul_f32 v[86:87], v[180:181], v[86:87] op_sel_hi:[1,0]
	v_mov_b32_e32 v83, v91
	v_pk_add_f32 v[80:81], v[88:89], v[80:81]
	s_wait_loadcnt 0x2
	v_pk_mul_f32 v[92:93], v[136:137], v[120:121] op_sel:[1,1] op_sel_hi:[0,1]
	v_mov_b32_e32 v88, v123
	v_pk_fma_f32 v[84:85], v[132:133], v[116:117], v[84:85] neg_lo:[0,0,1] neg_hi:[0,0,1]
	v_mov_b32_e32 v85, v95
	v_pk_fma_f32 v[90:91], v[134:135], v[118:119], v[86:87] op_sel_hi:[1,0,1]
	v_pk_add_f32 v[80:81], v[80:81], v[82:83]
	v_pk_fma_f32 v[82:83], v[136:137], v[120:121], v[92:93] op_sel_hi:[1,0,1]
	v_pk_mul_f32 v[88:89], v[182:183], v[88:89] op_sel_hi:[1,0]
	v_pk_fma_f32 v[86:87], v[134:135], v[118:119], v[86:87] neg_lo:[0,0,1] neg_hi:[0,0,1]
	v_mov_b32_e32 v87, v91
	v_pk_add_f32 v[80:81], v[80:81], v[84:85]
	v_pk_fma_f32 v[90:91], v[136:137], v[120:121], v[92:93] neg_lo:[0,0,1] neg_hi:[0,0,1]
	v_mov_b32_e32 v91, v83
	v_pk_fma_f32 v[82:83], v[138:139], v[122:123], v[88:89] op_sel_hi:[1,0,1]
	s_wait_loadcnt 0x1
	v_pk_mul_f32 v[84:85], v[140:141], v[124:125] op_sel:[1,1] op_sel_hi:[0,1]
	v_pk_add_f32 v[80:81], v[80:81], v[86:87]
	v_mov_b32_e32 v82, v127
	v_pk_fma_f32 v[88:89], v[138:139], v[122:123], v[88:89] neg_lo:[0,0,1] neg_hi:[0,0,1]
	v_mov_b32_e32 v89, v83
	v_pk_fma_f32 v[86:87], v[140:141], v[124:125], v[84:85] op_sel_hi:[1,0,1]
	v_pk_add_f32 v[80:81], v[80:81], v[90:91]
	v_pk_mul_f32 v[82:83], v[184:185], v[82:83] op_sel_hi:[1,0]
	v_pk_fma_f32 v[84:85], v[140:141], v[124:125], v[84:85] neg_lo:[0,0,1] neg_hi:[0,0,1]
	s_delay_alu instid0(VALU_DEP_4) | instskip(NEXT) | instid1(VALU_DEP_4)
	v_mov_b32_e32 v85, v87
	v_pk_add_f32 v[80:81], v[80:81], v[88:89]
	s_delay_alu instid0(VALU_DEP_4) | instskip(SKIP_1) | instid1(VALU_DEP_2)
	v_pk_fma_f32 v[86:87], v[142:143], v[126:127], v[82:83] op_sel_hi:[1,0,1]
	v_pk_fma_f32 v[82:83], v[142:143], v[126:127], v[82:83] neg_lo:[0,0,1] neg_hi:[0,0,1]
	v_mov_b32_e32 v83, v87
	s_delay_alu instid0(VALU_DEP_4) | instskip(NEXT) | instid1(VALU_DEP_1)
	v_pk_add_f32 v[80:81], v[80:81], v[84:85]
	v_pk_add_f32 v[80:81], v[80:81], v[82:83]
	s_wait_loadcnt 0x0
	s_delay_alu instid0(VALU_DEP_1)
	v_pk_add_f32 v[80:81], v[176:177], v[80:81] neg_lo:[0,1] neg_hi:[0,1]
	scratch_store_b64 off, v[80:81], off offset:112
	s_wait_xcnt 0x0
	v_cmpx_lt_u32_e32 13, v0
	s_cbranch_execz .LBB102_221
; %bb.220:
	scratch_load_b64 v[80:81], off, off offset:104
	v_mov_b64_e32 v[82:83], 0
	scratch_store_b64 off, v[82:83], off offset:104
	s_wait_loadcnt 0x0
	ds_store_b64 v1, v[80:81]
.LBB102_221:
	s_wait_xcnt 0x0
	s_or_b32 exec_lo, exec_lo, s0
	s_wait_storecnt_dscnt 0x0
	s_barrier_signal -1
	s_barrier_wait -1
	s_clause 0xd
	scratch_load_b128 v[80:83], off, off offset:112
	scratch_load_b128 v[84:87], off, off offset:128
	;; [unrolled: 1-line block ×12, first 2 shown]
	scratch_load_b64 v[176:177], off, off offset:304
	scratch_load_b64 v[178:179], off, off offset:104
	v_mov_b32_e32 v7, 0
	ds_load_b128 v[128:131], v7 offset:560
	ds_load_b128 v[132:135], v7 offset:576
	;; [unrolled: 1-line block ×12, first 2 shown]
	ds_load_b64 v[180:181], v7 offset:624
	s_mov_b32 s0, exec_lo
	s_wait_dscnt 0xc
	v_dual_mov_b32 v182, v131 :: v_dual_mov_b32 v183, v130
	s_wait_dscnt 0x9
	v_dual_mov_b32 v184, v135 :: v_dual_mov_b32 v189, v142
	v_dual_mov_b32 v185, v134 :: v_dual_mov_b32 v186, v139
	;; [unrolled: 1-line block ×3, first 2 shown]
	s_wait_loadcnt_dscnt 0xd08
	v_dual_mul_f32 v9, v144, v81 :: v_dual_mul_f32 v39, v145, v81
	v_dual_mul_f32 v41, v147, v83 :: v_dual_mul_f32 v11, v146, v83
	s_wait_loadcnt_dscnt 0xc07
	v_mul_f32_e32 v13, v148, v85
	s_wait_loadcnt_dscnt 0xa05
	v_dual_mul_f32 v51, v157, v93 :: v_dual_fma_f32 v39, v144, v80, -v39
	v_dual_fmac_f32 v9, v145, v80 :: v_dual_mul_f32 v53, v159, v95
	v_dual_mul_f32 v43, v149, v85 :: v_dual_mul_f32 v45, v151, v87
	v_dual_fmac_f32 v11, v147, v82 :: v_dual_fma_f32 v41, v146, v82, -v41
	s_delay_alu instid0(VALU_DEP_3) | instskip(SKIP_4) | instid1(VALU_DEP_3)
	v_dual_add_f32 v9, 0, v9 :: v_dual_add_f32 v39, 0, v39
	v_dual_mul_f32 v15, v150, v87 :: v_dual_mul_f32 v17, v152, v89
	s_wait_loadcnt_dscnt 0x904
	v_dual_mul_f32 v55, v161, v97 :: v_dual_fma_f32 v43, v148, v84, -v43
	v_fmac_f32_e32 v13, v149, v84
	v_dual_add_f32 v9, v9, v11 :: v_dual_fmac_f32 v15, v151, v86
	v_add_f32_e32 v11, v39, v41
	v_dual_mul_f32 v47, v153, v89 :: v_dual_mul_f32 v49, v155, v91
	v_dual_mul_f32 v39, v163, v99 :: v_dual_fma_f32 v41, v150, v86, -v45
	s_delay_alu instid0(VALU_DEP_3) | instskip(SKIP_3) | instid1(VALU_DEP_3)
	v_dual_add_f32 v9, v9, v13 :: v_dual_add_f32 v11, v11, v43
	v_dual_mul_f32 v19, v154, v91 :: v_dual_mul_f32 v21, v156, v93
	s_wait_loadcnt_dscnt 0x803
	v_dual_mul_f32 v13, v165, v101 :: v_dual_fma_f32 v43, v152, v88, -v47
	v_dual_fmac_f32 v17, v153, v88 :: v_dual_add_f32 v11, v11, v41
	s_delay_alu instid0(VALU_DEP_3) | instskip(SKIP_1) | instid1(VALU_DEP_2)
	v_dual_add_f32 v9, v9, v15 :: v_dual_fmac_f32 v19, v155, v90
	v_dual_mul_f32 v15, v167, v103 :: v_dual_fma_f32 v41, v154, v90, -v49
	v_dual_add_f32 v11, v11, v43 :: v_dual_add_f32 v9, v9, v17
	v_dual_mul_f32 v23, v158, v95 :: v_dual_mul_f32 v25, v160, v97
	s_wait_loadcnt_dscnt 0x702
	v_dual_mul_f32 v17, v169, v105 :: v_dual_fma_f32 v43, v156, v92, -v51
	s_delay_alu instid0(VALU_DEP_3) | instskip(NEXT) | instid1(VALU_DEP_3)
	v_dual_fmac_f32 v21, v157, v92 :: v_dual_add_f32 v11, v11, v41
	v_dual_add_f32 v9, v9, v19 :: v_dual_fmac_f32 v23, v159, v94
	v_dual_mul_f32 v19, v171, v107 :: v_dual_fma_f32 v41, v158, v94, -v53
	s_delay_alu instid0(VALU_DEP_2) | instskip(SKIP_3) | instid1(VALU_DEP_3)
	v_dual_add_f32 v11, v11, v43 :: v_dual_add_f32 v9, v9, v21
	v_dual_mul_f32 v27, v162, v99 :: v_dual_mul_f32 v29, v164, v101
	s_wait_loadcnt_dscnt 0x601
	v_dual_mul_f32 v21, v173, v109 :: v_dual_fma_f32 v43, v160, v96, -v55
	v_dual_fmac_f32 v25, v161, v96 :: v_dual_add_f32 v11, v11, v41
	s_delay_alu instid0(VALU_DEP_3) | instskip(SKIP_1) | instid1(VALU_DEP_2)
	v_dual_add_f32 v9, v9, v23 :: v_dual_fmac_f32 v27, v163, v98
	v_dual_mul_f32 v23, v175, v111 :: v_dual_fma_f32 v39, v162, v98, -v39
	v_dual_add_f32 v11, v11, v43 :: v_dual_add_f32 v9, v9, v25
	v_dual_mul_f32 v31, v166, v103 :: v_dual_mul_f32 v33, v168, v105
	s_wait_loadcnt 0x5
	v_dual_mul_f32 v25, v129, v113 :: v_dual_fma_f32 v13, v164, v100, -v13
	s_delay_alu instid0(VALU_DEP_3) | instskip(SKIP_2) | instid1(VALU_DEP_3)
	v_dual_fmac_f32 v29, v165, v100 :: v_dual_add_f32 v11, v11, v39
	v_dual_add_f32 v9, v9, v27 :: v_dual_mov_b32 v80, v115
	v_fmac_f32_e32 v31, v167, v102
	v_dual_fma_f32 v15, v166, v102, -v15 :: v_dual_add_f32 v11, v11, v13
	s_delay_alu instid0(VALU_DEP_3) | instskip(SKIP_1) | instid1(VALU_DEP_3)
	v_dual_add_f32 v9, v9, v29 :: v_dual_mul_f32 v35, v170, v107
	v_dual_mul_f32 v37, v172, v109 :: v_dual_fmac_f32 v33, v169, v104
	v_dual_add_f32 v11, v11, v15 :: v_dual_fma_f32 v13, v168, v104, -v17
	s_wait_loadcnt 0x4
	s_delay_alu instid0(VALU_DEP_3) | instskip(SKIP_3) | instid1(VALU_DEP_4)
	v_dual_add_f32 v9, v9, v31 :: v_dual_mov_b32 v84, v119
	v_fma_f32 v15, v170, v106, -v19
	v_fmac_f32_e32 v35, v171, v106
	v_dual_add_f32 v11, v11, v13 :: v_dual_fmac_f32 v37, v173, v108
	v_dual_add_f32 v9, v9, v33 :: v_dual_mul_f32 v191, v174, v111
	v_mul_f32_e32 v193, v128, v113
	s_delay_alu instid0(VALU_DEP_3) | instskip(NEXT) | instid1(VALU_DEP_3)
	v_dual_fma_f32 v13, v172, v108, -v21 :: v_dual_add_f32 v11, v11, v15
	v_dual_fma_f32 v190, v174, v110, -v23 :: v_dual_add_f32 v9, v9, v35
	s_delay_alu instid0(VALU_DEP_4) | instskip(SKIP_1) | instid1(VALU_DEP_4)
	v_fmac_f32_e32 v191, v175, v110
	v_pk_mul_f32 v[80:81], v[182:183], v[80:81] op_sel_hi:[1,0]
	v_dual_add_f32 v88, v11, v13 :: v_dual_fmac_f32 v193, v129, v112
	s_delay_alu instid0(VALU_DEP_4)
	v_add_f32_e32 v89, v9, v37
	v_pk_mul_f32 v[82:83], v[132:133], v[116:117] op_sel:[1,1] op_sel_hi:[0,1]
	s_wait_loadcnt 0x3
	v_dual_mov_b32 v90, v123 :: v_dual_fma_f32 v192, v128, v112, -v25
	v_pk_fma_f32 v[92:93], v[130:131], v[114:115], v[80:81] op_sel_hi:[1,0,1]
	v_pk_add_f32 v[88:89], v[88:89], v[190:191]
	v_pk_fma_f32 v[80:81], v[130:131], v[114:115], v[80:81] neg_lo:[0,0,1] neg_hi:[0,0,1]
	v_pk_fma_f32 v[94:95], v[132:133], v[116:117], v[82:83] op_sel_hi:[1,0,1]
	v_pk_mul_f32 v[84:85], v[184:185], v[84:85] op_sel_hi:[1,0]
	v_mov_b32_e32 v81, v93
	v_pk_add_f32 v[88:89], v[88:89], v[192:193]
	v_pk_fma_f32 v[82:83], v[132:133], v[116:117], v[82:83] neg_lo:[0,0,1] neg_hi:[0,0,1]
	v_pk_mul_f32 v[86:87], v[136:137], v[120:121] op_sel:[1,1] op_sel_hi:[0,1]
	v_mov_b32_e32 v83, v95
	v_pk_fma_f32 v[94:95], v[134:135], v[118:119], v[84:85] op_sel_hi:[1,0,1]
	v_pk_add_f32 v[80:81], v[88:89], v[80:81]
	v_pk_fma_f32 v[84:85], v[134:135], v[118:119], v[84:85] neg_lo:[0,0,1] neg_hi:[0,0,1]
	v_pk_fma_f32 v[88:89], v[136:137], v[120:121], v[86:87] op_sel_hi:[1,0,1]
	v_pk_mul_f32 v[90:91], v[186:187], v[90:91] op_sel_hi:[1,0]
	v_mov_b32_e32 v85, v95
	v_pk_add_f32 v[80:81], v[80:81], v[82:83]
	v_pk_fma_f32 v[86:87], v[136:137], v[120:121], v[86:87] neg_lo:[0,0,1] neg_hi:[0,0,1]
	s_wait_loadcnt 0x2
	v_pk_mul_f32 v[92:93], v[140:141], v[124:125] op_sel:[1,1] op_sel_hi:[0,1]
	v_dual_mov_b32 v82, v127 :: v_dual_mov_b32 v87, v89
	v_pk_fma_f32 v[88:89], v[138:139], v[122:123], v[90:91] op_sel_hi:[1,0,1]
	v_pk_add_f32 v[80:81], v[80:81], v[84:85]
	v_pk_fma_f32 v[90:91], v[138:139], v[122:123], v[90:91] neg_lo:[0,0,1] neg_hi:[0,0,1]
	v_pk_fma_f32 v[84:85], v[140:141], v[124:125], v[92:93] op_sel_hi:[1,0,1]
	v_pk_mul_f32 v[82:83], v[188:189], v[82:83] op_sel_hi:[1,0]
	v_mov_b32_e32 v91, v89
	v_pk_add_f32 v[80:81], v[80:81], v[86:87]
	v_pk_fma_f32 v[86:87], v[140:141], v[124:125], v[92:93] neg_lo:[0,0,1] neg_hi:[0,0,1]
	v_mov_b32_e32 v87, v85
	v_pk_fma_f32 v[84:85], v[142:143], v[126:127], v[82:83] op_sel_hi:[1,0,1]
	s_wait_loadcnt_dscnt 0x100
	v_pk_mul_f32 v[88:89], v[180:181], v[176:177] op_sel:[1,1] op_sel_hi:[0,1]
	v_pk_add_f32 v[80:81], v[80:81], v[90:91]
	v_pk_fma_f32 v[82:83], v[142:143], v[126:127], v[82:83] neg_lo:[0,0,1] neg_hi:[0,0,1]
	v_mov_b32_e32 v83, v85
	s_delay_alu instid0(VALU_DEP_4) | instskip(NEXT) | instid1(VALU_DEP_4)
	v_pk_fma_f32 v[84:85], v[180:181], v[176:177], v[88:89] op_sel_hi:[1,0,1]
	v_pk_add_f32 v[80:81], v[80:81], v[86:87]
	v_pk_fma_f32 v[86:87], v[180:181], v[176:177], v[88:89] neg_lo:[0,0,1] neg_hi:[0,0,1]
	s_delay_alu instid0(VALU_DEP_3) | instskip(NEXT) | instid1(VALU_DEP_3)
	v_mov_b32_e32 v87, v85
	v_pk_add_f32 v[80:81], v[80:81], v[82:83]
	s_delay_alu instid0(VALU_DEP_1) | instskip(SKIP_1) | instid1(VALU_DEP_1)
	v_pk_add_f32 v[80:81], v[80:81], v[86:87]
	s_wait_loadcnt 0x0
	v_pk_add_f32 v[80:81], v[178:179], v[80:81] neg_lo:[0,1] neg_hi:[0,1]
	scratch_store_b64 off, v[80:81], off offset:104
	s_wait_xcnt 0x0
	v_cmpx_lt_u32_e32 12, v0
	s_cbranch_execz .LBB102_223
; %bb.222:
	scratch_load_b64 v[80:81], off, off offset:96
	v_mov_b64_e32 v[82:83], 0
	scratch_store_b64 off, v[82:83], off offset:96
	s_wait_loadcnt 0x0
	ds_store_b64 v1, v[80:81]
.LBB102_223:
	s_wait_xcnt 0x0
	s_or_b32 exec_lo, exec_lo, s0
	s_wait_storecnt_dscnt 0x0
	s_barrier_signal -1
	s_barrier_wait -1
	s_clause 0xd
	scratch_load_b128 v[80:83], off, off offset:104
	scratch_load_b128 v[84:87], off, off offset:120
	;; [unrolled: 1-line block ×13, first 2 shown]
	scratch_load_b64 v[184:185], off, off offset:96
	ds_load_2addr_b64 v[132:135], v7 offset0:71 offset1:72
	ds_load_2addr_b64 v[136:139], v7 offset0:73 offset1:74
	;; [unrolled: 1-line block ×13, first 2 shown]
	s_mov_b32 s0, exec_lo
	s_wait_dscnt 0xc
	v_dual_mov_b32 v186, v135 :: v_dual_mov_b32 v187, v134
	s_wait_dscnt 0xb
	v_dual_mov_b32 v188, v139 :: v_dual_mov_b32 v189, v138
	;; [unrolled: 2-line block ×4, first 2 shown]
	s_wait_loadcnt_dscnt 0xd08
	v_dual_mul_f32 v7, v148, v81 :: v_dual_mul_f32 v9, v150, v83
	v_dual_mul_f32 v39, v149, v81 :: v_dual_mul_f32 v41, v151, v83
	s_wait_loadcnt_dscnt 0xc07
	v_dual_mul_f32 v11, v152, v85 :: v_dual_mul_f32 v13, v154, v87
	s_delay_alu instid0(VALU_DEP_3) | instskip(SKIP_3) | instid1(VALU_DEP_3)
	v_dual_fmac_f32 v7, v149, v80 :: v_dual_fmac_f32 v9, v151, v82
	s_wait_loadcnt_dscnt 0xa05
	v_dual_fma_f32 v39, v148, v80, -v39 :: v_dual_mul_f32 v51, v161, v93
	v_dual_mul_f32 v43, v153, v85 :: v_dual_mul_f32 v45, v155, v87
	v_dual_fma_f32 v41, v150, v82, -v41 :: v_dual_add_f32 v7, 0, v7
	s_delay_alu instid0(VALU_DEP_3) | instskip(SKIP_1) | instid1(VALU_DEP_4)
	v_dual_add_f32 v39, 0, v39 :: v_dual_fmac_f32 v11, v153, v84
	v_dual_mul_f32 v15, v156, v89 :: v_dual_mul_f32 v17, v158, v91
	v_dual_mul_f32 v53, v163, v95 :: v_dual_fma_f32 v43, v152, v84, -v43
	s_delay_alu instid0(VALU_DEP_4) | instskip(NEXT) | instid1(VALU_DEP_3)
	v_add_f32_e32 v7, v7, v9
	v_dual_add_f32 v9, v39, v41 :: v_dual_fmac_f32 v15, v157, v88
	v_dual_mul_f32 v47, v157, v89 :: v_dual_mul_f32 v49, v159, v91
	s_wait_loadcnt_dscnt 0x903
	v_dual_mul_f32 v39, v169, v97 :: v_dual_fmac_f32 v13, v155, v86
	v_dual_fma_f32 v41, v154, v86, -v45 :: v_dual_add_f32 v7, v7, v11
	s_delay_alu instid0(VALU_DEP_3) | instskip(SKIP_1) | instid1(VALU_DEP_3)
	v_dual_add_f32 v9, v9, v43 :: v_dual_fma_f32 v43, v156, v88, -v47
	v_dual_mul_f32 v19, v160, v93 :: v_dual_mul_f32 v21, v162, v95
	v_add_f32_e32 v7, v7, v13
	s_delay_alu instid0(VALU_DEP_3) | instskip(SKIP_2) | instid1(VALU_DEP_3)
	v_dual_mul_f32 v11, v171, v99 :: v_dual_add_f32 v9, v9, v41
	s_wait_loadcnt_dscnt 0x802
	v_dual_mul_f32 v13, v173, v101 :: v_dual_fmac_f32 v17, v159, v90
	v_dual_fma_f32 v41, v158, v90, -v49 :: v_dual_add_f32 v7, v7, v15
	s_delay_alu instid0(VALU_DEP_3) | instskip(SKIP_1) | instid1(VALU_DEP_3)
	v_dual_add_f32 v9, v9, v43 :: v_dual_fma_f32 v43, v160, v92, -v51
	v_dual_mul_f32 v15, v175, v103 :: v_dual_fmac_f32 v19, v161, v92
	v_add_f32_e32 v7, v7, v17
	s_delay_alu instid0(VALU_DEP_3)
	v_dual_add_f32 v9, v9, v41 :: v_dual_fmac_f32 v21, v163, v94
	v_dual_mul_f32 v23, v168, v97 :: v_dual_mul_f32 v25, v170, v99
	s_wait_loadcnt_dscnt 0x701
	v_dual_fma_f32 v41, v162, v94, -v53 :: v_dual_mul_f32 v17, v177, v105
	v_add_f32_e32 v7, v7, v19
	v_dual_add_f32 v9, v9, v43 :: v_dual_fma_f32 v39, v168, v96, -v39
	v_dual_mul_f32 v19, v179, v107 :: v_dual_fmac_f32 v23, v169, v96
	s_delay_alu instid0(VALU_DEP_3) | instskip(NEXT) | instid1(VALU_DEP_3)
	v_dual_add_f32 v7, v7, v21 :: v_dual_fma_f32 v11, v170, v98, -v11
	v_dual_add_f32 v9, v9, v41 :: v_dual_fmac_f32 v25, v171, v98
	v_dual_mul_f32 v27, v172, v101 :: v_dual_mul_f32 v29, v174, v103
	s_wait_loadcnt_dscnt 0x600
	s_delay_alu instid0(VALU_DEP_3) | instskip(NEXT) | instid1(VALU_DEP_3)
	v_dual_mul_f32 v21, v181, v109 :: v_dual_add_f32 v7, v7, v23
	v_dual_add_f32 v9, v9, v39 :: v_dual_fma_f32 v13, v172, v100, -v13
	s_delay_alu instid0(VALU_DEP_3) | instskip(NEXT) | instid1(VALU_DEP_2)
	v_dual_mul_f32 v23, v183, v111 :: v_dual_fmac_f32 v27, v173, v100
	v_dual_add_f32 v7, v7, v25 :: v_dual_add_f32 v9, v9, v11
	v_dual_mul_f32 v31, v176, v105 :: v_dual_mul_f32 v33, v178, v107
	s_wait_loadcnt 0x5
	v_dual_mul_f32 v11, v165, v113 :: v_dual_fmac_f32 v29, v175, v102
	s_delay_alu instid0(VALU_DEP_3) | instskip(SKIP_2) | instid1(VALU_DEP_2)
	v_dual_fma_f32 v15, v174, v102, -v15 :: v_dual_add_f32 v7, v7, v27
	v_dual_add_f32 v9, v9, v13 :: v_dual_mul_f32 v13, v167, v115
	v_dual_fmac_f32 v31, v177, v104 :: v_dual_fma_f32 v17, v176, v104, -v17
	v_dual_add_f32 v7, v7, v29 :: v_dual_add_f32 v9, v9, v15
	v_dual_mul_f32 v35, v180, v109 :: v_dual_mul_f32 v37, v182, v111
	v_dual_fmac_f32 v33, v179, v106 :: v_dual_fma_f32 v15, v178, v106, -v19
	s_delay_alu instid0(VALU_DEP_3) | instskip(SKIP_1) | instid1(VALU_DEP_3)
	v_dual_add_f32 v7, v7, v31 :: v_dual_add_f32 v9, v9, v17
	s_wait_loadcnt 0x4
	v_dual_mov_b32 v82, v119 :: v_dual_fmac_f32 v35, v181, v108
	s_delay_alu instid0(VALU_DEP_2) | instskip(NEXT) | instid1(VALU_DEP_3)
	v_dual_fma_f32 v17, v180, v108, -v21 :: v_dual_add_f32 v7, v7, v33
	v_dual_add_f32 v9, v9, v15 :: v_dual_fmac_f32 v37, v183, v110
	v_dual_mul_f32 v195, v164, v113 :: v_dual_mul_f32 v197, v166, v115
	s_delay_alu instid0(VALU_DEP_3) | instskip(SKIP_1) | instid1(VALU_DEP_3)
	v_dual_fma_f32 v15, v182, v110, -v23 :: v_dual_add_f32 v7, v7, v35
	s_wait_loadcnt 0x3
	v_dual_add_f32 v9, v9, v17 :: v_dual_mov_b32 v86, v123
	v_pk_mul_f32 v[80:81], v[132:133], v[116:117] op_sel:[1,1] op_sel_hi:[0,1]
	s_delay_alu instid0(VALU_DEP_3) | instskip(NEXT) | instid1(VALU_DEP_3)
	v_dual_fmac_f32 v195, v165, v112 :: v_dual_add_f32 v89, v7, v37
	v_dual_fma_f32 v194, v164, v112, -v11 :: v_dual_add_f32 v88, v9, v15
	v_fmac_f32_e32 v197, v167, v114
	s_delay_alu instid0(VALU_DEP_4)
	v_pk_fma_f32 v[90:91], v[132:133], v[116:117], v[80:81] op_sel_hi:[1,0,1]
	v_fma_f32 v196, v166, v114, -v13
	v_pk_mul_f32 v[82:83], v[186:187], v[82:83] op_sel_hi:[1,0]
	v_pk_add_f32 v[88:89], v[88:89], v[194:195]
	v_pk_fma_f32 v[80:81], v[132:133], v[116:117], v[80:81] neg_lo:[0,0,1] neg_hi:[0,0,1]
	v_pk_mul_f32 v[84:85], v[136:137], v[120:121] op_sel:[1,1] op_sel_hi:[0,1]
	v_mov_b32_e32 v81, v91
	v_pk_fma_f32 v[90:91], v[134:135], v[118:119], v[82:83] op_sel_hi:[1,0,1]
	v_pk_add_f32 v[88:89], v[88:89], v[196:197]
	v_pk_fma_f32 v[82:83], v[134:135], v[118:119], v[82:83] neg_lo:[0,0,1] neg_hi:[0,0,1]
	v_pk_fma_f32 v[94:95], v[136:137], v[120:121], v[84:85] op_sel_hi:[1,0,1]
	v_pk_mul_f32 v[86:87], v[188:189], v[86:87] op_sel_hi:[1,0]
	v_mov_b32_e32 v83, v91
	v_pk_add_f32 v[80:81], v[88:89], v[80:81]
	s_wait_loadcnt 0x2
	v_pk_mul_f32 v[92:93], v[140:141], v[124:125] op_sel:[1,1] op_sel_hi:[0,1]
	v_mov_b32_e32 v88, v127
	v_pk_fma_f32 v[84:85], v[136:137], v[120:121], v[84:85] neg_lo:[0,0,1] neg_hi:[0,0,1]
	v_pk_fma_f32 v[90:91], v[138:139], v[122:123], v[86:87] op_sel_hi:[1,0,1]
	v_mov_b32_e32 v85, v95
	v_pk_add_f32 v[80:81], v[80:81], v[82:83]
	v_pk_fma_f32 v[82:83], v[140:141], v[124:125], v[92:93] op_sel_hi:[1,0,1]
	v_pk_mul_f32 v[88:89], v[190:191], v[88:89] op_sel_hi:[1,0]
	v_pk_fma_f32 v[86:87], v[138:139], v[122:123], v[86:87] neg_lo:[0,0,1] neg_hi:[0,0,1]
	v_mov_b32_e32 v87, v91
	v_pk_add_f32 v[80:81], v[80:81], v[84:85]
	v_pk_fma_f32 v[90:91], v[140:141], v[124:125], v[92:93] neg_lo:[0,0,1] neg_hi:[0,0,1]
	v_mov_b32_e32 v91, v83
	v_pk_fma_f32 v[82:83], v[142:143], v[126:127], v[88:89] op_sel_hi:[1,0,1]
	s_wait_loadcnt 0x1
	v_pk_mul_f32 v[84:85], v[144:145], v[128:129] op_sel:[1,1] op_sel_hi:[0,1]
	v_pk_add_f32 v[80:81], v[80:81], v[86:87]
	v_mov_b32_e32 v82, v131
	v_pk_fma_f32 v[88:89], v[142:143], v[126:127], v[88:89] neg_lo:[0,0,1] neg_hi:[0,0,1]
	s_delay_alu instid0(VALU_DEP_4)
	v_pk_fma_f32 v[86:87], v[144:145], v[128:129], v[84:85] op_sel_hi:[1,0,1]
	v_mov_b32_e32 v89, v83
	v_pk_add_f32 v[80:81], v[80:81], v[90:91]
	v_pk_mul_f32 v[82:83], v[192:193], v[82:83] op_sel_hi:[1,0]
	v_pk_fma_f32 v[84:85], v[144:145], v[128:129], v[84:85] neg_lo:[0,0,1] neg_hi:[0,0,1]
	v_mov_b32_e32 v85, v87
	s_delay_alu instid0(VALU_DEP_4) | instskip(NEXT) | instid1(VALU_DEP_4)
	v_pk_add_f32 v[80:81], v[80:81], v[88:89]
	v_pk_fma_f32 v[86:87], v[146:147], v[130:131], v[82:83] op_sel_hi:[1,0,1]
	v_pk_fma_f32 v[82:83], v[146:147], v[130:131], v[82:83] neg_lo:[0,0,1] neg_hi:[0,0,1]
	s_delay_alu instid0(VALU_DEP_3) | instskip(NEXT) | instid1(VALU_DEP_3)
	v_pk_add_f32 v[80:81], v[80:81], v[84:85]
	v_mov_b32_e32 v83, v87
	s_delay_alu instid0(VALU_DEP_1) | instskip(SKIP_1) | instid1(VALU_DEP_1)
	v_pk_add_f32 v[80:81], v[80:81], v[82:83]
	s_wait_loadcnt 0x0
	v_pk_add_f32 v[80:81], v[184:185], v[80:81] neg_lo:[0,1] neg_hi:[0,1]
	scratch_store_b64 off, v[80:81], off offset:96
	s_wait_xcnt 0x0
	v_cmpx_lt_u32_e32 11, v0
	s_cbranch_execz .LBB102_225
; %bb.224:
	scratch_load_b64 v[80:81], off, off offset:88
	v_mov_b64_e32 v[82:83], 0
	scratch_store_b64 off, v[82:83], off offset:88
	s_wait_loadcnt 0x0
	ds_store_b64 v1, v[80:81]
.LBB102_225:
	s_wait_xcnt 0x0
	s_or_b32 exec_lo, exec_lo, s0
	s_wait_storecnt_dscnt 0x0
	s_barrier_signal -1
	s_barrier_wait -1
	s_clause 0xe
	scratch_load_b128 v[80:83], off, off offset:96
	scratch_load_b128 v[84:87], off, off offset:112
	;; [unrolled: 1-line block ×13, first 2 shown]
	scratch_load_b64 v[184:185], off, off offset:304
	scratch_load_b64 v[186:187], off, off offset:88
	v_mov_b32_e32 v7, 0
	ds_load_b128 v[132:135], v7 offset:560
	ds_load_b128 v[136:139], v7 offset:576
	;; [unrolled: 1-line block ×13, first 2 shown]
	ds_load_b64 v[188:189], v7 offset:624
	s_mov_b32 s0, exec_lo
	s_wait_dscnt 0xd
	v_dual_mov_b32 v190, v135 :: v_dual_mov_b32 v191, v134
	s_wait_dscnt 0xa
	v_dual_mov_b32 v192, v139 :: v_dual_mov_b32 v197, v146
	v_dual_mov_b32 v193, v138 :: v_dual_mov_b32 v194, v143
	;; [unrolled: 1-line block ×3, first 2 shown]
	s_wait_loadcnt_dscnt 0xe09
	v_dual_mul_f32 v9, v148, v81 :: v_dual_mul_f32 v43, v149, v81
	v_dual_mul_f32 v45, v151, v83 :: v_dual_mul_f32 v11, v150, v83
	s_wait_loadcnt_dscnt 0xd08
	v_mul_f32_e32 v13, v152, v85
	s_wait_loadcnt_dscnt 0xb05
	v_dual_mul_f32 v55, v165, v93 :: v_dual_fma_f32 v43, v148, v80, -v43
	v_dual_fmac_f32 v9, v149, v80 :: v_dual_mul_f32 v57, v167, v95
	v_dual_mul_f32 v47, v153, v85 :: v_dual_mul_f32 v49, v155, v87
	v_dual_fmac_f32 v11, v151, v82 :: v_dual_fma_f32 v45, v150, v82, -v45
	s_delay_alu instid0(VALU_DEP_3) | instskip(SKIP_4) | instid1(VALU_DEP_3)
	v_dual_add_f32 v9, 0, v9 :: v_dual_add_f32 v43, 0, v43
	v_dual_mul_f32 v15, v154, v87 :: v_dual_mul_f32 v17, v156, v89
	s_wait_loadcnt_dscnt 0xa04
	v_dual_mul_f32 v59, v169, v97 :: v_dual_fma_f32 v47, v152, v84, -v47
	v_fmac_f32_e32 v13, v153, v84
	v_dual_add_f32 v9, v9, v11 :: v_dual_fmac_f32 v15, v155, v86
	v_add_f32_e32 v11, v43, v45
	v_dual_mul_f32 v51, v157, v89 :: v_dual_mul_f32 v53, v159, v91
	v_dual_mul_f32 v43, v171, v99 :: v_dual_fma_f32 v45, v154, v86, -v49
	s_delay_alu instid0(VALU_DEP_3) | instskip(SKIP_3) | instid1(VALU_DEP_3)
	v_dual_add_f32 v9, v9, v13 :: v_dual_add_f32 v11, v11, v47
	v_dual_mul_f32 v19, v158, v91 :: v_dual_mul_f32 v21, v164, v93
	s_wait_loadcnt_dscnt 0x903
	v_dual_mul_f32 v13, v173, v101 :: v_dual_fma_f32 v47, v156, v88, -v51
	v_dual_fmac_f32 v17, v157, v88 :: v_dual_add_f32 v11, v11, v45
	s_delay_alu instid0(VALU_DEP_3) | instskip(SKIP_1) | instid1(VALU_DEP_2)
	v_dual_add_f32 v9, v9, v15 :: v_dual_fmac_f32 v19, v159, v90
	v_dual_mul_f32 v15, v175, v103 :: v_dual_fma_f32 v45, v158, v90, -v53
	v_dual_add_f32 v11, v11, v47 :: v_dual_add_f32 v9, v9, v17
	v_dual_mul_f32 v23, v166, v95 :: v_dual_mul_f32 v25, v168, v97
	s_wait_loadcnt_dscnt 0x802
	v_dual_mul_f32 v17, v177, v105 :: v_dual_fma_f32 v47, v164, v92, -v55
	s_delay_alu instid0(VALU_DEP_3) | instskip(NEXT) | instid1(VALU_DEP_3)
	v_dual_fmac_f32 v21, v165, v92 :: v_dual_add_f32 v11, v11, v45
	v_dual_add_f32 v9, v9, v19 :: v_dual_fmac_f32 v23, v167, v94
	v_dual_mul_f32 v19, v179, v107 :: v_dual_fma_f32 v45, v166, v94, -v57
	s_delay_alu instid0(VALU_DEP_2) | instskip(SKIP_3) | instid1(VALU_DEP_3)
	v_dual_add_f32 v11, v11, v47 :: v_dual_add_f32 v9, v9, v21
	v_dual_mul_f32 v27, v170, v99 :: v_dual_mul_f32 v29, v172, v101
	s_wait_loadcnt_dscnt 0x701
	v_dual_mul_f32 v21, v181, v109 :: v_dual_fma_f32 v47, v168, v96, -v59
	v_dual_fmac_f32 v25, v169, v96 :: v_dual_add_f32 v11, v11, v45
	s_delay_alu instid0(VALU_DEP_3) | instskip(SKIP_1) | instid1(VALU_DEP_2)
	v_dual_add_f32 v9, v9, v23 :: v_dual_fmac_f32 v27, v171, v98
	v_dual_mul_f32 v23, v183, v111 :: v_dual_fma_f32 v43, v170, v98, -v43
	v_dual_add_f32 v11, v11, v47 :: v_dual_add_f32 v9, v9, v25
	v_dual_mul_f32 v31, v174, v103 :: v_dual_mul_f32 v33, v176, v105
	s_wait_loadcnt 0x6
	v_dual_mul_f32 v25, v161, v113 :: v_dual_fma_f32 v13, v172, v100, -v13
	s_delay_alu instid0(VALU_DEP_3) | instskip(NEXT) | instid1(VALU_DEP_3)
	v_dual_fmac_f32 v29, v173, v100 :: v_dual_add_f32 v11, v11, v43
	v_dual_add_f32 v9, v9, v27 :: v_dual_fmac_f32 v31, v175, v102
	v_dual_mul_f32 v27, v163, v115 :: v_dual_fma_f32 v15, v174, v102, -v15
	s_delay_alu instid0(VALU_DEP_3) | instskip(NEXT) | instid1(VALU_DEP_3)
	v_dual_add_f32 v11, v11, v13 :: v_dual_fmac_f32 v33, v177, v104
	v_dual_add_f32 v9, v9, v29 :: v_dual_fma_f32 v17, v176, v104, -v17
	v_dual_mul_f32 v35, v178, v107 :: v_dual_mul_f32 v37, v180, v109
	s_wait_loadcnt 0x5
	s_delay_alu instid0(VALU_DEP_3) | instskip(NEXT) | instid1(VALU_DEP_3)
	v_dual_mul_f32 v13, v133, v117 :: v_dual_add_f32 v11, v11, v15
	v_dual_add_f32 v9, v9, v31 :: v_dual_mov_b32 v80, v119
	s_delay_alu instid0(VALU_DEP_3) | instskip(NEXT) | instid1(VALU_DEP_3)
	v_fmac_f32_e32 v35, v179, v106
	v_dual_fma_f32 v15, v178, v106, -v19 :: v_dual_add_f32 v11, v11, v17
	s_delay_alu instid0(VALU_DEP_3) | instskip(SKIP_1) | instid1(VALU_DEP_3)
	v_dual_add_f32 v9, v9, v33 :: v_dual_mul_f32 v39, v182, v111
	v_dual_mul_f32 v41, v160, v113 :: v_dual_fmac_f32 v37, v181, v108
	v_dual_add_f32 v11, v11, v15 :: v_dual_fma_f32 v17, v180, v108, -v21
	s_wait_loadcnt 0x4
	s_delay_alu instid0(VALU_DEP_3) | instskip(SKIP_3) | instid1(VALU_DEP_4)
	v_dual_add_f32 v9, v9, v35 :: v_dual_mov_b32 v84, v123
	v_fma_f32 v15, v182, v110, -v23
	v_fmac_f32_e32 v39, v183, v110
	v_dual_add_f32 v11, v11, v17 :: v_dual_fmac_f32 v41, v161, v112
	v_dual_add_f32 v9, v9, v37 :: v_dual_mul_f32 v199, v162, v115
	v_mul_f32_e32 v201, v132, v117
	s_delay_alu instid0(VALU_DEP_3) | instskip(NEXT) | instid1(VALU_DEP_3)
	v_dual_fma_f32 v17, v160, v112, -v25 :: v_dual_add_f32 v11, v11, v15
	v_dual_fma_f32 v198, v162, v114, -v27 :: v_dual_add_f32 v9, v9, v39
	s_delay_alu instid0(VALU_DEP_4) | instskip(SKIP_1) | instid1(VALU_DEP_4)
	v_fmac_f32_e32 v199, v163, v114
	v_pk_mul_f32 v[80:81], v[190:191], v[80:81] op_sel_hi:[1,0]
	v_dual_add_f32 v88, v11, v17 :: v_dual_fmac_f32 v201, v133, v116
	s_delay_alu instid0(VALU_DEP_4)
	v_add_f32_e32 v89, v9, v41
	v_pk_mul_f32 v[82:83], v[136:137], v[120:121] op_sel:[1,1] op_sel_hi:[0,1]
	s_wait_loadcnt 0x3
	v_dual_mov_b32 v90, v127 :: v_dual_fma_f32 v200, v132, v116, -v13
	v_pk_fma_f32 v[92:93], v[134:135], v[118:119], v[80:81] op_sel_hi:[1,0,1]
	v_pk_add_f32 v[88:89], v[88:89], v[198:199]
	v_pk_fma_f32 v[80:81], v[134:135], v[118:119], v[80:81] neg_lo:[0,0,1] neg_hi:[0,0,1]
	v_pk_fma_f32 v[94:95], v[136:137], v[120:121], v[82:83] op_sel_hi:[1,0,1]
	v_pk_mul_f32 v[84:85], v[192:193], v[84:85] op_sel_hi:[1,0]
	v_mov_b32_e32 v81, v93
	v_pk_add_f32 v[88:89], v[88:89], v[200:201]
	v_pk_fma_f32 v[82:83], v[136:137], v[120:121], v[82:83] neg_lo:[0,0,1] neg_hi:[0,0,1]
	v_pk_mul_f32 v[86:87], v[140:141], v[124:125] op_sel:[1,1] op_sel_hi:[0,1]
	v_mov_b32_e32 v83, v95
	v_pk_fma_f32 v[94:95], v[138:139], v[122:123], v[84:85] op_sel_hi:[1,0,1]
	v_pk_add_f32 v[80:81], v[88:89], v[80:81]
	v_pk_fma_f32 v[84:85], v[138:139], v[122:123], v[84:85] neg_lo:[0,0,1] neg_hi:[0,0,1]
	v_pk_fma_f32 v[88:89], v[140:141], v[124:125], v[86:87] op_sel_hi:[1,0,1]
	v_pk_mul_f32 v[90:91], v[194:195], v[90:91] op_sel_hi:[1,0]
	v_mov_b32_e32 v85, v95
	v_pk_add_f32 v[80:81], v[80:81], v[82:83]
	v_pk_fma_f32 v[86:87], v[140:141], v[124:125], v[86:87] neg_lo:[0,0,1] neg_hi:[0,0,1]
	s_wait_loadcnt 0x2
	v_pk_mul_f32 v[92:93], v[144:145], v[128:129] op_sel:[1,1] op_sel_hi:[0,1]
	v_dual_mov_b32 v82, v131 :: v_dual_mov_b32 v87, v89
	v_pk_fma_f32 v[88:89], v[142:143], v[126:127], v[90:91] op_sel_hi:[1,0,1]
	v_pk_add_f32 v[80:81], v[80:81], v[84:85]
	v_pk_fma_f32 v[90:91], v[142:143], v[126:127], v[90:91] neg_lo:[0,0,1] neg_hi:[0,0,1]
	v_pk_fma_f32 v[84:85], v[144:145], v[128:129], v[92:93] op_sel_hi:[1,0,1]
	v_pk_mul_f32 v[82:83], v[196:197], v[82:83] op_sel_hi:[1,0]
	v_mov_b32_e32 v91, v89
	v_pk_add_f32 v[80:81], v[80:81], v[86:87]
	v_pk_fma_f32 v[86:87], v[144:145], v[128:129], v[92:93] neg_lo:[0,0,1] neg_hi:[0,0,1]
	v_mov_b32_e32 v87, v85
	v_pk_fma_f32 v[84:85], v[146:147], v[130:131], v[82:83] op_sel_hi:[1,0,1]
	s_wait_loadcnt_dscnt 0x100
	v_pk_mul_f32 v[88:89], v[188:189], v[184:185] op_sel:[1,1] op_sel_hi:[0,1]
	v_pk_add_f32 v[80:81], v[80:81], v[90:91]
	v_pk_fma_f32 v[82:83], v[146:147], v[130:131], v[82:83] neg_lo:[0,0,1] neg_hi:[0,0,1]
	v_mov_b32_e32 v83, v85
	s_delay_alu instid0(VALU_DEP_4) | instskip(NEXT) | instid1(VALU_DEP_4)
	v_pk_fma_f32 v[84:85], v[188:189], v[184:185], v[88:89] op_sel_hi:[1,0,1]
	v_pk_add_f32 v[80:81], v[80:81], v[86:87]
	v_pk_fma_f32 v[86:87], v[188:189], v[184:185], v[88:89] neg_lo:[0,0,1] neg_hi:[0,0,1]
	s_delay_alu instid0(VALU_DEP_3) | instskip(NEXT) | instid1(VALU_DEP_3)
	v_mov_b32_e32 v87, v85
	v_pk_add_f32 v[80:81], v[80:81], v[82:83]
	s_delay_alu instid0(VALU_DEP_1) | instskip(SKIP_1) | instid1(VALU_DEP_1)
	v_pk_add_f32 v[80:81], v[80:81], v[86:87]
	s_wait_loadcnt 0x0
	v_pk_add_f32 v[80:81], v[186:187], v[80:81] neg_lo:[0,1] neg_hi:[0,1]
	scratch_store_b64 off, v[80:81], off offset:88
	s_wait_xcnt 0x0
	v_cmpx_lt_u32_e32 10, v0
	s_cbranch_execz .LBB102_227
; %bb.226:
	scratch_load_b64 v[80:81], off, off offset:80
	v_mov_b64_e32 v[82:83], 0
	scratch_store_b64 off, v[82:83], off offset:80
	s_wait_loadcnt 0x0
	ds_store_b64 v1, v[80:81]
.LBB102_227:
	s_wait_xcnt 0x0
	s_or_b32 exec_lo, exec_lo, s0
	s_wait_storecnt_dscnt 0x0
	s_barrier_signal -1
	s_barrier_wait -1
	s_clause 0xe
	scratch_load_b128 v[80:83], off, off offset:88
	scratch_load_b128 v[84:87], off, off offset:104
	;; [unrolled: 1-line block ×14, first 2 shown]
	scratch_load_b64 v[192:193], off, off offset:80
	ds_load_2addr_b64 v[136:139], v7 offset0:71 offset1:72
	ds_load_2addr_b64 v[140:143], v7 offset0:73 offset1:74
	;; [unrolled: 1-line block ×14, first 2 shown]
	s_mov_b32 s0, exec_lo
	s_wait_dscnt 0xd
	v_dual_mov_b32 v194, v139 :: v_dual_mov_b32 v195, v138
	s_wait_dscnt 0xc
	v_dual_mov_b32 v196, v143 :: v_dual_mov_b32 v197, v142
	;; [unrolled: 2-line block ×4, first 2 shown]
	s_wait_loadcnt_dscnt 0xe09
	v_dual_mul_f32 v7, v152, v81 :: v_dual_mul_f32 v9, v154, v83
	v_dual_mul_f32 v43, v153, v81 :: v_dual_mul_f32 v45, v155, v83
	s_wait_loadcnt_dscnt 0xd08
	v_dual_mul_f32 v11, v156, v85 :: v_dual_mul_f32 v13, v158, v87
	s_delay_alu instid0(VALU_DEP_3) | instskip(SKIP_3) | instid1(VALU_DEP_3)
	v_dual_fmac_f32 v7, v153, v80 :: v_dual_fmac_f32 v9, v155, v82
	s_wait_loadcnt_dscnt 0xb06
	v_dual_fma_f32 v43, v152, v80, -v43 :: v_dual_mul_f32 v55, v165, v93
	v_dual_mul_f32 v47, v157, v85 :: v_dual_mul_f32 v49, v159, v87
	v_dual_fma_f32 v45, v154, v82, -v45 :: v_dual_add_f32 v7, 0, v7
	s_delay_alu instid0(VALU_DEP_3) | instskip(SKIP_1) | instid1(VALU_DEP_4)
	v_dual_add_f32 v43, 0, v43 :: v_dual_fmac_f32 v11, v157, v84
	v_dual_mul_f32 v15, v160, v89 :: v_dual_mul_f32 v17, v162, v91
	v_dual_mul_f32 v57, v167, v95 :: v_dual_fma_f32 v47, v156, v84, -v47
	s_delay_alu instid0(VALU_DEP_4) | instskip(NEXT) | instid1(VALU_DEP_3)
	v_add_f32_e32 v7, v7, v9
	v_dual_add_f32 v9, v43, v45 :: v_dual_fmac_f32 v15, v161, v88
	v_dual_mul_f32 v51, v161, v89 :: v_dual_mul_f32 v53, v163, v91
	s_wait_loadcnt_dscnt 0xa05
	v_dual_mul_f32 v43, v169, v97 :: v_dual_fmac_f32 v13, v159, v86
	v_dual_fma_f32 v45, v158, v86, -v49 :: v_dual_add_f32 v7, v7, v11
	s_delay_alu instid0(VALU_DEP_3) | instskip(SKIP_1) | instid1(VALU_DEP_3)
	v_dual_add_f32 v9, v9, v47 :: v_dual_fma_f32 v47, v160, v88, -v51
	v_dual_mul_f32 v19, v164, v93 :: v_dual_mul_f32 v21, v166, v95
	v_add_f32_e32 v7, v7, v13
	s_delay_alu instid0(VALU_DEP_3) | instskip(SKIP_2) | instid1(VALU_DEP_3)
	v_dual_mul_f32 v11, v171, v99 :: v_dual_add_f32 v9, v9, v45
	s_wait_loadcnt_dscnt 0x904
	v_dual_mul_f32 v13, v173, v101 :: v_dual_fmac_f32 v17, v163, v90
	v_dual_fma_f32 v45, v162, v90, -v53 :: v_dual_add_f32 v7, v7, v15
	s_delay_alu instid0(VALU_DEP_3) | instskip(SKIP_1) | instid1(VALU_DEP_3)
	v_dual_add_f32 v9, v9, v47 :: v_dual_fma_f32 v47, v164, v92, -v55
	v_dual_mul_f32 v15, v175, v103 :: v_dual_fmac_f32 v19, v165, v92
	v_add_f32_e32 v7, v7, v17
	s_delay_alu instid0(VALU_DEP_3)
	v_dual_add_f32 v9, v9, v45 :: v_dual_fmac_f32 v21, v167, v94
	v_dual_mul_f32 v23, v168, v97 :: v_dual_mul_f32 v25, v170, v99
	s_wait_loadcnt_dscnt 0x803
	v_dual_fma_f32 v45, v166, v94, -v57 :: v_dual_mul_f32 v17, v177, v105
	v_add_f32_e32 v7, v7, v19
	v_dual_add_f32 v9, v9, v47 :: v_dual_fma_f32 v43, v168, v96, -v43
	v_dual_mul_f32 v19, v179, v107 :: v_dual_fmac_f32 v23, v169, v96
	s_delay_alu instid0(VALU_DEP_3) | instskip(NEXT) | instid1(VALU_DEP_3)
	v_dual_add_f32 v7, v7, v21 :: v_dual_fma_f32 v11, v170, v98, -v11
	v_dual_add_f32 v9, v9, v45 :: v_dual_fmac_f32 v25, v171, v98
	v_dual_mul_f32 v27, v172, v101 :: v_dual_mul_f32 v29, v174, v103
	s_wait_loadcnt_dscnt 0x702
	s_delay_alu instid0(VALU_DEP_3) | instskip(NEXT) | instid1(VALU_DEP_3)
	v_dual_mul_f32 v21, v181, v109 :: v_dual_add_f32 v7, v7, v23
	v_dual_add_f32 v9, v9, v43 :: v_dual_fma_f32 v13, v172, v100, -v13
	s_delay_alu instid0(VALU_DEP_3) | instskip(NEXT) | instid1(VALU_DEP_2)
	v_dual_mul_f32 v23, v183, v111 :: v_dual_fmac_f32 v27, v173, v100
	v_dual_add_f32 v7, v7, v25 :: v_dual_add_f32 v9, v9, v11
	v_dual_mul_f32 v31, v176, v105 :: v_dual_mul_f32 v33, v178, v107
	s_wait_loadcnt_dscnt 0x601
	v_dual_mul_f32 v11, v185, v113 :: v_dual_fmac_f32 v29, v175, v102
	s_delay_alu instid0(VALU_DEP_3) | instskip(SKIP_2) | instid1(VALU_DEP_2)
	v_dual_fma_f32 v15, v174, v102, -v15 :: v_dual_add_f32 v7, v7, v27
	v_dual_add_f32 v9, v9, v13 :: v_dual_mul_f32 v13, v187, v115
	v_dual_fmac_f32 v31, v177, v104 :: v_dual_fma_f32 v17, v176, v104, -v17
	v_dual_add_f32 v7, v7, v29 :: v_dual_add_f32 v9, v9, v15
	v_dual_mul_f32 v35, v180, v109 :: v_dual_mul_f32 v37, v182, v111
	s_wait_loadcnt_dscnt 0x500
	v_dual_mul_f32 v15, v189, v117 :: v_dual_fmac_f32 v33, v179, v106
	s_delay_alu instid0(VALU_DEP_3) | instskip(SKIP_2) | instid1(VALU_DEP_2)
	v_dual_fma_f32 v19, v178, v106, -v19 :: v_dual_add_f32 v7, v7, v31
	v_dual_add_f32 v9, v9, v17 :: v_dual_mul_f32 v17, v191, v119
	v_dual_fmac_f32 v35, v181, v108 :: v_dual_fma_f32 v21, v180, v108, -v21
	v_dual_add_f32 v7, v7, v33 :: v_dual_add_f32 v9, v9, v19
	v_dual_mul_f32 v39, v184, v113 :: v_dual_mul_f32 v41, v186, v115
	v_dual_fmac_f32 v37, v183, v110 :: v_dual_fma_f32 v19, v182, v110, -v23
	s_delay_alu instid0(VALU_DEP_3) | instskip(SKIP_1) | instid1(VALU_DEP_3)
	v_dual_add_f32 v7, v7, v35 :: v_dual_add_f32 v9, v9, v21
	s_wait_loadcnt 0x4
	v_dual_mov_b32 v82, v123 :: v_dual_fmac_f32 v39, v185, v112
	s_delay_alu instid0(VALU_DEP_2) | instskip(NEXT) | instid1(VALU_DEP_3)
	v_dual_fma_f32 v11, v184, v112, -v11 :: v_dual_add_f32 v7, v7, v37
	v_dual_add_f32 v9, v9, v19 :: v_dual_fmac_f32 v41, v187, v114
	v_dual_mul_f32 v203, v188, v117 :: v_dual_mul_f32 v205, v190, v119
	s_delay_alu instid0(VALU_DEP_3) | instskip(SKIP_1) | instid1(VALU_DEP_3)
	v_dual_fma_f32 v13, v186, v114, -v13 :: v_dual_add_f32 v7, v7, v39
	s_wait_loadcnt 0x3
	v_dual_add_f32 v9, v9, v11 :: v_dual_mov_b32 v86, v127
	v_pk_mul_f32 v[80:81], v[136:137], v[120:121] op_sel:[1,1] op_sel_hi:[0,1]
	s_delay_alu instid0(VALU_DEP_3) | instskip(NEXT) | instid1(VALU_DEP_3)
	v_dual_fmac_f32 v203, v189, v116 :: v_dual_add_f32 v89, v7, v41
	v_dual_fma_f32 v202, v188, v116, -v15 :: v_dual_add_f32 v88, v9, v13
	v_fmac_f32_e32 v205, v191, v118
	s_delay_alu instid0(VALU_DEP_4)
	v_pk_fma_f32 v[90:91], v[136:137], v[120:121], v[80:81] op_sel_hi:[1,0,1]
	v_fma_f32 v204, v190, v118, -v17
	v_pk_mul_f32 v[82:83], v[194:195], v[82:83] op_sel_hi:[1,0]
	v_pk_add_f32 v[88:89], v[88:89], v[202:203]
	v_pk_fma_f32 v[80:81], v[136:137], v[120:121], v[80:81] neg_lo:[0,0,1] neg_hi:[0,0,1]
	v_pk_mul_f32 v[84:85], v[140:141], v[124:125] op_sel:[1,1] op_sel_hi:[0,1]
	v_mov_b32_e32 v81, v91
	v_pk_fma_f32 v[90:91], v[138:139], v[122:123], v[82:83] op_sel_hi:[1,0,1]
	v_pk_add_f32 v[88:89], v[88:89], v[204:205]
	v_pk_fma_f32 v[82:83], v[138:139], v[122:123], v[82:83] neg_lo:[0,0,1] neg_hi:[0,0,1]
	v_pk_fma_f32 v[94:95], v[140:141], v[124:125], v[84:85] op_sel_hi:[1,0,1]
	v_pk_mul_f32 v[86:87], v[196:197], v[86:87] op_sel_hi:[1,0]
	v_mov_b32_e32 v83, v91
	v_pk_add_f32 v[80:81], v[88:89], v[80:81]
	s_wait_loadcnt 0x2
	v_pk_mul_f32 v[92:93], v[144:145], v[128:129] op_sel:[1,1] op_sel_hi:[0,1]
	v_mov_b32_e32 v88, v131
	v_pk_fma_f32 v[84:85], v[140:141], v[124:125], v[84:85] neg_lo:[0,0,1] neg_hi:[0,0,1]
	v_pk_fma_f32 v[90:91], v[142:143], v[126:127], v[86:87] op_sel_hi:[1,0,1]
	v_mov_b32_e32 v85, v95
	v_pk_add_f32 v[80:81], v[80:81], v[82:83]
	v_pk_fma_f32 v[82:83], v[144:145], v[128:129], v[92:93] op_sel_hi:[1,0,1]
	v_pk_mul_f32 v[88:89], v[198:199], v[88:89] op_sel_hi:[1,0]
	v_pk_fma_f32 v[86:87], v[142:143], v[126:127], v[86:87] neg_lo:[0,0,1] neg_hi:[0,0,1]
	v_mov_b32_e32 v87, v91
	v_pk_add_f32 v[80:81], v[80:81], v[84:85]
	v_pk_fma_f32 v[90:91], v[144:145], v[128:129], v[92:93] neg_lo:[0,0,1] neg_hi:[0,0,1]
	v_mov_b32_e32 v91, v83
	v_pk_fma_f32 v[82:83], v[146:147], v[130:131], v[88:89] op_sel_hi:[1,0,1]
	s_wait_loadcnt 0x1
	v_pk_mul_f32 v[84:85], v[148:149], v[132:133] op_sel:[1,1] op_sel_hi:[0,1]
	v_pk_add_f32 v[80:81], v[80:81], v[86:87]
	v_mov_b32_e32 v82, v135
	v_pk_fma_f32 v[88:89], v[146:147], v[130:131], v[88:89] neg_lo:[0,0,1] neg_hi:[0,0,1]
	s_delay_alu instid0(VALU_DEP_4)
	v_pk_fma_f32 v[86:87], v[148:149], v[132:133], v[84:85] op_sel_hi:[1,0,1]
	v_mov_b32_e32 v89, v83
	v_pk_add_f32 v[80:81], v[80:81], v[90:91]
	v_pk_mul_f32 v[82:83], v[200:201], v[82:83] op_sel_hi:[1,0]
	v_pk_fma_f32 v[84:85], v[148:149], v[132:133], v[84:85] neg_lo:[0,0,1] neg_hi:[0,0,1]
	v_mov_b32_e32 v85, v87
	s_delay_alu instid0(VALU_DEP_4) | instskip(NEXT) | instid1(VALU_DEP_4)
	v_pk_add_f32 v[80:81], v[80:81], v[88:89]
	v_pk_fma_f32 v[86:87], v[150:151], v[134:135], v[82:83] op_sel_hi:[1,0,1]
	v_pk_fma_f32 v[82:83], v[150:151], v[134:135], v[82:83] neg_lo:[0,0,1] neg_hi:[0,0,1]
	s_delay_alu instid0(VALU_DEP_3) | instskip(NEXT) | instid1(VALU_DEP_3)
	v_pk_add_f32 v[80:81], v[80:81], v[84:85]
	v_mov_b32_e32 v83, v87
	s_delay_alu instid0(VALU_DEP_1) | instskip(SKIP_1) | instid1(VALU_DEP_1)
	v_pk_add_f32 v[80:81], v[80:81], v[82:83]
	s_wait_loadcnt 0x0
	v_pk_add_f32 v[80:81], v[192:193], v[80:81] neg_lo:[0,1] neg_hi:[0,1]
	scratch_store_b64 off, v[80:81], off offset:80
	s_wait_xcnt 0x0
	v_cmpx_lt_u32_e32 9, v0
	s_cbranch_execz .LBB102_229
; %bb.228:
	scratch_load_b64 v[80:81], off, off offset:72
	v_mov_b64_e32 v[82:83], 0
	scratch_store_b64 off, v[82:83], off offset:72
	s_wait_loadcnt 0x0
	ds_store_b64 v1, v[80:81]
.LBB102_229:
	s_wait_xcnt 0x0
	s_or_b32 exec_lo, exec_lo, s0
	s_wait_storecnt_dscnt 0x0
	s_barrier_signal -1
	s_barrier_wait -1
	s_clause 0xf
	scratch_load_b128 v[80:83], off, off offset:80
	scratch_load_b128 v[84:87], off, off offset:96
	;; [unrolled: 1-line block ×14, first 2 shown]
	scratch_load_b64 v[192:193], off, off offset:304
	scratch_load_b64 v[194:195], off, off offset:72
	v_mov_b32_e32 v7, 0
	ds_load_b128 v[136:139], v7 offset:560
	ds_load_b128 v[140:143], v7 offset:576
	;; [unrolled: 1-line block ×14, first 2 shown]
	ds_load_b64 v[196:197], v7 offset:624
	s_mov_b32 s0, exec_lo
	s_wait_dscnt 0xe
	v_dual_mov_b32 v198, v139 :: v_dual_mov_b32 v199, v138
	s_wait_dscnt 0xb
	v_dual_mov_b32 v200, v143 :: v_dual_mov_b32 v205, v150
	v_dual_mov_b32 v201, v142 :: v_dual_mov_b32 v202, v147
	;; [unrolled: 1-line block ×3, first 2 shown]
	s_wait_loadcnt_dscnt 0xf0a
	v_dual_mul_f32 v9, v152, v81 :: v_dual_mul_f32 v47, v153, v81
	v_dual_mul_f32 v49, v155, v83 :: v_dual_mul_f32 v11, v154, v83
	s_wait_loadcnt_dscnt 0xe09
	v_mul_f32_e32 v13, v156, v85
	s_wait_loadcnt_dscnt 0xc07
	v_dual_mul_f32 v59, v165, v93 :: v_dual_fma_f32 v47, v152, v80, -v47
	v_dual_fmac_f32 v9, v153, v80 :: v_dual_mul_f32 v61, v167, v95
	v_dual_mul_f32 v51, v157, v85 :: v_dual_mul_f32 v53, v159, v87
	v_dual_fmac_f32 v11, v155, v82 :: v_dual_fma_f32 v49, v154, v82, -v49
	s_delay_alu instid0(VALU_DEP_3) | instskip(SKIP_4) | instid1(VALU_DEP_3)
	v_dual_add_f32 v9, 0, v9 :: v_dual_add_f32 v47, 0, v47
	v_dual_mul_f32 v15, v158, v87 :: v_dual_mul_f32 v17, v160, v89
	s_wait_loadcnt_dscnt 0xb06
	v_dual_mul_f32 v63, v169, v97 :: v_dual_fma_f32 v51, v156, v84, -v51
	v_fmac_f32_e32 v13, v157, v84
	v_dual_add_f32 v9, v9, v11 :: v_dual_fmac_f32 v15, v159, v86
	v_add_f32_e32 v11, v47, v49
	v_dual_mul_f32 v55, v161, v89 :: v_dual_mul_f32 v57, v163, v91
	v_dual_mul_f32 v47, v171, v99 :: v_dual_fma_f32 v49, v158, v86, -v53
	s_delay_alu instid0(VALU_DEP_3) | instskip(SKIP_3) | instid1(VALU_DEP_3)
	v_dual_add_f32 v9, v9, v13 :: v_dual_add_f32 v11, v11, v51
	v_dual_mul_f32 v19, v162, v91 :: v_dual_mul_f32 v21, v164, v93
	s_wait_loadcnt_dscnt 0xa05
	v_dual_mul_f32 v13, v173, v101 :: v_dual_fma_f32 v51, v160, v88, -v55
	v_dual_fmac_f32 v17, v161, v88 :: v_dual_add_f32 v11, v11, v49
	s_delay_alu instid0(VALU_DEP_3) | instskip(SKIP_1) | instid1(VALU_DEP_2)
	v_dual_add_f32 v9, v9, v15 :: v_dual_fmac_f32 v19, v163, v90
	v_dual_mul_f32 v15, v175, v103 :: v_dual_fma_f32 v49, v162, v90, -v57
	v_dual_add_f32 v11, v11, v51 :: v_dual_add_f32 v9, v9, v17
	v_dual_mul_f32 v23, v166, v95 :: v_dual_mul_f32 v25, v168, v97
	s_wait_loadcnt_dscnt 0x904
	v_dual_mul_f32 v17, v177, v105 :: v_dual_fma_f32 v51, v164, v92, -v59
	s_delay_alu instid0(VALU_DEP_3) | instskip(NEXT) | instid1(VALU_DEP_3)
	v_dual_fmac_f32 v21, v165, v92 :: v_dual_add_f32 v11, v11, v49
	v_dual_add_f32 v9, v9, v19 :: v_dual_fmac_f32 v23, v167, v94
	v_dual_mul_f32 v19, v179, v107 :: v_dual_fma_f32 v49, v166, v94, -v61
	s_delay_alu instid0(VALU_DEP_2) | instskip(SKIP_3) | instid1(VALU_DEP_3)
	v_dual_add_f32 v11, v11, v51 :: v_dual_add_f32 v9, v9, v21
	v_dual_mul_f32 v27, v170, v99 :: v_dual_mul_f32 v29, v172, v101
	s_wait_loadcnt_dscnt 0x803
	v_dual_mul_f32 v21, v181, v109 :: v_dual_fma_f32 v51, v168, v96, -v63
	v_dual_fmac_f32 v25, v169, v96 :: v_dual_add_f32 v11, v11, v49
	s_delay_alu instid0(VALU_DEP_3) | instskip(SKIP_1) | instid1(VALU_DEP_2)
	v_dual_add_f32 v9, v9, v23 :: v_dual_fmac_f32 v27, v171, v98
	v_dual_mul_f32 v23, v183, v111 :: v_dual_fma_f32 v47, v170, v98, -v47
	v_dual_add_f32 v11, v11, v51 :: v_dual_add_f32 v9, v9, v25
	v_dual_mul_f32 v31, v174, v103 :: v_dual_mul_f32 v33, v176, v105
	s_wait_loadcnt_dscnt 0x702
	v_dual_mul_f32 v25, v185, v113 :: v_dual_fma_f32 v13, v172, v100, -v13
	s_delay_alu instid0(VALU_DEP_3) | instskip(NEXT) | instid1(VALU_DEP_3)
	v_dual_fmac_f32 v29, v173, v100 :: v_dual_add_f32 v11, v11, v47
	v_dual_add_f32 v9, v9, v27 :: v_dual_fmac_f32 v31, v175, v102
	v_dual_mul_f32 v27, v187, v115 :: v_dual_fma_f32 v15, v174, v102, -v15
	s_delay_alu instid0(VALU_DEP_3) | instskip(NEXT) | instid1(VALU_DEP_3)
	v_dual_add_f32 v11, v11, v13 :: v_dual_fmac_f32 v33, v177, v104
	v_dual_add_f32 v9, v9, v29 :: v_dual_fma_f32 v17, v176, v104, -v17
	v_dual_mul_f32 v35, v178, v107 :: v_dual_mul_f32 v37, v180, v109
	s_wait_loadcnt_dscnt 0x601
	s_delay_alu instid0(VALU_DEP_3) | instskip(NEXT) | instid1(VALU_DEP_2)
	v_dual_mul_f32 v13, v189, v117 :: v_dual_add_f32 v11, v11, v15
	v_dual_add_f32 v9, v9, v31 :: v_dual_fmac_f32 v35, v179, v106
	v_dual_mul_f32 v15, v191, v119 :: v_dual_fma_f32 v19, v178, v106, -v19
	s_delay_alu instid0(VALU_DEP_3) | instskip(NEXT) | instid1(VALU_DEP_3)
	v_dual_add_f32 v11, v11, v17 :: v_dual_fmac_f32 v37, v181, v108
	v_dual_add_f32 v9, v9, v33 :: v_dual_fma_f32 v21, v180, v108, -v21
	v_dual_mul_f32 v39, v182, v111 :: v_dual_mul_f32 v41, v184, v113
	s_wait_loadcnt 0x5
	s_delay_alu instid0(VALU_DEP_3) | instskip(NEXT) | instid1(VALU_DEP_3)
	v_dual_mul_f32 v17, v137, v121 :: v_dual_add_f32 v11, v11, v19
	v_dual_add_f32 v9, v9, v35 :: v_dual_mov_b32 v80, v123
	s_delay_alu instid0(VALU_DEP_3) | instskip(NEXT) | instid1(VALU_DEP_3)
	v_fmac_f32_e32 v39, v183, v110
	v_dual_fma_f32 v19, v182, v110, -v23 :: v_dual_add_f32 v11, v11, v21
	s_delay_alu instid0(VALU_DEP_3) | instskip(SKIP_1) | instid1(VALU_DEP_3)
	v_dual_add_f32 v9, v9, v37 :: v_dual_mul_f32 v43, v186, v115
	v_dual_mul_f32 v45, v188, v117 :: v_dual_fmac_f32 v41, v185, v112
	v_dual_add_f32 v11, v11, v19 :: v_dual_fma_f32 v21, v184, v112, -v25
	s_wait_loadcnt 0x4
	s_delay_alu instid0(VALU_DEP_3) | instskip(SKIP_3) | instid1(VALU_DEP_4)
	v_dual_add_f32 v9, v9, v39 :: v_dual_mov_b32 v84, v127
	v_fma_f32 v19, v186, v114, -v27
	v_fmac_f32_e32 v43, v187, v114
	v_dual_add_f32 v11, v11, v21 :: v_dual_fmac_f32 v45, v189, v116
	v_dual_add_f32 v9, v9, v41 :: v_dual_mul_f32 v207, v190, v119
	v_mul_f32_e32 v209, v136, v121
	s_delay_alu instid0(VALU_DEP_3) | instskip(NEXT) | instid1(VALU_DEP_3)
	v_dual_fma_f32 v13, v188, v116, -v13 :: v_dual_add_f32 v11, v11, v19
	v_dual_fma_f32 v206, v190, v118, -v15 :: v_dual_add_f32 v9, v9, v43
	s_delay_alu instid0(VALU_DEP_4) | instskip(SKIP_1) | instid1(VALU_DEP_4)
	v_fmac_f32_e32 v207, v191, v118
	v_pk_mul_f32 v[80:81], v[198:199], v[80:81] op_sel_hi:[1,0]
	v_dual_add_f32 v88, v11, v13 :: v_dual_fmac_f32 v209, v137, v120
	s_delay_alu instid0(VALU_DEP_4)
	v_add_f32_e32 v89, v9, v45
	v_pk_mul_f32 v[82:83], v[140:141], v[124:125] op_sel:[1,1] op_sel_hi:[0,1]
	s_wait_loadcnt 0x3
	v_dual_mov_b32 v90, v131 :: v_dual_fma_f32 v208, v136, v120, -v17
	v_pk_fma_f32 v[92:93], v[138:139], v[122:123], v[80:81] op_sel_hi:[1,0,1]
	v_pk_add_f32 v[88:89], v[88:89], v[206:207]
	v_pk_fma_f32 v[80:81], v[138:139], v[122:123], v[80:81] neg_lo:[0,0,1] neg_hi:[0,0,1]
	v_pk_fma_f32 v[94:95], v[140:141], v[124:125], v[82:83] op_sel_hi:[1,0,1]
	v_pk_mul_f32 v[84:85], v[200:201], v[84:85] op_sel_hi:[1,0]
	v_mov_b32_e32 v81, v93
	v_pk_add_f32 v[88:89], v[88:89], v[208:209]
	v_pk_fma_f32 v[82:83], v[140:141], v[124:125], v[82:83] neg_lo:[0,0,1] neg_hi:[0,0,1]
	v_pk_mul_f32 v[86:87], v[144:145], v[128:129] op_sel:[1,1] op_sel_hi:[0,1]
	v_mov_b32_e32 v83, v95
	v_pk_fma_f32 v[94:95], v[142:143], v[126:127], v[84:85] op_sel_hi:[1,0,1]
	v_pk_add_f32 v[80:81], v[88:89], v[80:81]
	v_pk_fma_f32 v[84:85], v[142:143], v[126:127], v[84:85] neg_lo:[0,0,1] neg_hi:[0,0,1]
	v_pk_fma_f32 v[88:89], v[144:145], v[128:129], v[86:87] op_sel_hi:[1,0,1]
	v_pk_mul_f32 v[90:91], v[202:203], v[90:91] op_sel_hi:[1,0]
	v_mov_b32_e32 v85, v95
	v_pk_add_f32 v[80:81], v[80:81], v[82:83]
	v_pk_fma_f32 v[86:87], v[144:145], v[128:129], v[86:87] neg_lo:[0,0,1] neg_hi:[0,0,1]
	s_wait_loadcnt 0x2
	v_pk_mul_f32 v[92:93], v[148:149], v[132:133] op_sel:[1,1] op_sel_hi:[0,1]
	v_dual_mov_b32 v82, v135 :: v_dual_mov_b32 v87, v89
	v_pk_fma_f32 v[88:89], v[146:147], v[130:131], v[90:91] op_sel_hi:[1,0,1]
	v_pk_add_f32 v[80:81], v[80:81], v[84:85]
	v_pk_fma_f32 v[90:91], v[146:147], v[130:131], v[90:91] neg_lo:[0,0,1] neg_hi:[0,0,1]
	v_pk_fma_f32 v[84:85], v[148:149], v[132:133], v[92:93] op_sel_hi:[1,0,1]
	v_pk_mul_f32 v[82:83], v[204:205], v[82:83] op_sel_hi:[1,0]
	v_mov_b32_e32 v91, v89
	v_pk_add_f32 v[80:81], v[80:81], v[86:87]
	v_pk_fma_f32 v[86:87], v[148:149], v[132:133], v[92:93] neg_lo:[0,0,1] neg_hi:[0,0,1]
	v_mov_b32_e32 v87, v85
	v_pk_fma_f32 v[84:85], v[150:151], v[134:135], v[82:83] op_sel_hi:[1,0,1]
	s_wait_loadcnt_dscnt 0x100
	v_pk_mul_f32 v[88:89], v[196:197], v[192:193] op_sel:[1,1] op_sel_hi:[0,1]
	v_pk_add_f32 v[80:81], v[80:81], v[90:91]
	v_pk_fma_f32 v[82:83], v[150:151], v[134:135], v[82:83] neg_lo:[0,0,1] neg_hi:[0,0,1]
	v_mov_b32_e32 v83, v85
	s_delay_alu instid0(VALU_DEP_4) | instskip(NEXT) | instid1(VALU_DEP_4)
	v_pk_fma_f32 v[84:85], v[196:197], v[192:193], v[88:89] op_sel_hi:[1,0,1]
	v_pk_add_f32 v[80:81], v[80:81], v[86:87]
	v_pk_fma_f32 v[86:87], v[196:197], v[192:193], v[88:89] neg_lo:[0,0,1] neg_hi:[0,0,1]
	s_delay_alu instid0(VALU_DEP_3) | instskip(NEXT) | instid1(VALU_DEP_3)
	v_mov_b32_e32 v87, v85
	v_pk_add_f32 v[80:81], v[80:81], v[82:83]
	s_delay_alu instid0(VALU_DEP_1) | instskip(SKIP_1) | instid1(VALU_DEP_1)
	v_pk_add_f32 v[80:81], v[80:81], v[86:87]
	s_wait_loadcnt 0x0
	v_pk_add_f32 v[80:81], v[194:195], v[80:81] neg_lo:[0,1] neg_hi:[0,1]
	scratch_store_b64 off, v[80:81], off offset:72
	s_wait_xcnt 0x0
	v_cmpx_lt_u32_e32 8, v0
	s_cbranch_execz .LBB102_231
; %bb.230:
	scratch_load_b64 v[80:81], off, off offset:64
	v_mov_b64_e32 v[82:83], 0
	scratch_store_b64 off, v[82:83], off offset:64
	s_wait_loadcnt 0x0
	ds_store_b64 v1, v[80:81]
.LBB102_231:
	s_wait_xcnt 0x0
	s_or_b32 exec_lo, exec_lo, s0
	s_wait_storecnt_dscnt 0x0
	s_barrier_signal -1
	s_barrier_wait -1
	s_clause 0xf
	scratch_load_b128 v[80:83], off, off offset:72
	scratch_load_b128 v[84:87], off, off offset:88
	;; [unrolled: 1-line block ×15, first 2 shown]
	scratch_load_b64 v[200:201], off, off offset:64
	ds_load_2addr_b64 v[140:143], v7 offset0:71 offset1:72
	ds_load_2addr_b64 v[144:147], v7 offset0:73 offset1:74
	;; [unrolled: 1-line block ×15, first 2 shown]
	s_mov_b32 s0, exec_lo
	s_wait_dscnt 0xe
	v_dual_mov_b32 v202, v143 :: v_dual_mov_b32 v203, v142
	s_wait_dscnt 0xd
	v_dual_mov_b32 v204, v147 :: v_dual_mov_b32 v205, v146
	;; [unrolled: 2-line block ×4, first 2 shown]
	s_wait_loadcnt_dscnt 0xf0a
	v_dual_mul_f32 v7, v156, v81 :: v_dual_mul_f32 v9, v158, v83
	v_dual_mul_f32 v47, v157, v81 :: v_dual_mul_f32 v49, v159, v83
	s_wait_loadcnt_dscnt 0xe09
	v_dual_mul_f32 v11, v160, v85 :: v_dual_mul_f32 v13, v162, v87
	s_delay_alu instid0(VALU_DEP_3) | instskip(SKIP_3) | instid1(VALU_DEP_3)
	v_dual_fmac_f32 v7, v157, v80 :: v_dual_fmac_f32 v9, v159, v82
	s_wait_loadcnt_dscnt 0xc06
	v_dual_fma_f32 v47, v156, v80, -v47 :: v_dual_mul_f32 v59, v173, v93
	v_dual_mul_f32 v51, v161, v85 :: v_dual_mul_f32 v53, v163, v87
	v_dual_fma_f32 v49, v158, v82, -v49 :: v_dual_add_f32 v7, 0, v7
	s_delay_alu instid0(VALU_DEP_3) | instskip(SKIP_1) | instid1(VALU_DEP_4)
	v_dual_add_f32 v47, 0, v47 :: v_dual_fmac_f32 v11, v161, v84
	v_dual_mul_f32 v15, v168, v89 :: v_dual_mul_f32 v17, v170, v91
	v_dual_mul_f32 v61, v175, v95 :: v_dual_fma_f32 v51, v160, v84, -v51
	s_delay_alu instid0(VALU_DEP_4) | instskip(NEXT) | instid1(VALU_DEP_3)
	v_add_f32_e32 v7, v7, v9
	v_dual_add_f32 v9, v47, v49 :: v_dual_fmac_f32 v15, v169, v88
	v_dual_mul_f32 v55, v169, v89 :: v_dual_mul_f32 v57, v171, v91
	s_wait_loadcnt_dscnt 0xb05
	v_dual_mul_f32 v47, v177, v97 :: v_dual_fmac_f32 v13, v163, v86
	v_dual_fma_f32 v49, v162, v86, -v53 :: v_dual_add_f32 v7, v7, v11
	s_delay_alu instid0(VALU_DEP_3) | instskip(SKIP_1) | instid1(VALU_DEP_3)
	v_dual_add_f32 v9, v9, v51 :: v_dual_fma_f32 v51, v168, v88, -v55
	v_dual_mul_f32 v19, v172, v93 :: v_dual_mul_f32 v21, v174, v95
	v_add_f32_e32 v7, v7, v13
	s_delay_alu instid0(VALU_DEP_3) | instskip(SKIP_2) | instid1(VALU_DEP_3)
	v_dual_mul_f32 v11, v179, v99 :: v_dual_add_f32 v9, v9, v49
	s_wait_loadcnt_dscnt 0xa04
	v_dual_mul_f32 v13, v181, v101 :: v_dual_fmac_f32 v17, v171, v90
	v_dual_fma_f32 v49, v170, v90, -v57 :: v_dual_add_f32 v7, v7, v15
	s_delay_alu instid0(VALU_DEP_3) | instskip(SKIP_1) | instid1(VALU_DEP_3)
	v_dual_add_f32 v9, v9, v51 :: v_dual_fma_f32 v51, v172, v92, -v59
	v_dual_mul_f32 v15, v183, v103 :: v_dual_fmac_f32 v19, v173, v92
	v_add_f32_e32 v7, v7, v17
	s_delay_alu instid0(VALU_DEP_3)
	v_dual_add_f32 v9, v9, v49 :: v_dual_fmac_f32 v21, v175, v94
	v_dual_mul_f32 v23, v176, v97 :: v_dual_mul_f32 v25, v178, v99
	s_wait_loadcnt_dscnt 0x903
	v_dual_fma_f32 v49, v174, v94, -v61 :: v_dual_mul_f32 v17, v185, v105
	v_add_f32_e32 v7, v7, v19
	v_dual_add_f32 v9, v9, v51 :: v_dual_fma_f32 v47, v176, v96, -v47
	v_dual_mul_f32 v19, v187, v107 :: v_dual_fmac_f32 v23, v177, v96
	s_delay_alu instid0(VALU_DEP_3) | instskip(NEXT) | instid1(VALU_DEP_3)
	v_dual_add_f32 v7, v7, v21 :: v_dual_fma_f32 v11, v178, v98, -v11
	v_dual_add_f32 v9, v9, v49 :: v_dual_fmac_f32 v25, v179, v98
	v_dual_mul_f32 v27, v180, v101 :: v_dual_mul_f32 v29, v182, v103
	s_wait_loadcnt_dscnt 0x802
	s_delay_alu instid0(VALU_DEP_3) | instskip(NEXT) | instid1(VALU_DEP_3)
	v_dual_mul_f32 v21, v189, v109 :: v_dual_add_f32 v7, v7, v23
	v_dual_add_f32 v9, v9, v47 :: v_dual_fma_f32 v13, v180, v100, -v13
	s_delay_alu instid0(VALU_DEP_3) | instskip(NEXT) | instid1(VALU_DEP_2)
	v_dual_mul_f32 v23, v191, v111 :: v_dual_fmac_f32 v27, v181, v100
	v_dual_add_f32 v7, v7, v25 :: v_dual_add_f32 v9, v9, v11
	v_dual_mul_f32 v31, v184, v105 :: v_dual_mul_f32 v33, v186, v107
	s_wait_loadcnt_dscnt 0x701
	v_dual_mul_f32 v11, v193, v113 :: v_dual_fmac_f32 v29, v183, v102
	s_delay_alu instid0(VALU_DEP_3) | instskip(SKIP_2) | instid1(VALU_DEP_2)
	v_dual_fma_f32 v15, v182, v102, -v15 :: v_dual_add_f32 v7, v7, v27
	v_dual_add_f32 v9, v9, v13 :: v_dual_mul_f32 v13, v195, v115
	v_dual_fmac_f32 v31, v185, v104 :: v_dual_fma_f32 v17, v184, v104, -v17
	v_dual_add_f32 v7, v7, v29 :: v_dual_add_f32 v9, v9, v15
	v_dual_mul_f32 v35, v188, v109 :: v_dual_mul_f32 v37, v190, v111
	s_wait_loadcnt_dscnt 0x600
	v_dual_mul_f32 v15, v197, v117 :: v_dual_fmac_f32 v33, v187, v106
	s_delay_alu instid0(VALU_DEP_3) | instskip(SKIP_2) | instid1(VALU_DEP_2)
	v_dual_fma_f32 v19, v186, v106, -v19 :: v_dual_add_f32 v7, v7, v31
	v_dual_add_f32 v9, v9, v17 :: v_dual_mul_f32 v17, v199, v119
	v_dual_fmac_f32 v35, v189, v108 :: v_dual_fma_f32 v21, v188, v108, -v21
	v_dual_add_f32 v7, v7, v33 :: v_dual_add_f32 v9, v9, v19
	v_dual_mul_f32 v39, v192, v113 :: v_dual_mul_f32 v41, v194, v115
	s_wait_loadcnt 0x5
	v_dual_mul_f32 v19, v165, v121 :: v_dual_fmac_f32 v37, v191, v110
	s_delay_alu instid0(VALU_DEP_3) | instskip(SKIP_2) | instid1(VALU_DEP_3)
	v_dual_fma_f32 v23, v190, v110, -v23 :: v_dual_add_f32 v7, v7, v35
	v_dual_add_f32 v9, v9, v21 :: v_dual_mul_f32 v21, v167, v123
	v_fmac_f32_e32 v39, v193, v112
	v_dual_fma_f32 v11, v192, v112, -v11 :: v_dual_add_f32 v7, v7, v37
	s_delay_alu instid0(VALU_DEP_3) | instskip(SKIP_1) | instid1(VALU_DEP_3)
	v_dual_add_f32 v9, v9, v23 :: v_dual_mul_f32 v43, v196, v117
	v_dual_mul_f32 v45, v198, v119 :: v_dual_fmac_f32 v41, v195, v114
	v_dual_fma_f32 v13, v194, v114, -v13 :: v_dual_add_f32 v7, v7, v39
	s_wait_loadcnt 0x4
	s_delay_alu instid0(VALU_DEP_3) | instskip(SKIP_1) | instid1(VALU_DEP_3)
	v_dual_add_f32 v9, v9, v11 :: v_dual_mov_b32 v82, v127
	v_fmac_f32_e32 v43, v197, v116
	v_dual_fma_f32 v11, v196, v116, -v15 :: v_dual_add_f32 v7, v7, v41
	s_delay_alu instid0(VALU_DEP_3) | instskip(SKIP_1) | instid1(VALU_DEP_3)
	v_dual_add_f32 v9, v9, v13 :: v_dual_fmac_f32 v45, v199, v118
	v_dual_mul_f32 v211, v164, v121 :: v_dual_mul_f32 v213, v166, v123
	v_dual_fma_f32 v13, v198, v118, -v17 :: v_dual_add_f32 v7, v7, v43
	s_wait_loadcnt 0x3
	s_delay_alu instid0(VALU_DEP_3) | instskip(SKIP_1) | instid1(VALU_DEP_3)
	v_dual_add_f32 v9, v9, v11 :: v_dual_mov_b32 v86, v131
	v_pk_mul_f32 v[80:81], v[140:141], v[124:125] op_sel:[1,1] op_sel_hi:[0,1]
	v_dual_fmac_f32 v211, v165, v120 :: v_dual_add_f32 v89, v7, v45
	s_delay_alu instid0(VALU_DEP_3) | instskip(SKIP_1) | instid1(VALU_DEP_4)
	v_dual_fma_f32 v210, v164, v120, -v19 :: v_dual_add_f32 v88, v9, v13
	v_fmac_f32_e32 v213, v167, v122
	v_pk_fma_f32 v[90:91], v[140:141], v[124:125], v[80:81] op_sel_hi:[1,0,1]
	v_fma_f32 v212, v166, v122, -v21
	v_pk_mul_f32 v[82:83], v[202:203], v[82:83] op_sel_hi:[1,0]
	v_pk_add_f32 v[88:89], v[88:89], v[210:211]
	v_pk_fma_f32 v[80:81], v[140:141], v[124:125], v[80:81] neg_lo:[0,0,1] neg_hi:[0,0,1]
	v_pk_mul_f32 v[84:85], v[144:145], v[128:129] op_sel:[1,1] op_sel_hi:[0,1]
	v_mov_b32_e32 v81, v91
	v_pk_fma_f32 v[90:91], v[142:143], v[126:127], v[82:83] op_sel_hi:[1,0,1]
	v_pk_add_f32 v[88:89], v[88:89], v[212:213]
	v_pk_fma_f32 v[82:83], v[142:143], v[126:127], v[82:83] neg_lo:[0,0,1] neg_hi:[0,0,1]
	v_pk_fma_f32 v[94:95], v[144:145], v[128:129], v[84:85] op_sel_hi:[1,0,1]
	v_pk_mul_f32 v[86:87], v[204:205], v[86:87] op_sel_hi:[1,0]
	v_mov_b32_e32 v83, v91
	v_pk_add_f32 v[80:81], v[88:89], v[80:81]
	s_wait_loadcnt 0x2
	v_pk_mul_f32 v[92:93], v[148:149], v[132:133] op_sel:[1,1] op_sel_hi:[0,1]
	v_mov_b32_e32 v88, v135
	v_pk_fma_f32 v[84:85], v[144:145], v[128:129], v[84:85] neg_lo:[0,0,1] neg_hi:[0,0,1]
	v_pk_fma_f32 v[90:91], v[146:147], v[130:131], v[86:87] op_sel_hi:[1,0,1]
	v_mov_b32_e32 v85, v95
	v_pk_add_f32 v[80:81], v[80:81], v[82:83]
	v_pk_fma_f32 v[82:83], v[148:149], v[132:133], v[92:93] op_sel_hi:[1,0,1]
	v_pk_mul_f32 v[88:89], v[206:207], v[88:89] op_sel_hi:[1,0]
	v_pk_fma_f32 v[86:87], v[146:147], v[130:131], v[86:87] neg_lo:[0,0,1] neg_hi:[0,0,1]
	v_mov_b32_e32 v87, v91
	v_pk_add_f32 v[80:81], v[80:81], v[84:85]
	v_pk_fma_f32 v[90:91], v[148:149], v[132:133], v[92:93] neg_lo:[0,0,1] neg_hi:[0,0,1]
	v_mov_b32_e32 v91, v83
	v_pk_fma_f32 v[82:83], v[150:151], v[134:135], v[88:89] op_sel_hi:[1,0,1]
	s_wait_loadcnt 0x1
	v_pk_mul_f32 v[84:85], v[152:153], v[136:137] op_sel:[1,1] op_sel_hi:[0,1]
	v_pk_add_f32 v[80:81], v[80:81], v[86:87]
	v_mov_b32_e32 v82, v139
	v_pk_fma_f32 v[88:89], v[150:151], v[134:135], v[88:89] neg_lo:[0,0,1] neg_hi:[0,0,1]
	s_delay_alu instid0(VALU_DEP_4)
	v_pk_fma_f32 v[86:87], v[152:153], v[136:137], v[84:85] op_sel_hi:[1,0,1]
	v_mov_b32_e32 v89, v83
	v_pk_add_f32 v[80:81], v[80:81], v[90:91]
	v_pk_mul_f32 v[82:83], v[208:209], v[82:83] op_sel_hi:[1,0]
	v_pk_fma_f32 v[84:85], v[152:153], v[136:137], v[84:85] neg_lo:[0,0,1] neg_hi:[0,0,1]
	v_mov_b32_e32 v85, v87
	s_delay_alu instid0(VALU_DEP_4) | instskip(NEXT) | instid1(VALU_DEP_4)
	v_pk_add_f32 v[80:81], v[80:81], v[88:89]
	v_pk_fma_f32 v[86:87], v[154:155], v[138:139], v[82:83] op_sel_hi:[1,0,1]
	v_pk_fma_f32 v[82:83], v[154:155], v[138:139], v[82:83] neg_lo:[0,0,1] neg_hi:[0,0,1]
	s_delay_alu instid0(VALU_DEP_3) | instskip(NEXT) | instid1(VALU_DEP_3)
	v_pk_add_f32 v[80:81], v[80:81], v[84:85]
	v_mov_b32_e32 v83, v87
	s_delay_alu instid0(VALU_DEP_1) | instskip(SKIP_1) | instid1(VALU_DEP_1)
	v_pk_add_f32 v[80:81], v[80:81], v[82:83]
	s_wait_loadcnt 0x0
	v_pk_add_f32 v[80:81], v[200:201], v[80:81] neg_lo:[0,1] neg_hi:[0,1]
	scratch_store_b64 off, v[80:81], off offset:64
	s_wait_xcnt 0x0
	v_cmpx_lt_u32_e32 7, v0
	s_cbranch_execz .LBB102_233
; %bb.232:
	scratch_load_b64 v[80:81], off, off offset:56
	v_mov_b64_e32 v[82:83], 0
	scratch_store_b64 off, v[82:83], off offset:56
	s_wait_loadcnt 0x0
	ds_store_b64 v1, v[80:81]
.LBB102_233:
	s_wait_xcnt 0x0
	s_or_b32 exec_lo, exec_lo, s0
	s_wait_storecnt_dscnt 0x0
	s_barrier_signal -1
	s_barrier_wait -1
	s_clause 0x10
	scratch_load_b128 v[80:83], off, off offset:64
	scratch_load_b128 v[84:87], off, off offset:80
	;; [unrolled: 1-line block ×15, first 2 shown]
	scratch_load_b64 v[200:201], off, off offset:304
	scratch_load_b64 v[202:203], off, off offset:56
	v_mov_b32_e32 v7, 0
	ds_load_b128 v[140:143], v7 offset:560
	ds_load_b128 v[144:147], v7 offset:576
	;; [unrolled: 1-line block ×15, first 2 shown]
	ds_load_b64 v[204:205], v7 offset:624
	s_mov_b32 s0, exec_lo
	s_wait_dscnt 0xf
	v_dual_mov_b32 v206, v143 :: v_dual_mov_b32 v207, v142
	s_wait_dscnt 0xc
	v_dual_mov_b32 v208, v147 :: v_dual_mov_b32 v213, v154
	v_dual_mov_b32 v209, v146 :: v_dual_mov_b32 v210, v151
	;; [unrolled: 1-line block ×3, first 2 shown]
	s_wait_loadcnt_dscnt 0x100b
	v_dual_mul_f32 v9, v156, v81 :: v_dual_mul_f32 v51, v157, v81
	v_dual_mul_f32 v53, v159, v83 :: v_dual_mul_f32 v11, v158, v83
	s_wait_loadcnt_dscnt 0xf09
	v_mul_f32_e32 v13, v164, v85
	s_wait_loadcnt_dscnt 0xd07
	v_dual_mul_f32 v63, v173, v93 :: v_dual_fma_f32 v51, v156, v80, -v51
	v_dual_fmac_f32 v9, v157, v80 :: v_dual_mul_f32 v65, v175, v95
	v_dual_mul_f32 v55, v165, v85 :: v_dual_mul_f32 v57, v167, v87
	v_dual_fmac_f32 v11, v159, v82 :: v_dual_fma_f32 v53, v158, v82, -v53
	s_delay_alu instid0(VALU_DEP_3) | instskip(SKIP_4) | instid1(VALU_DEP_3)
	v_dual_add_f32 v9, 0, v9 :: v_dual_add_f32 v51, 0, v51
	v_dual_mul_f32 v15, v166, v87 :: v_dual_mul_f32 v17, v168, v89
	s_wait_loadcnt_dscnt 0xc06
	v_dual_mul_f32 v67, v177, v97 :: v_dual_fma_f32 v55, v164, v84, -v55
	v_fmac_f32_e32 v13, v165, v84
	v_dual_add_f32 v9, v9, v11 :: v_dual_fmac_f32 v15, v167, v86
	v_add_f32_e32 v11, v51, v53
	v_dual_mul_f32 v59, v169, v89 :: v_dual_mul_f32 v61, v171, v91
	v_dual_mul_f32 v51, v179, v99 :: v_dual_fma_f32 v53, v166, v86, -v57
	s_delay_alu instid0(VALU_DEP_3) | instskip(SKIP_3) | instid1(VALU_DEP_3)
	v_dual_add_f32 v9, v9, v13 :: v_dual_add_f32 v11, v11, v55
	v_dual_mul_f32 v19, v170, v91 :: v_dual_mul_f32 v21, v172, v93
	s_wait_loadcnt_dscnt 0xb05
	v_dual_mul_f32 v13, v181, v101 :: v_dual_fma_f32 v55, v168, v88, -v59
	v_dual_fmac_f32 v17, v169, v88 :: v_dual_add_f32 v11, v11, v53
	s_delay_alu instid0(VALU_DEP_3) | instskip(SKIP_1) | instid1(VALU_DEP_2)
	v_dual_add_f32 v9, v9, v15 :: v_dual_fmac_f32 v19, v171, v90
	v_dual_mul_f32 v15, v183, v103 :: v_dual_fma_f32 v53, v170, v90, -v61
	v_dual_add_f32 v11, v11, v55 :: v_dual_add_f32 v9, v9, v17
	v_dual_mul_f32 v23, v174, v95 :: v_dual_mul_f32 v25, v176, v97
	s_wait_loadcnt_dscnt 0xa04
	v_dual_mul_f32 v17, v185, v105 :: v_dual_fma_f32 v55, v172, v92, -v63
	s_delay_alu instid0(VALU_DEP_3) | instskip(NEXT) | instid1(VALU_DEP_3)
	v_dual_fmac_f32 v21, v173, v92 :: v_dual_add_f32 v11, v11, v53
	v_dual_add_f32 v9, v9, v19 :: v_dual_fmac_f32 v23, v175, v94
	v_dual_mul_f32 v19, v187, v107 :: v_dual_fma_f32 v53, v174, v94, -v65
	s_delay_alu instid0(VALU_DEP_2) | instskip(SKIP_3) | instid1(VALU_DEP_3)
	v_dual_add_f32 v11, v11, v55 :: v_dual_add_f32 v9, v9, v21
	v_dual_mul_f32 v27, v178, v99 :: v_dual_mul_f32 v29, v180, v101
	s_wait_loadcnt_dscnt 0x903
	v_dual_mul_f32 v21, v189, v109 :: v_dual_fma_f32 v55, v176, v96, -v67
	v_dual_fmac_f32 v25, v177, v96 :: v_dual_add_f32 v11, v11, v53
	s_delay_alu instid0(VALU_DEP_3) | instskip(SKIP_1) | instid1(VALU_DEP_2)
	v_dual_add_f32 v9, v9, v23 :: v_dual_fmac_f32 v27, v179, v98
	v_dual_mul_f32 v23, v191, v111 :: v_dual_fma_f32 v51, v178, v98, -v51
	v_dual_add_f32 v11, v11, v55 :: v_dual_add_f32 v9, v9, v25
	v_dual_mul_f32 v31, v182, v103 :: v_dual_mul_f32 v33, v184, v105
	s_wait_loadcnt_dscnt 0x802
	v_dual_mul_f32 v25, v193, v113 :: v_dual_fma_f32 v13, v180, v100, -v13
	s_delay_alu instid0(VALU_DEP_3) | instskip(NEXT) | instid1(VALU_DEP_3)
	v_dual_fmac_f32 v29, v181, v100 :: v_dual_add_f32 v11, v11, v51
	v_dual_add_f32 v9, v9, v27 :: v_dual_fmac_f32 v31, v183, v102
	v_dual_mul_f32 v27, v195, v115 :: v_dual_fma_f32 v15, v182, v102, -v15
	s_delay_alu instid0(VALU_DEP_3) | instskip(NEXT) | instid1(VALU_DEP_3)
	v_dual_add_f32 v11, v11, v13 :: v_dual_fmac_f32 v33, v185, v104
	v_dual_add_f32 v9, v9, v29 :: v_dual_fma_f32 v17, v184, v104, -v17
	v_dual_mul_f32 v35, v186, v107 :: v_dual_mul_f32 v37, v188, v109
	s_wait_loadcnt_dscnt 0x701
	s_delay_alu instid0(VALU_DEP_3) | instskip(NEXT) | instid1(VALU_DEP_2)
	v_dual_mul_f32 v13, v197, v117 :: v_dual_add_f32 v11, v11, v15
	v_dual_add_f32 v9, v9, v31 :: v_dual_fmac_f32 v35, v187, v106
	v_dual_mul_f32 v15, v199, v119 :: v_dual_fma_f32 v19, v186, v106, -v19
	s_delay_alu instid0(VALU_DEP_3) | instskip(NEXT) | instid1(VALU_DEP_3)
	v_dual_add_f32 v11, v11, v17 :: v_dual_fmac_f32 v37, v189, v108
	v_dual_add_f32 v9, v9, v33 :: v_dual_fma_f32 v21, v188, v108, -v21
	v_dual_mul_f32 v39, v190, v111 :: v_dual_mul_f32 v41, v192, v113
	s_wait_loadcnt 0x6
	s_delay_alu instid0(VALU_DEP_3) | instskip(NEXT) | instid1(VALU_DEP_2)
	v_dual_mul_f32 v17, v161, v121 :: v_dual_add_f32 v11, v11, v19
	v_dual_add_f32 v9, v9, v35 :: v_dual_fmac_f32 v39, v191, v110
	v_dual_mul_f32 v19, v163, v123 :: v_dual_fma_f32 v23, v190, v110, -v23
	s_delay_alu instid0(VALU_DEP_3) | instskip(NEXT) | instid1(VALU_DEP_3)
	v_dual_add_f32 v11, v11, v21 :: v_dual_fmac_f32 v41, v193, v112
	v_dual_add_f32 v9, v9, v37 :: v_dual_fma_f32 v25, v192, v112, -v25
	v_dual_mul_f32 v43, v194, v115 :: v_dual_mul_f32 v45, v196, v117
	s_wait_loadcnt 0x5
	s_delay_alu instid0(VALU_DEP_3) | instskip(NEXT) | instid1(VALU_DEP_3)
	v_dual_mul_f32 v21, v141, v125 :: v_dual_add_f32 v11, v11, v23
	v_dual_add_f32 v9, v9, v39 :: v_dual_mov_b32 v80, v127
	s_delay_alu instid0(VALU_DEP_3) | instskip(NEXT) | instid1(VALU_DEP_3)
	v_fmac_f32_e32 v43, v195, v114
	v_dual_fma_f32 v23, v194, v114, -v27 :: v_dual_add_f32 v11, v11, v25
	s_delay_alu instid0(VALU_DEP_3) | instskip(SKIP_1) | instid1(VALU_DEP_3)
	v_dual_add_f32 v9, v9, v41 :: v_dual_mul_f32 v47, v198, v119
	v_dual_mul_f32 v49, v160, v121 :: v_dual_fmac_f32 v45, v197, v116
	v_dual_add_f32 v11, v11, v23 :: v_dual_fma_f32 v13, v196, v116, -v13
	s_wait_loadcnt 0x4
	s_delay_alu instid0(VALU_DEP_3) | instskip(SKIP_3) | instid1(VALU_DEP_4)
	v_dual_add_f32 v9, v9, v43 :: v_dual_mov_b32 v84, v131
	v_fma_f32 v15, v198, v118, -v15
	v_fmac_f32_e32 v47, v199, v118
	v_dual_add_f32 v11, v11, v13 :: v_dual_fmac_f32 v49, v161, v120
	v_dual_add_f32 v9, v9, v45 :: v_dual_mul_f32 v215, v162, v123
	v_mul_f32_e32 v217, v140, v125
	s_delay_alu instid0(VALU_DEP_3) | instskip(NEXT) | instid1(VALU_DEP_3)
	v_dual_fma_f32 v13, v160, v120, -v17 :: v_dual_add_f32 v11, v11, v15
	v_dual_fma_f32 v214, v162, v122, -v19 :: v_dual_add_f32 v9, v9, v47
	s_delay_alu instid0(VALU_DEP_4) | instskip(SKIP_1) | instid1(VALU_DEP_4)
	v_fmac_f32_e32 v215, v163, v122
	v_pk_mul_f32 v[80:81], v[206:207], v[80:81] op_sel_hi:[1,0]
	v_dual_add_f32 v88, v11, v13 :: v_dual_fmac_f32 v217, v141, v124
	s_delay_alu instid0(VALU_DEP_4)
	v_add_f32_e32 v89, v9, v49
	v_pk_mul_f32 v[82:83], v[144:145], v[128:129] op_sel:[1,1] op_sel_hi:[0,1]
	s_wait_loadcnt 0x3
	v_dual_mov_b32 v90, v135 :: v_dual_fma_f32 v216, v140, v124, -v21
	v_pk_fma_f32 v[92:93], v[142:143], v[126:127], v[80:81] op_sel_hi:[1,0,1]
	v_pk_add_f32 v[88:89], v[88:89], v[214:215]
	v_pk_fma_f32 v[80:81], v[142:143], v[126:127], v[80:81] neg_lo:[0,0,1] neg_hi:[0,0,1]
	v_pk_fma_f32 v[94:95], v[144:145], v[128:129], v[82:83] op_sel_hi:[1,0,1]
	v_pk_mul_f32 v[84:85], v[208:209], v[84:85] op_sel_hi:[1,0]
	v_mov_b32_e32 v81, v93
	v_pk_add_f32 v[88:89], v[88:89], v[216:217]
	v_pk_fma_f32 v[82:83], v[144:145], v[128:129], v[82:83] neg_lo:[0,0,1] neg_hi:[0,0,1]
	v_pk_mul_f32 v[86:87], v[148:149], v[132:133] op_sel:[1,1] op_sel_hi:[0,1]
	v_mov_b32_e32 v83, v95
	v_pk_fma_f32 v[94:95], v[146:147], v[130:131], v[84:85] op_sel_hi:[1,0,1]
	v_pk_add_f32 v[80:81], v[88:89], v[80:81]
	v_pk_fma_f32 v[84:85], v[146:147], v[130:131], v[84:85] neg_lo:[0,0,1] neg_hi:[0,0,1]
	v_pk_fma_f32 v[88:89], v[148:149], v[132:133], v[86:87] op_sel_hi:[1,0,1]
	v_pk_mul_f32 v[90:91], v[210:211], v[90:91] op_sel_hi:[1,0]
	v_mov_b32_e32 v85, v95
	v_pk_add_f32 v[80:81], v[80:81], v[82:83]
	v_pk_fma_f32 v[86:87], v[148:149], v[132:133], v[86:87] neg_lo:[0,0,1] neg_hi:[0,0,1]
	s_wait_loadcnt 0x2
	v_pk_mul_f32 v[92:93], v[152:153], v[136:137] op_sel:[1,1] op_sel_hi:[0,1]
	v_dual_mov_b32 v82, v139 :: v_dual_mov_b32 v87, v89
	v_pk_fma_f32 v[88:89], v[150:151], v[134:135], v[90:91] op_sel_hi:[1,0,1]
	v_pk_add_f32 v[80:81], v[80:81], v[84:85]
	v_pk_fma_f32 v[90:91], v[150:151], v[134:135], v[90:91] neg_lo:[0,0,1] neg_hi:[0,0,1]
	v_pk_fma_f32 v[84:85], v[152:153], v[136:137], v[92:93] op_sel_hi:[1,0,1]
	v_pk_mul_f32 v[82:83], v[212:213], v[82:83] op_sel_hi:[1,0]
	v_mov_b32_e32 v91, v89
	v_pk_add_f32 v[80:81], v[80:81], v[86:87]
	v_pk_fma_f32 v[86:87], v[152:153], v[136:137], v[92:93] neg_lo:[0,0,1] neg_hi:[0,0,1]
	v_mov_b32_e32 v87, v85
	v_pk_fma_f32 v[84:85], v[154:155], v[138:139], v[82:83] op_sel_hi:[1,0,1]
	s_wait_loadcnt_dscnt 0x100
	v_pk_mul_f32 v[88:89], v[204:205], v[200:201] op_sel:[1,1] op_sel_hi:[0,1]
	v_pk_add_f32 v[80:81], v[80:81], v[90:91]
	v_pk_fma_f32 v[82:83], v[154:155], v[138:139], v[82:83] neg_lo:[0,0,1] neg_hi:[0,0,1]
	v_mov_b32_e32 v83, v85
	s_delay_alu instid0(VALU_DEP_4) | instskip(NEXT) | instid1(VALU_DEP_4)
	v_pk_fma_f32 v[84:85], v[204:205], v[200:201], v[88:89] op_sel_hi:[1,0,1]
	v_pk_add_f32 v[80:81], v[80:81], v[86:87]
	v_pk_fma_f32 v[86:87], v[204:205], v[200:201], v[88:89] neg_lo:[0,0,1] neg_hi:[0,0,1]
	s_delay_alu instid0(VALU_DEP_3) | instskip(NEXT) | instid1(VALU_DEP_3)
	v_mov_b32_e32 v87, v85
	v_pk_add_f32 v[80:81], v[80:81], v[82:83]
	s_delay_alu instid0(VALU_DEP_1) | instskip(SKIP_1) | instid1(VALU_DEP_1)
	v_pk_add_f32 v[80:81], v[80:81], v[86:87]
	s_wait_loadcnt 0x0
	v_pk_add_f32 v[80:81], v[202:203], v[80:81] neg_lo:[0,1] neg_hi:[0,1]
	scratch_store_b64 off, v[80:81], off offset:56
	s_wait_xcnt 0x0
	v_cmpx_lt_u32_e32 6, v0
	s_cbranch_execz .LBB102_235
; %bb.234:
	scratch_load_b64 v[80:81], off, off offset:48
	v_mov_b64_e32 v[82:83], 0
	scratch_store_b64 off, v[82:83], off offset:48
	s_wait_loadcnt 0x0
	ds_store_b64 v1, v[80:81]
.LBB102_235:
	s_wait_xcnt 0x0
	s_or_b32 exec_lo, exec_lo, s0
	s_wait_storecnt_dscnt 0x0
	s_barrier_signal -1
	s_barrier_wait -1
	s_clause 0x10
	scratch_load_b128 v[80:83], off, off offset:56
	scratch_load_b128 v[84:87], off, off offset:72
	;; [unrolled: 1-line block ×16, first 2 shown]
	scratch_load_b64 v[208:209], off, off offset:48
	ds_load_2addr_b64 v[144:147], v7 offset0:71 offset1:72
	ds_load_2addr_b64 v[148:151], v7 offset0:73 offset1:74
	;; [unrolled: 1-line block ×16, first 2 shown]
	s_mov_b32 s0, exec_lo
	s_wait_dscnt 0xf
	v_dual_mov_b32 v210, v147 :: v_dual_mov_b32 v211, v146
	s_wait_dscnt 0xe
	v_dual_mov_b32 v212, v151 :: v_dual_mov_b32 v213, v150
	;; [unrolled: 2-line block ×4, first 2 shown]
	s_wait_loadcnt_dscnt 0x100b
	v_dual_mul_f32 v7, v160, v81 :: v_dual_mul_f32 v9, v162, v83
	v_dual_mul_f32 v51, v161, v81 :: v_dual_mul_f32 v53, v163, v83
	s_wait_loadcnt_dscnt 0xf0a
	v_dual_mul_f32 v11, v164, v85 :: v_dual_mul_f32 v13, v166, v87
	s_delay_alu instid0(VALU_DEP_3) | instskip(SKIP_3) | instid1(VALU_DEP_3)
	v_dual_fmac_f32 v7, v161, v80 :: v_dual_fmac_f32 v9, v163, v82
	s_wait_loadcnt_dscnt 0xd08
	v_dual_fma_f32 v51, v160, v80, -v51 :: v_dual_mul_f32 v63, v173, v93
	v_dual_mul_f32 v55, v165, v85 :: v_dual_mul_f32 v57, v167, v87
	v_dual_fma_f32 v53, v162, v82, -v53 :: v_dual_add_f32 v7, 0, v7
	s_delay_alu instid0(VALU_DEP_3) | instskip(SKIP_1) | instid1(VALU_DEP_4)
	v_dual_add_f32 v51, 0, v51 :: v_dual_fmac_f32 v11, v165, v84
	v_dual_mul_f32 v15, v168, v89 :: v_dual_mul_f32 v17, v170, v91
	v_dual_mul_f32 v65, v175, v95 :: v_dual_fma_f32 v55, v164, v84, -v55
	s_delay_alu instid0(VALU_DEP_4) | instskip(NEXT) | instid1(VALU_DEP_3)
	v_add_f32_e32 v7, v7, v9
	v_dual_add_f32 v9, v51, v53 :: v_dual_fmac_f32 v15, v169, v88
	v_dual_mul_f32 v59, v169, v89 :: v_dual_mul_f32 v61, v171, v91
	s_wait_loadcnt_dscnt 0xc07
	v_dual_mul_f32 v51, v177, v97 :: v_dual_fmac_f32 v13, v167, v86
	v_dual_fma_f32 v53, v166, v86, -v57 :: v_dual_add_f32 v7, v7, v11
	s_delay_alu instid0(VALU_DEP_3) | instskip(SKIP_1) | instid1(VALU_DEP_3)
	v_dual_add_f32 v9, v9, v55 :: v_dual_fma_f32 v55, v168, v88, -v59
	v_dual_mul_f32 v19, v172, v93 :: v_dual_mul_f32 v21, v174, v95
	v_add_f32_e32 v7, v7, v13
	s_delay_alu instid0(VALU_DEP_3) | instskip(SKIP_2) | instid1(VALU_DEP_3)
	v_dual_mul_f32 v11, v179, v99 :: v_dual_add_f32 v9, v9, v53
	s_wait_loadcnt_dscnt 0xb06
	v_dual_mul_f32 v13, v181, v101 :: v_dual_fmac_f32 v17, v171, v90
	v_dual_fma_f32 v53, v170, v90, -v61 :: v_dual_add_f32 v7, v7, v15
	s_delay_alu instid0(VALU_DEP_3) | instskip(SKIP_1) | instid1(VALU_DEP_3)
	v_dual_add_f32 v9, v9, v55 :: v_dual_fma_f32 v55, v172, v92, -v63
	v_dual_mul_f32 v15, v183, v103 :: v_dual_fmac_f32 v19, v173, v92
	v_add_f32_e32 v7, v7, v17
	s_delay_alu instid0(VALU_DEP_3)
	v_dual_add_f32 v9, v9, v53 :: v_dual_fmac_f32 v21, v175, v94
	v_dual_mul_f32 v23, v176, v97 :: v_dual_mul_f32 v25, v178, v99
	s_wait_loadcnt_dscnt 0xa05
	v_dual_fma_f32 v53, v174, v94, -v65 :: v_dual_mul_f32 v17, v185, v105
	v_add_f32_e32 v7, v7, v19
	v_dual_add_f32 v9, v9, v55 :: v_dual_fma_f32 v51, v176, v96, -v51
	v_dual_mul_f32 v19, v187, v107 :: v_dual_fmac_f32 v23, v177, v96
	s_delay_alu instid0(VALU_DEP_3) | instskip(NEXT) | instid1(VALU_DEP_3)
	v_dual_add_f32 v7, v7, v21 :: v_dual_fma_f32 v11, v178, v98, -v11
	v_dual_add_f32 v9, v9, v53 :: v_dual_fmac_f32 v25, v179, v98
	v_dual_mul_f32 v27, v180, v101 :: v_dual_mul_f32 v29, v182, v103
	s_wait_loadcnt_dscnt 0x904
	s_delay_alu instid0(VALU_DEP_3) | instskip(NEXT) | instid1(VALU_DEP_3)
	v_dual_mul_f32 v21, v189, v109 :: v_dual_add_f32 v7, v7, v23
	v_dual_add_f32 v9, v9, v51 :: v_dual_fma_f32 v13, v180, v100, -v13
	s_delay_alu instid0(VALU_DEP_3) | instskip(NEXT) | instid1(VALU_DEP_2)
	v_dual_mul_f32 v23, v191, v111 :: v_dual_fmac_f32 v27, v181, v100
	v_dual_add_f32 v7, v7, v25 :: v_dual_add_f32 v9, v9, v11
	v_dual_mul_f32 v31, v184, v105 :: v_dual_mul_f32 v33, v186, v107
	s_wait_loadcnt_dscnt 0x803
	v_dual_mul_f32 v11, v193, v113 :: v_dual_fmac_f32 v29, v183, v102
	s_delay_alu instid0(VALU_DEP_3) | instskip(SKIP_2) | instid1(VALU_DEP_2)
	v_dual_fma_f32 v15, v182, v102, -v15 :: v_dual_add_f32 v7, v7, v27
	v_dual_add_f32 v9, v9, v13 :: v_dual_mul_f32 v13, v195, v115
	v_dual_fmac_f32 v31, v185, v104 :: v_dual_fma_f32 v17, v184, v104, -v17
	v_dual_add_f32 v7, v7, v29 :: v_dual_add_f32 v9, v9, v15
	v_dual_mul_f32 v35, v188, v109 :: v_dual_mul_f32 v37, v190, v111
	s_wait_loadcnt_dscnt 0x702
	v_dual_mul_f32 v15, v197, v117 :: v_dual_fmac_f32 v33, v187, v106
	s_delay_alu instid0(VALU_DEP_3) | instskip(SKIP_2) | instid1(VALU_DEP_2)
	v_dual_fma_f32 v19, v186, v106, -v19 :: v_dual_add_f32 v7, v7, v31
	v_dual_add_f32 v9, v9, v17 :: v_dual_mul_f32 v17, v199, v119
	v_dual_fmac_f32 v35, v189, v108 :: v_dual_fma_f32 v21, v188, v108, -v21
	v_dual_add_f32 v7, v7, v33 :: v_dual_add_f32 v9, v9, v19
	v_dual_mul_f32 v39, v192, v113 :: v_dual_mul_f32 v41, v194, v115
	s_wait_loadcnt_dscnt 0x601
	v_dual_mul_f32 v19, v201, v121 :: v_dual_fmac_f32 v37, v191, v110
	s_delay_alu instid0(VALU_DEP_3) | instskip(SKIP_2) | instid1(VALU_DEP_3)
	v_dual_fma_f32 v23, v190, v110, -v23 :: v_dual_add_f32 v7, v7, v35
	v_dual_add_f32 v9, v9, v21 :: v_dual_mul_f32 v21, v203, v123
	v_fmac_f32_e32 v39, v193, v112
	v_dual_fma_f32 v11, v192, v112, -v11 :: v_dual_add_f32 v7, v7, v37
	s_delay_alu instid0(VALU_DEP_3)
	v_dual_add_f32 v9, v9, v23 :: v_dual_mul_f32 v43, v196, v117
	s_wait_loadcnt_dscnt 0x500
	v_dual_mul_f32 v45, v198, v119 :: v_dual_mul_f32 v23, v205, v125
	v_fmac_f32_e32 v41, v195, v114
	v_dual_fma_f32 v13, v194, v114, -v13 :: v_dual_add_f32 v7, v7, v39
	v_dual_add_f32 v9, v9, v11 :: v_dual_fma_f32 v15, v196, v116, -v15
	v_dual_mul_f32 v11, v207, v127 :: v_dual_fmac_f32 v43, v197, v116
	s_delay_alu instid0(VALU_DEP_3) | instskip(NEXT) | instid1(VALU_DEP_3)
	v_add_f32_e32 v7, v7, v41
	v_dual_add_f32 v9, v9, v13 :: v_dual_fmac_f32 v45, v199, v118
	v_dual_mul_f32 v47, v200, v121 :: v_dual_mul_f32 v49, v202, v123
	s_delay_alu instid0(VALU_DEP_3) | instskip(SKIP_1) | instid1(VALU_DEP_3)
	v_dual_fma_f32 v13, v198, v118, -v17 :: v_dual_add_f32 v7, v7, v43
	s_wait_loadcnt 0x4
	v_dual_add_f32 v9, v9, v15 :: v_dual_mov_b32 v82, v131
	s_delay_alu instid0(VALU_DEP_3) | instskip(NEXT) | instid1(VALU_DEP_3)
	v_fmac_f32_e32 v47, v201, v120
	v_dual_fma_f32 v15, v200, v120, -v19 :: v_dual_add_f32 v7, v7, v45
	s_delay_alu instid0(VALU_DEP_3) | instskip(SKIP_1) | instid1(VALU_DEP_3)
	v_dual_add_f32 v9, v9, v13 :: v_dual_fmac_f32 v49, v203, v122
	v_dual_mul_f32 v219, v204, v125 :: v_dual_mul_f32 v221, v206, v127
	v_dual_fma_f32 v13, v202, v122, -v21 :: v_dual_add_f32 v7, v7, v47
	s_wait_loadcnt 0x3
	s_delay_alu instid0(VALU_DEP_3) | instskip(SKIP_1) | instid1(VALU_DEP_3)
	v_dual_add_f32 v9, v9, v15 :: v_dual_mov_b32 v86, v135
	v_pk_mul_f32 v[80:81], v[144:145], v[128:129] op_sel:[1,1] op_sel_hi:[0,1]
	v_dual_fmac_f32 v219, v205, v124 :: v_dual_add_f32 v89, v7, v49
	s_delay_alu instid0(VALU_DEP_3) | instskip(SKIP_1) | instid1(VALU_DEP_4)
	v_dual_fma_f32 v218, v204, v124, -v23 :: v_dual_add_f32 v88, v9, v13
	v_dual_fmac_f32 v221, v207, v126 :: v_dual_fma_f32 v220, v206, v126, -v11
	v_pk_fma_f32 v[90:91], v[144:145], v[128:129], v[80:81] op_sel_hi:[1,0,1]
	v_pk_mul_f32 v[82:83], v[210:211], v[82:83] op_sel_hi:[1,0]
	s_delay_alu instid0(VALU_DEP_4)
	v_pk_add_f32 v[88:89], v[88:89], v[218:219]
	v_pk_fma_f32 v[80:81], v[144:145], v[128:129], v[80:81] neg_lo:[0,0,1] neg_hi:[0,0,1]
	v_pk_mul_f32 v[84:85], v[148:149], v[132:133] op_sel:[1,1] op_sel_hi:[0,1]
	v_mov_b32_e32 v81, v91
	v_pk_fma_f32 v[90:91], v[146:147], v[130:131], v[82:83] op_sel_hi:[1,0,1]
	v_pk_add_f32 v[88:89], v[88:89], v[220:221]
	v_pk_fma_f32 v[82:83], v[146:147], v[130:131], v[82:83] neg_lo:[0,0,1] neg_hi:[0,0,1]
	v_pk_fma_f32 v[94:95], v[148:149], v[132:133], v[84:85] op_sel_hi:[1,0,1]
	v_pk_mul_f32 v[86:87], v[212:213], v[86:87] op_sel_hi:[1,0]
	v_mov_b32_e32 v83, v91
	v_pk_add_f32 v[80:81], v[88:89], v[80:81]
	s_wait_loadcnt 0x2
	v_pk_mul_f32 v[92:93], v[152:153], v[136:137] op_sel:[1,1] op_sel_hi:[0,1]
	v_mov_b32_e32 v88, v139
	v_pk_fma_f32 v[84:85], v[148:149], v[132:133], v[84:85] neg_lo:[0,0,1] neg_hi:[0,0,1]
	v_mov_b32_e32 v85, v95
	v_pk_fma_f32 v[90:91], v[150:151], v[134:135], v[86:87] op_sel_hi:[1,0,1]
	v_pk_add_f32 v[80:81], v[80:81], v[82:83]
	v_pk_fma_f32 v[82:83], v[152:153], v[136:137], v[92:93] op_sel_hi:[1,0,1]
	v_pk_mul_f32 v[88:89], v[214:215], v[88:89] op_sel_hi:[1,0]
	v_pk_fma_f32 v[86:87], v[150:151], v[134:135], v[86:87] neg_lo:[0,0,1] neg_hi:[0,0,1]
	v_mov_b32_e32 v87, v91
	v_pk_add_f32 v[80:81], v[80:81], v[84:85]
	v_pk_fma_f32 v[90:91], v[152:153], v[136:137], v[92:93] neg_lo:[0,0,1] neg_hi:[0,0,1]
	v_mov_b32_e32 v91, v83
	v_pk_fma_f32 v[82:83], v[154:155], v[138:139], v[88:89] op_sel_hi:[1,0,1]
	s_wait_loadcnt 0x1
	v_pk_mul_f32 v[84:85], v[156:157], v[140:141] op_sel:[1,1] op_sel_hi:[0,1]
	v_pk_add_f32 v[80:81], v[80:81], v[86:87]
	v_mov_b32_e32 v82, v143
	v_pk_fma_f32 v[88:89], v[154:155], v[138:139], v[88:89] neg_lo:[0,0,1] neg_hi:[0,0,1]
	v_mov_b32_e32 v89, v83
	v_pk_fma_f32 v[86:87], v[156:157], v[140:141], v[84:85] op_sel_hi:[1,0,1]
	v_pk_add_f32 v[80:81], v[80:81], v[90:91]
	v_pk_mul_f32 v[82:83], v[216:217], v[82:83] op_sel_hi:[1,0]
	v_pk_fma_f32 v[84:85], v[156:157], v[140:141], v[84:85] neg_lo:[0,0,1] neg_hi:[0,0,1]
	s_delay_alu instid0(VALU_DEP_4) | instskip(NEXT) | instid1(VALU_DEP_4)
	v_mov_b32_e32 v85, v87
	v_pk_add_f32 v[80:81], v[80:81], v[88:89]
	s_delay_alu instid0(VALU_DEP_4) | instskip(SKIP_1) | instid1(VALU_DEP_2)
	v_pk_fma_f32 v[86:87], v[158:159], v[142:143], v[82:83] op_sel_hi:[1,0,1]
	v_pk_fma_f32 v[82:83], v[158:159], v[142:143], v[82:83] neg_lo:[0,0,1] neg_hi:[0,0,1]
	v_mov_b32_e32 v83, v87
	s_delay_alu instid0(VALU_DEP_4) | instskip(NEXT) | instid1(VALU_DEP_1)
	v_pk_add_f32 v[80:81], v[80:81], v[84:85]
	v_pk_add_f32 v[80:81], v[80:81], v[82:83]
	s_wait_loadcnt 0x0
	s_delay_alu instid0(VALU_DEP_1)
	v_pk_add_f32 v[80:81], v[208:209], v[80:81] neg_lo:[0,1] neg_hi:[0,1]
	scratch_store_b64 off, v[80:81], off offset:48
	s_wait_xcnt 0x0
	v_cmpx_lt_u32_e32 5, v0
	s_cbranch_execz .LBB102_237
; %bb.236:
	scratch_load_b64 v[80:81], off, off offset:40
	v_mov_b64_e32 v[82:83], 0
	scratch_store_b64 off, v[82:83], off offset:40
	s_wait_loadcnt 0x0
	ds_store_b64 v1, v[80:81]
.LBB102_237:
	s_wait_xcnt 0x0
	s_or_b32 exec_lo, exec_lo, s0
	s_wait_storecnt_dscnt 0x0
	s_barrier_signal -1
	s_barrier_wait -1
	s_clause 0x11
	scratch_load_b128 v[80:83], off, off offset:48
	scratch_load_b128 v[84:87], off, off offset:64
	scratch_load_b128 v[88:91], off, off offset:80
	scratch_load_b128 v[92:95], off, off offset:96
	scratch_load_b128 v[96:99], off, off offset:112
	scratch_load_b128 v[100:103], off, off offset:128
	scratch_load_b128 v[104:107], off, off offset:144
	scratch_load_b128 v[108:111], off, off offset:160
	scratch_load_b128 v[112:115], off, off offset:176
	scratch_load_b128 v[116:119], off, off offset:192
	scratch_load_b128 v[120:123], off, off offset:208
	scratch_load_b128 v[124:127], off, off offset:224
	scratch_load_b128 v[128:131], off, off offset:240
	scratch_load_b128 v[132:135], off, off offset:256
	scratch_load_b128 v[136:139], off, off offset:272
	scratch_load_b128 v[140:143], off, off offset:288
	scratch_load_b64 v[208:209], off, off offset:304
	scratch_load_b64 v[210:211], off, off offset:40
	v_mov_b32_e32 v7, 0
	ds_load_b128 v[144:147], v7 offset:560
	ds_load_b128 v[148:151], v7 offset:576
	;; [unrolled: 1-line block ×16, first 2 shown]
	ds_load_b64 v[212:213], v7 offset:624
	s_mov_b32 s0, exec_lo
	s_wait_dscnt 0x10
	v_dual_mov_b32 v214, v147 :: v_dual_mov_b32 v215, v146
	s_wait_dscnt 0xd
	v_dual_mov_b32 v216, v151 :: v_dual_mov_b32 v221, v158
	v_dual_mov_b32 v217, v150 :: v_dual_mov_b32 v218, v155
	;; [unrolled: 1-line block ×3, first 2 shown]
	s_wait_loadcnt_dscnt 0x110c
	v_dual_mul_f32 v9, v160, v81 :: v_dual_mul_f32 v55, v161, v81
	v_dual_mul_f32 v57, v163, v83 :: v_dual_mul_f32 v11, v162, v83
	s_wait_loadcnt_dscnt 0x100b
	v_mul_f32_e32 v13, v164, v85
	s_wait_loadcnt_dscnt 0xe09
	v_dual_mul_f32 v67, v173, v93 :: v_dual_fma_f32 v55, v160, v80, -v55
	v_dual_fmac_f32 v9, v161, v80 :: v_dual_mul_f32 v69, v175, v95
	v_dual_mul_f32 v59, v165, v85 :: v_dual_mul_f32 v61, v167, v87
	v_dual_fmac_f32 v11, v163, v82 :: v_dual_fma_f32 v57, v162, v82, -v57
	s_delay_alu instid0(VALU_DEP_3) | instskip(SKIP_4) | instid1(VALU_DEP_3)
	v_dual_add_f32 v9, 0, v9 :: v_dual_add_f32 v55, 0, v55
	v_dual_mul_f32 v15, v166, v87 :: v_dual_mul_f32 v17, v168, v89
	s_wait_loadcnt_dscnt 0xd08
	v_dual_mul_f32 v71, v177, v97 :: v_dual_fma_f32 v59, v164, v84, -v59
	v_fmac_f32_e32 v13, v165, v84
	v_dual_add_f32 v9, v9, v11 :: v_dual_fmac_f32 v15, v167, v86
	v_add_f32_e32 v11, v55, v57
	v_dual_mul_f32 v63, v169, v89 :: v_dual_mul_f32 v65, v171, v91
	v_dual_mul_f32 v55, v179, v99 :: v_dual_fma_f32 v57, v166, v86, -v61
	s_delay_alu instid0(VALU_DEP_3) | instskip(SKIP_3) | instid1(VALU_DEP_3)
	v_dual_add_f32 v9, v9, v13 :: v_dual_add_f32 v11, v11, v59
	v_dual_mul_f32 v19, v170, v91 :: v_dual_mul_f32 v21, v172, v93
	s_wait_loadcnt_dscnt 0xc07
	v_dual_mul_f32 v13, v181, v101 :: v_dual_fma_f32 v59, v168, v88, -v63
	v_dual_fmac_f32 v17, v169, v88 :: v_dual_add_f32 v11, v11, v57
	s_delay_alu instid0(VALU_DEP_3) | instskip(SKIP_1) | instid1(VALU_DEP_2)
	v_dual_add_f32 v9, v9, v15 :: v_dual_fmac_f32 v19, v171, v90
	v_dual_mul_f32 v15, v183, v103 :: v_dual_fma_f32 v57, v170, v90, -v65
	v_dual_add_f32 v11, v11, v59 :: v_dual_add_f32 v9, v9, v17
	v_dual_mul_f32 v23, v174, v95 :: v_dual_mul_f32 v25, v176, v97
	s_wait_loadcnt_dscnt 0xb06
	v_dual_mul_f32 v17, v185, v105 :: v_dual_fma_f32 v59, v172, v92, -v67
	s_delay_alu instid0(VALU_DEP_3) | instskip(NEXT) | instid1(VALU_DEP_3)
	v_dual_fmac_f32 v21, v173, v92 :: v_dual_add_f32 v11, v11, v57
	v_dual_add_f32 v9, v9, v19 :: v_dual_fmac_f32 v23, v175, v94
	v_dual_mul_f32 v19, v187, v107 :: v_dual_fma_f32 v57, v174, v94, -v69
	s_delay_alu instid0(VALU_DEP_2) | instskip(SKIP_3) | instid1(VALU_DEP_3)
	v_dual_add_f32 v11, v11, v59 :: v_dual_add_f32 v9, v9, v21
	v_dual_mul_f32 v27, v178, v99 :: v_dual_mul_f32 v29, v180, v101
	s_wait_loadcnt_dscnt 0xa05
	v_dual_mul_f32 v21, v189, v109 :: v_dual_fma_f32 v59, v176, v96, -v71
	v_dual_fmac_f32 v25, v177, v96 :: v_dual_add_f32 v11, v11, v57
	s_delay_alu instid0(VALU_DEP_3) | instskip(SKIP_1) | instid1(VALU_DEP_2)
	v_dual_add_f32 v9, v9, v23 :: v_dual_fmac_f32 v27, v179, v98
	v_dual_mul_f32 v23, v191, v111 :: v_dual_fma_f32 v55, v178, v98, -v55
	v_dual_add_f32 v11, v11, v59 :: v_dual_add_f32 v9, v9, v25
	v_dual_mul_f32 v31, v182, v103 :: v_dual_mul_f32 v33, v184, v105
	s_wait_loadcnt_dscnt 0x904
	v_dual_mul_f32 v25, v193, v113 :: v_dual_fma_f32 v13, v180, v100, -v13
	s_delay_alu instid0(VALU_DEP_3) | instskip(NEXT) | instid1(VALU_DEP_3)
	v_dual_fmac_f32 v29, v181, v100 :: v_dual_add_f32 v11, v11, v55
	v_dual_add_f32 v9, v9, v27 :: v_dual_fmac_f32 v31, v183, v102
	v_dual_mul_f32 v27, v195, v115 :: v_dual_fma_f32 v15, v182, v102, -v15
	s_delay_alu instid0(VALU_DEP_3) | instskip(NEXT) | instid1(VALU_DEP_3)
	v_dual_add_f32 v11, v11, v13 :: v_dual_fmac_f32 v33, v185, v104
	v_dual_add_f32 v9, v9, v29 :: v_dual_fma_f32 v17, v184, v104, -v17
	v_dual_mul_f32 v35, v186, v107 :: v_dual_mul_f32 v37, v188, v109
	s_wait_loadcnt_dscnt 0x803
	s_delay_alu instid0(VALU_DEP_3) | instskip(NEXT) | instid1(VALU_DEP_2)
	v_dual_mul_f32 v13, v197, v117 :: v_dual_add_f32 v11, v11, v15
	v_dual_add_f32 v9, v9, v31 :: v_dual_fmac_f32 v35, v187, v106
	v_dual_mul_f32 v15, v199, v119 :: v_dual_fma_f32 v19, v186, v106, -v19
	s_delay_alu instid0(VALU_DEP_3) | instskip(NEXT) | instid1(VALU_DEP_3)
	v_dual_add_f32 v11, v11, v17 :: v_dual_fmac_f32 v37, v189, v108
	v_dual_add_f32 v9, v9, v33 :: v_dual_fma_f32 v21, v188, v108, -v21
	v_dual_mul_f32 v39, v190, v111 :: v_dual_mul_f32 v41, v192, v113
	s_wait_loadcnt_dscnt 0x702
	s_delay_alu instid0(VALU_DEP_3) | instskip(NEXT) | instid1(VALU_DEP_2)
	v_dual_mul_f32 v17, v201, v121 :: v_dual_add_f32 v11, v11, v19
	;; [unrolled: 9-line block ×3, first 2 shown]
	v_dual_add_f32 v9, v9, v39 :: v_dual_fmac_f32 v43, v195, v114
	v_dual_mul_f32 v23, v207, v127 :: v_dual_fma_f32 v27, v194, v114, -v27
	s_delay_alu instid0(VALU_DEP_3) | instskip(NEXT) | instid1(VALU_DEP_3)
	v_dual_add_f32 v11, v11, v25 :: v_dual_fmac_f32 v45, v197, v116
	v_dual_add_f32 v9, v9, v41 :: v_dual_fma_f32 v13, v196, v116, -v13
	v_dual_mul_f32 v47, v198, v119 :: v_dual_mul_f32 v49, v200, v121
	s_wait_loadcnt 0x5
	s_delay_alu instid0(VALU_DEP_3) | instskip(NEXT) | instid1(VALU_DEP_3)
	v_dual_mul_f32 v25, v145, v129 :: v_dual_add_f32 v11, v11, v27
	v_dual_add_f32 v9, v9, v43 :: v_dual_mov_b32 v80, v131
	s_delay_alu instid0(VALU_DEP_3) | instskip(NEXT) | instid1(VALU_DEP_3)
	v_fmac_f32_e32 v47, v199, v118
	v_dual_fma_f32 v15, v198, v118, -v15 :: v_dual_add_f32 v11, v11, v13
	s_delay_alu instid0(VALU_DEP_3) | instskip(SKIP_1) | instid1(VALU_DEP_3)
	v_dual_add_f32 v9, v9, v45 :: v_dual_mul_f32 v51, v202, v123
	v_dual_mul_f32 v53, v204, v125 :: v_dual_fmac_f32 v49, v201, v120
	v_dual_add_f32 v11, v11, v15 :: v_dual_fma_f32 v13, v200, v120, -v17
	s_wait_loadcnt 0x4
	s_delay_alu instid0(VALU_DEP_3) | instskip(SKIP_3) | instid1(VALU_DEP_4)
	v_dual_add_f32 v9, v9, v47 :: v_dual_mov_b32 v84, v135
	v_fma_f32 v15, v202, v122, -v19
	v_fmac_f32_e32 v51, v203, v122
	v_dual_add_f32 v11, v11, v13 :: v_dual_fmac_f32 v53, v205, v124
	v_dual_add_f32 v9, v9, v49 :: v_dual_mul_f32 v223, v206, v127
	v_mul_f32_e32 v225, v144, v129
	s_delay_alu instid0(VALU_DEP_3) | instskip(NEXT) | instid1(VALU_DEP_3)
	v_dual_fma_f32 v13, v204, v124, -v21 :: v_dual_add_f32 v11, v11, v15
	v_dual_fma_f32 v222, v206, v126, -v23 :: v_dual_add_f32 v9, v9, v51
	s_delay_alu instid0(VALU_DEP_4) | instskip(SKIP_1) | instid1(VALU_DEP_4)
	v_fmac_f32_e32 v223, v207, v126
	v_pk_mul_f32 v[80:81], v[214:215], v[80:81] op_sel_hi:[1,0]
	v_dual_add_f32 v88, v11, v13 :: v_dual_fmac_f32 v225, v145, v128
	s_delay_alu instid0(VALU_DEP_4)
	v_add_f32_e32 v89, v9, v53
	v_pk_mul_f32 v[82:83], v[148:149], v[132:133] op_sel:[1,1] op_sel_hi:[0,1]
	s_wait_loadcnt 0x3
	v_dual_mov_b32 v90, v139 :: v_dual_fma_f32 v224, v144, v128, -v25
	v_pk_fma_f32 v[92:93], v[146:147], v[130:131], v[80:81] op_sel_hi:[1,0,1]
	v_pk_add_f32 v[88:89], v[88:89], v[222:223]
	v_pk_fma_f32 v[80:81], v[146:147], v[130:131], v[80:81] neg_lo:[0,0,1] neg_hi:[0,0,1]
	v_pk_fma_f32 v[94:95], v[148:149], v[132:133], v[82:83] op_sel_hi:[1,0,1]
	v_pk_mul_f32 v[84:85], v[216:217], v[84:85] op_sel_hi:[1,0]
	v_mov_b32_e32 v81, v93
	v_pk_add_f32 v[88:89], v[88:89], v[224:225]
	v_pk_fma_f32 v[82:83], v[148:149], v[132:133], v[82:83] neg_lo:[0,0,1] neg_hi:[0,0,1]
	v_pk_mul_f32 v[86:87], v[152:153], v[136:137] op_sel:[1,1] op_sel_hi:[0,1]
	v_mov_b32_e32 v83, v95
	v_pk_fma_f32 v[94:95], v[150:151], v[134:135], v[84:85] op_sel_hi:[1,0,1]
	v_pk_add_f32 v[80:81], v[88:89], v[80:81]
	v_pk_fma_f32 v[84:85], v[150:151], v[134:135], v[84:85] neg_lo:[0,0,1] neg_hi:[0,0,1]
	v_pk_fma_f32 v[88:89], v[152:153], v[136:137], v[86:87] op_sel_hi:[1,0,1]
	v_pk_mul_f32 v[90:91], v[218:219], v[90:91] op_sel_hi:[1,0]
	v_mov_b32_e32 v85, v95
	v_pk_add_f32 v[80:81], v[80:81], v[82:83]
	v_pk_fma_f32 v[86:87], v[152:153], v[136:137], v[86:87] neg_lo:[0,0,1] neg_hi:[0,0,1]
	s_wait_loadcnt 0x2
	v_pk_mul_f32 v[92:93], v[156:157], v[140:141] op_sel:[1,1] op_sel_hi:[0,1]
	v_dual_mov_b32 v82, v143 :: v_dual_mov_b32 v87, v89
	v_pk_fma_f32 v[88:89], v[154:155], v[138:139], v[90:91] op_sel_hi:[1,0,1]
	v_pk_add_f32 v[80:81], v[80:81], v[84:85]
	v_pk_fma_f32 v[90:91], v[154:155], v[138:139], v[90:91] neg_lo:[0,0,1] neg_hi:[0,0,1]
	v_pk_fma_f32 v[84:85], v[156:157], v[140:141], v[92:93] op_sel_hi:[1,0,1]
	v_pk_mul_f32 v[82:83], v[220:221], v[82:83] op_sel_hi:[1,0]
	v_mov_b32_e32 v91, v89
	v_pk_add_f32 v[80:81], v[80:81], v[86:87]
	v_pk_fma_f32 v[86:87], v[156:157], v[140:141], v[92:93] neg_lo:[0,0,1] neg_hi:[0,0,1]
	v_mov_b32_e32 v87, v85
	v_pk_fma_f32 v[84:85], v[158:159], v[142:143], v[82:83] op_sel_hi:[1,0,1]
	s_wait_loadcnt_dscnt 0x100
	v_pk_mul_f32 v[88:89], v[212:213], v[208:209] op_sel:[1,1] op_sel_hi:[0,1]
	v_pk_add_f32 v[80:81], v[80:81], v[90:91]
	v_pk_fma_f32 v[82:83], v[158:159], v[142:143], v[82:83] neg_lo:[0,0,1] neg_hi:[0,0,1]
	v_mov_b32_e32 v83, v85
	s_delay_alu instid0(VALU_DEP_4) | instskip(NEXT) | instid1(VALU_DEP_4)
	v_pk_fma_f32 v[84:85], v[212:213], v[208:209], v[88:89] op_sel_hi:[1,0,1]
	v_pk_add_f32 v[80:81], v[80:81], v[86:87]
	v_pk_fma_f32 v[86:87], v[212:213], v[208:209], v[88:89] neg_lo:[0,0,1] neg_hi:[0,0,1]
	s_delay_alu instid0(VALU_DEP_3) | instskip(NEXT) | instid1(VALU_DEP_3)
	v_mov_b32_e32 v87, v85
	v_pk_add_f32 v[80:81], v[80:81], v[82:83]
	s_delay_alu instid0(VALU_DEP_1) | instskip(SKIP_1) | instid1(VALU_DEP_1)
	v_pk_add_f32 v[80:81], v[80:81], v[86:87]
	s_wait_loadcnt 0x0
	v_pk_add_f32 v[80:81], v[210:211], v[80:81] neg_lo:[0,1] neg_hi:[0,1]
	scratch_store_b64 off, v[80:81], off offset:40
	s_wait_xcnt 0x0
	v_cmpx_lt_u32_e32 4, v0
	s_cbranch_execz .LBB102_239
; %bb.238:
	scratch_load_b64 v[80:81], off, off offset:32
	v_mov_b64_e32 v[82:83], 0
	scratch_store_b64 off, v[82:83], off offset:32
	s_wait_loadcnt 0x0
	ds_store_b64 v1, v[80:81]
.LBB102_239:
	s_wait_xcnt 0x0
	s_or_b32 exec_lo, exec_lo, s0
	s_wait_storecnt_dscnt 0x0
	s_barrier_signal -1
	s_barrier_wait -1
	s_clause 0x11
	scratch_load_b128 v[80:83], off, off offset:40
	scratch_load_b128 v[84:87], off, off offset:56
	;; [unrolled: 1-line block ×17, first 2 shown]
	scratch_load_b64 v[216:217], off, off offset:32
	ds_load_2addr_b64 v[148:151], v7 offset0:71 offset1:72
	ds_load_2addr_b64 v[152:155], v7 offset0:73 offset1:74
	;; [unrolled: 1-line block ×17, first 2 shown]
	s_mov_b32 s0, exec_lo
	s_wait_dscnt 0x10
	v_dual_mov_b32 v218, v151 :: v_dual_mov_b32 v219, v150
	s_wait_dscnt 0xf
	v_dual_mov_b32 v220, v155 :: v_dual_mov_b32 v221, v154
	;; [unrolled: 2-line block ×4, first 2 shown]
	s_wait_loadcnt_dscnt 0x110b
	v_dual_mul_f32 v7, v168, v81 :: v_dual_mul_f32 v9, v170, v83
	v_dual_mul_f32 v55, v169, v81 :: v_dual_mul_f32 v57, v171, v83
	s_wait_loadcnt_dscnt 0x100a
	v_dual_mul_f32 v11, v172, v85 :: v_dual_mul_f32 v13, v174, v87
	s_delay_alu instid0(VALU_DEP_3) | instskip(SKIP_3) | instid1(VALU_DEP_3)
	v_dual_fmac_f32 v7, v169, v80 :: v_dual_fmac_f32 v9, v171, v82
	s_wait_loadcnt_dscnt 0xe08
	v_dual_fma_f32 v55, v168, v80, -v55 :: v_dual_mul_f32 v67, v181, v93
	v_dual_mul_f32 v59, v173, v85 :: v_dual_mul_f32 v61, v175, v87
	v_dual_fma_f32 v57, v170, v82, -v57 :: v_dual_add_f32 v7, 0, v7
	s_delay_alu instid0(VALU_DEP_3) | instskip(SKIP_1) | instid1(VALU_DEP_4)
	v_dual_add_f32 v55, 0, v55 :: v_dual_fmac_f32 v11, v173, v84
	v_dual_mul_f32 v15, v176, v89 :: v_dual_mul_f32 v17, v178, v91
	v_dual_mul_f32 v69, v183, v95 :: v_dual_fma_f32 v59, v172, v84, -v59
	s_delay_alu instid0(VALU_DEP_4) | instskip(NEXT) | instid1(VALU_DEP_3)
	v_add_f32_e32 v7, v7, v9
	v_dual_add_f32 v9, v55, v57 :: v_dual_fmac_f32 v15, v177, v88
	v_dual_mul_f32 v63, v177, v89 :: v_dual_mul_f32 v65, v179, v91
	s_wait_loadcnt_dscnt 0xd07
	v_dual_mul_f32 v55, v185, v97 :: v_dual_fmac_f32 v13, v175, v86
	v_dual_fma_f32 v57, v174, v86, -v61 :: v_dual_add_f32 v7, v7, v11
	s_delay_alu instid0(VALU_DEP_3) | instskip(SKIP_1) | instid1(VALU_DEP_3)
	v_dual_add_f32 v9, v9, v59 :: v_dual_fma_f32 v59, v176, v88, -v63
	v_dual_mul_f32 v19, v180, v93 :: v_dual_mul_f32 v21, v182, v95
	v_add_f32_e32 v7, v7, v13
	s_delay_alu instid0(VALU_DEP_3) | instskip(SKIP_2) | instid1(VALU_DEP_3)
	v_dual_mul_f32 v11, v187, v99 :: v_dual_add_f32 v9, v9, v57
	s_wait_loadcnt_dscnt 0xc06
	v_dual_mul_f32 v13, v189, v101 :: v_dual_fmac_f32 v17, v179, v90
	v_dual_fma_f32 v57, v178, v90, -v65 :: v_dual_add_f32 v7, v7, v15
	s_delay_alu instid0(VALU_DEP_3) | instskip(SKIP_1) | instid1(VALU_DEP_3)
	v_dual_add_f32 v9, v9, v59 :: v_dual_fma_f32 v59, v180, v92, -v67
	v_dual_mul_f32 v15, v191, v103 :: v_dual_fmac_f32 v19, v181, v92
	v_add_f32_e32 v7, v7, v17
	s_delay_alu instid0(VALU_DEP_3)
	v_dual_add_f32 v9, v9, v57 :: v_dual_fmac_f32 v21, v183, v94
	v_dual_mul_f32 v23, v184, v97 :: v_dual_mul_f32 v25, v186, v99
	s_wait_loadcnt_dscnt 0xb05
	v_dual_fma_f32 v57, v182, v94, -v69 :: v_dual_mul_f32 v17, v193, v105
	v_add_f32_e32 v7, v7, v19
	v_dual_add_f32 v9, v9, v59 :: v_dual_fma_f32 v55, v184, v96, -v55
	v_dual_mul_f32 v19, v195, v107 :: v_dual_fmac_f32 v23, v185, v96
	s_delay_alu instid0(VALU_DEP_3) | instskip(NEXT) | instid1(VALU_DEP_3)
	v_dual_add_f32 v7, v7, v21 :: v_dual_fma_f32 v11, v186, v98, -v11
	v_dual_add_f32 v9, v9, v57 :: v_dual_fmac_f32 v25, v187, v98
	v_dual_mul_f32 v27, v188, v101 :: v_dual_mul_f32 v29, v190, v103
	s_wait_loadcnt_dscnt 0xa04
	s_delay_alu instid0(VALU_DEP_3) | instskip(NEXT) | instid1(VALU_DEP_3)
	v_dual_mul_f32 v21, v197, v109 :: v_dual_add_f32 v7, v7, v23
	v_dual_add_f32 v9, v9, v55 :: v_dual_fma_f32 v13, v188, v100, -v13
	s_delay_alu instid0(VALU_DEP_3) | instskip(NEXT) | instid1(VALU_DEP_2)
	v_dual_mul_f32 v23, v199, v111 :: v_dual_fmac_f32 v27, v189, v100
	v_dual_add_f32 v7, v7, v25 :: v_dual_add_f32 v9, v9, v11
	v_dual_mul_f32 v31, v192, v105 :: v_dual_mul_f32 v33, v194, v107
	s_wait_loadcnt_dscnt 0x903
	v_dual_mul_f32 v11, v201, v113 :: v_dual_fmac_f32 v29, v191, v102
	s_delay_alu instid0(VALU_DEP_3) | instskip(SKIP_2) | instid1(VALU_DEP_2)
	v_dual_fma_f32 v15, v190, v102, -v15 :: v_dual_add_f32 v7, v7, v27
	v_dual_add_f32 v9, v9, v13 :: v_dual_mul_f32 v13, v203, v115
	v_dual_fmac_f32 v31, v193, v104 :: v_dual_fma_f32 v17, v192, v104, -v17
	v_dual_add_f32 v7, v7, v29 :: v_dual_add_f32 v9, v9, v15
	v_dual_mul_f32 v35, v196, v109 :: v_dual_mul_f32 v37, v198, v111
	s_wait_loadcnt_dscnt 0x802
	v_dual_mul_f32 v15, v205, v117 :: v_dual_fmac_f32 v33, v195, v106
	s_delay_alu instid0(VALU_DEP_3) | instskip(SKIP_2) | instid1(VALU_DEP_2)
	v_dual_fma_f32 v19, v194, v106, -v19 :: v_dual_add_f32 v7, v7, v31
	v_dual_add_f32 v9, v9, v17 :: v_dual_mul_f32 v17, v207, v119
	v_dual_fmac_f32 v35, v197, v108 :: v_dual_fma_f32 v21, v196, v108, -v21
	v_dual_add_f32 v7, v7, v33 :: v_dual_add_f32 v9, v9, v19
	v_dual_mul_f32 v39, v200, v113 :: v_dual_mul_f32 v41, v202, v115
	s_wait_loadcnt_dscnt 0x701
	v_dual_mul_f32 v19, v209, v121 :: v_dual_fmac_f32 v37, v199, v110
	s_delay_alu instid0(VALU_DEP_3) | instskip(SKIP_2) | instid1(VALU_DEP_3)
	v_dual_fma_f32 v23, v198, v110, -v23 :: v_dual_add_f32 v7, v7, v35
	v_dual_add_f32 v9, v9, v21 :: v_dual_mul_f32 v21, v211, v123
	v_fmac_f32_e32 v39, v201, v112
	v_dual_fma_f32 v11, v200, v112, -v11 :: v_dual_add_f32 v7, v7, v37
	s_delay_alu instid0(VALU_DEP_3)
	v_dual_add_f32 v9, v9, v23 :: v_dual_mul_f32 v43, v204, v117
	s_wait_loadcnt_dscnt 0x600
	v_dual_mul_f32 v45, v206, v119 :: v_dual_mul_f32 v23, v213, v125
	v_fmac_f32_e32 v41, v203, v114
	v_dual_fma_f32 v13, v202, v114, -v13 :: v_dual_add_f32 v7, v7, v39
	v_dual_add_f32 v9, v9, v11 :: v_dual_fma_f32 v15, v204, v116, -v15
	v_dual_mul_f32 v11, v215, v127 :: v_dual_fmac_f32 v43, v205, v116
	s_delay_alu instid0(VALU_DEP_3) | instskip(NEXT) | instid1(VALU_DEP_3)
	v_dual_add_f32 v7, v7, v41 :: v_dual_fma_f32 v17, v206, v118, -v17
	v_dual_add_f32 v9, v9, v13 :: v_dual_fmac_f32 v45, v207, v118
	v_dual_mul_f32 v47, v208, v121 :: v_dual_mul_f32 v49, v210, v123
	s_wait_loadcnt 0x5
	s_delay_alu instid0(VALU_DEP_3) | instskip(NEXT) | instid1(VALU_DEP_3)
	v_dual_mul_f32 v13, v165, v129 :: v_dual_add_f32 v7, v7, v43
	v_dual_add_f32 v9, v9, v15 :: v_dual_fma_f32 v19, v208, v120, -v19
	s_delay_alu instid0(VALU_DEP_3) | instskip(NEXT) | instid1(VALU_DEP_3)
	v_dual_mul_f32 v15, v167, v131 :: v_dual_fmac_f32 v47, v209, v120
	v_add_f32_e32 v7, v7, v45
	s_delay_alu instid0(VALU_DEP_3) | instskip(SKIP_1) | instid1(VALU_DEP_3)
	v_dual_add_f32 v9, v9, v17 :: v_dual_fmac_f32 v49, v211, v122
	v_dual_mul_f32 v51, v212, v125 :: v_dual_mul_f32 v53, v214, v127
	v_dual_fma_f32 v17, v210, v122, -v21 :: v_dual_add_f32 v7, v7, v47
	s_wait_loadcnt 0x4
	s_delay_alu instid0(VALU_DEP_3) | instskip(NEXT) | instid1(VALU_DEP_3)
	v_dual_add_f32 v9, v9, v19 :: v_dual_mov_b32 v82, v135
	v_fmac_f32_e32 v51, v213, v124
	s_delay_alu instid0(VALU_DEP_3) | instskip(NEXT) | instid1(VALU_DEP_3)
	v_dual_fma_f32 v19, v212, v124, -v23 :: v_dual_add_f32 v7, v7, v49
	v_dual_add_f32 v9, v9, v17 :: v_dual_fmac_f32 v53, v215, v126
	v_dual_mul_f32 v227, v164, v129 :: v_dual_mul_f32 v229, v166, v131
	s_delay_alu instid0(VALU_DEP_3) | instskip(SKIP_1) | instid1(VALU_DEP_3)
	v_dual_fma_f32 v11, v214, v126, -v11 :: v_dual_add_f32 v7, v7, v51
	s_wait_loadcnt 0x3
	v_dual_add_f32 v9, v9, v19 :: v_dual_mov_b32 v86, v139
	v_pk_mul_f32 v[80:81], v[148:149], v[132:133] op_sel:[1,1] op_sel_hi:[0,1]
	v_dual_fmac_f32 v227, v165, v128 :: v_dual_fma_f32 v226, v164, v128, -v13
	s_delay_alu instid0(VALU_DEP_3) | instskip(SKIP_1) | instid1(VALU_DEP_4)
	v_dual_add_f32 v89, v7, v53 :: v_dual_add_f32 v88, v9, v11
	v_dual_fmac_f32 v229, v167, v130 :: v_dual_fma_f32 v228, v166, v130, -v15
	v_pk_fma_f32 v[90:91], v[148:149], v[132:133], v[80:81] op_sel_hi:[1,0,1]
	v_pk_mul_f32 v[82:83], v[218:219], v[82:83] op_sel_hi:[1,0]
	s_delay_alu instid0(VALU_DEP_4)
	v_pk_add_f32 v[88:89], v[88:89], v[226:227]
	v_pk_fma_f32 v[80:81], v[148:149], v[132:133], v[80:81] neg_lo:[0,0,1] neg_hi:[0,0,1]
	v_pk_mul_f32 v[84:85], v[152:153], v[136:137] op_sel:[1,1] op_sel_hi:[0,1]
	v_mov_b32_e32 v81, v91
	v_pk_fma_f32 v[90:91], v[150:151], v[134:135], v[82:83] op_sel_hi:[1,0,1]
	v_pk_add_f32 v[88:89], v[88:89], v[228:229]
	v_pk_fma_f32 v[82:83], v[150:151], v[134:135], v[82:83] neg_lo:[0,0,1] neg_hi:[0,0,1]
	v_pk_fma_f32 v[94:95], v[152:153], v[136:137], v[84:85] op_sel_hi:[1,0,1]
	v_pk_mul_f32 v[86:87], v[220:221], v[86:87] op_sel_hi:[1,0]
	v_mov_b32_e32 v83, v91
	v_pk_add_f32 v[80:81], v[88:89], v[80:81]
	s_wait_loadcnt 0x2
	v_pk_mul_f32 v[92:93], v[156:157], v[140:141] op_sel:[1,1] op_sel_hi:[0,1]
	v_mov_b32_e32 v88, v143
	v_pk_fma_f32 v[84:85], v[152:153], v[136:137], v[84:85] neg_lo:[0,0,1] neg_hi:[0,0,1]
	v_mov_b32_e32 v85, v95
	v_pk_fma_f32 v[90:91], v[154:155], v[138:139], v[86:87] op_sel_hi:[1,0,1]
	v_pk_add_f32 v[80:81], v[80:81], v[82:83]
	v_pk_fma_f32 v[82:83], v[156:157], v[140:141], v[92:93] op_sel_hi:[1,0,1]
	v_pk_mul_f32 v[88:89], v[222:223], v[88:89] op_sel_hi:[1,0]
	v_pk_fma_f32 v[86:87], v[154:155], v[138:139], v[86:87] neg_lo:[0,0,1] neg_hi:[0,0,1]
	v_mov_b32_e32 v87, v91
	v_pk_add_f32 v[80:81], v[80:81], v[84:85]
	v_pk_fma_f32 v[90:91], v[156:157], v[140:141], v[92:93] neg_lo:[0,0,1] neg_hi:[0,0,1]
	v_mov_b32_e32 v91, v83
	v_pk_fma_f32 v[82:83], v[158:159], v[142:143], v[88:89] op_sel_hi:[1,0,1]
	s_wait_loadcnt 0x1
	v_pk_mul_f32 v[84:85], v[160:161], v[144:145] op_sel:[1,1] op_sel_hi:[0,1]
	v_pk_add_f32 v[80:81], v[80:81], v[86:87]
	v_mov_b32_e32 v82, v147
	v_pk_fma_f32 v[88:89], v[158:159], v[142:143], v[88:89] neg_lo:[0,0,1] neg_hi:[0,0,1]
	v_mov_b32_e32 v89, v83
	v_pk_fma_f32 v[86:87], v[160:161], v[144:145], v[84:85] op_sel_hi:[1,0,1]
	v_pk_add_f32 v[80:81], v[80:81], v[90:91]
	v_pk_mul_f32 v[82:83], v[224:225], v[82:83] op_sel_hi:[1,0]
	v_pk_fma_f32 v[84:85], v[160:161], v[144:145], v[84:85] neg_lo:[0,0,1] neg_hi:[0,0,1]
	s_delay_alu instid0(VALU_DEP_4) | instskip(NEXT) | instid1(VALU_DEP_4)
	v_mov_b32_e32 v85, v87
	v_pk_add_f32 v[80:81], v[80:81], v[88:89]
	s_delay_alu instid0(VALU_DEP_4) | instskip(SKIP_1) | instid1(VALU_DEP_2)
	v_pk_fma_f32 v[86:87], v[162:163], v[146:147], v[82:83] op_sel_hi:[1,0,1]
	v_pk_fma_f32 v[82:83], v[162:163], v[146:147], v[82:83] neg_lo:[0,0,1] neg_hi:[0,0,1]
	v_mov_b32_e32 v83, v87
	s_delay_alu instid0(VALU_DEP_4) | instskip(NEXT) | instid1(VALU_DEP_1)
	v_pk_add_f32 v[80:81], v[80:81], v[84:85]
	v_pk_add_f32 v[80:81], v[80:81], v[82:83]
	s_wait_loadcnt 0x0
	s_delay_alu instid0(VALU_DEP_1)
	v_pk_add_f32 v[80:81], v[216:217], v[80:81] neg_lo:[0,1] neg_hi:[0,1]
	scratch_store_b64 off, v[80:81], off offset:32
	s_wait_xcnt 0x0
	v_cmpx_lt_u32_e32 3, v0
	s_cbranch_execz .LBB102_241
; %bb.240:
	scratch_load_b64 v[80:81], off, off offset:24
	v_mov_b64_e32 v[82:83], 0
	scratch_store_b64 off, v[82:83], off offset:24
	s_wait_loadcnt 0x0
	ds_store_b64 v1, v[80:81]
.LBB102_241:
	s_wait_xcnt 0x0
	s_or_b32 exec_lo, exec_lo, s0
	s_wait_storecnt_dscnt 0x0
	s_barrier_signal -1
	s_barrier_wait -1
	s_clause 0x12
	scratch_load_b128 v[80:83], off, off offset:32
	scratch_load_b128 v[84:87], off, off offset:48
	;; [unrolled: 1-line block ×17, first 2 shown]
	scratch_load_b64 v[216:217], off, off offset:304
	scratch_load_b64 v[218:219], off, off offset:24
	v_mov_b32_e32 v7, 0
	ds_load_b128 v[148:151], v7 offset:560
	ds_load_b128 v[152:155], v7 offset:576
	;; [unrolled: 1-line block ×17, first 2 shown]
	ds_load_b64 v[220:221], v7 offset:624
	s_mov_b32 s0, exec_lo
	s_wait_dscnt 0x11
	v_dual_mov_b32 v222, v151 :: v_dual_mov_b32 v223, v150
	s_wait_dscnt 0x10
	v_dual_mov_b32 v224, v155 :: v_dual_mov_b32 v225, v154
	;; [unrolled: 2-line block ×3, first 2 shown]
	v_dual_mov_b32 v227, v158 :: v_dual_mov_b32 v228, v167
	s_wait_loadcnt_dscnt 0x120c
	v_dual_mul_f32 v9, v168, v81 :: v_dual_mul_f32 v59, v169, v81
	v_dual_mul_f32 v61, v171, v83 :: v_dual_mul_f32 v11, v170, v83
	s_wait_loadcnt_dscnt 0x110b
	v_mul_f32_e32 v13, v172, v85
	s_wait_loadcnt_dscnt 0xf09
	v_dual_mul_f32 v71, v181, v93 :: v_dual_fma_f32 v59, v168, v80, -v59
	v_dual_fmac_f32 v9, v169, v80 :: v_dual_mul_f32 v73, v183, v95
	v_dual_mul_f32 v63, v173, v85 :: v_dual_mul_f32 v65, v175, v87
	v_dual_fmac_f32 v11, v171, v82 :: v_dual_fma_f32 v61, v170, v82, -v61
	s_delay_alu instid0(VALU_DEP_3) | instskip(SKIP_4) | instid1(VALU_DEP_3)
	v_dual_add_f32 v9, 0, v9 :: v_dual_add_f32 v59, 0, v59
	v_dual_mul_f32 v15, v174, v87 :: v_dual_mul_f32 v17, v176, v89
	s_wait_loadcnt_dscnt 0xe08
	v_dual_mul_f32 v75, v185, v97 :: v_dual_fma_f32 v63, v172, v84, -v63
	v_fmac_f32_e32 v13, v173, v84
	v_dual_add_f32 v9, v9, v11 :: v_dual_fmac_f32 v15, v175, v86
	v_add_f32_e32 v11, v59, v61
	v_dual_mul_f32 v67, v177, v89 :: v_dual_mul_f32 v69, v179, v91
	v_dual_mul_f32 v59, v187, v99 :: v_dual_fma_f32 v61, v174, v86, -v65
	s_delay_alu instid0(VALU_DEP_3) | instskip(SKIP_3) | instid1(VALU_DEP_3)
	v_dual_add_f32 v9, v9, v13 :: v_dual_add_f32 v11, v11, v63
	v_dual_mul_f32 v19, v178, v91 :: v_dual_mul_f32 v21, v180, v93
	s_wait_loadcnt_dscnt 0xd07
	v_dual_mul_f32 v13, v189, v101 :: v_dual_fma_f32 v63, v176, v88, -v67
	v_dual_fmac_f32 v17, v177, v88 :: v_dual_add_f32 v11, v11, v61
	s_delay_alu instid0(VALU_DEP_3) | instskip(SKIP_1) | instid1(VALU_DEP_2)
	v_dual_add_f32 v9, v9, v15 :: v_dual_fmac_f32 v19, v179, v90
	v_dual_mul_f32 v15, v191, v103 :: v_dual_fma_f32 v61, v178, v90, -v69
	v_dual_add_f32 v11, v11, v63 :: v_dual_add_f32 v9, v9, v17
	v_dual_mul_f32 v23, v182, v95 :: v_dual_mul_f32 v25, v184, v97
	s_wait_loadcnt_dscnt 0xc06
	v_dual_mul_f32 v17, v193, v105 :: v_dual_fma_f32 v63, v180, v92, -v71
	s_delay_alu instid0(VALU_DEP_3) | instskip(NEXT) | instid1(VALU_DEP_3)
	v_dual_fmac_f32 v21, v181, v92 :: v_dual_add_f32 v11, v11, v61
	v_dual_add_f32 v9, v9, v19 :: v_dual_fmac_f32 v23, v183, v94
	v_dual_mul_f32 v19, v195, v107 :: v_dual_fma_f32 v61, v182, v94, -v73
	s_delay_alu instid0(VALU_DEP_2) | instskip(SKIP_3) | instid1(VALU_DEP_3)
	v_dual_add_f32 v11, v11, v63 :: v_dual_add_f32 v9, v9, v21
	v_dual_mul_f32 v27, v186, v99 :: v_dual_mul_f32 v29, v188, v101
	s_wait_loadcnt_dscnt 0xb05
	v_dual_mul_f32 v21, v197, v109 :: v_dual_fma_f32 v63, v184, v96, -v75
	v_dual_fmac_f32 v25, v185, v96 :: v_dual_add_f32 v11, v11, v61
	s_delay_alu instid0(VALU_DEP_3) | instskip(SKIP_1) | instid1(VALU_DEP_2)
	v_dual_add_f32 v9, v9, v23 :: v_dual_fmac_f32 v27, v187, v98
	v_dual_mul_f32 v23, v199, v111 :: v_dual_fma_f32 v59, v186, v98, -v59
	v_dual_add_f32 v11, v11, v63 :: v_dual_add_f32 v9, v9, v25
	v_dual_mul_f32 v31, v190, v103 :: v_dual_mul_f32 v33, v192, v105
	s_wait_loadcnt_dscnt 0xa04
	v_dual_mul_f32 v25, v201, v113 :: v_dual_fma_f32 v13, v188, v100, -v13
	s_delay_alu instid0(VALU_DEP_3) | instskip(NEXT) | instid1(VALU_DEP_3)
	v_dual_fmac_f32 v29, v189, v100 :: v_dual_add_f32 v11, v11, v59
	v_dual_add_f32 v9, v9, v27 :: v_dual_fmac_f32 v31, v191, v102
	v_dual_mul_f32 v27, v203, v115 :: v_dual_fma_f32 v15, v190, v102, -v15
	s_delay_alu instid0(VALU_DEP_3) | instskip(NEXT) | instid1(VALU_DEP_3)
	v_dual_add_f32 v11, v11, v13 :: v_dual_fmac_f32 v33, v193, v104
	v_dual_add_f32 v9, v9, v29 :: v_dual_fma_f32 v17, v192, v104, -v17
	v_dual_mul_f32 v35, v194, v107 :: v_dual_mul_f32 v37, v196, v109
	s_wait_loadcnt_dscnt 0x903
	s_delay_alu instid0(VALU_DEP_3) | instskip(NEXT) | instid1(VALU_DEP_2)
	v_dual_mul_f32 v13, v205, v117 :: v_dual_add_f32 v11, v11, v15
	v_dual_add_f32 v9, v9, v31 :: v_dual_fmac_f32 v35, v195, v106
	v_dual_mul_f32 v15, v207, v119 :: v_dual_fma_f32 v19, v194, v106, -v19
	s_delay_alu instid0(VALU_DEP_3) | instskip(NEXT) | instid1(VALU_DEP_3)
	v_dual_add_f32 v11, v11, v17 :: v_dual_fmac_f32 v37, v197, v108
	v_dual_add_f32 v9, v9, v33 :: v_dual_fma_f32 v21, v196, v108, -v21
	v_dual_mul_f32 v39, v198, v111 :: v_dual_mul_f32 v41, v200, v113
	s_wait_loadcnt_dscnt 0x802
	s_delay_alu instid0(VALU_DEP_3) | instskip(NEXT) | instid1(VALU_DEP_2)
	v_dual_mul_f32 v17, v209, v121 :: v_dual_add_f32 v11, v11, v19
	;; [unrolled: 9-line block ×3, first 2 shown]
	v_dual_add_f32 v9, v9, v39 :: v_dual_fmac_f32 v43, v203, v114
	v_dual_mul_f32 v23, v215, v127 :: v_dual_fma_f32 v27, v202, v114, -v27
	s_delay_alu instid0(VALU_DEP_3) | instskip(NEXT) | instid1(VALU_DEP_3)
	v_dual_add_f32 v11, v11, v25 :: v_dual_fmac_f32 v45, v205, v116
	v_dual_add_f32 v9, v9, v41 :: v_dual_fma_f32 v13, v204, v116, -v13
	v_dual_mul_f32 v47, v206, v119 :: v_dual_mul_f32 v49, v208, v121
	s_wait_loadcnt 0x6
	s_delay_alu instid0(VALU_DEP_3) | instskip(NEXT) | instid1(VALU_DEP_2)
	v_dual_mul_f32 v25, v161, v129 :: v_dual_add_f32 v11, v11, v27
	v_dual_add_f32 v9, v9, v43 :: v_dual_fmac_f32 v47, v207, v118
	v_dual_mul_f32 v27, v163, v131 :: v_dual_fma_f32 v15, v206, v118, -v15
	s_delay_alu instid0(VALU_DEP_3) | instskip(NEXT) | instid1(VALU_DEP_3)
	v_dual_add_f32 v11, v11, v13 :: v_dual_fmac_f32 v49, v209, v120
	v_dual_add_f32 v9, v9, v45 :: v_dual_fma_f32 v17, v208, v120, -v17
	v_dual_mul_f32 v51, v210, v123 :: v_dual_mul_f32 v53, v212, v125
	s_wait_loadcnt 0x5
	s_delay_alu instid0(VALU_DEP_3) | instskip(NEXT) | instid1(VALU_DEP_3)
	v_dual_mul_f32 v13, v149, v133 :: v_dual_add_f32 v11, v11, v15
	v_dual_add_f32 v9, v9, v47 :: v_dual_mov_b32 v80, v135
	s_delay_alu instid0(VALU_DEP_3) | instskip(NEXT) | instid1(VALU_DEP_3)
	v_fmac_f32_e32 v51, v211, v122
	v_dual_fma_f32 v15, v210, v122, -v19 :: v_dual_add_f32 v11, v11, v17
	s_delay_alu instid0(VALU_DEP_3) | instskip(SKIP_1) | instid1(VALU_DEP_3)
	v_dual_add_f32 v9, v9, v49 :: v_dual_mul_f32 v55, v214, v127
	v_dual_mul_f32 v57, v160, v129 :: v_dual_fmac_f32 v53, v213, v124
	v_dual_add_f32 v11, v11, v15 :: v_dual_fma_f32 v17, v212, v124, -v21
	s_wait_loadcnt 0x4
	s_delay_alu instid0(VALU_DEP_3) | instskip(SKIP_3) | instid1(VALU_DEP_4)
	v_dual_add_f32 v9, v9, v51 :: v_dual_mov_b32 v84, v139
	v_fma_f32 v15, v214, v126, -v23
	v_fmac_f32_e32 v55, v215, v126
	v_dual_add_f32 v11, v11, v17 :: v_dual_fmac_f32 v57, v161, v128
	v_dual_add_f32 v9, v9, v53 :: v_dual_mul_f32 v231, v162, v131
	v_mul_f32_e32 v233, v148, v133
	s_delay_alu instid0(VALU_DEP_3) | instskip(NEXT) | instid1(VALU_DEP_3)
	v_dual_fma_f32 v17, v160, v128, -v25 :: v_dual_add_f32 v11, v11, v15
	v_dual_fma_f32 v230, v162, v130, -v27 :: v_dual_add_f32 v9, v9, v55
	s_delay_alu instid0(VALU_DEP_4) | instskip(SKIP_1) | instid1(VALU_DEP_4)
	v_fmac_f32_e32 v231, v163, v130
	v_pk_mul_f32 v[80:81], v[222:223], v[80:81] op_sel_hi:[1,0]
	v_dual_add_f32 v88, v11, v17 :: v_dual_fmac_f32 v233, v149, v132
	s_delay_alu instid0(VALU_DEP_4)
	v_add_f32_e32 v89, v9, v57
	v_pk_mul_f32 v[82:83], v[152:153], v[136:137] op_sel:[1,1] op_sel_hi:[0,1]
	s_wait_loadcnt 0x3
	v_dual_mov_b32 v90, v143 :: v_dual_fma_f32 v232, v148, v132, -v13
	v_pk_fma_f32 v[92:93], v[150:151], v[134:135], v[80:81] op_sel_hi:[1,0,1]
	v_pk_add_f32 v[88:89], v[88:89], v[230:231]
	v_pk_fma_f32 v[80:81], v[150:151], v[134:135], v[80:81] neg_lo:[0,0,1] neg_hi:[0,0,1]
	v_pk_fma_f32 v[94:95], v[152:153], v[136:137], v[82:83] op_sel_hi:[1,0,1]
	v_pk_mul_f32 v[84:85], v[224:225], v[84:85] op_sel_hi:[1,0]
	v_mov_b32_e32 v81, v93
	v_pk_add_f32 v[88:89], v[88:89], v[232:233]
	v_pk_fma_f32 v[82:83], v[152:153], v[136:137], v[82:83] neg_lo:[0,0,1] neg_hi:[0,0,1]
	v_pk_mul_f32 v[86:87], v[156:157], v[140:141] op_sel:[1,1] op_sel_hi:[0,1]
	v_mov_b32_e32 v83, v95
	v_pk_fma_f32 v[94:95], v[154:155], v[138:139], v[84:85] op_sel_hi:[1,0,1]
	v_pk_add_f32 v[80:81], v[88:89], v[80:81]
	v_pk_fma_f32 v[84:85], v[154:155], v[138:139], v[84:85] neg_lo:[0,0,1] neg_hi:[0,0,1]
	v_pk_fma_f32 v[88:89], v[156:157], v[140:141], v[86:87] op_sel_hi:[1,0,1]
	v_pk_mul_f32 v[90:91], v[226:227], v[90:91] op_sel_hi:[1,0]
	v_mov_b32_e32 v85, v95
	v_pk_add_f32 v[80:81], v[80:81], v[82:83]
	v_pk_fma_f32 v[86:87], v[156:157], v[140:141], v[86:87] neg_lo:[0,0,1] neg_hi:[0,0,1]
	s_wait_loadcnt 0x2
	v_pk_mul_f32 v[92:93], v[164:165], v[144:145] op_sel:[1,1] op_sel_hi:[0,1]
	v_dual_mov_b32 v82, v147 :: v_dual_mov_b32 v87, v89
	v_pk_fma_f32 v[88:89], v[158:159], v[142:143], v[90:91] op_sel_hi:[1,0,1]
	v_pk_add_f32 v[80:81], v[80:81], v[84:85]
	v_pk_fma_f32 v[90:91], v[158:159], v[142:143], v[90:91] neg_lo:[0,0,1] neg_hi:[0,0,1]
	v_pk_fma_f32 v[84:85], v[164:165], v[144:145], v[92:93] op_sel_hi:[1,0,1]
	v_pk_mul_f32 v[82:83], v[228:229], v[82:83] op_sel_hi:[1,0]
	v_mov_b32_e32 v91, v89
	v_pk_add_f32 v[80:81], v[80:81], v[86:87]
	v_pk_fma_f32 v[86:87], v[164:165], v[144:145], v[92:93] neg_lo:[0,0,1] neg_hi:[0,0,1]
	v_mov_b32_e32 v87, v85
	v_pk_fma_f32 v[84:85], v[166:167], v[146:147], v[82:83] op_sel_hi:[1,0,1]
	s_wait_loadcnt_dscnt 0x100
	v_pk_mul_f32 v[88:89], v[220:221], v[216:217] op_sel:[1,1] op_sel_hi:[0,1]
	v_pk_add_f32 v[80:81], v[80:81], v[90:91]
	v_pk_fma_f32 v[82:83], v[166:167], v[146:147], v[82:83] neg_lo:[0,0,1] neg_hi:[0,0,1]
	v_mov_b32_e32 v83, v85
	s_delay_alu instid0(VALU_DEP_4) | instskip(NEXT) | instid1(VALU_DEP_4)
	v_pk_fma_f32 v[84:85], v[220:221], v[216:217], v[88:89] op_sel_hi:[1,0,1]
	v_pk_add_f32 v[80:81], v[80:81], v[86:87]
	v_pk_fma_f32 v[86:87], v[220:221], v[216:217], v[88:89] neg_lo:[0,0,1] neg_hi:[0,0,1]
	s_delay_alu instid0(VALU_DEP_3) | instskip(NEXT) | instid1(VALU_DEP_3)
	v_mov_b32_e32 v87, v85
	v_pk_add_f32 v[80:81], v[80:81], v[82:83]
	s_delay_alu instid0(VALU_DEP_1) | instskip(SKIP_1) | instid1(VALU_DEP_1)
	v_pk_add_f32 v[80:81], v[80:81], v[86:87]
	s_wait_loadcnt 0x0
	v_pk_add_f32 v[80:81], v[218:219], v[80:81] neg_lo:[0,1] neg_hi:[0,1]
	scratch_store_b64 off, v[80:81], off offset:24
	s_wait_xcnt 0x0
	v_cmpx_lt_u32_e32 2, v0
	s_cbranch_execz .LBB102_243
; %bb.242:
	scratch_load_b64 v[80:81], off, off offset:16
	v_mov_b64_e32 v[82:83], 0
	scratch_store_b64 off, v[82:83], off offset:16
	s_wait_loadcnt 0x0
	ds_store_b64 v1, v[80:81]
.LBB102_243:
	s_wait_xcnt 0x0
	s_or_b32 exec_lo, exec_lo, s0
	s_wait_storecnt_dscnt 0x0
	s_barrier_signal -1
	s_barrier_wait -1
	s_clause 0x12
	scratch_load_b128 v[80:83], off, off offset:24
	scratch_load_b128 v[84:87], off, off offset:40
	scratch_load_b128 v[88:91], off, off offset:56
	scratch_load_b128 v[92:95], off, off offset:72
	scratch_load_b128 v[96:99], off, off offset:88
	scratch_load_b128 v[100:103], off, off offset:104
	scratch_load_b128 v[104:107], off, off offset:120
	scratch_load_b128 v[108:111], off, off offset:136
	scratch_load_b128 v[112:115], off, off offset:152
	scratch_load_b128 v[116:119], off, off offset:168
	scratch_load_b128 v[120:123], off, off offset:184
	scratch_load_b128 v[124:127], off, off offset:200
	scratch_load_b128 v[128:131], off, off offset:216
	scratch_load_b128 v[132:135], off, off offset:232
	scratch_load_b128 v[136:139], off, off offset:248
	scratch_load_b128 v[140:143], off, off offset:264
	scratch_load_b128 v[144:147], off, off offset:280
	scratch_load_b128 v[148:151], off, off offset:296
	scratch_load_b64 v[224:225], off, off offset:16
	ds_load_2addr_b64 v[152:155], v7 offset0:71 offset1:72
	ds_load_2addr_b64 v[156:159], v7 offset0:73 offset1:74
	ds_load_2addr_b64 v[160:163], v7 offset0:75 offset1:76
	ds_load_2addr_b64 v[164:167], v7 offset0:77 offset1:78
	ds_load_2addr_b64 v[168:171], v7 offset0:43 offset1:44
	ds_load_2addr_b64 v[172:175], v7 offset0:45 offset1:46
	ds_load_2addr_b64 v[176:179], v7 offset0:47 offset1:48
	ds_load_2addr_b64 v[180:183], v7 offset0:49 offset1:50
	ds_load_2addr_b64 v[184:187], v7 offset0:51 offset1:52
	ds_load_2addr_b64 v[188:191], v7 offset0:53 offset1:54
	ds_load_2addr_b64 v[192:195], v7 offset0:55 offset1:56
	ds_load_2addr_b64 v[196:199], v7 offset0:57 offset1:58
	ds_load_2addr_b64 v[200:203], v7 offset0:59 offset1:60
	ds_load_2addr_b64 v[204:207], v7 offset0:61 offset1:62
	ds_load_2addr_b64 v[208:211], v7 offset0:63 offset1:64
	ds_load_2addr_b64 v[212:215], v7 offset0:65 offset1:66
	ds_load_2addr_b64 v[216:219], v7 offset0:67 offset1:68
	ds_load_2addr_b64 v[220:223], v7 offset0:69 offset1:70
	s_mov_b32 s0, exec_lo
	s_wait_dscnt 0x11
	v_dual_mov_b32 v226, v155 :: v_dual_mov_b32 v227, v154
	s_wait_dscnt 0x10
	v_dual_mov_b32 v228, v159 :: v_dual_mov_b32 v229, v158
	;; [unrolled: 2-line block ×4, first 2 shown]
	s_wait_loadcnt_dscnt 0x120d
	v_dual_mul_f32 v7, v168, v81 :: v_dual_mul_f32 v9, v170, v83
	v_dual_mul_f32 v59, v169, v81 :: v_dual_mul_f32 v61, v171, v83
	s_wait_loadcnt_dscnt 0x110c
	v_dual_mul_f32 v11, v172, v85 :: v_dual_mul_f32 v13, v174, v87
	s_delay_alu instid0(VALU_DEP_3) | instskip(SKIP_3) | instid1(VALU_DEP_3)
	v_dual_fmac_f32 v7, v169, v80 :: v_dual_fmac_f32 v9, v171, v82
	s_wait_loadcnt_dscnt 0xf0a
	v_dual_fma_f32 v59, v168, v80, -v59 :: v_dual_mul_f32 v71, v181, v93
	v_dual_mul_f32 v63, v173, v85 :: v_dual_mul_f32 v65, v175, v87
	v_dual_fma_f32 v61, v170, v82, -v61 :: v_dual_add_f32 v7, 0, v7
	s_delay_alu instid0(VALU_DEP_3) | instskip(SKIP_1) | instid1(VALU_DEP_4)
	v_dual_add_f32 v59, 0, v59 :: v_dual_fmac_f32 v11, v173, v84
	v_dual_mul_f32 v15, v176, v89 :: v_dual_mul_f32 v17, v178, v91
	v_dual_mul_f32 v73, v183, v95 :: v_dual_fma_f32 v63, v172, v84, -v63
	s_delay_alu instid0(VALU_DEP_4) | instskip(NEXT) | instid1(VALU_DEP_3)
	v_add_f32_e32 v7, v7, v9
	v_dual_add_f32 v9, v59, v61 :: v_dual_fmac_f32 v15, v177, v88
	v_dual_mul_f32 v67, v177, v89 :: v_dual_mul_f32 v69, v179, v91
	s_wait_loadcnt_dscnt 0xe09
	v_dual_mul_f32 v59, v185, v97 :: v_dual_fmac_f32 v13, v175, v86
	v_dual_fma_f32 v61, v174, v86, -v65 :: v_dual_add_f32 v7, v7, v11
	s_delay_alu instid0(VALU_DEP_3) | instskip(SKIP_1) | instid1(VALU_DEP_3)
	v_dual_add_f32 v9, v9, v63 :: v_dual_fma_f32 v63, v176, v88, -v67
	v_dual_mul_f32 v19, v180, v93 :: v_dual_mul_f32 v21, v182, v95
	v_add_f32_e32 v7, v7, v13
	s_delay_alu instid0(VALU_DEP_3) | instskip(SKIP_2) | instid1(VALU_DEP_3)
	v_dual_mul_f32 v11, v187, v99 :: v_dual_add_f32 v9, v9, v61
	s_wait_loadcnt_dscnt 0xd08
	v_dual_mul_f32 v13, v189, v101 :: v_dual_fmac_f32 v17, v179, v90
	v_dual_fma_f32 v61, v178, v90, -v69 :: v_dual_add_f32 v7, v7, v15
	s_delay_alu instid0(VALU_DEP_3) | instskip(SKIP_1) | instid1(VALU_DEP_3)
	v_dual_add_f32 v9, v9, v63 :: v_dual_fma_f32 v63, v180, v92, -v71
	v_dual_mul_f32 v15, v191, v103 :: v_dual_fmac_f32 v19, v181, v92
	v_add_f32_e32 v7, v7, v17
	s_delay_alu instid0(VALU_DEP_3)
	v_dual_add_f32 v9, v9, v61 :: v_dual_fmac_f32 v21, v183, v94
	v_dual_mul_f32 v23, v184, v97 :: v_dual_mul_f32 v25, v186, v99
	s_wait_loadcnt_dscnt 0xc07
	v_dual_fma_f32 v61, v182, v94, -v73 :: v_dual_mul_f32 v17, v193, v105
	v_add_f32_e32 v7, v7, v19
	v_dual_add_f32 v9, v9, v63 :: v_dual_fma_f32 v59, v184, v96, -v59
	v_dual_mul_f32 v19, v195, v107 :: v_dual_fmac_f32 v23, v185, v96
	s_delay_alu instid0(VALU_DEP_3) | instskip(NEXT) | instid1(VALU_DEP_3)
	v_dual_add_f32 v7, v7, v21 :: v_dual_fma_f32 v11, v186, v98, -v11
	v_dual_add_f32 v9, v9, v61 :: v_dual_fmac_f32 v25, v187, v98
	v_dual_mul_f32 v27, v188, v101 :: v_dual_mul_f32 v29, v190, v103
	s_wait_loadcnt_dscnt 0xb06
	s_delay_alu instid0(VALU_DEP_3) | instskip(NEXT) | instid1(VALU_DEP_3)
	v_dual_mul_f32 v21, v197, v109 :: v_dual_add_f32 v7, v7, v23
	v_dual_add_f32 v9, v9, v59 :: v_dual_fma_f32 v13, v188, v100, -v13
	s_delay_alu instid0(VALU_DEP_3) | instskip(NEXT) | instid1(VALU_DEP_2)
	v_dual_mul_f32 v23, v199, v111 :: v_dual_fmac_f32 v27, v189, v100
	v_dual_add_f32 v7, v7, v25 :: v_dual_add_f32 v9, v9, v11
	v_dual_mul_f32 v31, v192, v105 :: v_dual_mul_f32 v33, v194, v107
	s_wait_loadcnt_dscnt 0xa05
	v_dual_mul_f32 v11, v201, v113 :: v_dual_fmac_f32 v29, v191, v102
	s_delay_alu instid0(VALU_DEP_3) | instskip(SKIP_2) | instid1(VALU_DEP_2)
	v_dual_fma_f32 v15, v190, v102, -v15 :: v_dual_add_f32 v7, v7, v27
	v_dual_add_f32 v9, v9, v13 :: v_dual_mul_f32 v13, v203, v115
	v_dual_fmac_f32 v31, v193, v104 :: v_dual_fma_f32 v17, v192, v104, -v17
	v_dual_add_f32 v7, v7, v29 :: v_dual_add_f32 v9, v9, v15
	v_dual_mul_f32 v35, v196, v109 :: v_dual_mul_f32 v37, v198, v111
	s_wait_loadcnt_dscnt 0x904
	v_dual_mul_f32 v15, v205, v117 :: v_dual_fmac_f32 v33, v195, v106
	s_delay_alu instid0(VALU_DEP_3) | instskip(SKIP_2) | instid1(VALU_DEP_2)
	v_dual_fma_f32 v19, v194, v106, -v19 :: v_dual_add_f32 v7, v7, v31
	v_dual_add_f32 v9, v9, v17 :: v_dual_mul_f32 v17, v207, v119
	v_dual_fmac_f32 v35, v197, v108 :: v_dual_fma_f32 v21, v196, v108, -v21
	v_dual_add_f32 v7, v7, v33 :: v_dual_add_f32 v9, v9, v19
	v_dual_mul_f32 v39, v200, v113 :: v_dual_mul_f32 v41, v202, v115
	s_wait_loadcnt_dscnt 0x803
	v_dual_mul_f32 v19, v209, v121 :: v_dual_fmac_f32 v37, v199, v110
	s_delay_alu instid0(VALU_DEP_3) | instskip(SKIP_2) | instid1(VALU_DEP_3)
	v_dual_fma_f32 v23, v198, v110, -v23 :: v_dual_add_f32 v7, v7, v35
	v_dual_add_f32 v9, v9, v21 :: v_dual_mul_f32 v21, v211, v123
	v_fmac_f32_e32 v39, v201, v112
	v_dual_fma_f32 v11, v200, v112, -v11 :: v_dual_add_f32 v7, v7, v37
	s_delay_alu instid0(VALU_DEP_3)
	v_dual_add_f32 v9, v9, v23 :: v_dual_mul_f32 v43, v204, v117
	s_wait_loadcnt_dscnt 0x702
	v_dual_mul_f32 v45, v206, v119 :: v_dual_mul_f32 v23, v213, v125
	v_fmac_f32_e32 v41, v203, v114
	v_dual_fma_f32 v13, v202, v114, -v13 :: v_dual_add_f32 v7, v7, v39
	v_dual_add_f32 v9, v9, v11 :: v_dual_fma_f32 v15, v204, v116, -v15
	v_dual_mul_f32 v11, v215, v127 :: v_dual_fmac_f32 v43, v205, v116
	s_delay_alu instid0(VALU_DEP_3) | instskip(NEXT) | instid1(VALU_DEP_3)
	v_dual_add_f32 v7, v7, v41 :: v_dual_fma_f32 v17, v206, v118, -v17
	v_dual_add_f32 v9, v9, v13 :: v_dual_fmac_f32 v45, v207, v118
	v_dual_mul_f32 v47, v208, v121 :: v_dual_mul_f32 v49, v210, v123
	s_wait_loadcnt_dscnt 0x601
	s_delay_alu instid0(VALU_DEP_3) | instskip(NEXT) | instid1(VALU_DEP_3)
	v_dual_mul_f32 v13, v217, v129 :: v_dual_add_f32 v7, v7, v43
	v_dual_add_f32 v9, v9, v15 :: v_dual_fma_f32 v19, v208, v120, -v19
	s_delay_alu instid0(VALU_DEP_3) | instskip(NEXT) | instid1(VALU_DEP_3)
	v_dual_mul_f32 v15, v219, v131 :: v_dual_fmac_f32 v47, v209, v120
	v_dual_add_f32 v7, v7, v45 :: v_dual_fma_f32 v21, v210, v122, -v21
	s_delay_alu instid0(VALU_DEP_3) | instskip(SKIP_2) | instid1(VALU_DEP_3)
	v_dual_add_f32 v9, v9, v17 :: v_dual_fmac_f32 v49, v211, v122
	v_dual_mul_f32 v51, v212, v125 :: v_dual_mul_f32 v53, v214, v127
	s_wait_loadcnt_dscnt 0x500
	v_dual_mul_f32 v17, v221, v133 :: v_dual_add_f32 v7, v7, v47
	s_delay_alu instid0(VALU_DEP_3) | instskip(NEXT) | instid1(VALU_DEP_3)
	v_dual_add_f32 v9, v9, v19 :: v_dual_fma_f32 v23, v212, v124, -v23
	v_dual_mul_f32 v19, v223, v135 :: v_dual_fmac_f32 v51, v213, v124
	s_delay_alu instid0(VALU_DEP_3) | instskip(NEXT) | instid1(VALU_DEP_3)
	v_dual_add_f32 v7, v7, v49 :: v_dual_fma_f32 v11, v214, v126, -v11
	v_dual_add_f32 v9, v9, v21 :: v_dual_fmac_f32 v53, v215, v126
	v_dual_mul_f32 v55, v216, v129 :: v_dual_mul_f32 v57, v218, v131
	s_delay_alu instid0(VALU_DEP_3) | instskip(SKIP_1) | instid1(VALU_DEP_3)
	v_add_f32_e32 v7, v7, v51
	s_wait_loadcnt 0x4
	v_dual_add_f32 v9, v9, v23 :: v_dual_mov_b32 v82, v139
	s_delay_alu instid0(VALU_DEP_3) | instskip(NEXT) | instid1(VALU_DEP_2)
	v_dual_fmac_f32 v55, v217, v128 :: v_dual_fma_f32 v13, v216, v128, -v13
	v_dual_add_f32 v7, v7, v53 :: v_dual_add_f32 v9, v9, v11
	v_dual_fmac_f32 v57, v219, v130 :: v_dual_mul_f32 v235, v220, v133
	v_mul_f32_e32 v237, v222, v135
	s_delay_alu instid0(VALU_DEP_3) | instskip(SKIP_4) | instid1(VALU_DEP_3)
	v_dual_fma_f32 v11, v218, v130, -v15 :: v_dual_add_f32 v7, v7, v55
	s_wait_loadcnt 0x3
	v_dual_add_f32 v9, v9, v13 :: v_dual_mov_b32 v86, v143
	v_pk_mul_f32 v[80:81], v[152:153], v[136:137] op_sel:[1,1] op_sel_hi:[0,1]
	v_dual_fmac_f32 v235, v221, v132 :: v_dual_fma_f32 v234, v220, v132, -v17
	v_dual_add_f32 v89, v7, v57 :: v_dual_add_f32 v88, v9, v11
	v_dual_fmac_f32 v237, v223, v134 :: v_dual_fma_f32 v236, v222, v134, -v19
	s_delay_alu instid0(VALU_DEP_4) | instskip(SKIP_1) | instid1(VALU_DEP_4)
	v_pk_fma_f32 v[90:91], v[152:153], v[136:137], v[80:81] op_sel_hi:[1,0,1]
	v_pk_mul_f32 v[82:83], v[226:227], v[82:83] op_sel_hi:[1,0]
	v_pk_add_f32 v[88:89], v[88:89], v[234:235]
	v_pk_fma_f32 v[80:81], v[152:153], v[136:137], v[80:81] neg_lo:[0,0,1] neg_hi:[0,0,1]
	v_pk_mul_f32 v[84:85], v[156:157], v[140:141] op_sel:[1,1] op_sel_hi:[0,1]
	v_mov_b32_e32 v81, v91
	v_pk_fma_f32 v[90:91], v[154:155], v[138:139], v[82:83] op_sel_hi:[1,0,1]
	v_pk_add_f32 v[88:89], v[88:89], v[236:237]
	v_pk_fma_f32 v[82:83], v[154:155], v[138:139], v[82:83] neg_lo:[0,0,1] neg_hi:[0,0,1]
	v_pk_fma_f32 v[94:95], v[156:157], v[140:141], v[84:85] op_sel_hi:[1,0,1]
	v_pk_mul_f32 v[86:87], v[228:229], v[86:87] op_sel_hi:[1,0]
	v_mov_b32_e32 v83, v91
	v_pk_add_f32 v[80:81], v[88:89], v[80:81]
	s_wait_loadcnt 0x2
	v_pk_mul_f32 v[92:93], v[160:161], v[144:145] op_sel:[1,1] op_sel_hi:[0,1]
	v_mov_b32_e32 v88, v147
	v_pk_fma_f32 v[84:85], v[156:157], v[140:141], v[84:85] neg_lo:[0,0,1] neg_hi:[0,0,1]
	v_mov_b32_e32 v85, v95
	v_pk_fma_f32 v[90:91], v[158:159], v[142:143], v[86:87] op_sel_hi:[1,0,1]
	v_pk_add_f32 v[80:81], v[80:81], v[82:83]
	v_pk_fma_f32 v[82:83], v[160:161], v[144:145], v[92:93] op_sel_hi:[1,0,1]
	v_pk_mul_f32 v[88:89], v[230:231], v[88:89] op_sel_hi:[1,0]
	v_pk_fma_f32 v[86:87], v[158:159], v[142:143], v[86:87] neg_lo:[0,0,1] neg_hi:[0,0,1]
	v_mov_b32_e32 v87, v91
	v_pk_add_f32 v[80:81], v[80:81], v[84:85]
	v_pk_fma_f32 v[90:91], v[160:161], v[144:145], v[92:93] neg_lo:[0,0,1] neg_hi:[0,0,1]
	v_mov_b32_e32 v91, v83
	v_pk_fma_f32 v[82:83], v[162:163], v[146:147], v[88:89] op_sel_hi:[1,0,1]
	s_wait_loadcnt 0x1
	v_pk_mul_f32 v[84:85], v[164:165], v[148:149] op_sel:[1,1] op_sel_hi:[0,1]
	v_pk_add_f32 v[80:81], v[80:81], v[86:87]
	v_mov_b32_e32 v82, v151
	v_pk_fma_f32 v[88:89], v[162:163], v[146:147], v[88:89] neg_lo:[0,0,1] neg_hi:[0,0,1]
	v_mov_b32_e32 v89, v83
	v_pk_fma_f32 v[86:87], v[164:165], v[148:149], v[84:85] op_sel_hi:[1,0,1]
	v_pk_add_f32 v[80:81], v[80:81], v[90:91]
	v_pk_mul_f32 v[82:83], v[232:233], v[82:83] op_sel_hi:[1,0]
	v_pk_fma_f32 v[84:85], v[164:165], v[148:149], v[84:85] neg_lo:[0,0,1] neg_hi:[0,0,1]
	s_delay_alu instid0(VALU_DEP_4) | instskip(NEXT) | instid1(VALU_DEP_4)
	v_mov_b32_e32 v85, v87
	v_pk_add_f32 v[80:81], v[80:81], v[88:89]
	s_delay_alu instid0(VALU_DEP_4) | instskip(SKIP_1) | instid1(VALU_DEP_2)
	v_pk_fma_f32 v[86:87], v[166:167], v[150:151], v[82:83] op_sel_hi:[1,0,1]
	v_pk_fma_f32 v[82:83], v[166:167], v[150:151], v[82:83] neg_lo:[0,0,1] neg_hi:[0,0,1]
	v_mov_b32_e32 v83, v87
	s_delay_alu instid0(VALU_DEP_4) | instskip(NEXT) | instid1(VALU_DEP_1)
	v_pk_add_f32 v[80:81], v[80:81], v[84:85]
	v_pk_add_f32 v[80:81], v[80:81], v[82:83]
	s_wait_loadcnt 0x0
	s_delay_alu instid0(VALU_DEP_1)
	v_pk_add_f32 v[80:81], v[224:225], v[80:81] neg_lo:[0,1] neg_hi:[0,1]
	scratch_store_b64 off, v[80:81], off offset:16
	s_wait_xcnt 0x0
	v_cmpx_lt_u32_e32 1, v0
	s_cbranch_execz .LBB102_245
; %bb.244:
	scratch_load_b64 v[80:81], off, off offset:8
	v_mov_b64_e32 v[82:83], 0
	scratch_store_b64 off, v[82:83], off offset:8
	s_wait_loadcnt 0x0
	ds_store_b64 v1, v[80:81]
.LBB102_245:
	s_wait_xcnt 0x0
	s_or_b32 exec_lo, exec_lo, s0
	s_wait_storecnt_dscnt 0x0
	s_barrier_signal -1
	s_barrier_wait -1
	s_clause 0x13
	scratch_load_b128 v[82:85], off, off offset:16
	scratch_load_b128 v[86:89], off, off offset:32
	;; [unrolled: 1-line block ×18, first 2 shown]
	scratch_load_b64 v[226:227], off, off offset:304
	scratch_load_b64 v[228:229], off, off offset:8
	v_dual_mov_b32 v80, 0 :: v_dual_ashrrev_i32 v47, 31, v46
	v_dual_ashrrev_i32 v7, 31, v6 :: v_dual_ashrrev_i32 v9, 31, v8
	v_dual_ashrrev_i32 v11, 31, v10 :: v_dual_ashrrev_i32 v13, 31, v12
	ds_load_b128 v[154:157], v80 offset:560
	ds_load_b128 v[158:161], v80 offset:576
	;; [unrolled: 1-line block ×18, first 2 shown]
	ds_load_b64 v[230:231], v80 offset:624
	v_dual_ashrrev_i32 v15, 31, v14 :: v_dual_ashrrev_i32 v17, 31, v16
	s_wait_dscnt 0x11
	v_dual_mov_b32 v234, v161 :: v_dual_mov_b32 v235, v160
	s_wait_dscnt 0x10
	v_dual_mov_b32 v236, v165 :: v_dual_mov_b32 v237, v164
	;; [unrolled: 2-line block ×3, first 2 shown]
	v_dual_ashrrev_i32 v19, 31, v18 :: v_dual_ashrrev_i32 v21, 31, v20
	v_dual_ashrrev_i32 v23, 31, v22 :: v_dual_ashrrev_i32 v25, 31, v24
	;; [unrolled: 1-line block ×5, first 2 shown]
	v_dual_mov_b32 v232, v157 :: v_dual_mov_b32 v233, v156
	v_dual_ashrrev_i32 v39, 31, v38 :: v_dual_ashrrev_i32 v41, 31, v40
	v_dual_ashrrev_i32 v43, 31, v42 :: v_dual_ashrrev_i32 v45, 31, v44
	v_dual_ashrrev_i32 v49, 31, v48 :: v_dual_ashrrev_i32 v51, 31, v50
	v_dual_ashrrev_i32 v53, 31, v52 :: v_dual_ashrrev_i32 v55, 31, v54
	s_mov_b32 s0, exec_lo
	s_wait_loadcnt 0x13
	v_dual_mul_f32 v57, v166, v83 :: v_dual_mul_f32 v59, v168, v85
	v_dual_mul_f32 v83, v167, v83 :: v_dual_mul_f32 v85, v169, v85
	s_wait_loadcnt 0x12
	v_dual_mul_f32 v61, v170, v87 :: v_dual_mul_f32 v63, v172, v89
	s_delay_alu instid0(VALU_DEP_3)
	v_dual_fmac_f32 v57, v167, v82 :: v_dual_fmac_f32 v59, v169, v84
	s_wait_loadcnt_dscnt 0xc07
	v_dual_mul_f32 v241, v198, v111 :: v_dual_mul_f32 v242, v200, v113
	v_dual_fma_f32 v82, v166, v82, -v83 :: v_dual_fma_f32 v84, v168, v84, -v85
	s_wait_loadcnt_dscnt 0x904
	v_dual_mul_f32 v243, v210, v123 :: v_dual_mul_f32 v85, v173, v89
	v_dual_mul_f32 v83, v171, v87 :: v_dual_mul_f32 v87, v212, v125
	s_delay_alu instid0(VALU_DEP_3) | instskip(SKIP_1) | instid1(VALU_DEP_3)
	v_dual_add_f32 v57, 0, v57 :: v_dual_add_f32 v82, 0, v82
	v_dual_fmac_f32 v61, v171, v86 :: v_dual_fmac_f32 v63, v173, v88
	v_dual_fma_f32 v86, v170, v86, -v83 :: v_dual_fma_f32 v88, v172, v88, -v85
	s_wait_loadcnt_dscnt 0x702
	v_dual_mul_f32 v171, v218, v131 :: v_dual_mul_f32 v172, v220, v133
	v_dual_add_f32 v57, v57, v59 :: v_dual_add_f32 v59, v82, v84
	v_dual_mul_f32 v65, v178, v91 :: v_dual_mul_f32 v67, v180, v93
	s_wait_loadcnt 0x5
	s_delay_alu instid0(VALU_DEP_2) | instskip(SKIP_1) | instid1(VALU_DEP_3)
	v_dual_mul_f32 v85, v154, v139 :: v_dual_add_f32 v57, v57, v61
	v_dual_mul_f32 v82, v179, v91 :: v_dual_mul_f32 v61, v181, v93
	v_dual_add_f32 v59, v59, v86 :: v_dual_fmac_f32 v67, v181, v92
	s_delay_alu instid0(VALU_DEP_2) | instskip(SKIP_1) | instid1(VALU_DEP_3)
	v_dual_mul_f32 v84, v183, v95 :: v_dual_fma_f32 v82, v178, v90, -v82
	v_dual_fmac_f32 v65, v179, v90 :: v_dual_mul_f32 v86, v185, v97
	v_dual_add_f32 v57, v57, v63 :: v_dual_add_f32 v59, v59, v88
	v_dual_mul_f32 v69, v182, v95 :: v_dual_mul_f32 v71, v184, v97
	v_dual_fma_f32 v61, v180, v92, -v61 :: v_dual_mul_f32 v90, v187, v99
	s_delay_alu instid0(VALU_DEP_3) | instskip(NEXT) | instid1(VALU_DEP_4)
	v_dual_mul_f32 v91, v193, v105 :: v_dual_add_f32 v59, v59, v82
	v_dual_add_f32 v57, v57, v65 :: v_dual_mul_f32 v65, v195, v107
	s_delay_alu instid0(VALU_DEP_4) | instskip(NEXT) | instid1(VALU_DEP_2)
	v_dual_fmac_f32 v69, v183, v94 :: v_dual_fma_f32 v82, v182, v94, -v84
	v_dual_add_f32 v59, v59, v61 :: v_dual_add_f32 v57, v57, v67
	v_dual_mul_f32 v73, v186, v99 :: v_dual_mul_f32 v75, v188, v101
	v_dual_mul_f32 v61, v197, v109 :: v_dual_fma_f32 v67, v184, v96, -v86
	s_delay_alu instid0(VALU_DEP_3) | instskip(NEXT) | instid1(VALU_DEP_4)
	v_dual_fmac_f32 v71, v185, v96 :: v_dual_add_f32 v59, v59, v82
	v_dual_add_f32 v57, v57, v69 :: v_dual_mul_f32 v69, v199, v111
	v_dual_mul_f32 v63, v189, v101 :: v_dual_mul_f32 v88, v191, v103
	v_dual_fmac_f32 v73, v187, v98 :: v_dual_fma_f32 v82, v186, v98, -v90
	s_delay_alu instid0(VALU_DEP_2) | instskip(SKIP_2) | instid1(VALU_DEP_2)
	v_dual_add_f32 v57, v57, v71 :: v_dual_fma_f32 v63, v188, v100, -v63
	v_dual_add_f32 v59, v59, v67 :: v_dual_mul_f32 v67, v201, v113
	v_dual_mul_f32 v77, v190, v103 :: v_dual_mul_f32 v79, v192, v105
	v_dual_fmac_f32 v75, v189, v100 :: v_dual_add_f32 v59, v59, v82
	s_delay_alu instid0(VALU_DEP_4) | instskip(NEXT) | instid1(VALU_DEP_3)
	v_dual_add_f32 v57, v57, v73 :: v_dual_mul_f32 v71, v203, v115
	v_dual_fmac_f32 v77, v191, v102 :: v_dual_fma_f32 v73, v190, v102, -v88
	s_delay_alu instid0(VALU_DEP_3) | instskip(NEXT) | instid1(VALU_DEP_3)
	v_dual_add_f32 v59, v59, v63 :: v_dual_mul_f32 v63, v205, v117
	v_dual_add_f32 v57, v57, v75 :: v_dual_fma_f32 v75, v192, v104, -v91
	v_dual_mul_f32 v81, v194, v107 :: v_dual_mul_f32 v240, v196, v109
	s_delay_alu instid0(VALU_DEP_3) | instskip(NEXT) | instid1(VALU_DEP_3)
	v_dual_fmac_f32 v79, v193, v104 :: v_dual_add_f32 v59, v59, v73
	v_dual_add_f32 v57, v57, v77 :: v_dual_mul_f32 v73, v207, v119
	s_delay_alu instid0(VALU_DEP_3) | instskip(NEXT) | instid1(VALU_DEP_3)
	v_fmac_f32_e32 v81, v195, v106
	v_dual_fma_f32 v65, v194, v106, -v65 :: v_dual_add_f32 v59, v59, v75
	s_delay_alu instid0(VALU_DEP_3) | instskip(SKIP_1) | instid1(VALU_DEP_3)
	v_add_f32_e32 v57, v57, v79
	v_dual_mul_f32 v75, v209, v121 :: v_dual_fma_f32 v61, v196, v108, -v61
	v_dual_fmac_f32 v240, v197, v108 :: v_dual_add_f32 v59, v59, v65
	s_delay_alu instid0(VALU_DEP_3) | instskip(SKIP_1) | instid1(VALU_DEP_3)
	v_dual_add_f32 v57, v57, v81 :: v_dual_mul_f32 v65, v211, v123
	v_fmac_f32_e32 v241, v199, v110
	v_dual_fma_f32 v69, v198, v110, -v69 :: v_dual_add_f32 v59, v59, v61
	s_delay_alu instid0(VALU_DEP_3) | instskip(SKIP_2) | instid1(VALU_DEP_4)
	v_dual_add_f32 v57, v57, v240 :: v_dual_mul_f32 v166, v202, v115
	v_mul_f32_e32 v167, v204, v117
	v_dual_mul_f32 v61, v213, v125 :: v_dual_fma_f32 v67, v200, v112, -v67
	v_dual_fmac_f32 v242, v201, v112 :: v_dual_add_f32 v59, v59, v69
	s_delay_alu instid0(VALU_DEP_4) | instskip(SKIP_1) | instid1(VALU_DEP_2)
	v_dual_add_f32 v57, v57, v241 :: v_dual_mul_f32 v69, v215, v127
	v_dual_fmac_f32 v166, v203, v114 :: v_dual_fma_f32 v71, v202, v114, -v71
	v_dual_add_f32 v59, v59, v67 :: v_dual_add_f32 v57, v57, v242
	v_dual_mul_f32 v168, v206, v119 :: v_dual_mul_f32 v169, v208, v121
	v_dual_mul_f32 v67, v217, v129 :: v_dual_fma_f32 v63, v204, v116, -v63
	s_delay_alu instid0(VALU_DEP_3) | instskip(NEXT) | instid1(VALU_DEP_4)
	v_dual_fmac_f32 v167, v205, v116 :: v_dual_add_f32 v59, v59, v71
	v_dual_add_f32 v57, v57, v166 :: v_dual_mul_f32 v71, v219, v131
	s_delay_alu instid0(VALU_DEP_4) | instskip(NEXT) | instid1(VALU_DEP_3)
	v_dual_fmac_f32 v168, v207, v118 :: v_dual_fma_f32 v73, v206, v118, -v73
	v_dual_add_f32 v59, v59, v63 :: v_dual_mul_f32 v63, v221, v133
	s_delay_alu instid0(VALU_DEP_3) | instskip(NEXT) | instid1(VALU_DEP_2)
	v_dual_add_f32 v57, v57, v167 :: v_dual_fma_f32 v75, v208, v120, -v75
	v_dual_fmac_f32 v169, v209, v120 :: v_dual_add_f32 v59, v59, v73
	s_wait_dscnt 0x1
	s_delay_alu instid0(VALU_DEP_2) | instskip(SKIP_1) | instid1(VALU_DEP_3)
	v_dual_mul_f32 v73, v223, v135 :: v_dual_add_f32 v57, v57, v168
	v_dual_fmac_f32 v243, v211, v122 :: v_dual_fma_f32 v65, v210, v122, -v65
	v_add_f32_e32 v59, v59, v75
	v_dual_mul_f32 v89, v214, v127 :: v_dual_mul_f32 v170, v216, v129
	s_delay_alu instid0(VALU_DEP_4) | instskip(SKIP_1) | instid1(VALU_DEP_4)
	v_add_f32_e32 v57, v57, v169
	v_dual_mul_f32 v75, v225, v137 :: v_dual_fma_f32 v61, v212, v124, -v61
	v_dual_fmac_f32 v87, v213, v124 :: v_dual_add_f32 v59, v59, v65
	s_delay_alu instid0(VALU_DEP_3) | instskip(SKIP_1) | instid1(VALU_DEP_2)
	v_dual_add_f32 v57, v57, v243 :: v_dual_fmac_f32 v89, v215, v126
	v_dual_mul_f32 v65, v155, v139 :: v_dual_fma_f32 v69, v214, v126, -v69
	v_dual_add_f32 v59, v59, v61 :: v_dual_add_f32 v57, v57, v87
	v_dual_mov_b32 v84, v141 :: v_dual_fma_f32 v61, v216, v128, -v67
	s_delay_alu instid0(VALU_DEP_2) | instskip(NEXT) | instid1(VALU_DEP_3)
	v_dual_fmac_f32 v170, v217, v128 :: v_dual_add_f32 v59, v59, v69
	v_dual_add_f32 v57, v57, v89 :: v_dual_fmac_f32 v171, v219, v130
	v_fma_f32 v67, v218, v130, -v71
	v_dual_mul_f32 v173, v222, v135 :: v_dual_mul_f32 v83, v224, v137
	s_delay_alu instid0(VALU_DEP_3) | instskip(SKIP_2) | instid1(VALU_DEP_3)
	v_dual_add_f32 v57, v57, v170 :: v_dual_add_f32 v59, v59, v61
	s_wait_loadcnt 0x4
	v_mov_b32_e32 v88, v145
	v_dual_fmac_f32 v172, v221, v132 :: v_dual_fmac_f32 v173, v223, v134
	s_delay_alu instid0(VALU_DEP_3) | instskip(SKIP_3) | instid1(VALU_DEP_4)
	v_dual_fma_f32 v61, v220, v132, -v63 :: v_dual_add_f32 v57, v57, v171
	v_dual_fma_f32 v63, v222, v134, -v73 :: v_dual_add_f32 v59, v59, v67
	v_pk_mul_f32 v[92:93], v[232:233], v[84:85] op_sel_hi:[1,0]
	v_pk_mul_f32 v[86:87], v[158:159], v[142:143] op_sel:[1,1] op_sel_hi:[0,1]
	v_add_f32_e32 v57, v57, v172
	s_wait_loadcnt 0x3
	v_dual_mov_b32 v96, v149 :: v_dual_fmac_f32 v85, v155, v138
	v_dual_add_f32 v59, v59, v61 :: v_dual_fmac_f32 v83, v225, v136
	s_delay_alu instid0(VALU_DEP_3) | instskip(SKIP_1) | instid1(VALU_DEP_3)
	v_dual_fma_f32 v82, v224, v136, -v75 :: v_dual_add_f32 v95, v57, v173
	v_pk_fma_f32 v[98:99], v[156:157], v[140:141], v[92:93] op_sel_hi:[1,0,1]
	v_dual_add_f32 v94, v59, v63 :: v_dual_fma_f32 v84, v154, v138, -v65
	v_pk_fma_f32 v[92:93], v[156:157], v[140:141], v[92:93] neg_lo:[0,0,1] neg_hi:[0,0,1]
	v_pk_mul_f32 v[88:89], v[234:235], v[88:89] op_sel_hi:[1,0]
	s_delay_alu instid0(VALU_DEP_4) | instskip(NEXT) | instid1(VALU_DEP_4)
	v_mov_b32_e32 v93, v99
	v_pk_add_f32 v[82:83], v[94:95], v[82:83]
	v_pk_fma_f32 v[94:95], v[158:159], v[142:143], v[86:87] op_sel_hi:[1,0,1]
	v_pk_fma_f32 v[86:87], v[158:159], v[142:143], v[86:87] neg_lo:[0,0,1] neg_hi:[0,0,1]
	v_pk_mul_f32 v[90:91], v[162:163], v[146:147] op_sel:[1,1] op_sel_hi:[0,1]
	v_pk_mul_f32 v[96:97], v[236:237], v[96:97] op_sel_hi:[1,0]
	v_pk_add_f32 v[82:83], v[82:83], v[84:85]
	v_mov_b32_e32 v87, v95
	v_pk_fma_f32 v[94:95], v[160:161], v[144:145], v[88:89] op_sel_hi:[1,0,1]
	v_pk_fma_f32 v[88:89], v[160:161], v[144:145], v[88:89] neg_lo:[0,0,1] neg_hi:[0,0,1]
	s_wait_loadcnt 0x2
	v_pk_mul_f32 v[84:85], v[174:175], v[150:151] op_sel:[1,1] op_sel_hi:[0,1]
	v_pk_add_f32 v[82:83], v[82:83], v[92:93]
	v_pk_fma_f32 v[92:93], v[162:163], v[146:147], v[90:91] op_sel_hi:[1,0,1]
	v_mov_b32_e32 v89, v95
	v_pk_fma_f32 v[90:91], v[162:163], v[146:147], v[90:91] neg_lo:[0,0,1] neg_hi:[0,0,1]
	v_pk_fma_f32 v[94:95], v[164:165], v[148:149], v[96:97] neg_lo:[0,0,1] neg_hi:[0,0,1]
	v_pk_add_f32 v[82:83], v[82:83], v[86:87]
	v_dual_mov_b32 v86, v153 :: v_dual_mov_b32 v91, v93
	v_pk_fma_f32 v[92:93], v[164:165], v[148:149], v[96:97] op_sel_hi:[1,0,1]
	v_ashrrev_i32_e32 v57, 31, v56
	s_delay_alu instid0(VALU_DEP_4)
	v_pk_add_f32 v[82:83], v[82:83], v[88:89]
	v_pk_fma_f32 v[88:89], v[174:175], v[150:151], v[84:85] op_sel_hi:[1,0,1]
	v_pk_mul_f32 v[86:87], v[238:239], v[86:87] op_sel_hi:[1,0]
	v_mov_b32_e32 v95, v93
	v_pk_fma_f32 v[84:85], v[174:175], v[150:151], v[84:85] neg_lo:[0,0,1] neg_hi:[0,0,1]
	v_pk_add_f32 v[82:83], v[82:83], v[90:91]
	v_dual_mov_b32 v85, v89 :: v_dual_ashrrev_i32 v59, 31, v58
	v_pk_fma_f32 v[88:89], v[176:177], v[152:153], v[86:87] op_sel_hi:[1,0,1]
	s_wait_loadcnt_dscnt 0x100
	v_pk_mul_f32 v[90:91], v[230:231], v[226:227] op_sel:[1,1] op_sel_hi:[0,1]
	v_pk_add_f32 v[82:83], v[82:83], v[94:95]
	v_pk_fma_f32 v[86:87], v[176:177], v[152:153], v[86:87] neg_lo:[0,0,1] neg_hi:[0,0,1]
	v_dual_ashrrev_i32 v61, 31, v60 :: v_dual_mov_b32 v87, v89
	s_delay_alu instid0(VALU_DEP_4) | instskip(NEXT) | instid1(VALU_DEP_4)
	v_pk_fma_f32 v[88:89], v[230:231], v[226:227], v[90:91] neg_lo:[0,0,1] neg_hi:[0,0,1]
	v_pk_add_f32 v[82:83], v[82:83], v[84:85]
	v_pk_fma_f32 v[84:85], v[230:231], v[226:227], v[90:91] op_sel_hi:[1,0,1]
	v_dual_ashrrev_i32 v63, 31, v62 :: v_dual_ashrrev_i32 v65, 31, v64
	v_ashrrev_i32_e32 v67, 31, v66
	s_delay_alu instid0(VALU_DEP_4) | instskip(NEXT) | instid1(VALU_DEP_4)
	v_pk_add_f32 v[82:83], v[82:83], v[86:87]
	v_dual_mov_b32 v89, v85 :: v_dual_ashrrev_i32 v69, 31, v68
	v_dual_ashrrev_i32 v71, 31, v70 :: v_dual_ashrrev_i32 v73, 31, v72
	v_ashrrev_i32_e32 v75, 31, v74
	s_delay_alu instid0(VALU_DEP_3) | instskip(SKIP_2) | instid1(VALU_DEP_2)
	v_pk_add_f32 v[82:83], v[82:83], v[88:89]
	v_dual_ashrrev_i32 v77, 31, v76 :: v_dual_ashrrev_i32 v79, 31, v78
	s_wait_loadcnt 0x0
	v_pk_add_f32 v[82:83], v[228:229], v[82:83] neg_lo:[0,1] neg_hi:[0,1]
	scratch_store_b64 off, v[82:83], off offset:8
	s_wait_xcnt 0x0
	v_cmpx_ne_u32_e32 0, v0
	s_cbranch_execz .LBB102_247
; %bb.246:
	scratch_load_b64 v[82:83], off, off
	v_mov_b64_e32 v[84:85], 0
	scratch_store_b64 off, v[84:85], off
	s_wait_loadcnt 0x0
	ds_store_b64 v1, v[82:83]
.LBB102_247:
	s_wait_xcnt 0x0
	s_or_b32 exec_lo, exec_lo, s0
	s_wait_storecnt_dscnt 0x0
	s_barrier_signal -1
	s_barrier_wait -1
	s_clause 0xe
	scratch_load_b128 v[86:89], off, off offset:8
	scratch_load_b128 v[94:97], off, off offset:24
	;; [unrolled: 1-line block ×15, first 2 shown]
	ds_load_2addr_b64 v[82:85], v80 offset0:41 offset1:42
	ds_load_2addr_b64 v[90:93], v80 offset0:43 offset1:44
	;; [unrolled: 1-line block ×15, first 2 shown]
	s_clause 0x3
	scratch_load_b128 v[202:205], off, off offset:248
	scratch_load_b128 v[206:209], off, off offset:264
	;; [unrolled: 1-line block ×4, first 2 shown]
	s_and_b32 vcc_lo, exec_lo, s12
	s_wait_loadcnt_dscnt 0x120e
	v_dual_mul_f32 v0, v82, v87 :: v_dual_mul_f32 v1, v84, v89
	s_wait_loadcnt_dscnt 0x100c
	v_dual_mul_f32 v219, v194, v199 :: v_dual_mul_f32 v221, v196, v201
	s_delay_alu instid0(VALU_DEP_2) | instskip(NEXT) | instid1(VALU_DEP_2)
	v_dual_mul_f32 v81, v85, v89 :: v_dual_fmac_f32 v0, v83, v86
	v_dual_fmac_f32 v1, v85, v88 :: v_dual_fmac_f32 v219, v195, v198
	s_delay_alu instid0(VALU_DEP_3) | instskip(NEXT) | instid1(VALU_DEP_3)
	v_fmac_f32_e32 v221, v197, v200
	v_fma_f32 v81, v84, v88, -v81
	s_delay_alu instid0(VALU_DEP_4) | instskip(NEXT) | instid1(VALU_DEP_1)
	v_add_f32_e32 v0, 0, v0
	v_dual_add_f32 v0, v0, v1 :: v_dual_mul_f32 v1, v90, v95
	s_delay_alu instid0(VALU_DEP_1) | instskip(NEXT) | instid1(VALU_DEP_1)
	v_fmac_f32_e32 v1, v91, v94
	v_add_f32_e32 v0, v0, v1
	v_mul_f32_e32 v1, v92, v97
	s_delay_alu instid0(VALU_DEP_1) | instskip(SKIP_1) | instid1(VALU_DEP_1)
	v_fmac_f32_e32 v1, v93, v96
	s_wait_loadcnt_dscnt 0xf0b
	v_dual_add_f32 v0, v0, v1 :: v_dual_mul_f32 v1, v98, v103
	s_delay_alu instid0(VALU_DEP_1) | instskip(NEXT) | instid1(VALU_DEP_1)
	v_fmac_f32_e32 v1, v99, v102
	v_add_f32_e32 v0, v0, v1
	v_mul_f32_e32 v1, v100, v105
	s_delay_alu instid0(VALU_DEP_1) | instskip(SKIP_1) | instid1(VALU_DEP_1)
	v_fmac_f32_e32 v1, v101, v104
	s_wait_loadcnt_dscnt 0xe0a
	;; [unrolled: 8-line block ×12, first 2 shown]
	v_dual_add_f32 v0, v0, v1 :: v_dual_mul_f32 v1, v186, v191
	s_delay_alu instid0(VALU_DEP_1) | instskip(NEXT) | instid1(VALU_DEP_1)
	v_fmac_f32_e32 v1, v187, v190
	v_add_f32_e32 v0, v0, v1
	v_mul_f32_e32 v1, v188, v193
	s_delay_alu instid0(VALU_DEP_1) | instskip(NEXT) | instid1(VALU_DEP_1)
	v_fmac_f32_e32 v1, v189, v192
	v_dual_add_f32 v1, v0, v1 :: v_dual_mul_f32 v0, v83, v87
	s_delay_alu instid0(VALU_DEP_1) | instskip(NEXT) | instid1(VALU_DEP_1)
	v_fma_f32 v0, v82, v86, -v0
	v_add_f32_e32 v0, 0, v0
	s_delay_alu instid0(VALU_DEP_1) | instskip(NEXT) | instid1(VALU_DEP_1)
	v_dual_add_f32 v0, v0, v81 :: v_dual_mul_f32 v81, v91, v95
	v_fma_f32 v81, v90, v94, -v81
	s_delay_alu instid0(VALU_DEP_1) | instskip(SKIP_1) | instid1(VALU_DEP_1)
	v_add_f32_e32 v0, v0, v81
	v_mul_f32_e32 v81, v93, v97
	v_fma_f32 v81, v92, v96, -v81
	ds_load_2addr_b64 v[82:85], v80 offset0:71 offset1:72
	ds_load_2addr_b64 v[86:89], v80 offset0:73 offset1:74
	;; [unrolled: 1-line block ×4, first 2 shown]
	v_dual_add_f32 v0, v0, v81 :: v_dual_mul_f32 v81, v99, v103
	s_delay_alu instid0(VALU_DEP_1) | instskip(NEXT) | instid1(VALU_DEP_1)
	v_fma_f32 v81, v98, v102, -v81
	v_add_f32_e32 v0, v0, v81
	v_mul_f32_e32 v81, v101, v105
	s_delay_alu instid0(VALU_DEP_1) | instskip(NEXT) | instid1(VALU_DEP_1)
	v_fma_f32 v81, v100, v104, -v81
	v_dual_add_f32 v0, v0, v81 :: v_dual_mul_f32 v81, v107, v111
	s_delay_alu instid0(VALU_DEP_1) | instskip(NEXT) | instid1(VALU_DEP_1)
	v_fma_f32 v81, v106, v110, -v81
	v_add_f32_e32 v0, v0, v81
	v_mul_f32_e32 v81, v109, v113
	s_delay_alu instid0(VALU_DEP_1) | instskip(NEXT) | instid1(VALU_DEP_1)
	v_fma_f32 v81, v108, v112, -v81
	;; [unrolled: 7-line block ×12, first 2 shown]
	v_dual_add_f32 v0, v0, v81 :: v_dual_mul_f32 v81, v195, v199
	s_delay_alu instid0(VALU_DEP_1) | instskip(NEXT) | instid1(VALU_DEP_1)
	v_dual_fma_f32 v218, v194, v198, -v81 :: v_dual_mul_f32 v81, v197, v201
	v_fma_f32 v220, v196, v200, -v81
	s_wait_loadcnt_dscnt 0x303
	v_pk_mul_f32 v[80:81], v[82:83], v[202:203] op_sel:[1,1] op_sel_hi:[0,1]
	s_delay_alu instid0(VALU_DEP_1) | instskip(SKIP_2) | instid1(VALU_DEP_2)
	v_pk_fma_f32 v[98:99], v[82:83], v[202:203], v[80:81] neg_lo:[0,0,1] neg_hi:[0,0,1]
	v_pk_fma_f32 v[80:81], v[82:83], v[202:203], v[80:81] op_sel_hi:[1,0,1]
	v_dual_mov_b32 v80, v85 :: v_dual_mov_b32 v82, v205
	v_dual_mov_b32 v99, v81 :: v_dual_mov_b32 v81, v84
	s_delay_alu instid0(VALU_DEP_1) | instskip(NEXT) | instid1(VALU_DEP_1)
	v_pk_mul_f32 v[80:81], v[80:81], v[82:83] op_sel_hi:[1,0]
	v_pk_fma_f32 v[82:83], v[84:85], v[204:205], v[80:81] neg_lo:[0,0,1] neg_hi:[0,0,1]
	v_pk_fma_f32 v[80:81], v[84:85], v[204:205], v[80:81] op_sel_hi:[1,0,1]
	s_delay_alu instid0(VALU_DEP_1) | instskip(SKIP_3) | instid1(VALU_DEP_2)
	v_mov_b32_e32 v83, v81
	v_pk_add_f32 v[0:1], v[0:1], v[218:219]
	s_wait_loadcnt_dscnt 0x202
	v_pk_mul_f32 v[80:81], v[86:87], v[206:207] op_sel:[1,1] op_sel_hi:[0,1]
	v_pk_add_f32 v[0:1], v[0:1], v[220:221]
	s_delay_alu instid0(VALU_DEP_1) | instskip(NEXT) | instid1(VALU_DEP_1)
	v_pk_add_f32 v[0:1], v[0:1], v[98:99]
	v_pk_add_f32 v[0:1], v[0:1], v[82:83]
	s_delay_alu instid0(VALU_DEP_4) | instskip(SKIP_1) | instid1(VALU_DEP_1)
	v_pk_fma_f32 v[82:83], v[86:87], v[206:207], v[80:81] neg_lo:[0,0,1] neg_hi:[0,0,1]
	v_pk_fma_f32 v[80:81], v[86:87], v[206:207], v[80:81] op_sel_hi:[1,0,1]
	v_dual_mov_b32 v80, v89 :: v_dual_mov_b32 v83, v81
	v_mov_b32_e32 v81, v88
	s_delay_alu instid0(VALU_DEP_2) | instskip(SKIP_1) | instid1(VALU_DEP_1)
	v_pk_add_f32 v[0:1], v[0:1], v[82:83]
	v_mov_b32_e32 v82, v209
	v_pk_mul_f32 v[80:81], v[80:81], v[82:83] op_sel_hi:[1,0]
	s_delay_alu instid0(VALU_DEP_1) | instskip(SKIP_1) | instid1(VALU_DEP_1)
	v_pk_fma_f32 v[82:83], v[88:89], v[208:209], v[80:81] neg_lo:[0,0,1] neg_hi:[0,0,1]
	v_pk_fma_f32 v[80:81], v[88:89], v[208:209], v[80:81] op_sel_hi:[1,0,1]
	v_mov_b32_e32 v83, v81
	s_wait_loadcnt_dscnt 0x101
	v_pk_mul_f32 v[80:81], v[90:91], v[210:211] op_sel:[1,1] op_sel_hi:[0,1]
	s_delay_alu instid0(VALU_DEP_2) | instskip(NEXT) | instid1(VALU_DEP_2)
	v_pk_add_f32 v[0:1], v[0:1], v[82:83]
	v_pk_fma_f32 v[82:83], v[90:91], v[210:211], v[80:81] neg_lo:[0,0,1] neg_hi:[0,0,1]
	v_pk_fma_f32 v[80:81], v[90:91], v[210:211], v[80:81] op_sel_hi:[1,0,1]
	s_delay_alu instid0(VALU_DEP_1) | instskip(SKIP_1) | instid1(VALU_DEP_2)
	v_dual_mov_b32 v80, v93 :: v_dual_mov_b32 v83, v81
	v_mov_b32_e32 v81, v92
	v_pk_add_f32 v[0:1], v[0:1], v[82:83]
	v_mov_b32_e32 v82, v213
	s_delay_alu instid0(VALU_DEP_1) | instskip(NEXT) | instid1(VALU_DEP_1)
	v_pk_mul_f32 v[80:81], v[80:81], v[82:83] op_sel_hi:[1,0]
	v_pk_fma_f32 v[82:83], v[92:93], v[212:213], v[80:81] neg_lo:[0,0,1] neg_hi:[0,0,1]
	v_pk_fma_f32 v[80:81], v[92:93], v[212:213], v[80:81] op_sel_hi:[1,0,1]
	s_delay_alu instid0(VALU_DEP_1) | instskip(SKIP_2) | instid1(VALU_DEP_2)
	v_mov_b32_e32 v83, v81
	s_wait_loadcnt_dscnt 0x0
	v_pk_mul_f32 v[80:81], v[94:95], v[214:215] op_sel:[1,1] op_sel_hi:[0,1]
	v_pk_add_f32 v[0:1], v[0:1], v[82:83]
	s_delay_alu instid0(VALU_DEP_2) | instskip(SKIP_1) | instid1(VALU_DEP_1)
	v_pk_fma_f32 v[82:83], v[94:95], v[214:215], v[80:81] neg_lo:[0,0,1] neg_hi:[0,0,1]
	v_pk_fma_f32 v[80:81], v[94:95], v[214:215], v[80:81] op_sel_hi:[1,0,1]
	v_dual_mov_b32 v80, v97 :: v_dual_mov_b32 v83, v81
	v_mov_b32_e32 v81, v96
	s_delay_alu instid0(VALU_DEP_2) | instskip(SKIP_1) | instid1(VALU_DEP_1)
	v_pk_add_f32 v[0:1], v[0:1], v[82:83]
	v_mov_b32_e32 v82, v217
	v_pk_mul_f32 v[80:81], v[80:81], v[82:83] op_sel_hi:[1,0]
	s_delay_alu instid0(VALU_DEP_1) | instskip(SKIP_1) | instid1(VALU_DEP_1)
	v_pk_fma_f32 v[82:83], v[96:97], v[216:217], v[80:81] neg_lo:[0,0,1] neg_hi:[0,0,1]
	v_pk_fma_f32 v[80:81], v[96:97], v[216:217], v[80:81] op_sel_hi:[1,0,1]
	v_mov_b32_e32 v83, v81
	scratch_load_b64 v[80:81], off, off
	v_pk_add_f32 v[0:1], v[0:1], v[82:83]
	s_wait_loadcnt 0x0
	s_delay_alu instid0(VALU_DEP_1)
	v_pk_add_f32 v[80:81], v[80:81], v[0:1] neg_lo:[0,1] neg_hi:[0,1]
	scratch_store_b64 off, v[80:81], off
	s_cbranch_vccz .LBB102_324
; %bb.248:
	v_mov_b32_e32 v0, 0
	global_load_b32 v1, v0, s[8:9] offset:148
	s_wait_loadcnt 0x0
	v_cmp_ne_u32_e32 vcc_lo, 38, v1
	s_cbranch_vccz .LBB102_250
; %bb.249:
	v_lshlrev_b32_e32 v1, 3, v1
	scratch_load_b64 v[80:81], v1, off offset:-8
	scratch_load_b64 v[82:83], off, off offset:296
	s_wait_loadcnt 0x1
	scratch_store_b64 off, v[80:81], off offset:296
	s_wait_loadcnt 0x0
	scratch_store_b64 v1, v[82:83], off offset:-8
.LBB102_250:
	global_load_b32 v0, v0, s[8:9] offset:144
	s_wait_loadcnt 0x0
	v_cmp_eq_u32_e32 vcc_lo, 37, v0
	s_cbranch_vccnz .LBB102_252
; %bb.251:
	s_wait_xcnt 0x0
	v_lshlrev_b32_e32 v0, 3, v0
	s_delay_alu instid0(VALU_DEP_1)
	v_mov_b32_e32 v82, v0
	scratch_load_b64 v[0:1], v82, off offset:-8
	scratch_load_b64 v[80:81], off, off offset:288
	s_wait_loadcnt 0x1
	scratch_store_b64 off, v[0:1], off offset:288
	s_wait_loadcnt 0x0
	scratch_store_b64 v82, v[80:81], off offset:-8
.LBB102_252:
	s_wait_xcnt 0x0
	v_mov_b32_e32 v0, 0
	global_load_b32 v1, v0, s[8:9] offset:140
	s_wait_loadcnt 0x0
	v_cmp_eq_u32_e32 vcc_lo, 36, v1
	s_cbranch_vccnz .LBB102_254
; %bb.253:
	v_lshlrev_b32_e32 v1, 3, v1
	scratch_load_b64 v[80:81], v1, off offset:-8
	scratch_load_b64 v[82:83], off, off offset:280
	s_wait_loadcnt 0x1
	scratch_store_b64 off, v[80:81], off offset:280
	s_wait_loadcnt 0x0
	scratch_store_b64 v1, v[82:83], off offset:-8
.LBB102_254:
	global_load_b32 v0, v0, s[8:9] offset:136
	s_wait_loadcnt 0x0
	v_cmp_eq_u32_e32 vcc_lo, 35, v0
	s_cbranch_vccnz .LBB102_256
; %bb.255:
	s_wait_xcnt 0x0
	v_lshlrev_b32_e32 v0, 3, v0
	s_delay_alu instid0(VALU_DEP_1)
	v_mov_b32_e32 v82, v0
	scratch_load_b64 v[0:1], v82, off offset:-8
	scratch_load_b64 v[80:81], off, off offset:272
	s_wait_loadcnt 0x1
	scratch_store_b64 off, v[0:1], off offset:272
	s_wait_loadcnt 0x0
	scratch_store_b64 v82, v[80:81], off offset:-8
.LBB102_256:
	s_wait_xcnt 0x0
	v_mov_b32_e32 v0, 0
	global_load_b32 v1, v0, s[8:9] offset:132
	s_wait_loadcnt 0x0
	v_cmp_eq_u32_e32 vcc_lo, 34, v1
	s_cbranch_vccnz .LBB102_258
; %bb.257:
	v_lshlrev_b32_e32 v1, 3, v1
	scratch_load_b64 v[80:81], v1, off offset:-8
	scratch_load_b64 v[82:83], off, off offset:264
	s_wait_loadcnt 0x1
	scratch_store_b64 off, v[80:81], off offset:264
	s_wait_loadcnt 0x0
	scratch_store_b64 v1, v[82:83], off offset:-8
.LBB102_258:
	;; [unrolled: 31-line block ×18, first 2 shown]
	global_load_b32 v0, v0, s[8:9]
	scratch_load_b64 v[80:81], off, off
	s_wait_loadcnt 0x1
	v_cmp_eq_u32_e32 vcc_lo, 1, v0
	s_cbranch_vccnz .LBB102_324
; %bb.323:
	s_wait_xcnt 0x1
	v_lshlrev_b32_e32 v0, 3, v0
	s_delay_alu instid0(VALU_DEP_1)
	v_mov_b32_e32 v82, v0
	scratch_load_b64 v[0:1], v82, off offset:-8
	s_wait_loadcnt 0x0
	scratch_store_b64 off, v[0:1], off
	scratch_store_b64 v82, v[80:81], off offset:-8
	scratch_load_b64 v[80:81], off, off
.LBB102_324:
	s_wait_loadcnt 0x0
	flat_store_b64 v[2:3], v[80:81]
	scratch_load_b64 v[2:3], off, off offset:8
	v_lshl_add_u64 v[116:117], v[6:7], 3, s[2:3]
	v_lshl_add_u64 v[114:115], v[8:9], 3, s[2:3]
	;; [unrolled: 1-line block ×37, first 2 shown]
	s_wait_loadcnt 0x0
	flat_store_b64 v[4:5], v[2:3]
	scratch_load_b64 v[2:3], off, off offset:16
	s_wait_loadcnt 0x0
	flat_store_b64 v[116:117], v[2:3]
	scratch_load_b64 v[2:3], off, off offset:24
	;; [unrolled: 3-line block ×37, first 2 shown]
	s_wait_loadcnt 0x0
	flat_store_b64 v[0:1], v[2:3]
	s_sendmsg sendmsg(MSG_DEALLOC_VGPRS)
	s_endpgm
	.section	.rodata,"a",@progbits
	.p2align	6, 0x0
	.amdhsa_kernel _ZN9rocsolver6v33100L18getri_kernel_smallILi39E19rocblas_complex_numIfEPKPS3_EEvT1_iilPiilS8_bb
		.amdhsa_group_segment_fixed_size 632
		.amdhsa_private_segment_fixed_size 320
		.amdhsa_kernarg_size 60
		.amdhsa_user_sgpr_count 2
		.amdhsa_user_sgpr_dispatch_ptr 0
		.amdhsa_user_sgpr_queue_ptr 0
		.amdhsa_user_sgpr_kernarg_segment_ptr 1
		.amdhsa_user_sgpr_dispatch_id 0
		.amdhsa_user_sgpr_kernarg_preload_length 0
		.amdhsa_user_sgpr_kernarg_preload_offset 0
		.amdhsa_user_sgpr_private_segment_size 0
		.amdhsa_wavefront_size32 1
		.amdhsa_uses_dynamic_stack 0
		.amdhsa_enable_private_segment 1
		.amdhsa_system_sgpr_workgroup_id_x 1
		.amdhsa_system_sgpr_workgroup_id_y 0
		.amdhsa_system_sgpr_workgroup_id_z 0
		.amdhsa_system_sgpr_workgroup_info 0
		.amdhsa_system_vgpr_workitem_id 0
		.amdhsa_next_free_vgpr 244
		.amdhsa_next_free_sgpr 19
		.amdhsa_named_barrier_count 0
		.amdhsa_reserve_vcc 1
		.amdhsa_float_round_mode_32 0
		.amdhsa_float_round_mode_16_64 0
		.amdhsa_float_denorm_mode_32 3
		.amdhsa_float_denorm_mode_16_64 3
		.amdhsa_fp16_overflow 0
		.amdhsa_memory_ordered 1
		.amdhsa_forward_progress 1
		.amdhsa_inst_pref_size 255
		.amdhsa_round_robin_scheduling 0
		.amdhsa_exception_fp_ieee_invalid_op 0
		.amdhsa_exception_fp_denorm_src 0
		.amdhsa_exception_fp_ieee_div_zero 0
		.amdhsa_exception_fp_ieee_overflow 0
		.amdhsa_exception_fp_ieee_underflow 0
		.amdhsa_exception_fp_ieee_inexact 0
		.amdhsa_exception_int_div_zero 0
	.end_amdhsa_kernel
	.section	.text._ZN9rocsolver6v33100L18getri_kernel_smallILi39E19rocblas_complex_numIfEPKPS3_EEvT1_iilPiilS8_bb,"axG",@progbits,_ZN9rocsolver6v33100L18getri_kernel_smallILi39E19rocblas_complex_numIfEPKPS3_EEvT1_iilPiilS8_bb,comdat
.Lfunc_end102:
	.size	_ZN9rocsolver6v33100L18getri_kernel_smallILi39E19rocblas_complex_numIfEPKPS3_EEvT1_iilPiilS8_bb, .Lfunc_end102-_ZN9rocsolver6v33100L18getri_kernel_smallILi39E19rocblas_complex_numIfEPKPS3_EEvT1_iilPiilS8_bb
                                        ; -- End function
	.set _ZN9rocsolver6v33100L18getri_kernel_smallILi39E19rocblas_complex_numIfEPKPS3_EEvT1_iilPiilS8_bb.num_vgpr, 244
	.set _ZN9rocsolver6v33100L18getri_kernel_smallILi39E19rocblas_complex_numIfEPKPS3_EEvT1_iilPiilS8_bb.num_agpr, 0
	.set _ZN9rocsolver6v33100L18getri_kernel_smallILi39E19rocblas_complex_numIfEPKPS3_EEvT1_iilPiilS8_bb.numbered_sgpr, 19
	.set _ZN9rocsolver6v33100L18getri_kernel_smallILi39E19rocblas_complex_numIfEPKPS3_EEvT1_iilPiilS8_bb.num_named_barrier, 0
	.set _ZN9rocsolver6v33100L18getri_kernel_smallILi39E19rocblas_complex_numIfEPKPS3_EEvT1_iilPiilS8_bb.private_seg_size, 320
	.set _ZN9rocsolver6v33100L18getri_kernel_smallILi39E19rocblas_complex_numIfEPKPS3_EEvT1_iilPiilS8_bb.uses_vcc, 1
	.set _ZN9rocsolver6v33100L18getri_kernel_smallILi39E19rocblas_complex_numIfEPKPS3_EEvT1_iilPiilS8_bb.uses_flat_scratch, 1
	.set _ZN9rocsolver6v33100L18getri_kernel_smallILi39E19rocblas_complex_numIfEPKPS3_EEvT1_iilPiilS8_bb.has_dyn_sized_stack, 0
	.set _ZN9rocsolver6v33100L18getri_kernel_smallILi39E19rocblas_complex_numIfEPKPS3_EEvT1_iilPiilS8_bb.has_recursion, 0
	.set _ZN9rocsolver6v33100L18getri_kernel_smallILi39E19rocblas_complex_numIfEPKPS3_EEvT1_iilPiilS8_bb.has_indirect_call, 0
	.section	.AMDGPU.csdata,"",@progbits
; Kernel info:
; codeLenInByte = 61564
; TotalNumSgprs: 21
; NumVgprs: 244
; ScratchSize: 320
; MemoryBound: 0
; FloatMode: 240
; IeeeMode: 1
; LDSByteSize: 632 bytes/workgroup (compile time only)
; SGPRBlocks: 0
; VGPRBlocks: 15
; NumSGPRsForWavesPerEU: 21
; NumVGPRsForWavesPerEU: 244
; NamedBarCnt: 0
; Occupancy: 4
; WaveLimiterHint : 1
; COMPUTE_PGM_RSRC2:SCRATCH_EN: 1
; COMPUTE_PGM_RSRC2:USER_SGPR: 2
; COMPUTE_PGM_RSRC2:TRAP_HANDLER: 0
; COMPUTE_PGM_RSRC2:TGID_X_EN: 1
; COMPUTE_PGM_RSRC2:TGID_Y_EN: 0
; COMPUTE_PGM_RSRC2:TGID_Z_EN: 0
; COMPUTE_PGM_RSRC2:TIDIG_COMP_CNT: 0
	.section	.text._ZN9rocsolver6v33100L18getri_kernel_smallILi40E19rocblas_complex_numIfEPKPS3_EEvT1_iilPiilS8_bb,"axG",@progbits,_ZN9rocsolver6v33100L18getri_kernel_smallILi40E19rocblas_complex_numIfEPKPS3_EEvT1_iilPiilS8_bb,comdat
	.globl	_ZN9rocsolver6v33100L18getri_kernel_smallILi40E19rocblas_complex_numIfEPKPS3_EEvT1_iilPiilS8_bb ; -- Begin function _ZN9rocsolver6v33100L18getri_kernel_smallILi40E19rocblas_complex_numIfEPKPS3_EEvT1_iilPiilS8_bb
	.p2align	8
	.type	_ZN9rocsolver6v33100L18getri_kernel_smallILi40E19rocblas_complex_numIfEPKPS3_EEvT1_iilPiilS8_bb,@function
_ZN9rocsolver6v33100L18getri_kernel_smallILi40E19rocblas_complex_numIfEPKPS3_EEvT1_iilPiilS8_bb: ; @_ZN9rocsolver6v33100L18getri_kernel_smallILi40E19rocblas_complex_numIfEPKPS3_EEvT1_iilPiilS8_bb
; %bb.0:
	s_mov_b32 s2, exec_lo
	v_cmpx_gt_u32_e32 40, v0
	s_cbranch_execz .LBB103_174
; %bb.1:
	s_clause 0x1
	s_load_b32 s13, s[0:1], 0x38
	s_load_b64 s[2:3], s[0:1], 0x0
	s_getreg_b32 s6, hwreg(HW_REG_IB_STS2, 6, 4)
	s_wait_kmcnt 0x0
	s_bitcmp1_b32 s13, 8
	s_cselect_b32 s12, -1, 0
	s_bfe_u32 s4, ttmp6, 0x4000c
	s_and_b32 s5, ttmp6, 15
	s_add_co_i32 s4, s4, 1
	s_delay_alu instid0(SALU_CYCLE_1) | instskip(NEXT) | instid1(SALU_CYCLE_1)
	s_mul_i32 s4, ttmp9, s4
	s_add_co_i32 s5, s5, s4
	s_cmp_eq_u32 s6, 0
	s_cselect_b32 s10, ttmp9, s5
	s_load_b128 s[4:7], s[0:1], 0x28
	s_ashr_i32 s11, s10, 31
	s_delay_alu instid0(SALU_CYCLE_1) | instskip(NEXT) | instid1(SALU_CYCLE_1)
	s_lshl_b64 s[8:9], s[10:11], 3
	s_add_nc_u64 s[2:3], s[2:3], s[8:9]
	s_bfe_u32 s8, s13, 0x10008
	s_load_b64 s[2:3], s[2:3], 0x0
	s_cmp_eq_u32 s8, 0
                                        ; implicit-def: $sgpr8_sgpr9
	s_cbranch_scc1 .LBB103_3
; %bb.2:
	s_load_b96 s[16:18], s[0:1], 0x18
	s_wait_kmcnt 0x0
	s_mul_u64 s[4:5], s[4:5], s[10:11]
	s_delay_alu instid0(SALU_CYCLE_1) | instskip(SKIP_4) | instid1(SALU_CYCLE_1)
	s_lshl_b64 s[4:5], s[4:5], 2
	s_ashr_i32 s9, s18, 31
	s_mov_b32 s8, s18
	s_add_nc_u64 s[4:5], s[16:17], s[4:5]
	s_lshl_b64 s[8:9], s[8:9], 2
	s_add_nc_u64 s[8:9], s[4:5], s[8:9]
.LBB103_3:
	s_wait_kmcnt 0x0
	s_clause 0x1
	s_load_b64 s[4:5], s[0:1], 0x8
	s_load_b32 s13, s[0:1], 0x38
	v_dual_mov_b32 v83, 0 :: v_dual_lshlrev_b32 v82, 3, v0
	s_wait_kmcnt 0x0
	s_ashr_i32 s1, s4, 31
	s_mov_b32 s0, s4
	s_delay_alu instid0(SALU_CYCLE_1) | instskip(NEXT) | instid1(SALU_CYCLE_1)
	s_lshl_b64 s[0:1], s[0:1], 3
	s_add_nc_u64 s[2:3], s[2:3], s[0:1]
	s_ashr_i32 s1, s5, 31
	flat_load_b64 v[6:7], v0, s[2:3] scale_offset
	v_add_nc_u64_e32 v[2:3], s[2:3], v[82:83]
	s_mov_b32 s0, s5
	s_bitcmp0_b32 s13, 0
	s_delay_alu instid0(VALU_DEP_1)
	v_lshl_add_u64 v[4:5], s[0:1], 3, v[2:3]
	s_mov_b32 s1, -1
	s_wait_loadcnt_dscnt 0x0
	scratch_store_b64 off, v[6:7], off
	flat_load_b64 v[8:9], v[4:5]
	s_wait_xcnt 0x1
	v_add3_u32 v6, s5, s5, v0
	s_wait_loadcnt_dscnt 0x0
	scratch_store_b64 off, v[8:9], off offset:8
	flat_load_b64 v[10:11], v6, s[2:3] scale_offset
	s_wait_xcnt 0x1
	v_add_nc_u32_e32 v8, s5, v6
	s_wait_loadcnt_dscnt 0x0
	scratch_store_b64 off, v[10:11], off offset:16
	flat_load_b64 v[12:13], v8, s[2:3] scale_offset
	s_wait_xcnt 0x1
	v_add_nc_u32_e32 v10, s5, v8
	;; [unrolled: 5-line block ×37, first 2 shown]
	s_wait_loadcnt_dscnt 0x0
	scratch_store_b64 off, v[84:85], off offset:304
	flat_load_b64 v[84:85], v80, s[2:3] scale_offset
	s_wait_loadcnt_dscnt 0x0
	scratch_store_b64 off, v[84:85], off offset:312
	s_cbranch_scc1 .LBB103_172
; %bb.4:
	v_cmp_eq_u32_e64 s0, 0, v0
	s_wait_xcnt 0x0
	s_and_saveexec_b32 s1, s0
; %bb.5:
	v_mov_b32_e32 v1, 0
	ds_store_b32 v1, v1 offset:640
; %bb.6:
	s_or_b32 exec_lo, exec_lo, s1
	s_wait_storecnt_dscnt 0x0
	s_barrier_signal -1
	s_barrier_wait -1
	scratch_load_b64 v[84:85], v0, off scale_offset
	s_wait_loadcnt 0x0
	v_cmp_eq_f32_e32 vcc_lo, 0, v84
	v_cmp_eq_f32_e64 s1, 0, v85
	s_and_b32 s1, vcc_lo, s1
	s_delay_alu instid0(SALU_CYCLE_1)
	s_and_saveexec_b32 s4, s1
	s_cbranch_execz .LBB103_10
; %bb.7:
	v_mov_b32_e32 v1, 0
	s_mov_b32 s5, 0
	ds_load_b32 v7, v1 offset:640
	s_wait_dscnt 0x0
	v_readfirstlane_b32 s1, v7
	v_add_nc_u32_e32 v7, 1, v0
	s_cmp_eq_u32 s1, 0
	s_delay_alu instid0(VALU_DEP_1) | instskip(SKIP_1) | instid1(SALU_CYCLE_1)
	v_cmp_gt_i32_e32 vcc_lo, s1, v7
	s_cselect_b32 s13, -1, 0
	s_or_b32 s13, s13, vcc_lo
	s_delay_alu instid0(SALU_CYCLE_1)
	s_and_b32 exec_lo, exec_lo, s13
	s_cbranch_execz .LBB103_10
; %bb.8:
	v_mov_b32_e32 v9, s1
.LBB103_9:                              ; =>This Inner Loop Header: Depth=1
	ds_cmpstore_rtn_b32 v9, v1, v7, v9 offset:640
	s_wait_dscnt 0x0
	v_cmp_ne_u32_e32 vcc_lo, 0, v9
	v_cmp_le_i32_e64 s1, v9, v7
	s_and_b32 s1, vcc_lo, s1
	s_delay_alu instid0(SALU_CYCLE_1) | instskip(NEXT) | instid1(SALU_CYCLE_1)
	s_and_b32 s1, exec_lo, s1
	s_or_b32 s5, s1, s5
	s_delay_alu instid0(SALU_CYCLE_1)
	s_and_not1_b32 exec_lo, exec_lo, s5
	s_cbranch_execnz .LBB103_9
.LBB103_10:
	s_or_b32 exec_lo, exec_lo, s4
	v_mov_b32_e32 v1, 0
	s_barrier_signal -1
	s_barrier_wait -1
	ds_load_b32 v7, v1 offset:640
	s_and_saveexec_b32 s1, s0
	s_cbranch_execz .LBB103_12
; %bb.11:
	s_lshl_b64 s[4:5], s[10:11], 2
	s_delay_alu instid0(SALU_CYCLE_1)
	s_add_nc_u64 s[4:5], s[6:7], s[4:5]
	s_wait_dscnt 0x0
	global_store_b32 v1, v7, s[4:5]
.LBB103_12:
	s_wait_xcnt 0x0
	s_or_b32 exec_lo, exec_lo, s1
	s_wait_dscnt 0x0
	v_cmp_ne_u32_e32 vcc_lo, 0, v7
	s_mov_b32 s1, 0
	s_cbranch_vccnz .LBB103_172
; %bb.13:
	v_lshl_add_u32 v7, v0, 3, 0
                                        ; implicit-def: $vgpr87
                                        ; implicit-def: $vgpr88
	scratch_load_b64 v[84:85], v7, off
	s_wait_loadcnt 0x0
	v_cmp_ngt_f32_e64 s1, |v84|, |v85|
	s_wait_xcnt 0x0
	s_and_saveexec_b32 s4, s1
	s_delay_alu instid0(SALU_CYCLE_1)
	s_xor_b32 s1, exec_lo, s4
	s_cbranch_execz .LBB103_15
; %bb.14:
	v_div_scale_f32 v1, null, v85, v85, v84
	v_div_scale_f32 v13, vcc_lo, v84, v85, v84
	s_delay_alu instid0(VALU_DEP_2) | instskip(SKIP_1) | instid1(TRANS32_DEP_1)
	v_rcp_f32_e32 v9, v1
	v_nop
	v_fma_f32 v11, -v1, v9, 1.0
	s_delay_alu instid0(VALU_DEP_1) | instskip(NEXT) | instid1(VALU_DEP_1)
	v_fmac_f32_e32 v9, v11, v9
	v_mul_f32_e32 v11, v13, v9
	s_delay_alu instid0(VALU_DEP_1) | instskip(NEXT) | instid1(VALU_DEP_1)
	v_fma_f32 v15, -v1, v11, v13
	v_fmac_f32_e32 v11, v15, v9
	s_delay_alu instid0(VALU_DEP_1) | instskip(NEXT) | instid1(VALU_DEP_1)
	v_fma_f32 v1, -v1, v11, v13
	v_div_fmas_f32 v1, v1, v9, v11
	s_delay_alu instid0(VALU_DEP_1) | instskip(NEXT) | instid1(VALU_DEP_1)
	v_div_fixup_f32 v1, v1, v85, v84
	v_fmac_f32_e32 v85, v84, v1
	s_delay_alu instid0(VALU_DEP_1) | instskip(NEXT) | instid1(VALU_DEP_1)
	v_div_scale_f32 v9, null, v85, v85, -1.0
	v_rcp_f32_e32 v11, v9
	v_nop
	s_delay_alu instid0(TRANS32_DEP_1) | instskip(NEXT) | instid1(VALU_DEP_1)
	v_fma_f32 v13, -v9, v11, 1.0
	v_fmac_f32_e32 v11, v13, v11
	v_div_scale_f32 v13, vcc_lo, -1.0, v85, -1.0
	s_delay_alu instid0(VALU_DEP_1) | instskip(NEXT) | instid1(VALU_DEP_1)
	v_mul_f32_e32 v15, v13, v11
	v_fma_f32 v17, -v9, v15, v13
	s_delay_alu instid0(VALU_DEP_1) | instskip(NEXT) | instid1(VALU_DEP_1)
	v_fmac_f32_e32 v15, v17, v11
	v_fma_f32 v9, -v9, v15, v13
	s_delay_alu instid0(VALU_DEP_1) | instskip(NEXT) | instid1(VALU_DEP_1)
	v_div_fmas_f32 v9, v9, v11, v15
	v_div_fixup_f32 v87, v9, v85, -1.0
                                        ; implicit-def: $vgpr84_vgpr85
	s_delay_alu instid0(VALU_DEP_1) | instskip(NEXT) | instid1(VALU_DEP_1)
	v_mul_f32_e32 v88, v1, v87
	v_xor_b32_e32 v86, 0x80000000, v88
.LBB103_15:
	s_and_not1_saveexec_b32 s1, s1
	s_cbranch_execz .LBB103_17
; %bb.16:
	v_div_scale_f32 v1, null, v84, v84, v85
	v_div_scale_f32 v13, vcc_lo, v85, v84, v85
	s_delay_alu instid0(VALU_DEP_2) | instskip(SKIP_1) | instid1(TRANS32_DEP_1)
	v_rcp_f32_e32 v9, v1
	v_nop
	v_fma_f32 v11, -v1, v9, 1.0
	s_delay_alu instid0(VALU_DEP_1) | instskip(NEXT) | instid1(VALU_DEP_1)
	v_fmac_f32_e32 v9, v11, v9
	v_mul_f32_e32 v11, v13, v9
	s_delay_alu instid0(VALU_DEP_1) | instskip(NEXT) | instid1(VALU_DEP_1)
	v_fma_f32 v15, -v1, v11, v13
	v_fmac_f32_e32 v11, v15, v9
	s_delay_alu instid0(VALU_DEP_1) | instskip(NEXT) | instid1(VALU_DEP_1)
	v_fma_f32 v1, -v1, v11, v13
	v_div_fmas_f32 v1, v1, v9, v11
	s_delay_alu instid0(VALU_DEP_1) | instskip(NEXT) | instid1(VALU_DEP_1)
	v_div_fixup_f32 v1, v1, v84, v85
	v_fmac_f32_e32 v84, v85, v1
	s_delay_alu instid0(VALU_DEP_1) | instskip(SKIP_1) | instid1(VALU_DEP_2)
	v_div_scale_f32 v9, null, v84, v84, 1.0
	v_div_scale_f32 v15, vcc_lo, 1.0, v84, 1.0
	v_rcp_f32_e32 v11, v9
	v_nop
	s_delay_alu instid0(TRANS32_DEP_1) | instskip(NEXT) | instid1(VALU_DEP_1)
	v_fma_f32 v13, -v9, v11, 1.0
	v_fmac_f32_e32 v11, v13, v11
	s_delay_alu instid0(VALU_DEP_1) | instskip(NEXT) | instid1(VALU_DEP_1)
	v_mul_f32_e32 v13, v15, v11
	v_fma_f32 v17, -v9, v13, v15
	s_delay_alu instid0(VALU_DEP_1) | instskip(NEXT) | instid1(VALU_DEP_1)
	v_fmac_f32_e32 v13, v17, v11
	v_fma_f32 v9, -v9, v13, v15
	s_delay_alu instid0(VALU_DEP_1) | instskip(NEXT) | instid1(VALU_DEP_1)
	v_div_fmas_f32 v9, v9, v11, v13
	v_div_fixup_f32 v86, v9, v84, 1.0
	s_delay_alu instid0(VALU_DEP_1)
	v_xor_b32_e32 v88, 0x80000000, v86
	v_mul_f32_e64 v87, v1, -v86
.LBB103_17:
	s_or_b32 exec_lo, exec_lo, s1
	scratch_store_b64 v7, v[86:87], off
	scratch_load_b64 v[84:85], off, off offset:8
	v_xor_b32_e32 v89, 0x80000000, v87
	v_add_nc_u32_e32 v1, 0x140, v82
	s_wait_loadcnt 0x0
	ds_store_2addr_b64 v82, v[88:89], v[84:85] offset1:40
	s_wait_storecnt_dscnt 0x0
	s_barrier_signal -1
	s_barrier_wait -1
	s_wait_xcnt 0x0
	s_and_saveexec_b32 s1, s0
	s_cbranch_execz .LBB103_19
; %bb.18:
	scratch_load_b64 v[84:85], v7, off
	ds_load_b64 v[86:87], v1
	s_wait_loadcnt_dscnt 0x0
	v_pk_mul_f32 v[90:91], v[86:87], v[84:85] op_sel:[1,1] op_sel_hi:[0,1]
	s_delay_alu instid0(VALU_DEP_1) | instskip(SKIP_2) | instid1(VALU_DEP_3)
	v_pk_fma_f32 v[92:93], v[86:87], v[84:85], v[90:91] op_sel_hi:[1,0,1]
	v_mov_b32_e32 v9, 0
	v_pk_fma_f32 v[84:85], v[86:87], v[84:85], v[90:91] neg_lo:[0,0,1] neg_hi:[0,0,1]
	v_mov_b32_e32 v85, v93
	ds_load_b64 v[88:89], v9 offset:8
	v_pk_add_f32 v[84:85], v[84:85], 0 op_sel_hi:[1,0]
	s_wait_dscnt 0x0
	s_delay_alu instid0(VALU_DEP_1) | instskip(NEXT) | instid1(VALU_DEP_1)
	v_pk_mul_f32 v[86:87], v[84:85], v[88:89] op_sel:[1,1] op_sel_hi:[0,1]
	v_pk_fma_f32 v[90:91], v[84:85], v[88:89], v[86:87] op_sel_hi:[1,0,1]
	v_pk_fma_f32 v[84:85], v[84:85], v[88:89], v[86:87] neg_lo:[0,0,1] neg_hi:[0,0,1]
	s_delay_alu instid0(VALU_DEP_2)
	v_mov_b32_e32 v85, v91
	scratch_store_b64 off, v[84:85], off offset:8
.LBB103_19:
	s_wait_xcnt 0x0
	s_or_b32 exec_lo, exec_lo, s1
	s_wait_storecnt 0x0
	s_barrier_signal -1
	s_barrier_wait -1
	scratch_load_b64 v[84:85], off, off offset:16
	s_mov_b32 s1, exec_lo
	s_wait_loadcnt 0x0
	ds_store_b64 v1, v[84:85]
	s_wait_dscnt 0x0
	s_barrier_signal -1
	s_barrier_wait -1
	v_cmpx_gt_u32_e32 2, v0
	s_cbranch_execz .LBB103_23
; %bb.20:
	scratch_load_b64 v[84:85], v7, off
	ds_load_b64 v[86:87], v1
	s_wait_loadcnt_dscnt 0x0
	v_pk_mul_f32 v[88:89], v[86:87], v[84:85] op_sel:[1,1] op_sel_hi:[0,1]
	s_delay_alu instid0(VALU_DEP_1) | instskip(SKIP_1) | instid1(VALU_DEP_2)
	v_pk_fma_f32 v[90:91], v[86:87], v[84:85], v[88:89] op_sel_hi:[1,0,1]
	v_pk_fma_f32 v[84:85], v[86:87], v[84:85], v[88:89] neg_lo:[0,0,1] neg_hi:[0,0,1]
	v_mov_b32_e32 v85, v91
	s_delay_alu instid0(VALU_DEP_1)
	v_pk_add_f32 v[84:85], v[84:85], 0 op_sel_hi:[1,0]
	s_and_saveexec_b32 s4, s0
	s_cbranch_execz .LBB103_22
; %bb.21:
	scratch_load_b64 v[86:87], off, off offset:8
	v_mov_b32_e32 v7, 0
	ds_load_b64 v[88:89], v7 offset:328
	s_wait_loadcnt_dscnt 0x0
	v_pk_mul_f32 v[90:91], v[88:89], v[86:87] op_sel:[1,1] op_sel_hi:[0,1]
	s_delay_alu instid0(VALU_DEP_1) | instskip(SKIP_1) | instid1(VALU_DEP_2)
	v_pk_fma_f32 v[92:93], v[88:89], v[86:87], v[90:91] op_sel_hi:[1,0,1]
	v_pk_fma_f32 v[86:87], v[88:89], v[86:87], v[90:91] neg_lo:[0,0,1] neg_hi:[0,0,1]
	v_mov_b32_e32 v87, v93
	s_delay_alu instid0(VALU_DEP_1)
	v_pk_add_f32 v[84:85], v[84:85], v[86:87]
.LBB103_22:
	s_or_b32 exec_lo, exec_lo, s4
	v_mov_b32_e32 v7, 0
	ds_load_b64 v[86:87], v7 offset:16
	s_wait_dscnt 0x0
	v_pk_mul_f32 v[88:89], v[84:85], v[86:87] op_sel:[1,1] op_sel_hi:[0,1]
	s_delay_alu instid0(VALU_DEP_1) | instskip(SKIP_1) | instid1(VALU_DEP_2)
	v_pk_fma_f32 v[90:91], v[84:85], v[86:87], v[88:89] op_sel_hi:[1,0,1]
	v_pk_fma_f32 v[84:85], v[84:85], v[86:87], v[88:89] neg_lo:[0,0,1] neg_hi:[0,0,1]
	v_mov_b32_e32 v85, v91
	scratch_store_b64 off, v[84:85], off offset:16
.LBB103_23:
	s_wait_xcnt 0x0
	s_or_b32 exec_lo, exec_lo, s1
	s_wait_storecnt 0x0
	s_barrier_signal -1
	s_barrier_wait -1
	scratch_load_b64 v[84:85], off, off offset:24
	v_add_nc_u32_e32 v7, -1, v0
	s_mov_b32 s0, exec_lo
	s_wait_loadcnt 0x0
	ds_store_b64 v1, v[84:85]
	s_wait_dscnt 0x0
	s_barrier_signal -1
	s_barrier_wait -1
	v_cmpx_gt_u32_e32 3, v0
	s_cbranch_execz .LBB103_27
; %bb.24:
	v_dual_mov_b32 v84, 0 :: v_dual_add_nc_u32 v9, -1, v0
	v_add_nc_u32_e32 v11, 0x140, v82
	v_mov_b32_e32 v13, v82
	s_mov_b32 s1, 0
	s_delay_alu instid0(VALU_DEP_3)
	v_mov_b32_e32 v85, v84
.LBB103_25:                             ; =>This Inner Loop Header: Depth=1
	scratch_load_b64 v[86:87], v13, off
	ds_load_b64 v[88:89], v11
	s_wait_xcnt 0x0
	v_dual_add_nc_u32 v11, 8, v11 :: v_dual_add_nc_u32 v13, 8, v13
	s_wait_loadcnt_dscnt 0x0
	v_pk_mul_f32 v[90:91], v[88:89], v[86:87] op_sel:[1,1] op_sel_hi:[0,1]
	s_delay_alu instid0(VALU_DEP_1) | instskip(SKIP_2) | instid1(VALU_DEP_3)
	v_pk_fma_f32 v[92:93], v[88:89], v[86:87], v[90:91] op_sel_hi:[1,0,1]
	v_add_nc_u32_e32 v9, 1, v9
	v_pk_fma_f32 v[86:87], v[88:89], v[86:87], v[90:91] neg_lo:[0,0,1] neg_hi:[0,0,1]
	v_mov_b32_e32 v87, v93
	s_delay_alu instid0(VALU_DEP_3) | instskip(NEXT) | instid1(VALU_DEP_2)
	v_cmp_lt_u32_e32 vcc_lo, 1, v9
	v_pk_add_f32 v[84:85], v[84:85], v[86:87]
	s_or_b32 s1, vcc_lo, s1
	s_delay_alu instid0(SALU_CYCLE_1)
	s_and_not1_b32 exec_lo, exec_lo, s1
	s_cbranch_execnz .LBB103_25
; %bb.26:
	s_or_b32 exec_lo, exec_lo, s1
	v_mov_b32_e32 v9, 0
	ds_load_b64 v[86:87], v9 offset:24
	s_wait_dscnt 0x0
	v_pk_mul_f32 v[88:89], v[84:85], v[86:87] op_sel:[1,1] op_sel_hi:[0,1]
	s_delay_alu instid0(VALU_DEP_1) | instskip(SKIP_1) | instid1(VALU_DEP_2)
	v_pk_fma_f32 v[90:91], v[84:85], v[86:87], v[88:89] op_sel_hi:[1,0,1]
	v_pk_fma_f32 v[84:85], v[84:85], v[86:87], v[88:89] neg_lo:[0,0,1] neg_hi:[0,0,1]
	v_mov_b32_e32 v85, v91
	scratch_store_b64 off, v[84:85], off offset:24
.LBB103_27:
	s_wait_xcnt 0x0
	s_or_b32 exec_lo, exec_lo, s0
	s_wait_storecnt 0x0
	s_barrier_signal -1
	s_barrier_wait -1
	scratch_load_b64 v[84:85], off, off offset:32
	s_mov_b32 s0, exec_lo
	s_wait_loadcnt 0x0
	ds_store_b64 v1, v[84:85]
	s_wait_dscnt 0x0
	s_barrier_signal -1
	s_barrier_wait -1
	v_cmpx_gt_u32_e32 4, v0
	s_cbranch_execz .LBB103_31
; %bb.28:
	v_dual_mov_b32 v84, 0 :: v_dual_add_nc_u32 v9, -1, v0
	v_add_nc_u32_e32 v11, 0x140, v82
	v_mov_b32_e32 v13, v82
	s_mov_b32 s1, 0
	s_delay_alu instid0(VALU_DEP_3)
	v_mov_b32_e32 v85, v84
.LBB103_29:                             ; =>This Inner Loop Header: Depth=1
	scratch_load_b64 v[86:87], v13, off
	ds_load_b64 v[88:89], v11
	s_wait_xcnt 0x0
	v_dual_add_nc_u32 v11, 8, v11 :: v_dual_add_nc_u32 v13, 8, v13
	s_wait_loadcnt_dscnt 0x0
	v_pk_mul_f32 v[90:91], v[88:89], v[86:87] op_sel:[1,1] op_sel_hi:[0,1]
	s_delay_alu instid0(VALU_DEP_1) | instskip(SKIP_2) | instid1(VALU_DEP_3)
	v_pk_fma_f32 v[92:93], v[88:89], v[86:87], v[90:91] op_sel_hi:[1,0,1]
	v_add_nc_u32_e32 v9, 1, v9
	v_pk_fma_f32 v[86:87], v[88:89], v[86:87], v[90:91] neg_lo:[0,0,1] neg_hi:[0,0,1]
	v_mov_b32_e32 v87, v93
	s_delay_alu instid0(VALU_DEP_3) | instskip(NEXT) | instid1(VALU_DEP_2)
	v_cmp_lt_u32_e32 vcc_lo, 2, v9
	v_pk_add_f32 v[84:85], v[84:85], v[86:87]
	s_or_b32 s1, vcc_lo, s1
	s_delay_alu instid0(SALU_CYCLE_1)
	s_and_not1_b32 exec_lo, exec_lo, s1
	s_cbranch_execnz .LBB103_29
; %bb.30:
	s_or_b32 exec_lo, exec_lo, s1
	v_mov_b32_e32 v9, 0
	ds_load_b64 v[86:87], v9 offset:32
	s_wait_dscnt 0x0
	v_pk_mul_f32 v[88:89], v[84:85], v[86:87] op_sel:[1,1] op_sel_hi:[0,1]
	s_delay_alu instid0(VALU_DEP_1) | instskip(SKIP_1) | instid1(VALU_DEP_2)
	v_pk_fma_f32 v[90:91], v[84:85], v[86:87], v[88:89] op_sel_hi:[1,0,1]
	v_pk_fma_f32 v[84:85], v[84:85], v[86:87], v[88:89] neg_lo:[0,0,1] neg_hi:[0,0,1]
	v_mov_b32_e32 v85, v91
	scratch_store_b64 off, v[84:85], off offset:32
.LBB103_31:
	s_wait_xcnt 0x0
	s_or_b32 exec_lo, exec_lo, s0
	s_wait_storecnt 0x0
	s_barrier_signal -1
	s_barrier_wait -1
	scratch_load_b64 v[84:85], off, off offset:40
	;; [unrolled: 52-line block ×19, first 2 shown]
	s_mov_b32 s0, exec_lo
	s_wait_loadcnt 0x0
	ds_store_b64 v1, v[84:85]
	s_wait_dscnt 0x0
	s_barrier_signal -1
	s_barrier_wait -1
	v_cmpx_gt_u32_e32 22, v0
	s_cbranch_execz .LBB103_103
; %bb.100:
	v_dual_mov_b32 v84, 0 :: v_dual_add_nc_u32 v9, -1, v0
	v_add_nc_u32_e32 v11, 0x140, v82
	v_mov_b32_e32 v13, v82
	s_mov_b32 s1, 0
	s_delay_alu instid0(VALU_DEP_3)
	v_mov_b32_e32 v85, v84
.LBB103_101:                            ; =>This Inner Loop Header: Depth=1
	scratch_load_b64 v[86:87], v13, off
	ds_load_b64 v[88:89], v11
	s_wait_xcnt 0x0
	v_dual_add_nc_u32 v11, 8, v11 :: v_dual_add_nc_u32 v13, 8, v13
	s_wait_loadcnt_dscnt 0x0
	v_pk_mul_f32 v[90:91], v[88:89], v[86:87] op_sel:[1,1] op_sel_hi:[0,1]
	s_delay_alu instid0(VALU_DEP_1) | instskip(SKIP_2) | instid1(VALU_DEP_3)
	v_pk_fma_f32 v[92:93], v[88:89], v[86:87], v[90:91] op_sel_hi:[1,0,1]
	v_add_nc_u32_e32 v9, 1, v9
	v_pk_fma_f32 v[86:87], v[88:89], v[86:87], v[90:91] neg_lo:[0,0,1] neg_hi:[0,0,1]
	v_mov_b32_e32 v87, v93
	s_delay_alu instid0(VALU_DEP_3) | instskip(NEXT) | instid1(VALU_DEP_2)
	v_cmp_lt_u32_e32 vcc_lo, 20, v9
	v_pk_add_f32 v[84:85], v[84:85], v[86:87]
	s_or_b32 s1, vcc_lo, s1
	s_delay_alu instid0(SALU_CYCLE_1)
	s_and_not1_b32 exec_lo, exec_lo, s1
	s_cbranch_execnz .LBB103_101
; %bb.102:
	s_or_b32 exec_lo, exec_lo, s1
	v_mov_b32_e32 v9, 0
	ds_load_b64 v[86:87], v9 offset:176
	s_wait_dscnt 0x0
	v_pk_mul_f32 v[88:89], v[84:85], v[86:87] op_sel:[1,1] op_sel_hi:[0,1]
	s_delay_alu instid0(VALU_DEP_1) | instskip(SKIP_1) | instid1(VALU_DEP_2)
	v_pk_fma_f32 v[90:91], v[84:85], v[86:87], v[88:89] op_sel_hi:[1,0,1]
	v_pk_fma_f32 v[84:85], v[84:85], v[86:87], v[88:89] neg_lo:[0,0,1] neg_hi:[0,0,1]
	v_mov_b32_e32 v85, v91
	scratch_store_b64 off, v[84:85], off offset:176
.LBB103_103:
	s_wait_xcnt 0x0
	s_or_b32 exec_lo, exec_lo, s0
	s_wait_storecnt 0x0
	s_barrier_signal -1
	s_barrier_wait -1
	scratch_load_b64 v[84:85], off, off offset:184
	s_mov_b32 s0, exec_lo
	s_wait_loadcnt 0x0
	ds_store_b64 v1, v[84:85]
	s_wait_dscnt 0x0
	s_barrier_signal -1
	s_barrier_wait -1
	v_cmpx_gt_u32_e32 23, v0
	s_cbranch_execz .LBB103_107
; %bb.104:
	v_dual_mov_b32 v84, 0 :: v_dual_add_nc_u32 v9, -1, v0
	v_add_nc_u32_e32 v11, 0x140, v82
	v_mov_b32_e32 v13, v82
	s_mov_b32 s1, 0
	s_delay_alu instid0(VALU_DEP_3)
	v_mov_b32_e32 v85, v84
.LBB103_105:                            ; =>This Inner Loop Header: Depth=1
	scratch_load_b64 v[86:87], v13, off
	ds_load_b64 v[88:89], v11
	s_wait_xcnt 0x0
	v_dual_add_nc_u32 v11, 8, v11 :: v_dual_add_nc_u32 v13, 8, v13
	s_wait_loadcnt_dscnt 0x0
	v_pk_mul_f32 v[90:91], v[88:89], v[86:87] op_sel:[1,1] op_sel_hi:[0,1]
	s_delay_alu instid0(VALU_DEP_1) | instskip(SKIP_2) | instid1(VALU_DEP_3)
	v_pk_fma_f32 v[92:93], v[88:89], v[86:87], v[90:91] op_sel_hi:[1,0,1]
	v_add_nc_u32_e32 v9, 1, v9
	v_pk_fma_f32 v[86:87], v[88:89], v[86:87], v[90:91] neg_lo:[0,0,1] neg_hi:[0,0,1]
	v_mov_b32_e32 v87, v93
	s_delay_alu instid0(VALU_DEP_3) | instskip(NEXT) | instid1(VALU_DEP_2)
	v_cmp_lt_u32_e32 vcc_lo, 21, v9
	v_pk_add_f32 v[84:85], v[84:85], v[86:87]
	s_or_b32 s1, vcc_lo, s1
	s_delay_alu instid0(SALU_CYCLE_1)
	s_and_not1_b32 exec_lo, exec_lo, s1
	s_cbranch_execnz .LBB103_105
; %bb.106:
	s_or_b32 exec_lo, exec_lo, s1
	v_mov_b32_e32 v9, 0
	ds_load_b64 v[86:87], v9 offset:184
	s_wait_dscnt 0x0
	v_pk_mul_f32 v[88:89], v[84:85], v[86:87] op_sel:[1,1] op_sel_hi:[0,1]
	s_delay_alu instid0(VALU_DEP_1) | instskip(SKIP_1) | instid1(VALU_DEP_2)
	v_pk_fma_f32 v[90:91], v[84:85], v[86:87], v[88:89] op_sel_hi:[1,0,1]
	v_pk_fma_f32 v[84:85], v[84:85], v[86:87], v[88:89] neg_lo:[0,0,1] neg_hi:[0,0,1]
	v_mov_b32_e32 v85, v91
	scratch_store_b64 off, v[84:85], off offset:184
.LBB103_107:
	s_wait_xcnt 0x0
	s_or_b32 exec_lo, exec_lo, s0
	s_wait_storecnt 0x0
	s_barrier_signal -1
	s_barrier_wait -1
	scratch_load_b64 v[84:85], off, off offset:192
	;; [unrolled: 52-line block ×17, first 2 shown]
	s_mov_b32 s0, exec_lo
	s_wait_loadcnt 0x0
	ds_store_b64 v1, v[84:85]
	s_wait_dscnt 0x0
	s_barrier_signal -1
	s_barrier_wait -1
	v_cmpx_ne_u32_e32 39, v0
	s_cbranch_execz .LBB103_171
; %bb.168:
	v_dual_mov_b32 v84, 0 :: v_dual_mov_b32 v9, v82
	s_mov_b32 s1, 0
	s_delay_alu instid0(VALU_DEP_1)
	v_mov_b32_e32 v85, v84
.LBB103_169:                            ; =>This Inner Loop Header: Depth=1
	scratch_load_b64 v[82:83], v9, off
	ds_load_b64 v[86:87], v1
	v_add_nc_u32_e32 v1, 8, v1
	s_wait_xcnt 0x0
	v_add_nc_u32_e32 v9, 8, v9
	s_wait_loadcnt_dscnt 0x0
	v_pk_mul_f32 v[88:89], v[86:87], v[82:83] op_sel:[1,1] op_sel_hi:[0,1]
	s_delay_alu instid0(VALU_DEP_1) | instskip(SKIP_2) | instid1(VALU_DEP_3)
	v_pk_fma_f32 v[90:91], v[86:87], v[82:83], v[88:89] op_sel_hi:[1,0,1]
	v_add_nc_u32_e32 v7, 1, v7
	v_pk_fma_f32 v[82:83], v[86:87], v[82:83], v[88:89] neg_lo:[0,0,1] neg_hi:[0,0,1]
	v_mov_b32_e32 v83, v91
	s_delay_alu instid0(VALU_DEP_3) | instskip(NEXT) | instid1(VALU_DEP_2)
	v_cmp_lt_u32_e32 vcc_lo, 37, v7
	v_pk_add_f32 v[84:85], v[84:85], v[82:83]
	s_or_b32 s1, vcc_lo, s1
	s_delay_alu instid0(SALU_CYCLE_1)
	s_and_not1_b32 exec_lo, exec_lo, s1
	s_cbranch_execnz .LBB103_169
; %bb.170:
	s_or_b32 exec_lo, exec_lo, s1
	v_mov_b32_e32 v1, 0
	ds_load_b64 v[82:83], v1 offset:312
	s_wait_dscnt 0x0
	v_pk_mul_f32 v[86:87], v[84:85], v[82:83] op_sel:[1,1] op_sel_hi:[0,1]
	s_delay_alu instid0(VALU_DEP_1) | instskip(SKIP_1) | instid1(VALU_DEP_2)
	v_pk_fma_f32 v[88:89], v[84:85], v[82:83], v[86:87] op_sel_hi:[1,0,1]
	v_pk_fma_f32 v[82:83], v[84:85], v[82:83], v[86:87] neg_lo:[0,0,1] neg_hi:[0,0,1]
	v_mov_b32_e32 v83, v89
	scratch_store_b64 off, v[82:83], off offset:312
.LBB103_171:
	s_wait_xcnt 0x0
	s_or_b32 exec_lo, exec_lo, s0
	s_mov_b32 s1, -1
	s_wait_storecnt 0x0
	s_barrier_signal -1
	s_barrier_wait -1
.LBB103_172:
	s_and_b32 vcc_lo, exec_lo, s1
	s_cbranch_vccz .LBB103_174
; %bb.173:
	v_mov_b32_e32 v1, 0
	s_lshl_b64 s[0:1], s[10:11], 2
	s_delay_alu instid0(SALU_CYCLE_1)
	s_add_nc_u64 s[0:1], s[6:7], s[0:1]
	global_load_b32 v1, v1, s[0:1]
	s_wait_loadcnt 0x0
	v_cmp_ne_u32_e32 vcc_lo, 0, v1
	s_cbranch_vccz .LBB103_175
.LBB103_174:
	s_sendmsg sendmsg(MSG_DEALLOC_VGPRS)
	s_endpgm
.LBB103_175:
	s_wait_xcnt 0x0
	v_lshl_add_u32 v1, v0, 3, 0x140
	s_mov_b32 s0, exec_lo
	v_cmpx_eq_u32_e32 39, v0
	s_cbranch_execz .LBB103_177
; %bb.176:
	scratch_load_b64 v[82:83], off, off offset:304
	v_mov_b64_e32 v[84:85], 0
	scratch_store_b64 off, v[84:85], off offset:304
	s_wait_loadcnt 0x0
	ds_store_b64 v1, v[82:83]
.LBB103_177:
	s_wait_xcnt 0x0
	s_or_b32 exec_lo, exec_lo, s0
	s_wait_storecnt_dscnt 0x0
	s_barrier_signal -1
	s_barrier_wait -1
	s_clause 0x1
	scratch_load_b64 v[82:83], off, off offset:312
	scratch_load_b64 v[84:85], off, off offset:304
	v_mov_b32_e32 v7, 0
	s_mov_b32 s0, exec_lo
	ds_load_b64 v[86:87], v7 offset:632
	s_wait_loadcnt_dscnt 0x100
	v_pk_mul_f32 v[88:89], v[86:87], v[82:83] op_sel:[1,1] op_sel_hi:[0,1]
	s_delay_alu instid0(VALU_DEP_1) | instskip(SKIP_1) | instid1(VALU_DEP_2)
	v_pk_fma_f32 v[90:91], v[86:87], v[82:83], v[88:89] op_sel_hi:[1,0,1]
	v_pk_fma_f32 v[82:83], v[86:87], v[82:83], v[88:89] neg_lo:[0,0,1] neg_hi:[0,0,1]
	v_mov_b32_e32 v83, v91
	s_delay_alu instid0(VALU_DEP_1) | instskip(SKIP_1) | instid1(VALU_DEP_1)
	v_pk_add_f32 v[82:83], v[82:83], 0 op_sel_hi:[1,0]
	s_wait_loadcnt 0x0
	v_pk_add_f32 v[82:83], v[84:85], v[82:83] neg_lo:[0,1] neg_hi:[0,1]
	scratch_store_b64 off, v[82:83], off offset:304
	s_wait_xcnt 0x0
	v_cmpx_lt_u32_e32 37, v0
	s_cbranch_execz .LBB103_179
; %bb.178:
	scratch_load_b64 v[82:83], off, off offset:296
	v_mov_b64_e32 v[84:85], 0
	scratch_store_b64 off, v[84:85], off offset:296
	s_wait_loadcnt 0x0
	ds_store_b64 v1, v[82:83]
.LBB103_179:
	s_wait_xcnt 0x0
	s_or_b32 exec_lo, exec_lo, s0
	s_wait_storecnt_dscnt 0x0
	s_barrier_signal -1
	s_barrier_wait -1
	s_clause 0x1
	scratch_load_b128 v[82:85], off, off offset:304
	scratch_load_b64 v[90:91], off, off offset:296
	ds_load_b128 v[86:89], v7 offset:624
	s_mov_b32 s0, exec_lo
	s_wait_dscnt 0x0
	v_dual_mov_b32 v92, v89 :: v_dual_mov_b32 v93, v88
	s_wait_loadcnt 0x1
	v_pk_mul_f32 v[94:95], v[86:87], v[82:83] op_sel:[1,1] op_sel_hi:[0,1]
	s_delay_alu instid0(VALU_DEP_1) | instskip(SKIP_2) | instid1(VALU_DEP_3)
	v_pk_fma_f32 v[98:99], v[86:87], v[82:83], v[94:95] op_sel_hi:[1,0,1]
	v_mov_b32_e32 v96, v85
	v_pk_fma_f32 v[82:83], v[86:87], v[82:83], v[94:95] neg_lo:[0,0,1] neg_hi:[0,0,1]
	v_mov_b32_e32 v83, v99
	s_delay_alu instid0(VALU_DEP_3) | instskip(NEXT) | instid1(VALU_DEP_2)
	v_pk_mul_f32 v[92:93], v[92:93], v[96:97] op_sel_hi:[1,0]
	v_pk_add_f32 v[82:83], v[82:83], 0 op_sel_hi:[1,0]
	s_delay_alu instid0(VALU_DEP_2) | instskip(SKIP_1) | instid1(VALU_DEP_2)
	v_pk_fma_f32 v[86:87], v[88:89], v[84:85], v[92:93] op_sel_hi:[1,0,1]
	v_pk_fma_f32 v[84:85], v[88:89], v[84:85], v[92:93] neg_lo:[0,0,1] neg_hi:[0,0,1]
	v_mov_b32_e32 v85, v87
	s_delay_alu instid0(VALU_DEP_1) | instskip(SKIP_1) | instid1(VALU_DEP_1)
	v_pk_add_f32 v[82:83], v[82:83], v[84:85]
	s_wait_loadcnt 0x0
	v_pk_add_f32 v[82:83], v[90:91], v[82:83] neg_lo:[0,1] neg_hi:[0,1]
	scratch_store_b64 off, v[82:83], off offset:296
	s_wait_xcnt 0x0
	v_cmpx_lt_u32_e32 36, v0
	s_cbranch_execz .LBB103_181
; %bb.180:
	scratch_load_b64 v[82:83], off, off offset:288
	v_mov_b64_e32 v[84:85], 0
	scratch_store_b64 off, v[84:85], off offset:288
	s_wait_loadcnt 0x0
	ds_store_b64 v1, v[82:83]
.LBB103_181:
	s_wait_xcnt 0x0
	s_or_b32 exec_lo, exec_lo, s0
	s_wait_storecnt_dscnt 0x0
	s_barrier_signal -1
	s_barrier_wait -1
	s_clause 0x2
	scratch_load_b128 v[82:85], off, off offset:296
	scratch_load_b64 v[90:91], off, off offset:312
	scratch_load_b64 v[92:93], off, off offset:288
	v_mov_b32_e32 v7, 0
	ds_load_2addr_b64 v[86:89], v7 offset0:77 offset1:78
	ds_load_b64 v[94:95], v7 offset:632
	s_mov_b32 s0, exec_lo
	s_wait_dscnt 0x1
	v_dual_mov_b32 v96, v89 :: v_dual_mov_b32 v97, v88
	s_wait_loadcnt 0x2
	v_mov_b32_e32 v100, v85
	v_pk_mul_f32 v[98:99], v[86:87], v[82:83] op_sel:[1,1] op_sel_hi:[0,1]
	s_delay_alu instid0(VALU_DEP_2) | instskip(NEXT) | instid1(VALU_DEP_2)
	v_pk_mul_f32 v[96:97], v[96:97], v[100:101] op_sel_hi:[1,0]
	v_pk_fma_f32 v[102:103], v[86:87], v[82:83], v[98:99] op_sel_hi:[1,0,1]
	v_pk_fma_f32 v[82:83], v[86:87], v[82:83], v[98:99] neg_lo:[0,0,1] neg_hi:[0,0,1]
	s_wait_loadcnt_dscnt 0x100
	v_pk_mul_f32 v[98:99], v[94:95], v[90:91] op_sel:[1,1] op_sel_hi:[0,1]
	v_pk_fma_f32 v[86:87], v[88:89], v[84:85], v[96:97] op_sel_hi:[1,0,1]
	v_mov_b32_e32 v83, v103
	v_pk_fma_f32 v[84:85], v[88:89], v[84:85], v[96:97] neg_lo:[0,0,1] neg_hi:[0,0,1]
	s_delay_alu instid0(VALU_DEP_4) | instskip(NEXT) | instid1(VALU_DEP_4)
	v_pk_fma_f32 v[88:89], v[94:95], v[90:91], v[98:99] neg_lo:[0,0,1] neg_hi:[0,0,1]
	v_mov_b32_e32 v85, v87
	s_delay_alu instid0(VALU_DEP_4) | instskip(SKIP_1) | instid1(VALU_DEP_2)
	v_pk_add_f32 v[82:83], v[82:83], 0 op_sel_hi:[1,0]
	v_pk_fma_f32 v[86:87], v[94:95], v[90:91], v[98:99] op_sel_hi:[1,0,1]
	v_pk_add_f32 v[82:83], v[82:83], v[84:85]
	s_delay_alu instid0(VALU_DEP_2) | instskip(NEXT) | instid1(VALU_DEP_1)
	v_mov_b32_e32 v89, v87
	v_pk_add_f32 v[82:83], v[82:83], v[88:89]
	s_wait_loadcnt 0x0
	s_delay_alu instid0(VALU_DEP_1)
	v_pk_add_f32 v[82:83], v[92:93], v[82:83] neg_lo:[0,1] neg_hi:[0,1]
	scratch_store_b64 off, v[82:83], off offset:288
	s_wait_xcnt 0x0
	v_cmpx_lt_u32_e32 35, v0
	s_cbranch_execz .LBB103_183
; %bb.182:
	scratch_load_b64 v[82:83], off, off offset:280
	v_mov_b64_e32 v[84:85], 0
	scratch_store_b64 off, v[84:85], off offset:280
	s_wait_loadcnt 0x0
	ds_store_b64 v1, v[82:83]
.LBB103_183:
	s_wait_xcnt 0x0
	s_or_b32 exec_lo, exec_lo, s0
	s_wait_storecnt_dscnt 0x0
	s_barrier_signal -1
	s_barrier_wait -1
	s_clause 0x2
	scratch_load_b128 v[82:85], off, off offset:288
	scratch_load_b128 v[86:89], off, off offset:304
	scratch_load_b64 v[98:99], off, off offset:280
	ds_load_b128 v[90:93], v7 offset:608
	ds_load_b128 v[94:97], v7 offset:624
	s_mov_b32 s0, exec_lo
	s_wait_dscnt 0x1
	v_dual_mov_b32 v100, v93 :: v_dual_mov_b32 v101, v92
	s_wait_loadcnt_dscnt 0x200
	v_dual_mov_b32 v106, v97 :: v_dual_mov_b32 v104, v85
	v_pk_mul_f32 v[102:103], v[90:91], v[82:83] op_sel:[1,1] op_sel_hi:[0,1]
	s_delay_alu instid0(VALU_DEP_2) | instskip(NEXT) | instid1(VALU_DEP_2)
	v_pk_mul_f32 v[100:101], v[100:101], v[104:105] op_sel_hi:[1,0]
	v_pk_fma_f32 v[108:109], v[90:91], v[82:83], v[102:103] op_sel_hi:[1,0,1]
	v_pk_fma_f32 v[82:83], v[90:91], v[82:83], v[102:103] neg_lo:[0,0,1] neg_hi:[0,0,1]
	v_mov_b32_e32 v107, v96
	s_wait_loadcnt 0x1
	v_pk_mul_f32 v[104:105], v[94:95], v[86:87] op_sel:[1,1] op_sel_hi:[0,1]
	v_pk_fma_f32 v[90:91], v[92:93], v[84:85], v[100:101] op_sel_hi:[1,0,1]
	v_dual_mov_b32 v83, v109 :: v_dual_mov_b32 v90, v89
	v_pk_fma_f32 v[84:85], v[92:93], v[84:85], v[100:101] neg_lo:[0,0,1] neg_hi:[0,0,1]
	s_delay_alu instid0(VALU_DEP_4) | instskip(NEXT) | instid1(VALU_DEP_4)
	v_pk_fma_f32 v[102:103], v[94:95], v[86:87], v[104:105] op_sel_hi:[1,0,1]
	v_mov_b32_e32 v85, v91
	s_delay_alu instid0(VALU_DEP_4) | instskip(SKIP_2) | instid1(VALU_DEP_3)
	v_pk_add_f32 v[82:83], v[82:83], 0 op_sel_hi:[1,0]
	v_pk_mul_f32 v[90:91], v[106:107], v[90:91] op_sel_hi:[1,0]
	v_pk_fma_f32 v[86:87], v[94:95], v[86:87], v[104:105] neg_lo:[0,0,1] neg_hi:[0,0,1]
	v_pk_add_f32 v[82:83], v[82:83], v[84:85]
	s_delay_alu instid0(VALU_DEP_3) | instskip(SKIP_2) | instid1(VALU_DEP_3)
	v_pk_fma_f32 v[84:85], v[96:97], v[88:89], v[90:91] op_sel_hi:[1,0,1]
	v_mov_b32_e32 v87, v103
	v_pk_fma_f32 v[88:89], v[96:97], v[88:89], v[90:91] neg_lo:[0,0,1] neg_hi:[0,0,1]
	v_mov_b32_e32 v89, v85
	s_delay_alu instid0(VALU_DEP_3) | instskip(NEXT) | instid1(VALU_DEP_1)
	v_pk_add_f32 v[82:83], v[82:83], v[86:87]
	v_pk_add_f32 v[82:83], v[82:83], v[88:89]
	s_wait_loadcnt 0x0
	s_delay_alu instid0(VALU_DEP_1)
	v_pk_add_f32 v[82:83], v[98:99], v[82:83] neg_lo:[0,1] neg_hi:[0,1]
	scratch_store_b64 off, v[82:83], off offset:280
	s_wait_xcnt 0x0
	v_cmpx_lt_u32_e32 34, v0
	s_cbranch_execz .LBB103_185
; %bb.184:
	scratch_load_b64 v[82:83], off, off offset:272
	v_mov_b64_e32 v[84:85], 0
	scratch_store_b64 off, v[84:85], off offset:272
	s_wait_loadcnt 0x0
	ds_store_b64 v1, v[82:83]
.LBB103_185:
	s_wait_xcnt 0x0
	s_or_b32 exec_lo, exec_lo, s0
	s_wait_storecnt_dscnt 0x0
	s_barrier_signal -1
	s_barrier_wait -1
	s_clause 0x3
	scratch_load_b128 v[82:85], off, off offset:280
	scratch_load_b128 v[86:89], off, off offset:296
	scratch_load_b64 v[98:99], off, off offset:312
	scratch_load_b64 v[100:101], off, off offset:272
	v_mov_b32_e32 v7, 0
	ds_load_2addr_b64 v[90:93], v7 offset0:75 offset1:76
	ds_load_2addr_b64 v[94:97], v7 offset0:77 offset1:78
	s_mov_b32 s0, exec_lo
	s_wait_dscnt 0x1
	v_dual_mov_b32 v102, v93 :: v_dual_mov_b32 v103, v92
	ds_load_b64 v[108:109], v7 offset:632
	s_wait_dscnt 0x1
	v_dual_mov_b32 v110, v97 :: v_dual_mov_b32 v111, v96
	s_wait_loadcnt 0x3
	v_pk_mul_f32 v[104:105], v[90:91], v[82:83] op_sel:[1,1] op_sel_hi:[0,1]
	v_mov_b32_e32 v106, v85
	s_delay_alu instid0(VALU_DEP_2) | instskip(NEXT) | instid1(VALU_DEP_2)
	v_pk_fma_f32 v[112:113], v[90:91], v[82:83], v[104:105] op_sel_hi:[1,0,1]
	v_pk_mul_f32 v[102:103], v[102:103], v[106:107] op_sel_hi:[1,0]
	v_pk_fma_f32 v[82:83], v[90:91], v[82:83], v[104:105] neg_lo:[0,0,1] neg_hi:[0,0,1]
	s_wait_loadcnt 0x2
	v_pk_mul_f32 v[106:107], v[94:95], v[86:87] op_sel:[1,1] op_sel_hi:[0,1]
	v_dual_mov_b32 v112, v89 :: v_dual_mov_b32 v83, v113
	v_pk_fma_f32 v[90:91], v[92:93], v[84:85], v[102:103] op_sel_hi:[1,0,1]
	v_pk_fma_f32 v[84:85], v[92:93], v[84:85], v[102:103] neg_lo:[0,0,1] neg_hi:[0,0,1]
	s_delay_alu instid0(VALU_DEP_4) | instskip(NEXT) | instid1(VALU_DEP_4)
	v_pk_fma_f32 v[104:105], v[94:95], v[86:87], v[106:107] op_sel_hi:[1,0,1]
	v_pk_mul_f32 v[110:111], v[110:111], v[112:113] op_sel_hi:[1,0]
	v_pk_add_f32 v[82:83], v[82:83], 0 op_sel_hi:[1,0]
	v_mov_b32_e32 v85, v91
	v_pk_fma_f32 v[86:87], v[94:95], v[86:87], v[106:107] neg_lo:[0,0,1] neg_hi:[0,0,1]
	v_mov_b32_e32 v87, v105
	v_pk_fma_f32 v[90:91], v[96:97], v[88:89], v[110:111] op_sel_hi:[1,0,1]
	v_pk_fma_f32 v[88:89], v[96:97], v[88:89], v[110:111] neg_lo:[0,0,1] neg_hi:[0,0,1]
	v_pk_add_f32 v[82:83], v[82:83], v[84:85]
	s_wait_loadcnt_dscnt 0x100
	v_pk_mul_f32 v[84:85], v[108:109], v[98:99] op_sel:[1,1] op_sel_hi:[0,1]
	s_delay_alu instid0(VALU_DEP_2) | instskip(NEXT) | instid1(VALU_DEP_2)
	v_pk_add_f32 v[82:83], v[82:83], v[86:87]
	v_pk_fma_f32 v[86:87], v[108:109], v[98:99], v[84:85] op_sel_hi:[1,0,1]
	v_mov_b32_e32 v89, v91
	v_pk_fma_f32 v[84:85], v[108:109], v[98:99], v[84:85] neg_lo:[0,0,1] neg_hi:[0,0,1]
	s_delay_alu instid0(VALU_DEP_3) | instskip(NEXT) | instid1(VALU_DEP_3)
	v_mov_b32_e32 v85, v87
	v_pk_add_f32 v[82:83], v[82:83], v[88:89]
	s_delay_alu instid0(VALU_DEP_1) | instskip(SKIP_1) | instid1(VALU_DEP_1)
	v_pk_add_f32 v[82:83], v[82:83], v[84:85]
	s_wait_loadcnt 0x0
	v_pk_add_f32 v[82:83], v[100:101], v[82:83] neg_lo:[0,1] neg_hi:[0,1]
	scratch_store_b64 off, v[82:83], off offset:272
	s_wait_xcnt 0x0
	v_cmpx_lt_u32_e32 33, v0
	s_cbranch_execz .LBB103_187
; %bb.186:
	scratch_load_b64 v[82:83], off, off offset:264
	v_mov_b64_e32 v[84:85], 0
	scratch_store_b64 off, v[84:85], off offset:264
	s_wait_loadcnt 0x0
	ds_store_b64 v1, v[82:83]
.LBB103_187:
	s_wait_xcnt 0x0
	s_or_b32 exec_lo, exec_lo, s0
	s_wait_storecnt_dscnt 0x0
	s_barrier_signal -1
	s_barrier_wait -1
	s_clause 0x3
	scratch_load_b128 v[82:85], off, off offset:272
	scratch_load_b128 v[86:89], off, off offset:288
	;; [unrolled: 1-line block ×3, first 2 shown]
	scratch_load_b64 v[106:107], off, off offset:264
	ds_load_b128 v[94:97], v7 offset:592
	ds_load_b128 v[98:101], v7 offset:608
	;; [unrolled: 1-line block ×3, first 2 shown]
	s_mov_b32 s0, exec_lo
	s_wait_dscnt 0x2
	v_dual_mov_b32 v108, v97 :: v_dual_mov_b32 v109, v96
	s_wait_dscnt 0x1
	v_dual_mov_b32 v110, v101 :: v_dual_mov_b32 v111, v100
	;; [unrolled: 2-line block ×3, first 2 shown]
	s_wait_loadcnt 0x3
	v_pk_mul_f32 v[112:113], v[94:95], v[82:83] op_sel:[1,1] op_sel_hi:[0,1]
	v_mov_b32_e32 v114, v85
	s_delay_alu instid0(VALU_DEP_2) | instskip(NEXT) | instid1(VALU_DEP_2)
	v_pk_fma_f32 v[118:119], v[94:95], v[82:83], v[112:113] op_sel_hi:[1,0,1]
	v_pk_mul_f32 v[108:109], v[108:109], v[114:115] op_sel_hi:[1,0]
	v_pk_fma_f32 v[82:83], v[94:95], v[82:83], v[112:113] neg_lo:[0,0,1] neg_hi:[0,0,1]
	s_wait_loadcnt 0x2
	v_pk_mul_f32 v[114:115], v[98:99], v[86:87] op_sel:[1,1] op_sel_hi:[0,1]
	v_mov_b32_e32 v118, v89
	v_pk_fma_f32 v[94:95], v[96:97], v[84:85], v[108:109] op_sel_hi:[1,0,1]
	v_mov_b32_e32 v83, v119
	v_pk_fma_f32 v[84:85], v[96:97], v[84:85], v[108:109] neg_lo:[0,0,1] neg_hi:[0,0,1]
	v_pk_fma_f32 v[112:113], v[98:99], v[86:87], v[114:115] op_sel_hi:[1,0,1]
	v_pk_mul_f32 v[110:111], v[110:111], v[118:119] op_sel_hi:[1,0]
	v_mov_b32_e32 v85, v95
	v_pk_add_f32 v[82:83], v[82:83], 0 op_sel_hi:[1,0]
	v_pk_fma_f32 v[86:87], v[98:99], v[86:87], v[114:115] neg_lo:[0,0,1] neg_hi:[0,0,1]
	s_wait_loadcnt 0x1
	v_pk_mul_f32 v[94:95], v[102:103], v[90:91] op_sel:[1,1] op_sel_hi:[0,1]
	v_mov_b32_e32 v87, v113
	v_pk_fma_f32 v[96:97], v[100:101], v[88:89], v[110:111] op_sel_hi:[1,0,1]
	v_pk_add_f32 v[82:83], v[82:83], v[84:85]
	v_mov_b32_e32 v84, v93
	v_pk_fma_f32 v[88:89], v[100:101], v[88:89], v[110:111] neg_lo:[0,0,1] neg_hi:[0,0,1]
	v_pk_fma_f32 v[98:99], v[102:103], v[90:91], v[94:95] op_sel_hi:[1,0,1]
	v_mov_b32_e32 v89, v97
	v_pk_add_f32 v[82:83], v[82:83], v[86:87]
	v_pk_mul_f32 v[84:85], v[116:117], v[84:85] op_sel_hi:[1,0]
	v_pk_fma_f32 v[86:87], v[102:103], v[90:91], v[94:95] neg_lo:[0,0,1] neg_hi:[0,0,1]
	v_mov_b32_e32 v87, v99
	s_delay_alu instid0(VALU_DEP_4) | instskip(NEXT) | instid1(VALU_DEP_4)
	v_pk_add_f32 v[82:83], v[82:83], v[88:89]
	v_pk_fma_f32 v[88:89], v[104:105], v[92:93], v[84:85] op_sel_hi:[1,0,1]
	v_pk_fma_f32 v[84:85], v[104:105], v[92:93], v[84:85] neg_lo:[0,0,1] neg_hi:[0,0,1]
	s_delay_alu instid0(VALU_DEP_3) | instskip(NEXT) | instid1(VALU_DEP_3)
	v_pk_add_f32 v[82:83], v[82:83], v[86:87]
	v_mov_b32_e32 v85, v89
	s_delay_alu instid0(VALU_DEP_1) | instskip(SKIP_1) | instid1(VALU_DEP_1)
	v_pk_add_f32 v[82:83], v[82:83], v[84:85]
	s_wait_loadcnt 0x0
	v_pk_add_f32 v[82:83], v[106:107], v[82:83] neg_lo:[0,1] neg_hi:[0,1]
	scratch_store_b64 off, v[82:83], off offset:264
	s_wait_xcnt 0x0
	v_cmpx_lt_u32_e32 32, v0
	s_cbranch_execz .LBB103_189
; %bb.188:
	scratch_load_b64 v[82:83], off, off offset:256
	v_mov_b64_e32 v[84:85], 0
	scratch_store_b64 off, v[84:85], off offset:256
	s_wait_loadcnt 0x0
	ds_store_b64 v1, v[82:83]
.LBB103_189:
	s_wait_xcnt 0x0
	s_or_b32 exec_lo, exec_lo, s0
	s_wait_storecnt_dscnt 0x0
	s_barrier_signal -1
	s_barrier_wait -1
	s_clause 0x4
	scratch_load_b128 v[82:85], off, off offset:264
	scratch_load_b128 v[86:89], off, off offset:280
	;; [unrolled: 1-line block ×3, first 2 shown]
	scratch_load_b64 v[106:107], off, off offset:312
	scratch_load_b64 v[108:109], off, off offset:256
	v_mov_b32_e32 v7, 0
	ds_load_2addr_b64 v[94:97], v7 offset0:73 offset1:74
	ds_load_2addr_b64 v[98:101], v7 offset0:75 offset1:76
	ds_load_2addr_b64 v[102:105], v7 offset0:77 offset1:78
	ds_load_b64 v[110:111], v7 offset:632
	s_mov_b32 s0, exec_lo
	s_wait_dscnt 0x3
	v_dual_mov_b32 v112, v97 :: v_dual_mov_b32 v113, v96
	s_wait_dscnt 0x2
	v_dual_mov_b32 v114, v101 :: v_dual_mov_b32 v115, v100
	;; [unrolled: 2-line block ×3, first 2 shown]
	s_wait_loadcnt 0x4
	v_pk_mul_f32 v[116:117], v[94:95], v[82:83] op_sel:[1,1] op_sel_hi:[0,1]
	v_mov_b32_e32 v118, v85
	s_wait_loadcnt 0x3
	v_pk_mul_f32 v[122:123], v[98:99], v[86:87] op_sel:[1,1] op_sel_hi:[0,1]
	s_wait_loadcnt 0x2
	v_pk_mul_f32 v[126:127], v[102:103], v[90:91] op_sel:[1,1] op_sel_hi:[0,1]
	v_pk_fma_f32 v[124:125], v[94:95], v[82:83], v[116:117] op_sel_hi:[1,0,1]
	v_pk_mul_f32 v[112:113], v[112:113], v[118:119] op_sel_hi:[1,0]
	v_pk_fma_f32 v[82:83], v[94:95], v[82:83], v[116:117] neg_lo:[0,0,1] neg_hi:[0,0,1]
	v_mov_b32_e32 v118, v89
	v_pk_fma_f32 v[116:117], v[98:99], v[86:87], v[122:123] op_sel_hi:[1,0,1]
	v_mov_b32_e32 v83, v125
	v_pk_fma_f32 v[94:95], v[96:97], v[84:85], v[112:113] op_sel_hi:[1,0,1]
	v_pk_fma_f32 v[84:85], v[96:97], v[84:85], v[112:113] neg_lo:[0,0,1] neg_hi:[0,0,1]
	v_pk_mul_f32 v[114:115], v[114:115], v[118:119] op_sel_hi:[1,0]
	v_pk_fma_f32 v[86:87], v[98:99], v[86:87], v[122:123] neg_lo:[0,0,1] neg_hi:[0,0,1]
	v_pk_add_f32 v[82:83], v[82:83], 0 op_sel_hi:[1,0]
	v_dual_mov_b32 v85, v95 :: v_dual_mov_b32 v94, v93
	s_delay_alu instid0(VALU_DEP_4) | instskip(SKIP_2) | instid1(VALU_DEP_4)
	v_pk_fma_f32 v[96:97], v[100:101], v[88:89], v[114:115] op_sel_hi:[1,0,1]
	v_mov_b32_e32 v87, v117
	v_pk_fma_f32 v[88:89], v[100:101], v[88:89], v[114:115] neg_lo:[0,0,1] neg_hi:[0,0,1]
	v_pk_add_f32 v[82:83], v[82:83], v[84:85]
	v_pk_fma_f32 v[84:85], v[102:103], v[90:91], v[126:127] op_sel_hi:[1,0,1]
	v_pk_mul_f32 v[94:95], v[120:121], v[94:95] op_sel_hi:[1,0]
	v_mov_b32_e32 v89, v97
	s_delay_alu instid0(VALU_DEP_4)
	v_pk_add_f32 v[82:83], v[82:83], v[86:87]
	v_pk_fma_f32 v[86:87], v[102:103], v[90:91], v[126:127] neg_lo:[0,0,1] neg_hi:[0,0,1]
	v_mov_b32_e32 v87, v85
	v_pk_fma_f32 v[84:85], v[104:105], v[92:93], v[94:95] op_sel_hi:[1,0,1]
	v_pk_fma_f32 v[90:91], v[104:105], v[92:93], v[94:95] neg_lo:[0,0,1] neg_hi:[0,0,1]
	v_pk_add_f32 v[82:83], v[82:83], v[88:89]
	s_wait_loadcnt_dscnt 0x100
	v_pk_mul_f32 v[88:89], v[110:111], v[106:107] op_sel:[1,1] op_sel_hi:[0,1]
	v_mov_b32_e32 v91, v85
	s_delay_alu instid0(VALU_DEP_3) | instskip(NEXT) | instid1(VALU_DEP_3)
	v_pk_add_f32 v[82:83], v[82:83], v[86:87]
	v_pk_fma_f32 v[84:85], v[110:111], v[106:107], v[88:89] op_sel_hi:[1,0,1]
	v_pk_fma_f32 v[86:87], v[110:111], v[106:107], v[88:89] neg_lo:[0,0,1] neg_hi:[0,0,1]
	s_delay_alu instid0(VALU_DEP_3) | instskip(NEXT) | instid1(VALU_DEP_3)
	v_pk_add_f32 v[82:83], v[82:83], v[90:91]
	v_mov_b32_e32 v87, v85
	s_delay_alu instid0(VALU_DEP_1) | instskip(SKIP_1) | instid1(VALU_DEP_1)
	v_pk_add_f32 v[82:83], v[82:83], v[86:87]
	s_wait_loadcnt 0x0
	v_pk_add_f32 v[82:83], v[108:109], v[82:83] neg_lo:[0,1] neg_hi:[0,1]
	scratch_store_b64 off, v[82:83], off offset:256
	s_wait_xcnt 0x0
	v_cmpx_lt_u32_e32 31, v0
	s_cbranch_execz .LBB103_191
; %bb.190:
	scratch_load_b64 v[82:83], off, off offset:248
	v_mov_b64_e32 v[84:85], 0
	scratch_store_b64 off, v[84:85], off offset:248
	s_wait_loadcnt 0x0
	ds_store_b64 v1, v[82:83]
.LBB103_191:
	s_wait_xcnt 0x0
	s_or_b32 exec_lo, exec_lo, s0
	s_wait_storecnt_dscnt 0x0
	s_barrier_signal -1
	s_barrier_wait -1
	s_clause 0x4
	scratch_load_b128 v[82:85], off, off offset:256
	scratch_load_b128 v[86:89], off, off offset:272
	;; [unrolled: 1-line block ×4, first 2 shown]
	scratch_load_b64 v[114:115], off, off offset:248
	ds_load_b128 v[98:101], v7 offset:576
	ds_load_b128 v[102:105], v7 offset:592
	;; [unrolled: 1-line block ×4, first 2 shown]
	s_mov_b32 s0, exec_lo
	s_wait_dscnt 0x3
	v_dual_mov_b32 v116, v101 :: v_dual_mov_b32 v117, v100
	s_wait_dscnt 0x2
	v_dual_mov_b32 v118, v105 :: v_dual_mov_b32 v119, v104
	;; [unrolled: 2-line block ×3, first 2 shown]
	v_dual_mov_b32 v121, v108 :: v_dual_mov_b32 v126, v113
	s_wait_loadcnt 0x4
	v_mov_b32_e32 v124, v85
	v_pk_mul_f32 v[122:123], v[98:99], v[82:83] op_sel:[1,1] op_sel_hi:[0,1]
	s_wait_loadcnt 0x3
	v_pk_mul_f32 v[128:129], v[102:103], v[86:87] op_sel:[1,1] op_sel_hi:[0,1]
	s_wait_loadcnt 0x2
	v_pk_mul_f32 v[132:133], v[106:107], v[90:91] op_sel:[1,1] op_sel_hi:[0,1]
	v_pk_mul_f32 v[116:117], v[116:117], v[124:125] op_sel_hi:[1,0]
	v_pk_fma_f32 v[130:131], v[98:99], v[82:83], v[122:123] op_sel_hi:[1,0,1]
	v_pk_fma_f32 v[82:83], v[98:99], v[82:83], v[122:123] neg_lo:[0,0,1] neg_hi:[0,0,1]
	v_mov_b32_e32 v124, v89
	v_pk_fma_f32 v[122:123], v[102:103], v[86:87], v[128:129] op_sel_hi:[1,0,1]
	v_pk_fma_f32 v[98:99], v[100:101], v[84:85], v[116:117] op_sel_hi:[1,0,1]
	v_mov_b32_e32 v83, v131
	v_pk_fma_f32 v[84:85], v[100:101], v[84:85], v[116:117] neg_lo:[0,0,1] neg_hi:[0,0,1]
	v_pk_mul_f32 v[118:119], v[118:119], v[124:125] op_sel_hi:[1,0]
	s_delay_alu instid0(VALU_DEP_4) | instskip(NEXT) | instid1(VALU_DEP_4)
	v_dual_mov_b32 v98, v93 :: v_dual_mov_b32 v85, v99
	v_pk_add_f32 v[82:83], v[82:83], 0 op_sel_hi:[1,0]
	v_pk_fma_f32 v[86:87], v[102:103], v[86:87], v[128:129] neg_lo:[0,0,1] neg_hi:[0,0,1]
	v_mov_b32_e32 v87, v123
	v_pk_fma_f32 v[100:101], v[104:105], v[88:89], v[118:119] op_sel_hi:[1,0,1]
	v_pk_mul_f32 v[98:99], v[120:121], v[98:99] op_sel_hi:[1,0]
	v_pk_add_f32 v[82:83], v[82:83], v[84:85]
	v_pk_fma_f32 v[84:85], v[106:107], v[90:91], v[132:133] op_sel_hi:[1,0,1]
	v_pk_fma_f32 v[88:89], v[104:105], v[88:89], v[118:119] neg_lo:[0,0,1] neg_hi:[0,0,1]
	v_mov_b32_e32 v89, v101
	v_pk_fma_f32 v[90:91], v[106:107], v[90:91], v[132:133] neg_lo:[0,0,1] neg_hi:[0,0,1]
	v_pk_add_f32 v[82:83], v[82:83], v[86:87]
	v_mov_b32_e32 v91, v85
	v_pk_fma_f32 v[84:85], v[108:109], v[92:93], v[98:99] op_sel_hi:[1,0,1]
	s_wait_loadcnt 0x1
	v_pk_mul_f32 v[86:87], v[110:111], v[94:95] op_sel:[1,1] op_sel_hi:[0,1]
	v_mov_b32_e32 v84, v97
	v_pk_add_f32 v[82:83], v[82:83], v[88:89]
	v_pk_fma_f32 v[92:93], v[108:109], v[92:93], v[98:99] neg_lo:[0,0,1] neg_hi:[0,0,1]
	v_mov_b32_e32 v93, v85
	v_pk_fma_f32 v[88:89], v[110:111], v[94:95], v[86:87] op_sel_hi:[1,0,1]
	v_pk_mul_f32 v[84:85], v[126:127], v[84:85] op_sel_hi:[1,0]
	v_pk_add_f32 v[82:83], v[82:83], v[90:91]
	v_pk_fma_f32 v[86:87], v[110:111], v[94:95], v[86:87] neg_lo:[0,0,1] neg_hi:[0,0,1]
	s_delay_alu instid0(VALU_DEP_4) | instskip(NEXT) | instid1(VALU_DEP_4)
	v_mov_b32_e32 v87, v89
	v_pk_fma_f32 v[88:89], v[112:113], v[96:97], v[84:85] op_sel_hi:[1,0,1]
	s_delay_alu instid0(VALU_DEP_4) | instskip(SKIP_1) | instid1(VALU_DEP_3)
	v_pk_add_f32 v[82:83], v[82:83], v[92:93]
	v_pk_fma_f32 v[84:85], v[112:113], v[96:97], v[84:85] neg_lo:[0,0,1] neg_hi:[0,0,1]
	v_mov_b32_e32 v85, v89
	s_delay_alu instid0(VALU_DEP_3) | instskip(NEXT) | instid1(VALU_DEP_1)
	v_pk_add_f32 v[82:83], v[82:83], v[86:87]
	v_pk_add_f32 v[82:83], v[82:83], v[84:85]
	s_wait_loadcnt 0x0
	s_delay_alu instid0(VALU_DEP_1)
	v_pk_add_f32 v[82:83], v[114:115], v[82:83] neg_lo:[0,1] neg_hi:[0,1]
	scratch_store_b64 off, v[82:83], off offset:248
	s_wait_xcnt 0x0
	v_cmpx_lt_u32_e32 30, v0
	s_cbranch_execz .LBB103_193
; %bb.192:
	scratch_load_b64 v[82:83], off, off offset:240
	v_mov_b64_e32 v[84:85], 0
	scratch_store_b64 off, v[84:85], off offset:240
	s_wait_loadcnt 0x0
	ds_store_b64 v1, v[82:83]
.LBB103_193:
	s_wait_xcnt 0x0
	s_or_b32 exec_lo, exec_lo, s0
	s_wait_storecnt_dscnt 0x0
	s_barrier_signal -1
	s_barrier_wait -1
	s_clause 0x5
	scratch_load_b128 v[82:85], off, off offset:248
	scratch_load_b128 v[86:89], off, off offset:264
	;; [unrolled: 1-line block ×4, first 2 shown]
	scratch_load_b64 v[114:115], off, off offset:312
	scratch_load_b64 v[116:117], off, off offset:240
	v_mov_b32_e32 v7, 0
	ds_load_2addr_b64 v[98:101], v7 offset0:71 offset1:72
	ds_load_2addr_b64 v[102:105], v7 offset0:73 offset1:74
	;; [unrolled: 1-line block ×4, first 2 shown]
	ds_load_b64 v[118:119], v7 offset:632
	s_mov_b32 s0, exec_lo
	s_wait_dscnt 0x4
	v_dual_mov_b32 v120, v101 :: v_dual_mov_b32 v121, v100
	s_wait_dscnt 0x1
	v_dual_mov_b32 v122, v105 :: v_dual_mov_b32 v127, v112
	v_dual_mov_b32 v123, v104 :: v_dual_mov_b32 v124, v109
	;; [unrolled: 1-line block ×3, first 2 shown]
	s_wait_loadcnt 0x5
	v_dual_mov_b32 v128, v85 :: v_dual_mul_f32 v129, v98, v83
	v_mul_f32_e32 v9, v99, v83
	s_wait_loadcnt 0x4
	v_pk_mul_f32 v[130:131], v[102:103], v[86:87] op_sel:[1,1] op_sel_hi:[0,1]
	v_mov_b32_e32 v132, v89
	s_wait_loadcnt 0x3
	v_pk_mul_f32 v[134:135], v[106:107], v[90:91] op_sel:[1,1] op_sel_hi:[0,1]
	v_pk_mul_f32 v[120:121], v[120:121], v[128:129] op_sel_hi:[1,0]
	v_fmac_f32_e32 v129, v99, v82
	v_dual_fma_f32 v128, v98, v82, -v9 :: v_dual_mov_b32 v82, v93
	v_pk_fma_f32 v[136:137], v[102:103], v[86:87], v[130:131] op_sel_hi:[1,0,1]
	s_delay_alu instid0(VALU_DEP_4)
	v_pk_fma_f32 v[98:99], v[100:101], v[84:85], v[120:121] op_sel_hi:[1,0,1]
	v_pk_fma_f32 v[84:85], v[100:101], v[84:85], v[120:121] neg_lo:[0,0,1] neg_hi:[0,0,1]
	v_pk_mul_f32 v[122:123], v[122:123], v[132:133] op_sel_hi:[1,0]
	v_pk_add_f32 v[128:129], v[128:129], 0 op_sel_hi:[1,0]
	v_pk_fma_f32 v[86:87], v[102:103], v[86:87], v[130:131] neg_lo:[0,0,1] neg_hi:[0,0,1]
	v_dual_mov_b32 v85, v99 :: v_dual_mov_b32 v87, v137
	s_delay_alu instid0(VALU_DEP_4) | instskip(SKIP_2) | instid1(VALU_DEP_4)
	v_pk_fma_f32 v[100:101], v[104:105], v[88:89], v[122:123] op_sel_hi:[1,0,1]
	v_pk_fma_f32 v[88:89], v[104:105], v[88:89], v[122:123] neg_lo:[0,0,1] neg_hi:[0,0,1]
	v_pk_fma_f32 v[102:103], v[106:107], v[90:91], v[134:135] op_sel_hi:[1,0,1]
	v_pk_add_f32 v[84:85], v[128:129], v[84:85]
	v_pk_mul_f32 v[82:83], v[124:125], v[82:83] op_sel_hi:[1,0]
	v_mov_b32_e32 v89, v101
	v_pk_fma_f32 v[90:91], v[106:107], v[90:91], v[134:135] neg_lo:[0,0,1] neg_hi:[0,0,1]
	s_wait_loadcnt 0x2
	v_pk_mul_f32 v[98:99], v[110:111], v[94:95] op_sel:[1,1] op_sel_hi:[0,1]
	v_pk_add_f32 v[84:85], v[84:85], v[86:87]
	v_mov_b32_e32 v86, v97
	v_pk_fma_f32 v[100:101], v[108:109], v[92:93], v[82:83] op_sel_hi:[1,0,1]
	v_mov_b32_e32 v91, v103
	v_pk_fma_f32 v[82:83], v[108:109], v[92:93], v[82:83] neg_lo:[0,0,1] neg_hi:[0,0,1]
	v_pk_add_f32 v[84:85], v[84:85], v[88:89]
	v_pk_fma_f32 v[88:89], v[110:111], v[94:95], v[98:99] op_sel_hi:[1,0,1]
	v_pk_mul_f32 v[86:87], v[126:127], v[86:87] op_sel_hi:[1,0]
	v_mov_b32_e32 v83, v101
	s_delay_alu instid0(VALU_DEP_4)
	v_pk_add_f32 v[84:85], v[84:85], v[90:91]
	v_pk_fma_f32 v[90:91], v[110:111], v[94:95], v[98:99] neg_lo:[0,0,1] neg_hi:[0,0,1]
	v_mov_b32_e32 v91, v89
	v_pk_fma_f32 v[88:89], v[112:113], v[96:97], v[86:87] op_sel_hi:[1,0,1]
	v_pk_fma_f32 v[86:87], v[112:113], v[96:97], v[86:87] neg_lo:[0,0,1] neg_hi:[0,0,1]
	v_pk_add_f32 v[82:83], v[84:85], v[82:83]
	s_wait_loadcnt_dscnt 0x100
	v_pk_mul_f32 v[84:85], v[118:119], v[114:115] op_sel:[1,1] op_sel_hi:[0,1]
	v_mov_b32_e32 v87, v89
	s_delay_alu instid0(VALU_DEP_3) | instskip(NEXT) | instid1(VALU_DEP_3)
	v_pk_add_f32 v[82:83], v[82:83], v[90:91]
	v_pk_fma_f32 v[88:89], v[118:119], v[114:115], v[84:85] op_sel_hi:[1,0,1]
	v_pk_fma_f32 v[84:85], v[118:119], v[114:115], v[84:85] neg_lo:[0,0,1] neg_hi:[0,0,1]
	s_delay_alu instid0(VALU_DEP_3) | instskip(NEXT) | instid1(VALU_DEP_3)
	v_pk_add_f32 v[82:83], v[82:83], v[86:87]
	v_mov_b32_e32 v85, v89
	s_delay_alu instid0(VALU_DEP_1) | instskip(SKIP_1) | instid1(VALU_DEP_1)
	v_pk_add_f32 v[82:83], v[82:83], v[84:85]
	s_wait_loadcnt 0x0
	v_pk_add_f32 v[82:83], v[116:117], v[82:83] neg_lo:[0,1] neg_hi:[0,1]
	scratch_store_b64 off, v[82:83], off offset:240
	s_wait_xcnt 0x0
	v_cmpx_lt_u32_e32 29, v0
	s_cbranch_execz .LBB103_195
; %bb.194:
	scratch_load_b64 v[82:83], off, off offset:232
	v_mov_b64_e32 v[84:85], 0
	scratch_store_b64 off, v[84:85], off offset:232
	s_wait_loadcnt 0x0
	ds_store_b64 v1, v[82:83]
.LBB103_195:
	s_wait_xcnt 0x0
	s_or_b32 exec_lo, exec_lo, s0
	s_wait_storecnt_dscnt 0x0
	s_barrier_signal -1
	s_barrier_wait -1
	s_clause 0x5
	scratch_load_b128 v[82:85], off, off offset:240
	scratch_load_b128 v[86:89], off, off offset:256
	;; [unrolled: 1-line block ×5, first 2 shown]
	scratch_load_b64 v[122:123], off, off offset:232
	ds_load_b128 v[102:105], v7 offset:576
	ds_load_b128 v[106:109], v7 offset:592
	;; [unrolled: 1-line block ×5, first 2 shown]
	s_mov_b32 s0, exec_lo
	s_wait_dscnt 0x4
	v_dual_mov_b32 v124, v105 :: v_dual_mov_b32 v125, v104
	s_wait_dscnt 0x3
	v_dual_mov_b32 v126, v109 :: v_dual_mov_b32 v127, v108
	;; [unrolled: 2-line block ×4, first 2 shown]
	s_wait_loadcnt_dscnt 0x500
	v_dual_mul_f32 v133, v118, v83 :: v_dual_mul_f32 v135, v120, v85
	v_dual_mul_f32 v7, v119, v83 :: v_dual_mul_f32 v9, v121, v85
	s_wait_loadcnt 0x4
	v_pk_mul_f32 v[136:137], v[102:103], v[86:87] op_sel:[1,1] op_sel_hi:[0,1]
	s_wait_loadcnt 0x3
	v_dual_mov_b32 v138, v89 :: v_dual_mov_b32 v142, v93
	v_dual_fmac_f32 v133, v119, v82 :: v_dual_fma_f32 v132, v118, v82, -v7
	v_dual_fmac_f32 v135, v121, v84 :: v_dual_fma_f32 v134, v120, v84, -v9
	v_pk_fma_f32 v[82:83], v[102:103], v[86:87], v[136:137] op_sel_hi:[1,0,1]
	s_delay_alu instid0(VALU_DEP_4) | instskip(NEXT) | instid1(VALU_DEP_4)
	v_pk_mul_f32 v[84:85], v[124:125], v[138:139] op_sel_hi:[1,0]
	v_pk_add_f32 v[118:119], v[132:133], 0 op_sel_hi:[1,0]
	v_pk_fma_f32 v[86:87], v[102:103], v[86:87], v[136:137] neg_lo:[0,0,1] neg_hi:[0,0,1]
	v_pk_mul_f32 v[140:141], v[106:107], v[90:91] op_sel:[1,1] op_sel_hi:[0,1]
	v_mov_b32_e32 v87, v83
	v_pk_fma_f32 v[82:83], v[104:105], v[88:89], v[84:85] op_sel_hi:[1,0,1]
	v_pk_add_f32 v[102:103], v[118:119], v[134:135]
	v_pk_fma_f32 v[84:85], v[104:105], v[88:89], v[84:85] neg_lo:[0,0,1] neg_hi:[0,0,1]
	v_pk_fma_f32 v[118:119], v[106:107], v[90:91], v[140:141] op_sel_hi:[1,0,1]
	v_pk_mul_f32 v[124:125], v[126:127], v[142:143] op_sel_hi:[1,0]
	v_mov_b32_e32 v85, v83
	v_pk_add_f32 v[82:83], v[102:103], v[86:87]
	s_wait_loadcnt 0x2
	v_pk_mul_f32 v[120:121], v[110:111], v[94:95] op_sel:[1,1] op_sel_hi:[0,1]
	v_mov_b32_e32 v86, v97
	v_pk_fma_f32 v[88:89], v[106:107], v[90:91], v[140:141] neg_lo:[0,0,1] neg_hi:[0,0,1]
	v_mov_b32_e32 v89, v119
	v_pk_fma_f32 v[90:91], v[108:109], v[92:93], v[124:125] op_sel_hi:[1,0,1]
	v_pk_add_f32 v[82:83], v[82:83], v[84:85]
	v_pk_fma_f32 v[84:85], v[110:111], v[94:95], v[120:121] op_sel_hi:[1,0,1]
	v_pk_mul_f32 v[86:87], v[128:129], v[86:87] op_sel_hi:[1,0]
	v_pk_fma_f32 v[92:93], v[108:109], v[92:93], v[124:125] neg_lo:[0,0,1] neg_hi:[0,0,1]
	v_mov_b32_e32 v93, v91
	v_pk_add_f32 v[82:83], v[82:83], v[88:89]
	v_pk_fma_f32 v[90:91], v[110:111], v[94:95], v[120:121] neg_lo:[0,0,1] neg_hi:[0,0,1]
	v_mov_b32_e32 v91, v85
	v_pk_fma_f32 v[84:85], v[112:113], v[96:97], v[86:87] op_sel_hi:[1,0,1]
	s_wait_loadcnt 0x1
	v_pk_mul_f32 v[88:89], v[114:115], v[98:99] op_sel:[1,1] op_sel_hi:[0,1]
	v_pk_add_f32 v[82:83], v[82:83], v[92:93]
	v_mov_b32_e32 v84, v101
	v_pk_fma_f32 v[86:87], v[112:113], v[96:97], v[86:87] neg_lo:[0,0,1] neg_hi:[0,0,1]
	v_mov_b32_e32 v87, v85
	v_pk_fma_f32 v[92:93], v[114:115], v[98:99], v[88:89] op_sel_hi:[1,0,1]
	v_pk_add_f32 v[82:83], v[82:83], v[90:91]
	v_pk_mul_f32 v[84:85], v[130:131], v[84:85] op_sel_hi:[1,0]
	v_pk_fma_f32 v[88:89], v[114:115], v[98:99], v[88:89] neg_lo:[0,0,1] neg_hi:[0,0,1]
	s_delay_alu instid0(VALU_DEP_3) | instskip(NEXT) | instid1(VALU_DEP_3)
	v_pk_add_f32 v[82:83], v[82:83], v[86:87]
	v_pk_fma_f32 v[86:87], v[116:117], v[100:101], v[84:85] op_sel_hi:[1,0,1]
	v_mov_b32_e32 v89, v93
	v_pk_fma_f32 v[84:85], v[116:117], v[100:101], v[84:85] neg_lo:[0,0,1] neg_hi:[0,0,1]
	s_delay_alu instid0(VALU_DEP_3) | instskip(NEXT) | instid1(VALU_DEP_3)
	v_mov_b32_e32 v85, v87
	v_pk_add_f32 v[82:83], v[82:83], v[88:89]
	s_delay_alu instid0(VALU_DEP_1) | instskip(SKIP_1) | instid1(VALU_DEP_1)
	v_pk_add_f32 v[82:83], v[82:83], v[84:85]
	s_wait_loadcnt 0x0
	v_pk_add_f32 v[82:83], v[122:123], v[82:83] neg_lo:[0,1] neg_hi:[0,1]
	scratch_store_b64 off, v[82:83], off offset:232
	s_wait_xcnt 0x0
	v_cmpx_lt_u32_e32 28, v0
	s_cbranch_execz .LBB103_197
; %bb.196:
	scratch_load_b64 v[82:83], off, off offset:224
	v_mov_b64_e32 v[84:85], 0
	scratch_store_b64 off, v[84:85], off offset:224
	s_wait_loadcnt 0x0
	ds_store_b64 v1, v[82:83]
.LBB103_197:
	s_wait_xcnt 0x0
	s_or_b32 exec_lo, exec_lo, s0
	s_wait_storecnt_dscnt 0x0
	s_barrier_signal -1
	s_barrier_wait -1
	s_clause 0x6
	scratch_load_b128 v[82:85], off, off offset:232
	scratch_load_b128 v[86:89], off, off offset:248
	;; [unrolled: 1-line block ×5, first 2 shown]
	scratch_load_b64 v[122:123], off, off offset:312
	scratch_load_b64 v[124:125], off, off offset:224
	v_mov_b32_e32 v7, 0
	ds_load_2addr_b64 v[102:105], v7 offset0:71 offset1:72
	ds_load_2addr_b64 v[106:109], v7 offset0:73 offset1:74
	ds_load_2addr_b64 v[110:113], v7 offset0:75 offset1:76
	ds_load_2addr_b64 v[114:117], v7 offset0:77 offset1:78
	ds_load_2addr_b64 v[118:121], v7 offset0:69 offset1:70
	ds_load_b64 v[126:127], v7 offset:632
	s_mov_b32 s0, exec_lo
	s_wait_dscnt 0x5
	v_dual_mov_b32 v128, v105 :: v_dual_mov_b32 v129, v104
	s_wait_dscnt 0x2
	v_dual_mov_b32 v130, v109 :: v_dual_mov_b32 v135, v116
	v_dual_mov_b32 v131, v108 :: v_dual_mov_b32 v132, v113
	;; [unrolled: 1-line block ×3, first 2 shown]
	s_wait_loadcnt_dscnt 0x601
	v_dual_mul_f32 v9, v118, v83 :: v_dual_mul_f32 v11, v119, v83
	v_dual_mul_f32 v13, v121, v85 :: v_dual_mul_f32 v137, v120, v85
	s_wait_loadcnt 0x5
	v_dual_mul_f32 v139, v102, v87 :: v_dual_mul_f32 v15, v103, v87
	s_wait_loadcnt 0x4
	v_dual_mov_b32 v138, v89 :: v_dual_mov_b32 v142, v93
	v_dual_fmac_f32 v9, v119, v82 :: v_dual_fma_f32 v11, v118, v82, -v11
	v_fmac_f32_e32 v137, v121, v84
	v_pk_mul_f32 v[140:141], v[106:107], v[90:91] op_sel:[1,1] op_sel_hi:[0,1]
	s_delay_alu instid0(VALU_DEP_3)
	v_dual_fma_f32 v136, v120, v84, -v13 :: v_dual_add_f32 v85, 0, v9
	v_pk_mul_f32 v[82:83], v[128:129], v[138:139] op_sel_hi:[1,0]
	s_wait_loadcnt 0x3
	v_dual_add_f32 v84, 0, v11 :: v_dual_mov_b32 v118, v97
	v_fmac_f32_e32 v139, v103, v86
	v_fma_f32 v138, v102, v86, -v15
	v_pk_fma_f32 v[86:87], v[104:105], v[88:89], v[82:83] op_sel_hi:[1,0,1]
	s_delay_alu instid0(VALU_DEP_4) | instskip(SKIP_4) | instid1(VALU_DEP_4)
	v_pk_add_f32 v[84:85], v[84:85], v[136:137]
	v_pk_fma_f32 v[102:103], v[106:107], v[90:91], v[140:141] op_sel_hi:[1,0,1]
	v_pk_fma_f32 v[82:83], v[104:105], v[88:89], v[82:83] neg_lo:[0,0,1] neg_hi:[0,0,1]
	v_pk_fma_f32 v[88:89], v[106:107], v[90:91], v[140:141] neg_lo:[0,0,1] neg_hi:[0,0,1]
	v_pk_mul_f32 v[120:121], v[130:131], v[142:143] op_sel_hi:[1,0]
	v_dual_mov_b32 v83, v87 :: v_dual_mov_b32 v89, v103
	v_pk_add_f32 v[84:85], v[84:85], v[138:139]
	v_pk_mul_f32 v[144:145], v[110:111], v[94:95] op_sel:[1,1] op_sel_hi:[0,1]
	s_delay_alu instid0(VALU_DEP_4)
	v_pk_fma_f32 v[90:91], v[108:109], v[92:93], v[120:121] op_sel_hi:[1,0,1]
	v_pk_fma_f32 v[92:93], v[108:109], v[92:93], v[120:121] neg_lo:[0,0,1] neg_hi:[0,0,1]
	v_pk_mul_f32 v[102:103], v[132:133], v[118:119] op_sel_hi:[1,0]
	v_pk_add_f32 v[82:83], v[84:85], v[82:83]
	v_pk_fma_f32 v[84:85], v[110:111], v[94:95], v[144:145] op_sel_hi:[1,0,1]
	s_wait_loadcnt 0x2
	v_dual_mov_b32 v93, v91 :: v_dual_mov_b32 v84, v101
	v_pk_mul_f32 v[86:87], v[114:115], v[98:99] op_sel:[1,1] op_sel_hi:[0,1]
	v_pk_add_f32 v[82:83], v[82:83], v[88:89]
	v_pk_fma_f32 v[88:89], v[110:111], v[94:95], v[144:145] neg_lo:[0,0,1] neg_hi:[0,0,1]
	v_pk_fma_f32 v[90:91], v[112:113], v[96:97], v[102:103] op_sel_hi:[1,0,1]
	v_mov_b32_e32 v89, v85
	v_pk_fma_f32 v[94:95], v[112:113], v[96:97], v[102:103] neg_lo:[0,0,1] neg_hi:[0,0,1]
	v_pk_add_f32 v[82:83], v[82:83], v[92:93]
	v_pk_fma_f32 v[92:93], v[114:115], v[98:99], v[86:87] op_sel_hi:[1,0,1]
	v_pk_mul_f32 v[84:85], v[134:135], v[84:85] op_sel_hi:[1,0]
	v_mov_b32_e32 v95, v91
	v_pk_fma_f32 v[86:87], v[114:115], v[98:99], v[86:87] neg_lo:[0,0,1] neg_hi:[0,0,1]
	v_pk_add_f32 v[82:83], v[82:83], v[88:89]
	s_wait_loadcnt_dscnt 0x100
	v_pk_mul_f32 v[90:91], v[126:127], v[122:123] op_sel:[1,1] op_sel_hi:[0,1]
	v_pk_fma_f32 v[88:89], v[116:117], v[100:101], v[84:85] op_sel_hi:[1,0,1]
	v_mov_b32_e32 v87, v93
	v_pk_fma_f32 v[84:85], v[116:117], v[100:101], v[84:85] neg_lo:[0,0,1] neg_hi:[0,0,1]
	v_pk_add_f32 v[82:83], v[82:83], v[94:95]
	s_delay_alu instid0(VALU_DEP_4) | instskip(SKIP_1) | instid1(VALU_DEP_3)
	v_mov_b32_e32 v85, v89
	v_pk_fma_f32 v[88:89], v[126:127], v[122:123], v[90:91] neg_lo:[0,0,1] neg_hi:[0,0,1]
	v_pk_add_f32 v[82:83], v[82:83], v[86:87]
	v_pk_fma_f32 v[86:87], v[126:127], v[122:123], v[90:91] op_sel_hi:[1,0,1]
	s_delay_alu instid0(VALU_DEP_2) | instskip(NEXT) | instid1(VALU_DEP_2)
	v_pk_add_f32 v[82:83], v[82:83], v[84:85]
	v_mov_b32_e32 v89, v87
	s_delay_alu instid0(VALU_DEP_1) | instskip(SKIP_1) | instid1(VALU_DEP_1)
	v_pk_add_f32 v[82:83], v[82:83], v[88:89]
	s_wait_loadcnt 0x0
	v_pk_add_f32 v[82:83], v[124:125], v[82:83] neg_lo:[0,1] neg_hi:[0,1]
	scratch_store_b64 off, v[82:83], off offset:224
	s_wait_xcnt 0x0
	v_cmpx_lt_u32_e32 27, v0
	s_cbranch_execz .LBB103_199
; %bb.198:
	scratch_load_b64 v[82:83], off, off offset:216
	v_mov_b64_e32 v[84:85], 0
	scratch_store_b64 off, v[84:85], off offset:216
	s_wait_loadcnt 0x0
	ds_store_b64 v1, v[82:83]
.LBB103_199:
	s_wait_xcnt 0x0
	s_or_b32 exec_lo, exec_lo, s0
	s_wait_storecnt_dscnt 0x0
	s_barrier_signal -1
	s_barrier_wait -1
	s_clause 0x6
	scratch_load_b128 v[82:85], off, off offset:224
	scratch_load_b128 v[86:89], off, off offset:240
	;; [unrolled: 1-line block ×6, first 2 shown]
	scratch_load_b64 v[130:131], off, off offset:216
	ds_load_b128 v[106:109], v7 offset:576
	ds_load_b128 v[110:113], v7 offset:592
	;; [unrolled: 1-line block ×6, first 2 shown]
	s_mov_b32 s0, exec_lo
	s_wait_dscnt 0x5
	v_dual_mov_b32 v132, v109 :: v_dual_mov_b32 v133, v108
	s_wait_dscnt 0x4
	v_dual_mov_b32 v134, v113 :: v_dual_mov_b32 v135, v112
	;; [unrolled: 2-line block ×4, first 2 shown]
	s_wait_loadcnt_dscnt 0x601
	v_dual_mul_f32 v7, v122, v83 :: v_dual_mul_f32 v9, v124, v85
	v_dual_mul_f32 v11, v123, v83 :: v_dual_mul_f32 v13, v125, v85
	s_wait_loadcnt 0x4
	s_delay_alu instid0(VALU_DEP_2)
	v_dual_mov_b32 v146, v93 :: v_dual_fmac_f32 v7, v123, v82
	s_wait_dscnt 0x0
	v_dual_mul_f32 v141, v126, v87 :: v_dual_mul_f32 v143, v128, v89
	v_dual_fma_f32 v11, v122, v82, -v11 :: v_dual_fmac_f32 v9, v125, v84
	v_dual_mul_f32 v15, v127, v87 :: v_dual_mul_f32 v17, v129, v89
	v_dual_fma_f32 v13, v124, v84, -v13 :: v_dual_add_f32 v7, 0, v7
	s_wait_loadcnt 0x3
	s_delay_alu instid0(VALU_DEP_3) | instskip(SKIP_3) | instid1(VALU_DEP_4)
	v_dual_add_f32 v11, 0, v11 :: v_dual_mov_b32 v84, v97
	v_pk_mul_f32 v[144:145], v[106:107], v[90:91] op_sel:[1,1] op_sel_hi:[0,1]
	v_dual_fmac_f32 v141, v127, v86 :: v_dual_fma_f32 v140, v126, v86, -v15
	v_dual_add_f32 v87, v7, v9 :: v_dual_fmac_f32 v143, v129, v88
	v_dual_add_f32 v86, v11, v13 :: v_dual_fma_f32 v142, v128, v88, -v17
	s_delay_alu instid0(VALU_DEP_4) | instskip(SKIP_2) | instid1(VALU_DEP_4)
	v_pk_fma_f32 v[88:89], v[106:107], v[90:91], v[144:145] op_sel_hi:[1,0,1]
	v_pk_mul_f32 v[122:123], v[132:133], v[146:147] op_sel_hi:[1,0]
	v_pk_fma_f32 v[90:91], v[106:107], v[90:91], v[144:145] neg_lo:[0,0,1] neg_hi:[0,0,1]
	v_pk_add_f32 v[86:87], v[86:87], v[140:141]
	v_pk_mul_f32 v[82:83], v[110:111], v[94:95] op_sel:[1,1] op_sel_hi:[0,1]
	v_mov_b32_e32 v91, v89
	v_pk_fma_f32 v[88:89], v[108:109], v[92:93], v[122:123] op_sel_hi:[1,0,1]
	v_pk_fma_f32 v[92:93], v[108:109], v[92:93], v[122:123] neg_lo:[0,0,1] neg_hi:[0,0,1]
	v_pk_add_f32 v[86:87], v[86:87], v[142:143]
	v_pk_fma_f32 v[106:107], v[110:111], v[94:95], v[82:83] op_sel_hi:[1,0,1]
	v_pk_mul_f32 v[84:85], v[134:135], v[84:85] op_sel_hi:[1,0]
	v_mov_b32_e32 v93, v89
	v_pk_fma_f32 v[82:83], v[110:111], v[94:95], v[82:83] neg_lo:[0,0,1] neg_hi:[0,0,1]
	v_pk_add_f32 v[86:87], v[86:87], v[90:91]
	s_wait_loadcnt 0x2
	v_pk_mul_f32 v[124:125], v[114:115], v[98:99] op_sel:[1,1] op_sel_hi:[0,1]
	v_dual_mov_b32 v88, v101 :: v_dual_mov_b32 v83, v107
	v_pk_fma_f32 v[90:91], v[112:113], v[96:97], v[84:85] op_sel_hi:[1,0,1]
	v_pk_add_f32 v[86:87], v[86:87], v[92:93]
	v_pk_fma_f32 v[84:85], v[112:113], v[96:97], v[84:85] neg_lo:[0,0,1] neg_hi:[0,0,1]
	v_pk_fma_f32 v[92:93], v[114:115], v[98:99], v[124:125] op_sel_hi:[1,0,1]
	v_pk_mul_f32 v[88:89], v[136:137], v[88:89] op_sel_hi:[1,0]
	v_mov_b32_e32 v85, v91
	v_pk_add_f32 v[82:83], v[86:87], v[82:83]
	v_pk_fma_f32 v[90:91], v[114:115], v[98:99], v[124:125] neg_lo:[0,0,1] neg_hi:[0,0,1]
	s_wait_loadcnt 0x1
	v_pk_mul_f32 v[86:87], v[118:119], v[102:103] op_sel:[1,1] op_sel_hi:[0,1]
	v_mov_b32_e32 v91, v93
	v_pk_fma_f32 v[92:93], v[116:117], v[100:101], v[88:89] op_sel_hi:[1,0,1]
	v_pk_add_f32 v[82:83], v[82:83], v[84:85]
	v_mov_b32_e32 v84, v105
	v_pk_fma_f32 v[88:89], v[116:117], v[100:101], v[88:89] neg_lo:[0,0,1] neg_hi:[0,0,1]
	v_pk_fma_f32 v[94:95], v[118:119], v[102:103], v[86:87] op_sel_hi:[1,0,1]
	v_mov_b32_e32 v89, v93
	v_pk_add_f32 v[82:83], v[82:83], v[90:91]
	v_pk_mul_f32 v[84:85], v[138:139], v[84:85] op_sel_hi:[1,0]
	v_pk_fma_f32 v[86:87], v[118:119], v[102:103], v[86:87] neg_lo:[0,0,1] neg_hi:[0,0,1]
	s_delay_alu instid0(VALU_DEP_3) | instskip(NEXT) | instid1(VALU_DEP_3)
	v_pk_add_f32 v[82:83], v[82:83], v[88:89]
	v_pk_fma_f32 v[88:89], v[120:121], v[104:105], v[84:85] op_sel_hi:[1,0,1]
	v_mov_b32_e32 v87, v95
	v_pk_fma_f32 v[84:85], v[120:121], v[104:105], v[84:85] neg_lo:[0,0,1] neg_hi:[0,0,1]
	s_delay_alu instid0(VALU_DEP_3) | instskip(NEXT) | instid1(VALU_DEP_3)
	v_mov_b32_e32 v85, v89
	v_pk_add_f32 v[82:83], v[82:83], v[86:87]
	s_delay_alu instid0(VALU_DEP_1) | instskip(SKIP_1) | instid1(VALU_DEP_1)
	v_pk_add_f32 v[82:83], v[82:83], v[84:85]
	s_wait_loadcnt 0x0
	v_pk_add_f32 v[82:83], v[130:131], v[82:83] neg_lo:[0,1] neg_hi:[0,1]
	scratch_store_b64 off, v[82:83], off offset:216
	s_wait_xcnt 0x0
	v_cmpx_lt_u32_e32 26, v0
	s_cbranch_execz .LBB103_201
; %bb.200:
	scratch_load_b64 v[82:83], off, off offset:208
	v_mov_b64_e32 v[84:85], 0
	scratch_store_b64 off, v[84:85], off offset:208
	s_wait_loadcnt 0x0
	ds_store_b64 v1, v[82:83]
.LBB103_201:
	s_wait_xcnt 0x0
	s_or_b32 exec_lo, exec_lo, s0
	s_wait_storecnt_dscnt 0x0
	s_barrier_signal -1
	s_barrier_wait -1
	s_clause 0x7
	scratch_load_b128 v[82:85], off, off offset:216
	scratch_load_b128 v[86:89], off, off offset:232
	;; [unrolled: 1-line block ×6, first 2 shown]
	scratch_load_b64 v[130:131], off, off offset:312
	scratch_load_b64 v[132:133], off, off offset:208
	v_mov_b32_e32 v7, 0
	ds_load_2addr_b64 v[106:109], v7 offset0:71 offset1:72
	ds_load_2addr_b64 v[110:113], v7 offset0:73 offset1:74
	;; [unrolled: 1-line block ×6, first 2 shown]
	ds_load_b64 v[134:135], v7 offset:632
	s_mov_b32 s0, exec_lo
	s_wait_dscnt 0x6
	v_dual_mov_b32 v136, v109 :: v_dual_mov_b32 v137, v108
	s_wait_dscnt 0x3
	v_dual_mov_b32 v138, v113 :: v_dual_mov_b32 v143, v120
	v_dual_mov_b32 v139, v112 :: v_dual_mov_b32 v140, v117
	;; [unrolled: 1-line block ×3, first 2 shown]
	s_wait_loadcnt_dscnt 0x702
	v_dual_mul_f32 v9, v122, v83 :: v_dual_mul_f32 v15, v123, v83
	v_dual_mul_f32 v17, v125, v85 :: v_dual_mul_f32 v11, v124, v85
	s_wait_loadcnt_dscnt 0x601
	s_delay_alu instid0(VALU_DEP_2) | instskip(NEXT) | instid1(VALU_DEP_3)
	v_dual_mul_f32 v13, v126, v87 :: v_dual_fmac_f32 v9, v123, v82
	v_dual_fma_f32 v15, v122, v82, -v15 :: v_dual_mul_f32 v19, v127, v87
	v_mul_f32_e32 v21, v129, v89
	s_wait_loadcnt 0x4
	v_dual_mov_b32 v82, v97 :: v_dual_fma_f32 v17, v124, v84, -v17
	v_dual_fmac_f32 v11, v125, v84 :: v_dual_add_f32 v9, 0, v9
	v_dual_add_f32 v15, 0, v15 :: v_dual_fmac_f32 v13, v127, v86
	v_dual_mul_f32 v145, v128, v89 :: v_dual_mul_f32 v147, v106, v91
	v_dual_mul_f32 v23, v107, v91 :: v_dual_mov_b32 v146, v93
	s_delay_alu instid0(VALU_DEP_4) | instskip(NEXT) | instid1(VALU_DEP_3)
	v_dual_fma_f32 v19, v126, v86, -v19 :: v_dual_add_f32 v9, v9, v11
	v_dual_add_f32 v11, v15, v17 :: v_dual_fmac_f32 v145, v129, v88
	v_pk_mul_f32 v[148:149], v[110:111], v[94:95] op_sel:[1,1] op_sel_hi:[0,1]
	s_delay_alu instid0(VALU_DEP_3)
	v_dual_fma_f32 v144, v128, v88, -v21 :: v_dual_add_f32 v89, v9, v13
	v_pk_mul_f32 v[86:87], v[136:137], v[146:147] op_sel_hi:[1,0]
	s_wait_loadcnt 0x3
	v_dual_add_f32 v88, v11, v19 :: v_dual_mov_b32 v122, v101
	v_fmac_f32_e32 v147, v107, v90
	v_fma_f32 v146, v106, v90, -v23
	v_pk_fma_f32 v[90:91], v[108:109], v[92:93], v[86:87] op_sel_hi:[1,0,1]
	s_delay_alu instid0(VALU_DEP_4) | instskip(SKIP_4) | instid1(VALU_DEP_4)
	v_pk_add_f32 v[88:89], v[88:89], v[144:145]
	v_pk_fma_f32 v[106:107], v[110:111], v[94:95], v[148:149] op_sel_hi:[1,0,1]
	v_pk_fma_f32 v[86:87], v[108:109], v[92:93], v[86:87] neg_lo:[0,0,1] neg_hi:[0,0,1]
	v_pk_fma_f32 v[92:93], v[110:111], v[94:95], v[148:149] neg_lo:[0,0,1] neg_hi:[0,0,1]
	v_pk_mul_f32 v[82:83], v[138:139], v[82:83] op_sel_hi:[1,0]
	v_dual_mov_b32 v87, v91 :: v_dual_mov_b32 v93, v107
	v_pk_add_f32 v[88:89], v[88:89], v[146:147]
	v_pk_mul_f32 v[84:85], v[114:115], v[98:99] op_sel:[1,1] op_sel_hi:[0,1]
	s_delay_alu instid0(VALU_DEP_4)
	v_pk_fma_f32 v[94:95], v[112:113], v[96:97], v[82:83] op_sel_hi:[1,0,1]
	v_pk_fma_f32 v[82:83], v[112:113], v[96:97], v[82:83] neg_lo:[0,0,1] neg_hi:[0,0,1]
	v_pk_mul_f32 v[106:107], v[140:141], v[122:123] op_sel_hi:[1,0]
	v_pk_add_f32 v[86:87], v[88:89], v[86:87]
	v_pk_fma_f32 v[88:89], v[114:115], v[98:99], v[84:85] op_sel_hi:[1,0,1]
	s_wait_loadcnt 0x2
	v_dual_mov_b32 v83, v95 :: v_dual_mov_b32 v88, v105
	v_pk_fma_f32 v[84:85], v[114:115], v[98:99], v[84:85] neg_lo:[0,0,1] neg_hi:[0,0,1]
	v_pk_add_f32 v[86:87], v[86:87], v[92:93]
	v_pk_mul_f32 v[90:91], v[118:119], v[102:103] op_sel:[1,1] op_sel_hi:[0,1]
	v_pk_fma_f32 v[92:93], v[116:117], v[100:101], v[106:107] op_sel_hi:[1,0,1]
	v_mov_b32_e32 v85, v89
	v_pk_fma_f32 v[94:95], v[116:117], v[100:101], v[106:107] neg_lo:[0,0,1] neg_hi:[0,0,1]
	v_pk_add_f32 v[82:83], v[86:87], v[82:83]
	v_pk_fma_f32 v[86:87], v[118:119], v[102:103], v[90:91] op_sel_hi:[1,0,1]
	v_pk_mul_f32 v[88:89], v[142:143], v[88:89] op_sel_hi:[1,0]
	v_mov_b32_e32 v95, v93
	s_delay_alu instid0(VALU_DEP_4)
	v_pk_add_f32 v[82:83], v[82:83], v[84:85]
	v_pk_fma_f32 v[84:85], v[118:119], v[102:103], v[90:91] neg_lo:[0,0,1] neg_hi:[0,0,1]
	v_mov_b32_e32 v85, v87
	v_pk_fma_f32 v[86:87], v[120:121], v[104:105], v[88:89] op_sel_hi:[1,0,1]
	s_wait_loadcnt_dscnt 0x100
	v_pk_mul_f32 v[90:91], v[134:135], v[130:131] op_sel:[1,1] op_sel_hi:[0,1]
	v_pk_add_f32 v[82:83], v[82:83], v[94:95]
	v_pk_fma_f32 v[88:89], v[120:121], v[104:105], v[88:89] neg_lo:[0,0,1] neg_hi:[0,0,1]
	v_mov_b32_e32 v89, v87
	s_delay_alu instid0(VALU_DEP_4) | instskip(NEXT) | instid1(VALU_DEP_4)
	v_pk_fma_f32 v[86:87], v[134:135], v[130:131], v[90:91] neg_lo:[0,0,1] neg_hi:[0,0,1]
	v_pk_add_f32 v[82:83], v[82:83], v[84:85]
	v_pk_fma_f32 v[84:85], v[134:135], v[130:131], v[90:91] op_sel_hi:[1,0,1]
	s_delay_alu instid0(VALU_DEP_2) | instskip(NEXT) | instid1(VALU_DEP_2)
	v_pk_add_f32 v[82:83], v[82:83], v[88:89]
	v_mov_b32_e32 v87, v85
	s_delay_alu instid0(VALU_DEP_1) | instskip(SKIP_1) | instid1(VALU_DEP_1)
	v_pk_add_f32 v[82:83], v[82:83], v[86:87]
	s_wait_loadcnt 0x0
	v_pk_add_f32 v[82:83], v[132:133], v[82:83] neg_lo:[0,1] neg_hi:[0,1]
	scratch_store_b64 off, v[82:83], off offset:208
	s_wait_xcnt 0x0
	v_cmpx_lt_u32_e32 25, v0
	s_cbranch_execz .LBB103_203
; %bb.202:
	scratch_load_b64 v[82:83], off, off offset:200
	v_mov_b64_e32 v[84:85], 0
	scratch_store_b64 off, v[84:85], off offset:200
	s_wait_loadcnt 0x0
	ds_store_b64 v1, v[82:83]
.LBB103_203:
	s_wait_xcnt 0x0
	s_or_b32 exec_lo, exec_lo, s0
	s_wait_storecnt_dscnt 0x0
	s_barrier_signal -1
	s_barrier_wait -1
	s_clause 0x7
	scratch_load_b128 v[82:85], off, off offset:208
	scratch_load_b128 v[86:89], off, off offset:224
	;; [unrolled: 1-line block ×7, first 2 shown]
	scratch_load_b64 v[138:139], off, off offset:200
	ds_load_b128 v[110:113], v7 offset:576
	ds_load_b128 v[114:117], v7 offset:592
	;; [unrolled: 1-line block ×7, first 2 shown]
	s_mov_b32 s0, exec_lo
	s_wait_dscnt 0x6
	v_dual_mov_b32 v140, v113 :: v_dual_mov_b32 v141, v112
	s_wait_dscnt 0x5
	v_dual_mov_b32 v142, v117 :: v_dual_mov_b32 v143, v116
	;; [unrolled: 2-line block ×4, first 2 shown]
	s_wait_loadcnt_dscnt 0x702
	v_dual_mul_f32 v7, v126, v83 :: v_dual_mul_f32 v9, v128, v85
	v_dual_mul_f32 v15, v127, v83 :: v_dual_mul_f32 v17, v129, v85
	s_wait_loadcnt_dscnt 0x601
	v_dual_mul_f32 v11, v130, v87 :: v_dual_mul_f32 v13, v132, v89
	s_delay_alu instid0(VALU_DEP_3) | instskip(NEXT) | instid1(VALU_DEP_3)
	v_dual_fmac_f32 v7, v127, v82 :: v_dual_fmac_f32 v9, v129, v84
	v_dual_fma_f32 v15, v126, v82, -v15 :: v_dual_fma_f32 v17, v128, v84, -v17
	v_dual_mul_f32 v19, v131, v87 :: v_dual_mul_f32 v21, v133, v89
	s_wait_loadcnt 0x4
	s_delay_alu instid0(VALU_DEP_3) | instskip(NEXT) | instid1(VALU_DEP_3)
	v_dual_add_f32 v7, 0, v7 :: v_dual_mov_b32 v84, v97
	v_dual_add_f32 v15, 0, v15 :: v_dual_fmac_f32 v11, v131, v86
	s_delay_alu instid0(VALU_DEP_2) | instskip(SKIP_2) | instid1(VALU_DEP_3)
	v_dual_fma_f32 v19, v130, v86, -v19 :: v_dual_add_f32 v7, v7, v9
	s_wait_dscnt 0x0
	v_dual_mul_f32 v149, v134, v91 :: v_dual_mul_f32 v151, v136, v93
	v_dual_add_f32 v9, v15, v17 :: v_dual_fmac_f32 v13, v133, v88
	v_dual_mul_f32 v23, v135, v91 :: v_dual_mul_f32 v25, v137, v93
	v_dual_fma_f32 v15, v132, v88, -v21 :: v_dual_add_f32 v7, v7, v11
	s_delay_alu instid0(VALU_DEP_3) | instskip(SKIP_3) | instid1(VALU_DEP_3)
	v_dual_add_f32 v9, v9, v19 :: v_dual_fmac_f32 v149, v135, v90
	v_pk_mul_f32 v[82:83], v[110:111], v[94:95] op_sel:[1,1] op_sel_hi:[0,1]
	s_wait_loadcnt 0x3
	v_dual_mov_b32 v88, v101 :: v_dual_fma_f32 v148, v134, v90, -v23
	v_dual_add_f32 v91, v7, v13 :: v_dual_add_f32 v90, v9, v15
	v_dual_fmac_f32 v151, v137, v92 :: v_dual_fma_f32 v150, v136, v92, -v25
	v_pk_fma_f32 v[92:93], v[110:111], v[94:95], v[82:83] op_sel_hi:[1,0,1]
	v_pk_mul_f32 v[84:85], v[140:141], v[84:85] op_sel_hi:[1,0]
	s_delay_alu instid0(VALU_DEP_4)
	v_pk_add_f32 v[90:91], v[90:91], v[148:149]
	v_pk_fma_f32 v[82:83], v[110:111], v[94:95], v[82:83] neg_lo:[0,0,1] neg_hi:[0,0,1]
	v_pk_mul_f32 v[86:87], v[114:115], v[98:99] op_sel:[1,1] op_sel_hi:[0,1]
	v_mov_b32_e32 v83, v93
	v_pk_fma_f32 v[92:93], v[112:113], v[96:97], v[84:85] op_sel_hi:[1,0,1]
	v_pk_add_f32 v[90:91], v[90:91], v[150:151]
	v_pk_fma_f32 v[84:85], v[112:113], v[96:97], v[84:85] neg_lo:[0,0,1] neg_hi:[0,0,1]
	v_pk_fma_f32 v[94:95], v[114:115], v[98:99], v[86:87] op_sel_hi:[1,0,1]
	v_pk_mul_f32 v[88:89], v[142:143], v[88:89] op_sel_hi:[1,0]
	v_mov_b32_e32 v85, v93
	v_pk_add_f32 v[82:83], v[90:91], v[82:83]
	s_wait_loadcnt 0x2
	v_pk_mul_f32 v[126:127], v[118:119], v[102:103] op_sel:[1,1] op_sel_hi:[0,1]
	v_mov_b32_e32 v90, v105
	v_pk_fma_f32 v[86:87], v[114:115], v[98:99], v[86:87] neg_lo:[0,0,1] neg_hi:[0,0,1]
	v_mov_b32_e32 v87, v95
	v_pk_fma_f32 v[92:93], v[116:117], v[100:101], v[88:89] op_sel_hi:[1,0,1]
	v_pk_add_f32 v[82:83], v[82:83], v[84:85]
	v_pk_fma_f32 v[84:85], v[118:119], v[102:103], v[126:127] op_sel_hi:[1,0,1]
	v_pk_mul_f32 v[90:91], v[144:145], v[90:91] op_sel_hi:[1,0]
	v_pk_fma_f32 v[88:89], v[116:117], v[100:101], v[88:89] neg_lo:[0,0,1] neg_hi:[0,0,1]
	v_mov_b32_e32 v89, v93
	v_pk_add_f32 v[82:83], v[82:83], v[86:87]
	v_pk_fma_f32 v[92:93], v[118:119], v[102:103], v[126:127] neg_lo:[0,0,1] neg_hi:[0,0,1]
	v_mov_b32_e32 v93, v85
	v_pk_fma_f32 v[84:85], v[120:121], v[104:105], v[90:91] op_sel_hi:[1,0,1]
	s_wait_loadcnt 0x1
	v_pk_mul_f32 v[86:87], v[122:123], v[106:107] op_sel:[1,1] op_sel_hi:[0,1]
	v_pk_add_f32 v[82:83], v[82:83], v[88:89]
	v_mov_b32_e32 v84, v109
	v_pk_fma_f32 v[90:91], v[120:121], v[104:105], v[90:91] neg_lo:[0,0,1] neg_hi:[0,0,1]
	v_mov_b32_e32 v91, v85
	v_pk_fma_f32 v[88:89], v[122:123], v[106:107], v[86:87] op_sel_hi:[1,0,1]
	v_pk_add_f32 v[82:83], v[82:83], v[92:93]
	v_pk_mul_f32 v[84:85], v[146:147], v[84:85] op_sel_hi:[1,0]
	v_pk_fma_f32 v[86:87], v[122:123], v[106:107], v[86:87] neg_lo:[0,0,1] neg_hi:[0,0,1]
	s_delay_alu instid0(VALU_DEP_4) | instskip(NEXT) | instid1(VALU_DEP_4)
	v_mov_b32_e32 v87, v89
	v_pk_add_f32 v[82:83], v[82:83], v[90:91]
	s_delay_alu instid0(VALU_DEP_4) | instskip(SKIP_1) | instid1(VALU_DEP_2)
	v_pk_fma_f32 v[88:89], v[124:125], v[108:109], v[84:85] op_sel_hi:[1,0,1]
	v_pk_fma_f32 v[84:85], v[124:125], v[108:109], v[84:85] neg_lo:[0,0,1] neg_hi:[0,0,1]
	v_mov_b32_e32 v85, v89
	s_delay_alu instid0(VALU_DEP_4) | instskip(NEXT) | instid1(VALU_DEP_1)
	v_pk_add_f32 v[82:83], v[82:83], v[86:87]
	v_pk_add_f32 v[82:83], v[82:83], v[84:85]
	s_wait_loadcnt 0x0
	s_delay_alu instid0(VALU_DEP_1)
	v_pk_add_f32 v[82:83], v[138:139], v[82:83] neg_lo:[0,1] neg_hi:[0,1]
	scratch_store_b64 off, v[82:83], off offset:200
	s_wait_xcnt 0x0
	v_cmpx_lt_u32_e32 24, v0
	s_cbranch_execz .LBB103_205
; %bb.204:
	scratch_load_b64 v[82:83], off, off offset:192
	v_mov_b64_e32 v[84:85], 0
	scratch_store_b64 off, v[84:85], off offset:192
	s_wait_loadcnt 0x0
	ds_store_b64 v1, v[82:83]
.LBB103_205:
	s_wait_xcnt 0x0
	s_or_b32 exec_lo, exec_lo, s0
	s_wait_storecnt_dscnt 0x0
	s_barrier_signal -1
	s_barrier_wait -1
	s_clause 0x8
	scratch_load_b128 v[82:85], off, off offset:200
	scratch_load_b128 v[86:89], off, off offset:216
	;; [unrolled: 1-line block ×7, first 2 shown]
	scratch_load_b64 v[138:139], off, off offset:312
	scratch_load_b64 v[140:141], off, off offset:192
	v_mov_b32_e32 v7, 0
	ds_load_2addr_b64 v[110:113], v7 offset0:71 offset1:72
	ds_load_2addr_b64 v[114:117], v7 offset0:73 offset1:74
	;; [unrolled: 1-line block ×7, first 2 shown]
	ds_load_b64 v[142:143], v7 offset:632
	s_mov_b32 s0, exec_lo
	s_wait_dscnt 0x7
	v_dual_mov_b32 v144, v113 :: v_dual_mov_b32 v145, v112
	s_wait_dscnt 0x4
	v_dual_mov_b32 v146, v117 :: v_dual_mov_b32 v151, v124
	v_dual_mov_b32 v147, v116 :: v_dual_mov_b32 v148, v121
	;; [unrolled: 1-line block ×3, first 2 shown]
	s_wait_loadcnt_dscnt 0x803
	v_dual_mul_f32 v9, v126, v83 :: v_dual_mul_f32 v19, v127, v83
	v_dual_mul_f32 v21, v129, v85 :: v_dual_mul_f32 v11, v128, v85
	s_wait_loadcnt_dscnt 0x702
	v_mul_f32_e32 v13, v130, v87
	s_wait_loadcnt 0x5
	v_dual_mul_f32 v31, v111, v95 :: v_dual_fma_f32 v19, v126, v82, -v19
	v_dual_fmac_f32 v9, v127, v82 :: v_dual_mov_b32 v82, v97
	v_dual_mul_f32 v23, v131, v87 :: v_dual_mul_f32 v25, v133, v89
	v_dual_fmac_f32 v11, v129, v84 :: v_dual_fma_f32 v21, v128, v84, -v21
	s_delay_alu instid0(VALU_DEP_3) | instskip(SKIP_3) | instid1(VALU_DEP_3)
	v_dual_add_f32 v9, 0, v9 :: v_dual_add_f32 v19, 0, v19
	s_wait_dscnt 0x1
	v_dual_mul_f32 v15, v132, v89 :: v_dual_mul_f32 v17, v134, v91
	v_dual_fmac_f32 v13, v131, v86 :: v_dual_fma_f32 v23, v130, v86, -v23
	v_dual_add_f32 v9, v9, v11 :: v_dual_add_f32 v11, v19, v21
	v_dual_mul_f32 v27, v135, v91 :: v_dual_mul_f32 v29, v137, v93
	s_wait_loadcnt 0x4
	v_dual_mov_b32 v86, v101 :: v_dual_fma_f32 v19, v132, v88, -v25
	s_delay_alu instid0(VALU_DEP_3) | instskip(SKIP_2) | instid1(VALU_DEP_2)
	v_dual_fmac_f32 v15, v133, v88 :: v_dual_add_f32 v11, v11, v23
	v_dual_add_f32 v9, v9, v13 :: v_dual_fmac_f32 v17, v135, v90
	v_dual_mul_f32 v153, v136, v93 :: v_dual_mul_f32 v155, v110, v95
	v_dual_fma_f32 v13, v134, v90, -v27 :: v_dual_add_f32 v9, v9, v15
	s_delay_alu instid0(VALU_DEP_2) | instskip(SKIP_1) | instid1(VALU_DEP_3)
	v_dual_add_f32 v11, v11, v19 :: v_dual_fmac_f32 v153, v137, v92
	v_pk_mul_f32 v[84:85], v[114:115], v[98:99] op_sel:[1,1] op_sel_hi:[0,1]
	v_dual_fma_f32 v152, v136, v92, -v29 :: v_dual_add_f32 v91, v9, v17
	v_pk_mul_f32 v[82:83], v[144:145], v[82:83] op_sel_hi:[1,0]
	s_wait_loadcnt 0x3
	v_dual_add_f32 v90, v11, v13 :: v_dual_mov_b32 v92, v105
	v_fmac_f32_e32 v155, v111, v94
	v_fma_f32 v154, v110, v94, -v31
	v_pk_fma_f32 v[94:95], v[112:113], v[96:97], v[82:83] op_sel_hi:[1,0,1]
	s_delay_alu instid0(VALU_DEP_4) | instskip(SKIP_4) | instid1(VALU_DEP_4)
	v_pk_add_f32 v[90:91], v[90:91], v[152:153]
	v_pk_fma_f32 v[110:111], v[114:115], v[98:99], v[84:85] op_sel_hi:[1,0,1]
	v_pk_fma_f32 v[82:83], v[112:113], v[96:97], v[82:83] neg_lo:[0,0,1] neg_hi:[0,0,1]
	v_pk_fma_f32 v[84:85], v[114:115], v[98:99], v[84:85] neg_lo:[0,0,1] neg_hi:[0,0,1]
	v_pk_mul_f32 v[86:87], v[146:147], v[86:87] op_sel_hi:[1,0]
	v_dual_mov_b32 v83, v95 :: v_dual_mov_b32 v85, v111
	v_pk_add_f32 v[90:91], v[90:91], v[154:155]
	v_pk_mul_f32 v[88:89], v[118:119], v[102:103] op_sel:[1,1] op_sel_hi:[0,1]
	s_delay_alu instid0(VALU_DEP_4)
	v_pk_fma_f32 v[96:97], v[116:117], v[100:101], v[86:87] op_sel_hi:[1,0,1]
	v_pk_fma_f32 v[86:87], v[116:117], v[100:101], v[86:87] neg_lo:[0,0,1] neg_hi:[0,0,1]
	v_pk_mul_f32 v[92:93], v[148:149], v[92:93] op_sel_hi:[1,0]
	v_pk_add_f32 v[82:83], v[90:91], v[82:83]
	v_pk_fma_f32 v[90:91], v[118:119], v[102:103], v[88:89] op_sel_hi:[1,0,1]
	v_mov_b32_e32 v87, v97
	v_pk_fma_f32 v[88:89], v[118:119], v[102:103], v[88:89] neg_lo:[0,0,1] neg_hi:[0,0,1]
	s_wait_loadcnt 0x2
	v_pk_mul_f32 v[94:95], v[122:123], v[106:107] op_sel:[1,1] op_sel_hi:[0,1]
	v_pk_add_f32 v[82:83], v[82:83], v[84:85]
	v_dual_mov_b32 v84, v109 :: v_dual_mov_b32 v89, v91
	v_pk_fma_f32 v[90:91], v[120:121], v[104:105], v[92:93] op_sel_hi:[1,0,1]
	v_pk_fma_f32 v[92:93], v[120:121], v[104:105], v[92:93] neg_lo:[0,0,1] neg_hi:[0,0,1]
	s_delay_alu instid0(VALU_DEP_4)
	v_pk_add_f32 v[82:83], v[82:83], v[86:87]
	v_pk_fma_f32 v[86:87], v[122:123], v[106:107], v[94:95] op_sel_hi:[1,0,1]
	v_pk_mul_f32 v[84:85], v[150:151], v[84:85] op_sel_hi:[1,0]
	v_mov_b32_e32 v93, v91
	s_wait_loadcnt_dscnt 0x100
	v_pk_mul_f32 v[90:91], v[142:143], v[138:139] op_sel:[1,1] op_sel_hi:[0,1]
	v_pk_add_f32 v[82:83], v[82:83], v[88:89]
	v_pk_fma_f32 v[88:89], v[122:123], v[106:107], v[94:95] neg_lo:[0,0,1] neg_hi:[0,0,1]
	v_mov_b32_e32 v89, v87
	v_pk_fma_f32 v[86:87], v[124:125], v[108:109], v[84:85] op_sel_hi:[1,0,1]
	v_pk_fma_f32 v[84:85], v[124:125], v[108:109], v[84:85] neg_lo:[0,0,1] neg_hi:[0,0,1]
	v_pk_add_f32 v[82:83], v[82:83], v[92:93]
	s_delay_alu instid0(VALU_DEP_3) | instskip(SKIP_1) | instid1(VALU_DEP_3)
	v_mov_b32_e32 v85, v87
	v_pk_fma_f32 v[86:87], v[142:143], v[138:139], v[90:91] op_sel_hi:[1,0,1]
	v_pk_add_f32 v[82:83], v[82:83], v[88:89]
	v_pk_fma_f32 v[88:89], v[142:143], v[138:139], v[90:91] neg_lo:[0,0,1] neg_hi:[0,0,1]
	s_delay_alu instid0(VALU_DEP_3) | instskip(NEXT) | instid1(VALU_DEP_3)
	v_mov_b32_e32 v89, v87
	v_pk_add_f32 v[82:83], v[82:83], v[84:85]
	s_delay_alu instid0(VALU_DEP_1) | instskip(SKIP_1) | instid1(VALU_DEP_1)
	v_pk_add_f32 v[82:83], v[82:83], v[88:89]
	s_wait_loadcnt 0x0
	v_pk_add_f32 v[82:83], v[140:141], v[82:83] neg_lo:[0,1] neg_hi:[0,1]
	scratch_store_b64 off, v[82:83], off offset:192
	s_wait_xcnt 0x0
	v_cmpx_lt_u32_e32 23, v0
	s_cbranch_execz .LBB103_207
; %bb.206:
	scratch_load_b64 v[82:83], off, off offset:184
	v_mov_b64_e32 v[84:85], 0
	scratch_store_b64 off, v[84:85], off offset:184
	s_wait_loadcnt 0x0
	ds_store_b64 v1, v[82:83]
.LBB103_207:
	s_wait_xcnt 0x0
	s_or_b32 exec_lo, exec_lo, s0
	s_wait_storecnt_dscnt 0x0
	s_barrier_signal -1
	s_barrier_wait -1
	s_clause 0x8
	scratch_load_b128 v[82:85], off, off offset:192
	scratch_load_b128 v[86:89], off, off offset:208
	;; [unrolled: 1-line block ×8, first 2 shown]
	scratch_load_b64 v[146:147], off, off offset:184
	ds_load_b128 v[114:117], v7 offset:576
	ds_load_b128 v[118:121], v7 offset:592
	;; [unrolled: 1-line block ×8, first 2 shown]
	s_mov_b32 s0, exec_lo
	s_wait_dscnt 0x7
	v_dual_mov_b32 v148, v117 :: v_dual_mov_b32 v149, v116
	s_wait_dscnt 0x6
	v_dual_mov_b32 v150, v121 :: v_dual_mov_b32 v151, v120
	;; [unrolled: 2-line block ×4, first 2 shown]
	s_wait_loadcnt_dscnt 0x803
	v_dual_mul_f32 v7, v130, v83 :: v_dual_mul_f32 v9, v132, v85
	v_dual_mul_f32 v19, v131, v83 :: v_dual_mul_f32 v21, v133, v85
	s_wait_loadcnt_dscnt 0x702
	v_dual_mul_f32 v11, v134, v87 :: v_dual_mul_f32 v13, v136, v89
	s_delay_alu instid0(VALU_DEP_3) | instskip(SKIP_3) | instid1(VALU_DEP_3)
	v_dual_fmac_f32 v7, v131, v82 :: v_dual_fmac_f32 v9, v133, v84
	s_wait_loadcnt_dscnt 0x500
	v_dual_fma_f32 v19, v130, v82, -v19 :: v_dual_mul_f32 v31, v143, v95
	v_dual_mul_f32 v23, v135, v87 :: v_dual_mul_f32 v25, v137, v89
	v_dual_fma_f32 v21, v132, v84, -v21 :: v_dual_add_f32 v7, 0, v7
	s_delay_alu instid0(VALU_DEP_3) | instskip(SKIP_1) | instid1(VALU_DEP_3)
	v_dual_add_f32 v19, 0, v19 :: v_dual_mul_f32 v33, v145, v97
	v_dual_fmac_f32 v11, v135, v86 :: v_dual_fmac_f32 v13, v137, v88
	v_dual_fma_f32 v23, v134, v86, -v23 :: v_dual_add_f32 v7, v7, v9
	s_delay_alu instid0(VALU_DEP_3) | instskip(SKIP_4) | instid1(VALU_DEP_3)
	v_dual_add_f32 v9, v19, v21 :: v_dual_fma_f32 v19, v136, v88, -v25
	v_dual_mul_f32 v15, v138, v91 :: v_dual_mul_f32 v17, v140, v93
	v_dual_mul_f32 v27, v139, v91 :: v_dual_mul_f32 v29, v141, v93
	s_wait_loadcnt 0x4
	v_dual_add_f32 v7, v7, v11 :: v_dual_mov_b32 v84, v101
	v_dual_add_f32 v9, v9, v23 :: v_dual_fmac_f32 v15, v139, v90
	s_delay_alu instid0(VALU_DEP_2) | instskip(SKIP_1) | instid1(VALU_DEP_3)
	v_dual_fma_f32 v11, v138, v90, -v27 :: v_dual_add_f32 v7, v7, v13
	v_dual_mul_f32 v157, v142, v95 :: v_dual_mul_f32 v159, v144, v97
	v_dual_add_f32 v9, v9, v19 :: v_dual_fma_f32 v13, v140, v92, -v29
	s_delay_alu instid0(VALU_DEP_3) | instskip(SKIP_1) | instid1(VALU_DEP_3)
	v_dual_fmac_f32 v17, v141, v92 :: v_dual_add_f32 v7, v7, v15
	v_pk_mul_f32 v[82:83], v[114:115], v[98:99] op_sel:[1,1] op_sel_hi:[0,1]
	v_dual_add_f32 v9, v9, v11 :: v_dual_fmac_f32 v157, v143, v94
	s_wait_loadcnt 0x3
	v_dual_mov_b32 v88, v105 :: v_dual_fma_f32 v156, v142, v94, -v31
	v_dual_add_f32 v91, v7, v17 :: v_dual_fmac_f32 v159, v145, v96
	s_delay_alu instid0(VALU_DEP_3) | instskip(SKIP_3) | instid1(VALU_DEP_4)
	v_dual_add_f32 v90, v9, v13 :: v_dual_fma_f32 v158, v144, v96, -v33
	v_pk_fma_f32 v[92:93], v[114:115], v[98:99], v[82:83] op_sel_hi:[1,0,1]
	v_pk_mul_f32 v[84:85], v[148:149], v[84:85] op_sel_hi:[1,0]
	v_pk_fma_f32 v[82:83], v[114:115], v[98:99], v[82:83] neg_lo:[0,0,1] neg_hi:[0,0,1]
	v_pk_add_f32 v[90:91], v[90:91], v[156:157]
	v_pk_mul_f32 v[86:87], v[118:119], v[102:103] op_sel:[1,1] op_sel_hi:[0,1]
	v_mov_b32_e32 v83, v93
	v_pk_fma_f32 v[92:93], v[116:117], v[100:101], v[84:85] op_sel_hi:[1,0,1]
	v_pk_fma_f32 v[84:85], v[116:117], v[100:101], v[84:85] neg_lo:[0,0,1] neg_hi:[0,0,1]
	v_pk_add_f32 v[90:91], v[90:91], v[158:159]
	v_pk_fma_f32 v[96:97], v[118:119], v[102:103], v[86:87] op_sel_hi:[1,0,1]
	v_pk_mul_f32 v[88:89], v[150:151], v[88:89] op_sel_hi:[1,0]
	v_mov_b32_e32 v85, v93
	s_wait_loadcnt 0x2
	v_pk_mul_f32 v[94:95], v[122:123], v[106:107] op_sel:[1,1] op_sel_hi:[0,1]
	v_pk_add_f32 v[82:83], v[90:91], v[82:83]
	v_mov_b32_e32 v90, v109
	v_pk_fma_f32 v[86:87], v[118:119], v[102:103], v[86:87] neg_lo:[0,0,1] neg_hi:[0,0,1]
	v_mov_b32_e32 v87, v97
	v_pk_fma_f32 v[92:93], v[120:121], v[104:105], v[88:89] op_sel_hi:[1,0,1]
	v_pk_add_f32 v[82:83], v[82:83], v[84:85]
	v_pk_fma_f32 v[84:85], v[122:123], v[106:107], v[94:95] op_sel_hi:[1,0,1]
	v_pk_mul_f32 v[90:91], v[152:153], v[90:91] op_sel_hi:[1,0]
	v_pk_fma_f32 v[88:89], v[120:121], v[104:105], v[88:89] neg_lo:[0,0,1] neg_hi:[0,0,1]
	v_mov_b32_e32 v89, v93
	v_pk_add_f32 v[82:83], v[82:83], v[86:87]
	v_pk_fma_f32 v[92:93], v[122:123], v[106:107], v[94:95] neg_lo:[0,0,1] neg_hi:[0,0,1]
	v_mov_b32_e32 v93, v85
	v_pk_fma_f32 v[84:85], v[124:125], v[108:109], v[90:91] op_sel_hi:[1,0,1]
	s_wait_loadcnt 0x1
	v_pk_mul_f32 v[86:87], v[126:127], v[110:111] op_sel:[1,1] op_sel_hi:[0,1]
	v_pk_add_f32 v[82:83], v[82:83], v[88:89]
	v_mov_b32_e32 v84, v113
	v_pk_fma_f32 v[90:91], v[124:125], v[108:109], v[90:91] neg_lo:[0,0,1] neg_hi:[0,0,1]
	v_mov_b32_e32 v91, v85
	v_pk_fma_f32 v[88:89], v[126:127], v[110:111], v[86:87] op_sel_hi:[1,0,1]
	v_pk_add_f32 v[82:83], v[82:83], v[92:93]
	v_pk_mul_f32 v[84:85], v[154:155], v[84:85] op_sel_hi:[1,0]
	v_pk_fma_f32 v[86:87], v[126:127], v[110:111], v[86:87] neg_lo:[0,0,1] neg_hi:[0,0,1]
	s_delay_alu instid0(VALU_DEP_4) | instskip(NEXT) | instid1(VALU_DEP_4)
	v_mov_b32_e32 v87, v89
	v_pk_add_f32 v[82:83], v[82:83], v[90:91]
	s_delay_alu instid0(VALU_DEP_4) | instskip(SKIP_1) | instid1(VALU_DEP_2)
	v_pk_fma_f32 v[88:89], v[128:129], v[112:113], v[84:85] op_sel_hi:[1,0,1]
	v_pk_fma_f32 v[84:85], v[128:129], v[112:113], v[84:85] neg_lo:[0,0,1] neg_hi:[0,0,1]
	v_mov_b32_e32 v85, v89
	s_delay_alu instid0(VALU_DEP_4) | instskip(NEXT) | instid1(VALU_DEP_1)
	v_pk_add_f32 v[82:83], v[82:83], v[86:87]
	v_pk_add_f32 v[82:83], v[82:83], v[84:85]
	s_wait_loadcnt 0x0
	s_delay_alu instid0(VALU_DEP_1)
	v_pk_add_f32 v[82:83], v[146:147], v[82:83] neg_lo:[0,1] neg_hi:[0,1]
	scratch_store_b64 off, v[82:83], off offset:184
	s_wait_xcnt 0x0
	v_cmpx_lt_u32_e32 22, v0
	s_cbranch_execz .LBB103_209
; %bb.208:
	scratch_load_b64 v[82:83], off, off offset:176
	v_mov_b64_e32 v[84:85], 0
	scratch_store_b64 off, v[84:85], off offset:176
	s_wait_loadcnt 0x0
	ds_store_b64 v1, v[82:83]
.LBB103_209:
	s_wait_xcnt 0x0
	s_or_b32 exec_lo, exec_lo, s0
	s_wait_storecnt_dscnt 0x0
	s_barrier_signal -1
	s_barrier_wait -1
	s_clause 0x9
	scratch_load_b128 v[82:85], off, off offset:184
	scratch_load_b128 v[86:89], off, off offset:200
	;; [unrolled: 1-line block ×8, first 2 shown]
	scratch_load_b64 v[146:147], off, off offset:312
	scratch_load_b64 v[148:149], off, off offset:176
	v_mov_b32_e32 v7, 0
	ds_load_2addr_b64 v[114:117], v7 offset0:71 offset1:72
	ds_load_2addr_b64 v[118:121], v7 offset0:73 offset1:74
	;; [unrolled: 1-line block ×8, first 2 shown]
	ds_load_b64 v[150:151], v7 offset:632
	s_mov_b32 s0, exec_lo
	s_wait_dscnt 0x8
	v_dual_mov_b32 v152, v117 :: v_dual_mov_b32 v153, v116
	s_wait_dscnt 0x5
	v_dual_mov_b32 v154, v121 :: v_dual_mov_b32 v159, v128
	v_dual_mov_b32 v155, v120 :: v_dual_mov_b32 v156, v125
	;; [unrolled: 1-line block ×3, first 2 shown]
	s_wait_loadcnt_dscnt 0x904
	v_dual_mul_f32 v9, v130, v83 :: v_dual_mul_f32 v23, v131, v83
	v_dual_mul_f32 v25, v133, v85 :: v_dual_mul_f32 v11, v132, v85
	s_wait_loadcnt_dscnt 0x803
	v_mul_f32_e32 v13, v134, v87
	s_wait_loadcnt_dscnt 0x601
	v_dual_mul_f32 v35, v143, v95 :: v_dual_fma_f32 v23, v130, v82, -v23
	v_dual_fmac_f32 v9, v131, v82 :: v_dual_mul_f32 v37, v145, v97
	v_dual_mul_f32 v27, v135, v87 :: v_dual_mul_f32 v29, v137, v89
	v_dual_fmac_f32 v11, v133, v84 :: v_dual_fma_f32 v25, v132, v84, -v25
	s_delay_alu instid0(VALU_DEP_3) | instskip(SKIP_3) | instid1(VALU_DEP_3)
	v_dual_add_f32 v9, 0, v9 :: v_dual_add_f32 v23, 0, v23
	v_dual_mul_f32 v15, v136, v89 :: v_dual_mul_f32 v17, v138, v91
	s_wait_loadcnt 0x5
	v_dual_mul_f32 v39, v115, v99 :: v_dual_fma_f32 v27, v134, v86, -v27
	v_dual_fmac_f32 v13, v135, v86 :: v_dual_add_f32 v9, v9, v11
	v_dual_add_f32 v11, v23, v25 :: v_dual_mov_b32 v82, v101
	v_dual_mul_f32 v31, v139, v91 :: v_dual_mul_f32 v33, v141, v93
	v_dual_fmac_f32 v15, v137, v88 :: v_dual_fma_f32 v23, v136, v88, -v29
	s_delay_alu instid0(VALU_DEP_3) | instskip(SKIP_1) | instid1(VALU_DEP_4)
	v_dual_add_f32 v9, v9, v13 :: v_dual_add_f32 v11, v11, v27
	v_dual_mul_f32 v19, v140, v93 :: v_dual_mul_f32 v21, v142, v95
	v_dual_fmac_f32 v17, v139, v90 :: v_dual_fma_f32 v13, v138, v90, -v31
	s_delay_alu instid0(VALU_DEP_3) | instskip(SKIP_3) | instid1(VALU_DEP_3)
	v_dual_add_f32 v9, v9, v15 :: v_dual_fma_f32 v15, v140, v92, -v33
	s_wait_loadcnt 0x4
	v_dual_add_f32 v11, v11, v23 :: v_dual_mov_b32 v86, v105
	v_fmac_f32_e32 v19, v141, v92
	v_dual_add_f32 v9, v9, v17 :: v_dual_fmac_f32 v21, v143, v94
	s_delay_alu instid0(VALU_DEP_3) | instskip(SKIP_1) | instid1(VALU_DEP_3)
	v_add_f32_e32 v11, v11, v13
	v_dual_mul_f32 v161, v144, v97 :: v_dual_mul_f32 v163, v114, v99
	v_dual_fma_f32 v13, v142, v94, -v35 :: v_dual_add_f32 v9, v9, v19
	s_delay_alu instid0(VALU_DEP_2) | instskip(SKIP_1) | instid1(VALU_DEP_3)
	v_dual_add_f32 v11, v11, v15 :: v_dual_fmac_f32 v161, v145, v96
	v_pk_mul_f32 v[84:85], v[118:119], v[102:103] op_sel:[1,1] op_sel_hi:[0,1]
	v_dual_fma_f32 v160, v144, v96, -v37 :: v_dual_add_f32 v91, v9, v21
	v_pk_mul_f32 v[82:83], v[152:153], v[82:83] op_sel_hi:[1,0]
	s_wait_loadcnt 0x3
	v_dual_add_f32 v90, v11, v13 :: v_dual_mov_b32 v92, v109
	v_pk_fma_f32 v[96:97], v[118:119], v[102:103], v[84:85] op_sel_hi:[1,0,1]
	v_fmac_f32_e32 v163, v115, v98
	v_pk_fma_f32 v[94:95], v[116:117], v[100:101], v[82:83] op_sel_hi:[1,0,1]
	v_fma_f32 v162, v114, v98, -v39
	v_pk_add_f32 v[90:91], v[90:91], v[160:161]
	v_pk_fma_f32 v[82:83], v[116:117], v[100:101], v[82:83] neg_lo:[0,0,1] neg_hi:[0,0,1]
	v_pk_fma_f32 v[84:85], v[118:119], v[102:103], v[84:85] neg_lo:[0,0,1] neg_hi:[0,0,1]
	v_pk_mul_f32 v[86:87], v[154:155], v[86:87] op_sel_hi:[1,0]
	v_dual_mov_b32 v83, v95 :: v_dual_mov_b32 v85, v97
	v_pk_add_f32 v[90:91], v[90:91], v[162:163]
	v_pk_mul_f32 v[88:89], v[122:123], v[106:107] op_sel:[1,1] op_sel_hi:[0,1]
	s_delay_alu instid0(VALU_DEP_4)
	v_pk_fma_f32 v[96:97], v[120:121], v[104:105], v[86:87] op_sel_hi:[1,0,1]
	v_pk_fma_f32 v[86:87], v[120:121], v[104:105], v[86:87] neg_lo:[0,0,1] neg_hi:[0,0,1]
	v_pk_mul_f32 v[92:93], v[156:157], v[92:93] op_sel_hi:[1,0]
	v_pk_add_f32 v[82:83], v[90:91], v[82:83]
	v_pk_fma_f32 v[90:91], v[122:123], v[106:107], v[88:89] op_sel_hi:[1,0,1]
	v_mov_b32_e32 v87, v97
	v_pk_fma_f32 v[88:89], v[122:123], v[106:107], v[88:89] neg_lo:[0,0,1] neg_hi:[0,0,1]
	s_wait_loadcnt 0x2
	v_pk_mul_f32 v[94:95], v[126:127], v[110:111] op_sel:[1,1] op_sel_hi:[0,1]
	v_pk_add_f32 v[82:83], v[82:83], v[84:85]
	v_dual_mov_b32 v84, v113 :: v_dual_mov_b32 v89, v91
	v_pk_fma_f32 v[90:91], v[124:125], v[108:109], v[92:93] op_sel_hi:[1,0,1]
	v_pk_fma_f32 v[92:93], v[124:125], v[108:109], v[92:93] neg_lo:[0,0,1] neg_hi:[0,0,1]
	s_delay_alu instid0(VALU_DEP_4)
	v_pk_add_f32 v[82:83], v[82:83], v[86:87]
	v_pk_fma_f32 v[86:87], v[126:127], v[110:111], v[94:95] op_sel_hi:[1,0,1]
	v_pk_mul_f32 v[84:85], v[158:159], v[84:85] op_sel_hi:[1,0]
	v_mov_b32_e32 v93, v91
	s_wait_loadcnt_dscnt 0x100
	v_pk_mul_f32 v[90:91], v[150:151], v[146:147] op_sel:[1,1] op_sel_hi:[0,1]
	v_pk_add_f32 v[82:83], v[82:83], v[88:89]
	v_pk_fma_f32 v[88:89], v[126:127], v[110:111], v[94:95] neg_lo:[0,0,1] neg_hi:[0,0,1]
	v_mov_b32_e32 v89, v87
	v_pk_fma_f32 v[86:87], v[128:129], v[112:113], v[84:85] op_sel_hi:[1,0,1]
	v_pk_fma_f32 v[84:85], v[128:129], v[112:113], v[84:85] neg_lo:[0,0,1] neg_hi:[0,0,1]
	v_pk_add_f32 v[82:83], v[82:83], v[92:93]
	s_delay_alu instid0(VALU_DEP_3) | instskip(SKIP_1) | instid1(VALU_DEP_3)
	v_mov_b32_e32 v85, v87
	v_pk_fma_f32 v[86:87], v[150:151], v[146:147], v[90:91] op_sel_hi:[1,0,1]
	v_pk_add_f32 v[82:83], v[82:83], v[88:89]
	v_pk_fma_f32 v[88:89], v[150:151], v[146:147], v[90:91] neg_lo:[0,0,1] neg_hi:[0,0,1]
	s_delay_alu instid0(VALU_DEP_3) | instskip(NEXT) | instid1(VALU_DEP_3)
	v_mov_b32_e32 v89, v87
	v_pk_add_f32 v[82:83], v[82:83], v[84:85]
	s_delay_alu instid0(VALU_DEP_1) | instskip(SKIP_1) | instid1(VALU_DEP_1)
	v_pk_add_f32 v[82:83], v[82:83], v[88:89]
	s_wait_loadcnt 0x0
	v_pk_add_f32 v[82:83], v[148:149], v[82:83] neg_lo:[0,1] neg_hi:[0,1]
	scratch_store_b64 off, v[82:83], off offset:176
	s_wait_xcnt 0x0
	v_cmpx_lt_u32_e32 21, v0
	s_cbranch_execz .LBB103_211
; %bb.210:
	scratch_load_b64 v[82:83], off, off offset:168
	v_mov_b64_e32 v[84:85], 0
	scratch_store_b64 off, v[84:85], off offset:168
	s_wait_loadcnt 0x0
	ds_store_b64 v1, v[82:83]
.LBB103_211:
	s_wait_xcnt 0x0
	s_or_b32 exec_lo, exec_lo, s0
	s_wait_storecnt_dscnt 0x0
	s_barrier_signal -1
	s_barrier_wait -1
	s_clause 0x9
	scratch_load_b128 v[82:85], off, off offset:176
	scratch_load_b128 v[86:89], off, off offset:192
	;; [unrolled: 1-line block ×9, first 2 shown]
	scratch_load_b64 v[154:155], off, off offset:168
	ds_load_b128 v[118:121], v7 offset:576
	ds_load_b128 v[122:125], v7 offset:592
	;; [unrolled: 1-line block ×9, first 2 shown]
	s_mov_b32 s0, exec_lo
	s_wait_dscnt 0x8
	v_dual_mov_b32 v156, v121 :: v_dual_mov_b32 v157, v120
	s_wait_dscnt 0x7
	v_dual_mov_b32 v158, v125 :: v_dual_mov_b32 v159, v124
	;; [unrolled: 2-line block ×4, first 2 shown]
	s_wait_loadcnt_dscnt 0x904
	v_dual_mul_f32 v7, v134, v83 :: v_dual_mul_f32 v9, v136, v85
	v_dual_mul_f32 v23, v135, v83 :: v_dual_mul_f32 v25, v137, v85
	s_wait_loadcnt_dscnt 0x803
	v_dual_mul_f32 v11, v138, v87 :: v_dual_mul_f32 v13, v140, v89
	s_delay_alu instid0(VALU_DEP_3) | instskip(SKIP_3) | instid1(VALU_DEP_3)
	v_dual_fmac_f32 v7, v135, v82 :: v_dual_fmac_f32 v9, v137, v84
	s_wait_loadcnt_dscnt 0x601
	v_dual_fma_f32 v23, v134, v82, -v23 :: v_dual_mul_f32 v35, v147, v95
	v_dual_mul_f32 v27, v139, v87 :: v_dual_mul_f32 v29, v141, v89
	v_dual_fma_f32 v25, v136, v84, -v25 :: v_dual_add_f32 v7, 0, v7
	s_delay_alu instid0(VALU_DEP_3) | instskip(SKIP_1) | instid1(VALU_DEP_3)
	v_dual_add_f32 v23, 0, v23 :: v_dual_mul_f32 v37, v149, v97
	v_dual_fmac_f32 v11, v139, v86 :: v_dual_fmac_f32 v13, v141, v88
	v_dual_fma_f32 v27, v138, v86, -v27 :: v_dual_add_f32 v7, v7, v9
	s_delay_alu instid0(VALU_DEP_3) | instskip(SKIP_2) | instid1(VALU_DEP_4)
	v_dual_add_f32 v9, v23, v25 :: v_dual_fma_f32 v25, v140, v88, -v29
	v_dual_mul_f32 v15, v142, v91 :: v_dual_mul_f32 v17, v144, v93
	v_dual_mul_f32 v31, v143, v91 :: v_dual_mul_f32 v33, v145, v93
	v_add_f32_e32 v7, v7, v11
	s_delay_alu instid0(VALU_DEP_3) | instskip(NEXT) | instid1(VALU_DEP_3)
	v_dual_add_f32 v9, v9, v27 :: v_dual_fmac_f32 v15, v143, v90
	v_fma_f32 v27, v142, v90, -v31
	v_dual_mul_f32 v19, v146, v95 :: v_dual_mul_f32 v21, v148, v97
	s_delay_alu instid0(VALU_DEP_4) | instskip(NEXT) | instid1(VALU_DEP_4)
	v_dual_add_f32 v7, v7, v13 :: v_dual_fmac_f32 v17, v145, v92
	v_dual_add_f32 v9, v9, v25 :: v_dual_fma_f32 v13, v144, v92, -v33
	s_wait_loadcnt 0x4
	s_delay_alu instid0(VALU_DEP_2) | instskip(NEXT) | instid1(VALU_DEP_2)
	v_dual_mov_b32 v84, v105 :: v_dual_add_f32 v7, v7, v15
	v_dual_fmac_f32 v19, v147, v94 :: v_dual_add_f32 v9, v9, v27
	v_fma_f32 v15, v146, v94, -v35
	s_wait_dscnt 0x0
	v_dual_mul_f32 v165, v150, v99 :: v_dual_mul_f32 v167, v152, v101
	v_add_f32_e32 v7, v7, v17
	v_dual_add_f32 v9, v9, v13 :: v_dual_fma_f32 v13, v148, v96, -v37
	v_dual_mul_f32 v23, v151, v99 :: v_dual_mul_f32 v11, v153, v101
	s_delay_alu instid0(VALU_DEP_3) | instskip(NEXT) | instid1(VALU_DEP_3)
	v_dual_fmac_f32 v21, v149, v96 :: v_dual_add_f32 v7, v7, v19
	v_dual_add_f32 v9, v9, v15 :: v_dual_fmac_f32 v165, v151, v98
	v_pk_mul_f32 v[82:83], v[118:119], v[102:103] op_sel:[1,1] op_sel_hi:[0,1]
	s_wait_loadcnt 0x3
	v_dual_mov_b32 v88, v109 :: v_dual_fma_f32 v164, v150, v98, -v23
	v_dual_add_f32 v91, v7, v21 :: v_dual_fmac_f32 v167, v153, v100
	v_dual_add_f32 v90, v9, v13 :: v_dual_fma_f32 v166, v152, v100, -v11
	v_pk_fma_f32 v[92:93], v[118:119], v[102:103], v[82:83] op_sel_hi:[1,0,1]
	v_pk_mul_f32 v[84:85], v[156:157], v[84:85] op_sel_hi:[1,0]
	v_pk_fma_f32 v[82:83], v[118:119], v[102:103], v[82:83] neg_lo:[0,0,1] neg_hi:[0,0,1]
	s_delay_alu instid0(VALU_DEP_4)
	v_pk_add_f32 v[90:91], v[90:91], v[164:165]
	v_pk_mul_f32 v[86:87], v[122:123], v[106:107] op_sel:[1,1] op_sel_hi:[0,1]
	v_mov_b32_e32 v83, v93
	v_pk_fma_f32 v[92:93], v[120:121], v[104:105], v[84:85] op_sel_hi:[1,0,1]
	v_pk_fma_f32 v[84:85], v[120:121], v[104:105], v[84:85] neg_lo:[0,0,1] neg_hi:[0,0,1]
	v_pk_add_f32 v[90:91], v[90:91], v[166:167]
	v_pk_fma_f32 v[96:97], v[122:123], v[106:107], v[86:87] op_sel_hi:[1,0,1]
	v_pk_mul_f32 v[88:89], v[158:159], v[88:89] op_sel_hi:[1,0]
	v_mov_b32_e32 v85, v93
	s_wait_loadcnt 0x2
	v_pk_mul_f32 v[94:95], v[126:127], v[110:111] op_sel:[1,1] op_sel_hi:[0,1]
	v_pk_add_f32 v[82:83], v[90:91], v[82:83]
	v_mov_b32_e32 v90, v113
	v_pk_fma_f32 v[86:87], v[122:123], v[106:107], v[86:87] neg_lo:[0,0,1] neg_hi:[0,0,1]
	v_mov_b32_e32 v87, v97
	v_pk_fma_f32 v[92:93], v[124:125], v[108:109], v[88:89] op_sel_hi:[1,0,1]
	v_pk_add_f32 v[82:83], v[82:83], v[84:85]
	v_pk_fma_f32 v[84:85], v[126:127], v[110:111], v[94:95] op_sel_hi:[1,0,1]
	v_pk_mul_f32 v[90:91], v[160:161], v[90:91] op_sel_hi:[1,0]
	v_pk_fma_f32 v[88:89], v[124:125], v[108:109], v[88:89] neg_lo:[0,0,1] neg_hi:[0,0,1]
	v_mov_b32_e32 v89, v93
	v_pk_add_f32 v[82:83], v[82:83], v[86:87]
	v_pk_fma_f32 v[92:93], v[126:127], v[110:111], v[94:95] neg_lo:[0,0,1] neg_hi:[0,0,1]
	v_mov_b32_e32 v93, v85
	v_pk_fma_f32 v[84:85], v[128:129], v[112:113], v[90:91] op_sel_hi:[1,0,1]
	s_wait_loadcnt 0x1
	v_pk_mul_f32 v[86:87], v[130:131], v[114:115] op_sel:[1,1] op_sel_hi:[0,1]
	v_pk_add_f32 v[82:83], v[82:83], v[88:89]
	v_mov_b32_e32 v84, v117
	v_pk_fma_f32 v[90:91], v[128:129], v[112:113], v[90:91] neg_lo:[0,0,1] neg_hi:[0,0,1]
	v_mov_b32_e32 v91, v85
	v_pk_fma_f32 v[88:89], v[130:131], v[114:115], v[86:87] op_sel_hi:[1,0,1]
	v_pk_add_f32 v[82:83], v[82:83], v[92:93]
	v_pk_mul_f32 v[84:85], v[162:163], v[84:85] op_sel_hi:[1,0]
	v_pk_fma_f32 v[86:87], v[130:131], v[114:115], v[86:87] neg_lo:[0,0,1] neg_hi:[0,0,1]
	s_delay_alu instid0(VALU_DEP_4) | instskip(NEXT) | instid1(VALU_DEP_4)
	v_mov_b32_e32 v87, v89
	v_pk_add_f32 v[82:83], v[82:83], v[90:91]
	s_delay_alu instid0(VALU_DEP_4) | instskip(SKIP_1) | instid1(VALU_DEP_2)
	v_pk_fma_f32 v[88:89], v[132:133], v[116:117], v[84:85] op_sel_hi:[1,0,1]
	v_pk_fma_f32 v[84:85], v[132:133], v[116:117], v[84:85] neg_lo:[0,0,1] neg_hi:[0,0,1]
	v_mov_b32_e32 v85, v89
	s_delay_alu instid0(VALU_DEP_4) | instskip(NEXT) | instid1(VALU_DEP_1)
	v_pk_add_f32 v[82:83], v[82:83], v[86:87]
	v_pk_add_f32 v[82:83], v[82:83], v[84:85]
	s_wait_loadcnt 0x0
	s_delay_alu instid0(VALU_DEP_1)
	v_pk_add_f32 v[82:83], v[154:155], v[82:83] neg_lo:[0,1] neg_hi:[0,1]
	scratch_store_b64 off, v[82:83], off offset:168
	s_wait_xcnt 0x0
	v_cmpx_lt_u32_e32 20, v0
	s_cbranch_execz .LBB103_213
; %bb.212:
	scratch_load_b64 v[82:83], off, off offset:160
	v_mov_b64_e32 v[84:85], 0
	scratch_store_b64 off, v[84:85], off offset:160
	s_wait_loadcnt 0x0
	ds_store_b64 v1, v[82:83]
.LBB103_213:
	s_wait_xcnt 0x0
	s_or_b32 exec_lo, exec_lo, s0
	s_wait_storecnt_dscnt 0x0
	s_barrier_signal -1
	s_barrier_wait -1
	s_clause 0xa
	scratch_load_b128 v[82:85], off, off offset:168
	scratch_load_b128 v[86:89], off, off offset:184
	;; [unrolled: 1-line block ×9, first 2 shown]
	scratch_load_b64 v[154:155], off, off offset:312
	scratch_load_b64 v[156:157], off, off offset:160
	v_mov_b32_e32 v7, 0
	ds_load_2addr_b64 v[118:121], v7 offset0:71 offset1:72
	ds_load_2addr_b64 v[122:125], v7 offset0:73 offset1:74
	;; [unrolled: 1-line block ×9, first 2 shown]
	ds_load_b64 v[158:159], v7 offset:632
	s_mov_b32 s0, exec_lo
	s_wait_dscnt 0x9
	v_dual_mov_b32 v160, v121 :: v_dual_mov_b32 v161, v120
	s_wait_dscnt 0x6
	v_dual_mov_b32 v162, v125 :: v_dual_mov_b32 v167, v132
	v_dual_mov_b32 v163, v124 :: v_dual_mov_b32 v164, v129
	;; [unrolled: 1-line block ×3, first 2 shown]
	s_wait_loadcnt_dscnt 0xa05
	v_dual_mul_f32 v9, v134, v83 :: v_dual_mul_f32 v27, v135, v83
	v_dual_mul_f32 v29, v137, v85 :: v_dual_mul_f32 v11, v136, v85
	s_wait_loadcnt_dscnt 0x904
	v_mul_f32_e32 v13, v138, v87
	s_wait_loadcnt_dscnt 0x702
	v_dual_mul_f32 v39, v147, v95 :: v_dual_fma_f32 v27, v134, v82, -v27
	v_dual_fmac_f32 v9, v135, v82 :: v_dual_mul_f32 v41, v149, v97
	v_dual_mul_f32 v31, v139, v87 :: v_dual_mul_f32 v33, v141, v89
	v_dual_fmac_f32 v11, v137, v84 :: v_dual_fma_f32 v29, v136, v84, -v29
	s_delay_alu instid0(VALU_DEP_3) | instskip(SKIP_3) | instid1(VALU_DEP_3)
	v_dual_add_f32 v9, 0, v9 :: v_dual_add_f32 v27, 0, v27
	v_dual_mul_f32 v15, v140, v89 :: v_dual_mul_f32 v17, v142, v91
	s_wait_loadcnt_dscnt 0x601
	v_dual_mul_f32 v43, v151, v99 :: v_dual_fma_f32 v31, v138, v86, -v31
	v_dual_fmac_f32 v13, v139, v86 :: v_dual_add_f32 v9, v9, v11
	s_delay_alu instid0(VALU_DEP_3) | instskip(SKIP_2) | instid1(VALU_DEP_3)
	v_dual_add_f32 v11, v27, v29 :: v_dual_fmac_f32 v15, v141, v88
	v_dual_mul_f32 v35, v143, v91 :: v_dual_mul_f32 v37, v145, v93
	v_dual_mul_f32 v27, v153, v101 :: v_dual_fma_f32 v29, v140, v88, -v33
	v_dual_add_f32 v9, v9, v13 :: v_dual_add_f32 v11, v11, v31
	v_dual_mul_f32 v19, v144, v93 :: v_dual_mul_f32 v21, v146, v95
	s_wait_loadcnt 0x5
	v_dual_mul_f32 v13, v119, v103 :: v_dual_fma_f32 v31, v142, v90, -v35
	s_delay_alu instid0(VALU_DEP_3) | instskip(SKIP_2) | instid1(VALU_DEP_2)
	v_dual_fmac_f32 v17, v143, v90 :: v_dual_add_f32 v9, v9, v15
	v_dual_add_f32 v11, v11, v29 :: v_dual_mov_b32 v82, v105
	v_dual_fmac_f32 v19, v145, v92 :: v_dual_fma_f32 v15, v144, v92, -v37
	v_dual_add_f32 v9, v9, v17 :: v_dual_add_f32 v11, v11, v31
	v_dual_mul_f32 v23, v148, v97 :: v_dual_mul_f32 v25, v150, v99
	v_dual_fmac_f32 v21, v147, v94 :: v_dual_fma_f32 v17, v146, v94, -v39
	s_delay_alu instid0(VALU_DEP_3) | instskip(SKIP_3) | instid1(VALU_DEP_3)
	v_add_f32_e32 v9, v9, v19
	s_wait_loadcnt 0x4
	v_dual_add_f32 v11, v11, v15 :: v_dual_mov_b32 v86, v109
	v_dual_fmac_f32 v23, v149, v96 :: v_dual_fma_f32 v15, v148, v96, -v41
	v_dual_add_f32 v9, v9, v21 :: v_dual_fmac_f32 v25, v151, v98
	s_delay_alu instid0(VALU_DEP_3) | instskip(SKIP_1) | instid1(VALU_DEP_3)
	v_add_f32_e32 v11, v11, v17
	v_dual_mul_f32 v169, v152, v101 :: v_dual_mul_f32 v171, v118, v103
	v_dual_fma_f32 v17, v150, v98, -v43 :: v_dual_add_f32 v9, v9, v23
	s_delay_alu instid0(VALU_DEP_2) | instskip(SKIP_2) | instid1(VALU_DEP_4)
	v_dual_add_f32 v11, v11, v15 :: v_dual_fmac_f32 v169, v153, v100
	v_fma_f32 v168, v152, v100, -v27
	v_pk_mul_f32 v[82:83], v[160:161], v[82:83] op_sel_hi:[1,0]
	v_add_f32_e32 v91, v9, v25
	s_wait_loadcnt 0x3
	v_dual_add_f32 v90, v11, v17 :: v_dual_mov_b32 v92, v113
	v_pk_mul_f32 v[84:85], v[122:123], v[106:107] op_sel:[1,1] op_sel_hi:[0,1]
	v_dual_fmac_f32 v171, v119, v102 :: v_dual_fma_f32 v170, v118, v102, -v13
	v_pk_fma_f32 v[94:95], v[120:121], v[104:105], v[82:83] op_sel_hi:[1,0,1]
	s_delay_alu instid0(VALU_DEP_4)
	v_pk_add_f32 v[90:91], v[90:91], v[168:169]
	v_pk_fma_f32 v[82:83], v[120:121], v[104:105], v[82:83] neg_lo:[0,0,1] neg_hi:[0,0,1]
	v_pk_fma_f32 v[96:97], v[122:123], v[106:107], v[84:85] op_sel_hi:[1,0,1]
	v_pk_mul_f32 v[86:87], v[162:163], v[86:87] op_sel_hi:[1,0]
	v_mov_b32_e32 v83, v95
	v_pk_add_f32 v[90:91], v[90:91], v[170:171]
	v_pk_fma_f32 v[84:85], v[122:123], v[106:107], v[84:85] neg_lo:[0,0,1] neg_hi:[0,0,1]
	v_pk_mul_f32 v[88:89], v[126:127], v[110:111] op_sel:[1,1] op_sel_hi:[0,1]
	v_mov_b32_e32 v85, v97
	v_pk_fma_f32 v[96:97], v[124:125], v[108:109], v[86:87] op_sel_hi:[1,0,1]
	v_pk_add_f32 v[82:83], v[90:91], v[82:83]
	v_pk_fma_f32 v[86:87], v[124:125], v[108:109], v[86:87] neg_lo:[0,0,1] neg_hi:[0,0,1]
	v_pk_fma_f32 v[90:91], v[126:127], v[110:111], v[88:89] op_sel_hi:[1,0,1]
	v_pk_mul_f32 v[92:93], v[164:165], v[92:93] op_sel_hi:[1,0]
	v_mov_b32_e32 v87, v97
	v_pk_add_f32 v[82:83], v[82:83], v[84:85]
	v_pk_fma_f32 v[88:89], v[126:127], v[110:111], v[88:89] neg_lo:[0,0,1] neg_hi:[0,0,1]
	s_wait_loadcnt 0x2
	v_pk_mul_f32 v[94:95], v[130:131], v[114:115] op_sel:[1,1] op_sel_hi:[0,1]
	v_dual_mov_b32 v84, v117 :: v_dual_mov_b32 v89, v91
	v_pk_fma_f32 v[90:91], v[128:129], v[112:113], v[92:93] op_sel_hi:[1,0,1]
	v_pk_add_f32 v[82:83], v[82:83], v[86:87]
	v_pk_fma_f32 v[92:93], v[128:129], v[112:113], v[92:93] neg_lo:[0,0,1] neg_hi:[0,0,1]
	v_pk_fma_f32 v[86:87], v[130:131], v[114:115], v[94:95] op_sel_hi:[1,0,1]
	v_pk_mul_f32 v[84:85], v[166:167], v[84:85] op_sel_hi:[1,0]
	v_mov_b32_e32 v93, v91
	v_pk_add_f32 v[82:83], v[82:83], v[88:89]
	v_pk_fma_f32 v[88:89], v[130:131], v[114:115], v[94:95] neg_lo:[0,0,1] neg_hi:[0,0,1]
	v_mov_b32_e32 v89, v87
	v_pk_fma_f32 v[86:87], v[132:133], v[116:117], v[84:85] op_sel_hi:[1,0,1]
	s_wait_loadcnt_dscnt 0x100
	v_pk_mul_f32 v[90:91], v[158:159], v[154:155] op_sel:[1,1] op_sel_hi:[0,1]
	v_pk_add_f32 v[82:83], v[82:83], v[92:93]
	v_pk_fma_f32 v[84:85], v[132:133], v[116:117], v[84:85] neg_lo:[0,0,1] neg_hi:[0,0,1]
	v_mov_b32_e32 v85, v87
	s_delay_alu instid0(VALU_DEP_4) | instskip(NEXT) | instid1(VALU_DEP_4)
	v_pk_fma_f32 v[86:87], v[158:159], v[154:155], v[90:91] op_sel_hi:[1,0,1]
	v_pk_add_f32 v[82:83], v[82:83], v[88:89]
	v_pk_fma_f32 v[88:89], v[158:159], v[154:155], v[90:91] neg_lo:[0,0,1] neg_hi:[0,0,1]
	s_delay_alu instid0(VALU_DEP_3) | instskip(NEXT) | instid1(VALU_DEP_3)
	v_mov_b32_e32 v89, v87
	v_pk_add_f32 v[82:83], v[82:83], v[84:85]
	s_delay_alu instid0(VALU_DEP_1) | instskip(SKIP_1) | instid1(VALU_DEP_1)
	v_pk_add_f32 v[82:83], v[82:83], v[88:89]
	s_wait_loadcnt 0x0
	v_pk_add_f32 v[82:83], v[156:157], v[82:83] neg_lo:[0,1] neg_hi:[0,1]
	scratch_store_b64 off, v[82:83], off offset:160
	s_wait_xcnt 0x0
	v_cmpx_lt_u32_e32 19, v0
	s_cbranch_execz .LBB103_215
; %bb.214:
	scratch_load_b64 v[82:83], off, off offset:152
	v_mov_b64_e32 v[84:85], 0
	scratch_store_b64 off, v[84:85], off offset:152
	s_wait_loadcnt 0x0
	ds_store_b64 v1, v[82:83]
.LBB103_215:
	s_wait_xcnt 0x0
	s_or_b32 exec_lo, exec_lo, s0
	s_wait_storecnt_dscnt 0x0
	s_barrier_signal -1
	s_barrier_wait -1
	s_clause 0xa
	scratch_load_b128 v[82:85], off, off offset:160
	scratch_load_b128 v[86:89], off, off offset:176
	;; [unrolled: 1-line block ×10, first 2 shown]
	scratch_load_b64 v[162:163], off, off offset:152
	ds_load_b128 v[122:125], v7 offset:576
	ds_load_b128 v[126:129], v7 offset:592
	;; [unrolled: 1-line block ×10, first 2 shown]
	s_mov_b32 s0, exec_lo
	s_wait_dscnt 0x9
	v_dual_mov_b32 v164, v125 :: v_dual_mov_b32 v165, v124
	s_wait_dscnt 0x8
	v_dual_mov_b32 v166, v129 :: v_dual_mov_b32 v167, v128
	;; [unrolled: 2-line block ×4, first 2 shown]
	s_wait_loadcnt_dscnt 0xa05
	v_dual_mul_f32 v7, v138, v83 :: v_dual_mul_f32 v9, v140, v85
	v_dual_mul_f32 v27, v139, v83 :: v_dual_mul_f32 v29, v141, v85
	s_wait_loadcnt_dscnt 0x904
	v_dual_mul_f32 v11, v142, v87 :: v_dual_mul_f32 v13, v144, v89
	s_delay_alu instid0(VALU_DEP_3) | instskip(SKIP_3) | instid1(VALU_DEP_3)
	v_dual_fmac_f32 v7, v139, v82 :: v_dual_fmac_f32 v9, v141, v84
	s_wait_loadcnt_dscnt 0x702
	v_dual_fma_f32 v27, v138, v82, -v27 :: v_dual_mul_f32 v39, v151, v95
	v_dual_mul_f32 v31, v143, v87 :: v_dual_mul_f32 v33, v145, v89
	v_dual_fma_f32 v29, v140, v84, -v29 :: v_dual_add_f32 v7, 0, v7
	s_delay_alu instid0(VALU_DEP_3) | instskip(SKIP_1) | instid1(VALU_DEP_3)
	v_dual_add_f32 v27, 0, v27 :: v_dual_mul_f32 v41, v153, v97
	v_dual_fmac_f32 v11, v143, v86 :: v_dual_fmac_f32 v13, v145, v88
	v_dual_fma_f32 v31, v142, v86, -v31 :: v_dual_add_f32 v7, v7, v9
	s_delay_alu instid0(VALU_DEP_3) | instskip(SKIP_2) | instid1(VALU_DEP_4)
	v_dual_add_f32 v9, v27, v29 :: v_dual_fma_f32 v29, v144, v88, -v33
	v_dual_mul_f32 v15, v146, v91 :: v_dual_mul_f32 v17, v148, v93
	v_dual_mul_f32 v35, v147, v91 :: v_dual_mul_f32 v37, v149, v93
	v_add_f32_e32 v7, v7, v11
	s_delay_alu instid0(VALU_DEP_3) | instskip(NEXT) | instid1(VALU_DEP_3)
	v_dual_add_f32 v9, v9, v31 :: v_dual_fmac_f32 v15, v147, v90
	v_fma_f32 v31, v146, v90, -v35
	v_dual_mul_f32 v19, v150, v95 :: v_dual_mul_f32 v21, v152, v97
	s_delay_alu instid0(VALU_DEP_4) | instskip(SKIP_2) | instid1(VALU_DEP_2)
	v_dual_add_f32 v7, v7, v13 :: v_dual_fmac_f32 v17, v149, v92
	s_wait_loadcnt_dscnt 0x500
	v_dual_add_f32 v9, v9, v29 :: v_dual_mul_f32 v13, v159, v103
	v_dual_fma_f32 v29, v148, v92, -v37 :: v_dual_add_f32 v7, v7, v15
	v_mul_f32_e32 v15, v161, v105
	s_delay_alu instid0(VALU_DEP_3) | instskip(NEXT) | instid1(VALU_DEP_3)
	v_dual_add_f32 v9, v9, v31 :: v_dual_fmac_f32 v19, v151, v94
	v_dual_fma_f32 v31, v150, v94, -v39 :: v_dual_add_f32 v7, v7, v17
	v_fmac_f32_e32 v21, v153, v96
	s_delay_alu instid0(VALU_DEP_3) | instskip(SKIP_4) | instid1(VALU_DEP_3)
	v_dual_add_f32 v9, v9, v29 :: v_dual_fma_f32 v17, v152, v96, -v41
	v_dual_mul_f32 v23, v154, v99 :: v_dual_mul_f32 v25, v156, v101
	v_dual_mul_f32 v27, v155, v99 :: v_dual_mul_f32 v11, v157, v101
	s_wait_loadcnt 0x4
	v_dual_add_f32 v7, v7, v19 :: v_dual_mov_b32 v84, v109
	v_dual_add_f32 v9, v9, v31 :: v_dual_fmac_f32 v23, v155, v98
	s_delay_alu instid0(VALU_DEP_2) | instskip(SKIP_1) | instid1(VALU_DEP_3)
	v_dual_fma_f32 v19, v154, v98, -v27 :: v_dual_add_f32 v7, v7, v21
	v_dual_mul_f32 v173, v158, v103 :: v_dual_mul_f32 v175, v160, v105
	v_dual_add_f32 v9, v9, v17 :: v_dual_fma_f32 v11, v156, v100, -v11
	s_delay_alu instid0(VALU_DEP_3) | instskip(SKIP_1) | instid1(VALU_DEP_3)
	v_dual_fmac_f32 v25, v157, v100 :: v_dual_add_f32 v7, v7, v23
	v_pk_mul_f32 v[82:83], v[122:123], v[106:107] op_sel:[1,1] op_sel_hi:[0,1]
	v_dual_add_f32 v9, v9, v19 :: v_dual_fmac_f32 v173, v159, v102
	s_wait_loadcnt 0x3
	v_dual_mov_b32 v88, v113 :: v_dual_fma_f32 v172, v158, v102, -v13
	s_delay_alu instid0(VALU_DEP_2)
	v_dual_add_f32 v91, v7, v25 :: v_dual_add_f32 v90, v9, v11
	v_fmac_f32_e32 v175, v161, v104
	v_pk_fma_f32 v[92:93], v[122:123], v[106:107], v[82:83] op_sel_hi:[1,0,1]
	v_fma_f32 v174, v160, v104, -v15
	v_pk_mul_f32 v[84:85], v[164:165], v[84:85] op_sel_hi:[1,0]
	v_pk_add_f32 v[90:91], v[90:91], v[172:173]
	v_pk_fma_f32 v[82:83], v[122:123], v[106:107], v[82:83] neg_lo:[0,0,1] neg_hi:[0,0,1]
	v_pk_mul_f32 v[86:87], v[126:127], v[110:111] op_sel:[1,1] op_sel_hi:[0,1]
	v_mov_b32_e32 v83, v93
	v_pk_fma_f32 v[92:93], v[124:125], v[108:109], v[84:85] op_sel_hi:[1,0,1]
	v_pk_add_f32 v[90:91], v[90:91], v[174:175]
	v_pk_fma_f32 v[84:85], v[124:125], v[108:109], v[84:85] neg_lo:[0,0,1] neg_hi:[0,0,1]
	v_pk_fma_f32 v[96:97], v[126:127], v[110:111], v[86:87] op_sel_hi:[1,0,1]
	v_pk_mul_f32 v[88:89], v[166:167], v[88:89] op_sel_hi:[1,0]
	v_mov_b32_e32 v85, v93
	v_pk_add_f32 v[82:83], v[90:91], v[82:83]
	s_wait_loadcnt 0x2
	v_pk_mul_f32 v[94:95], v[130:131], v[114:115] op_sel:[1,1] op_sel_hi:[0,1]
	v_mov_b32_e32 v90, v117
	v_pk_fma_f32 v[86:87], v[126:127], v[110:111], v[86:87] neg_lo:[0,0,1] neg_hi:[0,0,1]
	v_pk_fma_f32 v[92:93], v[128:129], v[112:113], v[88:89] op_sel_hi:[1,0,1]
	v_mov_b32_e32 v87, v97
	v_pk_add_f32 v[82:83], v[82:83], v[84:85]
	v_pk_fma_f32 v[84:85], v[130:131], v[114:115], v[94:95] op_sel_hi:[1,0,1]
	v_pk_mul_f32 v[90:91], v[168:169], v[90:91] op_sel_hi:[1,0]
	v_pk_fma_f32 v[88:89], v[128:129], v[112:113], v[88:89] neg_lo:[0,0,1] neg_hi:[0,0,1]
	v_mov_b32_e32 v89, v93
	v_pk_add_f32 v[82:83], v[82:83], v[86:87]
	v_pk_fma_f32 v[92:93], v[130:131], v[114:115], v[94:95] neg_lo:[0,0,1] neg_hi:[0,0,1]
	v_mov_b32_e32 v93, v85
	v_pk_fma_f32 v[84:85], v[132:133], v[116:117], v[90:91] op_sel_hi:[1,0,1]
	s_wait_loadcnt 0x1
	v_pk_mul_f32 v[86:87], v[134:135], v[118:119] op_sel:[1,1] op_sel_hi:[0,1]
	v_pk_add_f32 v[82:83], v[82:83], v[88:89]
	v_mov_b32_e32 v84, v121
	v_pk_fma_f32 v[90:91], v[132:133], v[116:117], v[90:91] neg_lo:[0,0,1] neg_hi:[0,0,1]
	s_delay_alu instid0(VALU_DEP_4)
	v_pk_fma_f32 v[88:89], v[134:135], v[118:119], v[86:87] op_sel_hi:[1,0,1]
	v_mov_b32_e32 v91, v85
	v_pk_add_f32 v[82:83], v[82:83], v[92:93]
	v_pk_mul_f32 v[84:85], v[170:171], v[84:85] op_sel_hi:[1,0]
	v_pk_fma_f32 v[86:87], v[134:135], v[118:119], v[86:87] neg_lo:[0,0,1] neg_hi:[0,0,1]
	v_mov_b32_e32 v87, v89
	s_delay_alu instid0(VALU_DEP_4) | instskip(NEXT) | instid1(VALU_DEP_4)
	v_pk_add_f32 v[82:83], v[82:83], v[90:91]
	v_pk_fma_f32 v[88:89], v[136:137], v[120:121], v[84:85] op_sel_hi:[1,0,1]
	v_pk_fma_f32 v[84:85], v[136:137], v[120:121], v[84:85] neg_lo:[0,0,1] neg_hi:[0,0,1]
	s_delay_alu instid0(VALU_DEP_3) | instskip(NEXT) | instid1(VALU_DEP_3)
	v_pk_add_f32 v[82:83], v[82:83], v[86:87]
	v_mov_b32_e32 v85, v89
	s_delay_alu instid0(VALU_DEP_1) | instskip(SKIP_1) | instid1(VALU_DEP_1)
	v_pk_add_f32 v[82:83], v[82:83], v[84:85]
	s_wait_loadcnt 0x0
	v_pk_add_f32 v[82:83], v[162:163], v[82:83] neg_lo:[0,1] neg_hi:[0,1]
	scratch_store_b64 off, v[82:83], off offset:152
	s_wait_xcnt 0x0
	v_cmpx_lt_u32_e32 18, v0
	s_cbranch_execz .LBB103_217
; %bb.216:
	scratch_load_b64 v[82:83], off, off offset:144
	v_mov_b64_e32 v[84:85], 0
	scratch_store_b64 off, v[84:85], off offset:144
	s_wait_loadcnt 0x0
	ds_store_b64 v1, v[82:83]
.LBB103_217:
	s_wait_xcnt 0x0
	s_or_b32 exec_lo, exec_lo, s0
	s_wait_storecnt_dscnt 0x0
	s_barrier_signal -1
	s_barrier_wait -1
	s_clause 0xb
	scratch_load_b128 v[82:85], off, off offset:152
	scratch_load_b128 v[86:89], off, off offset:168
	;; [unrolled: 1-line block ×10, first 2 shown]
	scratch_load_b64 v[162:163], off, off offset:312
	scratch_load_b64 v[164:165], off, off offset:144
	v_mov_b32_e32 v7, 0
	ds_load_2addr_b64 v[122:125], v7 offset0:71 offset1:72
	ds_load_2addr_b64 v[126:129], v7 offset0:73 offset1:74
	;; [unrolled: 1-line block ×10, first 2 shown]
	ds_load_b64 v[166:167], v7 offset:632
	s_mov_b32 s0, exec_lo
	s_wait_dscnt 0xa
	v_dual_mov_b32 v168, v125 :: v_dual_mov_b32 v169, v124
	s_wait_dscnt 0x7
	v_dual_mov_b32 v170, v129 :: v_dual_mov_b32 v175, v136
	v_dual_mov_b32 v171, v128 :: v_dual_mov_b32 v172, v133
	;; [unrolled: 1-line block ×3, first 2 shown]
	s_wait_loadcnt_dscnt 0xb06
	v_dual_mul_f32 v9, v138, v83 :: v_dual_mul_f32 v31, v139, v83
	v_dual_mul_f32 v33, v141, v85 :: v_dual_mul_f32 v11, v140, v85
	s_wait_loadcnt_dscnt 0xa05
	v_mul_f32_e32 v13, v142, v87
	s_wait_loadcnt_dscnt 0x803
	v_dual_mul_f32 v43, v151, v95 :: v_dual_fma_f32 v31, v138, v82, -v31
	v_dual_fmac_f32 v9, v139, v82 :: v_dual_mul_f32 v45, v153, v97
	v_dual_mul_f32 v35, v143, v87 :: v_dual_mul_f32 v37, v145, v89
	v_dual_fmac_f32 v11, v141, v84 :: v_dual_fma_f32 v33, v140, v84, -v33
	s_delay_alu instid0(VALU_DEP_3) | instskip(SKIP_3) | instid1(VALU_DEP_3)
	v_dual_add_f32 v9, 0, v9 :: v_dual_add_f32 v31, 0, v31
	v_dual_mul_f32 v15, v144, v89 :: v_dual_mul_f32 v17, v146, v91
	s_wait_loadcnt_dscnt 0x702
	v_dual_mul_f32 v47, v155, v99 :: v_dual_fma_f32 v35, v142, v86, -v35
	v_dual_fmac_f32 v13, v143, v86 :: v_dual_add_f32 v9, v9, v11
	s_delay_alu instid0(VALU_DEP_3) | instskip(SKIP_2) | instid1(VALU_DEP_3)
	v_dual_add_f32 v11, v31, v33 :: v_dual_fmac_f32 v15, v145, v88
	v_dual_mul_f32 v39, v147, v91 :: v_dual_mul_f32 v41, v149, v93
	v_dual_mul_f32 v31, v157, v101 :: v_dual_fma_f32 v33, v144, v88, -v37
	v_dual_add_f32 v9, v9, v13 :: v_dual_add_f32 v11, v11, v35
	v_dual_mul_f32 v19, v148, v93 :: v_dual_mul_f32 v21, v150, v95
	s_wait_loadcnt_dscnt 0x601
	v_dual_mul_f32 v13, v159, v103 :: v_dual_fma_f32 v35, v146, v90, -v39
	s_delay_alu instid0(VALU_DEP_3) | instskip(NEXT) | instid1(VALU_DEP_3)
	v_dual_fmac_f32 v17, v147, v90 :: v_dual_add_f32 v9, v9, v15
	v_dual_add_f32 v11, v11, v33 :: v_dual_fmac_f32 v19, v149, v92
	v_dual_mul_f32 v15, v161, v105 :: v_dual_fma_f32 v33, v148, v92, -v41
	s_delay_alu instid0(VALU_DEP_2) | instskip(SKIP_3) | instid1(VALU_DEP_3)
	v_dual_add_f32 v9, v9, v17 :: v_dual_add_f32 v11, v11, v35
	v_dual_mul_f32 v23, v152, v97 :: v_dual_mul_f32 v25, v154, v99
	s_wait_loadcnt 0x5
	v_dual_mul_f32 v17, v123, v107 :: v_dual_fma_f32 v35, v150, v94, -v43
	v_dual_fmac_f32 v21, v151, v94 :: v_dual_add_f32 v9, v9, v19
	v_dual_add_f32 v11, v11, v33 :: v_dual_mov_b32 v82, v109
	v_dual_fmac_f32 v23, v153, v96 :: v_dual_fma_f32 v19, v152, v96, -v45
	s_delay_alu instid0(VALU_DEP_2) | instskip(SKIP_2) | instid1(VALU_DEP_3)
	v_dual_add_f32 v9, v9, v21 :: v_dual_add_f32 v11, v11, v35
	v_dual_mul_f32 v27, v156, v101 :: v_dual_mul_f32 v29, v158, v103
	v_dual_fmac_f32 v25, v155, v98 :: v_dual_fma_f32 v21, v154, v98, -v47
	v_add_f32_e32 v9, v9, v23
	s_wait_loadcnt 0x4
	v_dual_add_f32 v11, v11, v19 :: v_dual_mov_b32 v86, v113
	v_fmac_f32_e32 v27, v157, v100
	s_delay_alu instid0(VALU_DEP_3) | instskip(SKIP_1) | instid1(VALU_DEP_4)
	v_dual_fma_f32 v19, v156, v100, -v31 :: v_dual_add_f32 v9, v9, v25
	v_fmac_f32_e32 v29, v159, v102
	v_add_f32_e32 v11, v11, v21
	v_dual_mul_f32 v177, v160, v105 :: v_dual_mul_f32 v179, v122, v107
	s_delay_alu instid0(VALU_DEP_4) | instskip(NEXT) | instid1(VALU_DEP_2)
	v_dual_fma_f32 v13, v158, v102, -v13 :: v_dual_add_f32 v9, v9, v27
	v_dual_add_f32 v11, v11, v19 :: v_dual_fmac_f32 v177, v161, v104
	v_fma_f32 v176, v160, v104, -v15
	v_pk_mul_f32 v[82:83], v[168:169], v[82:83] op_sel_hi:[1,0]
	s_delay_alu instid0(VALU_DEP_4)
	v_add_f32_e32 v91, v9, v29
	s_wait_loadcnt 0x3
	v_dual_add_f32 v90, v11, v13 :: v_dual_mov_b32 v92, v117
	v_pk_mul_f32 v[84:85], v[126:127], v[110:111] op_sel:[1,1] op_sel_hi:[0,1]
	v_dual_fmac_f32 v179, v123, v106 :: v_dual_fma_f32 v178, v122, v106, -v17
	v_pk_fma_f32 v[94:95], v[124:125], v[108:109], v[82:83] op_sel_hi:[1,0,1]
	s_delay_alu instid0(VALU_DEP_4)
	v_pk_add_f32 v[90:91], v[90:91], v[176:177]
	v_pk_fma_f32 v[82:83], v[124:125], v[108:109], v[82:83] neg_lo:[0,0,1] neg_hi:[0,0,1]
	v_pk_fma_f32 v[96:97], v[126:127], v[110:111], v[84:85] op_sel_hi:[1,0,1]
	v_pk_mul_f32 v[86:87], v[170:171], v[86:87] op_sel_hi:[1,0]
	v_mov_b32_e32 v83, v95
	v_pk_add_f32 v[90:91], v[90:91], v[178:179]
	v_pk_fma_f32 v[84:85], v[126:127], v[110:111], v[84:85] neg_lo:[0,0,1] neg_hi:[0,0,1]
	v_pk_mul_f32 v[88:89], v[130:131], v[114:115] op_sel:[1,1] op_sel_hi:[0,1]
	v_mov_b32_e32 v85, v97
	v_pk_fma_f32 v[96:97], v[128:129], v[112:113], v[86:87] op_sel_hi:[1,0,1]
	v_pk_add_f32 v[82:83], v[90:91], v[82:83]
	v_pk_fma_f32 v[86:87], v[128:129], v[112:113], v[86:87] neg_lo:[0,0,1] neg_hi:[0,0,1]
	v_pk_fma_f32 v[90:91], v[130:131], v[114:115], v[88:89] op_sel_hi:[1,0,1]
	v_pk_mul_f32 v[92:93], v[172:173], v[92:93] op_sel_hi:[1,0]
	v_mov_b32_e32 v87, v97
	v_pk_add_f32 v[82:83], v[82:83], v[84:85]
	v_pk_fma_f32 v[88:89], v[130:131], v[114:115], v[88:89] neg_lo:[0,0,1] neg_hi:[0,0,1]
	s_wait_loadcnt 0x2
	v_pk_mul_f32 v[94:95], v[134:135], v[118:119] op_sel:[1,1] op_sel_hi:[0,1]
	v_dual_mov_b32 v84, v121 :: v_dual_mov_b32 v89, v91
	v_pk_fma_f32 v[90:91], v[132:133], v[116:117], v[92:93] op_sel_hi:[1,0,1]
	v_pk_add_f32 v[82:83], v[82:83], v[86:87]
	v_pk_fma_f32 v[92:93], v[132:133], v[116:117], v[92:93] neg_lo:[0,0,1] neg_hi:[0,0,1]
	v_pk_fma_f32 v[86:87], v[134:135], v[118:119], v[94:95] op_sel_hi:[1,0,1]
	v_pk_mul_f32 v[84:85], v[174:175], v[84:85] op_sel_hi:[1,0]
	v_mov_b32_e32 v93, v91
	v_pk_add_f32 v[82:83], v[82:83], v[88:89]
	v_pk_fma_f32 v[88:89], v[134:135], v[118:119], v[94:95] neg_lo:[0,0,1] neg_hi:[0,0,1]
	v_mov_b32_e32 v89, v87
	v_pk_fma_f32 v[86:87], v[136:137], v[120:121], v[84:85] op_sel_hi:[1,0,1]
	s_wait_loadcnt_dscnt 0x100
	v_pk_mul_f32 v[90:91], v[166:167], v[162:163] op_sel:[1,1] op_sel_hi:[0,1]
	v_pk_add_f32 v[82:83], v[82:83], v[92:93]
	v_pk_fma_f32 v[84:85], v[136:137], v[120:121], v[84:85] neg_lo:[0,0,1] neg_hi:[0,0,1]
	v_mov_b32_e32 v85, v87
	s_delay_alu instid0(VALU_DEP_4) | instskip(NEXT) | instid1(VALU_DEP_4)
	v_pk_fma_f32 v[86:87], v[166:167], v[162:163], v[90:91] op_sel_hi:[1,0,1]
	v_pk_add_f32 v[82:83], v[82:83], v[88:89]
	v_pk_fma_f32 v[88:89], v[166:167], v[162:163], v[90:91] neg_lo:[0,0,1] neg_hi:[0,0,1]
	s_delay_alu instid0(VALU_DEP_3) | instskip(NEXT) | instid1(VALU_DEP_3)
	v_mov_b32_e32 v89, v87
	v_pk_add_f32 v[82:83], v[82:83], v[84:85]
	s_delay_alu instid0(VALU_DEP_1) | instskip(SKIP_1) | instid1(VALU_DEP_1)
	v_pk_add_f32 v[82:83], v[82:83], v[88:89]
	s_wait_loadcnt 0x0
	v_pk_add_f32 v[82:83], v[164:165], v[82:83] neg_lo:[0,1] neg_hi:[0,1]
	scratch_store_b64 off, v[82:83], off offset:144
	s_wait_xcnt 0x0
	v_cmpx_lt_u32_e32 17, v0
	s_cbranch_execz .LBB103_219
; %bb.218:
	scratch_load_b64 v[82:83], off, off offset:136
	v_mov_b64_e32 v[84:85], 0
	scratch_store_b64 off, v[84:85], off offset:136
	s_wait_loadcnt 0x0
	ds_store_b64 v1, v[82:83]
.LBB103_219:
	s_wait_xcnt 0x0
	s_or_b32 exec_lo, exec_lo, s0
	s_wait_storecnt_dscnt 0x0
	s_barrier_signal -1
	s_barrier_wait -1
	s_clause 0xb
	scratch_load_b128 v[82:85], off, off offset:144
	scratch_load_b128 v[86:89], off, off offset:160
	;; [unrolled: 1-line block ×11, first 2 shown]
	scratch_load_b64 v[170:171], off, off offset:136
	ds_load_b128 v[126:129], v7 offset:576
	ds_load_b128 v[130:133], v7 offset:592
	;; [unrolled: 1-line block ×11, first 2 shown]
	s_mov_b32 s0, exec_lo
	s_wait_dscnt 0xa
	v_dual_mov_b32 v172, v129 :: v_dual_mov_b32 v173, v128
	s_wait_dscnt 0x9
	v_dual_mov_b32 v174, v133 :: v_dual_mov_b32 v175, v132
	;; [unrolled: 2-line block ×4, first 2 shown]
	s_wait_loadcnt_dscnt 0xb06
	v_dual_mul_f32 v7, v142, v83 :: v_dual_mul_f32 v9, v144, v85
	v_dual_mul_f32 v31, v143, v83 :: v_dual_mul_f32 v33, v145, v85
	s_wait_loadcnt_dscnt 0xa05
	v_dual_mul_f32 v11, v146, v87 :: v_dual_mul_f32 v13, v148, v89
	s_delay_alu instid0(VALU_DEP_3) | instskip(SKIP_3) | instid1(VALU_DEP_3)
	v_dual_fmac_f32 v7, v143, v82 :: v_dual_fmac_f32 v9, v145, v84
	s_wait_loadcnt_dscnt 0x803
	v_dual_fma_f32 v31, v142, v82, -v31 :: v_dual_mul_f32 v43, v155, v95
	v_dual_mul_f32 v35, v147, v87 :: v_dual_mul_f32 v37, v149, v89
	v_dual_fma_f32 v33, v144, v84, -v33 :: v_dual_add_f32 v7, 0, v7
	s_delay_alu instid0(VALU_DEP_3) | instskip(SKIP_1) | instid1(VALU_DEP_3)
	v_dual_add_f32 v31, 0, v31 :: v_dual_mul_f32 v45, v157, v97
	v_dual_fmac_f32 v11, v147, v86 :: v_dual_fmac_f32 v13, v149, v88
	v_dual_fma_f32 v35, v146, v86, -v35 :: v_dual_add_f32 v7, v7, v9
	s_delay_alu instid0(VALU_DEP_3) | instskip(SKIP_2) | instid1(VALU_DEP_4)
	v_dual_add_f32 v9, v31, v33 :: v_dual_fma_f32 v33, v148, v88, -v37
	v_dual_mul_f32 v15, v150, v91 :: v_dual_mul_f32 v17, v152, v93
	v_dual_mul_f32 v39, v151, v91 :: v_dual_mul_f32 v41, v153, v93
	v_add_f32_e32 v7, v7, v11
	s_delay_alu instid0(VALU_DEP_3) | instskip(NEXT) | instid1(VALU_DEP_3)
	v_dual_add_f32 v9, v9, v35 :: v_dual_fmac_f32 v15, v151, v90
	v_fma_f32 v35, v150, v90, -v39
	v_dual_mul_f32 v19, v154, v95 :: v_dual_mul_f32 v21, v156, v97
	s_delay_alu instid0(VALU_DEP_4) | instskip(SKIP_2) | instid1(VALU_DEP_2)
	v_dual_add_f32 v7, v7, v13 :: v_dual_fmac_f32 v17, v153, v92
	s_wait_loadcnt_dscnt 0x601
	v_dual_add_f32 v9, v9, v33 :: v_dual_mul_f32 v13, v163, v103
	v_dual_fma_f32 v33, v152, v92, -v41 :: v_dual_add_f32 v7, v7, v15
	v_mul_f32_e32 v15, v165, v105
	s_delay_alu instid0(VALU_DEP_3) | instskip(NEXT) | instid1(VALU_DEP_3)
	v_dual_add_f32 v9, v9, v35 :: v_dual_fmac_f32 v19, v155, v94
	v_dual_fma_f32 v35, v154, v94, -v43 :: v_dual_add_f32 v7, v7, v17
	v_fmac_f32_e32 v21, v157, v96
	s_wait_loadcnt_dscnt 0x500
	s_delay_alu instid0(VALU_DEP_3) | instskip(SKIP_3) | instid1(VALU_DEP_3)
	v_dual_add_f32 v9, v9, v33 :: v_dual_mul_f32 v17, v167, v107
	v_dual_mul_f32 v23, v158, v99 :: v_dual_mul_f32 v25, v160, v101
	v_dual_mul_f32 v31, v159, v99 :: v_dual_mul_f32 v11, v161, v101
	v_dual_fma_f32 v33, v156, v96, -v45 :: v_dual_add_f32 v7, v7, v19
	v_dual_add_f32 v9, v9, v35 :: v_dual_fmac_f32 v23, v159, v98
	s_delay_alu instid0(VALU_DEP_3) | instskip(NEXT) | instid1(VALU_DEP_3)
	v_dual_mul_f32 v19, v169, v109 :: v_dual_fma_f32 v31, v158, v98, -v31
	v_dual_add_f32 v7, v7, v21 :: v_dual_fmac_f32 v25, v161, v100
	s_delay_alu instid0(VALU_DEP_3) | instskip(SKIP_2) | instid1(VALU_DEP_3)
	v_dual_add_f32 v9, v9, v33 :: v_dual_fma_f32 v11, v160, v100, -v11
	v_dual_mul_f32 v27, v162, v103 :: v_dual_mul_f32 v29, v164, v105
	s_wait_loadcnt 0x4
	v_dual_add_f32 v7, v7, v23 :: v_dual_mov_b32 v84, v113
	s_delay_alu instid0(VALU_DEP_2) | instskip(NEXT) | instid1(VALU_DEP_2)
	v_dual_add_f32 v9, v9, v31 :: v_dual_fmac_f32 v27, v163, v102
	v_dual_fma_f32 v13, v162, v102, -v13 :: v_dual_add_f32 v7, v7, v25
	v_dual_mul_f32 v181, v166, v107 :: v_dual_mul_f32 v183, v168, v109
	s_delay_alu instid0(VALU_DEP_3) | instskip(NEXT) | instid1(VALU_DEP_3)
	v_dual_add_f32 v9, v9, v11 :: v_dual_fma_f32 v11, v164, v104, -v15
	v_dual_fmac_f32 v29, v165, v104 :: v_dual_add_f32 v7, v7, v27
	v_pk_mul_f32 v[82:83], v[126:127], v[110:111] op_sel:[1,1] op_sel_hi:[0,1]
	s_delay_alu instid0(VALU_DEP_3) | instskip(SKIP_2) | instid1(VALU_DEP_2)
	v_dual_add_f32 v9, v9, v13 :: v_dual_fmac_f32 v181, v167, v106
	s_wait_loadcnt 0x3
	v_dual_mov_b32 v88, v117 :: v_dual_fma_f32 v180, v166, v106, -v17
	v_dual_add_f32 v91, v7, v29 :: v_dual_add_f32 v90, v9, v11
	v_fmac_f32_e32 v183, v169, v108
	v_pk_fma_f32 v[92:93], v[126:127], v[110:111], v[82:83] op_sel_hi:[1,0,1]
	v_fma_f32 v182, v168, v108, -v19
	v_pk_mul_f32 v[84:85], v[172:173], v[84:85] op_sel_hi:[1,0]
	v_pk_add_f32 v[90:91], v[90:91], v[180:181]
	v_pk_fma_f32 v[82:83], v[126:127], v[110:111], v[82:83] neg_lo:[0,0,1] neg_hi:[0,0,1]
	v_pk_mul_f32 v[86:87], v[130:131], v[114:115] op_sel:[1,1] op_sel_hi:[0,1]
	v_mov_b32_e32 v83, v93
	v_pk_fma_f32 v[92:93], v[128:129], v[112:113], v[84:85] op_sel_hi:[1,0,1]
	v_pk_add_f32 v[90:91], v[90:91], v[182:183]
	v_pk_fma_f32 v[84:85], v[128:129], v[112:113], v[84:85] neg_lo:[0,0,1] neg_hi:[0,0,1]
	v_pk_fma_f32 v[96:97], v[130:131], v[114:115], v[86:87] op_sel_hi:[1,0,1]
	v_pk_mul_f32 v[88:89], v[174:175], v[88:89] op_sel_hi:[1,0]
	v_mov_b32_e32 v85, v93
	v_pk_add_f32 v[82:83], v[90:91], v[82:83]
	s_wait_loadcnt 0x2
	v_pk_mul_f32 v[94:95], v[134:135], v[118:119] op_sel:[1,1] op_sel_hi:[0,1]
	v_mov_b32_e32 v90, v121
	v_pk_fma_f32 v[86:87], v[130:131], v[114:115], v[86:87] neg_lo:[0,0,1] neg_hi:[0,0,1]
	v_pk_fma_f32 v[92:93], v[132:133], v[116:117], v[88:89] op_sel_hi:[1,0,1]
	v_mov_b32_e32 v87, v97
	v_pk_add_f32 v[82:83], v[82:83], v[84:85]
	v_pk_fma_f32 v[84:85], v[134:135], v[118:119], v[94:95] op_sel_hi:[1,0,1]
	v_pk_mul_f32 v[90:91], v[176:177], v[90:91] op_sel_hi:[1,0]
	v_pk_fma_f32 v[88:89], v[132:133], v[116:117], v[88:89] neg_lo:[0,0,1] neg_hi:[0,0,1]
	v_mov_b32_e32 v89, v93
	v_pk_add_f32 v[82:83], v[82:83], v[86:87]
	v_pk_fma_f32 v[92:93], v[134:135], v[118:119], v[94:95] neg_lo:[0,0,1] neg_hi:[0,0,1]
	v_mov_b32_e32 v93, v85
	v_pk_fma_f32 v[84:85], v[136:137], v[120:121], v[90:91] op_sel_hi:[1,0,1]
	s_wait_loadcnt 0x1
	v_pk_mul_f32 v[86:87], v[138:139], v[122:123] op_sel:[1,1] op_sel_hi:[0,1]
	v_pk_add_f32 v[82:83], v[82:83], v[88:89]
	v_mov_b32_e32 v84, v125
	v_pk_fma_f32 v[90:91], v[136:137], v[120:121], v[90:91] neg_lo:[0,0,1] neg_hi:[0,0,1]
	s_delay_alu instid0(VALU_DEP_4)
	v_pk_fma_f32 v[88:89], v[138:139], v[122:123], v[86:87] op_sel_hi:[1,0,1]
	v_mov_b32_e32 v91, v85
	v_pk_add_f32 v[82:83], v[82:83], v[92:93]
	v_pk_mul_f32 v[84:85], v[178:179], v[84:85] op_sel_hi:[1,0]
	v_pk_fma_f32 v[86:87], v[138:139], v[122:123], v[86:87] neg_lo:[0,0,1] neg_hi:[0,0,1]
	v_mov_b32_e32 v87, v89
	s_delay_alu instid0(VALU_DEP_4) | instskip(NEXT) | instid1(VALU_DEP_4)
	v_pk_add_f32 v[82:83], v[82:83], v[90:91]
	v_pk_fma_f32 v[88:89], v[140:141], v[124:125], v[84:85] op_sel_hi:[1,0,1]
	v_pk_fma_f32 v[84:85], v[140:141], v[124:125], v[84:85] neg_lo:[0,0,1] neg_hi:[0,0,1]
	s_delay_alu instid0(VALU_DEP_3) | instskip(NEXT) | instid1(VALU_DEP_3)
	v_pk_add_f32 v[82:83], v[82:83], v[86:87]
	v_mov_b32_e32 v85, v89
	s_delay_alu instid0(VALU_DEP_1) | instskip(SKIP_1) | instid1(VALU_DEP_1)
	v_pk_add_f32 v[82:83], v[82:83], v[84:85]
	s_wait_loadcnt 0x0
	v_pk_add_f32 v[82:83], v[170:171], v[82:83] neg_lo:[0,1] neg_hi:[0,1]
	scratch_store_b64 off, v[82:83], off offset:136
	s_wait_xcnt 0x0
	v_cmpx_lt_u32_e32 16, v0
	s_cbranch_execz .LBB103_221
; %bb.220:
	scratch_load_b64 v[82:83], off, off offset:128
	v_mov_b64_e32 v[84:85], 0
	scratch_store_b64 off, v[84:85], off offset:128
	s_wait_loadcnt 0x0
	ds_store_b64 v1, v[82:83]
.LBB103_221:
	s_wait_xcnt 0x0
	s_or_b32 exec_lo, exec_lo, s0
	s_wait_storecnt_dscnt 0x0
	s_barrier_signal -1
	s_barrier_wait -1
	s_clause 0xc
	scratch_load_b128 v[82:85], off, off offset:136
	scratch_load_b128 v[86:89], off, off offset:152
	scratch_load_b128 v[90:93], off, off offset:168
	scratch_load_b128 v[94:97], off, off offset:184
	scratch_load_b128 v[98:101], off, off offset:200
	scratch_load_b128 v[102:105], off, off offset:216
	scratch_load_b128 v[106:109], off, off offset:232
	scratch_load_b128 v[110:113], off, off offset:248
	scratch_load_b128 v[114:117], off, off offset:264
	scratch_load_b128 v[118:121], off, off offset:280
	scratch_load_b128 v[122:125], off, off offset:296
	scratch_load_b64 v[170:171], off, off offset:312
	scratch_load_b64 v[172:173], off, off offset:128
	v_mov_b32_e32 v7, 0
	ds_load_2addr_b64 v[126:129], v7 offset0:71 offset1:72
	ds_load_2addr_b64 v[130:133], v7 offset0:73 offset1:74
	;; [unrolled: 1-line block ×11, first 2 shown]
	ds_load_b64 v[174:175], v7 offset:632
	s_mov_b32 s0, exec_lo
	s_wait_dscnt 0xb
	v_dual_mov_b32 v176, v129 :: v_dual_mov_b32 v177, v128
	s_wait_dscnt 0x8
	v_dual_mov_b32 v178, v133 :: v_dual_mov_b32 v183, v140
	v_dual_mov_b32 v179, v132 :: v_dual_mov_b32 v180, v137
	;; [unrolled: 1-line block ×3, first 2 shown]
	s_wait_loadcnt_dscnt 0xc07
	v_dual_mul_f32 v9, v142, v83 :: v_dual_mul_f32 v35, v143, v83
	v_dual_mul_f32 v37, v145, v85 :: v_dual_mul_f32 v11, v144, v85
	s_wait_loadcnt_dscnt 0xb06
	v_mul_f32_e32 v13, v146, v87
	s_wait_loadcnt_dscnt 0x904
	v_dual_mul_f32 v47, v155, v95 :: v_dual_fma_f32 v35, v142, v82, -v35
	v_dual_fmac_f32 v9, v143, v82 :: v_dual_mul_f32 v49, v157, v97
	v_dual_mul_f32 v39, v147, v87 :: v_dual_mul_f32 v41, v149, v89
	v_dual_fmac_f32 v11, v145, v84 :: v_dual_fma_f32 v37, v144, v84, -v37
	s_delay_alu instid0(VALU_DEP_3) | instskip(SKIP_3) | instid1(VALU_DEP_3)
	v_dual_add_f32 v9, 0, v9 :: v_dual_add_f32 v35, 0, v35
	v_dual_mul_f32 v15, v148, v89 :: v_dual_mul_f32 v17, v150, v91
	s_wait_loadcnt_dscnt 0x803
	v_dual_mul_f32 v51, v159, v99 :: v_dual_fma_f32 v39, v146, v86, -v39
	v_dual_fmac_f32 v13, v147, v86 :: v_dual_add_f32 v9, v9, v11
	s_delay_alu instid0(VALU_DEP_3) | instskip(SKIP_2) | instid1(VALU_DEP_3)
	v_dual_add_f32 v11, v35, v37 :: v_dual_fmac_f32 v15, v149, v88
	v_dual_mul_f32 v43, v151, v91 :: v_dual_mul_f32 v45, v153, v93
	v_dual_mul_f32 v35, v161, v101 :: v_dual_fma_f32 v37, v148, v88, -v41
	v_dual_add_f32 v9, v9, v13 :: v_dual_add_f32 v11, v11, v39
	v_dual_mul_f32 v19, v152, v93 :: v_dual_mul_f32 v21, v154, v95
	s_wait_loadcnt_dscnt 0x701
	v_dual_mul_f32 v13, v167, v103 :: v_dual_fma_f32 v39, v150, v90, -v43
	s_delay_alu instid0(VALU_DEP_3) | instskip(NEXT) | instid1(VALU_DEP_3)
	v_dual_fmac_f32 v17, v151, v90 :: v_dual_add_f32 v9, v9, v15
	v_dual_add_f32 v11, v11, v37 :: v_dual_fmac_f32 v19, v153, v92
	v_dual_mul_f32 v15, v169, v105 :: v_dual_fma_f32 v37, v152, v92, -v45
	s_delay_alu instid0(VALU_DEP_2) | instskip(SKIP_3) | instid1(VALU_DEP_3)
	v_dual_add_f32 v9, v9, v17 :: v_dual_add_f32 v11, v11, v39
	v_dual_mul_f32 v23, v156, v97 :: v_dual_mul_f32 v25, v158, v99
	s_wait_loadcnt 0x6
	v_dual_mul_f32 v17, v163, v107 :: v_dual_fma_f32 v39, v154, v94, -v47
	v_dual_fmac_f32 v21, v155, v94 :: v_dual_add_f32 v9, v9, v19
	s_delay_alu instid0(VALU_DEP_3) | instskip(SKIP_1) | instid1(VALU_DEP_2)
	v_dual_add_f32 v11, v11, v37 :: v_dual_fmac_f32 v23, v157, v96
	v_dual_mul_f32 v19, v165, v109 :: v_dual_fma_f32 v37, v156, v96, -v49
	v_dual_add_f32 v9, v9, v21 :: v_dual_add_f32 v11, v11, v39
	v_dual_mul_f32 v27, v160, v101 :: v_dual_mul_f32 v29, v166, v103
	s_wait_loadcnt 0x5
	v_dual_mul_f32 v21, v127, v111 :: v_dual_fma_f32 v39, v158, v98, -v51
	s_delay_alu instid0(VALU_DEP_3) | instskip(SKIP_2) | instid1(VALU_DEP_3)
	v_dual_fmac_f32 v25, v159, v98 :: v_dual_add_f32 v9, v9, v23
	v_dual_add_f32 v11, v11, v37 :: v_dual_mov_b32 v82, v113
	v_fmac_f32_e32 v27, v161, v100
	v_dual_fma_f32 v23, v160, v100, -v35 :: v_dual_add_f32 v9, v9, v25
	s_delay_alu instid0(VALU_DEP_3) | instskip(SKIP_1) | instid1(VALU_DEP_3)
	v_dual_add_f32 v11, v11, v39 :: v_dual_mul_f32 v31, v168, v105
	v_dual_mul_f32 v33, v162, v107 :: v_dual_fmac_f32 v29, v167, v102
	v_dual_add_f32 v9, v9, v27 :: v_dual_fma_f32 v13, v166, v102, -v13
	s_wait_loadcnt 0x4
	s_delay_alu instid0(VALU_DEP_3) | instskip(SKIP_3) | instid1(VALU_DEP_4)
	v_dual_add_f32 v11, v11, v23 :: v_dual_mov_b32 v86, v117
	v_fma_f32 v15, v168, v104, -v15
	v_fmac_f32_e32 v31, v169, v104
	v_dual_add_f32 v9, v9, v29 :: v_dual_fmac_f32 v33, v163, v106
	v_add_f32_e32 v11, v11, v13
	v_dual_mul_f32 v185, v164, v109 :: v_dual_mul_f32 v187, v126, v111
	s_delay_alu instid0(VALU_DEP_3) | instskip(NEXT) | instid1(VALU_DEP_2)
	v_dual_fma_f32 v13, v162, v106, -v17 :: v_dual_add_f32 v9, v9, v31
	v_dual_add_f32 v11, v11, v15 :: v_dual_fmac_f32 v185, v165, v108
	v_fma_f32 v184, v164, v108, -v19
	v_pk_mul_f32 v[82:83], v[176:177], v[82:83] op_sel_hi:[1,0]
	s_delay_alu instid0(VALU_DEP_4)
	v_add_f32_e32 v91, v9, v33
	s_wait_loadcnt 0x3
	v_dual_add_f32 v90, v11, v13 :: v_dual_mov_b32 v92, v121
	v_pk_mul_f32 v[84:85], v[130:131], v[114:115] op_sel:[1,1] op_sel_hi:[0,1]
	v_dual_fmac_f32 v187, v127, v110 :: v_dual_fma_f32 v186, v126, v110, -v21
	v_pk_fma_f32 v[94:95], v[128:129], v[112:113], v[82:83] op_sel_hi:[1,0,1]
	s_delay_alu instid0(VALU_DEP_4)
	v_pk_add_f32 v[90:91], v[90:91], v[184:185]
	v_pk_fma_f32 v[82:83], v[128:129], v[112:113], v[82:83] neg_lo:[0,0,1] neg_hi:[0,0,1]
	v_pk_fma_f32 v[96:97], v[130:131], v[114:115], v[84:85] op_sel_hi:[1,0,1]
	v_pk_mul_f32 v[86:87], v[178:179], v[86:87] op_sel_hi:[1,0]
	v_mov_b32_e32 v83, v95
	v_pk_add_f32 v[90:91], v[90:91], v[186:187]
	v_pk_fma_f32 v[84:85], v[130:131], v[114:115], v[84:85] neg_lo:[0,0,1] neg_hi:[0,0,1]
	v_pk_mul_f32 v[88:89], v[134:135], v[118:119] op_sel:[1,1] op_sel_hi:[0,1]
	v_mov_b32_e32 v85, v97
	v_pk_fma_f32 v[96:97], v[132:133], v[116:117], v[86:87] op_sel_hi:[1,0,1]
	v_pk_add_f32 v[82:83], v[90:91], v[82:83]
	v_pk_fma_f32 v[86:87], v[132:133], v[116:117], v[86:87] neg_lo:[0,0,1] neg_hi:[0,0,1]
	v_pk_fma_f32 v[90:91], v[134:135], v[118:119], v[88:89] op_sel_hi:[1,0,1]
	v_pk_mul_f32 v[92:93], v[180:181], v[92:93] op_sel_hi:[1,0]
	v_mov_b32_e32 v87, v97
	v_pk_add_f32 v[82:83], v[82:83], v[84:85]
	v_pk_fma_f32 v[88:89], v[134:135], v[118:119], v[88:89] neg_lo:[0,0,1] neg_hi:[0,0,1]
	s_wait_loadcnt 0x2
	v_pk_mul_f32 v[94:95], v[138:139], v[122:123] op_sel:[1,1] op_sel_hi:[0,1]
	v_dual_mov_b32 v84, v125 :: v_dual_mov_b32 v89, v91
	v_pk_fma_f32 v[90:91], v[136:137], v[120:121], v[92:93] op_sel_hi:[1,0,1]
	v_pk_add_f32 v[82:83], v[82:83], v[86:87]
	v_pk_fma_f32 v[92:93], v[136:137], v[120:121], v[92:93] neg_lo:[0,0,1] neg_hi:[0,0,1]
	v_pk_fma_f32 v[86:87], v[138:139], v[122:123], v[94:95] op_sel_hi:[1,0,1]
	v_pk_mul_f32 v[84:85], v[182:183], v[84:85] op_sel_hi:[1,0]
	v_mov_b32_e32 v93, v91
	v_pk_add_f32 v[82:83], v[82:83], v[88:89]
	v_pk_fma_f32 v[88:89], v[138:139], v[122:123], v[94:95] neg_lo:[0,0,1] neg_hi:[0,0,1]
	v_mov_b32_e32 v89, v87
	v_pk_fma_f32 v[86:87], v[140:141], v[124:125], v[84:85] op_sel_hi:[1,0,1]
	s_wait_loadcnt_dscnt 0x100
	v_pk_mul_f32 v[90:91], v[174:175], v[170:171] op_sel:[1,1] op_sel_hi:[0,1]
	v_pk_add_f32 v[82:83], v[82:83], v[92:93]
	v_pk_fma_f32 v[84:85], v[140:141], v[124:125], v[84:85] neg_lo:[0,0,1] neg_hi:[0,0,1]
	v_mov_b32_e32 v85, v87
	s_delay_alu instid0(VALU_DEP_4) | instskip(NEXT) | instid1(VALU_DEP_4)
	v_pk_fma_f32 v[86:87], v[174:175], v[170:171], v[90:91] op_sel_hi:[1,0,1]
	v_pk_add_f32 v[82:83], v[82:83], v[88:89]
	v_pk_fma_f32 v[88:89], v[174:175], v[170:171], v[90:91] neg_lo:[0,0,1] neg_hi:[0,0,1]
	s_delay_alu instid0(VALU_DEP_3) | instskip(NEXT) | instid1(VALU_DEP_3)
	v_mov_b32_e32 v89, v87
	v_pk_add_f32 v[82:83], v[82:83], v[84:85]
	s_delay_alu instid0(VALU_DEP_1) | instskip(SKIP_1) | instid1(VALU_DEP_1)
	v_pk_add_f32 v[82:83], v[82:83], v[88:89]
	s_wait_loadcnt 0x0
	v_pk_add_f32 v[82:83], v[172:173], v[82:83] neg_lo:[0,1] neg_hi:[0,1]
	scratch_store_b64 off, v[82:83], off offset:128
	s_wait_xcnt 0x0
	v_cmpx_lt_u32_e32 15, v0
	s_cbranch_execz .LBB103_223
; %bb.222:
	scratch_load_b64 v[82:83], off, off offset:120
	v_mov_b64_e32 v[84:85], 0
	scratch_store_b64 off, v[84:85], off offset:120
	s_wait_loadcnt 0x0
	ds_store_b64 v1, v[82:83]
.LBB103_223:
	s_wait_xcnt 0x0
	s_or_b32 exec_lo, exec_lo, s0
	s_wait_storecnt_dscnt 0x0
	s_barrier_signal -1
	s_barrier_wait -1
	s_clause 0xc
	scratch_load_b128 v[82:85], off, off offset:128
	scratch_load_b128 v[86:89], off, off offset:144
	;; [unrolled: 1-line block ×12, first 2 shown]
	scratch_load_b64 v[178:179], off, off offset:120
	ds_load_b128 v[130:133], v7 offset:576
	ds_load_b128 v[134:137], v7 offset:592
	;; [unrolled: 1-line block ×12, first 2 shown]
	s_mov_b32 s0, exec_lo
	s_wait_dscnt 0xb
	v_dual_mov_b32 v180, v133 :: v_dual_mov_b32 v181, v132
	s_wait_dscnt 0xa
	v_dual_mov_b32 v182, v137 :: v_dual_mov_b32 v183, v136
	;; [unrolled: 2-line block ×4, first 2 shown]
	s_wait_loadcnt_dscnt 0xc07
	v_dual_mul_f32 v7, v146, v83 :: v_dual_mul_f32 v9, v148, v85
	v_dual_mul_f32 v35, v147, v83 :: v_dual_mul_f32 v37, v149, v85
	s_wait_loadcnt_dscnt 0xb06
	v_dual_mul_f32 v11, v150, v87 :: v_dual_mul_f32 v13, v152, v89
	s_delay_alu instid0(VALU_DEP_3) | instskip(SKIP_3) | instid1(VALU_DEP_3)
	v_dual_fmac_f32 v7, v147, v82 :: v_dual_fmac_f32 v9, v149, v84
	s_wait_loadcnt_dscnt 0x904
	v_dual_fma_f32 v35, v146, v82, -v35 :: v_dual_mul_f32 v47, v159, v95
	v_dual_mul_f32 v39, v151, v87 :: v_dual_mul_f32 v41, v153, v89
	v_dual_fma_f32 v37, v148, v84, -v37 :: v_dual_add_f32 v7, 0, v7
	s_delay_alu instid0(VALU_DEP_3) | instskip(SKIP_1) | instid1(VALU_DEP_3)
	v_dual_add_f32 v35, 0, v35 :: v_dual_mul_f32 v49, v161, v97
	v_dual_fmac_f32 v11, v151, v86 :: v_dual_fmac_f32 v13, v153, v88
	v_dual_fma_f32 v39, v150, v86, -v39 :: v_dual_add_f32 v7, v7, v9
	s_delay_alu instid0(VALU_DEP_3) | instskip(SKIP_2) | instid1(VALU_DEP_4)
	v_dual_add_f32 v9, v35, v37 :: v_dual_fma_f32 v37, v152, v88, -v41
	v_dual_mul_f32 v15, v154, v91 :: v_dual_mul_f32 v17, v156, v93
	v_dual_mul_f32 v43, v155, v91 :: v_dual_mul_f32 v45, v157, v93
	v_add_f32_e32 v7, v7, v11
	s_delay_alu instid0(VALU_DEP_3) | instskip(NEXT) | instid1(VALU_DEP_3)
	v_dual_add_f32 v9, v9, v39 :: v_dual_fmac_f32 v15, v155, v90
	v_fma_f32 v39, v154, v90, -v43
	v_dual_mul_f32 v19, v158, v95 :: v_dual_mul_f32 v21, v160, v97
	s_delay_alu instid0(VALU_DEP_4) | instskip(SKIP_2) | instid1(VALU_DEP_2)
	v_dual_add_f32 v7, v7, v13 :: v_dual_fmac_f32 v17, v157, v92
	s_wait_loadcnt_dscnt 0x702
	v_dual_add_f32 v9, v9, v37 :: v_dual_mul_f32 v13, v167, v103
	v_dual_fma_f32 v37, v156, v92, -v45 :: v_dual_add_f32 v7, v7, v15
	v_mul_f32_e32 v15, v169, v105
	s_delay_alu instid0(VALU_DEP_3) | instskip(NEXT) | instid1(VALU_DEP_3)
	v_dual_add_f32 v9, v9, v39 :: v_dual_fmac_f32 v19, v159, v94
	v_dual_fma_f32 v39, v158, v94, -v47 :: v_dual_add_f32 v7, v7, v17
	v_fmac_f32_e32 v21, v161, v96
	s_wait_loadcnt_dscnt 0x601
	s_delay_alu instid0(VALU_DEP_3) | instskip(SKIP_3) | instid1(VALU_DEP_3)
	v_dual_add_f32 v9, v9, v37 :: v_dual_mul_f32 v17, v171, v107
	v_dual_mul_f32 v23, v162, v99 :: v_dual_mul_f32 v25, v164, v101
	v_dual_mul_f32 v35, v163, v99 :: v_dual_mul_f32 v11, v165, v101
	v_dual_fma_f32 v37, v160, v96, -v49 :: v_dual_add_f32 v7, v7, v19
	v_dual_add_f32 v9, v9, v39 :: v_dual_fmac_f32 v23, v163, v98
	s_delay_alu instid0(VALU_DEP_3) | instskip(NEXT) | instid1(VALU_DEP_3)
	v_dual_mul_f32 v19, v173, v109 :: v_dual_fma_f32 v35, v162, v98, -v35
	v_dual_add_f32 v7, v7, v21 :: v_dual_fmac_f32 v25, v165, v100
	s_wait_loadcnt_dscnt 0x500
	s_delay_alu instid0(VALU_DEP_3) | instskip(SKIP_1) | instid1(VALU_DEP_3)
	v_dual_add_f32 v9, v9, v37 :: v_dual_mul_f32 v21, v175, v111
	v_dual_mul_f32 v27, v166, v103 :: v_dual_mul_f32 v29, v168, v105
	v_dual_fma_f32 v11, v164, v100, -v11 :: v_dual_add_f32 v7, v7, v23
	s_delay_alu instid0(VALU_DEP_2) | instskip(SKIP_1) | instid1(VALU_DEP_2)
	v_dual_add_f32 v9, v9, v35 :: v_dual_fmac_f32 v27, v167, v102
	v_dual_mul_f32 v23, v177, v113 :: v_dual_fma_f32 v13, v166, v102, -v13
	v_dual_add_f32 v7, v7, v25 :: v_dual_add_f32 v9, v9, v11
	v_dual_mul_f32 v31, v170, v107 :: v_dual_mul_f32 v33, v172, v109
	v_dual_fmac_f32 v29, v169, v104 :: v_dual_fma_f32 v11, v168, v104, -v15
	s_delay_alu instid0(VALU_DEP_3) | instskip(SKIP_1) | instid1(VALU_DEP_3)
	v_dual_add_f32 v7, v7, v27 :: v_dual_add_f32 v9, v9, v13
	s_wait_loadcnt 0x4
	v_dual_mov_b32 v84, v117 :: v_dual_fmac_f32 v31, v171, v106
	s_delay_alu instid0(VALU_DEP_2) | instskip(NEXT) | instid1(VALU_DEP_3)
	v_dual_fma_f32 v13, v170, v106, -v17 :: v_dual_add_f32 v7, v7, v29
	v_dual_add_f32 v9, v9, v11 :: v_dual_fma_f32 v11, v172, v108, -v19
	v_dual_mul_f32 v189, v174, v111 :: v_dual_mul_f32 v191, v176, v113
	s_delay_alu instid0(VALU_DEP_3) | instskip(NEXT) | instid1(VALU_DEP_2)
	v_dual_fmac_f32 v33, v173, v108 :: v_dual_add_f32 v7, v7, v31
	v_dual_add_f32 v9, v9, v13 :: v_dual_fmac_f32 v189, v175, v110
	v_pk_mul_f32 v[82:83], v[130:131], v[114:115] op_sel:[1,1] op_sel_hi:[0,1]
	s_wait_loadcnt 0x3
	v_dual_mov_b32 v88, v121 :: v_dual_fma_f32 v188, v174, v110, -v21
	s_delay_alu instid0(VALU_DEP_3)
	v_dual_add_f32 v91, v7, v33 :: v_dual_add_f32 v90, v9, v11
	v_fmac_f32_e32 v191, v177, v112
	v_pk_fma_f32 v[92:93], v[130:131], v[114:115], v[82:83] op_sel_hi:[1,0,1]
	v_fma_f32 v190, v176, v112, -v23
	v_pk_mul_f32 v[84:85], v[180:181], v[84:85] op_sel_hi:[1,0]
	v_pk_add_f32 v[90:91], v[90:91], v[188:189]
	v_pk_fma_f32 v[82:83], v[130:131], v[114:115], v[82:83] neg_lo:[0,0,1] neg_hi:[0,0,1]
	v_pk_mul_f32 v[86:87], v[134:135], v[118:119] op_sel:[1,1] op_sel_hi:[0,1]
	v_mov_b32_e32 v83, v93
	v_pk_fma_f32 v[92:93], v[132:133], v[116:117], v[84:85] op_sel_hi:[1,0,1]
	v_pk_add_f32 v[90:91], v[90:91], v[190:191]
	v_pk_fma_f32 v[84:85], v[132:133], v[116:117], v[84:85] neg_lo:[0,0,1] neg_hi:[0,0,1]
	v_pk_fma_f32 v[96:97], v[134:135], v[118:119], v[86:87] op_sel_hi:[1,0,1]
	v_pk_mul_f32 v[88:89], v[182:183], v[88:89] op_sel_hi:[1,0]
	v_mov_b32_e32 v85, v93
	v_pk_add_f32 v[82:83], v[90:91], v[82:83]
	s_wait_loadcnt 0x2
	v_pk_mul_f32 v[94:95], v[138:139], v[122:123] op_sel:[1,1] op_sel_hi:[0,1]
	v_mov_b32_e32 v90, v125
	v_pk_fma_f32 v[86:87], v[134:135], v[118:119], v[86:87] neg_lo:[0,0,1] neg_hi:[0,0,1]
	v_pk_fma_f32 v[92:93], v[136:137], v[120:121], v[88:89] op_sel_hi:[1,0,1]
	v_mov_b32_e32 v87, v97
	v_pk_add_f32 v[82:83], v[82:83], v[84:85]
	v_pk_fma_f32 v[84:85], v[138:139], v[122:123], v[94:95] op_sel_hi:[1,0,1]
	v_pk_mul_f32 v[90:91], v[184:185], v[90:91] op_sel_hi:[1,0]
	v_pk_fma_f32 v[88:89], v[136:137], v[120:121], v[88:89] neg_lo:[0,0,1] neg_hi:[0,0,1]
	v_mov_b32_e32 v89, v93
	v_pk_add_f32 v[82:83], v[82:83], v[86:87]
	v_pk_fma_f32 v[92:93], v[138:139], v[122:123], v[94:95] neg_lo:[0,0,1] neg_hi:[0,0,1]
	v_mov_b32_e32 v93, v85
	v_pk_fma_f32 v[84:85], v[140:141], v[124:125], v[90:91] op_sel_hi:[1,0,1]
	s_wait_loadcnt 0x1
	v_pk_mul_f32 v[86:87], v[142:143], v[126:127] op_sel:[1,1] op_sel_hi:[0,1]
	v_pk_add_f32 v[82:83], v[82:83], v[88:89]
	v_mov_b32_e32 v84, v129
	v_pk_fma_f32 v[90:91], v[140:141], v[124:125], v[90:91] neg_lo:[0,0,1] neg_hi:[0,0,1]
	s_delay_alu instid0(VALU_DEP_4)
	v_pk_fma_f32 v[88:89], v[142:143], v[126:127], v[86:87] op_sel_hi:[1,0,1]
	v_mov_b32_e32 v91, v85
	v_pk_add_f32 v[82:83], v[82:83], v[92:93]
	v_pk_mul_f32 v[84:85], v[186:187], v[84:85] op_sel_hi:[1,0]
	v_pk_fma_f32 v[86:87], v[142:143], v[126:127], v[86:87] neg_lo:[0,0,1] neg_hi:[0,0,1]
	v_mov_b32_e32 v87, v89
	s_delay_alu instid0(VALU_DEP_4) | instskip(NEXT) | instid1(VALU_DEP_4)
	v_pk_add_f32 v[82:83], v[82:83], v[90:91]
	v_pk_fma_f32 v[88:89], v[144:145], v[128:129], v[84:85] op_sel_hi:[1,0,1]
	v_pk_fma_f32 v[84:85], v[144:145], v[128:129], v[84:85] neg_lo:[0,0,1] neg_hi:[0,0,1]
	s_delay_alu instid0(VALU_DEP_3) | instskip(NEXT) | instid1(VALU_DEP_3)
	v_pk_add_f32 v[82:83], v[82:83], v[86:87]
	v_mov_b32_e32 v85, v89
	s_delay_alu instid0(VALU_DEP_1) | instskip(SKIP_1) | instid1(VALU_DEP_1)
	v_pk_add_f32 v[82:83], v[82:83], v[84:85]
	s_wait_loadcnt 0x0
	v_pk_add_f32 v[82:83], v[178:179], v[82:83] neg_lo:[0,1] neg_hi:[0,1]
	scratch_store_b64 off, v[82:83], off offset:120
	s_wait_xcnt 0x0
	v_cmpx_lt_u32_e32 14, v0
	s_cbranch_execz .LBB103_225
; %bb.224:
	scratch_load_b64 v[82:83], off, off offset:112
	v_mov_b64_e32 v[84:85], 0
	scratch_store_b64 off, v[84:85], off offset:112
	s_wait_loadcnt 0x0
	ds_store_b64 v1, v[82:83]
.LBB103_225:
	s_wait_xcnt 0x0
	s_or_b32 exec_lo, exec_lo, s0
	s_wait_storecnt_dscnt 0x0
	s_barrier_signal -1
	s_barrier_wait -1
	s_clause 0xd
	scratch_load_b128 v[82:85], off, off offset:120
	scratch_load_b128 v[86:89], off, off offset:136
	;; [unrolled: 1-line block ×12, first 2 shown]
	scratch_load_b64 v[178:179], off, off offset:312
	scratch_load_b64 v[180:181], off, off offset:112
	v_mov_b32_e32 v7, 0
	ds_load_2addr_b64 v[130:133], v7 offset0:71 offset1:72
	ds_load_2addr_b64 v[134:137], v7 offset0:73 offset1:74
	;; [unrolled: 1-line block ×12, first 2 shown]
	ds_load_b64 v[182:183], v7 offset:632
	s_mov_b32 s0, exec_lo
	s_wait_dscnt 0xc
	v_dual_mov_b32 v184, v133 :: v_dual_mov_b32 v185, v132
	s_wait_dscnt 0x9
	v_dual_mov_b32 v186, v137 :: v_dual_mov_b32 v191, v144
	v_dual_mov_b32 v187, v136 :: v_dual_mov_b32 v188, v141
	;; [unrolled: 1-line block ×3, first 2 shown]
	s_wait_loadcnt_dscnt 0xd08
	v_dual_mul_f32 v9, v146, v83 :: v_dual_mul_f32 v39, v147, v83
	v_dual_mul_f32 v41, v149, v85 :: v_dual_mul_f32 v11, v148, v85
	s_wait_loadcnt_dscnt 0xc07
	v_mul_f32_e32 v13, v150, v87
	s_wait_loadcnt_dscnt 0xa05
	v_dual_mul_f32 v51, v159, v95 :: v_dual_fma_f32 v39, v146, v82, -v39
	v_dual_fmac_f32 v9, v147, v82 :: v_dual_mul_f32 v53, v161, v97
	v_dual_mul_f32 v43, v151, v87 :: v_dual_mul_f32 v45, v153, v89
	v_dual_fmac_f32 v11, v149, v84 :: v_dual_fma_f32 v41, v148, v84, -v41
	s_delay_alu instid0(VALU_DEP_3) | instskip(SKIP_3) | instid1(VALU_DEP_3)
	v_dual_add_f32 v9, 0, v9 :: v_dual_add_f32 v39, 0, v39
	v_dual_mul_f32 v15, v152, v89 :: v_dual_mul_f32 v17, v154, v91
	s_wait_loadcnt_dscnt 0x904
	v_dual_mul_f32 v55, v163, v99 :: v_dual_fma_f32 v43, v150, v86, -v43
	v_dual_fmac_f32 v13, v151, v86 :: v_dual_add_f32 v9, v9, v11
	s_delay_alu instid0(VALU_DEP_3) | instskip(SKIP_2) | instid1(VALU_DEP_3)
	v_dual_add_f32 v11, v39, v41 :: v_dual_fmac_f32 v15, v153, v88
	v_dual_mul_f32 v47, v155, v91 :: v_dual_mul_f32 v49, v157, v93
	v_dual_mul_f32 v39, v165, v101 :: v_dual_fma_f32 v41, v152, v88, -v45
	v_dual_add_f32 v9, v9, v13 :: v_dual_add_f32 v11, v11, v43
	v_dual_mul_f32 v19, v156, v93 :: v_dual_mul_f32 v21, v158, v95
	s_wait_loadcnt_dscnt 0x803
	v_dual_mul_f32 v13, v167, v103 :: v_dual_fma_f32 v43, v154, v90, -v47
	s_delay_alu instid0(VALU_DEP_3) | instskip(NEXT) | instid1(VALU_DEP_3)
	v_dual_fmac_f32 v17, v155, v90 :: v_dual_add_f32 v9, v9, v15
	v_dual_add_f32 v11, v11, v41 :: v_dual_fmac_f32 v19, v157, v92
	v_dual_mul_f32 v15, v169, v105 :: v_dual_fma_f32 v41, v156, v92, -v49
	s_delay_alu instid0(VALU_DEP_2) | instskip(SKIP_3) | instid1(VALU_DEP_3)
	v_dual_add_f32 v9, v9, v17 :: v_dual_add_f32 v11, v11, v43
	v_dual_mul_f32 v23, v160, v97 :: v_dual_mul_f32 v25, v162, v99
	s_wait_loadcnt_dscnt 0x702
	v_dual_mul_f32 v17, v171, v107 :: v_dual_fma_f32 v43, v158, v94, -v51
	v_dual_fmac_f32 v21, v159, v94 :: v_dual_add_f32 v9, v9, v19
	s_delay_alu instid0(VALU_DEP_3) | instskip(SKIP_1) | instid1(VALU_DEP_2)
	v_dual_add_f32 v11, v11, v41 :: v_dual_fmac_f32 v23, v161, v96
	v_dual_mul_f32 v19, v173, v109 :: v_dual_fma_f32 v41, v160, v96, -v53
	v_dual_add_f32 v9, v9, v21 :: v_dual_add_f32 v11, v11, v43
	v_dual_mul_f32 v27, v164, v101 :: v_dual_mul_f32 v29, v166, v103
	s_wait_loadcnt_dscnt 0x601
	v_dual_mul_f32 v21, v175, v111 :: v_dual_fma_f32 v43, v162, v98, -v55
	s_delay_alu instid0(VALU_DEP_3) | instskip(NEXT) | instid1(VALU_DEP_3)
	v_dual_fmac_f32 v25, v163, v98 :: v_dual_add_f32 v9, v9, v23
	v_dual_add_f32 v11, v11, v41 :: v_dual_fmac_f32 v27, v165, v100
	v_dual_mul_f32 v23, v177, v113 :: v_dual_fma_f32 v39, v164, v100, -v39
	s_delay_alu instid0(VALU_DEP_2) | instskip(SKIP_3) | instid1(VALU_DEP_3)
	v_dual_add_f32 v9, v9, v25 :: v_dual_add_f32 v11, v11, v43
	v_dual_mul_f32 v31, v168, v105 :: v_dual_mul_f32 v33, v170, v107
	s_wait_loadcnt 0x5
	v_dual_mul_f32 v25, v131, v115 :: v_dual_fma_f32 v13, v166, v102, -v13
	v_dual_fmac_f32 v29, v167, v102 :: v_dual_add_f32 v9, v9, v27
	v_dual_add_f32 v11, v11, v39 :: v_dual_mov_b32 v82, v117
	v_fmac_f32_e32 v31, v169, v104
	s_delay_alu instid0(VALU_DEP_3) | instskip(NEXT) | instid1(VALU_DEP_3)
	v_dual_fma_f32 v15, v168, v104, -v15 :: v_dual_add_f32 v9, v9, v29
	v_add_f32_e32 v11, v11, v13
	v_dual_mul_f32 v35, v172, v109 :: v_dual_mul_f32 v37, v174, v111
	s_delay_alu instid0(VALU_DEP_3) | instskip(NEXT) | instid1(VALU_DEP_3)
	v_dual_fmac_f32 v33, v171, v106 :: v_dual_add_f32 v9, v9, v31
	v_dual_fma_f32 v13, v170, v106, -v17 :: v_dual_add_f32 v11, v11, v15
	s_wait_loadcnt 0x4
	v_dual_mov_b32 v86, v121 :: v_dual_fma_f32 v15, v172, v108, -v19
	v_fmac_f32_e32 v35, v173, v108
	v_dual_add_f32 v9, v9, v33 :: v_dual_fmac_f32 v37, v175, v110
	v_add_f32_e32 v11, v11, v13
	v_dual_mul_f32 v193, v176, v113 :: v_dual_mul_f32 v195, v130, v115
	s_delay_alu instid0(VALU_DEP_3) | instskip(NEXT) | instid1(VALU_DEP_2)
	v_dual_fma_f32 v13, v174, v110, -v21 :: v_dual_add_f32 v9, v9, v35
	v_dual_add_f32 v11, v11, v15 :: v_dual_fmac_f32 v193, v177, v112
	v_fma_f32 v192, v176, v112, -v23
	v_pk_mul_f32 v[82:83], v[184:185], v[82:83] op_sel_hi:[1,0]
	s_delay_alu instid0(VALU_DEP_4)
	v_add_f32_e32 v91, v9, v37
	s_wait_loadcnt 0x3
	v_dual_add_f32 v90, v11, v13 :: v_dual_mov_b32 v92, v125
	v_pk_mul_f32 v[84:85], v[134:135], v[118:119] op_sel:[1,1] op_sel_hi:[0,1]
	v_dual_fmac_f32 v195, v131, v114 :: v_dual_fma_f32 v194, v130, v114, -v25
	v_pk_fma_f32 v[94:95], v[132:133], v[116:117], v[82:83] op_sel_hi:[1,0,1]
	s_delay_alu instid0(VALU_DEP_4)
	v_pk_add_f32 v[90:91], v[90:91], v[192:193]
	v_pk_fma_f32 v[82:83], v[132:133], v[116:117], v[82:83] neg_lo:[0,0,1] neg_hi:[0,0,1]
	v_pk_fma_f32 v[96:97], v[134:135], v[118:119], v[84:85] op_sel_hi:[1,0,1]
	v_pk_mul_f32 v[86:87], v[186:187], v[86:87] op_sel_hi:[1,0]
	v_mov_b32_e32 v83, v95
	v_pk_add_f32 v[90:91], v[90:91], v[194:195]
	v_pk_fma_f32 v[84:85], v[134:135], v[118:119], v[84:85] neg_lo:[0,0,1] neg_hi:[0,0,1]
	v_pk_mul_f32 v[88:89], v[138:139], v[122:123] op_sel:[1,1] op_sel_hi:[0,1]
	v_mov_b32_e32 v85, v97
	v_pk_fma_f32 v[96:97], v[136:137], v[120:121], v[86:87] op_sel_hi:[1,0,1]
	v_pk_add_f32 v[82:83], v[90:91], v[82:83]
	v_pk_fma_f32 v[86:87], v[136:137], v[120:121], v[86:87] neg_lo:[0,0,1] neg_hi:[0,0,1]
	v_pk_fma_f32 v[90:91], v[138:139], v[122:123], v[88:89] op_sel_hi:[1,0,1]
	v_pk_mul_f32 v[92:93], v[188:189], v[92:93] op_sel_hi:[1,0]
	v_mov_b32_e32 v87, v97
	v_pk_add_f32 v[82:83], v[82:83], v[84:85]
	v_pk_fma_f32 v[88:89], v[138:139], v[122:123], v[88:89] neg_lo:[0,0,1] neg_hi:[0,0,1]
	s_wait_loadcnt 0x2
	v_pk_mul_f32 v[94:95], v[142:143], v[126:127] op_sel:[1,1] op_sel_hi:[0,1]
	v_dual_mov_b32 v84, v129 :: v_dual_mov_b32 v89, v91
	v_pk_fma_f32 v[90:91], v[140:141], v[124:125], v[92:93] op_sel_hi:[1,0,1]
	v_pk_add_f32 v[82:83], v[82:83], v[86:87]
	v_pk_fma_f32 v[92:93], v[140:141], v[124:125], v[92:93] neg_lo:[0,0,1] neg_hi:[0,0,1]
	v_pk_fma_f32 v[86:87], v[142:143], v[126:127], v[94:95] op_sel_hi:[1,0,1]
	v_pk_mul_f32 v[84:85], v[190:191], v[84:85] op_sel_hi:[1,0]
	v_mov_b32_e32 v93, v91
	v_pk_add_f32 v[82:83], v[82:83], v[88:89]
	v_pk_fma_f32 v[88:89], v[142:143], v[126:127], v[94:95] neg_lo:[0,0,1] neg_hi:[0,0,1]
	v_mov_b32_e32 v89, v87
	v_pk_fma_f32 v[86:87], v[144:145], v[128:129], v[84:85] op_sel_hi:[1,0,1]
	s_wait_loadcnt_dscnt 0x100
	v_pk_mul_f32 v[90:91], v[182:183], v[178:179] op_sel:[1,1] op_sel_hi:[0,1]
	v_pk_add_f32 v[82:83], v[82:83], v[92:93]
	v_pk_fma_f32 v[84:85], v[144:145], v[128:129], v[84:85] neg_lo:[0,0,1] neg_hi:[0,0,1]
	v_mov_b32_e32 v85, v87
	s_delay_alu instid0(VALU_DEP_4) | instskip(NEXT) | instid1(VALU_DEP_4)
	v_pk_fma_f32 v[86:87], v[182:183], v[178:179], v[90:91] op_sel_hi:[1,0,1]
	v_pk_add_f32 v[82:83], v[82:83], v[88:89]
	v_pk_fma_f32 v[88:89], v[182:183], v[178:179], v[90:91] neg_lo:[0,0,1] neg_hi:[0,0,1]
	s_delay_alu instid0(VALU_DEP_3) | instskip(NEXT) | instid1(VALU_DEP_3)
	v_mov_b32_e32 v89, v87
	v_pk_add_f32 v[82:83], v[82:83], v[84:85]
	s_delay_alu instid0(VALU_DEP_1) | instskip(SKIP_1) | instid1(VALU_DEP_1)
	v_pk_add_f32 v[82:83], v[82:83], v[88:89]
	s_wait_loadcnt 0x0
	v_pk_add_f32 v[82:83], v[180:181], v[82:83] neg_lo:[0,1] neg_hi:[0,1]
	scratch_store_b64 off, v[82:83], off offset:112
	s_wait_xcnt 0x0
	v_cmpx_lt_u32_e32 13, v0
	s_cbranch_execz .LBB103_227
; %bb.226:
	scratch_load_b64 v[82:83], off, off offset:104
	v_mov_b64_e32 v[84:85], 0
	scratch_store_b64 off, v[84:85], off offset:104
	s_wait_loadcnt 0x0
	ds_store_b64 v1, v[82:83]
.LBB103_227:
	s_wait_xcnt 0x0
	s_or_b32 exec_lo, exec_lo, s0
	s_wait_storecnt_dscnt 0x0
	s_barrier_signal -1
	s_barrier_wait -1
	s_clause 0xd
	scratch_load_b128 v[82:85], off, off offset:112
	scratch_load_b128 v[86:89], off, off offset:128
	;; [unrolled: 1-line block ×13, first 2 shown]
	scratch_load_b64 v[186:187], off, off offset:104
	ds_load_b128 v[134:137], v7 offset:576
	ds_load_b128 v[138:141], v7 offset:592
	;; [unrolled: 1-line block ×13, first 2 shown]
	s_mov_b32 s0, exec_lo
	s_wait_dscnt 0xc
	v_dual_mov_b32 v188, v137 :: v_dual_mov_b32 v189, v136
	s_wait_dscnt 0xb
	v_dual_mov_b32 v190, v141 :: v_dual_mov_b32 v191, v140
	;; [unrolled: 2-line block ×4, first 2 shown]
	s_wait_loadcnt_dscnt 0xd08
	v_dual_mul_f32 v7, v150, v83 :: v_dual_mul_f32 v9, v152, v85
	v_dual_mul_f32 v39, v151, v83 :: v_dual_mul_f32 v41, v153, v85
	s_wait_loadcnt_dscnt 0xc07
	v_dual_mul_f32 v11, v154, v87 :: v_dual_mul_f32 v13, v156, v89
	s_delay_alu instid0(VALU_DEP_3) | instskip(SKIP_3) | instid1(VALU_DEP_3)
	v_dual_fmac_f32 v7, v151, v82 :: v_dual_fmac_f32 v9, v153, v84
	s_wait_loadcnt_dscnt 0xa05
	v_dual_fma_f32 v39, v150, v82, -v39 :: v_dual_mul_f32 v51, v163, v95
	v_dual_mul_f32 v43, v155, v87 :: v_dual_mul_f32 v45, v157, v89
	v_dual_fma_f32 v41, v152, v84, -v41 :: v_dual_add_f32 v7, 0, v7
	s_delay_alu instid0(VALU_DEP_3) | instskip(SKIP_1) | instid1(VALU_DEP_3)
	v_dual_add_f32 v39, 0, v39 :: v_dual_mul_f32 v53, v165, v97
	v_dual_fmac_f32 v11, v155, v86 :: v_dual_fmac_f32 v13, v157, v88
	v_dual_fma_f32 v43, v154, v86, -v43 :: v_dual_add_f32 v7, v7, v9
	s_delay_alu instid0(VALU_DEP_3) | instskip(SKIP_2) | instid1(VALU_DEP_4)
	v_dual_add_f32 v9, v39, v41 :: v_dual_fma_f32 v41, v156, v88, -v45
	v_dual_mul_f32 v15, v158, v91 :: v_dual_mul_f32 v17, v160, v93
	v_dual_mul_f32 v47, v159, v91 :: v_dual_mul_f32 v49, v161, v93
	v_add_f32_e32 v7, v7, v11
	s_delay_alu instid0(VALU_DEP_3) | instskip(NEXT) | instid1(VALU_DEP_3)
	v_dual_add_f32 v9, v9, v43 :: v_dual_fmac_f32 v15, v159, v90
	v_fma_f32 v43, v158, v90, -v47
	v_dual_mul_f32 v19, v162, v95 :: v_dual_mul_f32 v21, v164, v97
	s_delay_alu instid0(VALU_DEP_4) | instskip(SKIP_2) | instid1(VALU_DEP_2)
	v_dual_add_f32 v7, v7, v13 :: v_dual_fmac_f32 v17, v161, v92
	s_wait_loadcnt_dscnt 0x802
	v_dual_add_f32 v9, v9, v41 :: v_dual_mul_f32 v13, v175, v103
	v_dual_fma_f32 v41, v160, v92, -v49 :: v_dual_add_f32 v7, v7, v15
	v_mul_f32_e32 v15, v177, v105
	s_delay_alu instid0(VALU_DEP_3) | instskip(NEXT) | instid1(VALU_DEP_3)
	v_dual_add_f32 v9, v9, v43 :: v_dual_fmac_f32 v19, v163, v94
	v_dual_fma_f32 v43, v162, v94, -v51 :: v_dual_add_f32 v7, v7, v17
	v_fmac_f32_e32 v21, v165, v96
	s_wait_loadcnt_dscnt 0x701
	s_delay_alu instid0(VALU_DEP_3) | instskip(SKIP_3) | instid1(VALU_DEP_3)
	v_dual_add_f32 v9, v9, v41 :: v_dual_mul_f32 v17, v179, v107
	v_dual_mul_f32 v23, v170, v99 :: v_dual_mul_f32 v25, v172, v101
	v_dual_mul_f32 v39, v171, v99 :: v_dual_mul_f32 v11, v173, v101
	v_dual_fma_f32 v41, v164, v96, -v53 :: v_dual_add_f32 v7, v7, v19
	v_dual_add_f32 v9, v9, v43 :: v_dual_fmac_f32 v23, v171, v98
	s_delay_alu instid0(VALU_DEP_3) | instskip(NEXT) | instid1(VALU_DEP_3)
	v_dual_mul_f32 v19, v181, v109 :: v_dual_fma_f32 v39, v170, v98, -v39
	v_dual_add_f32 v7, v7, v21 :: v_dual_fmac_f32 v25, v173, v100
	s_wait_loadcnt_dscnt 0x600
	s_delay_alu instid0(VALU_DEP_3) | instskip(SKIP_1) | instid1(VALU_DEP_3)
	v_dual_add_f32 v9, v9, v41 :: v_dual_mul_f32 v21, v183, v111
	v_dual_mul_f32 v27, v174, v103 :: v_dual_mul_f32 v29, v176, v105
	v_dual_fma_f32 v11, v172, v100, -v11 :: v_dual_add_f32 v7, v7, v23
	s_delay_alu instid0(VALU_DEP_2) | instskip(SKIP_1) | instid1(VALU_DEP_2)
	v_dual_add_f32 v9, v9, v39 :: v_dual_fmac_f32 v27, v175, v102
	v_dual_mul_f32 v23, v185, v113 :: v_dual_fma_f32 v13, v174, v102, -v13
	v_dual_add_f32 v7, v7, v25 :: v_dual_add_f32 v9, v9, v11
	v_dual_mul_f32 v31, v178, v107 :: v_dual_mul_f32 v33, v180, v109
	s_wait_loadcnt 0x5
	v_dual_mul_f32 v11, v167, v115 :: v_dual_fmac_f32 v29, v177, v104
	s_delay_alu instid0(VALU_DEP_3) | instskip(NEXT) | instid1(VALU_DEP_3)
	v_dual_fma_f32 v15, v176, v104, -v15 :: v_dual_add_f32 v7, v7, v27
	v_dual_add_f32 v9, v9, v13 :: v_dual_fmac_f32 v31, v179, v106
	v_dual_mul_f32 v13, v169, v117 :: v_dual_fma_f32 v17, v178, v106, -v17
	s_delay_alu instid0(VALU_DEP_2) | instskip(SKIP_2) | instid1(VALU_DEP_3)
	v_dual_add_f32 v7, v7, v29 :: v_dual_add_f32 v9, v9, v15
	v_dual_mul_f32 v35, v182, v111 :: v_dual_mul_f32 v37, v184, v113
	v_dual_fmac_f32 v33, v181, v108 :: v_dual_fma_f32 v15, v180, v108, -v19
	v_dual_add_f32 v7, v7, v31 :: v_dual_add_f32 v9, v9, v17
	s_wait_loadcnt 0x4
	s_delay_alu instid0(VALU_DEP_3) | instskip(NEXT) | instid1(VALU_DEP_2)
	v_dual_mov_b32 v84, v121 :: v_dual_fmac_f32 v35, v183, v110
	v_dual_fma_f32 v17, v182, v110, -v21 :: v_dual_add_f32 v7, v7, v33
	s_delay_alu instid0(VALU_DEP_3) | instskip(SKIP_1) | instid1(VALU_DEP_3)
	v_dual_add_f32 v9, v9, v15 :: v_dual_fma_f32 v15, v184, v112, -v23
	v_dual_mul_f32 v197, v166, v115 :: v_dual_mul_f32 v199, v168, v117
	v_dual_fmac_f32 v37, v185, v112 :: v_dual_add_f32 v7, v7, v35
	s_delay_alu instid0(VALU_DEP_2) | instskip(SKIP_3) | instid1(VALU_DEP_3)
	v_dual_add_f32 v9, v9, v17 :: v_dual_fmac_f32 v197, v167, v114
	v_pk_mul_f32 v[82:83], v[134:135], v[118:119] op_sel:[1,1] op_sel_hi:[0,1]
	s_wait_loadcnt 0x3
	v_dual_mov_b32 v88, v125 :: v_dual_fma_f32 v196, v166, v114, -v11
	v_dual_add_f32 v91, v7, v37 :: v_dual_add_f32 v90, v9, v15
	v_dual_fmac_f32 v199, v169, v116 :: v_dual_fma_f32 v198, v168, v116, -v13
	v_pk_fma_f32 v[92:93], v[134:135], v[118:119], v[82:83] op_sel_hi:[1,0,1]
	v_pk_mul_f32 v[84:85], v[188:189], v[84:85] op_sel_hi:[1,0]
	s_delay_alu instid0(VALU_DEP_4)
	v_pk_add_f32 v[90:91], v[90:91], v[196:197]
	v_pk_fma_f32 v[82:83], v[134:135], v[118:119], v[82:83] neg_lo:[0,0,1] neg_hi:[0,0,1]
	v_pk_mul_f32 v[86:87], v[138:139], v[122:123] op_sel:[1,1] op_sel_hi:[0,1]
	v_mov_b32_e32 v83, v93
	v_pk_fma_f32 v[92:93], v[136:137], v[120:121], v[84:85] op_sel_hi:[1,0,1]
	v_pk_add_f32 v[90:91], v[90:91], v[198:199]
	v_pk_fma_f32 v[84:85], v[136:137], v[120:121], v[84:85] neg_lo:[0,0,1] neg_hi:[0,0,1]
	v_pk_fma_f32 v[96:97], v[138:139], v[122:123], v[86:87] op_sel_hi:[1,0,1]
	v_pk_mul_f32 v[88:89], v[190:191], v[88:89] op_sel_hi:[1,0]
	v_mov_b32_e32 v85, v93
	v_pk_add_f32 v[82:83], v[90:91], v[82:83]
	s_wait_loadcnt 0x2
	v_pk_mul_f32 v[94:95], v[142:143], v[126:127] op_sel:[1,1] op_sel_hi:[0,1]
	v_mov_b32_e32 v90, v129
	v_pk_fma_f32 v[86:87], v[138:139], v[122:123], v[86:87] neg_lo:[0,0,1] neg_hi:[0,0,1]
	v_mov_b32_e32 v87, v97
	v_pk_fma_f32 v[92:93], v[140:141], v[124:125], v[88:89] op_sel_hi:[1,0,1]
	v_pk_add_f32 v[82:83], v[82:83], v[84:85]
	v_pk_fma_f32 v[84:85], v[142:143], v[126:127], v[94:95] op_sel_hi:[1,0,1]
	v_pk_mul_f32 v[90:91], v[192:193], v[90:91] op_sel_hi:[1,0]
	v_pk_fma_f32 v[88:89], v[140:141], v[124:125], v[88:89] neg_lo:[0,0,1] neg_hi:[0,0,1]
	v_mov_b32_e32 v89, v93
	v_pk_add_f32 v[82:83], v[82:83], v[86:87]
	v_pk_fma_f32 v[92:93], v[142:143], v[126:127], v[94:95] neg_lo:[0,0,1] neg_hi:[0,0,1]
	v_mov_b32_e32 v93, v85
	v_pk_fma_f32 v[84:85], v[144:145], v[128:129], v[90:91] op_sel_hi:[1,0,1]
	s_wait_loadcnt 0x1
	v_pk_mul_f32 v[86:87], v[146:147], v[130:131] op_sel:[1,1] op_sel_hi:[0,1]
	v_pk_add_f32 v[82:83], v[82:83], v[88:89]
	v_mov_b32_e32 v84, v133
	v_pk_fma_f32 v[90:91], v[144:145], v[128:129], v[90:91] neg_lo:[0,0,1] neg_hi:[0,0,1]
	v_mov_b32_e32 v91, v85
	v_pk_fma_f32 v[88:89], v[146:147], v[130:131], v[86:87] op_sel_hi:[1,0,1]
	v_pk_add_f32 v[82:83], v[82:83], v[92:93]
	v_pk_mul_f32 v[84:85], v[194:195], v[84:85] op_sel_hi:[1,0]
	v_pk_fma_f32 v[86:87], v[146:147], v[130:131], v[86:87] neg_lo:[0,0,1] neg_hi:[0,0,1]
	s_delay_alu instid0(VALU_DEP_4) | instskip(NEXT) | instid1(VALU_DEP_4)
	v_mov_b32_e32 v87, v89
	v_pk_add_f32 v[82:83], v[82:83], v[90:91]
	s_delay_alu instid0(VALU_DEP_4) | instskip(SKIP_1) | instid1(VALU_DEP_2)
	v_pk_fma_f32 v[88:89], v[148:149], v[132:133], v[84:85] op_sel_hi:[1,0,1]
	v_pk_fma_f32 v[84:85], v[148:149], v[132:133], v[84:85] neg_lo:[0,0,1] neg_hi:[0,0,1]
	v_mov_b32_e32 v85, v89
	s_delay_alu instid0(VALU_DEP_4) | instskip(NEXT) | instid1(VALU_DEP_1)
	v_pk_add_f32 v[82:83], v[82:83], v[86:87]
	v_pk_add_f32 v[82:83], v[82:83], v[84:85]
	s_wait_loadcnt 0x0
	s_delay_alu instid0(VALU_DEP_1)
	v_pk_add_f32 v[82:83], v[186:187], v[82:83] neg_lo:[0,1] neg_hi:[0,1]
	scratch_store_b64 off, v[82:83], off offset:104
	s_wait_xcnt 0x0
	v_cmpx_lt_u32_e32 12, v0
	s_cbranch_execz .LBB103_229
; %bb.228:
	scratch_load_b64 v[82:83], off, off offset:96
	v_mov_b64_e32 v[84:85], 0
	scratch_store_b64 off, v[84:85], off offset:96
	s_wait_loadcnt 0x0
	ds_store_b64 v1, v[82:83]
.LBB103_229:
	s_wait_xcnt 0x0
	s_or_b32 exec_lo, exec_lo, s0
	s_wait_storecnt_dscnt 0x0
	s_barrier_signal -1
	s_barrier_wait -1
	s_clause 0xe
	scratch_load_b128 v[82:85], off, off offset:104
	scratch_load_b128 v[86:89], off, off offset:120
	;; [unrolled: 1-line block ×13, first 2 shown]
	scratch_load_b64 v[186:187], off, off offset:312
	scratch_load_b64 v[188:189], off, off offset:96
	v_mov_b32_e32 v7, 0
	ds_load_2addr_b64 v[134:137], v7 offset0:71 offset1:72
	ds_load_2addr_b64 v[138:141], v7 offset0:73 offset1:74
	ds_load_2addr_b64 v[142:145], v7 offset0:75 offset1:76
	ds_load_2addr_b64 v[146:149], v7 offset0:77 offset1:78
	ds_load_2addr_b64 v[150:153], v7 offset0:53 offset1:54
	ds_load_2addr_b64 v[154:157], v7 offset0:55 offset1:56
	ds_load_2addr_b64 v[158:161], v7 offset0:57 offset1:58
	ds_load_2addr_b64 v[162:165], v7 offset0:69 offset1:70
	ds_load_2addr_b64 v[166:169], v7 offset0:59 offset1:60
	ds_load_2addr_b64 v[170:173], v7 offset0:61 offset1:62
	ds_load_2addr_b64 v[174:177], v7 offset0:63 offset1:64
	ds_load_2addr_b64 v[178:181], v7 offset0:65 offset1:66
	ds_load_2addr_b64 v[182:185], v7 offset0:67 offset1:68
	ds_load_b64 v[190:191], v7 offset:632
	s_mov_b32 s0, exec_lo
	s_wait_dscnt 0xd
	v_dual_mov_b32 v192, v137 :: v_dual_mov_b32 v193, v136
	s_wait_dscnt 0xa
	v_dual_mov_b32 v194, v141 :: v_dual_mov_b32 v199, v148
	v_dual_mov_b32 v195, v140 :: v_dual_mov_b32 v196, v145
	;; [unrolled: 1-line block ×3, first 2 shown]
	s_wait_loadcnt_dscnt 0xe09
	v_dual_mul_f32 v9, v150, v83 :: v_dual_mul_f32 v43, v151, v83
	v_dual_mul_f32 v45, v153, v85 :: v_dual_mul_f32 v11, v152, v85
	s_wait_loadcnt_dscnt 0xd08
	v_mul_f32_e32 v13, v154, v87
	s_wait_loadcnt_dscnt 0xb05
	v_dual_mul_f32 v55, v167, v95 :: v_dual_fma_f32 v43, v150, v82, -v43
	v_dual_fmac_f32 v9, v151, v82 :: v_dual_mul_f32 v57, v169, v97
	v_dual_mul_f32 v47, v155, v87 :: v_dual_mul_f32 v49, v157, v89
	v_dual_fmac_f32 v11, v153, v84 :: v_dual_fma_f32 v45, v152, v84, -v45
	s_delay_alu instid0(VALU_DEP_3) | instskip(SKIP_3) | instid1(VALU_DEP_3)
	v_dual_add_f32 v9, 0, v9 :: v_dual_add_f32 v43, 0, v43
	v_dual_mul_f32 v15, v156, v89 :: v_dual_mul_f32 v17, v158, v91
	s_wait_loadcnt_dscnt 0xa04
	v_dual_mul_f32 v59, v171, v99 :: v_dual_fma_f32 v47, v154, v86, -v47
	v_dual_fmac_f32 v13, v155, v86 :: v_dual_add_f32 v9, v9, v11
	s_delay_alu instid0(VALU_DEP_3) | instskip(SKIP_2) | instid1(VALU_DEP_3)
	v_dual_add_f32 v11, v43, v45 :: v_dual_fmac_f32 v15, v157, v88
	v_dual_mul_f32 v51, v159, v91 :: v_dual_mul_f32 v53, v161, v93
	v_dual_mul_f32 v43, v173, v101 :: v_dual_fma_f32 v45, v156, v88, -v49
	v_dual_add_f32 v9, v9, v13 :: v_dual_add_f32 v11, v11, v47
	v_dual_mul_f32 v19, v160, v93 :: v_dual_mul_f32 v21, v166, v95
	s_wait_loadcnt_dscnt 0x903
	v_dual_mul_f32 v13, v175, v103 :: v_dual_fma_f32 v47, v158, v90, -v51
	s_delay_alu instid0(VALU_DEP_3) | instskip(NEXT) | instid1(VALU_DEP_3)
	v_dual_fmac_f32 v17, v159, v90 :: v_dual_add_f32 v9, v9, v15
	v_dual_add_f32 v11, v11, v45 :: v_dual_fmac_f32 v19, v161, v92
	v_dual_mul_f32 v15, v177, v105 :: v_dual_fma_f32 v45, v160, v92, -v53
	s_delay_alu instid0(VALU_DEP_2) | instskip(SKIP_3) | instid1(VALU_DEP_3)
	v_dual_add_f32 v9, v9, v17 :: v_dual_add_f32 v11, v11, v47
	v_dual_mul_f32 v23, v168, v97 :: v_dual_mul_f32 v25, v170, v99
	s_wait_loadcnt_dscnt 0x802
	v_dual_mul_f32 v17, v179, v107 :: v_dual_fma_f32 v47, v166, v94, -v55
	v_dual_fmac_f32 v21, v167, v94 :: v_dual_add_f32 v9, v9, v19
	s_delay_alu instid0(VALU_DEP_3) | instskip(SKIP_1) | instid1(VALU_DEP_2)
	v_dual_add_f32 v11, v11, v45 :: v_dual_fmac_f32 v23, v169, v96
	v_dual_mul_f32 v19, v181, v109 :: v_dual_fma_f32 v45, v168, v96, -v57
	v_dual_add_f32 v9, v9, v21 :: v_dual_add_f32 v11, v11, v47
	v_dual_mul_f32 v27, v172, v101 :: v_dual_mul_f32 v29, v174, v103
	s_wait_loadcnt_dscnt 0x701
	v_dual_mul_f32 v21, v183, v111 :: v_dual_fma_f32 v47, v170, v98, -v59
	s_delay_alu instid0(VALU_DEP_3) | instskip(NEXT) | instid1(VALU_DEP_3)
	v_dual_fmac_f32 v25, v171, v98 :: v_dual_add_f32 v9, v9, v23
	v_dual_add_f32 v11, v11, v45 :: v_dual_fmac_f32 v27, v173, v100
	v_dual_mul_f32 v23, v185, v113 :: v_dual_fma_f32 v43, v172, v100, -v43
	s_delay_alu instid0(VALU_DEP_2) | instskip(SKIP_3) | instid1(VALU_DEP_3)
	v_dual_add_f32 v9, v9, v25 :: v_dual_add_f32 v11, v11, v47
	v_dual_mul_f32 v31, v176, v105 :: v_dual_mul_f32 v33, v178, v107
	s_wait_loadcnt 0x6
	v_dual_mul_f32 v25, v163, v115 :: v_dual_fma_f32 v13, v174, v102, -v13
	v_dual_fmac_f32 v29, v175, v102 :: v_dual_add_f32 v9, v9, v27
	v_dual_add_f32 v11, v11, v43 :: v_dual_mul_f32 v27, v165, v117
	v_fmac_f32_e32 v31, v177, v104
	s_delay_alu instid0(VALU_DEP_3) | instskip(NEXT) | instid1(VALU_DEP_3)
	v_dual_fma_f32 v15, v176, v104, -v15 :: v_dual_add_f32 v9, v9, v29
	v_add_f32_e32 v11, v11, v13
	v_dual_mul_f32 v35, v180, v109 :: v_dual_mul_f32 v37, v182, v111
	s_wait_loadcnt 0x5
	v_dual_mul_f32 v13, v135, v119 :: v_dual_fma_f32 v17, v178, v106, -v17
	v_dual_fmac_f32 v33, v179, v106 :: v_dual_add_f32 v9, v9, v31
	v_dual_add_f32 v11, v11, v15 :: v_dual_mov_b32 v82, v121
	v_fmac_f32_e32 v35, v181, v108
	s_delay_alu instid0(VALU_DEP_3) | instskip(NEXT) | instid1(VALU_DEP_3)
	v_dual_fma_f32 v15, v180, v108, -v19 :: v_dual_add_f32 v9, v9, v33
	v_add_f32_e32 v11, v11, v17
	v_dual_mul_f32 v39, v184, v113 :: v_dual_mul_f32 v41, v162, v115
	s_delay_alu instid0(VALU_DEP_3) | instskip(NEXT) | instid1(VALU_DEP_3)
	v_dual_fmac_f32 v37, v183, v110 :: v_dual_add_f32 v9, v9, v35
	v_dual_fma_f32 v17, v182, v110, -v21 :: v_dual_add_f32 v11, v11, v15
	s_wait_loadcnt 0x4
	v_dual_mov_b32 v86, v125 :: v_dual_fma_f32 v15, v184, v112, -v23
	v_fmac_f32_e32 v39, v185, v112
	v_dual_add_f32 v9, v9, v37 :: v_dual_fmac_f32 v41, v163, v114
	v_add_f32_e32 v11, v11, v17
	v_dual_mul_f32 v201, v164, v117 :: v_dual_mul_f32 v203, v134, v119
	s_delay_alu instid0(VALU_DEP_3) | instskip(NEXT) | instid1(VALU_DEP_2)
	v_dual_fma_f32 v17, v162, v114, -v25 :: v_dual_add_f32 v9, v9, v39
	v_dual_add_f32 v11, v11, v15 :: v_dual_fmac_f32 v201, v165, v116
	v_fma_f32 v200, v164, v116, -v27
	v_pk_mul_f32 v[82:83], v[192:193], v[82:83] op_sel_hi:[1,0]
	s_delay_alu instid0(VALU_DEP_4)
	v_add_f32_e32 v91, v9, v41
	s_wait_loadcnt 0x3
	v_dual_add_f32 v90, v11, v17 :: v_dual_mov_b32 v92, v129
	v_pk_mul_f32 v[84:85], v[138:139], v[122:123] op_sel:[1,1] op_sel_hi:[0,1]
	v_dual_fmac_f32 v203, v135, v118 :: v_dual_fma_f32 v202, v134, v118, -v13
	v_pk_fma_f32 v[94:95], v[136:137], v[120:121], v[82:83] op_sel_hi:[1,0,1]
	s_delay_alu instid0(VALU_DEP_4)
	v_pk_add_f32 v[90:91], v[90:91], v[200:201]
	v_pk_fma_f32 v[82:83], v[136:137], v[120:121], v[82:83] neg_lo:[0,0,1] neg_hi:[0,0,1]
	v_pk_fma_f32 v[96:97], v[138:139], v[122:123], v[84:85] op_sel_hi:[1,0,1]
	v_pk_mul_f32 v[86:87], v[194:195], v[86:87] op_sel_hi:[1,0]
	v_mov_b32_e32 v83, v95
	v_pk_add_f32 v[90:91], v[90:91], v[202:203]
	v_pk_fma_f32 v[84:85], v[138:139], v[122:123], v[84:85] neg_lo:[0,0,1] neg_hi:[0,0,1]
	v_pk_mul_f32 v[88:89], v[142:143], v[126:127] op_sel:[1,1] op_sel_hi:[0,1]
	v_mov_b32_e32 v85, v97
	v_pk_fma_f32 v[96:97], v[140:141], v[124:125], v[86:87] op_sel_hi:[1,0,1]
	v_pk_add_f32 v[82:83], v[90:91], v[82:83]
	v_pk_fma_f32 v[86:87], v[140:141], v[124:125], v[86:87] neg_lo:[0,0,1] neg_hi:[0,0,1]
	v_pk_fma_f32 v[90:91], v[142:143], v[126:127], v[88:89] op_sel_hi:[1,0,1]
	v_pk_mul_f32 v[92:93], v[196:197], v[92:93] op_sel_hi:[1,0]
	v_mov_b32_e32 v87, v97
	v_pk_add_f32 v[82:83], v[82:83], v[84:85]
	v_pk_fma_f32 v[88:89], v[142:143], v[126:127], v[88:89] neg_lo:[0,0,1] neg_hi:[0,0,1]
	s_wait_loadcnt 0x2
	v_pk_mul_f32 v[94:95], v[146:147], v[130:131] op_sel:[1,1] op_sel_hi:[0,1]
	v_dual_mov_b32 v84, v133 :: v_dual_mov_b32 v89, v91
	v_pk_fma_f32 v[90:91], v[144:145], v[128:129], v[92:93] op_sel_hi:[1,0,1]
	v_pk_add_f32 v[82:83], v[82:83], v[86:87]
	v_pk_fma_f32 v[92:93], v[144:145], v[128:129], v[92:93] neg_lo:[0,0,1] neg_hi:[0,0,1]
	v_pk_fma_f32 v[86:87], v[146:147], v[130:131], v[94:95] op_sel_hi:[1,0,1]
	v_pk_mul_f32 v[84:85], v[198:199], v[84:85] op_sel_hi:[1,0]
	v_mov_b32_e32 v93, v91
	v_pk_add_f32 v[82:83], v[82:83], v[88:89]
	v_pk_fma_f32 v[88:89], v[146:147], v[130:131], v[94:95] neg_lo:[0,0,1] neg_hi:[0,0,1]
	v_mov_b32_e32 v89, v87
	v_pk_fma_f32 v[86:87], v[148:149], v[132:133], v[84:85] op_sel_hi:[1,0,1]
	s_wait_loadcnt_dscnt 0x100
	v_pk_mul_f32 v[90:91], v[190:191], v[186:187] op_sel:[1,1] op_sel_hi:[0,1]
	v_pk_add_f32 v[82:83], v[82:83], v[92:93]
	v_pk_fma_f32 v[84:85], v[148:149], v[132:133], v[84:85] neg_lo:[0,0,1] neg_hi:[0,0,1]
	v_mov_b32_e32 v85, v87
	s_delay_alu instid0(VALU_DEP_4) | instskip(NEXT) | instid1(VALU_DEP_4)
	v_pk_fma_f32 v[86:87], v[190:191], v[186:187], v[90:91] op_sel_hi:[1,0,1]
	v_pk_add_f32 v[82:83], v[82:83], v[88:89]
	v_pk_fma_f32 v[88:89], v[190:191], v[186:187], v[90:91] neg_lo:[0,0,1] neg_hi:[0,0,1]
	s_delay_alu instid0(VALU_DEP_3) | instskip(NEXT) | instid1(VALU_DEP_3)
	v_mov_b32_e32 v89, v87
	v_pk_add_f32 v[82:83], v[82:83], v[84:85]
	s_delay_alu instid0(VALU_DEP_1) | instskip(SKIP_1) | instid1(VALU_DEP_1)
	v_pk_add_f32 v[82:83], v[82:83], v[88:89]
	s_wait_loadcnt 0x0
	v_pk_add_f32 v[82:83], v[188:189], v[82:83] neg_lo:[0,1] neg_hi:[0,1]
	scratch_store_b64 off, v[82:83], off offset:96
	s_wait_xcnt 0x0
	v_cmpx_lt_u32_e32 11, v0
	s_cbranch_execz .LBB103_231
; %bb.230:
	scratch_load_b64 v[82:83], off, off offset:88
	v_mov_b64_e32 v[84:85], 0
	scratch_store_b64 off, v[84:85], off offset:88
	s_wait_loadcnt 0x0
	ds_store_b64 v1, v[82:83]
.LBB103_231:
	s_wait_xcnt 0x0
	s_or_b32 exec_lo, exec_lo, s0
	s_wait_storecnt_dscnt 0x0
	s_barrier_signal -1
	s_barrier_wait -1
	s_clause 0xe
	scratch_load_b128 v[82:85], off, off offset:96
	scratch_load_b128 v[86:89], off, off offset:112
	scratch_load_b128 v[90:93], off, off offset:128
	scratch_load_b128 v[94:97], off, off offset:144
	scratch_load_b128 v[98:101], off, off offset:160
	scratch_load_b128 v[102:105], off, off offset:176
	scratch_load_b128 v[106:109], off, off offset:192
	scratch_load_b128 v[110:113], off, off offset:208
	scratch_load_b128 v[114:117], off, off offset:224
	scratch_load_b128 v[118:121], off, off offset:240
	scratch_load_b128 v[122:125], off, off offset:256
	scratch_load_b128 v[126:129], off, off offset:272
	scratch_load_b128 v[130:133], off, off offset:288
	scratch_load_b128 v[134:137], off, off offset:304
	scratch_load_b64 v[194:195], off, off offset:88
	ds_load_b128 v[138:141], v7 offset:576
	ds_load_b128 v[142:145], v7 offset:592
	;; [unrolled: 1-line block ×14, first 2 shown]
	s_mov_b32 s0, exec_lo
	s_wait_dscnt 0xd
	v_dual_mov_b32 v196, v141 :: v_dual_mov_b32 v197, v140
	s_wait_dscnt 0xc
	v_dual_mov_b32 v198, v145 :: v_dual_mov_b32 v199, v144
	;; [unrolled: 2-line block ×4, first 2 shown]
	s_wait_loadcnt_dscnt 0xe09
	v_dual_mul_f32 v7, v154, v83 :: v_dual_mul_f32 v9, v156, v85
	v_dual_mul_f32 v43, v155, v83 :: v_dual_mul_f32 v45, v157, v85
	s_wait_loadcnt_dscnt 0xd08
	v_dual_mul_f32 v11, v158, v87 :: v_dual_mul_f32 v13, v160, v89
	s_delay_alu instid0(VALU_DEP_3) | instskip(SKIP_3) | instid1(VALU_DEP_3)
	v_dual_fmac_f32 v7, v155, v82 :: v_dual_fmac_f32 v9, v157, v84
	s_wait_loadcnt_dscnt 0xb06
	v_dual_fma_f32 v43, v154, v82, -v43 :: v_dual_mul_f32 v55, v167, v95
	v_dual_mul_f32 v47, v159, v87 :: v_dual_mul_f32 v49, v161, v89
	v_dual_fma_f32 v45, v156, v84, -v45 :: v_dual_add_f32 v7, 0, v7
	s_delay_alu instid0(VALU_DEP_3) | instskip(SKIP_1) | instid1(VALU_DEP_3)
	v_dual_add_f32 v43, 0, v43 :: v_dual_mul_f32 v57, v169, v97
	v_dual_fmac_f32 v11, v159, v86 :: v_dual_fmac_f32 v13, v161, v88
	v_dual_fma_f32 v47, v158, v86, -v47 :: v_dual_add_f32 v7, v7, v9
	s_delay_alu instid0(VALU_DEP_3) | instskip(SKIP_2) | instid1(VALU_DEP_4)
	v_dual_add_f32 v9, v43, v45 :: v_dual_fma_f32 v45, v160, v88, -v49
	v_dual_mul_f32 v15, v162, v91 :: v_dual_mul_f32 v17, v164, v93
	v_dual_mul_f32 v51, v163, v91 :: v_dual_mul_f32 v53, v165, v93
	v_add_f32_e32 v7, v7, v11
	s_delay_alu instid0(VALU_DEP_3) | instskip(NEXT) | instid1(VALU_DEP_3)
	v_dual_add_f32 v9, v9, v47 :: v_dual_fmac_f32 v15, v163, v90
	v_fma_f32 v47, v162, v90, -v51
	v_dual_mul_f32 v19, v166, v95 :: v_dual_mul_f32 v21, v168, v97
	s_delay_alu instid0(VALU_DEP_4) | instskip(SKIP_2) | instid1(VALU_DEP_2)
	v_dual_add_f32 v7, v7, v13 :: v_dual_fmac_f32 v17, v165, v92
	s_wait_loadcnt_dscnt 0x904
	v_dual_add_f32 v9, v9, v45 :: v_dual_mul_f32 v13, v175, v103
	v_dual_fma_f32 v45, v164, v92, -v53 :: v_dual_add_f32 v7, v7, v15
	v_mul_f32_e32 v15, v177, v105
	s_delay_alu instid0(VALU_DEP_3) | instskip(NEXT) | instid1(VALU_DEP_3)
	v_dual_add_f32 v9, v9, v47 :: v_dual_fmac_f32 v19, v167, v94
	v_dual_fma_f32 v47, v166, v94, -v55 :: v_dual_add_f32 v7, v7, v17
	v_fmac_f32_e32 v21, v169, v96
	s_wait_loadcnt_dscnt 0x803
	s_delay_alu instid0(VALU_DEP_3) | instskip(SKIP_3) | instid1(VALU_DEP_3)
	v_dual_add_f32 v9, v9, v45 :: v_dual_mul_f32 v17, v179, v107
	v_dual_mul_f32 v23, v170, v99 :: v_dual_mul_f32 v25, v172, v101
	v_dual_mul_f32 v43, v171, v99 :: v_dual_mul_f32 v11, v173, v101
	v_dual_fma_f32 v45, v168, v96, -v57 :: v_dual_add_f32 v7, v7, v19
	v_dual_add_f32 v9, v9, v47 :: v_dual_fmac_f32 v23, v171, v98
	s_delay_alu instid0(VALU_DEP_3) | instskip(NEXT) | instid1(VALU_DEP_3)
	v_dual_mul_f32 v19, v181, v109 :: v_dual_fma_f32 v43, v170, v98, -v43
	v_dual_add_f32 v7, v7, v21 :: v_dual_fmac_f32 v25, v173, v100
	s_wait_loadcnt_dscnt 0x702
	s_delay_alu instid0(VALU_DEP_3) | instskip(SKIP_1) | instid1(VALU_DEP_3)
	v_dual_add_f32 v9, v9, v45 :: v_dual_mul_f32 v21, v183, v111
	v_dual_mul_f32 v27, v174, v103 :: v_dual_mul_f32 v29, v176, v105
	v_dual_fma_f32 v11, v172, v100, -v11 :: v_dual_add_f32 v7, v7, v23
	s_delay_alu instid0(VALU_DEP_2) | instskip(SKIP_1) | instid1(VALU_DEP_2)
	v_dual_add_f32 v9, v9, v43 :: v_dual_fmac_f32 v27, v175, v102
	v_dual_mul_f32 v23, v185, v113 :: v_dual_fma_f32 v13, v174, v102, -v13
	v_dual_add_f32 v7, v7, v25 :: v_dual_add_f32 v9, v9, v11
	v_dual_mul_f32 v31, v178, v107 :: v_dual_mul_f32 v33, v180, v109
	s_wait_loadcnt_dscnt 0x601
	v_dual_mul_f32 v11, v187, v115 :: v_dual_fmac_f32 v29, v177, v104
	s_delay_alu instid0(VALU_DEP_3) | instskip(NEXT) | instid1(VALU_DEP_3)
	v_dual_fma_f32 v15, v176, v104, -v15 :: v_dual_add_f32 v7, v7, v27
	v_dual_add_f32 v9, v9, v13 :: v_dual_fmac_f32 v31, v179, v106
	v_dual_mul_f32 v13, v189, v117 :: v_dual_fma_f32 v17, v178, v106, -v17
	s_delay_alu instid0(VALU_DEP_2) | instskip(SKIP_3) | instid1(VALU_DEP_3)
	v_dual_add_f32 v7, v7, v29 :: v_dual_add_f32 v9, v9, v15
	v_dual_mul_f32 v35, v182, v111 :: v_dual_mul_f32 v37, v184, v113
	s_wait_loadcnt_dscnt 0x500
	v_dual_mul_f32 v15, v191, v119 :: v_dual_fmac_f32 v33, v181, v108
	v_dual_fma_f32 v19, v180, v108, -v19 :: v_dual_add_f32 v7, v7, v31
	s_delay_alu instid0(VALU_DEP_3) | instskip(SKIP_1) | instid1(VALU_DEP_2)
	v_dual_add_f32 v9, v9, v17 :: v_dual_fmac_f32 v35, v183, v110
	v_dual_mul_f32 v17, v193, v121 :: v_dual_fma_f32 v21, v182, v110, -v21
	v_dual_add_f32 v7, v7, v33 :: v_dual_add_f32 v9, v9, v19
	v_dual_mul_f32 v39, v186, v115 :: v_dual_mul_f32 v41, v188, v117
	v_dual_fmac_f32 v37, v185, v112 :: v_dual_fma_f32 v19, v184, v112, -v23
	s_delay_alu instid0(VALU_DEP_3) | instskip(SKIP_1) | instid1(VALU_DEP_3)
	v_dual_add_f32 v7, v7, v35 :: v_dual_add_f32 v9, v9, v21
	s_wait_loadcnt 0x4
	v_dual_mov_b32 v84, v125 :: v_dual_fmac_f32 v39, v187, v114
	s_delay_alu instid0(VALU_DEP_2) | instskip(NEXT) | instid1(VALU_DEP_3)
	v_dual_fma_f32 v11, v186, v114, -v11 :: v_dual_add_f32 v7, v7, v37
	v_dual_add_f32 v9, v9, v19 :: v_dual_fma_f32 v13, v188, v116, -v13
	v_dual_mul_f32 v205, v190, v119 :: v_dual_mul_f32 v207, v192, v121
	s_delay_alu instid0(VALU_DEP_3) | instskip(NEXT) | instid1(VALU_DEP_2)
	v_dual_fmac_f32 v41, v189, v116 :: v_dual_add_f32 v7, v7, v39
	v_dual_add_f32 v9, v9, v11 :: v_dual_fmac_f32 v205, v191, v118
	v_pk_mul_f32 v[82:83], v[138:139], v[122:123] op_sel:[1,1] op_sel_hi:[0,1]
	s_wait_loadcnt 0x3
	v_dual_mov_b32 v88, v129 :: v_dual_fma_f32 v204, v190, v118, -v15
	v_dual_add_f32 v91, v7, v41 :: v_dual_fmac_f32 v207, v193, v120
	v_dual_add_f32 v90, v9, v13 :: v_dual_fma_f32 v206, v192, v120, -v17
	v_pk_fma_f32 v[92:93], v[138:139], v[122:123], v[82:83] op_sel_hi:[1,0,1]
	v_pk_mul_f32 v[84:85], v[196:197], v[84:85] op_sel_hi:[1,0]
	v_pk_fma_f32 v[82:83], v[138:139], v[122:123], v[82:83] neg_lo:[0,0,1] neg_hi:[0,0,1]
	s_delay_alu instid0(VALU_DEP_4)
	v_pk_add_f32 v[90:91], v[90:91], v[204:205]
	v_pk_mul_f32 v[86:87], v[142:143], v[126:127] op_sel:[1,1] op_sel_hi:[0,1]
	v_mov_b32_e32 v83, v93
	v_pk_fma_f32 v[92:93], v[140:141], v[124:125], v[84:85] op_sel_hi:[1,0,1]
	v_pk_fma_f32 v[84:85], v[140:141], v[124:125], v[84:85] neg_lo:[0,0,1] neg_hi:[0,0,1]
	v_pk_add_f32 v[90:91], v[90:91], v[206:207]
	v_pk_fma_f32 v[96:97], v[142:143], v[126:127], v[86:87] op_sel_hi:[1,0,1]
	v_pk_mul_f32 v[88:89], v[198:199], v[88:89] op_sel_hi:[1,0]
	v_mov_b32_e32 v85, v93
	s_wait_loadcnt 0x2
	v_pk_mul_f32 v[94:95], v[146:147], v[130:131] op_sel:[1,1] op_sel_hi:[0,1]
	v_pk_add_f32 v[82:83], v[90:91], v[82:83]
	v_mov_b32_e32 v90, v133
	v_pk_fma_f32 v[86:87], v[142:143], v[126:127], v[86:87] neg_lo:[0,0,1] neg_hi:[0,0,1]
	v_mov_b32_e32 v87, v97
	v_pk_fma_f32 v[92:93], v[144:145], v[128:129], v[88:89] op_sel_hi:[1,0,1]
	v_pk_add_f32 v[82:83], v[82:83], v[84:85]
	v_pk_fma_f32 v[84:85], v[146:147], v[130:131], v[94:95] op_sel_hi:[1,0,1]
	v_pk_mul_f32 v[90:91], v[200:201], v[90:91] op_sel_hi:[1,0]
	v_pk_fma_f32 v[88:89], v[144:145], v[128:129], v[88:89] neg_lo:[0,0,1] neg_hi:[0,0,1]
	v_mov_b32_e32 v89, v93
	v_pk_add_f32 v[82:83], v[82:83], v[86:87]
	v_pk_fma_f32 v[92:93], v[146:147], v[130:131], v[94:95] neg_lo:[0,0,1] neg_hi:[0,0,1]
	v_mov_b32_e32 v93, v85
	v_pk_fma_f32 v[84:85], v[148:149], v[132:133], v[90:91] op_sel_hi:[1,0,1]
	s_wait_loadcnt 0x1
	v_pk_mul_f32 v[86:87], v[150:151], v[134:135] op_sel:[1,1] op_sel_hi:[0,1]
	v_pk_add_f32 v[82:83], v[82:83], v[88:89]
	v_mov_b32_e32 v84, v137
	v_pk_fma_f32 v[90:91], v[148:149], v[132:133], v[90:91] neg_lo:[0,0,1] neg_hi:[0,0,1]
	v_mov_b32_e32 v91, v85
	v_pk_fma_f32 v[88:89], v[150:151], v[134:135], v[86:87] op_sel_hi:[1,0,1]
	v_pk_add_f32 v[82:83], v[82:83], v[92:93]
	v_pk_mul_f32 v[84:85], v[202:203], v[84:85] op_sel_hi:[1,0]
	v_pk_fma_f32 v[86:87], v[150:151], v[134:135], v[86:87] neg_lo:[0,0,1] neg_hi:[0,0,1]
	s_delay_alu instid0(VALU_DEP_4) | instskip(NEXT) | instid1(VALU_DEP_4)
	v_mov_b32_e32 v87, v89
	v_pk_add_f32 v[82:83], v[82:83], v[90:91]
	s_delay_alu instid0(VALU_DEP_4) | instskip(SKIP_1) | instid1(VALU_DEP_2)
	v_pk_fma_f32 v[88:89], v[152:153], v[136:137], v[84:85] op_sel_hi:[1,0,1]
	v_pk_fma_f32 v[84:85], v[152:153], v[136:137], v[84:85] neg_lo:[0,0,1] neg_hi:[0,0,1]
	v_mov_b32_e32 v85, v89
	s_delay_alu instid0(VALU_DEP_4) | instskip(NEXT) | instid1(VALU_DEP_1)
	v_pk_add_f32 v[82:83], v[82:83], v[86:87]
	v_pk_add_f32 v[82:83], v[82:83], v[84:85]
	s_wait_loadcnt 0x0
	s_delay_alu instid0(VALU_DEP_1)
	v_pk_add_f32 v[82:83], v[194:195], v[82:83] neg_lo:[0,1] neg_hi:[0,1]
	scratch_store_b64 off, v[82:83], off offset:88
	s_wait_xcnt 0x0
	v_cmpx_lt_u32_e32 10, v0
	s_cbranch_execz .LBB103_233
; %bb.232:
	scratch_load_b64 v[82:83], off, off offset:80
	v_mov_b64_e32 v[84:85], 0
	scratch_store_b64 off, v[84:85], off offset:80
	s_wait_loadcnt 0x0
	ds_store_b64 v1, v[82:83]
.LBB103_233:
	s_wait_xcnt 0x0
	s_or_b32 exec_lo, exec_lo, s0
	s_wait_storecnt_dscnt 0x0
	s_barrier_signal -1
	s_barrier_wait -1
	s_clause 0xf
	scratch_load_b128 v[82:85], off, off offset:88
	scratch_load_b128 v[86:89], off, off offset:104
	;; [unrolled: 1-line block ×14, first 2 shown]
	scratch_load_b64 v[194:195], off, off offset:312
	scratch_load_b64 v[196:197], off, off offset:80
	v_mov_b32_e32 v7, 0
	ds_load_2addr_b64 v[138:141], v7 offset0:71 offset1:72
	ds_load_2addr_b64 v[142:145], v7 offset0:73 offset1:74
	;; [unrolled: 1-line block ×14, first 2 shown]
	ds_load_b64 v[198:199], v7 offset:632
	s_mov_b32 s0, exec_lo
	s_wait_dscnt 0xe
	v_dual_mov_b32 v200, v141 :: v_dual_mov_b32 v201, v140
	s_wait_dscnt 0xb
	v_dual_mov_b32 v202, v145 :: v_dual_mov_b32 v207, v152
	v_dual_mov_b32 v203, v144 :: v_dual_mov_b32 v204, v149
	;; [unrolled: 1-line block ×3, first 2 shown]
	s_wait_loadcnt_dscnt 0xf0a
	v_dual_mul_f32 v9, v154, v83 :: v_dual_mul_f32 v47, v155, v83
	v_dual_mul_f32 v49, v157, v85 :: v_dual_mul_f32 v11, v156, v85
	s_wait_loadcnt_dscnt 0xe09
	v_mul_f32_e32 v13, v158, v87
	s_wait_loadcnt_dscnt 0xc07
	v_dual_mul_f32 v59, v167, v95 :: v_dual_fma_f32 v47, v154, v82, -v47
	v_dual_fmac_f32 v9, v155, v82 :: v_dual_mul_f32 v61, v169, v97
	v_dual_mul_f32 v51, v159, v87 :: v_dual_mul_f32 v53, v161, v89
	v_dual_fmac_f32 v11, v157, v84 :: v_dual_fma_f32 v49, v156, v84, -v49
	s_delay_alu instid0(VALU_DEP_3) | instskip(SKIP_3) | instid1(VALU_DEP_3)
	v_dual_add_f32 v9, 0, v9 :: v_dual_add_f32 v47, 0, v47
	v_dual_mul_f32 v15, v160, v89 :: v_dual_mul_f32 v17, v162, v91
	s_wait_loadcnt_dscnt 0xb06
	v_dual_mul_f32 v63, v171, v99 :: v_dual_fma_f32 v51, v158, v86, -v51
	v_dual_fmac_f32 v13, v159, v86 :: v_dual_add_f32 v9, v9, v11
	s_delay_alu instid0(VALU_DEP_3) | instskip(SKIP_2) | instid1(VALU_DEP_3)
	v_dual_add_f32 v11, v47, v49 :: v_dual_fmac_f32 v15, v161, v88
	v_dual_mul_f32 v55, v163, v91 :: v_dual_mul_f32 v57, v165, v93
	v_dual_mul_f32 v47, v173, v101 :: v_dual_fma_f32 v49, v160, v88, -v53
	v_dual_add_f32 v9, v9, v13 :: v_dual_add_f32 v11, v11, v51
	v_dual_mul_f32 v19, v164, v93 :: v_dual_mul_f32 v21, v166, v95
	s_wait_loadcnt_dscnt 0xa05
	v_dual_mul_f32 v13, v175, v103 :: v_dual_fma_f32 v51, v162, v90, -v55
	s_delay_alu instid0(VALU_DEP_3) | instskip(NEXT) | instid1(VALU_DEP_3)
	v_dual_fmac_f32 v17, v163, v90 :: v_dual_add_f32 v9, v9, v15
	v_dual_add_f32 v11, v11, v49 :: v_dual_fmac_f32 v19, v165, v92
	v_dual_mul_f32 v15, v177, v105 :: v_dual_fma_f32 v49, v164, v92, -v57
	s_delay_alu instid0(VALU_DEP_2) | instskip(SKIP_3) | instid1(VALU_DEP_3)
	v_dual_add_f32 v9, v9, v17 :: v_dual_add_f32 v11, v11, v51
	v_dual_mul_f32 v23, v168, v97 :: v_dual_mul_f32 v25, v170, v99
	s_wait_loadcnt_dscnt 0x904
	v_dual_mul_f32 v17, v179, v107 :: v_dual_fma_f32 v51, v166, v94, -v59
	v_dual_fmac_f32 v21, v167, v94 :: v_dual_add_f32 v9, v9, v19
	s_delay_alu instid0(VALU_DEP_3) | instskip(SKIP_1) | instid1(VALU_DEP_2)
	v_dual_add_f32 v11, v11, v49 :: v_dual_fmac_f32 v23, v169, v96
	v_dual_mul_f32 v19, v181, v109 :: v_dual_fma_f32 v49, v168, v96, -v61
	v_dual_add_f32 v9, v9, v21 :: v_dual_add_f32 v11, v11, v51
	v_dual_mul_f32 v27, v172, v101 :: v_dual_mul_f32 v29, v174, v103
	s_wait_loadcnt_dscnt 0x803
	v_dual_mul_f32 v21, v183, v111 :: v_dual_fma_f32 v51, v170, v98, -v63
	s_delay_alu instid0(VALU_DEP_3) | instskip(NEXT) | instid1(VALU_DEP_3)
	v_dual_fmac_f32 v25, v171, v98 :: v_dual_add_f32 v9, v9, v23
	v_dual_add_f32 v11, v11, v49 :: v_dual_fmac_f32 v27, v173, v100
	v_dual_mul_f32 v23, v185, v113 :: v_dual_fma_f32 v47, v172, v100, -v47
	s_delay_alu instid0(VALU_DEP_2) | instskip(SKIP_3) | instid1(VALU_DEP_3)
	v_dual_add_f32 v9, v9, v25 :: v_dual_add_f32 v11, v11, v51
	v_dual_mul_f32 v31, v176, v105 :: v_dual_mul_f32 v33, v178, v107
	s_wait_loadcnt_dscnt 0x702
	v_dual_mul_f32 v25, v187, v115 :: v_dual_fma_f32 v13, v174, v102, -v13
	v_dual_fmac_f32 v29, v175, v102 :: v_dual_add_f32 v9, v9, v27
	v_dual_add_f32 v11, v11, v47 :: v_dual_mul_f32 v27, v189, v117
	v_fmac_f32_e32 v31, v177, v104
	s_delay_alu instid0(VALU_DEP_3) | instskip(NEXT) | instid1(VALU_DEP_3)
	v_dual_fma_f32 v15, v176, v104, -v15 :: v_dual_add_f32 v9, v9, v29
	v_add_f32_e32 v11, v11, v13
	v_dual_mul_f32 v35, v180, v109 :: v_dual_mul_f32 v37, v182, v111
	s_wait_loadcnt_dscnt 0x601
	v_dual_mul_f32 v13, v191, v119 :: v_dual_fma_f32 v17, v178, v106, -v17
	v_dual_fmac_f32 v33, v179, v106 :: v_dual_add_f32 v9, v9, v31
	v_dual_add_f32 v11, v11, v15 :: v_dual_mul_f32 v15, v193, v121
	v_fmac_f32_e32 v35, v181, v108
	s_delay_alu instid0(VALU_DEP_3) | instskip(NEXT) | instid1(VALU_DEP_3)
	v_dual_fma_f32 v19, v180, v108, -v19 :: v_dual_add_f32 v9, v9, v33
	v_add_f32_e32 v11, v11, v17
	v_dual_mul_f32 v39, v184, v113 :: v_dual_mul_f32 v41, v186, v115
	s_wait_loadcnt 0x5
	v_dual_mul_f32 v17, v139, v123 :: v_dual_fma_f32 v21, v182, v110, -v21
	v_dual_fmac_f32 v37, v183, v110 :: v_dual_add_f32 v9, v9, v35
	v_dual_add_f32 v11, v11, v19 :: v_dual_mov_b32 v82, v125
	v_fmac_f32_e32 v39, v185, v112
	s_delay_alu instid0(VALU_DEP_3) | instskip(NEXT) | instid1(VALU_DEP_3)
	v_dual_fma_f32 v19, v184, v112, -v23 :: v_dual_add_f32 v9, v9, v37
	v_add_f32_e32 v11, v11, v21
	v_dual_mul_f32 v43, v188, v117 :: v_dual_mul_f32 v45, v190, v119
	s_delay_alu instid0(VALU_DEP_3) | instskip(NEXT) | instid1(VALU_DEP_3)
	v_dual_fmac_f32 v41, v187, v114 :: v_dual_add_f32 v9, v9, v39
	v_dual_fma_f32 v21, v186, v114, -v25 :: v_dual_add_f32 v11, v11, v19
	s_wait_loadcnt 0x4
	v_dual_mov_b32 v86, v129 :: v_dual_fma_f32 v19, v188, v116, -v27
	v_fmac_f32_e32 v43, v189, v116
	v_dual_add_f32 v9, v9, v41 :: v_dual_fmac_f32 v45, v191, v118
	v_add_f32_e32 v11, v11, v21
	v_dual_mul_f32 v209, v192, v121 :: v_dual_mul_f32 v211, v138, v123
	s_delay_alu instid0(VALU_DEP_3) | instskip(NEXT) | instid1(VALU_DEP_2)
	v_dual_fma_f32 v13, v190, v118, -v13 :: v_dual_add_f32 v9, v9, v43
	v_dual_add_f32 v11, v11, v19 :: v_dual_fmac_f32 v209, v193, v120
	v_fma_f32 v208, v192, v120, -v15
	v_pk_mul_f32 v[82:83], v[200:201], v[82:83] op_sel_hi:[1,0]
	s_delay_alu instid0(VALU_DEP_4)
	v_add_f32_e32 v91, v9, v45
	s_wait_loadcnt 0x3
	v_dual_add_f32 v90, v11, v13 :: v_dual_mov_b32 v92, v133
	v_pk_mul_f32 v[84:85], v[142:143], v[126:127] op_sel:[1,1] op_sel_hi:[0,1]
	v_dual_fmac_f32 v211, v139, v122 :: v_dual_fma_f32 v210, v138, v122, -v17
	v_pk_fma_f32 v[94:95], v[140:141], v[124:125], v[82:83] op_sel_hi:[1,0,1]
	s_delay_alu instid0(VALU_DEP_4)
	v_pk_add_f32 v[90:91], v[90:91], v[208:209]
	v_pk_fma_f32 v[82:83], v[140:141], v[124:125], v[82:83] neg_lo:[0,0,1] neg_hi:[0,0,1]
	v_pk_fma_f32 v[96:97], v[142:143], v[126:127], v[84:85] op_sel_hi:[1,0,1]
	v_pk_mul_f32 v[86:87], v[202:203], v[86:87] op_sel_hi:[1,0]
	v_mov_b32_e32 v83, v95
	v_pk_add_f32 v[90:91], v[90:91], v[210:211]
	v_pk_fma_f32 v[84:85], v[142:143], v[126:127], v[84:85] neg_lo:[0,0,1] neg_hi:[0,0,1]
	v_pk_mul_f32 v[88:89], v[146:147], v[130:131] op_sel:[1,1] op_sel_hi:[0,1]
	v_mov_b32_e32 v85, v97
	v_pk_fma_f32 v[96:97], v[144:145], v[128:129], v[86:87] op_sel_hi:[1,0,1]
	v_pk_add_f32 v[82:83], v[90:91], v[82:83]
	v_pk_fma_f32 v[86:87], v[144:145], v[128:129], v[86:87] neg_lo:[0,0,1] neg_hi:[0,0,1]
	v_pk_fma_f32 v[90:91], v[146:147], v[130:131], v[88:89] op_sel_hi:[1,0,1]
	v_pk_mul_f32 v[92:93], v[204:205], v[92:93] op_sel_hi:[1,0]
	v_mov_b32_e32 v87, v97
	v_pk_add_f32 v[82:83], v[82:83], v[84:85]
	v_pk_fma_f32 v[88:89], v[146:147], v[130:131], v[88:89] neg_lo:[0,0,1] neg_hi:[0,0,1]
	s_wait_loadcnt 0x2
	v_pk_mul_f32 v[94:95], v[150:151], v[134:135] op_sel:[1,1] op_sel_hi:[0,1]
	v_dual_mov_b32 v84, v137 :: v_dual_mov_b32 v89, v91
	v_pk_fma_f32 v[90:91], v[148:149], v[132:133], v[92:93] op_sel_hi:[1,0,1]
	v_pk_add_f32 v[82:83], v[82:83], v[86:87]
	v_pk_fma_f32 v[92:93], v[148:149], v[132:133], v[92:93] neg_lo:[0,0,1] neg_hi:[0,0,1]
	v_pk_fma_f32 v[86:87], v[150:151], v[134:135], v[94:95] op_sel_hi:[1,0,1]
	v_pk_mul_f32 v[84:85], v[206:207], v[84:85] op_sel_hi:[1,0]
	v_mov_b32_e32 v93, v91
	v_pk_add_f32 v[82:83], v[82:83], v[88:89]
	v_pk_fma_f32 v[88:89], v[150:151], v[134:135], v[94:95] neg_lo:[0,0,1] neg_hi:[0,0,1]
	v_mov_b32_e32 v89, v87
	v_pk_fma_f32 v[86:87], v[152:153], v[136:137], v[84:85] op_sel_hi:[1,0,1]
	s_wait_loadcnt_dscnt 0x100
	v_pk_mul_f32 v[90:91], v[198:199], v[194:195] op_sel:[1,1] op_sel_hi:[0,1]
	v_pk_add_f32 v[82:83], v[82:83], v[92:93]
	v_pk_fma_f32 v[84:85], v[152:153], v[136:137], v[84:85] neg_lo:[0,0,1] neg_hi:[0,0,1]
	v_mov_b32_e32 v85, v87
	s_delay_alu instid0(VALU_DEP_4) | instskip(NEXT) | instid1(VALU_DEP_4)
	v_pk_fma_f32 v[86:87], v[198:199], v[194:195], v[90:91] op_sel_hi:[1,0,1]
	v_pk_add_f32 v[82:83], v[82:83], v[88:89]
	v_pk_fma_f32 v[88:89], v[198:199], v[194:195], v[90:91] neg_lo:[0,0,1] neg_hi:[0,0,1]
	s_delay_alu instid0(VALU_DEP_3) | instskip(NEXT) | instid1(VALU_DEP_3)
	v_mov_b32_e32 v89, v87
	v_pk_add_f32 v[82:83], v[82:83], v[84:85]
	s_delay_alu instid0(VALU_DEP_1) | instskip(SKIP_1) | instid1(VALU_DEP_1)
	v_pk_add_f32 v[82:83], v[82:83], v[88:89]
	s_wait_loadcnt 0x0
	v_pk_add_f32 v[82:83], v[196:197], v[82:83] neg_lo:[0,1] neg_hi:[0,1]
	scratch_store_b64 off, v[82:83], off offset:80
	s_wait_xcnt 0x0
	v_cmpx_lt_u32_e32 9, v0
	s_cbranch_execz .LBB103_235
; %bb.234:
	scratch_load_b64 v[82:83], off, off offset:72
	v_mov_b64_e32 v[84:85], 0
	scratch_store_b64 off, v[84:85], off offset:72
	s_wait_loadcnt 0x0
	ds_store_b64 v1, v[82:83]
.LBB103_235:
	s_wait_xcnt 0x0
	s_or_b32 exec_lo, exec_lo, s0
	s_wait_storecnt_dscnt 0x0
	s_barrier_signal -1
	s_barrier_wait -1
	s_clause 0xf
	scratch_load_b128 v[82:85], off, off offset:80
	scratch_load_b128 v[86:89], off, off offset:96
	;; [unrolled: 1-line block ×15, first 2 shown]
	scratch_load_b64 v[202:203], off, off offset:72
	ds_load_b128 v[142:145], v7 offset:576
	ds_load_b128 v[146:149], v7 offset:592
	;; [unrolled: 1-line block ×15, first 2 shown]
	s_mov_b32 s0, exec_lo
	s_wait_dscnt 0xe
	v_dual_mov_b32 v204, v145 :: v_dual_mov_b32 v205, v144
	s_wait_dscnt 0xd
	v_dual_mov_b32 v206, v149 :: v_dual_mov_b32 v207, v148
	;; [unrolled: 2-line block ×4, first 2 shown]
	s_wait_loadcnt_dscnt 0xf0a
	v_dual_mul_f32 v7, v158, v83 :: v_dual_mul_f32 v9, v160, v85
	v_dual_mul_f32 v47, v159, v83 :: v_dual_mul_f32 v49, v161, v85
	s_wait_loadcnt_dscnt 0xe09
	v_dual_mul_f32 v11, v162, v87 :: v_dual_mul_f32 v13, v164, v89
	s_delay_alu instid0(VALU_DEP_3) | instskip(SKIP_3) | instid1(VALU_DEP_3)
	v_dual_fmac_f32 v7, v159, v82 :: v_dual_fmac_f32 v9, v161, v84
	s_wait_loadcnt_dscnt 0xc06
	v_dual_fma_f32 v47, v158, v82, -v47 :: v_dual_mul_f32 v59, v175, v95
	v_dual_mul_f32 v51, v163, v87 :: v_dual_mul_f32 v53, v165, v89
	v_dual_fma_f32 v49, v160, v84, -v49 :: v_dual_add_f32 v7, 0, v7
	s_delay_alu instid0(VALU_DEP_3) | instskip(SKIP_1) | instid1(VALU_DEP_3)
	v_dual_add_f32 v47, 0, v47 :: v_dual_mul_f32 v61, v177, v97
	v_dual_fmac_f32 v11, v163, v86 :: v_dual_fmac_f32 v13, v165, v88
	v_dual_fma_f32 v51, v162, v86, -v51 :: v_dual_add_f32 v7, v7, v9
	s_delay_alu instid0(VALU_DEP_3) | instskip(SKIP_2) | instid1(VALU_DEP_4)
	v_dual_add_f32 v9, v47, v49 :: v_dual_fma_f32 v49, v164, v88, -v53
	v_dual_mul_f32 v15, v170, v91 :: v_dual_mul_f32 v17, v172, v93
	v_dual_mul_f32 v55, v171, v91 :: v_dual_mul_f32 v57, v173, v93
	v_add_f32_e32 v7, v7, v11
	s_delay_alu instid0(VALU_DEP_3) | instskip(NEXT) | instid1(VALU_DEP_3)
	v_dual_add_f32 v9, v9, v51 :: v_dual_fmac_f32 v15, v171, v90
	v_fma_f32 v51, v170, v90, -v55
	v_dual_mul_f32 v19, v174, v95 :: v_dual_mul_f32 v21, v176, v97
	s_delay_alu instid0(VALU_DEP_4) | instskip(SKIP_2) | instid1(VALU_DEP_2)
	v_dual_add_f32 v7, v7, v13 :: v_dual_fmac_f32 v17, v173, v92
	s_wait_loadcnt_dscnt 0xa04
	v_dual_add_f32 v9, v9, v49 :: v_dual_mul_f32 v13, v183, v103
	v_dual_fma_f32 v49, v172, v92, -v57 :: v_dual_add_f32 v7, v7, v15
	v_mul_f32_e32 v15, v185, v105
	s_delay_alu instid0(VALU_DEP_3) | instskip(NEXT) | instid1(VALU_DEP_3)
	v_dual_add_f32 v9, v9, v51 :: v_dual_fmac_f32 v19, v175, v94
	v_dual_fma_f32 v51, v174, v94, -v59 :: v_dual_add_f32 v7, v7, v17
	v_fmac_f32_e32 v21, v177, v96
	s_wait_loadcnt_dscnt 0x903
	s_delay_alu instid0(VALU_DEP_3) | instskip(SKIP_3) | instid1(VALU_DEP_3)
	v_dual_add_f32 v9, v9, v49 :: v_dual_mul_f32 v17, v187, v107
	v_dual_mul_f32 v23, v178, v99 :: v_dual_mul_f32 v25, v180, v101
	v_dual_mul_f32 v47, v179, v99 :: v_dual_mul_f32 v11, v181, v101
	v_dual_fma_f32 v49, v176, v96, -v61 :: v_dual_add_f32 v7, v7, v19
	v_dual_add_f32 v9, v9, v51 :: v_dual_fmac_f32 v23, v179, v98
	s_delay_alu instid0(VALU_DEP_3) | instskip(NEXT) | instid1(VALU_DEP_3)
	v_dual_mul_f32 v19, v189, v109 :: v_dual_fma_f32 v47, v178, v98, -v47
	v_dual_add_f32 v7, v7, v21 :: v_dual_fmac_f32 v25, v181, v100
	s_wait_loadcnt_dscnt 0x802
	s_delay_alu instid0(VALU_DEP_3) | instskip(SKIP_1) | instid1(VALU_DEP_3)
	v_dual_add_f32 v9, v9, v49 :: v_dual_mul_f32 v21, v191, v111
	v_dual_mul_f32 v27, v182, v103 :: v_dual_mul_f32 v29, v184, v105
	v_dual_fma_f32 v11, v180, v100, -v11 :: v_dual_add_f32 v7, v7, v23
	s_delay_alu instid0(VALU_DEP_2) | instskip(SKIP_1) | instid1(VALU_DEP_2)
	v_dual_add_f32 v9, v9, v47 :: v_dual_fmac_f32 v27, v183, v102
	v_dual_mul_f32 v23, v193, v113 :: v_dual_fma_f32 v13, v182, v102, -v13
	v_dual_add_f32 v7, v7, v25 :: v_dual_add_f32 v9, v9, v11
	v_dual_mul_f32 v31, v186, v107 :: v_dual_mul_f32 v33, v188, v109
	s_wait_loadcnt_dscnt 0x701
	v_dual_mul_f32 v11, v195, v115 :: v_dual_fmac_f32 v29, v185, v104
	s_delay_alu instid0(VALU_DEP_3) | instskip(NEXT) | instid1(VALU_DEP_3)
	v_dual_fma_f32 v15, v184, v104, -v15 :: v_dual_add_f32 v7, v7, v27
	v_dual_add_f32 v9, v9, v13 :: v_dual_fmac_f32 v31, v187, v106
	v_dual_mul_f32 v13, v197, v117 :: v_dual_fma_f32 v17, v186, v106, -v17
	s_delay_alu instid0(VALU_DEP_2) | instskip(SKIP_3) | instid1(VALU_DEP_3)
	v_dual_add_f32 v7, v7, v29 :: v_dual_add_f32 v9, v9, v15
	v_dual_mul_f32 v35, v190, v111 :: v_dual_mul_f32 v37, v192, v113
	s_wait_loadcnt_dscnt 0x600
	v_dual_mul_f32 v15, v199, v119 :: v_dual_fmac_f32 v33, v189, v108
	v_dual_fma_f32 v19, v188, v108, -v19 :: v_dual_add_f32 v7, v7, v31
	s_delay_alu instid0(VALU_DEP_3) | instskip(SKIP_1) | instid1(VALU_DEP_2)
	v_dual_add_f32 v9, v9, v17 :: v_dual_fmac_f32 v35, v191, v110
	v_dual_mul_f32 v17, v201, v121 :: v_dual_fma_f32 v21, v190, v110, -v21
	v_dual_add_f32 v7, v7, v33 :: v_dual_add_f32 v9, v9, v19
	v_dual_mul_f32 v39, v194, v115 :: v_dual_mul_f32 v41, v196, v117
	s_wait_loadcnt 0x5
	v_dual_mul_f32 v19, v167, v123 :: v_dual_fmac_f32 v37, v193, v112
	s_delay_alu instid0(VALU_DEP_3) | instskip(NEXT) | instid1(VALU_DEP_3)
	v_dual_fma_f32 v23, v192, v112, -v23 :: v_dual_add_f32 v7, v7, v35
	v_dual_add_f32 v9, v9, v21 :: v_dual_fmac_f32 v39, v195, v114
	v_dual_mul_f32 v21, v169, v125 :: v_dual_fma_f32 v11, v194, v114, -v11
	s_delay_alu instid0(VALU_DEP_2) | instskip(SKIP_1) | instid1(VALU_DEP_2)
	v_dual_add_f32 v7, v7, v37 :: v_dual_add_f32 v9, v9, v23
	v_dual_mul_f32 v43, v198, v119 :: v_dual_mul_f32 v45, v200, v121
	v_dual_fmac_f32 v41, v197, v116 :: v_dual_add_f32 v7, v7, v39
	s_delay_alu instid0(VALU_DEP_3) | instskip(SKIP_1) | instid1(VALU_DEP_3)
	v_dual_fma_f32 v13, v196, v116, -v13 :: v_dual_add_f32 v9, v9, v11
	s_wait_loadcnt 0x4
	v_dual_mov_b32 v84, v129 :: v_dual_fmac_f32 v43, v199, v118
	s_delay_alu instid0(VALU_DEP_3) | instskip(NEXT) | instid1(VALU_DEP_3)
	v_dual_fma_f32 v11, v198, v118, -v15 :: v_dual_add_f32 v7, v7, v41
	v_dual_add_f32 v9, v9, v13 :: v_dual_fma_f32 v13, v200, v120, -v17
	v_dual_mul_f32 v213, v166, v123 :: v_dual_mul_f32 v215, v168, v125
	s_delay_alu instid0(VALU_DEP_3) | instskip(NEXT) | instid1(VALU_DEP_2)
	v_dual_fmac_f32 v45, v201, v120 :: v_dual_add_f32 v7, v7, v43
	v_dual_add_f32 v9, v9, v11 :: v_dual_fmac_f32 v213, v167, v122
	v_pk_mul_f32 v[82:83], v[142:143], v[126:127] op_sel:[1,1] op_sel_hi:[0,1]
	s_wait_loadcnt 0x3
	v_dual_mov_b32 v88, v133 :: v_dual_fma_f32 v212, v166, v122, -v19
	v_dual_add_f32 v91, v7, v45 :: v_dual_fmac_f32 v215, v169, v124
	v_dual_add_f32 v90, v9, v13 :: v_dual_fma_f32 v214, v168, v124, -v21
	v_pk_fma_f32 v[92:93], v[142:143], v[126:127], v[82:83] op_sel_hi:[1,0,1]
	v_pk_mul_f32 v[84:85], v[204:205], v[84:85] op_sel_hi:[1,0]
	v_pk_fma_f32 v[82:83], v[142:143], v[126:127], v[82:83] neg_lo:[0,0,1] neg_hi:[0,0,1]
	s_delay_alu instid0(VALU_DEP_4)
	v_pk_add_f32 v[90:91], v[90:91], v[212:213]
	v_pk_mul_f32 v[86:87], v[146:147], v[130:131] op_sel:[1,1] op_sel_hi:[0,1]
	v_mov_b32_e32 v83, v93
	v_pk_fma_f32 v[92:93], v[144:145], v[128:129], v[84:85] op_sel_hi:[1,0,1]
	v_pk_fma_f32 v[84:85], v[144:145], v[128:129], v[84:85] neg_lo:[0,0,1] neg_hi:[0,0,1]
	v_pk_add_f32 v[90:91], v[90:91], v[214:215]
	v_pk_fma_f32 v[96:97], v[146:147], v[130:131], v[86:87] op_sel_hi:[1,0,1]
	v_pk_mul_f32 v[88:89], v[206:207], v[88:89] op_sel_hi:[1,0]
	v_mov_b32_e32 v85, v93
	s_wait_loadcnt 0x2
	v_pk_mul_f32 v[94:95], v[150:151], v[134:135] op_sel:[1,1] op_sel_hi:[0,1]
	v_pk_add_f32 v[82:83], v[90:91], v[82:83]
	v_mov_b32_e32 v90, v137
	v_pk_fma_f32 v[86:87], v[146:147], v[130:131], v[86:87] neg_lo:[0,0,1] neg_hi:[0,0,1]
	v_mov_b32_e32 v87, v97
	v_pk_fma_f32 v[92:93], v[148:149], v[132:133], v[88:89] op_sel_hi:[1,0,1]
	v_pk_add_f32 v[82:83], v[82:83], v[84:85]
	v_pk_fma_f32 v[84:85], v[150:151], v[134:135], v[94:95] op_sel_hi:[1,0,1]
	v_pk_mul_f32 v[90:91], v[208:209], v[90:91] op_sel_hi:[1,0]
	v_pk_fma_f32 v[88:89], v[148:149], v[132:133], v[88:89] neg_lo:[0,0,1] neg_hi:[0,0,1]
	v_mov_b32_e32 v89, v93
	v_pk_add_f32 v[82:83], v[82:83], v[86:87]
	v_pk_fma_f32 v[92:93], v[150:151], v[134:135], v[94:95] neg_lo:[0,0,1] neg_hi:[0,0,1]
	v_mov_b32_e32 v93, v85
	v_pk_fma_f32 v[84:85], v[152:153], v[136:137], v[90:91] op_sel_hi:[1,0,1]
	s_wait_loadcnt 0x1
	v_pk_mul_f32 v[86:87], v[154:155], v[138:139] op_sel:[1,1] op_sel_hi:[0,1]
	v_pk_add_f32 v[82:83], v[82:83], v[88:89]
	v_mov_b32_e32 v84, v141
	v_pk_fma_f32 v[90:91], v[152:153], v[136:137], v[90:91] neg_lo:[0,0,1] neg_hi:[0,0,1]
	v_mov_b32_e32 v91, v85
	v_pk_fma_f32 v[88:89], v[154:155], v[138:139], v[86:87] op_sel_hi:[1,0,1]
	v_pk_add_f32 v[82:83], v[82:83], v[92:93]
	v_pk_mul_f32 v[84:85], v[210:211], v[84:85] op_sel_hi:[1,0]
	v_pk_fma_f32 v[86:87], v[154:155], v[138:139], v[86:87] neg_lo:[0,0,1] neg_hi:[0,0,1]
	s_delay_alu instid0(VALU_DEP_4) | instskip(NEXT) | instid1(VALU_DEP_4)
	v_mov_b32_e32 v87, v89
	v_pk_add_f32 v[82:83], v[82:83], v[90:91]
	s_delay_alu instid0(VALU_DEP_4) | instskip(SKIP_1) | instid1(VALU_DEP_2)
	v_pk_fma_f32 v[88:89], v[156:157], v[140:141], v[84:85] op_sel_hi:[1,0,1]
	v_pk_fma_f32 v[84:85], v[156:157], v[140:141], v[84:85] neg_lo:[0,0,1] neg_hi:[0,0,1]
	v_mov_b32_e32 v85, v89
	s_delay_alu instid0(VALU_DEP_4) | instskip(NEXT) | instid1(VALU_DEP_1)
	v_pk_add_f32 v[82:83], v[82:83], v[86:87]
	v_pk_add_f32 v[82:83], v[82:83], v[84:85]
	s_wait_loadcnt 0x0
	s_delay_alu instid0(VALU_DEP_1)
	v_pk_add_f32 v[82:83], v[202:203], v[82:83] neg_lo:[0,1] neg_hi:[0,1]
	scratch_store_b64 off, v[82:83], off offset:72
	s_wait_xcnt 0x0
	v_cmpx_lt_u32_e32 8, v0
	s_cbranch_execz .LBB103_237
; %bb.236:
	scratch_load_b64 v[82:83], off, off offset:64
	v_mov_b64_e32 v[84:85], 0
	scratch_store_b64 off, v[84:85], off offset:64
	s_wait_loadcnt 0x0
	ds_store_b64 v1, v[82:83]
.LBB103_237:
	s_wait_xcnt 0x0
	s_or_b32 exec_lo, exec_lo, s0
	s_wait_storecnt_dscnt 0x0
	s_barrier_signal -1
	s_barrier_wait -1
	s_clause 0x10
	scratch_load_b128 v[82:85], off, off offset:72
	scratch_load_b128 v[86:89], off, off offset:88
	;; [unrolled: 1-line block ×15, first 2 shown]
	scratch_load_b64 v[202:203], off, off offset:312
	scratch_load_b64 v[204:205], off, off offset:64
	v_mov_b32_e32 v7, 0
	ds_load_2addr_b64 v[142:145], v7 offset0:71 offset1:72
	ds_load_2addr_b64 v[146:149], v7 offset0:73 offset1:74
	;; [unrolled: 1-line block ×15, first 2 shown]
	ds_load_b64 v[206:207], v7 offset:632
	s_mov_b32 s0, exec_lo
	s_wait_dscnt 0xf
	v_dual_mov_b32 v208, v145 :: v_dual_mov_b32 v209, v144
	s_wait_dscnt 0xc
	v_dual_mov_b32 v210, v149 :: v_dual_mov_b32 v215, v156
	v_dual_mov_b32 v211, v148 :: v_dual_mov_b32 v212, v153
	;; [unrolled: 1-line block ×3, first 2 shown]
	s_wait_loadcnt_dscnt 0x100b
	v_dual_mul_f32 v9, v158, v83 :: v_dual_mul_f32 v51, v159, v83
	v_dual_mul_f32 v53, v161, v85 :: v_dual_mul_f32 v11, v160, v85
	s_wait_loadcnt_dscnt 0xf09
	v_mul_f32_e32 v13, v166, v87
	s_wait_loadcnt_dscnt 0xd07
	v_dual_mul_f32 v63, v175, v95 :: v_dual_fma_f32 v51, v158, v82, -v51
	v_dual_fmac_f32 v9, v159, v82 :: v_dual_mul_f32 v65, v177, v97
	v_dual_mul_f32 v55, v167, v87 :: v_dual_mul_f32 v57, v169, v89
	v_dual_fmac_f32 v11, v161, v84 :: v_dual_fma_f32 v53, v160, v84, -v53
	s_delay_alu instid0(VALU_DEP_3) | instskip(SKIP_3) | instid1(VALU_DEP_3)
	v_dual_add_f32 v9, 0, v9 :: v_dual_add_f32 v51, 0, v51
	v_dual_mul_f32 v15, v168, v89 :: v_dual_mul_f32 v17, v170, v91
	s_wait_loadcnt_dscnt 0xc06
	v_dual_mul_f32 v67, v179, v99 :: v_dual_fma_f32 v55, v166, v86, -v55
	v_dual_fmac_f32 v13, v167, v86 :: v_dual_add_f32 v9, v9, v11
	s_delay_alu instid0(VALU_DEP_3) | instskip(SKIP_2) | instid1(VALU_DEP_3)
	v_dual_add_f32 v11, v51, v53 :: v_dual_fmac_f32 v15, v169, v88
	v_dual_mul_f32 v59, v171, v91 :: v_dual_mul_f32 v61, v173, v93
	v_dual_mul_f32 v51, v181, v101 :: v_dual_fma_f32 v53, v168, v88, -v57
	v_dual_add_f32 v9, v9, v13 :: v_dual_add_f32 v11, v11, v55
	v_dual_mul_f32 v19, v172, v93 :: v_dual_mul_f32 v21, v174, v95
	s_wait_loadcnt_dscnt 0xb05
	v_dual_mul_f32 v13, v183, v103 :: v_dual_fma_f32 v55, v170, v90, -v59
	s_delay_alu instid0(VALU_DEP_3) | instskip(NEXT) | instid1(VALU_DEP_3)
	v_dual_fmac_f32 v17, v171, v90 :: v_dual_add_f32 v9, v9, v15
	v_dual_add_f32 v11, v11, v53 :: v_dual_fmac_f32 v19, v173, v92
	v_dual_mul_f32 v15, v185, v105 :: v_dual_fma_f32 v53, v172, v92, -v61
	s_delay_alu instid0(VALU_DEP_2) | instskip(SKIP_3) | instid1(VALU_DEP_3)
	v_dual_add_f32 v9, v9, v17 :: v_dual_add_f32 v11, v11, v55
	v_dual_mul_f32 v23, v176, v97 :: v_dual_mul_f32 v25, v178, v99
	s_wait_loadcnt_dscnt 0xa04
	v_dual_mul_f32 v17, v187, v107 :: v_dual_fma_f32 v55, v174, v94, -v63
	v_dual_fmac_f32 v21, v175, v94 :: v_dual_add_f32 v9, v9, v19
	s_delay_alu instid0(VALU_DEP_3) | instskip(SKIP_1) | instid1(VALU_DEP_2)
	v_dual_add_f32 v11, v11, v53 :: v_dual_fmac_f32 v23, v177, v96
	v_dual_mul_f32 v19, v189, v109 :: v_dual_fma_f32 v53, v176, v96, -v65
	v_dual_add_f32 v9, v9, v21 :: v_dual_add_f32 v11, v11, v55
	v_dual_mul_f32 v27, v180, v101 :: v_dual_mul_f32 v29, v182, v103
	s_wait_loadcnt_dscnt 0x903
	v_dual_mul_f32 v21, v191, v111 :: v_dual_fma_f32 v55, v178, v98, -v67
	s_delay_alu instid0(VALU_DEP_3) | instskip(NEXT) | instid1(VALU_DEP_3)
	v_dual_fmac_f32 v25, v179, v98 :: v_dual_add_f32 v9, v9, v23
	v_dual_add_f32 v11, v11, v53 :: v_dual_fmac_f32 v27, v181, v100
	v_dual_mul_f32 v23, v193, v113 :: v_dual_fma_f32 v51, v180, v100, -v51
	s_delay_alu instid0(VALU_DEP_2) | instskip(SKIP_3) | instid1(VALU_DEP_3)
	v_dual_add_f32 v9, v9, v25 :: v_dual_add_f32 v11, v11, v55
	v_dual_mul_f32 v31, v184, v105 :: v_dual_mul_f32 v33, v186, v107
	s_wait_loadcnt_dscnt 0x802
	v_dual_mul_f32 v25, v195, v115 :: v_dual_fma_f32 v13, v182, v102, -v13
	v_dual_fmac_f32 v29, v183, v102 :: v_dual_add_f32 v9, v9, v27
	v_dual_add_f32 v11, v11, v51 :: v_dual_mul_f32 v27, v197, v117
	v_fmac_f32_e32 v31, v185, v104
	s_delay_alu instid0(VALU_DEP_3) | instskip(NEXT) | instid1(VALU_DEP_3)
	v_dual_fma_f32 v15, v184, v104, -v15 :: v_dual_add_f32 v9, v9, v29
	v_add_f32_e32 v11, v11, v13
	v_dual_mul_f32 v35, v188, v109 :: v_dual_mul_f32 v37, v190, v111
	s_wait_loadcnt_dscnt 0x701
	v_dual_mul_f32 v13, v199, v119 :: v_dual_fma_f32 v17, v186, v106, -v17
	v_dual_fmac_f32 v33, v187, v106 :: v_dual_add_f32 v9, v9, v31
	v_dual_add_f32 v11, v11, v15 :: v_dual_mul_f32 v15, v201, v121
	v_fmac_f32_e32 v35, v189, v108
	s_delay_alu instid0(VALU_DEP_3) | instskip(NEXT) | instid1(VALU_DEP_3)
	v_dual_fma_f32 v19, v188, v108, -v19 :: v_dual_add_f32 v9, v9, v33
	v_add_f32_e32 v11, v11, v17
	v_dual_mul_f32 v39, v192, v113 :: v_dual_mul_f32 v41, v194, v115
	s_wait_loadcnt 0x6
	v_dual_mul_f32 v17, v163, v123 :: v_dual_fma_f32 v21, v190, v110, -v21
	v_dual_fmac_f32 v37, v191, v110 :: v_dual_add_f32 v9, v9, v35
	v_dual_add_f32 v11, v11, v19 :: v_dual_mul_f32 v19, v165, v125
	v_fmac_f32_e32 v39, v193, v112
	s_delay_alu instid0(VALU_DEP_3) | instskip(NEXT) | instid1(VALU_DEP_3)
	v_dual_fma_f32 v23, v192, v112, -v23 :: v_dual_add_f32 v9, v9, v37
	v_add_f32_e32 v11, v11, v21
	v_dual_mul_f32 v43, v196, v117 :: v_dual_mul_f32 v45, v198, v119
	s_wait_loadcnt 0x5
	v_dual_mul_f32 v21, v143, v127 :: v_dual_fma_f32 v25, v194, v114, -v25
	v_dual_fmac_f32 v41, v195, v114 :: v_dual_add_f32 v9, v9, v39
	v_dual_add_f32 v11, v11, v23 :: v_dual_mov_b32 v82, v129
	v_fmac_f32_e32 v43, v197, v116
	s_delay_alu instid0(VALU_DEP_3) | instskip(NEXT) | instid1(VALU_DEP_3)
	v_dual_fma_f32 v23, v196, v116, -v27 :: v_dual_add_f32 v9, v9, v41
	v_add_f32_e32 v11, v11, v25
	v_dual_mul_f32 v47, v200, v121 :: v_dual_mul_f32 v49, v162, v123
	s_delay_alu instid0(VALU_DEP_3) | instskip(NEXT) | instid1(VALU_DEP_3)
	v_dual_fmac_f32 v45, v199, v118 :: v_dual_add_f32 v9, v9, v43
	v_dual_fma_f32 v13, v198, v118, -v13 :: v_dual_add_f32 v11, v11, v23
	s_wait_loadcnt 0x4
	v_dual_mov_b32 v86, v133 :: v_dual_fma_f32 v15, v200, v120, -v15
	v_fmac_f32_e32 v47, v201, v120
	v_dual_add_f32 v9, v9, v45 :: v_dual_fmac_f32 v49, v163, v122
	v_add_f32_e32 v11, v11, v13
	v_dual_mul_f32 v217, v164, v125 :: v_dual_mul_f32 v219, v142, v127
	s_delay_alu instid0(VALU_DEP_3) | instskip(NEXT) | instid1(VALU_DEP_2)
	v_dual_fma_f32 v13, v162, v122, -v17 :: v_dual_add_f32 v9, v9, v47
	v_dual_add_f32 v11, v11, v15 :: v_dual_fmac_f32 v217, v165, v124
	v_fma_f32 v216, v164, v124, -v19
	v_pk_mul_f32 v[82:83], v[208:209], v[82:83] op_sel_hi:[1,0]
	s_delay_alu instid0(VALU_DEP_4)
	v_add_f32_e32 v91, v9, v49
	s_wait_loadcnt 0x3
	v_dual_add_f32 v90, v11, v13 :: v_dual_mov_b32 v92, v137
	v_pk_mul_f32 v[84:85], v[146:147], v[130:131] op_sel:[1,1] op_sel_hi:[0,1]
	v_dual_fmac_f32 v219, v143, v126 :: v_dual_fma_f32 v218, v142, v126, -v21
	v_pk_fma_f32 v[94:95], v[144:145], v[128:129], v[82:83] op_sel_hi:[1,0,1]
	s_delay_alu instid0(VALU_DEP_4)
	v_pk_add_f32 v[90:91], v[90:91], v[216:217]
	v_pk_fma_f32 v[82:83], v[144:145], v[128:129], v[82:83] neg_lo:[0,0,1] neg_hi:[0,0,1]
	v_pk_fma_f32 v[96:97], v[146:147], v[130:131], v[84:85] op_sel_hi:[1,0,1]
	v_pk_mul_f32 v[86:87], v[210:211], v[86:87] op_sel_hi:[1,0]
	v_mov_b32_e32 v83, v95
	v_pk_add_f32 v[90:91], v[90:91], v[218:219]
	v_pk_fma_f32 v[84:85], v[146:147], v[130:131], v[84:85] neg_lo:[0,0,1] neg_hi:[0,0,1]
	v_pk_mul_f32 v[88:89], v[150:151], v[134:135] op_sel:[1,1] op_sel_hi:[0,1]
	v_mov_b32_e32 v85, v97
	v_pk_fma_f32 v[96:97], v[148:149], v[132:133], v[86:87] op_sel_hi:[1,0,1]
	v_pk_add_f32 v[82:83], v[90:91], v[82:83]
	v_pk_fma_f32 v[86:87], v[148:149], v[132:133], v[86:87] neg_lo:[0,0,1] neg_hi:[0,0,1]
	v_pk_fma_f32 v[90:91], v[150:151], v[134:135], v[88:89] op_sel_hi:[1,0,1]
	v_pk_mul_f32 v[92:93], v[212:213], v[92:93] op_sel_hi:[1,0]
	v_mov_b32_e32 v87, v97
	v_pk_add_f32 v[82:83], v[82:83], v[84:85]
	v_pk_fma_f32 v[88:89], v[150:151], v[134:135], v[88:89] neg_lo:[0,0,1] neg_hi:[0,0,1]
	s_wait_loadcnt 0x2
	v_pk_mul_f32 v[94:95], v[154:155], v[138:139] op_sel:[1,1] op_sel_hi:[0,1]
	v_dual_mov_b32 v84, v141 :: v_dual_mov_b32 v89, v91
	v_pk_fma_f32 v[90:91], v[152:153], v[136:137], v[92:93] op_sel_hi:[1,0,1]
	v_pk_add_f32 v[82:83], v[82:83], v[86:87]
	v_pk_fma_f32 v[92:93], v[152:153], v[136:137], v[92:93] neg_lo:[0,0,1] neg_hi:[0,0,1]
	v_pk_fma_f32 v[86:87], v[154:155], v[138:139], v[94:95] op_sel_hi:[1,0,1]
	v_pk_mul_f32 v[84:85], v[214:215], v[84:85] op_sel_hi:[1,0]
	v_mov_b32_e32 v93, v91
	v_pk_add_f32 v[82:83], v[82:83], v[88:89]
	v_pk_fma_f32 v[88:89], v[154:155], v[138:139], v[94:95] neg_lo:[0,0,1] neg_hi:[0,0,1]
	v_mov_b32_e32 v89, v87
	v_pk_fma_f32 v[86:87], v[156:157], v[140:141], v[84:85] op_sel_hi:[1,0,1]
	s_wait_loadcnt_dscnt 0x100
	v_pk_mul_f32 v[90:91], v[206:207], v[202:203] op_sel:[1,1] op_sel_hi:[0,1]
	v_pk_add_f32 v[82:83], v[82:83], v[92:93]
	v_pk_fma_f32 v[84:85], v[156:157], v[140:141], v[84:85] neg_lo:[0,0,1] neg_hi:[0,0,1]
	v_mov_b32_e32 v85, v87
	s_delay_alu instid0(VALU_DEP_4) | instskip(NEXT) | instid1(VALU_DEP_4)
	v_pk_fma_f32 v[86:87], v[206:207], v[202:203], v[90:91] op_sel_hi:[1,0,1]
	v_pk_add_f32 v[82:83], v[82:83], v[88:89]
	v_pk_fma_f32 v[88:89], v[206:207], v[202:203], v[90:91] neg_lo:[0,0,1] neg_hi:[0,0,1]
	s_delay_alu instid0(VALU_DEP_3) | instskip(NEXT) | instid1(VALU_DEP_3)
	v_mov_b32_e32 v89, v87
	v_pk_add_f32 v[82:83], v[82:83], v[84:85]
	s_delay_alu instid0(VALU_DEP_1) | instskip(SKIP_1) | instid1(VALU_DEP_1)
	v_pk_add_f32 v[82:83], v[82:83], v[88:89]
	s_wait_loadcnt 0x0
	v_pk_add_f32 v[82:83], v[204:205], v[82:83] neg_lo:[0,1] neg_hi:[0,1]
	scratch_store_b64 off, v[82:83], off offset:64
	s_wait_xcnt 0x0
	v_cmpx_lt_u32_e32 7, v0
	s_cbranch_execz .LBB103_239
; %bb.238:
	scratch_load_b64 v[82:83], off, off offset:56
	v_mov_b64_e32 v[84:85], 0
	scratch_store_b64 off, v[84:85], off offset:56
	s_wait_loadcnt 0x0
	ds_store_b64 v1, v[82:83]
.LBB103_239:
	s_wait_xcnt 0x0
	s_or_b32 exec_lo, exec_lo, s0
	s_wait_storecnt_dscnt 0x0
	s_barrier_signal -1
	s_barrier_wait -1
	s_clause 0x10
	scratch_load_b128 v[82:85], off, off offset:64
	scratch_load_b128 v[86:89], off, off offset:80
	;; [unrolled: 1-line block ×16, first 2 shown]
	scratch_load_b64 v[210:211], off, off offset:56
	ds_load_b128 v[146:149], v7 offset:576
	ds_load_b128 v[150:153], v7 offset:592
	;; [unrolled: 1-line block ×16, first 2 shown]
	s_mov_b32 s0, exec_lo
	s_wait_dscnt 0xf
	v_dual_mov_b32 v212, v149 :: v_dual_mov_b32 v213, v148
	s_wait_dscnt 0xe
	v_dual_mov_b32 v214, v153 :: v_dual_mov_b32 v215, v152
	;; [unrolled: 2-line block ×4, first 2 shown]
	s_wait_loadcnt_dscnt 0x100b
	v_dual_mul_f32 v7, v162, v83 :: v_dual_mul_f32 v9, v164, v85
	v_dual_mul_f32 v51, v163, v83 :: v_dual_mul_f32 v53, v165, v85
	s_wait_loadcnt_dscnt 0xf0a
	v_dual_mul_f32 v11, v166, v87 :: v_dual_mul_f32 v13, v168, v89
	s_delay_alu instid0(VALU_DEP_3) | instskip(SKIP_3) | instid1(VALU_DEP_3)
	v_dual_fmac_f32 v7, v163, v82 :: v_dual_fmac_f32 v9, v165, v84
	s_wait_loadcnt_dscnt 0xd08
	v_dual_fma_f32 v51, v162, v82, -v51 :: v_dual_mul_f32 v63, v175, v95
	v_dual_mul_f32 v55, v167, v87 :: v_dual_mul_f32 v57, v169, v89
	v_dual_fma_f32 v53, v164, v84, -v53 :: v_dual_add_f32 v7, 0, v7
	s_delay_alu instid0(VALU_DEP_3) | instskip(SKIP_1) | instid1(VALU_DEP_3)
	v_dual_add_f32 v51, 0, v51 :: v_dual_mul_f32 v65, v177, v97
	v_dual_fmac_f32 v11, v167, v86 :: v_dual_fmac_f32 v13, v169, v88
	v_dual_fma_f32 v55, v166, v86, -v55 :: v_dual_add_f32 v7, v7, v9
	s_delay_alu instid0(VALU_DEP_3) | instskip(SKIP_2) | instid1(VALU_DEP_4)
	v_dual_add_f32 v9, v51, v53 :: v_dual_fma_f32 v53, v168, v88, -v57
	v_dual_mul_f32 v15, v170, v91 :: v_dual_mul_f32 v17, v172, v93
	v_dual_mul_f32 v59, v171, v91 :: v_dual_mul_f32 v61, v173, v93
	v_add_f32_e32 v7, v7, v11
	s_delay_alu instid0(VALU_DEP_3) | instskip(NEXT) | instid1(VALU_DEP_3)
	v_dual_add_f32 v9, v9, v55 :: v_dual_fmac_f32 v15, v171, v90
	v_fma_f32 v55, v170, v90, -v59
	v_dual_mul_f32 v19, v174, v95 :: v_dual_mul_f32 v21, v176, v97
	s_delay_alu instid0(VALU_DEP_4) | instskip(SKIP_2) | instid1(VALU_DEP_2)
	v_dual_add_f32 v7, v7, v13 :: v_dual_fmac_f32 v17, v173, v92
	s_wait_loadcnt_dscnt 0xb06
	v_dual_add_f32 v9, v9, v53 :: v_dual_mul_f32 v13, v183, v103
	v_dual_fma_f32 v53, v172, v92, -v61 :: v_dual_add_f32 v7, v7, v15
	v_mul_f32_e32 v15, v185, v105
	s_delay_alu instid0(VALU_DEP_3) | instskip(NEXT) | instid1(VALU_DEP_3)
	v_dual_add_f32 v9, v9, v55 :: v_dual_fmac_f32 v19, v175, v94
	v_dual_fma_f32 v55, v174, v94, -v63 :: v_dual_add_f32 v7, v7, v17
	v_fmac_f32_e32 v21, v177, v96
	s_wait_loadcnt_dscnt 0xa05
	s_delay_alu instid0(VALU_DEP_3) | instskip(SKIP_3) | instid1(VALU_DEP_3)
	v_dual_add_f32 v9, v9, v53 :: v_dual_mul_f32 v17, v187, v107
	v_dual_mul_f32 v23, v178, v99 :: v_dual_mul_f32 v25, v180, v101
	v_dual_mul_f32 v51, v179, v99 :: v_dual_mul_f32 v11, v181, v101
	v_dual_fma_f32 v53, v176, v96, -v65 :: v_dual_add_f32 v7, v7, v19
	v_dual_add_f32 v9, v9, v55 :: v_dual_fmac_f32 v23, v179, v98
	s_delay_alu instid0(VALU_DEP_3) | instskip(NEXT) | instid1(VALU_DEP_3)
	v_dual_mul_f32 v19, v189, v109 :: v_dual_fma_f32 v51, v178, v98, -v51
	v_dual_add_f32 v7, v7, v21 :: v_dual_fmac_f32 v25, v181, v100
	s_wait_loadcnt_dscnt 0x904
	s_delay_alu instid0(VALU_DEP_3) | instskip(SKIP_1) | instid1(VALU_DEP_3)
	v_dual_add_f32 v9, v9, v53 :: v_dual_mul_f32 v21, v191, v111
	v_dual_mul_f32 v27, v182, v103 :: v_dual_mul_f32 v29, v184, v105
	v_dual_fma_f32 v11, v180, v100, -v11 :: v_dual_add_f32 v7, v7, v23
	s_delay_alu instid0(VALU_DEP_2) | instskip(SKIP_1) | instid1(VALU_DEP_2)
	v_dual_add_f32 v9, v9, v51 :: v_dual_fmac_f32 v27, v183, v102
	v_dual_mul_f32 v23, v193, v113 :: v_dual_fma_f32 v13, v182, v102, -v13
	v_dual_add_f32 v7, v7, v25 :: v_dual_add_f32 v9, v9, v11
	v_dual_mul_f32 v31, v186, v107 :: v_dual_mul_f32 v33, v188, v109
	s_wait_loadcnt_dscnt 0x803
	v_dual_mul_f32 v11, v195, v115 :: v_dual_fmac_f32 v29, v185, v104
	s_delay_alu instid0(VALU_DEP_3) | instskip(NEXT) | instid1(VALU_DEP_3)
	v_dual_fma_f32 v15, v184, v104, -v15 :: v_dual_add_f32 v7, v7, v27
	v_dual_add_f32 v9, v9, v13 :: v_dual_fmac_f32 v31, v187, v106
	v_dual_mul_f32 v13, v197, v117 :: v_dual_fma_f32 v17, v186, v106, -v17
	s_delay_alu instid0(VALU_DEP_2) | instskip(SKIP_3) | instid1(VALU_DEP_3)
	v_dual_add_f32 v7, v7, v29 :: v_dual_add_f32 v9, v9, v15
	v_dual_mul_f32 v35, v190, v111 :: v_dual_mul_f32 v37, v192, v113
	s_wait_loadcnt_dscnt 0x702
	v_dual_mul_f32 v15, v199, v119 :: v_dual_fmac_f32 v33, v189, v108
	v_dual_fma_f32 v19, v188, v108, -v19 :: v_dual_add_f32 v7, v7, v31
	s_delay_alu instid0(VALU_DEP_3) | instskip(SKIP_1) | instid1(VALU_DEP_2)
	v_dual_add_f32 v9, v9, v17 :: v_dual_fmac_f32 v35, v191, v110
	v_dual_mul_f32 v17, v201, v121 :: v_dual_fma_f32 v21, v190, v110, -v21
	v_dual_add_f32 v7, v7, v33 :: v_dual_add_f32 v9, v9, v19
	v_dual_mul_f32 v39, v194, v115 :: v_dual_mul_f32 v41, v196, v117
	s_wait_loadcnt_dscnt 0x601
	v_dual_mul_f32 v19, v203, v123 :: v_dual_fmac_f32 v37, v193, v112
	s_delay_alu instid0(VALU_DEP_3) | instskip(NEXT) | instid1(VALU_DEP_3)
	v_dual_fma_f32 v23, v192, v112, -v23 :: v_dual_add_f32 v7, v7, v35
	v_dual_add_f32 v9, v9, v21 :: v_dual_fmac_f32 v39, v195, v114
	v_dual_mul_f32 v21, v205, v125 :: v_dual_fma_f32 v11, v194, v114, -v11
	s_delay_alu instid0(VALU_DEP_2) | instskip(SKIP_3) | instid1(VALU_DEP_3)
	v_dual_add_f32 v7, v7, v37 :: v_dual_add_f32 v9, v9, v23
	v_dual_mul_f32 v43, v198, v119 :: v_dual_mul_f32 v45, v200, v121
	s_wait_loadcnt_dscnt 0x500
	v_dual_mul_f32 v23, v207, v127 :: v_dual_fmac_f32 v41, v197, v116
	v_dual_fma_f32 v13, v196, v116, -v13 :: v_dual_add_f32 v7, v7, v39
	s_delay_alu instid0(VALU_DEP_3) | instskip(SKIP_1) | instid1(VALU_DEP_3)
	v_dual_add_f32 v9, v9, v11 :: v_dual_fmac_f32 v43, v199, v118
	v_dual_mul_f32 v11, v209, v129 :: v_dual_fma_f32 v15, v198, v118, -v15
	v_dual_add_f32 v7, v7, v41 :: v_dual_fmac_f32 v45, v201, v120
	s_delay_alu instid0(VALU_DEP_3) | instskip(SKIP_2) | instid1(VALU_DEP_3)
	v_dual_add_f32 v9, v9, v13 :: v_dual_fma_f32 v13, v200, v120, -v17
	v_dual_mul_f32 v47, v202, v123 :: v_dual_mul_f32 v49, v204, v125
	s_wait_loadcnt 0x4
	v_dual_add_f32 v7, v7, v43 :: v_dual_mov_b32 v84, v133
	s_delay_alu instid0(VALU_DEP_2) | instskip(NEXT) | instid1(VALU_DEP_2)
	v_dual_add_f32 v9, v9, v15 :: v_dual_fmac_f32 v47, v203, v122
	v_dual_fma_f32 v15, v202, v122, -v19 :: v_dual_add_f32 v7, v7, v45
	v_dual_mul_f32 v221, v206, v127 :: v_dual_mul_f32 v223, v208, v129
	s_delay_alu instid0(VALU_DEP_3) | instskip(NEXT) | instid1(VALU_DEP_3)
	v_dual_add_f32 v9, v9, v13 :: v_dual_fma_f32 v13, v204, v124, -v21
	v_dual_fmac_f32 v49, v205, v124 :: v_dual_add_f32 v7, v7, v47
	v_pk_mul_f32 v[82:83], v[146:147], v[130:131] op_sel:[1,1] op_sel_hi:[0,1]
	s_delay_alu instid0(VALU_DEP_3) | instskip(SKIP_3) | instid1(VALU_DEP_3)
	v_dual_add_f32 v9, v9, v15 :: v_dual_fmac_f32 v221, v207, v126
	s_wait_loadcnt 0x3
	v_dual_mov_b32 v88, v137 :: v_dual_fma_f32 v220, v206, v126, -v23
	v_dual_add_f32 v91, v7, v49 :: v_dual_fmac_f32 v223, v209, v128
	v_dual_add_f32 v90, v9, v13 :: v_dual_fma_f32 v222, v208, v128, -v11
	v_pk_fma_f32 v[92:93], v[146:147], v[130:131], v[82:83] op_sel_hi:[1,0,1]
	v_pk_mul_f32 v[84:85], v[212:213], v[84:85] op_sel_hi:[1,0]
	v_pk_fma_f32 v[82:83], v[146:147], v[130:131], v[82:83] neg_lo:[0,0,1] neg_hi:[0,0,1]
	s_delay_alu instid0(VALU_DEP_4)
	v_pk_add_f32 v[90:91], v[90:91], v[220:221]
	v_pk_mul_f32 v[86:87], v[150:151], v[134:135] op_sel:[1,1] op_sel_hi:[0,1]
	v_mov_b32_e32 v83, v93
	v_pk_fma_f32 v[92:93], v[148:149], v[132:133], v[84:85] op_sel_hi:[1,0,1]
	v_pk_fma_f32 v[84:85], v[148:149], v[132:133], v[84:85] neg_lo:[0,0,1] neg_hi:[0,0,1]
	v_pk_add_f32 v[90:91], v[90:91], v[222:223]
	v_pk_fma_f32 v[96:97], v[150:151], v[134:135], v[86:87] op_sel_hi:[1,0,1]
	v_pk_mul_f32 v[88:89], v[214:215], v[88:89] op_sel_hi:[1,0]
	v_mov_b32_e32 v85, v93
	s_wait_loadcnt 0x2
	v_pk_mul_f32 v[94:95], v[154:155], v[138:139] op_sel:[1,1] op_sel_hi:[0,1]
	v_pk_add_f32 v[82:83], v[90:91], v[82:83]
	v_mov_b32_e32 v90, v141
	v_pk_fma_f32 v[86:87], v[150:151], v[134:135], v[86:87] neg_lo:[0,0,1] neg_hi:[0,0,1]
	v_mov_b32_e32 v87, v97
	v_pk_fma_f32 v[92:93], v[152:153], v[136:137], v[88:89] op_sel_hi:[1,0,1]
	v_pk_add_f32 v[82:83], v[82:83], v[84:85]
	v_pk_fma_f32 v[84:85], v[154:155], v[138:139], v[94:95] op_sel_hi:[1,0,1]
	v_pk_mul_f32 v[90:91], v[216:217], v[90:91] op_sel_hi:[1,0]
	v_pk_fma_f32 v[88:89], v[152:153], v[136:137], v[88:89] neg_lo:[0,0,1] neg_hi:[0,0,1]
	v_mov_b32_e32 v89, v93
	v_pk_add_f32 v[82:83], v[82:83], v[86:87]
	v_pk_fma_f32 v[92:93], v[154:155], v[138:139], v[94:95] neg_lo:[0,0,1] neg_hi:[0,0,1]
	v_mov_b32_e32 v93, v85
	v_pk_fma_f32 v[84:85], v[156:157], v[140:141], v[90:91] op_sel_hi:[1,0,1]
	s_wait_loadcnt 0x1
	v_pk_mul_f32 v[86:87], v[158:159], v[142:143] op_sel:[1,1] op_sel_hi:[0,1]
	v_pk_add_f32 v[82:83], v[82:83], v[88:89]
	v_mov_b32_e32 v84, v145
	v_pk_fma_f32 v[90:91], v[156:157], v[140:141], v[90:91] neg_lo:[0,0,1] neg_hi:[0,0,1]
	v_mov_b32_e32 v91, v85
	v_pk_fma_f32 v[88:89], v[158:159], v[142:143], v[86:87] op_sel_hi:[1,0,1]
	v_pk_add_f32 v[82:83], v[82:83], v[92:93]
	v_pk_mul_f32 v[84:85], v[218:219], v[84:85] op_sel_hi:[1,0]
	v_pk_fma_f32 v[86:87], v[158:159], v[142:143], v[86:87] neg_lo:[0,0,1] neg_hi:[0,0,1]
	s_delay_alu instid0(VALU_DEP_4) | instskip(NEXT) | instid1(VALU_DEP_4)
	v_mov_b32_e32 v87, v89
	v_pk_add_f32 v[82:83], v[82:83], v[90:91]
	s_delay_alu instid0(VALU_DEP_4) | instskip(SKIP_1) | instid1(VALU_DEP_2)
	v_pk_fma_f32 v[88:89], v[160:161], v[144:145], v[84:85] op_sel_hi:[1,0,1]
	v_pk_fma_f32 v[84:85], v[160:161], v[144:145], v[84:85] neg_lo:[0,0,1] neg_hi:[0,0,1]
	v_mov_b32_e32 v85, v89
	s_delay_alu instid0(VALU_DEP_4) | instskip(NEXT) | instid1(VALU_DEP_1)
	v_pk_add_f32 v[82:83], v[82:83], v[86:87]
	v_pk_add_f32 v[82:83], v[82:83], v[84:85]
	s_wait_loadcnt 0x0
	s_delay_alu instid0(VALU_DEP_1)
	v_pk_add_f32 v[82:83], v[210:211], v[82:83] neg_lo:[0,1] neg_hi:[0,1]
	scratch_store_b64 off, v[82:83], off offset:56
	s_wait_xcnt 0x0
	v_cmpx_lt_u32_e32 6, v0
	s_cbranch_execz .LBB103_241
; %bb.240:
	scratch_load_b64 v[82:83], off, off offset:48
	v_mov_b64_e32 v[84:85], 0
	scratch_store_b64 off, v[84:85], off offset:48
	s_wait_loadcnt 0x0
	ds_store_b64 v1, v[82:83]
.LBB103_241:
	s_wait_xcnt 0x0
	s_or_b32 exec_lo, exec_lo, s0
	s_wait_storecnt_dscnt 0x0
	s_barrier_signal -1
	s_barrier_wait -1
	s_clause 0x11
	scratch_load_b128 v[82:85], off, off offset:56
	scratch_load_b128 v[86:89], off, off offset:72
	;; [unrolled: 1-line block ×16, first 2 shown]
	scratch_load_b64 v[210:211], off, off offset:312
	scratch_load_b64 v[212:213], off, off offset:48
	v_mov_b32_e32 v7, 0
	ds_load_2addr_b64 v[146:149], v7 offset0:71 offset1:72
	ds_load_2addr_b64 v[150:153], v7 offset0:73 offset1:74
	;; [unrolled: 1-line block ×16, first 2 shown]
	ds_load_b64 v[214:215], v7 offset:632
	s_mov_b32 s0, exec_lo
	s_wait_dscnt 0x10
	v_dual_mov_b32 v216, v149 :: v_dual_mov_b32 v217, v148
	s_wait_dscnt 0xd
	v_dual_mov_b32 v218, v153 :: v_dual_mov_b32 v223, v160
	v_dual_mov_b32 v219, v152 :: v_dual_mov_b32 v220, v157
	;; [unrolled: 1-line block ×3, first 2 shown]
	s_wait_loadcnt_dscnt 0x110c
	v_dual_mul_f32 v9, v162, v83 :: v_dual_mul_f32 v55, v163, v83
	v_dual_mul_f32 v57, v165, v85 :: v_dual_mul_f32 v11, v164, v85
	s_wait_loadcnt_dscnt 0x100b
	v_mul_f32_e32 v13, v166, v87
	s_wait_loadcnt_dscnt 0xe09
	v_dual_mul_f32 v67, v175, v95 :: v_dual_fma_f32 v55, v162, v82, -v55
	v_dual_fmac_f32 v9, v163, v82 :: v_dual_mul_f32 v69, v177, v97
	v_dual_mul_f32 v59, v167, v87 :: v_dual_mul_f32 v61, v169, v89
	v_dual_fmac_f32 v11, v165, v84 :: v_dual_fma_f32 v57, v164, v84, -v57
	s_delay_alu instid0(VALU_DEP_3) | instskip(SKIP_3) | instid1(VALU_DEP_3)
	v_dual_add_f32 v9, 0, v9 :: v_dual_add_f32 v55, 0, v55
	v_dual_mul_f32 v15, v168, v89 :: v_dual_mul_f32 v17, v170, v91
	s_wait_loadcnt_dscnt 0xd08
	v_dual_mul_f32 v71, v179, v99 :: v_dual_fma_f32 v59, v166, v86, -v59
	v_dual_fmac_f32 v13, v167, v86 :: v_dual_add_f32 v9, v9, v11
	s_delay_alu instid0(VALU_DEP_3) | instskip(SKIP_2) | instid1(VALU_DEP_3)
	v_dual_add_f32 v11, v55, v57 :: v_dual_fmac_f32 v15, v169, v88
	v_dual_mul_f32 v63, v171, v91 :: v_dual_mul_f32 v65, v173, v93
	v_dual_mul_f32 v55, v181, v101 :: v_dual_fma_f32 v57, v168, v88, -v61
	v_dual_add_f32 v9, v9, v13 :: v_dual_add_f32 v11, v11, v59
	v_dual_mul_f32 v19, v172, v93 :: v_dual_mul_f32 v21, v174, v95
	s_wait_loadcnt_dscnt 0xc07
	v_dual_mul_f32 v13, v183, v103 :: v_dual_fma_f32 v59, v170, v90, -v63
	s_delay_alu instid0(VALU_DEP_3) | instskip(NEXT) | instid1(VALU_DEP_3)
	v_dual_fmac_f32 v17, v171, v90 :: v_dual_add_f32 v9, v9, v15
	v_dual_add_f32 v11, v11, v57 :: v_dual_fmac_f32 v19, v173, v92
	v_dual_mul_f32 v15, v185, v105 :: v_dual_fma_f32 v57, v172, v92, -v65
	s_delay_alu instid0(VALU_DEP_2) | instskip(SKIP_3) | instid1(VALU_DEP_3)
	v_dual_add_f32 v9, v9, v17 :: v_dual_add_f32 v11, v11, v59
	v_dual_mul_f32 v23, v176, v97 :: v_dual_mul_f32 v25, v178, v99
	s_wait_loadcnt_dscnt 0xb06
	v_dual_mul_f32 v17, v187, v107 :: v_dual_fma_f32 v59, v174, v94, -v67
	v_dual_fmac_f32 v21, v175, v94 :: v_dual_add_f32 v9, v9, v19
	s_delay_alu instid0(VALU_DEP_3) | instskip(SKIP_1) | instid1(VALU_DEP_2)
	v_dual_add_f32 v11, v11, v57 :: v_dual_fmac_f32 v23, v177, v96
	v_dual_mul_f32 v19, v189, v109 :: v_dual_fma_f32 v57, v176, v96, -v69
	v_dual_add_f32 v9, v9, v21 :: v_dual_add_f32 v11, v11, v59
	v_dual_mul_f32 v27, v180, v101 :: v_dual_mul_f32 v29, v182, v103
	s_wait_loadcnt_dscnt 0xa05
	v_dual_mul_f32 v21, v191, v111 :: v_dual_fma_f32 v59, v178, v98, -v71
	s_delay_alu instid0(VALU_DEP_3) | instskip(NEXT) | instid1(VALU_DEP_3)
	v_dual_fmac_f32 v25, v179, v98 :: v_dual_add_f32 v9, v9, v23
	v_dual_add_f32 v11, v11, v57 :: v_dual_fmac_f32 v27, v181, v100
	v_dual_mul_f32 v23, v193, v113 :: v_dual_fma_f32 v55, v180, v100, -v55
	s_delay_alu instid0(VALU_DEP_2) | instskip(SKIP_3) | instid1(VALU_DEP_3)
	v_dual_add_f32 v9, v9, v25 :: v_dual_add_f32 v11, v11, v59
	v_dual_mul_f32 v31, v184, v105 :: v_dual_mul_f32 v33, v186, v107
	s_wait_loadcnt_dscnt 0x904
	v_dual_mul_f32 v25, v195, v115 :: v_dual_fma_f32 v13, v182, v102, -v13
	v_dual_fmac_f32 v29, v183, v102 :: v_dual_add_f32 v9, v9, v27
	v_dual_add_f32 v11, v11, v55 :: v_dual_mul_f32 v27, v197, v117
	v_fmac_f32_e32 v31, v185, v104
	s_delay_alu instid0(VALU_DEP_3) | instskip(NEXT) | instid1(VALU_DEP_3)
	v_dual_fma_f32 v15, v184, v104, -v15 :: v_dual_add_f32 v9, v9, v29
	v_add_f32_e32 v11, v11, v13
	v_dual_mul_f32 v35, v188, v109 :: v_dual_mul_f32 v37, v190, v111
	s_wait_loadcnt_dscnt 0x803
	v_dual_mul_f32 v13, v199, v119 :: v_dual_fma_f32 v17, v186, v106, -v17
	v_dual_fmac_f32 v33, v187, v106 :: v_dual_add_f32 v9, v9, v31
	v_dual_add_f32 v11, v11, v15 :: v_dual_mul_f32 v15, v201, v121
	v_fmac_f32_e32 v35, v189, v108
	s_delay_alu instid0(VALU_DEP_3) | instskip(NEXT) | instid1(VALU_DEP_3)
	v_dual_fma_f32 v19, v188, v108, -v19 :: v_dual_add_f32 v9, v9, v33
	v_add_f32_e32 v11, v11, v17
	;; [unrolled: 9-line block ×4, first 2 shown]
	v_dual_mul_f32 v47, v200, v121 :: v_dual_mul_f32 v49, v202, v123
	s_wait_loadcnt 0x5
	v_dual_mul_f32 v25, v147, v131 :: v_dual_fma_f32 v13, v198, v118, -v13
	v_dual_fmac_f32 v45, v199, v118 :: v_dual_add_f32 v9, v9, v43
	v_dual_add_f32 v11, v11, v27 :: v_dual_mov_b32 v82, v133
	v_fmac_f32_e32 v47, v201, v120
	s_delay_alu instid0(VALU_DEP_3) | instskip(NEXT) | instid1(VALU_DEP_3)
	v_dual_fma_f32 v15, v200, v120, -v15 :: v_dual_add_f32 v9, v9, v45
	v_add_f32_e32 v11, v11, v13
	v_dual_mul_f32 v51, v204, v125 :: v_dual_mul_f32 v53, v206, v127
	s_delay_alu instid0(VALU_DEP_3) | instskip(NEXT) | instid1(VALU_DEP_3)
	v_dual_fmac_f32 v49, v203, v122 :: v_dual_add_f32 v9, v9, v47
	v_dual_fma_f32 v13, v202, v122, -v17 :: v_dual_add_f32 v11, v11, v15
	s_wait_loadcnt 0x4
	v_dual_mov_b32 v86, v137 :: v_dual_fma_f32 v15, v204, v124, -v19
	v_fmac_f32_e32 v51, v205, v124
	v_dual_add_f32 v9, v9, v49 :: v_dual_fmac_f32 v53, v207, v126
	v_add_f32_e32 v11, v11, v13
	v_dual_mul_f32 v225, v208, v129 :: v_dual_mul_f32 v227, v146, v131
	s_delay_alu instid0(VALU_DEP_3) | instskip(NEXT) | instid1(VALU_DEP_2)
	v_dual_fma_f32 v13, v206, v126, -v21 :: v_dual_add_f32 v9, v9, v51
	v_dual_add_f32 v11, v11, v15 :: v_dual_fmac_f32 v225, v209, v128
	v_fma_f32 v224, v208, v128, -v23
	v_pk_mul_f32 v[82:83], v[216:217], v[82:83] op_sel_hi:[1,0]
	s_delay_alu instid0(VALU_DEP_4)
	v_add_f32_e32 v91, v9, v53
	s_wait_loadcnt 0x3
	v_dual_add_f32 v90, v11, v13 :: v_dual_mov_b32 v92, v141
	v_pk_mul_f32 v[84:85], v[150:151], v[134:135] op_sel:[1,1] op_sel_hi:[0,1]
	v_dual_fmac_f32 v227, v147, v130 :: v_dual_fma_f32 v226, v146, v130, -v25
	v_pk_fma_f32 v[94:95], v[148:149], v[132:133], v[82:83] op_sel_hi:[1,0,1]
	s_delay_alu instid0(VALU_DEP_4)
	v_pk_add_f32 v[90:91], v[90:91], v[224:225]
	v_pk_fma_f32 v[82:83], v[148:149], v[132:133], v[82:83] neg_lo:[0,0,1] neg_hi:[0,0,1]
	v_pk_fma_f32 v[96:97], v[150:151], v[134:135], v[84:85] op_sel_hi:[1,0,1]
	v_pk_mul_f32 v[86:87], v[218:219], v[86:87] op_sel_hi:[1,0]
	v_mov_b32_e32 v83, v95
	v_pk_add_f32 v[90:91], v[90:91], v[226:227]
	v_pk_fma_f32 v[84:85], v[150:151], v[134:135], v[84:85] neg_lo:[0,0,1] neg_hi:[0,0,1]
	v_pk_mul_f32 v[88:89], v[154:155], v[138:139] op_sel:[1,1] op_sel_hi:[0,1]
	v_mov_b32_e32 v85, v97
	v_pk_fma_f32 v[96:97], v[152:153], v[136:137], v[86:87] op_sel_hi:[1,0,1]
	v_pk_add_f32 v[82:83], v[90:91], v[82:83]
	v_pk_fma_f32 v[86:87], v[152:153], v[136:137], v[86:87] neg_lo:[0,0,1] neg_hi:[0,0,1]
	v_pk_fma_f32 v[90:91], v[154:155], v[138:139], v[88:89] op_sel_hi:[1,0,1]
	v_pk_mul_f32 v[92:93], v[220:221], v[92:93] op_sel_hi:[1,0]
	v_mov_b32_e32 v87, v97
	v_pk_add_f32 v[82:83], v[82:83], v[84:85]
	v_pk_fma_f32 v[88:89], v[154:155], v[138:139], v[88:89] neg_lo:[0,0,1] neg_hi:[0,0,1]
	s_wait_loadcnt 0x2
	v_pk_mul_f32 v[94:95], v[158:159], v[142:143] op_sel:[1,1] op_sel_hi:[0,1]
	v_dual_mov_b32 v84, v145 :: v_dual_mov_b32 v89, v91
	v_pk_fma_f32 v[90:91], v[156:157], v[140:141], v[92:93] op_sel_hi:[1,0,1]
	v_pk_add_f32 v[82:83], v[82:83], v[86:87]
	v_pk_fma_f32 v[92:93], v[156:157], v[140:141], v[92:93] neg_lo:[0,0,1] neg_hi:[0,0,1]
	v_pk_fma_f32 v[86:87], v[158:159], v[142:143], v[94:95] op_sel_hi:[1,0,1]
	v_pk_mul_f32 v[84:85], v[222:223], v[84:85] op_sel_hi:[1,0]
	v_mov_b32_e32 v93, v91
	v_pk_add_f32 v[82:83], v[82:83], v[88:89]
	v_pk_fma_f32 v[88:89], v[158:159], v[142:143], v[94:95] neg_lo:[0,0,1] neg_hi:[0,0,1]
	v_mov_b32_e32 v89, v87
	v_pk_fma_f32 v[86:87], v[160:161], v[144:145], v[84:85] op_sel_hi:[1,0,1]
	s_wait_loadcnt_dscnt 0x100
	v_pk_mul_f32 v[90:91], v[214:215], v[210:211] op_sel:[1,1] op_sel_hi:[0,1]
	v_pk_add_f32 v[82:83], v[82:83], v[92:93]
	v_pk_fma_f32 v[84:85], v[160:161], v[144:145], v[84:85] neg_lo:[0,0,1] neg_hi:[0,0,1]
	v_mov_b32_e32 v85, v87
	s_delay_alu instid0(VALU_DEP_4) | instskip(NEXT) | instid1(VALU_DEP_4)
	v_pk_fma_f32 v[86:87], v[214:215], v[210:211], v[90:91] op_sel_hi:[1,0,1]
	v_pk_add_f32 v[82:83], v[82:83], v[88:89]
	v_pk_fma_f32 v[88:89], v[214:215], v[210:211], v[90:91] neg_lo:[0,0,1] neg_hi:[0,0,1]
	s_delay_alu instid0(VALU_DEP_3) | instskip(NEXT) | instid1(VALU_DEP_3)
	v_mov_b32_e32 v89, v87
	v_pk_add_f32 v[82:83], v[82:83], v[84:85]
	s_delay_alu instid0(VALU_DEP_1) | instskip(SKIP_1) | instid1(VALU_DEP_1)
	v_pk_add_f32 v[82:83], v[82:83], v[88:89]
	s_wait_loadcnt 0x0
	v_pk_add_f32 v[82:83], v[212:213], v[82:83] neg_lo:[0,1] neg_hi:[0,1]
	scratch_store_b64 off, v[82:83], off offset:48
	s_wait_xcnt 0x0
	v_cmpx_lt_u32_e32 5, v0
	s_cbranch_execz .LBB103_243
; %bb.242:
	scratch_load_b64 v[82:83], off, off offset:40
	v_mov_b64_e32 v[84:85], 0
	scratch_store_b64 off, v[84:85], off offset:40
	s_wait_loadcnt 0x0
	ds_store_b64 v1, v[82:83]
.LBB103_243:
	s_wait_xcnt 0x0
	s_or_b32 exec_lo, exec_lo, s0
	s_wait_storecnt_dscnt 0x0
	s_barrier_signal -1
	s_barrier_wait -1
	s_clause 0x11
	scratch_load_b128 v[82:85], off, off offset:48
	scratch_load_b128 v[86:89], off, off offset:64
	;; [unrolled: 1-line block ×17, first 2 shown]
	scratch_load_b64 v[218:219], off, off offset:40
	ds_load_b128 v[150:153], v7 offset:576
	ds_load_b128 v[154:157], v7 offset:592
	;; [unrolled: 1-line block ×17, first 2 shown]
	s_mov_b32 s0, exec_lo
	s_wait_dscnt 0x10
	v_dual_mov_b32 v220, v153 :: v_dual_mov_b32 v221, v152
	s_wait_dscnt 0xf
	v_dual_mov_b32 v222, v157 :: v_dual_mov_b32 v223, v156
	;; [unrolled: 2-line block ×4, first 2 shown]
	s_wait_loadcnt_dscnt 0x110b
	v_dual_mul_f32 v7, v170, v83 :: v_dual_mul_f32 v9, v172, v85
	v_dual_mul_f32 v55, v171, v83 :: v_dual_mul_f32 v57, v173, v85
	s_wait_loadcnt_dscnt 0x100a
	v_dual_mul_f32 v11, v174, v87 :: v_dual_mul_f32 v13, v176, v89
	s_delay_alu instid0(VALU_DEP_3) | instskip(SKIP_3) | instid1(VALU_DEP_3)
	v_dual_fmac_f32 v7, v171, v82 :: v_dual_fmac_f32 v9, v173, v84
	s_wait_loadcnt_dscnt 0xe08
	v_dual_fma_f32 v55, v170, v82, -v55 :: v_dual_mul_f32 v67, v183, v95
	v_dual_mul_f32 v59, v175, v87 :: v_dual_mul_f32 v61, v177, v89
	v_dual_fma_f32 v57, v172, v84, -v57 :: v_dual_add_f32 v7, 0, v7
	s_delay_alu instid0(VALU_DEP_3) | instskip(SKIP_1) | instid1(VALU_DEP_3)
	v_dual_add_f32 v55, 0, v55 :: v_dual_mul_f32 v69, v185, v97
	v_dual_fmac_f32 v11, v175, v86 :: v_dual_fmac_f32 v13, v177, v88
	v_dual_fma_f32 v59, v174, v86, -v59 :: v_dual_add_f32 v7, v7, v9
	s_delay_alu instid0(VALU_DEP_3) | instskip(SKIP_2) | instid1(VALU_DEP_4)
	v_dual_add_f32 v9, v55, v57 :: v_dual_fma_f32 v57, v176, v88, -v61
	v_dual_mul_f32 v15, v178, v91 :: v_dual_mul_f32 v17, v180, v93
	v_dual_mul_f32 v63, v179, v91 :: v_dual_mul_f32 v65, v181, v93
	v_add_f32_e32 v7, v7, v11
	s_delay_alu instid0(VALU_DEP_3) | instskip(NEXT) | instid1(VALU_DEP_3)
	v_dual_add_f32 v9, v9, v59 :: v_dual_fmac_f32 v15, v179, v90
	v_fma_f32 v59, v178, v90, -v63
	v_dual_mul_f32 v19, v182, v95 :: v_dual_mul_f32 v21, v184, v97
	s_delay_alu instid0(VALU_DEP_4) | instskip(SKIP_2) | instid1(VALU_DEP_2)
	v_dual_add_f32 v7, v7, v13 :: v_dual_fmac_f32 v17, v181, v92
	s_wait_loadcnt_dscnt 0xc06
	v_dual_add_f32 v9, v9, v57 :: v_dual_mul_f32 v13, v191, v103
	v_dual_fma_f32 v57, v180, v92, -v65 :: v_dual_add_f32 v7, v7, v15
	v_mul_f32_e32 v15, v193, v105
	s_delay_alu instid0(VALU_DEP_3) | instskip(NEXT) | instid1(VALU_DEP_3)
	v_dual_add_f32 v9, v9, v59 :: v_dual_fmac_f32 v19, v183, v94
	v_dual_fma_f32 v59, v182, v94, -v67 :: v_dual_add_f32 v7, v7, v17
	v_fmac_f32_e32 v21, v185, v96
	s_wait_loadcnt_dscnt 0xb05
	s_delay_alu instid0(VALU_DEP_3) | instskip(SKIP_3) | instid1(VALU_DEP_3)
	v_dual_add_f32 v9, v9, v57 :: v_dual_mul_f32 v17, v195, v107
	v_dual_mul_f32 v23, v186, v99 :: v_dual_mul_f32 v25, v188, v101
	v_dual_mul_f32 v55, v187, v99 :: v_dual_mul_f32 v11, v189, v101
	v_dual_fma_f32 v57, v184, v96, -v69 :: v_dual_add_f32 v7, v7, v19
	v_dual_add_f32 v9, v9, v59 :: v_dual_fmac_f32 v23, v187, v98
	s_delay_alu instid0(VALU_DEP_3) | instskip(NEXT) | instid1(VALU_DEP_3)
	v_dual_mul_f32 v19, v197, v109 :: v_dual_fma_f32 v55, v186, v98, -v55
	v_dual_add_f32 v7, v7, v21 :: v_dual_fmac_f32 v25, v189, v100
	s_wait_loadcnt_dscnt 0xa04
	s_delay_alu instid0(VALU_DEP_3) | instskip(SKIP_1) | instid1(VALU_DEP_3)
	v_dual_add_f32 v9, v9, v57 :: v_dual_mul_f32 v21, v199, v111
	v_dual_mul_f32 v27, v190, v103 :: v_dual_mul_f32 v29, v192, v105
	v_dual_fma_f32 v11, v188, v100, -v11 :: v_dual_add_f32 v7, v7, v23
	s_delay_alu instid0(VALU_DEP_2) | instskip(SKIP_1) | instid1(VALU_DEP_2)
	v_dual_add_f32 v9, v9, v55 :: v_dual_fmac_f32 v27, v191, v102
	v_dual_mul_f32 v23, v201, v113 :: v_dual_fma_f32 v13, v190, v102, -v13
	v_dual_add_f32 v7, v7, v25 :: v_dual_add_f32 v9, v9, v11
	v_dual_mul_f32 v31, v194, v107 :: v_dual_mul_f32 v33, v196, v109
	s_wait_loadcnt_dscnt 0x903
	v_dual_mul_f32 v11, v203, v115 :: v_dual_fmac_f32 v29, v193, v104
	s_delay_alu instid0(VALU_DEP_3) | instskip(NEXT) | instid1(VALU_DEP_3)
	v_dual_fma_f32 v15, v192, v104, -v15 :: v_dual_add_f32 v7, v7, v27
	v_dual_add_f32 v9, v9, v13 :: v_dual_fmac_f32 v31, v195, v106
	v_dual_mul_f32 v13, v205, v117 :: v_dual_fma_f32 v17, v194, v106, -v17
	s_delay_alu instid0(VALU_DEP_2) | instskip(SKIP_3) | instid1(VALU_DEP_3)
	v_dual_add_f32 v7, v7, v29 :: v_dual_add_f32 v9, v9, v15
	v_dual_mul_f32 v35, v198, v111 :: v_dual_mul_f32 v37, v200, v113
	s_wait_loadcnt_dscnt 0x802
	v_dual_mul_f32 v15, v207, v119 :: v_dual_fmac_f32 v33, v197, v108
	v_dual_fma_f32 v19, v196, v108, -v19 :: v_dual_add_f32 v7, v7, v31
	s_delay_alu instid0(VALU_DEP_3) | instskip(SKIP_1) | instid1(VALU_DEP_2)
	v_dual_add_f32 v9, v9, v17 :: v_dual_fmac_f32 v35, v199, v110
	v_dual_mul_f32 v17, v209, v121 :: v_dual_fma_f32 v21, v198, v110, -v21
	v_dual_add_f32 v7, v7, v33 :: v_dual_add_f32 v9, v9, v19
	v_dual_mul_f32 v39, v202, v115 :: v_dual_mul_f32 v41, v204, v117
	s_wait_loadcnt_dscnt 0x701
	v_dual_mul_f32 v19, v211, v123 :: v_dual_fmac_f32 v37, v201, v112
	s_delay_alu instid0(VALU_DEP_3) | instskip(NEXT) | instid1(VALU_DEP_3)
	v_dual_fma_f32 v23, v200, v112, -v23 :: v_dual_add_f32 v7, v7, v35
	v_dual_add_f32 v9, v9, v21 :: v_dual_fmac_f32 v39, v203, v114
	v_dual_mul_f32 v21, v213, v125 :: v_dual_fma_f32 v11, v202, v114, -v11
	s_delay_alu instid0(VALU_DEP_2) | instskip(SKIP_3) | instid1(VALU_DEP_3)
	v_dual_add_f32 v7, v7, v37 :: v_dual_add_f32 v9, v9, v23
	v_dual_mul_f32 v43, v206, v119 :: v_dual_mul_f32 v45, v208, v121
	s_wait_loadcnt_dscnt 0x600
	v_dual_mul_f32 v23, v215, v127 :: v_dual_fmac_f32 v41, v205, v116
	v_dual_fma_f32 v13, v204, v116, -v13 :: v_dual_add_f32 v7, v7, v39
	s_delay_alu instid0(VALU_DEP_3) | instskip(SKIP_1) | instid1(VALU_DEP_3)
	v_dual_add_f32 v9, v9, v11 :: v_dual_fmac_f32 v43, v207, v118
	v_dual_mul_f32 v11, v217, v129 :: v_dual_fma_f32 v15, v206, v118, -v15
	v_dual_add_f32 v7, v7, v41 :: v_dual_fmac_f32 v45, v209, v120
	s_wait_loadcnt 0x5
	s_delay_alu instid0(VALU_DEP_3) | instskip(SKIP_1) | instid1(VALU_DEP_3)
	v_dual_add_f32 v9, v9, v13 :: v_dual_mul_f32 v13, v167, v131
	v_dual_mul_f32 v47, v210, v123 :: v_dual_mul_f32 v49, v212, v125
	v_dual_fma_f32 v17, v208, v120, -v17 :: v_dual_add_f32 v7, v7, v43
	s_delay_alu instid0(VALU_DEP_2) | instskip(SKIP_1) | instid1(VALU_DEP_3)
	v_dual_add_f32 v9, v9, v15 :: v_dual_fmac_f32 v47, v211, v122
	v_dual_mul_f32 v15, v169, v133 :: v_dual_fma_f32 v19, v210, v122, -v19
	v_dual_add_f32 v7, v7, v45 :: v_dual_fmac_f32 v49, v213, v124
	s_delay_alu instid0(VALU_DEP_3) | instskip(SKIP_2) | instid1(VALU_DEP_3)
	v_dual_add_f32 v9, v9, v17 :: v_dual_fma_f32 v17, v212, v124, -v21
	v_dual_mul_f32 v51, v214, v127 :: v_dual_mul_f32 v53, v216, v129
	s_wait_loadcnt 0x4
	v_dual_add_f32 v7, v7, v47 :: v_dual_mov_b32 v84, v137
	s_delay_alu instid0(VALU_DEP_2) | instskip(NEXT) | instid1(VALU_DEP_2)
	v_dual_add_f32 v9, v9, v19 :: v_dual_fmac_f32 v51, v215, v126
	v_dual_fma_f32 v19, v214, v126, -v23 :: v_dual_add_f32 v7, v7, v49
	v_dual_mul_f32 v229, v166, v131 :: v_dual_mul_f32 v231, v168, v133
	s_delay_alu instid0(VALU_DEP_3) | instskip(NEXT) | instid1(VALU_DEP_3)
	v_dual_add_f32 v9, v9, v17 :: v_dual_fma_f32 v11, v216, v128, -v11
	v_dual_fmac_f32 v53, v217, v128 :: v_dual_add_f32 v7, v7, v51
	v_pk_mul_f32 v[82:83], v[150:151], v[134:135] op_sel:[1,1] op_sel_hi:[0,1]
	s_delay_alu instid0(VALU_DEP_3) | instskip(SKIP_2) | instid1(VALU_DEP_2)
	v_dual_add_f32 v9, v9, v19 :: v_dual_fmac_f32 v229, v167, v130
	s_wait_loadcnt 0x3
	v_dual_mov_b32 v88, v141 :: v_dual_fma_f32 v228, v166, v130, -v13
	v_dual_add_f32 v91, v7, v53 :: v_dual_add_f32 v90, v9, v11
	v_fmac_f32_e32 v231, v169, v132
	v_pk_fma_f32 v[92:93], v[150:151], v[134:135], v[82:83] op_sel_hi:[1,0,1]
	v_fma_f32 v230, v168, v132, -v15
	v_pk_mul_f32 v[84:85], v[220:221], v[84:85] op_sel_hi:[1,0]
	v_pk_add_f32 v[90:91], v[90:91], v[228:229]
	v_pk_fma_f32 v[82:83], v[150:151], v[134:135], v[82:83] neg_lo:[0,0,1] neg_hi:[0,0,1]
	v_pk_mul_f32 v[86:87], v[154:155], v[138:139] op_sel:[1,1] op_sel_hi:[0,1]
	v_mov_b32_e32 v83, v93
	v_pk_fma_f32 v[92:93], v[152:153], v[136:137], v[84:85] op_sel_hi:[1,0,1]
	v_pk_add_f32 v[90:91], v[90:91], v[230:231]
	v_pk_fma_f32 v[84:85], v[152:153], v[136:137], v[84:85] neg_lo:[0,0,1] neg_hi:[0,0,1]
	v_pk_fma_f32 v[96:97], v[154:155], v[138:139], v[86:87] op_sel_hi:[1,0,1]
	v_pk_mul_f32 v[88:89], v[222:223], v[88:89] op_sel_hi:[1,0]
	v_mov_b32_e32 v85, v93
	v_pk_add_f32 v[82:83], v[90:91], v[82:83]
	s_wait_loadcnt 0x2
	v_pk_mul_f32 v[94:95], v[158:159], v[142:143] op_sel:[1,1] op_sel_hi:[0,1]
	v_mov_b32_e32 v90, v145
	v_pk_fma_f32 v[86:87], v[154:155], v[138:139], v[86:87] neg_lo:[0,0,1] neg_hi:[0,0,1]
	v_pk_fma_f32 v[92:93], v[156:157], v[140:141], v[88:89] op_sel_hi:[1,0,1]
	v_mov_b32_e32 v87, v97
	v_pk_add_f32 v[82:83], v[82:83], v[84:85]
	v_pk_fma_f32 v[84:85], v[158:159], v[142:143], v[94:95] op_sel_hi:[1,0,1]
	v_pk_mul_f32 v[90:91], v[224:225], v[90:91] op_sel_hi:[1,0]
	v_pk_fma_f32 v[88:89], v[156:157], v[140:141], v[88:89] neg_lo:[0,0,1] neg_hi:[0,0,1]
	v_mov_b32_e32 v89, v93
	v_pk_add_f32 v[82:83], v[82:83], v[86:87]
	v_pk_fma_f32 v[92:93], v[158:159], v[142:143], v[94:95] neg_lo:[0,0,1] neg_hi:[0,0,1]
	v_mov_b32_e32 v93, v85
	v_pk_fma_f32 v[84:85], v[160:161], v[144:145], v[90:91] op_sel_hi:[1,0,1]
	s_wait_loadcnt 0x1
	v_pk_mul_f32 v[86:87], v[162:163], v[146:147] op_sel:[1,1] op_sel_hi:[0,1]
	v_pk_add_f32 v[82:83], v[82:83], v[88:89]
	v_mov_b32_e32 v84, v149
	v_pk_fma_f32 v[90:91], v[160:161], v[144:145], v[90:91] neg_lo:[0,0,1] neg_hi:[0,0,1]
	s_delay_alu instid0(VALU_DEP_4)
	v_pk_fma_f32 v[88:89], v[162:163], v[146:147], v[86:87] op_sel_hi:[1,0,1]
	v_mov_b32_e32 v91, v85
	v_pk_add_f32 v[82:83], v[82:83], v[92:93]
	v_pk_mul_f32 v[84:85], v[226:227], v[84:85] op_sel_hi:[1,0]
	v_pk_fma_f32 v[86:87], v[162:163], v[146:147], v[86:87] neg_lo:[0,0,1] neg_hi:[0,0,1]
	v_mov_b32_e32 v87, v89
	s_delay_alu instid0(VALU_DEP_4) | instskip(NEXT) | instid1(VALU_DEP_4)
	v_pk_add_f32 v[82:83], v[82:83], v[90:91]
	v_pk_fma_f32 v[88:89], v[164:165], v[148:149], v[84:85] op_sel_hi:[1,0,1]
	v_pk_fma_f32 v[84:85], v[164:165], v[148:149], v[84:85] neg_lo:[0,0,1] neg_hi:[0,0,1]
	s_delay_alu instid0(VALU_DEP_3) | instskip(NEXT) | instid1(VALU_DEP_3)
	v_pk_add_f32 v[82:83], v[82:83], v[86:87]
	v_mov_b32_e32 v85, v89
	s_delay_alu instid0(VALU_DEP_1) | instskip(SKIP_1) | instid1(VALU_DEP_1)
	v_pk_add_f32 v[82:83], v[82:83], v[84:85]
	s_wait_loadcnt 0x0
	v_pk_add_f32 v[82:83], v[218:219], v[82:83] neg_lo:[0,1] neg_hi:[0,1]
	scratch_store_b64 off, v[82:83], off offset:40
	s_wait_xcnt 0x0
	v_cmpx_lt_u32_e32 4, v0
	s_cbranch_execz .LBB103_245
; %bb.244:
	scratch_load_b64 v[82:83], off, off offset:32
	v_mov_b64_e32 v[84:85], 0
	scratch_store_b64 off, v[84:85], off offset:32
	s_wait_loadcnt 0x0
	ds_store_b64 v1, v[82:83]
.LBB103_245:
	s_wait_xcnt 0x0
	s_or_b32 exec_lo, exec_lo, s0
	s_wait_storecnt_dscnt 0x0
	s_barrier_signal -1
	s_barrier_wait -1
	s_clause 0x12
	scratch_load_b128 v[82:85], off, off offset:40
	scratch_load_b128 v[86:89], off, off offset:56
	;; [unrolled: 1-line block ×17, first 2 shown]
	scratch_load_b64 v[218:219], off, off offset:312
	scratch_load_b64 v[220:221], off, off offset:32
	v_mov_b32_e32 v7, 0
	ds_load_2addr_b64 v[150:153], v7 offset0:71 offset1:72
	ds_load_2addr_b64 v[154:157], v7 offset0:73 offset1:74
	;; [unrolled: 1-line block ×17, first 2 shown]
	ds_load_b64 v[222:223], v7 offset:632
	s_mov_b32 s0, exec_lo
	s_wait_dscnt 0x11
	v_dual_mov_b32 v224, v153 :: v_dual_mov_b32 v225, v152
	s_wait_dscnt 0x10
	v_dual_mov_b32 v226, v157 :: v_dual_mov_b32 v227, v156
	;; [unrolled: 2-line block ×3, first 2 shown]
	v_dual_mov_b32 v229, v160 :: v_dual_mov_b32 v230, v169
	s_wait_loadcnt_dscnt 0x120c
	v_dual_mul_f32 v9, v170, v83 :: v_dual_mul_f32 v59, v171, v83
	v_dual_mul_f32 v61, v173, v85 :: v_dual_mul_f32 v11, v172, v85
	s_wait_loadcnt_dscnt 0x110b
	v_mul_f32_e32 v13, v174, v87
	s_wait_loadcnt_dscnt 0xf09
	v_dual_mul_f32 v71, v183, v95 :: v_dual_fma_f32 v59, v170, v82, -v59
	v_dual_fmac_f32 v9, v171, v82 :: v_dual_mul_f32 v73, v185, v97
	v_dual_mul_f32 v63, v175, v87 :: v_dual_mul_f32 v65, v177, v89
	v_dual_fmac_f32 v11, v173, v84 :: v_dual_fma_f32 v61, v172, v84, -v61
	s_delay_alu instid0(VALU_DEP_3) | instskip(SKIP_3) | instid1(VALU_DEP_3)
	v_dual_add_f32 v9, 0, v9 :: v_dual_add_f32 v59, 0, v59
	v_dual_mul_f32 v15, v176, v89 :: v_dual_mul_f32 v17, v178, v91
	s_wait_loadcnt_dscnt 0xe08
	v_dual_mul_f32 v75, v187, v99 :: v_dual_fma_f32 v63, v174, v86, -v63
	v_dual_fmac_f32 v13, v175, v86 :: v_dual_add_f32 v9, v9, v11
	s_delay_alu instid0(VALU_DEP_3) | instskip(SKIP_2) | instid1(VALU_DEP_3)
	v_dual_add_f32 v11, v59, v61 :: v_dual_fmac_f32 v15, v177, v88
	v_dual_mul_f32 v67, v179, v91 :: v_dual_mul_f32 v69, v181, v93
	v_dual_mul_f32 v59, v189, v101 :: v_dual_fma_f32 v61, v176, v88, -v65
	v_dual_add_f32 v9, v9, v13 :: v_dual_add_f32 v11, v11, v63
	v_dual_mul_f32 v19, v180, v93 :: v_dual_mul_f32 v21, v182, v95
	s_wait_loadcnt_dscnt 0xd07
	v_dual_mul_f32 v13, v191, v103 :: v_dual_fma_f32 v63, v178, v90, -v67
	s_delay_alu instid0(VALU_DEP_3) | instskip(NEXT) | instid1(VALU_DEP_3)
	v_dual_fmac_f32 v17, v179, v90 :: v_dual_add_f32 v9, v9, v15
	v_dual_add_f32 v11, v11, v61 :: v_dual_fmac_f32 v19, v181, v92
	v_dual_mul_f32 v15, v193, v105 :: v_dual_fma_f32 v61, v180, v92, -v69
	s_delay_alu instid0(VALU_DEP_2) | instskip(SKIP_3) | instid1(VALU_DEP_3)
	v_dual_add_f32 v9, v9, v17 :: v_dual_add_f32 v11, v11, v63
	v_dual_mul_f32 v23, v184, v97 :: v_dual_mul_f32 v25, v186, v99
	s_wait_loadcnt_dscnt 0xc06
	v_dual_mul_f32 v17, v195, v107 :: v_dual_fma_f32 v63, v182, v94, -v71
	v_dual_fmac_f32 v21, v183, v94 :: v_dual_add_f32 v9, v9, v19
	s_delay_alu instid0(VALU_DEP_3) | instskip(SKIP_1) | instid1(VALU_DEP_2)
	v_dual_add_f32 v11, v11, v61 :: v_dual_fmac_f32 v23, v185, v96
	v_dual_mul_f32 v19, v197, v109 :: v_dual_fma_f32 v61, v184, v96, -v73
	v_dual_add_f32 v9, v9, v21 :: v_dual_add_f32 v11, v11, v63
	v_dual_mul_f32 v27, v188, v101 :: v_dual_mul_f32 v29, v190, v103
	s_wait_loadcnt_dscnt 0xb05
	v_dual_mul_f32 v21, v199, v111 :: v_dual_fma_f32 v63, v186, v98, -v75
	s_delay_alu instid0(VALU_DEP_3) | instskip(NEXT) | instid1(VALU_DEP_3)
	v_dual_fmac_f32 v25, v187, v98 :: v_dual_add_f32 v9, v9, v23
	v_dual_add_f32 v11, v11, v61 :: v_dual_fmac_f32 v27, v189, v100
	v_dual_mul_f32 v23, v201, v113 :: v_dual_fma_f32 v59, v188, v100, -v59
	s_delay_alu instid0(VALU_DEP_2) | instskip(SKIP_3) | instid1(VALU_DEP_3)
	v_dual_add_f32 v9, v9, v25 :: v_dual_add_f32 v11, v11, v63
	v_dual_mul_f32 v31, v192, v105 :: v_dual_mul_f32 v33, v194, v107
	s_wait_loadcnt_dscnt 0xa04
	v_dual_mul_f32 v25, v203, v115 :: v_dual_fma_f32 v13, v190, v102, -v13
	v_dual_fmac_f32 v29, v191, v102 :: v_dual_add_f32 v9, v9, v27
	v_dual_add_f32 v11, v11, v59 :: v_dual_mul_f32 v27, v205, v117
	v_fmac_f32_e32 v31, v193, v104
	s_delay_alu instid0(VALU_DEP_3) | instskip(NEXT) | instid1(VALU_DEP_3)
	v_dual_fma_f32 v15, v192, v104, -v15 :: v_dual_add_f32 v9, v9, v29
	v_add_f32_e32 v11, v11, v13
	v_dual_mul_f32 v35, v196, v109 :: v_dual_mul_f32 v37, v198, v111
	s_wait_loadcnt_dscnt 0x903
	v_dual_mul_f32 v13, v207, v119 :: v_dual_fma_f32 v17, v194, v106, -v17
	v_dual_fmac_f32 v33, v195, v106 :: v_dual_add_f32 v9, v9, v31
	v_dual_add_f32 v11, v11, v15 :: v_dual_mul_f32 v15, v209, v121
	v_fmac_f32_e32 v35, v197, v108
	s_delay_alu instid0(VALU_DEP_3) | instskip(NEXT) | instid1(VALU_DEP_3)
	v_dual_fma_f32 v19, v196, v108, -v19 :: v_dual_add_f32 v9, v9, v33
	v_add_f32_e32 v11, v11, v17
	v_dual_mul_f32 v39, v200, v113 :: v_dual_mul_f32 v41, v202, v115
	s_wait_loadcnt_dscnt 0x802
	v_dual_mul_f32 v17, v211, v123 :: v_dual_fma_f32 v21, v198, v110, -v21
	v_dual_fmac_f32 v37, v199, v110 :: v_dual_add_f32 v9, v9, v35
	v_dual_add_f32 v11, v11, v19 :: v_dual_mul_f32 v19, v213, v125
	v_fmac_f32_e32 v39, v201, v112
	s_delay_alu instid0(VALU_DEP_3) | instskip(NEXT) | instid1(VALU_DEP_3)
	v_dual_fma_f32 v23, v200, v112, -v23 :: v_dual_add_f32 v9, v9, v37
	v_add_f32_e32 v11, v11, v21
	v_dual_mul_f32 v43, v204, v117 :: v_dual_mul_f32 v45, v206, v119
	s_wait_loadcnt_dscnt 0x701
	v_dual_mul_f32 v21, v215, v127 :: v_dual_fma_f32 v25, v202, v114, -v25
	v_dual_fmac_f32 v41, v203, v114 :: v_dual_add_f32 v9, v9, v39
	v_dual_add_f32 v11, v11, v23 :: v_dual_mul_f32 v23, v217, v129
	v_fmac_f32_e32 v43, v205, v116
	s_delay_alu instid0(VALU_DEP_3) | instskip(NEXT) | instid1(VALU_DEP_3)
	v_dual_fma_f32 v27, v204, v116, -v27 :: v_dual_add_f32 v9, v9, v41
	v_add_f32_e32 v11, v11, v25
	v_dual_mul_f32 v47, v208, v121 :: v_dual_mul_f32 v49, v210, v123
	s_wait_loadcnt 0x6
	v_dual_mul_f32 v25, v163, v131 :: v_dual_fma_f32 v13, v206, v118, -v13
	v_dual_fmac_f32 v45, v207, v118 :: v_dual_add_f32 v9, v9, v43
	v_dual_add_f32 v11, v11, v27 :: v_dual_mul_f32 v27, v165, v133
	v_fmac_f32_e32 v47, v209, v120
	s_delay_alu instid0(VALU_DEP_3) | instskip(NEXT) | instid1(VALU_DEP_3)
	v_dual_fma_f32 v15, v208, v120, -v15 :: v_dual_add_f32 v9, v9, v45
	v_add_f32_e32 v11, v11, v13
	v_dual_mul_f32 v51, v212, v125 :: v_dual_mul_f32 v53, v214, v127
	s_wait_loadcnt 0x5
	v_dual_mul_f32 v13, v151, v135 :: v_dual_fma_f32 v17, v210, v122, -v17
	v_dual_fmac_f32 v49, v211, v122 :: v_dual_add_f32 v9, v9, v47
	v_dual_add_f32 v11, v11, v15 :: v_dual_mov_b32 v82, v137
	v_fmac_f32_e32 v51, v213, v124
	s_delay_alu instid0(VALU_DEP_3) | instskip(NEXT) | instid1(VALU_DEP_3)
	v_dual_fma_f32 v15, v212, v124, -v19 :: v_dual_add_f32 v9, v9, v49
	v_add_f32_e32 v11, v11, v17
	v_dual_mul_f32 v55, v216, v129 :: v_dual_mul_f32 v57, v162, v131
	s_delay_alu instid0(VALU_DEP_3) | instskip(NEXT) | instid1(VALU_DEP_3)
	v_dual_fmac_f32 v53, v215, v126 :: v_dual_add_f32 v9, v9, v51
	v_dual_fma_f32 v17, v214, v126, -v21 :: v_dual_add_f32 v11, v11, v15
	s_wait_loadcnt 0x4
	v_dual_mov_b32 v86, v141 :: v_dual_fma_f32 v15, v216, v128, -v23
	v_fmac_f32_e32 v55, v217, v128
	v_dual_add_f32 v9, v9, v53 :: v_dual_fmac_f32 v57, v163, v130
	v_add_f32_e32 v11, v11, v17
	v_dual_mul_f32 v233, v164, v133 :: v_dual_mul_f32 v235, v150, v135
	s_delay_alu instid0(VALU_DEP_3) | instskip(NEXT) | instid1(VALU_DEP_2)
	v_dual_fma_f32 v17, v162, v130, -v25 :: v_dual_add_f32 v9, v9, v55
	v_dual_add_f32 v11, v11, v15 :: v_dual_fmac_f32 v233, v165, v132
	v_fma_f32 v232, v164, v132, -v27
	v_pk_mul_f32 v[82:83], v[224:225], v[82:83] op_sel_hi:[1,0]
	s_delay_alu instid0(VALU_DEP_4)
	v_add_f32_e32 v91, v9, v57
	s_wait_loadcnt 0x3
	v_dual_add_f32 v90, v11, v17 :: v_dual_mov_b32 v92, v145
	v_pk_mul_f32 v[84:85], v[154:155], v[138:139] op_sel:[1,1] op_sel_hi:[0,1]
	v_dual_fmac_f32 v235, v151, v134 :: v_dual_fma_f32 v234, v150, v134, -v13
	v_pk_fma_f32 v[94:95], v[152:153], v[136:137], v[82:83] op_sel_hi:[1,0,1]
	s_delay_alu instid0(VALU_DEP_4)
	v_pk_add_f32 v[90:91], v[90:91], v[232:233]
	v_pk_fma_f32 v[82:83], v[152:153], v[136:137], v[82:83] neg_lo:[0,0,1] neg_hi:[0,0,1]
	v_pk_fma_f32 v[96:97], v[154:155], v[138:139], v[84:85] op_sel_hi:[1,0,1]
	v_pk_mul_f32 v[86:87], v[226:227], v[86:87] op_sel_hi:[1,0]
	v_mov_b32_e32 v83, v95
	v_pk_add_f32 v[90:91], v[90:91], v[234:235]
	v_pk_fma_f32 v[84:85], v[154:155], v[138:139], v[84:85] neg_lo:[0,0,1] neg_hi:[0,0,1]
	v_pk_mul_f32 v[88:89], v[158:159], v[142:143] op_sel:[1,1] op_sel_hi:[0,1]
	v_mov_b32_e32 v85, v97
	v_pk_fma_f32 v[96:97], v[156:157], v[140:141], v[86:87] op_sel_hi:[1,0,1]
	v_pk_add_f32 v[82:83], v[90:91], v[82:83]
	v_pk_fma_f32 v[86:87], v[156:157], v[140:141], v[86:87] neg_lo:[0,0,1] neg_hi:[0,0,1]
	v_pk_fma_f32 v[90:91], v[158:159], v[142:143], v[88:89] op_sel_hi:[1,0,1]
	v_pk_mul_f32 v[92:93], v[228:229], v[92:93] op_sel_hi:[1,0]
	v_mov_b32_e32 v87, v97
	v_pk_add_f32 v[82:83], v[82:83], v[84:85]
	v_pk_fma_f32 v[88:89], v[158:159], v[142:143], v[88:89] neg_lo:[0,0,1] neg_hi:[0,0,1]
	s_wait_loadcnt 0x2
	v_pk_mul_f32 v[94:95], v[166:167], v[146:147] op_sel:[1,1] op_sel_hi:[0,1]
	v_dual_mov_b32 v84, v149 :: v_dual_mov_b32 v89, v91
	v_pk_fma_f32 v[90:91], v[160:161], v[144:145], v[92:93] op_sel_hi:[1,0,1]
	v_pk_add_f32 v[82:83], v[82:83], v[86:87]
	v_pk_fma_f32 v[92:93], v[160:161], v[144:145], v[92:93] neg_lo:[0,0,1] neg_hi:[0,0,1]
	v_pk_fma_f32 v[86:87], v[166:167], v[146:147], v[94:95] op_sel_hi:[1,0,1]
	v_pk_mul_f32 v[84:85], v[230:231], v[84:85] op_sel_hi:[1,0]
	v_mov_b32_e32 v93, v91
	v_pk_add_f32 v[82:83], v[82:83], v[88:89]
	v_pk_fma_f32 v[88:89], v[166:167], v[146:147], v[94:95] neg_lo:[0,0,1] neg_hi:[0,0,1]
	v_mov_b32_e32 v89, v87
	v_pk_fma_f32 v[86:87], v[168:169], v[148:149], v[84:85] op_sel_hi:[1,0,1]
	s_wait_loadcnt_dscnt 0x100
	v_pk_mul_f32 v[90:91], v[222:223], v[218:219] op_sel:[1,1] op_sel_hi:[0,1]
	v_pk_add_f32 v[82:83], v[82:83], v[92:93]
	v_pk_fma_f32 v[84:85], v[168:169], v[148:149], v[84:85] neg_lo:[0,0,1] neg_hi:[0,0,1]
	v_mov_b32_e32 v85, v87
	s_delay_alu instid0(VALU_DEP_4) | instskip(NEXT) | instid1(VALU_DEP_4)
	v_pk_fma_f32 v[86:87], v[222:223], v[218:219], v[90:91] op_sel_hi:[1,0,1]
	v_pk_add_f32 v[82:83], v[82:83], v[88:89]
	v_pk_fma_f32 v[88:89], v[222:223], v[218:219], v[90:91] neg_lo:[0,0,1] neg_hi:[0,0,1]
	s_delay_alu instid0(VALU_DEP_3) | instskip(NEXT) | instid1(VALU_DEP_3)
	v_mov_b32_e32 v89, v87
	v_pk_add_f32 v[82:83], v[82:83], v[84:85]
	s_delay_alu instid0(VALU_DEP_1) | instskip(SKIP_1) | instid1(VALU_DEP_1)
	v_pk_add_f32 v[82:83], v[82:83], v[88:89]
	s_wait_loadcnt 0x0
	v_pk_add_f32 v[82:83], v[220:221], v[82:83] neg_lo:[0,1] neg_hi:[0,1]
	scratch_store_b64 off, v[82:83], off offset:32
	s_wait_xcnt 0x0
	v_cmpx_lt_u32_e32 3, v0
	s_cbranch_execz .LBB103_247
; %bb.246:
	scratch_load_b64 v[82:83], off, off offset:24
	v_mov_b64_e32 v[84:85], 0
	scratch_store_b64 off, v[84:85], off offset:24
	s_wait_loadcnt 0x0
	ds_store_b64 v1, v[82:83]
.LBB103_247:
	s_wait_xcnt 0x0
	s_or_b32 exec_lo, exec_lo, s0
	s_wait_storecnt_dscnt 0x0
	s_barrier_signal -1
	s_barrier_wait -1
	s_clause 0x12
	scratch_load_b128 v[82:85], off, off offset:32
	scratch_load_b128 v[86:89], off, off offset:48
	;; [unrolled: 1-line block ×18, first 2 shown]
	scratch_load_b64 v[226:227], off, off offset:24
	ds_load_b128 v[154:157], v7 offset:576
	ds_load_b128 v[158:161], v7 offset:592
	;; [unrolled: 1-line block ×18, first 2 shown]
	s_mov_b32 s0, exec_lo
	s_wait_dscnt 0x11
	v_dual_mov_b32 v228, v157 :: v_dual_mov_b32 v229, v156
	s_wait_dscnt 0x10
	v_dual_mov_b32 v230, v161 :: v_dual_mov_b32 v231, v160
	;; [unrolled: 2-line block ×4, first 2 shown]
	s_wait_loadcnt_dscnt 0x120d
	v_dual_mul_f32 v7, v170, v83 :: v_dual_mul_f32 v9, v172, v85
	v_dual_mul_f32 v59, v171, v83 :: v_dual_mul_f32 v61, v173, v85
	s_wait_loadcnt_dscnt 0x110c
	v_dual_mul_f32 v11, v174, v87 :: v_dual_mul_f32 v13, v176, v89
	s_delay_alu instid0(VALU_DEP_3) | instskip(SKIP_3) | instid1(VALU_DEP_3)
	v_dual_fmac_f32 v7, v171, v82 :: v_dual_fmac_f32 v9, v173, v84
	s_wait_loadcnt_dscnt 0xf0a
	v_dual_fma_f32 v59, v170, v82, -v59 :: v_dual_mul_f32 v71, v183, v95
	v_dual_mul_f32 v63, v175, v87 :: v_dual_mul_f32 v65, v177, v89
	v_dual_fma_f32 v61, v172, v84, -v61 :: v_dual_add_f32 v7, 0, v7
	s_delay_alu instid0(VALU_DEP_3) | instskip(SKIP_1) | instid1(VALU_DEP_3)
	v_dual_add_f32 v59, 0, v59 :: v_dual_mul_f32 v73, v185, v97
	v_dual_fmac_f32 v11, v175, v86 :: v_dual_fmac_f32 v13, v177, v88
	v_dual_fma_f32 v63, v174, v86, -v63 :: v_dual_add_f32 v7, v7, v9
	s_delay_alu instid0(VALU_DEP_3) | instskip(SKIP_2) | instid1(VALU_DEP_4)
	v_dual_add_f32 v9, v59, v61 :: v_dual_fma_f32 v61, v176, v88, -v65
	v_dual_mul_f32 v15, v178, v91 :: v_dual_mul_f32 v17, v180, v93
	v_dual_mul_f32 v67, v179, v91 :: v_dual_mul_f32 v69, v181, v93
	v_add_f32_e32 v7, v7, v11
	s_delay_alu instid0(VALU_DEP_3) | instskip(NEXT) | instid1(VALU_DEP_3)
	v_dual_add_f32 v9, v9, v63 :: v_dual_fmac_f32 v15, v179, v90
	v_fma_f32 v63, v178, v90, -v67
	v_dual_mul_f32 v19, v182, v95 :: v_dual_mul_f32 v21, v184, v97
	s_delay_alu instid0(VALU_DEP_4) | instskip(SKIP_2) | instid1(VALU_DEP_2)
	v_dual_add_f32 v7, v7, v13 :: v_dual_fmac_f32 v17, v181, v92
	s_wait_loadcnt_dscnt 0xd08
	v_dual_add_f32 v9, v9, v61 :: v_dual_mul_f32 v13, v191, v103
	v_dual_fma_f32 v61, v180, v92, -v69 :: v_dual_add_f32 v7, v7, v15
	v_mul_f32_e32 v15, v193, v105
	s_delay_alu instid0(VALU_DEP_3) | instskip(NEXT) | instid1(VALU_DEP_3)
	v_dual_add_f32 v9, v9, v63 :: v_dual_fmac_f32 v19, v183, v94
	v_dual_fma_f32 v63, v182, v94, -v71 :: v_dual_add_f32 v7, v7, v17
	v_fmac_f32_e32 v21, v185, v96
	s_wait_loadcnt_dscnt 0xc07
	s_delay_alu instid0(VALU_DEP_3) | instskip(SKIP_3) | instid1(VALU_DEP_3)
	v_dual_add_f32 v9, v9, v61 :: v_dual_mul_f32 v17, v195, v107
	v_dual_mul_f32 v23, v186, v99 :: v_dual_mul_f32 v25, v188, v101
	v_dual_mul_f32 v59, v187, v99 :: v_dual_mul_f32 v11, v189, v101
	v_dual_fma_f32 v61, v184, v96, -v73 :: v_dual_add_f32 v7, v7, v19
	v_dual_add_f32 v9, v9, v63 :: v_dual_fmac_f32 v23, v187, v98
	s_delay_alu instid0(VALU_DEP_3) | instskip(NEXT) | instid1(VALU_DEP_3)
	v_dual_mul_f32 v19, v197, v109 :: v_dual_fma_f32 v59, v186, v98, -v59
	v_dual_add_f32 v7, v7, v21 :: v_dual_fmac_f32 v25, v189, v100
	s_wait_loadcnt_dscnt 0xb06
	s_delay_alu instid0(VALU_DEP_3) | instskip(SKIP_1) | instid1(VALU_DEP_3)
	v_dual_add_f32 v9, v9, v61 :: v_dual_mul_f32 v21, v199, v111
	v_dual_mul_f32 v27, v190, v103 :: v_dual_mul_f32 v29, v192, v105
	v_dual_fma_f32 v11, v188, v100, -v11 :: v_dual_add_f32 v7, v7, v23
	s_delay_alu instid0(VALU_DEP_2) | instskip(SKIP_1) | instid1(VALU_DEP_2)
	v_dual_add_f32 v9, v9, v59 :: v_dual_fmac_f32 v27, v191, v102
	v_dual_mul_f32 v23, v201, v113 :: v_dual_fma_f32 v13, v190, v102, -v13
	v_dual_add_f32 v7, v7, v25 :: v_dual_add_f32 v9, v9, v11
	v_dual_mul_f32 v31, v194, v107 :: v_dual_mul_f32 v33, v196, v109
	s_wait_loadcnt_dscnt 0xa05
	v_dual_mul_f32 v11, v203, v115 :: v_dual_fmac_f32 v29, v193, v104
	s_delay_alu instid0(VALU_DEP_3) | instskip(NEXT) | instid1(VALU_DEP_3)
	v_dual_fma_f32 v15, v192, v104, -v15 :: v_dual_add_f32 v7, v7, v27
	v_dual_add_f32 v9, v9, v13 :: v_dual_fmac_f32 v31, v195, v106
	v_dual_mul_f32 v13, v205, v117 :: v_dual_fma_f32 v17, v194, v106, -v17
	s_delay_alu instid0(VALU_DEP_2) | instskip(SKIP_3) | instid1(VALU_DEP_3)
	v_dual_add_f32 v7, v7, v29 :: v_dual_add_f32 v9, v9, v15
	v_dual_mul_f32 v35, v198, v111 :: v_dual_mul_f32 v37, v200, v113
	s_wait_loadcnt_dscnt 0x904
	v_dual_mul_f32 v15, v207, v119 :: v_dual_fmac_f32 v33, v197, v108
	v_dual_fma_f32 v19, v196, v108, -v19 :: v_dual_add_f32 v7, v7, v31
	s_delay_alu instid0(VALU_DEP_3) | instskip(SKIP_1) | instid1(VALU_DEP_2)
	v_dual_add_f32 v9, v9, v17 :: v_dual_fmac_f32 v35, v199, v110
	v_dual_mul_f32 v17, v209, v121 :: v_dual_fma_f32 v21, v198, v110, -v21
	v_dual_add_f32 v7, v7, v33 :: v_dual_add_f32 v9, v9, v19
	v_dual_mul_f32 v39, v202, v115 :: v_dual_mul_f32 v41, v204, v117
	s_wait_loadcnt_dscnt 0x803
	v_dual_mul_f32 v19, v211, v123 :: v_dual_fmac_f32 v37, v201, v112
	s_delay_alu instid0(VALU_DEP_3) | instskip(NEXT) | instid1(VALU_DEP_3)
	v_dual_fma_f32 v23, v200, v112, -v23 :: v_dual_add_f32 v7, v7, v35
	v_dual_add_f32 v9, v9, v21 :: v_dual_fmac_f32 v39, v203, v114
	v_dual_mul_f32 v21, v213, v125 :: v_dual_fma_f32 v11, v202, v114, -v11
	s_delay_alu instid0(VALU_DEP_2) | instskip(SKIP_3) | instid1(VALU_DEP_3)
	v_dual_add_f32 v7, v7, v37 :: v_dual_add_f32 v9, v9, v23
	v_dual_mul_f32 v43, v206, v119 :: v_dual_mul_f32 v45, v208, v121
	s_wait_loadcnt_dscnt 0x702
	v_dual_mul_f32 v23, v215, v127 :: v_dual_fmac_f32 v41, v205, v116
	v_dual_fma_f32 v13, v204, v116, -v13 :: v_dual_add_f32 v7, v7, v39
	s_delay_alu instid0(VALU_DEP_3) | instskip(SKIP_1) | instid1(VALU_DEP_3)
	v_dual_add_f32 v9, v9, v11 :: v_dual_fmac_f32 v43, v207, v118
	v_dual_mul_f32 v11, v217, v129 :: v_dual_fma_f32 v15, v206, v118, -v15
	v_dual_add_f32 v7, v7, v41 :: v_dual_fmac_f32 v45, v209, v120
	s_wait_loadcnt_dscnt 0x601
	s_delay_alu instid0(VALU_DEP_3) | instskip(SKIP_1) | instid1(VALU_DEP_3)
	v_dual_add_f32 v9, v9, v13 :: v_dual_mul_f32 v13, v219, v131
	v_dual_mul_f32 v47, v210, v123 :: v_dual_mul_f32 v49, v212, v125
	v_dual_fma_f32 v17, v208, v120, -v17 :: v_dual_add_f32 v7, v7, v43
	s_delay_alu instid0(VALU_DEP_2) | instskip(SKIP_1) | instid1(VALU_DEP_3)
	v_dual_add_f32 v9, v9, v15 :: v_dual_fmac_f32 v47, v211, v122
	v_dual_mul_f32 v15, v221, v133 :: v_dual_fma_f32 v19, v210, v122, -v19
	v_dual_add_f32 v7, v7, v45 :: v_dual_fmac_f32 v49, v213, v124
	s_wait_loadcnt_dscnt 0x500
	s_delay_alu instid0(VALU_DEP_3) | instskip(SKIP_1) | instid1(VALU_DEP_3)
	v_dual_add_f32 v9, v9, v17 :: v_dual_mul_f32 v17, v223, v135
	v_dual_mul_f32 v51, v214, v127 :: v_dual_mul_f32 v53, v216, v129
	v_dual_fma_f32 v21, v212, v124, -v21 :: v_dual_add_f32 v7, v7, v47
	s_delay_alu instid0(VALU_DEP_2) | instskip(SKIP_1) | instid1(VALU_DEP_3)
	v_dual_add_f32 v9, v9, v19 :: v_dual_fmac_f32 v51, v215, v126
	v_dual_mul_f32 v19, v225, v137 :: v_dual_fma_f32 v23, v214, v126, -v23
	v_dual_add_f32 v7, v7, v49 :: v_dual_fmac_f32 v53, v217, v128
	s_delay_alu instid0(VALU_DEP_3) | instskip(SKIP_2) | instid1(VALU_DEP_3)
	v_dual_add_f32 v9, v9, v21 :: v_dual_fma_f32 v11, v216, v128, -v11
	v_dual_mul_f32 v55, v218, v131 :: v_dual_mul_f32 v57, v220, v133
	s_wait_loadcnt 0x4
	v_dual_add_f32 v7, v7, v51 :: v_dual_mov_b32 v84, v141
	s_delay_alu instid0(VALU_DEP_2) | instskip(NEXT) | instid1(VALU_DEP_2)
	v_dual_add_f32 v9, v9, v23 :: v_dual_fmac_f32 v55, v219, v130
	v_dual_fma_f32 v13, v218, v130, -v13 :: v_dual_add_f32 v7, v7, v53
	v_dual_mul_f32 v237, v222, v135 :: v_dual_mul_f32 v239, v224, v137
	s_delay_alu instid0(VALU_DEP_3) | instskip(NEXT) | instid1(VALU_DEP_3)
	v_dual_add_f32 v9, v9, v11 :: v_dual_fma_f32 v11, v220, v132, -v15
	v_dual_fmac_f32 v57, v221, v132 :: v_dual_add_f32 v7, v7, v55
	v_pk_mul_f32 v[82:83], v[154:155], v[138:139] op_sel:[1,1] op_sel_hi:[0,1]
	s_delay_alu instid0(VALU_DEP_3) | instskip(SKIP_2) | instid1(VALU_DEP_2)
	v_dual_add_f32 v9, v9, v13 :: v_dual_fmac_f32 v237, v223, v134
	s_wait_loadcnt 0x3
	v_dual_mov_b32 v88, v145 :: v_dual_fma_f32 v236, v222, v134, -v17
	v_dual_add_f32 v91, v7, v57 :: v_dual_add_f32 v90, v9, v11
	v_fmac_f32_e32 v239, v225, v136
	v_pk_fma_f32 v[92:93], v[154:155], v[138:139], v[82:83] op_sel_hi:[1,0,1]
	v_fma_f32 v238, v224, v136, -v19
	v_pk_mul_f32 v[84:85], v[228:229], v[84:85] op_sel_hi:[1,0]
	v_pk_add_f32 v[90:91], v[90:91], v[236:237]
	v_pk_fma_f32 v[82:83], v[154:155], v[138:139], v[82:83] neg_lo:[0,0,1] neg_hi:[0,0,1]
	v_pk_mul_f32 v[86:87], v[158:159], v[142:143] op_sel:[1,1] op_sel_hi:[0,1]
	v_mov_b32_e32 v83, v93
	v_pk_fma_f32 v[92:93], v[156:157], v[140:141], v[84:85] op_sel_hi:[1,0,1]
	v_pk_add_f32 v[90:91], v[90:91], v[238:239]
	v_pk_fma_f32 v[84:85], v[156:157], v[140:141], v[84:85] neg_lo:[0,0,1] neg_hi:[0,0,1]
	v_pk_fma_f32 v[96:97], v[158:159], v[142:143], v[86:87] op_sel_hi:[1,0,1]
	v_pk_mul_f32 v[88:89], v[230:231], v[88:89] op_sel_hi:[1,0]
	v_mov_b32_e32 v85, v93
	v_pk_add_f32 v[82:83], v[90:91], v[82:83]
	s_wait_loadcnt 0x2
	v_pk_mul_f32 v[94:95], v[162:163], v[146:147] op_sel:[1,1] op_sel_hi:[0,1]
	v_mov_b32_e32 v90, v149
	v_pk_fma_f32 v[86:87], v[158:159], v[142:143], v[86:87] neg_lo:[0,0,1] neg_hi:[0,0,1]
	v_pk_fma_f32 v[92:93], v[160:161], v[144:145], v[88:89] op_sel_hi:[1,0,1]
	v_mov_b32_e32 v87, v97
	v_pk_add_f32 v[82:83], v[82:83], v[84:85]
	v_pk_fma_f32 v[84:85], v[162:163], v[146:147], v[94:95] op_sel_hi:[1,0,1]
	v_pk_mul_f32 v[90:91], v[232:233], v[90:91] op_sel_hi:[1,0]
	v_pk_fma_f32 v[88:89], v[160:161], v[144:145], v[88:89] neg_lo:[0,0,1] neg_hi:[0,0,1]
	v_mov_b32_e32 v89, v93
	v_pk_add_f32 v[82:83], v[82:83], v[86:87]
	v_pk_fma_f32 v[92:93], v[162:163], v[146:147], v[94:95] neg_lo:[0,0,1] neg_hi:[0,0,1]
	v_mov_b32_e32 v93, v85
	v_pk_fma_f32 v[84:85], v[164:165], v[148:149], v[90:91] op_sel_hi:[1,0,1]
	s_wait_loadcnt 0x1
	v_pk_mul_f32 v[86:87], v[166:167], v[150:151] op_sel:[1,1] op_sel_hi:[0,1]
	v_pk_add_f32 v[82:83], v[82:83], v[88:89]
	v_mov_b32_e32 v84, v153
	v_pk_fma_f32 v[90:91], v[164:165], v[148:149], v[90:91] neg_lo:[0,0,1] neg_hi:[0,0,1]
	s_delay_alu instid0(VALU_DEP_4)
	v_pk_fma_f32 v[88:89], v[166:167], v[150:151], v[86:87] op_sel_hi:[1,0,1]
	v_mov_b32_e32 v91, v85
	v_pk_add_f32 v[82:83], v[82:83], v[92:93]
	v_pk_mul_f32 v[84:85], v[234:235], v[84:85] op_sel_hi:[1,0]
	v_pk_fma_f32 v[86:87], v[166:167], v[150:151], v[86:87] neg_lo:[0,0,1] neg_hi:[0,0,1]
	v_mov_b32_e32 v87, v89
	s_delay_alu instid0(VALU_DEP_4) | instskip(NEXT) | instid1(VALU_DEP_4)
	v_pk_add_f32 v[82:83], v[82:83], v[90:91]
	v_pk_fma_f32 v[88:89], v[168:169], v[152:153], v[84:85] op_sel_hi:[1,0,1]
	v_pk_fma_f32 v[84:85], v[168:169], v[152:153], v[84:85] neg_lo:[0,0,1] neg_hi:[0,0,1]
	s_delay_alu instid0(VALU_DEP_3) | instskip(NEXT) | instid1(VALU_DEP_3)
	v_pk_add_f32 v[82:83], v[82:83], v[86:87]
	v_mov_b32_e32 v85, v89
	s_delay_alu instid0(VALU_DEP_1) | instskip(SKIP_1) | instid1(VALU_DEP_1)
	v_pk_add_f32 v[82:83], v[82:83], v[84:85]
	s_wait_loadcnt 0x0
	v_pk_add_f32 v[82:83], v[226:227], v[82:83] neg_lo:[0,1] neg_hi:[0,1]
	scratch_store_b64 off, v[82:83], off offset:24
	s_wait_xcnt 0x0
	v_cmpx_lt_u32_e32 2, v0
	s_cbranch_execz .LBB103_249
; %bb.248:
	scratch_load_b64 v[82:83], off, off offset:16
	v_mov_b64_e32 v[84:85], 0
	scratch_store_b64 off, v[84:85], off offset:16
	s_wait_loadcnt 0x0
	ds_store_b64 v1, v[82:83]
.LBB103_249:
	s_wait_xcnt 0x0
	s_or_b32 exec_lo, exec_lo, s0
	s_wait_storecnt_dscnt 0x0
	s_barrier_signal -1
	s_barrier_wait -1
	s_clause 0x13
	scratch_load_b128 v[82:85], off, off offset:24
	scratch_load_b128 v[86:89], off, off offset:40
	;; [unrolled: 1-line block ×18, first 2 shown]
	scratch_load_b64 v[226:227], off, off offset:312
	scratch_load_b64 v[228:229], off, off offset:16
	v_mov_b32_e32 v61, 0
	ds_load_2addr_b64 v[154:157], v61 offset0:71 offset1:72
	ds_load_2addr_b64 v[158:161], v61 offset0:73 offset1:74
	;; [unrolled: 1-line block ×18, first 2 shown]
	ds_load_b64 v[230:231], v61 offset:632
	s_mov_b32 s0, exec_lo
	s_wait_dscnt 0x12
	v_dual_mov_b32 v232, v157 :: v_dual_mov_b32 v233, v156
	s_wait_dscnt 0x11
	v_dual_mov_b32 v234, v161 :: v_dual_mov_b32 v235, v160
	;; [unrolled: 2-line block ×3, first 2 shown]
	v_dual_mov_b32 v237, v164 :: v_dual_mov_b32 v238, v177
	s_wait_loadcnt 0x13
	v_dual_mul_f32 v7, v166, v83 :: v_dual_mul_f32 v63, v167, v83
	v_dual_mul_f32 v65, v169, v85 :: v_dual_mul_f32 v9, v168, v85
	s_wait_loadcnt 0x12
	v_mul_f32_e32 v11, v170, v87
	s_wait_loadcnt_dscnt 0x100b
	v_dual_mul_f32 v75, v183, v95 :: v_dual_fma_f32 v63, v166, v82, -v63
	v_dual_fmac_f32 v7, v167, v82 :: v_dual_mul_f32 v77, v185, v97
	v_dual_mul_f32 v67, v171, v87 :: v_dual_mul_f32 v69, v173, v89
	s_delay_alu instid0(VALU_DEP_2) | instskip(NEXT) | instid1(VALU_DEP_4)
	v_dual_fmac_f32 v9, v169, v84 :: v_dual_add_f32 v7, 0, v7
	v_dual_fma_f32 v65, v168, v84, -v65 :: v_dual_add_f32 v63, 0, v63
	v_dual_mul_f32 v13, v172, v89 :: v_dual_mul_f32 v15, v178, v91
	s_wait_loadcnt_dscnt 0xf0a
	v_dual_mul_f32 v79, v187, v99 :: v_dual_fma_f32 v67, v170, v86, -v67
	v_fmac_f32_e32 v11, v171, v86
	s_delay_alu instid0(VALU_DEP_3) | instskip(SKIP_2) | instid1(VALU_DEP_3)
	v_dual_add_f32 v7, v7, v9 :: v_dual_fmac_f32 v13, v173, v88
	v_dual_add_f32 v9, v63, v65 :: v_dual_fma_f32 v65, v172, v88, -v69
	v_dual_mul_f32 v71, v179, v91 :: v_dual_mul_f32 v73, v181, v93
	v_dual_mul_f32 v63, v189, v101 :: v_dual_add_f32 v7, v7, v11
	s_delay_alu instid0(VALU_DEP_3) | instskip(SKIP_2) | instid1(VALU_DEP_2)
	v_dual_add_f32 v9, v9, v67 :: v_dual_fmac_f32 v15, v179, v90
	v_dual_mul_f32 v17, v180, v93 :: v_dual_mul_f32 v19, v182, v95
	s_wait_loadcnt_dscnt 0xe09
	v_dual_mul_f32 v11, v191, v103 :: v_dual_add_f32 v9, v9, v65
	v_dual_fma_f32 v67, v178, v90, -v71 :: v_dual_add_f32 v7, v7, v13
	s_delay_alu instid0(VALU_DEP_3) | instskip(SKIP_1) | instid1(VALU_DEP_3)
	v_fmac_f32_e32 v17, v181, v92
	v_dual_mul_f32 v13, v193, v105 :: v_dual_fma_f32 v65, v180, v92, -v73
	v_dual_add_f32 v9, v9, v67 :: v_dual_fmac_f32 v19, v183, v94
	s_delay_alu instid0(VALU_DEP_4) | instskip(SKIP_2) | instid1(VALU_DEP_3)
	v_dual_add_f32 v7, v7, v15 :: v_dual_fma_f32 v67, v182, v94, -v75
	v_dual_mul_f32 v21, v184, v97 :: v_dual_mul_f32 v23, v186, v99
	s_wait_loadcnt_dscnt 0xd08
	v_dual_mul_f32 v15, v195, v107 :: v_dual_add_f32 v9, v9, v65
	s_delay_alu instid0(VALU_DEP_2) | instskip(SKIP_1) | instid1(VALU_DEP_3)
	v_dual_add_f32 v7, v7, v17 :: v_dual_fmac_f32 v21, v185, v96
	v_dual_mul_f32 v17, v197, v109 :: v_dual_fma_f32 v65, v184, v96, -v77
	v_dual_add_f32 v9, v9, v67 :: v_dual_fmac_f32 v23, v187, v98
	s_delay_alu instid0(VALU_DEP_3) | instskip(SKIP_2) | instid1(VALU_DEP_3)
	v_dual_add_f32 v7, v7, v19 :: v_dual_fma_f32 v67, v186, v98, -v79
	v_dual_mul_f32 v25, v188, v101 :: v_dual_mul_f32 v27, v190, v103
	s_wait_loadcnt_dscnt 0xc07
	v_dual_mul_f32 v19, v199, v111 :: v_dual_add_f32 v9, v9, v65
	s_delay_alu instid0(VALU_DEP_2) | instskip(SKIP_1) | instid1(VALU_DEP_3)
	v_dual_add_f32 v7, v7, v21 :: v_dual_fmac_f32 v25, v189, v100
	v_dual_mul_f32 v21, v201, v113 :: v_dual_fma_f32 v63, v188, v100, -v63
	v_dual_add_f32 v9, v9, v67 :: v_dual_fmac_f32 v27, v191, v102
	s_delay_alu instid0(VALU_DEP_3) | instskip(SKIP_1) | instid1(VALU_DEP_2)
	v_dual_add_f32 v7, v7, v23 :: v_dual_fma_f32 v11, v190, v102, -v11
	v_dual_mul_f32 v29, v192, v105 :: v_dual_mul_f32 v31, v194, v107
	v_dual_add_f32 v9, v9, v63 :: v_dual_add_f32 v7, v7, v25
	v_fma_f32 v13, v192, v104, -v13
	s_delay_alu instid0(VALU_DEP_3) | instskip(SKIP_1) | instid1(VALU_DEP_4)
	v_dual_fmac_f32 v29, v193, v104 :: v_dual_mul_f32 v33, v196, v109
	v_mul_f32_e32 v35, v198, v111
	v_add_f32_e32 v7, v7, v27
	v_add_f32_e32 v9, v9, v11
	s_wait_loadcnt_dscnt 0xa05
	v_dual_mul_f32 v11, v207, v119 :: v_dual_fma_f32 v15, v194, v106, -v15
	v_fmac_f32_e32 v31, v195, v106
	v_dual_add_f32 v7, v7, v29 :: v_dual_fmac_f32 v33, v197, v108
	v_add_f32_e32 v9, v9, v13
	v_dual_mul_f32 v13, v209, v121 :: v_dual_fma_f32 v17, v196, v108, -v17
	s_delay_alu instid0(VALU_DEP_3) | instskip(NEXT) | instid1(VALU_DEP_3)
	v_dual_add_f32 v7, v7, v31 :: v_dual_fma_f32 v19, v198, v110, -v19
	v_dual_add_f32 v9, v9, v15 :: v_dual_fmac_f32 v35, v199, v110
	v_dual_mul_f32 v37, v200, v113 :: v_dual_mul_f32 v39, v202, v115
	s_wait_loadcnt_dscnt 0x904
	s_delay_alu instid0(VALU_DEP_2) | instskip(NEXT) | instid1(VALU_DEP_2)
	v_dual_mul_f32 v15, v211, v123 :: v_dual_add_f32 v9, v9, v17
	v_dual_add_f32 v7, v7, v33 :: v_dual_fmac_f32 v37, v201, v112
	v_dual_mul_f32 v23, v203, v115 :: v_dual_mul_f32 v25, v205, v117
	v_dual_mul_f32 v17, v213, v125 :: v_dual_fma_f32 v21, v200, v112, -v21
	s_delay_alu instid0(VALU_DEP_2) | instskip(SKIP_3) | instid1(VALU_DEP_2)
	v_dual_add_f32 v7, v7, v35 :: v_dual_fma_f32 v23, v202, v114, -v23
	v_dual_add_f32 v9, v9, v19 :: v_dual_fmac_f32 v39, v203, v114
	v_dual_mul_f32 v41, v204, v117 :: v_dual_mul_f32 v43, v206, v119
	s_wait_loadcnt_dscnt 0x803
	v_dual_mul_f32 v19, v215, v127 :: v_dual_add_f32 v9, v9, v21
	s_delay_alu instid0(VALU_DEP_2) | instskip(SKIP_1) | instid1(VALU_DEP_3)
	v_dual_add_f32 v7, v7, v37 :: v_dual_fmac_f32 v41, v205, v116
	v_dual_mul_f32 v21, v217, v129 :: v_dual_fma_f32 v25, v204, v116, -v25
	v_dual_add_f32 v9, v9, v23 :: v_dual_fmac_f32 v43, v207, v118
	s_delay_alu instid0(VALU_DEP_3) | instskip(SKIP_2) | instid1(VALU_DEP_3)
	v_dual_add_f32 v7, v7, v39 :: v_dual_fma_f32 v11, v206, v118, -v11
	v_dual_mul_f32 v45, v208, v121 :: v_dual_mul_f32 v47, v210, v123
	s_wait_loadcnt_dscnt 0x702
	v_dual_mul_f32 v23, v219, v131 :: v_dual_add_f32 v9, v9, v25
	s_delay_alu instid0(VALU_DEP_2) | instskip(SKIP_1) | instid1(VALU_DEP_3)
	v_dual_add_f32 v7, v7, v41 :: v_dual_fmac_f32 v45, v209, v120
	v_dual_mul_f32 v25, v221, v133 :: v_dual_fma_f32 v13, v208, v120, -v13
	v_dual_add_f32 v9, v9, v11 :: v_dual_fmac_f32 v47, v211, v122
	s_delay_alu instid0(VALU_DEP_3) | instskip(SKIP_2) | instid1(VALU_DEP_3)
	v_dual_add_f32 v7, v7, v43 :: v_dual_fma_f32 v15, v210, v122, -v15
	;; [unrolled: 9-line block ×3, first 2 shown]
	v_dual_mul_f32 v53, v216, v129 :: v_dual_mul_f32 v55, v218, v131
	s_wait_loadcnt 0x5
	v_dual_mul_f32 v15, v155, v139 :: v_dual_add_f32 v9, v9, v17
	s_delay_alu instid0(VALU_DEP_3) | instskip(NEXT) | instid1(VALU_DEP_3)
	v_dual_add_f32 v7, v7, v49 :: v_dual_mov_b32 v82, v141
	v_fmac_f32_e32 v53, v217, v128
	s_delay_alu instid0(VALU_DEP_3) | instskip(NEXT) | instid1(VALU_DEP_3)
	v_dual_fma_f32 v17, v216, v128, -v21 :: v_dual_add_f32 v9, v9, v19
	v_dual_add_f32 v7, v7, v51 :: v_dual_mul_f32 v57, v220, v133
	v_dual_mul_f32 v59, v222, v135 :: v_dual_fmac_f32 v55, v219, v130
	s_delay_alu instid0(VALU_DEP_3) | instskip(SKIP_1) | instid1(VALU_DEP_3)
	v_dual_add_f32 v9, v9, v17 :: v_dual_fma_f32 v19, v218, v130, -v23
	s_wait_loadcnt 0x4
	v_dual_add_f32 v7, v7, v53 :: v_dual_mov_b32 v86, v145
	v_fma_f32 v17, v220, v132, -v25
	v_fmac_f32_e32 v57, v221, v132
	v_dual_add_f32 v9, v9, v19 :: v_dual_fmac_f32 v59, v223, v134
	s_delay_alu instid0(VALU_DEP_4) | instskip(SKIP_1) | instid1(VALU_DEP_3)
	v_dual_add_f32 v7, v7, v55 :: v_dual_mul_f32 v241, v224, v137
	v_mul_f32_e32 v243, v154, v139
	v_dual_fma_f32 v11, v222, v134, -v11 :: v_dual_add_f32 v9, v9, v17
	s_delay_alu instid0(VALU_DEP_3) | instskip(NEXT) | instid1(VALU_DEP_4)
	v_dual_fma_f32 v240, v224, v136, -v13 :: v_dual_add_f32 v7, v7, v57
	v_fmac_f32_e32 v241, v225, v136
	v_pk_mul_f32 v[82:83], v[232:233], v[82:83] op_sel_hi:[1,0]
	s_delay_alu instid0(VALU_DEP_4) | instskip(NEXT) | instid1(VALU_DEP_4)
	v_dual_add_f32 v90, v9, v11 :: v_dual_fmac_f32 v243, v155, v138
	v_add_f32_e32 v91, v7, v59
	v_pk_mul_f32 v[84:85], v[158:159], v[142:143] op_sel:[1,1] op_sel_hi:[0,1]
	s_wait_loadcnt 0x3
	v_dual_mov_b32 v92, v149 :: v_dual_fma_f32 v242, v154, v138, -v15
	v_pk_fma_f32 v[94:95], v[156:157], v[140:141], v[82:83] op_sel_hi:[1,0,1]
	v_pk_add_f32 v[90:91], v[90:91], v[240:241]
	v_pk_fma_f32 v[82:83], v[156:157], v[140:141], v[82:83] neg_lo:[0,0,1] neg_hi:[0,0,1]
	v_pk_fma_f32 v[96:97], v[158:159], v[142:143], v[84:85] op_sel_hi:[1,0,1]
	v_pk_mul_f32 v[86:87], v[234:235], v[86:87] op_sel_hi:[1,0]
	v_mov_b32_e32 v83, v95
	v_pk_add_f32 v[90:91], v[90:91], v[242:243]
	v_pk_fma_f32 v[84:85], v[158:159], v[142:143], v[84:85] neg_lo:[0,0,1] neg_hi:[0,0,1]
	v_pk_mul_f32 v[88:89], v[162:163], v[146:147] op_sel:[1,1] op_sel_hi:[0,1]
	v_mov_b32_e32 v85, v97
	v_pk_fma_f32 v[96:97], v[160:161], v[144:145], v[86:87] op_sel_hi:[1,0,1]
	v_pk_add_f32 v[82:83], v[90:91], v[82:83]
	v_pk_fma_f32 v[86:87], v[160:161], v[144:145], v[86:87] neg_lo:[0,0,1] neg_hi:[0,0,1]
	v_pk_fma_f32 v[90:91], v[162:163], v[146:147], v[88:89] op_sel_hi:[1,0,1]
	v_pk_mul_f32 v[92:93], v[236:237], v[92:93] op_sel_hi:[1,0]
	v_mov_b32_e32 v87, v97
	v_pk_add_f32 v[82:83], v[82:83], v[84:85]
	v_pk_fma_f32 v[88:89], v[162:163], v[146:147], v[88:89] neg_lo:[0,0,1] neg_hi:[0,0,1]
	s_wait_loadcnt 0x2
	v_pk_mul_f32 v[94:95], v[174:175], v[150:151] op_sel:[1,1] op_sel_hi:[0,1]
	v_dual_mov_b32 v84, v153 :: v_dual_mov_b32 v89, v91
	v_pk_fma_f32 v[90:91], v[164:165], v[148:149], v[92:93] op_sel_hi:[1,0,1]
	v_pk_add_f32 v[82:83], v[82:83], v[86:87]
	v_pk_fma_f32 v[92:93], v[164:165], v[148:149], v[92:93] neg_lo:[0,0,1] neg_hi:[0,0,1]
	v_pk_fma_f32 v[86:87], v[174:175], v[150:151], v[94:95] op_sel_hi:[1,0,1]
	v_pk_mul_f32 v[84:85], v[238:239], v[84:85] op_sel_hi:[1,0]
	v_mov_b32_e32 v93, v91
	v_pk_add_f32 v[82:83], v[82:83], v[88:89]
	v_pk_fma_f32 v[88:89], v[174:175], v[150:151], v[94:95] neg_lo:[0,0,1] neg_hi:[0,0,1]
	v_mov_b32_e32 v89, v87
	v_pk_fma_f32 v[86:87], v[176:177], v[152:153], v[84:85] op_sel_hi:[1,0,1]
	s_wait_loadcnt_dscnt 0x100
	v_pk_mul_f32 v[90:91], v[230:231], v[226:227] op_sel:[1,1] op_sel_hi:[0,1]
	v_pk_add_f32 v[82:83], v[82:83], v[92:93]
	v_pk_fma_f32 v[84:85], v[176:177], v[152:153], v[84:85] neg_lo:[0,0,1] neg_hi:[0,0,1]
	v_mov_b32_e32 v85, v87
	s_delay_alu instid0(VALU_DEP_4) | instskip(NEXT) | instid1(VALU_DEP_4)
	v_pk_fma_f32 v[86:87], v[230:231], v[226:227], v[90:91] op_sel_hi:[1,0,1]
	v_pk_add_f32 v[82:83], v[82:83], v[88:89]
	v_pk_fma_f32 v[88:89], v[230:231], v[226:227], v[90:91] neg_lo:[0,0,1] neg_hi:[0,0,1]
	s_delay_alu instid0(VALU_DEP_3) | instskip(NEXT) | instid1(VALU_DEP_3)
	v_mov_b32_e32 v89, v87
	v_pk_add_f32 v[82:83], v[82:83], v[84:85]
	s_delay_alu instid0(VALU_DEP_1) | instskip(SKIP_1) | instid1(VALU_DEP_1)
	v_pk_add_f32 v[82:83], v[82:83], v[88:89]
	s_wait_loadcnt 0x0
	v_pk_add_f32 v[82:83], v[228:229], v[82:83] neg_lo:[0,1] neg_hi:[0,1]
	scratch_store_b64 off, v[82:83], off offset:16
	s_wait_xcnt 0x0
	v_cmpx_lt_u32_e32 1, v0
	s_cbranch_execz .LBB103_251
; %bb.250:
	scratch_load_b64 v[82:83], off, off offset:8
	v_mov_b64_e32 v[84:85], 0
	scratch_store_b64 off, v[84:85], off offset:8
	s_wait_loadcnt 0x0
	ds_store_b64 v1, v[82:83]
.LBB103_251:
	s_wait_xcnt 0x0
	s_or_b32 exec_lo, exec_lo, s0
	s_wait_storecnt_dscnt 0x0
	s_barrier_signal -1
	s_barrier_wait -1
	s_clause 0x13
	scratch_load_b128 v[82:85], off, off offset:16
	scratch_load_b128 v[86:89], off, off offset:32
	;; [unrolled: 1-line block ×19, first 2 shown]
	scratch_load_b64 v[234:235], off, off offset:8
	ds_load_b128 v[158:161], v61 offset:560
	ds_load_b128 v[162:165], v61 offset:576
	;; [unrolled: 1-line block ×19, first 2 shown]
	v_ashrrev_i32_e32 v59, 31, v58
	v_dual_ashrrev_i32 v7, 31, v6 :: v_dual_ashrrev_i32 v9, 31, v8
	v_dual_ashrrev_i32 v11, 31, v10 :: v_dual_ashrrev_i32 v13, 31, v12
	s_wait_dscnt 0xe
	v_dual_mov_b32 v243, v176 :: v_dual_mov_b32 v241, v172
	v_dual_mov_b32 v242, v177 :: v_dual_ashrrev_i32 v15, 31, v14
	v_dual_ashrrev_i32 v17, 31, v16 :: v_dual_ashrrev_i32 v19, 31, v18
	v_dual_mov_b32 v240, v173 :: v_dual_ashrrev_i32 v21, 31, v20
	v_dual_ashrrev_i32 v23, 31, v22 :: v_dual_ashrrev_i32 v25, 31, v24
	v_dual_ashrrev_i32 v27, 31, v26 :: v_dual_ashrrev_i32 v29, 31, v28
	v_dual_mov_b32 v236, v165 :: v_dual_mov_b32 v237, v164
	v_dual_mov_b32 v238, v169 :: v_dual_mov_b32 v239, v168
	v_dual_ashrrev_i32 v31, 31, v30 :: v_dual_ashrrev_i32 v33, 31, v32
	v_dual_ashrrev_i32 v35, 31, v34 :: v_dual_ashrrev_i32 v37, 31, v36
	;; [unrolled: 1-line block ×7, first 2 shown]
	s_mov_b32 s0, exec_lo
	s_wait_loadcnt_dscnt 0x130d
	v_dual_mul_f32 v61, v178, v83 :: v_dual_mul_f32 v63, v180, v85
	s_wait_loadcnt_dscnt 0x120c
	v_mul_f32_e32 v65, v182, v87
	s_wait_loadcnt_dscnt 0xf09
	v_dual_mul_f32 v81, v179, v83 :: v_dual_mul_f32 v79, v196, v101
	s_wait_loadcnt_dscnt 0xe08
	v_dual_mul_f32 v83, v181, v85 :: v_dual_mul_f32 v244, v198, v103
	v_dual_mul_f32 v67, v184, v89 :: v_dual_mul_f32 v69, v186, v91
	v_dual_fmac_f32 v61, v179, v82 :: v_dual_fmac_f32 v63, v181, v84
	s_delay_alu instid0(VALU_DEP_3)
	v_dual_fma_f32 v81, v178, v82, -v81 :: v_dual_fma_f32 v82, v180, v84, -v83
	s_wait_loadcnt_dscnt 0xc06
	v_dual_mul_f32 v181, v208, v113 :: v_dual_mul_f32 v83, v183, v87
	s_wait_loadcnt_dscnt 0xb05
	v_dual_mul_f32 v85, v185, v89 :: v_dual_mul_f32 v87, v210, v115
	v_dual_fmac_f32 v65, v183, v86 :: v_dual_fmac_f32 v67, v185, v88
	s_delay_alu instid0(VALU_DEP_2)
	v_dual_fma_f32 v86, v182, v86, -v83 :: v_dual_fma_f32 v88, v184, v88, -v85
	s_wait_loadcnt_dscnt 0x903
	v_dual_mul_f32 v185, v220, v125 :: v_dual_mul_f32 v83, v187, v91
	v_dual_mul_f32 v71, v188, v93 :: v_dual_mul_f32 v73, v190, v95
	s_wait_loadcnt_dscnt 0x802
	v_dual_mul_f32 v85, v189, v93 :: v_dual_mul_f32 v91, v222, v127
	s_delay_alu instid0(VALU_DEP_2) | instskip(NEXT) | instid1(VALU_DEP_2)
	v_dual_fmac_f32 v69, v187, v90 :: v_dual_fmac_f32 v71, v189, v92
	v_dual_fma_f32 v90, v186, v90, -v83 :: v_dual_fma_f32 v92, v188, v92, -v85
	s_wait_loadcnt_dscnt 0x701
	v_dual_add_f32 v61, 0, v61 :: v_dual_mul_f32 v186, v226, v131
	v_add_f32_e32 v81, 0, v81
	v_mul_f32_e32 v93, v224, v129
	s_wait_loadcnt 0x5
	s_delay_alu instid0(VALU_DEP_3) | instskip(SKIP_2) | instid1(VALU_DEP_3)
	v_dual_mul_f32 v85, v160, v141 :: v_dual_add_f32 v61, v61, v63
	v_dual_mul_f32 v75, v192, v97 :: v_dual_mul_f32 v77, v194, v99
	v_add_f32_e32 v63, v81, v82
	v_dual_fmac_f32 v73, v191, v94 :: v_dual_add_f32 v61, v61, v65
	s_delay_alu instid0(VALU_DEP_3) | instskip(NEXT) | instid1(VALU_DEP_3)
	v_dual_mul_f32 v65, v191, v95 :: v_dual_fmac_f32 v75, v193, v96
	v_dual_add_f32 v63, v63, v86 :: v_dual_mul_f32 v82, v193, v97
	v_dual_mul_f32 v86, v197, v101 :: v_dual_fmac_f32 v77, v195, v98
	v_dual_mul_f32 v84, v200, v105 :: v_dual_mul_f32 v178, v202, v107
	s_delay_alu instid0(VALU_DEP_3) | instskip(SKIP_2) | instid1(VALU_DEP_3)
	v_dual_add_f32 v63, v63, v88 :: v_dual_add_f32 v61, v61, v67
	v_dual_mul_f32 v67, v195, v99 :: v_dual_fmac_f32 v79, v197, v100
	v_dual_mul_f32 v179, v204, v109 :: v_dual_mul_f32 v180, v206, v111
	v_add_f32_e32 v63, v63, v90
	s_delay_alu instid0(VALU_DEP_4) | instskip(SKIP_3) | instid1(VALU_DEP_4)
	v_dual_mul_f32 v88, v199, v103 :: v_dual_add_f32 v61, v61, v69
	v_dual_mul_f32 v69, v201, v105 :: v_dual_fma_f32 v65, v190, v94, -v65
	v_fmac_f32_e32 v244, v199, v102
	v_fmac_f32_e32 v84, v201, v104
	v_dual_add_f32 v61, v61, v71 :: v_dual_add_f32 v63, v63, v92
	s_delay_alu instid0(VALU_DEP_4) | instskip(NEXT) | instid1(VALU_DEP_2)
	v_dual_mul_f32 v71, v203, v107 :: v_dual_fma_f32 v69, v200, v104, -v69
	v_dual_fmac_f32 v178, v203, v106 :: v_dual_add_f32 v61, v61, v73
	s_delay_alu instid0(VALU_DEP_3) | instskip(SKIP_1) | instid1(VALU_DEP_3)
	v_dual_fma_f32 v82, v192, v96, -v82 :: v_dual_add_f32 v63, v63, v65
	v_dual_mul_f32 v65, v205, v109 :: v_dual_fma_f32 v67, v194, v98, -v67
	v_add_f32_e32 v61, v61, v75
	v_dual_mul_f32 v73, v207, v111 :: v_dual_fma_f32 v75, v196, v100, -v86
	s_delay_alu instid0(VALU_DEP_4) | instskip(NEXT) | instid1(VALU_DEP_3)
	v_dual_add_f32 v63, v63, v82 :: v_dual_fmac_f32 v179, v205, v108
	v_dual_add_f32 v61, v61, v77 :: v_dual_fma_f32 v65, v204, v108, -v65
	v_fmac_f32_e32 v180, v207, v110
	s_delay_alu instid0(VALU_DEP_3) | instskip(NEXT) | instid1(VALU_DEP_3)
	v_dual_add_f32 v63, v63, v67 :: v_dual_mul_f32 v67, v209, v113
	v_dual_fma_f32 v77, v198, v102, -v88 :: v_dual_add_f32 v61, v61, v79
	s_delay_alu instid0(VALU_DEP_2) | instskip(NEXT) | instid1(VALU_DEP_3)
	v_dual_fmac_f32 v181, v209, v112 :: v_dual_add_f32 v63, v63, v75
	v_dual_mul_f32 v75, v211, v115 :: v_dual_fma_f32 v67, v208, v112, -v67
	s_delay_alu instid0(VALU_DEP_3) | instskip(NEXT) | instid1(VALU_DEP_3)
	v_dual_add_f32 v61, v61, v244 :: v_dual_mul_f32 v89, v212, v117
	v_dual_mul_f32 v182, v214, v119 :: v_dual_add_f32 v63, v63, v77
	v_dual_mul_f32 v77, v213, v117 :: v_dual_fma_f32 v71, v202, v106, -v71
	s_delay_alu instid0(VALU_DEP_3) | instskip(NEXT) | instid1(VALU_DEP_3)
	v_dual_add_f32 v61, v61, v84 :: v_dual_fmac_f32 v87, v211, v114
	v_add_f32_e32 v63, v63, v69
	v_dual_mul_f32 v69, v215, v119 :: v_dual_fmac_f32 v89, v213, v116
	s_delay_alu instid0(VALU_DEP_3) | instskip(NEXT) | instid1(VALU_DEP_3)
	v_dual_add_f32 v61, v61, v178 :: v_dual_fma_f32 v77, v212, v116, -v77
	v_dual_add_f32 v63, v63, v71 :: v_dual_mul_f32 v71, v217, v121
	s_delay_alu instid0(VALU_DEP_2) | instskip(SKIP_1) | instid1(VALU_DEP_3)
	v_dual_fma_f32 v73, v206, v110, -v73 :: v_dual_add_f32 v61, v61, v179
	v_dual_mul_f32 v183, v216, v121 :: v_dual_mul_f32 v184, v218, v123
	v_add_f32_e32 v63, v63, v65
	s_delay_alu instid0(VALU_DEP_3) | instskip(NEXT) | instid1(VALU_DEP_3)
	v_dual_mul_f32 v65, v219, v123 :: v_dual_add_f32 v61, v61, v180
	v_dual_fmac_f32 v182, v215, v118 :: v_dual_fmac_f32 v183, v217, v120
	s_delay_alu instid0(VALU_DEP_3) | instskip(SKIP_1) | instid1(VALU_DEP_4)
	v_add_f32_e32 v63, v63, v73
	v_dual_mul_f32 v73, v221, v125 :: v_dual_fma_f32 v75, v210, v114, -v75
	v_dual_add_f32 v61, v61, v181 :: v_dual_fma_f32 v71, v216, v120, -v71
	s_delay_alu instid0(VALU_DEP_3) | instskip(SKIP_1) | instid1(VALU_DEP_3)
	v_add_f32_e32 v63, v63, v67
	v_mul_f32_e32 v67, v223, v127
	v_dual_fmac_f32 v184, v219, v122 :: v_dual_add_f32 v61, v61, v87
	s_delay_alu instid0(VALU_DEP_3) | instskip(SKIP_2) | instid1(VALU_DEP_4)
	v_dual_fma_f32 v69, v214, v118, -v69 :: v_dual_add_f32 v63, v63, v75
	v_mul_f32_e32 v75, v225, v129
	v_fmac_f32_e32 v185, v221, v124
	v_dual_add_f32 v61, v61, v89 :: v_dual_fma_f32 v73, v220, v124, -v73
	s_delay_alu instid0(VALU_DEP_4) | instskip(SKIP_2) | instid1(VALU_DEP_4)
	v_add_f32_e32 v63, v63, v77
	v_mul_f32_e32 v77, v227, v131
	v_fmac_f32_e32 v91, v223, v126
	v_add_f32_e32 v61, v61, v182
	s_delay_alu instid0(VALU_DEP_4) | instskip(SKIP_1) | instid1(VALU_DEP_3)
	v_dual_fmac_f32 v93, v225, v128 :: v_dual_add_f32 v63, v63, v69
	v_dual_mul_f32 v69, v229, v133 :: v_dual_fma_f32 v65, v218, v122, -v65
	v_dual_add_f32 v61, v61, v183 :: v_dual_fma_f32 v75, v224, v128, -v75
	s_delay_alu instid0(VALU_DEP_3) | instskip(SKIP_2) | instid1(VALU_DEP_3)
	v_add_f32_e32 v63, v63, v71
	s_wait_dscnt 0x0
	v_dual_mul_f32 v71, v231, v135 :: v_dual_mul_f32 v187, v228, v133
	v_dual_mul_f32 v81, v230, v135 :: v_dual_add_f32 v61, v61, v184
	s_delay_alu instid0(VALU_DEP_3) | instskip(SKIP_1) | instid1(VALU_DEP_3)
	v_add_f32_e32 v63, v63, v65
	v_dual_mul_f32 v65, v233, v137 :: v_dual_fma_f32 v67, v222, v126, -v67
	v_dual_fmac_f32 v186, v227, v130 :: v_dual_add_f32 v61, v61, v185
	s_delay_alu instid0(VALU_DEP_3) | instskip(SKIP_2) | instid1(VALU_DEP_4)
	v_add_f32_e32 v63, v63, v73
	v_dual_mul_f32 v73, v159, v139 :: v_dual_fmac_f32 v187, v229, v132
	v_dual_mul_f32 v188, v232, v137 :: v_dual_mul_f32 v83, v158, v139
	v_add_f32_e32 v61, v61, v91
	s_delay_alu instid0(VALU_DEP_4) | instskip(SKIP_2) | instid1(VALU_DEP_2)
	v_dual_add_f32 v63, v63, v67 :: v_dual_mul_f32 v67, v161, v141
	s_wait_loadcnt 0x4
	v_dual_fma_f32 v77, v226, v130, -v77 :: v_dual_mov_b32 v88, v145
	v_dual_add_f32 v61, v61, v93 :: v_dual_add_f32 v63, v63, v75
	v_fma_f32 v69, v228, v132, -v69
	v_dual_fmac_f32 v81, v231, v134 :: v_dual_fma_f32 v71, v230, v134, -v71
	s_delay_alu instid0(VALU_DEP_3) | instskip(SKIP_2) | instid1(VALU_DEP_3)
	v_dual_add_f32 v61, v61, v186 :: v_dual_add_f32 v63, v63, v77
	v_dual_fmac_f32 v188, v233, v136 :: v_dual_fma_f32 v65, v232, v136, -v65
	v_pk_mul_f32 v[86:87], v[162:163], v[142:143] op_sel:[1,1] op_sel_hi:[0,1]
	v_dual_add_f32 v61, v61, v187 :: v_dual_add_f32 v63, v63, v69
	s_wait_loadcnt 0x3
	v_dual_mov_b32 v92, v149 :: v_dual_fmac_f32 v83, v159, v138
	v_fmac_f32_e32 v85, v161, v140
	s_delay_alu instid0(VALU_DEP_3) | instskip(SKIP_3) | instid1(VALU_DEP_4)
	v_dual_add_f32 v61, v61, v81 :: v_dual_add_f32 v63, v63, v71
	v_fma_f32 v82, v158, v138, -v73
	v_pk_fma_f32 v[96:97], v[162:163], v[142:143], v[86:87] op_sel_hi:[1,0,1]
	v_fma_f32 v84, v160, v140, -v67
	v_dual_add_f32 v95, v61, v188 :: v_dual_add_f32 v94, v63, v65
	v_pk_mul_f32 v[88:89], v[236:237], v[88:89] op_sel_hi:[1,0]
	v_pk_fma_f32 v[86:87], v[162:163], v[142:143], v[86:87] neg_lo:[0,0,1] neg_hi:[0,0,1]
	v_pk_mul_f32 v[90:91], v[166:167], v[146:147] op_sel:[1,1] op_sel_hi:[0,1]
	v_mov_b32_e32 v87, v97
	v_pk_add_f32 v[82:83], v[94:95], v[82:83]
	v_pk_fma_f32 v[96:97], v[164:165], v[144:145], v[88:89] op_sel_hi:[1,0,1]
	v_pk_fma_f32 v[88:89], v[164:165], v[144:145], v[88:89] neg_lo:[0,0,1] neg_hi:[0,0,1]
	v_pk_mul_f32 v[92:93], v[238:239], v[92:93] op_sel_hi:[1,0]
	s_wait_loadcnt 0x2
	v_pk_mul_f32 v[94:95], v[170:171], v[150:151] op_sel:[1,1] op_sel_hi:[0,1]
	v_pk_add_f32 v[82:83], v[82:83], v[84:85]
	v_pk_fma_f32 v[84:85], v[166:167], v[146:147], v[90:91] op_sel_hi:[1,0,1]
	v_dual_mov_b32 v89, v97 :: v_dual_mov_b32 v84, v153
	v_ashrrev_i32_e32 v61, 31, v60
	s_delay_alu instid0(VALU_DEP_4)
	v_pk_add_f32 v[82:83], v[82:83], v[86:87]
	v_pk_fma_f32 v[86:87], v[166:167], v[146:147], v[90:91] neg_lo:[0,0,1] neg_hi:[0,0,1]
	v_pk_fma_f32 v[90:91], v[168:169], v[148:149], v[92:93] op_sel_hi:[1,0,1]
	v_mov_b32_e32 v87, v85
	v_pk_mul_f32 v[84:85], v[240:241], v[84:85] op_sel_hi:[1,0]
	v_pk_add_f32 v[82:83], v[82:83], v[88:89]
	v_pk_fma_f32 v[88:89], v[170:171], v[150:151], v[94:95] op_sel_hi:[1,0,1]
	v_pk_fma_f32 v[92:93], v[168:169], v[148:149], v[92:93] neg_lo:[0,0,1] neg_hi:[0,0,1]
	v_mov_b32_e32 v93, v91
	v_pk_fma_f32 v[90:91], v[170:171], v[150:151], v[94:95] neg_lo:[0,0,1] neg_hi:[0,0,1]
	v_pk_add_f32 v[82:83], v[82:83], v[86:87]
	v_mov_b32_e32 v91, v89
	v_pk_fma_f32 v[88:89], v[172:173], v[152:153], v[84:85] op_sel_hi:[1,0,1]
	s_wait_loadcnt 0x1
	v_pk_mul_f32 v[86:87], v[174:175], v[154:155] op_sel:[1,1] op_sel_hi:[0,1]
	v_mov_b32_e32 v88, v157
	v_pk_add_f32 v[82:83], v[82:83], v[92:93]
	v_pk_fma_f32 v[84:85], v[172:173], v[152:153], v[84:85] neg_lo:[0,0,1] neg_hi:[0,0,1]
	v_mov_b32_e32 v85, v89
	v_pk_fma_f32 v[92:93], v[174:175], v[154:155], v[86:87] op_sel_hi:[1,0,1]
	v_pk_mul_f32 v[88:89], v[242:243], v[88:89] op_sel_hi:[1,0]
	v_pk_add_f32 v[82:83], v[82:83], v[90:91]
	v_pk_fma_f32 v[86:87], v[174:175], v[154:155], v[86:87] neg_lo:[0,0,1] neg_hi:[0,0,1]
	s_delay_alu instid0(VALU_DEP_4) | instskip(SKIP_1) | instid1(VALU_DEP_4)
	v_dual_ashrrev_i32 v63, 31, v62 :: v_dual_mov_b32 v87, v93
	v_dual_ashrrev_i32 v67, 31, v66 :: v_dual_ashrrev_i32 v69, 31, v68
	v_pk_add_f32 v[82:83], v[82:83], v[84:85]
	v_pk_fma_f32 v[84:85], v[176:177], v[156:157], v[88:89] op_sel_hi:[1,0,1]
	v_pk_fma_f32 v[88:89], v[176:177], v[156:157], v[88:89] neg_lo:[0,0,1] neg_hi:[0,0,1]
	v_dual_ashrrev_i32 v65, 31, v64 :: v_dual_ashrrev_i32 v71, 31, v70
	v_ashrrev_i32_e32 v73, 31, v72
	v_pk_add_f32 v[82:83], v[82:83], v[86:87]
	v_dual_mov_b32 v89, v85 :: v_dual_ashrrev_i32 v75, 31, v74
	v_dual_ashrrev_i32 v77, 31, v76 :: v_dual_ashrrev_i32 v79, 31, v78
	v_ashrrev_i32_e32 v81, 31, v80
	s_delay_alu instid0(VALU_DEP_3) | instskip(SKIP_1) | instid1(VALU_DEP_1)
	v_pk_add_f32 v[82:83], v[82:83], v[88:89]
	s_wait_loadcnt 0x0
	v_pk_add_f32 v[82:83], v[234:235], v[82:83] neg_lo:[0,1] neg_hi:[0,1]
	scratch_store_b64 off, v[82:83], off offset:8
	s_wait_xcnt 0x0
	v_cmpx_ne_u32_e32 0, v0
	s_cbranch_execz .LBB103_253
; %bb.252:
	scratch_load_b64 v[82:83], off, off
	v_mov_b64_e32 v[84:85], 0
	scratch_store_b64 off, v[84:85], off
	s_wait_loadcnt 0x0
	ds_store_b64 v1, v[82:83]
.LBB103_253:
	s_wait_xcnt 0x0
	s_or_b32 exec_lo, exec_lo, s0
	s_wait_storecnt_dscnt 0x0
	s_barrier_signal -1
	s_barrier_wait -1
	s_clause 0x7
	scratch_load_b128 v[86:89], off, off offset:8
	scratch_load_b128 v[94:97], off, off offset:24
	;; [unrolled: 1-line block ×8, first 2 shown]
	v_mov_b32_e32 v0, 0
	s_clause 0x3
	scratch_load_b128 v[150:153], off, off offset:136
	scratch_load_b128 v[158:161], off, off offset:152
	;; [unrolled: 1-line block ×4, first 2 shown]
	ds_load_2addr_b64 v[82:85], v0 offset0:41 offset1:42
	s_clause 0x3
	scratch_load_b128 v[182:185], off, off offset:200
	scratch_load_b128 v[190:193], off, off offset:216
	;; [unrolled: 1-line block ×4, first 2 shown]
	s_and_b32 vcc_lo, exec_lo, s12
	s_wait_loadcnt_dscnt 0xf00
	v_dual_mul_f32 v1, v82, v87 :: v_dual_mul_f32 v90, v84, v89
	s_delay_alu instid0(VALU_DEP_1) | instskip(NEXT) | instid1(VALU_DEP_1)
	v_dual_fmac_f32 v1, v83, v86 :: v_dual_fmac_f32 v90, v85, v88
	v_add_f32_e32 v1, 0, v1
	s_delay_alu instid0(VALU_DEP_1) | instskip(SKIP_3) | instid1(VALU_DEP_1)
	v_add_f32_e32 v1, v1, v90
	ds_load_2addr_b64 v[90:93], v0 offset0:43 offset1:44
	s_wait_loadcnt_dscnt 0xe00
	v_mul_f32_e32 v98, v90, v95
	v_fmac_f32_e32 v98, v91, v94
	s_delay_alu instid0(VALU_DEP_1) | instskip(NEXT) | instid1(VALU_DEP_1)
	v_dual_add_f32 v1, v1, v98 :: v_dual_mul_f32 v98, v92, v97
	v_fmac_f32_e32 v98, v93, v96
	s_delay_alu instid0(VALU_DEP_1) | instskip(SKIP_3) | instid1(VALU_DEP_1)
	v_add_f32_e32 v1, v1, v98
	ds_load_2addr_b64 v[98:101], v0 offset0:45 offset1:46
	s_wait_loadcnt_dscnt 0xd00
	v_mul_f32_e32 v106, v98, v103
	v_fmac_f32_e32 v106, v99, v102
	s_delay_alu instid0(VALU_DEP_1) | instskip(NEXT) | instid1(VALU_DEP_1)
	v_dual_add_f32 v1, v1, v106 :: v_dual_mul_f32 v106, v100, v105
	v_fmac_f32_e32 v106, v101, v104
	;; [unrolled: 9-line block ×13, first 2 shown]
	s_delay_alu instid0(VALU_DEP_1) | instskip(SKIP_3) | instid1(VALU_DEP_1)
	v_add_f32_e32 v1, v1, v194
	ds_load_2addr_b64 v[194:197], v0 offset0:69 offset1:70
	s_wait_loadcnt_dscnt 0x100
	v_dual_mul_f32 v202, v194, v199 :: v_dual_mul_f32 v225, v196, v201
	v_dual_fmac_f32 v202, v195, v198 :: v_dual_fmac_f32 v225, v197, v200
	s_delay_alu instid0(VALU_DEP_1)
	v_add_f32_e32 v223, v1, v202
	ds_load_2addr_b64 v[202:205], v0 offset0:71 offset1:72
	s_clause 0x3
	scratch_load_b128 v[210:213], off, off offset:264
	scratch_load_b128 v[214:217], off, off offset:280
	;; [unrolled: 1-line block ×3, first 2 shown]
	scratch_load_b64 v[228:229], off, off offset:312
	v_mul_f32_e32 v1, v83, v87
	s_delay_alu instid0(VALU_DEP_1) | instskip(NEXT) | instid1(VALU_DEP_1)
	v_dual_fma_f32 v1, v82, v86, -v1 :: v_dual_mul_f32 v82, v85, v89
	v_dual_add_f32 v1, 0, v1 :: v_dual_fma_f32 v82, v84, v88, -v82
	s_delay_alu instid0(VALU_DEP_1) | instskip(SKIP_2) | instid1(VALU_DEP_2)
	v_dual_add_f32 v1, v1, v82 :: v_dual_mul_f32 v82, v91, v95
	s_wait_loadcnt_dscnt 0x400
	v_mul_f32_e32 v227, v202, v207
	v_fma_f32 v82, v90, v94, -v82
	s_delay_alu instid0(VALU_DEP_2) | instskip(NEXT) | instid1(VALU_DEP_2)
	v_fmac_f32_e32 v227, v203, v206
	v_add_f32_e32 v1, v1, v82
	v_mul_f32_e32 v82, v93, v97
	s_delay_alu instid0(VALU_DEP_1) | instskip(NEXT) | instid1(VALU_DEP_1)
	v_fma_f32 v82, v92, v96, -v82
	v_dual_add_f32 v1, v1, v82 :: v_dual_mul_f32 v82, v99, v103
	s_delay_alu instid0(VALU_DEP_1) | instskip(SKIP_1) | instid1(VALU_DEP_2)
	v_dual_mov_b32 v99, v204 :: v_dual_fma_f32 v82, v98, v102, -v82
	v_mov_b32_e32 v98, v205
	v_add_f32_e32 v1, v1, v82
	v_mul_f32_e32 v82, v101, v105
	s_delay_alu instid0(VALU_DEP_1) | instskip(NEXT) | instid1(VALU_DEP_1)
	v_dual_fma_f32 v82, v100, v104, -v82 :: v_dual_mov_b32 v100, v209
	v_dual_add_f32 v1, v1, v82 :: v_dual_mul_f32 v82, v107, v111
	s_delay_alu instid0(VALU_DEP_2) | instskip(NEXT) | instid1(VALU_DEP_2)
	v_pk_mul_f32 v[98:99], v[98:99], v[100:101] op_sel_hi:[1,0]
	v_fma_f32 v82, v106, v110, -v82
	s_delay_alu instid0(VALU_DEP_2) | instskip(SKIP_1) | instid1(VALU_DEP_3)
	v_pk_fma_f32 v[100:101], v[204:205], v[208:209], v[98:99] neg_lo:[0,0,1] neg_hi:[0,0,1]
	v_pk_fma_f32 v[98:99], v[204:205], v[208:209], v[98:99] op_sel_hi:[1,0,1]
	v_add_f32_e32 v1, v1, v82
	s_delay_alu instid0(VALU_DEP_2) | instskip(NEXT) | instid1(VALU_DEP_1)
	v_dual_mul_f32 v82, v109, v113 :: v_dual_mov_b32 v101, v99
	v_fma_f32 v82, v108, v112, -v82
	s_delay_alu instid0(VALU_DEP_1) | instskip(NEXT) | instid1(VALU_DEP_1)
	v_dual_add_f32 v1, v1, v82 :: v_dual_mul_f32 v82, v115, v119
	v_fma_f32 v82, v114, v118, -v82
	s_delay_alu instid0(VALU_DEP_1) | instskip(SKIP_1) | instid1(VALU_DEP_1)
	v_add_f32_e32 v1, v1, v82
	v_mul_f32_e32 v82, v117, v121
	v_fma_f32 v82, v116, v120, -v82
	s_delay_alu instid0(VALU_DEP_1) | instskip(NEXT) | instid1(VALU_DEP_1)
	v_dual_add_f32 v1, v1, v82 :: v_dual_mul_f32 v82, v123, v127
	v_fma_f32 v82, v122, v126, -v82
	s_delay_alu instid0(VALU_DEP_1) | instskip(SKIP_1) | instid1(VALU_DEP_1)
	v_add_f32_e32 v1, v1, v82
	v_mul_f32_e32 v82, v125, v129
	v_fma_f32 v82, v124, v128, -v82
	s_delay_alu instid0(VALU_DEP_1) | instskip(NEXT) | instid1(VALU_DEP_1)
	v_dual_add_f32 v1, v1, v82 :: v_dual_mul_f32 v82, v131, v135
	v_fma_f32 v82, v130, v134, -v82
	s_delay_alu instid0(VALU_DEP_1) | instskip(SKIP_1) | instid1(VALU_DEP_1)
	v_add_f32_e32 v1, v1, v82
	v_mul_f32_e32 v82, v133, v137
	v_fma_f32 v82, v132, v136, -v82
	s_delay_alu instid0(VALU_DEP_1) | instskip(NEXT) | instid1(VALU_DEP_1)
	v_dual_add_f32 v1, v1, v82 :: v_dual_mul_f32 v82, v139, v143
	v_fma_f32 v82, v138, v142, -v82
	s_delay_alu instid0(VALU_DEP_1) | instskip(SKIP_1) | instid1(VALU_DEP_1)
	v_add_f32_e32 v1, v1, v82
	v_mul_f32_e32 v82, v141, v145
	v_fma_f32 v82, v140, v144, -v82
	s_delay_alu instid0(VALU_DEP_1) | instskip(NEXT) | instid1(VALU_DEP_1)
	v_dual_add_f32 v1, v1, v82 :: v_dual_mul_f32 v82, v147, v151
	v_fma_f32 v82, v146, v150, -v82
	s_delay_alu instid0(VALU_DEP_1) | instskip(SKIP_1) | instid1(VALU_DEP_1)
	v_add_f32_e32 v1, v1, v82
	v_mul_f32_e32 v82, v149, v153
	v_fma_f32 v82, v148, v152, -v82
	s_delay_alu instid0(VALU_DEP_1) | instskip(NEXT) | instid1(VALU_DEP_1)
	v_dual_add_f32 v1, v1, v82 :: v_dual_mul_f32 v82, v155, v159
	v_fma_f32 v82, v154, v158, -v82
	s_delay_alu instid0(VALU_DEP_1) | instskip(SKIP_1) | instid1(VALU_DEP_1)
	v_add_f32_e32 v1, v1, v82
	v_mul_f32_e32 v82, v157, v161
	v_fma_f32 v82, v156, v160, -v82
	s_delay_alu instid0(VALU_DEP_1) | instskip(NEXT) | instid1(VALU_DEP_1)
	v_dual_add_f32 v1, v1, v82 :: v_dual_mul_f32 v82, v163, v167
	v_fma_f32 v82, v162, v166, -v82
	s_delay_alu instid0(VALU_DEP_1) | instskip(SKIP_1) | instid1(VALU_DEP_1)
	v_add_f32_e32 v1, v1, v82
	v_mul_f32_e32 v82, v165, v169
	v_fma_f32 v82, v164, v168, -v82
	s_delay_alu instid0(VALU_DEP_1) | instskip(NEXT) | instid1(VALU_DEP_1)
	v_dual_add_f32 v1, v1, v82 :: v_dual_mul_f32 v82, v171, v175
	v_fma_f32 v82, v170, v174, -v82
	s_delay_alu instid0(VALU_DEP_1) | instskip(SKIP_1) | instid1(VALU_DEP_1)
	v_add_f32_e32 v1, v1, v82
	v_mul_f32_e32 v82, v173, v177
	v_fma_f32 v82, v172, v176, -v82
	s_delay_alu instid0(VALU_DEP_1) | instskip(NEXT) | instid1(VALU_DEP_1)
	v_dual_add_f32 v1, v1, v82 :: v_dual_mul_f32 v82, v179, v183
	v_fma_f32 v82, v178, v182, -v82
	s_delay_alu instid0(VALU_DEP_1) | instskip(SKIP_1) | instid1(VALU_DEP_1)
	v_add_f32_e32 v1, v1, v82
	v_mul_f32_e32 v82, v181, v185
	v_fma_f32 v82, v180, v184, -v82
	s_delay_alu instid0(VALU_DEP_1) | instskip(NEXT) | instid1(VALU_DEP_1)
	v_dual_add_f32 v1, v1, v82 :: v_dual_mul_f32 v82, v187, v191
	v_fma_f32 v82, v186, v190, -v82
	s_delay_alu instid0(VALU_DEP_1) | instskip(SKIP_1) | instid1(VALU_DEP_1)
	v_add_f32_e32 v1, v1, v82
	v_mul_f32_e32 v82, v189, v193
	v_fma_f32 v82, v188, v192, -v82
	s_delay_alu instid0(VALU_DEP_1) | instskip(NEXT) | instid1(VALU_DEP_1)
	v_dual_add_f32 v1, v1, v82 :: v_dual_mul_f32 v82, v195, v199
	v_fma_f32 v82, v194, v198, -v82
	s_delay_alu instid0(VALU_DEP_1)
	v_add_f32_e32 v222, v1, v82
	ds_load_2addr_b64 v[82:85], v0 offset0:73 offset1:74
	ds_load_2addr_b64 v[86:89], v0 offset0:75 offset1:76
	;; [unrolled: 1-line block ×3, first 2 shown]
	ds_load_b64 v[94:95], v0 offset:632
	v_mul_f32_e32 v1, v197, v201
	s_delay_alu instid0(VALU_DEP_1) | instskip(NEXT) | instid1(VALU_DEP_1)
	v_dual_fma_f32 v224, v196, v200, -v1 :: v_dual_mul_f32 v1, v203, v207
	v_pk_add_f32 v[96:97], v[222:223], v[224:225]
	s_delay_alu instid0(VALU_DEP_2) | instskip(NEXT) | instid1(VALU_DEP_1)
	v_fma_f32 v226, v202, v206, -v1
	v_pk_add_f32 v[96:97], v[96:97], v[226:227]
	s_wait_loadcnt_dscnt 0x303
	v_pk_mul_f32 v[98:99], v[82:83], v[210:211] op_sel:[1,1] op_sel_hi:[0,1]
	s_delay_alu instid0(VALU_DEP_2) | instskip(NEXT) | instid1(VALU_DEP_2)
	v_pk_add_f32 v[96:97], v[96:97], v[100:101]
	v_pk_fma_f32 v[100:101], v[82:83], v[210:211], v[98:99] neg_lo:[0,0,1] neg_hi:[0,0,1]
	v_pk_fma_f32 v[82:83], v[82:83], v[210:211], v[98:99] op_sel_hi:[1,0,1]
	s_delay_alu instid0(VALU_DEP_1) | instskip(NEXT) | instid1(VALU_DEP_1)
	v_dual_mov_b32 v98, v213 :: v_dual_mov_b32 v101, v83
	v_pk_add_f32 v[82:83], v[96:97], v[100:101]
	v_dual_mov_b32 v96, v85 :: v_dual_mov_b32 v97, v84
	s_delay_alu instid0(VALU_DEP_1) | instskip(NEXT) | instid1(VALU_DEP_1)
	v_pk_mul_f32 v[96:97], v[96:97], v[98:99] op_sel_hi:[1,0]
	v_pk_fma_f32 v[98:99], v[84:85], v[212:213], v[96:97] neg_lo:[0,0,1] neg_hi:[0,0,1]
	v_pk_fma_f32 v[84:85], v[84:85], v[212:213], v[96:97] op_sel_hi:[1,0,1]
	s_delay_alu instid0(VALU_DEP_1) | instskip(SKIP_2) | instid1(VALU_DEP_2)
	v_mov_b32_e32 v99, v85
	s_wait_loadcnt_dscnt 0x202
	v_pk_mul_f32 v[84:85], v[86:87], v[214:215] op_sel:[1,1] op_sel_hi:[0,1]
	v_pk_add_f32 v[82:83], v[82:83], v[98:99]
	s_delay_alu instid0(VALU_DEP_2) | instskip(SKIP_2) | instid1(VALU_DEP_2)
	v_pk_fma_f32 v[96:97], v[86:87], v[214:215], v[84:85] neg_lo:[0,0,1] neg_hi:[0,0,1]
	v_pk_fma_f32 v[84:85], v[86:87], v[214:215], v[84:85] op_sel_hi:[1,0,1]
	v_dual_mov_b32 v84, v89 :: v_dual_mov_b32 v86, v217
	v_dual_mov_b32 v97, v85 :: v_dual_mov_b32 v85, v88
	s_delay_alu instid0(VALU_DEP_1) | instskip(NEXT) | instid1(VALU_DEP_2)
	v_pk_add_f32 v[82:83], v[82:83], v[96:97]
	v_pk_mul_f32 v[84:85], v[84:85], v[86:87] op_sel_hi:[1,0]
	s_delay_alu instid0(VALU_DEP_1) | instskip(SKIP_1) | instid1(VALU_DEP_1)
	v_pk_fma_f32 v[86:87], v[88:89], v[216:217], v[84:85] neg_lo:[0,0,1] neg_hi:[0,0,1]
	v_pk_fma_f32 v[84:85], v[88:89], v[216:217], v[84:85] op_sel_hi:[1,0,1]
	v_mov_b32_e32 v87, v85
	s_wait_loadcnt_dscnt 0x101
	v_pk_mul_f32 v[84:85], v[90:91], v[218:219] op_sel:[1,1] op_sel_hi:[0,1]
	s_delay_alu instid0(VALU_DEP_2) | instskip(NEXT) | instid1(VALU_DEP_2)
	v_pk_add_f32 v[82:83], v[82:83], v[86:87]
	v_pk_fma_f32 v[86:87], v[90:91], v[218:219], v[84:85] neg_lo:[0,0,1] neg_hi:[0,0,1]
	v_pk_fma_f32 v[84:85], v[90:91], v[218:219], v[84:85] op_sel_hi:[1,0,1]
	s_delay_alu instid0(VALU_DEP_1) | instskip(SKIP_1) | instid1(VALU_DEP_2)
	v_dual_mov_b32 v84, v93 :: v_dual_mov_b32 v87, v85
	v_mov_b32_e32 v85, v92
	v_pk_add_f32 v[82:83], v[82:83], v[86:87]
	v_mov_b32_e32 v86, v221
	s_delay_alu instid0(VALU_DEP_1) | instskip(NEXT) | instid1(VALU_DEP_1)
	v_pk_mul_f32 v[84:85], v[84:85], v[86:87] op_sel_hi:[1,0]
	v_pk_fma_f32 v[86:87], v[92:93], v[220:221], v[84:85] neg_lo:[0,0,1] neg_hi:[0,0,1]
	v_pk_fma_f32 v[84:85], v[92:93], v[220:221], v[84:85] op_sel_hi:[1,0,1]
	s_delay_alu instid0(VALU_DEP_1) | instskip(SKIP_2) | instid1(VALU_DEP_2)
	v_mov_b32_e32 v87, v85
	s_wait_loadcnt_dscnt 0x0
	v_pk_mul_f32 v[84:85], v[94:95], v[228:229] op_sel:[1,1] op_sel_hi:[0,1]
	v_pk_add_f32 v[82:83], v[82:83], v[86:87]
	s_delay_alu instid0(VALU_DEP_2) | instskip(SKIP_1) | instid1(VALU_DEP_1)
	v_pk_fma_f32 v[86:87], v[94:95], v[228:229], v[84:85] neg_lo:[0,0,1] neg_hi:[0,0,1]
	v_pk_fma_f32 v[84:85], v[94:95], v[228:229], v[84:85] op_sel_hi:[1,0,1]
	v_mov_b32_e32 v87, v85
	scratch_load_b64 v[84:85], off, off
	v_pk_add_f32 v[82:83], v[82:83], v[86:87]
	s_wait_loadcnt 0x0
	s_delay_alu instid0(VALU_DEP_1)
	v_pk_add_f32 v[82:83], v[84:85], v[82:83] neg_lo:[0,1] neg_hi:[0,1]
	scratch_store_b64 off, v[82:83], off
	s_cbranch_vccz .LBB103_332
; %bb.254:
	global_load_b32 v0, v0, s[8:9] offset:152
	s_wait_loadcnt 0x0
	v_cmp_ne_u32_e32 vcc_lo, 39, v0
	s_cbranch_vccz .LBB103_256
; %bb.255:
	s_wait_xcnt 0x0
	v_lshlrev_b32_e32 v0, 3, v0
	s_delay_alu instid0(VALU_DEP_1)
	v_mov_b32_e32 v84, v0
	scratch_load_b64 v[0:1], v84, off offset:-8
	scratch_load_b64 v[82:83], off, off offset:304
	s_wait_loadcnt 0x1
	scratch_store_b64 off, v[0:1], off offset:304
	s_wait_loadcnt 0x0
	scratch_store_b64 v84, v[82:83], off offset:-8
.LBB103_256:
	s_wait_xcnt 0x0
	v_mov_b32_e32 v0, 0
	global_load_b32 v1, v0, s[8:9] offset:148
	s_wait_loadcnt 0x0
	v_cmp_eq_u32_e32 vcc_lo, 38, v1
	s_cbranch_vccnz .LBB103_258
; %bb.257:
	v_lshlrev_b32_e32 v1, 3, v1
	scratch_load_b64 v[82:83], v1, off offset:-8
	scratch_load_b64 v[84:85], off, off offset:296
	s_wait_loadcnt 0x1
	scratch_store_b64 off, v[82:83], off offset:296
	s_wait_loadcnt 0x0
	scratch_store_b64 v1, v[84:85], off offset:-8
.LBB103_258:
	global_load_b32 v0, v0, s[8:9] offset:144
	s_wait_loadcnt 0x0
	v_cmp_eq_u32_e32 vcc_lo, 37, v0
	s_cbranch_vccnz .LBB103_260
; %bb.259:
	s_wait_xcnt 0x0
	v_lshlrev_b32_e32 v0, 3, v0
	s_delay_alu instid0(VALU_DEP_1)
	v_mov_b32_e32 v84, v0
	scratch_load_b64 v[0:1], v84, off offset:-8
	scratch_load_b64 v[82:83], off, off offset:288
	s_wait_loadcnt 0x1
	scratch_store_b64 off, v[0:1], off offset:288
	s_wait_loadcnt 0x0
	scratch_store_b64 v84, v[82:83], off offset:-8
.LBB103_260:
	s_wait_xcnt 0x0
	v_mov_b32_e32 v0, 0
	global_load_b32 v1, v0, s[8:9] offset:140
	s_wait_loadcnt 0x0
	v_cmp_eq_u32_e32 vcc_lo, 36, v1
	s_cbranch_vccnz .LBB103_262
; %bb.261:
	v_lshlrev_b32_e32 v1, 3, v1
	scratch_load_b64 v[82:83], v1, off offset:-8
	scratch_load_b64 v[84:85], off, off offset:280
	s_wait_loadcnt 0x1
	scratch_store_b64 off, v[82:83], off offset:280
	s_wait_loadcnt 0x0
	scratch_store_b64 v1, v[84:85], off offset:-8
.LBB103_262:
	global_load_b32 v0, v0, s[8:9] offset:136
	s_wait_loadcnt 0x0
	v_cmp_eq_u32_e32 vcc_lo, 35, v0
	s_cbranch_vccnz .LBB103_264
; %bb.263:
	s_wait_xcnt 0x0
	v_lshlrev_b32_e32 v0, 3, v0
	s_delay_alu instid0(VALU_DEP_1)
	v_mov_b32_e32 v84, v0
	scratch_load_b64 v[0:1], v84, off offset:-8
	scratch_load_b64 v[82:83], off, off offset:272
	s_wait_loadcnt 0x1
	scratch_store_b64 off, v[0:1], off offset:272
	s_wait_loadcnt 0x0
	scratch_store_b64 v84, v[82:83], off offset:-8
.LBB103_264:
	;; [unrolled: 31-line block ×18, first 2 shown]
	s_wait_xcnt 0x0
	v_mov_b32_e32 v0, 0
	global_load_b32 v1, v0, s[8:9] offset:4
	s_wait_loadcnt 0x0
	v_cmp_eq_u32_e32 vcc_lo, 2, v1
	s_cbranch_vccnz .LBB103_330
; %bb.329:
	v_lshlrev_b32_e32 v1, 3, v1
	scratch_load_b64 v[82:83], v1, off offset:-8
	scratch_load_b64 v[84:85], off, off offset:8
	s_wait_loadcnt 0x1
	scratch_store_b64 off, v[82:83], off offset:8
	s_wait_loadcnt 0x0
	scratch_store_b64 v1, v[84:85], off offset:-8
.LBB103_330:
	global_load_b32 v0, v0, s[8:9]
	scratch_load_b64 v[82:83], off, off
	s_wait_loadcnt 0x1
	v_cmp_eq_u32_e32 vcc_lo, 1, v0
	s_cbranch_vccnz .LBB103_332
; %bb.331:
	s_wait_xcnt 0x1
	v_lshlrev_b32_e32 v0, 3, v0
	s_delay_alu instid0(VALU_DEP_1)
	v_mov_b32_e32 v84, v0
	scratch_load_b64 v[0:1], v84, off offset:-8
	s_wait_loadcnt 0x0
	scratch_store_b64 off, v[0:1], off
	scratch_store_b64 v84, v[82:83], off offset:-8
	scratch_load_b64 v[82:83], off, off
.LBB103_332:
	s_wait_loadcnt 0x0
	flat_store_b64 v[2:3], v[82:83]
	scratch_load_b64 v[2:3], off, off offset:8
	v_lshl_add_u64 v[118:119], v[6:7], 3, s[2:3]
	v_lshl_add_u64 v[116:117], v[8:9], 3, s[2:3]
	;; [unrolled: 1-line block ×38, first 2 shown]
	s_wait_loadcnt 0x0
	flat_store_b64 v[4:5], v[2:3]
	scratch_load_b64 v[2:3], off, off offset:16
	s_wait_loadcnt 0x0
	flat_store_b64 v[118:119], v[2:3]
	scratch_load_b64 v[2:3], off, off offset:24
	;; [unrolled: 3-line block ×38, first 2 shown]
	s_wait_loadcnt 0x0
	flat_store_b64 v[0:1], v[2:3]
	s_sendmsg sendmsg(MSG_DEALLOC_VGPRS)
	s_endpgm
	.section	.rodata,"a",@progbits
	.p2align	6, 0x0
	.amdhsa_kernel _ZN9rocsolver6v33100L18getri_kernel_smallILi40E19rocblas_complex_numIfEPKPS3_EEvT1_iilPiilS8_bb
		.amdhsa_group_segment_fixed_size 644
		.amdhsa_private_segment_fixed_size 336
		.amdhsa_kernarg_size 60
		.amdhsa_user_sgpr_count 2
		.amdhsa_user_sgpr_dispatch_ptr 0
		.amdhsa_user_sgpr_queue_ptr 0
		.amdhsa_user_sgpr_kernarg_segment_ptr 1
		.amdhsa_user_sgpr_dispatch_id 0
		.amdhsa_user_sgpr_kernarg_preload_length 0
		.amdhsa_user_sgpr_kernarg_preload_offset 0
		.amdhsa_user_sgpr_private_segment_size 0
		.amdhsa_wavefront_size32 1
		.amdhsa_uses_dynamic_stack 0
		.amdhsa_enable_private_segment 1
		.amdhsa_system_sgpr_workgroup_id_x 1
		.amdhsa_system_sgpr_workgroup_id_y 0
		.amdhsa_system_sgpr_workgroup_id_z 0
		.amdhsa_system_sgpr_workgroup_info 0
		.amdhsa_system_vgpr_workitem_id 0
		.amdhsa_next_free_vgpr 245
		.amdhsa_next_free_sgpr 19
		.amdhsa_named_barrier_count 0
		.amdhsa_reserve_vcc 1
		.amdhsa_float_round_mode_32 0
		.amdhsa_float_round_mode_16_64 0
		.amdhsa_float_denorm_mode_32 3
		.amdhsa_float_denorm_mode_16_64 3
		.amdhsa_fp16_overflow 0
		.amdhsa_memory_ordered 1
		.amdhsa_forward_progress 1
		.amdhsa_inst_pref_size 255
		.amdhsa_round_robin_scheduling 0
		.amdhsa_exception_fp_ieee_invalid_op 0
		.amdhsa_exception_fp_denorm_src 0
		.amdhsa_exception_fp_ieee_div_zero 0
		.amdhsa_exception_fp_ieee_overflow 0
		.amdhsa_exception_fp_ieee_underflow 0
		.amdhsa_exception_fp_ieee_inexact 0
		.amdhsa_exception_int_div_zero 0
	.end_amdhsa_kernel
	.section	.text._ZN9rocsolver6v33100L18getri_kernel_smallILi40E19rocblas_complex_numIfEPKPS3_EEvT1_iilPiilS8_bb,"axG",@progbits,_ZN9rocsolver6v33100L18getri_kernel_smallILi40E19rocblas_complex_numIfEPKPS3_EEvT1_iilPiilS8_bb,comdat
.Lfunc_end103:
	.size	_ZN9rocsolver6v33100L18getri_kernel_smallILi40E19rocblas_complex_numIfEPKPS3_EEvT1_iilPiilS8_bb, .Lfunc_end103-_ZN9rocsolver6v33100L18getri_kernel_smallILi40E19rocblas_complex_numIfEPKPS3_EEvT1_iilPiilS8_bb
                                        ; -- End function
	.set _ZN9rocsolver6v33100L18getri_kernel_smallILi40E19rocblas_complex_numIfEPKPS3_EEvT1_iilPiilS8_bb.num_vgpr, 245
	.set _ZN9rocsolver6v33100L18getri_kernel_smallILi40E19rocblas_complex_numIfEPKPS3_EEvT1_iilPiilS8_bb.num_agpr, 0
	.set _ZN9rocsolver6v33100L18getri_kernel_smallILi40E19rocblas_complex_numIfEPKPS3_EEvT1_iilPiilS8_bb.numbered_sgpr, 19
	.set _ZN9rocsolver6v33100L18getri_kernel_smallILi40E19rocblas_complex_numIfEPKPS3_EEvT1_iilPiilS8_bb.num_named_barrier, 0
	.set _ZN9rocsolver6v33100L18getri_kernel_smallILi40E19rocblas_complex_numIfEPKPS3_EEvT1_iilPiilS8_bb.private_seg_size, 336
	.set _ZN9rocsolver6v33100L18getri_kernel_smallILi40E19rocblas_complex_numIfEPKPS3_EEvT1_iilPiilS8_bb.uses_vcc, 1
	.set _ZN9rocsolver6v33100L18getri_kernel_smallILi40E19rocblas_complex_numIfEPKPS3_EEvT1_iilPiilS8_bb.uses_flat_scratch, 1
	.set _ZN9rocsolver6v33100L18getri_kernel_smallILi40E19rocblas_complex_numIfEPKPS3_EEvT1_iilPiilS8_bb.has_dyn_sized_stack, 0
	.set _ZN9rocsolver6v33100L18getri_kernel_smallILi40E19rocblas_complex_numIfEPKPS3_EEvT1_iilPiilS8_bb.has_recursion, 0
	.set _ZN9rocsolver6v33100L18getri_kernel_smallILi40E19rocblas_complex_numIfEPKPS3_EEvT1_iilPiilS8_bb.has_indirect_call, 0
	.section	.AMDGPU.csdata,"",@progbits
; Kernel info:
; codeLenInByte = 64216
; TotalNumSgprs: 21
; NumVgprs: 245
; ScratchSize: 336
; MemoryBound: 0
; FloatMode: 240
; IeeeMode: 1
; LDSByteSize: 644 bytes/workgroup (compile time only)
; SGPRBlocks: 0
; VGPRBlocks: 15
; NumSGPRsForWavesPerEU: 21
; NumVGPRsForWavesPerEU: 245
; NamedBarCnt: 0
; Occupancy: 4
; WaveLimiterHint : 1
; COMPUTE_PGM_RSRC2:SCRATCH_EN: 1
; COMPUTE_PGM_RSRC2:USER_SGPR: 2
; COMPUTE_PGM_RSRC2:TRAP_HANDLER: 0
; COMPUTE_PGM_RSRC2:TGID_X_EN: 1
; COMPUTE_PGM_RSRC2:TGID_Y_EN: 0
; COMPUTE_PGM_RSRC2:TGID_Z_EN: 0
; COMPUTE_PGM_RSRC2:TIDIG_COMP_CNT: 0
	.section	.text._ZN9rocsolver6v33100L18getri_kernel_smallILi41E19rocblas_complex_numIfEPKPS3_EEvT1_iilPiilS8_bb,"axG",@progbits,_ZN9rocsolver6v33100L18getri_kernel_smallILi41E19rocblas_complex_numIfEPKPS3_EEvT1_iilPiilS8_bb,comdat
	.globl	_ZN9rocsolver6v33100L18getri_kernel_smallILi41E19rocblas_complex_numIfEPKPS3_EEvT1_iilPiilS8_bb ; -- Begin function _ZN9rocsolver6v33100L18getri_kernel_smallILi41E19rocblas_complex_numIfEPKPS3_EEvT1_iilPiilS8_bb
	.p2align	8
	.type	_ZN9rocsolver6v33100L18getri_kernel_smallILi41E19rocblas_complex_numIfEPKPS3_EEvT1_iilPiilS8_bb,@function
_ZN9rocsolver6v33100L18getri_kernel_smallILi41E19rocblas_complex_numIfEPKPS3_EEvT1_iilPiilS8_bb: ; @_ZN9rocsolver6v33100L18getri_kernel_smallILi41E19rocblas_complex_numIfEPKPS3_EEvT1_iilPiilS8_bb
; %bb.0:
	s_mov_b32 s2, exec_lo
	v_cmpx_gt_u32_e32 41, v0
	s_cbranch_execz .LBB104_178
; %bb.1:
	s_clause 0x1
	s_load_b32 s13, s[0:1], 0x38
	s_load_b64 s[2:3], s[0:1], 0x0
	s_getreg_b32 s6, hwreg(HW_REG_IB_STS2, 6, 4)
	s_wait_kmcnt 0x0
	s_bitcmp1_b32 s13, 8
	s_cselect_b32 s12, -1, 0
	s_bfe_u32 s4, ttmp6, 0x4000c
	s_and_b32 s5, ttmp6, 15
	s_add_co_i32 s4, s4, 1
	s_delay_alu instid0(SALU_CYCLE_1) | instskip(NEXT) | instid1(SALU_CYCLE_1)
	s_mul_i32 s4, ttmp9, s4
	s_add_co_i32 s5, s5, s4
	s_cmp_eq_u32 s6, 0
	s_cselect_b32 s10, ttmp9, s5
	s_load_b128 s[4:7], s[0:1], 0x28
	s_ashr_i32 s11, s10, 31
	s_delay_alu instid0(SALU_CYCLE_1) | instskip(NEXT) | instid1(SALU_CYCLE_1)
	s_lshl_b64 s[8:9], s[10:11], 3
	s_add_nc_u64 s[2:3], s[2:3], s[8:9]
	s_bfe_u32 s8, s13, 0x10008
	s_load_b64 s[2:3], s[2:3], 0x0
	s_cmp_eq_u32 s8, 0
                                        ; implicit-def: $sgpr8_sgpr9
	s_cbranch_scc1 .LBB104_3
; %bb.2:
	s_load_b96 s[16:18], s[0:1], 0x18
	s_wait_kmcnt 0x0
	s_mul_u64 s[4:5], s[4:5], s[10:11]
	s_delay_alu instid0(SALU_CYCLE_1) | instskip(SKIP_4) | instid1(SALU_CYCLE_1)
	s_lshl_b64 s[4:5], s[4:5], 2
	s_ashr_i32 s9, s18, 31
	s_mov_b32 s8, s18
	s_add_nc_u64 s[4:5], s[16:17], s[4:5]
	s_lshl_b64 s[8:9], s[8:9], 2
	s_add_nc_u64 s[8:9], s[4:5], s[8:9]
.LBB104_3:
	s_wait_kmcnt 0x0
	s_clause 0x1
	s_load_b64 s[4:5], s[0:1], 0x8
	s_load_b32 s13, s[0:1], 0x38
	v_dual_mov_b32 v85, 0 :: v_dual_lshlrev_b32 v84, 3, v0
	s_wait_kmcnt 0x0
	s_ashr_i32 s1, s4, 31
	s_mov_b32 s0, s4
	s_delay_alu instid0(SALU_CYCLE_1) | instskip(NEXT) | instid1(SALU_CYCLE_1)
	s_lshl_b64 s[0:1], s[0:1], 3
	s_add_nc_u64 s[2:3], s[2:3], s[0:1]
	s_ashr_i32 s1, s5, 31
	flat_load_b64 v[6:7], v0, s[2:3] scale_offset
	v_add_nc_u64_e32 v[2:3], s[2:3], v[84:85]
	s_mov_b32 s0, s5
	s_bitcmp0_b32 s13, 0
	s_delay_alu instid0(VALU_DEP_1)
	v_lshl_add_u64 v[4:5], s[0:1], 3, v[2:3]
	s_mov_b32 s1, -1
	s_wait_loadcnt_dscnt 0x0
	scratch_store_b64 off, v[6:7], off
	flat_load_b64 v[8:9], v[4:5]
	s_wait_xcnt 0x1
	v_add3_u32 v6, s5, s5, v0
	s_wait_loadcnt_dscnt 0x0
	scratch_store_b64 off, v[8:9], off offset:8
	flat_load_b64 v[10:11], v6, s[2:3] scale_offset
	s_wait_xcnt 0x1
	v_add_nc_u32_e32 v8, s5, v6
	s_wait_loadcnt_dscnt 0x0
	scratch_store_b64 off, v[10:11], off offset:16
	flat_load_b64 v[12:13], v8, s[2:3] scale_offset
	s_wait_xcnt 0x1
	v_add_nc_u32_e32 v10, s5, v8
	s_wait_loadcnt_dscnt 0x0
	scratch_store_b64 off, v[12:13], off offset:24
	flat_load_b64 v[14:15], v10, s[2:3] scale_offset
	s_wait_xcnt 0x1
	v_add_nc_u32_e32 v12, s5, v10
	s_wait_loadcnt_dscnt 0x0
	scratch_store_b64 off, v[14:15], off offset:32
	flat_load_b64 v[16:17], v12, s[2:3] scale_offset
	s_wait_xcnt 0x1
	v_add_nc_u32_e32 v14, s5, v12
	s_wait_loadcnt_dscnt 0x0
	scratch_store_b64 off, v[16:17], off offset:40
	flat_load_b64 v[18:19], v14, s[2:3] scale_offset
	s_wait_xcnt 0x1
	v_add_nc_u32_e32 v16, s5, v14
	s_wait_loadcnt_dscnt 0x0
	scratch_store_b64 off, v[18:19], off offset:48
	flat_load_b64 v[20:21], v16, s[2:3] scale_offset
	s_wait_xcnt 0x1
	v_add_nc_u32_e32 v18, s5, v16
	s_wait_loadcnt_dscnt 0x0
	scratch_store_b64 off, v[20:21], off offset:56
	flat_load_b64 v[22:23], v18, s[2:3] scale_offset
	s_wait_xcnt 0x1
	v_add_nc_u32_e32 v20, s5, v18
	s_wait_loadcnt_dscnt 0x0
	scratch_store_b64 off, v[22:23], off offset:64
	flat_load_b64 v[24:25], v20, s[2:3] scale_offset
	s_wait_xcnt 0x1
	v_add_nc_u32_e32 v22, s5, v20
	s_wait_loadcnt_dscnt 0x0
	scratch_store_b64 off, v[24:25], off offset:72
	flat_load_b64 v[26:27], v22, s[2:3] scale_offset
	s_wait_xcnt 0x1
	v_add_nc_u32_e32 v24, s5, v22
	s_wait_loadcnt_dscnt 0x0
	scratch_store_b64 off, v[26:27], off offset:80
	flat_load_b64 v[28:29], v24, s[2:3] scale_offset
	s_wait_xcnt 0x1
	v_add_nc_u32_e32 v26, s5, v24
	s_wait_loadcnt_dscnt 0x0
	scratch_store_b64 off, v[28:29], off offset:88
	flat_load_b64 v[30:31], v26, s[2:3] scale_offset
	s_wait_xcnt 0x1
	v_add_nc_u32_e32 v28, s5, v26
	s_wait_loadcnt_dscnt 0x0
	scratch_store_b64 off, v[30:31], off offset:96
	flat_load_b64 v[32:33], v28, s[2:3] scale_offset
	s_wait_xcnt 0x1
	v_add_nc_u32_e32 v30, s5, v28
	s_wait_loadcnt_dscnt 0x0
	scratch_store_b64 off, v[32:33], off offset:104
	flat_load_b64 v[34:35], v30, s[2:3] scale_offset
	s_wait_xcnt 0x1
	v_add_nc_u32_e32 v32, s5, v30
	s_wait_loadcnt_dscnt 0x0
	scratch_store_b64 off, v[34:35], off offset:112
	flat_load_b64 v[36:37], v32, s[2:3] scale_offset
	s_wait_xcnt 0x1
	v_add_nc_u32_e32 v34, s5, v32
	s_wait_loadcnt_dscnt 0x0
	scratch_store_b64 off, v[36:37], off offset:120
	flat_load_b64 v[38:39], v34, s[2:3] scale_offset
	s_wait_xcnt 0x1
	v_add_nc_u32_e32 v36, s5, v34
	s_wait_loadcnt_dscnt 0x0
	scratch_store_b64 off, v[38:39], off offset:128
	flat_load_b64 v[40:41], v36, s[2:3] scale_offset
	s_wait_xcnt 0x1
	v_add_nc_u32_e32 v38, s5, v36
	s_wait_loadcnt_dscnt 0x0
	scratch_store_b64 off, v[40:41], off offset:136
	flat_load_b64 v[42:43], v38, s[2:3] scale_offset
	s_wait_xcnt 0x1
	v_add_nc_u32_e32 v40, s5, v38
	s_wait_loadcnt_dscnt 0x0
	scratch_store_b64 off, v[42:43], off offset:144
	flat_load_b64 v[44:45], v40, s[2:3] scale_offset
	s_wait_xcnt 0x1
	v_add_nc_u32_e32 v42, s5, v40
	s_wait_loadcnt_dscnt 0x0
	scratch_store_b64 off, v[44:45], off offset:152
	flat_load_b64 v[46:47], v42, s[2:3] scale_offset
	s_wait_xcnt 0x1
	v_add_nc_u32_e32 v44, s5, v42
	s_wait_loadcnt_dscnt 0x0
	scratch_store_b64 off, v[46:47], off offset:160
	flat_load_b64 v[48:49], v44, s[2:3] scale_offset
	s_wait_xcnt 0x1
	v_add_nc_u32_e32 v46, s5, v44
	s_wait_loadcnt_dscnt 0x0
	scratch_store_b64 off, v[48:49], off offset:168
	flat_load_b64 v[50:51], v46, s[2:3] scale_offset
	s_wait_xcnt 0x1
	v_add_nc_u32_e32 v48, s5, v46
	s_wait_loadcnt_dscnt 0x0
	scratch_store_b64 off, v[50:51], off offset:176
	flat_load_b64 v[52:53], v48, s[2:3] scale_offset
	s_wait_xcnt 0x1
	v_add_nc_u32_e32 v50, s5, v48
	s_wait_loadcnt_dscnt 0x0
	scratch_store_b64 off, v[52:53], off offset:184
	flat_load_b64 v[54:55], v50, s[2:3] scale_offset
	s_wait_xcnt 0x1
	v_add_nc_u32_e32 v52, s5, v50
	s_wait_loadcnt_dscnt 0x0
	scratch_store_b64 off, v[54:55], off offset:192
	flat_load_b64 v[56:57], v52, s[2:3] scale_offset
	s_wait_xcnt 0x1
	v_add_nc_u32_e32 v54, s5, v52
	s_wait_loadcnt_dscnt 0x0
	scratch_store_b64 off, v[56:57], off offset:200
	flat_load_b64 v[58:59], v54, s[2:3] scale_offset
	s_wait_xcnt 0x1
	v_add_nc_u32_e32 v56, s5, v54
	s_wait_loadcnt_dscnt 0x0
	scratch_store_b64 off, v[58:59], off offset:208
	flat_load_b64 v[60:61], v56, s[2:3] scale_offset
	s_wait_xcnt 0x1
	v_add_nc_u32_e32 v58, s5, v56
	s_wait_loadcnt_dscnt 0x0
	scratch_store_b64 off, v[60:61], off offset:216
	flat_load_b64 v[62:63], v58, s[2:3] scale_offset
	s_wait_xcnt 0x1
	v_add_nc_u32_e32 v60, s5, v58
	s_wait_loadcnt_dscnt 0x0
	scratch_store_b64 off, v[62:63], off offset:224
	flat_load_b64 v[64:65], v60, s[2:3] scale_offset
	s_wait_xcnt 0x1
	v_add_nc_u32_e32 v62, s5, v60
	s_wait_loadcnt_dscnt 0x0
	scratch_store_b64 off, v[64:65], off offset:232
	flat_load_b64 v[66:67], v62, s[2:3] scale_offset
	s_wait_xcnt 0x1
	v_add_nc_u32_e32 v64, s5, v62
	s_wait_loadcnt_dscnt 0x0
	scratch_store_b64 off, v[66:67], off offset:240
	flat_load_b64 v[68:69], v64, s[2:3] scale_offset
	s_wait_xcnt 0x1
	v_add_nc_u32_e32 v66, s5, v64
	s_wait_loadcnt_dscnt 0x0
	scratch_store_b64 off, v[68:69], off offset:248
	flat_load_b64 v[70:71], v66, s[2:3] scale_offset
	s_wait_xcnt 0x1
	v_add_nc_u32_e32 v68, s5, v66
	s_wait_loadcnt_dscnt 0x0
	scratch_store_b64 off, v[70:71], off offset:256
	flat_load_b64 v[72:73], v68, s[2:3] scale_offset
	s_wait_xcnt 0x1
	v_add_nc_u32_e32 v70, s5, v68
	s_wait_loadcnt_dscnt 0x0
	scratch_store_b64 off, v[72:73], off offset:264
	flat_load_b64 v[74:75], v70, s[2:3] scale_offset
	s_wait_xcnt 0x1
	v_add_nc_u32_e32 v72, s5, v70
	s_wait_loadcnt_dscnt 0x0
	scratch_store_b64 off, v[74:75], off offset:272
	flat_load_b64 v[76:77], v72, s[2:3] scale_offset
	s_wait_xcnt 0x1
	v_add_nc_u32_e32 v74, s5, v72
	s_wait_loadcnt_dscnt 0x0
	scratch_store_b64 off, v[76:77], off offset:280
	flat_load_b64 v[78:79], v74, s[2:3] scale_offset
	s_wait_xcnt 0x1
	v_add_nc_u32_e32 v76, s5, v74
	s_wait_loadcnt_dscnt 0x0
	scratch_store_b64 off, v[78:79], off offset:288
	flat_load_b64 v[80:81], v76, s[2:3] scale_offset
	s_wait_xcnt 0x1
	v_add_nc_u32_e32 v78, s5, v76
	s_wait_loadcnt_dscnt 0x0
	scratch_store_b64 off, v[80:81], off offset:296
	flat_load_b64 v[82:83], v78, s[2:3] scale_offset
	s_wait_xcnt 0x1
	v_add_nc_u32_e32 v80, s5, v78
	s_wait_loadcnt_dscnt 0x0
	scratch_store_b64 off, v[82:83], off offset:304
	flat_load_b64 v[86:87], v80, s[2:3] scale_offset
	s_wait_xcnt 0x1
	v_add_nc_u32_e32 v82, s5, v80
	s_wait_loadcnt_dscnt 0x0
	scratch_store_b64 off, v[86:87], off offset:312
	flat_load_b64 v[86:87], v82, s[2:3] scale_offset
	s_wait_loadcnt_dscnt 0x0
	scratch_store_b64 off, v[86:87], off offset:320
	s_cbranch_scc1 .LBB104_176
; %bb.4:
	v_cmp_eq_u32_e64 s0, 0, v0
	s_wait_xcnt 0x0
	s_and_saveexec_b32 s1, s0
; %bb.5:
	v_mov_b32_e32 v1, 0
	ds_store_b32 v1, v1 offset:328
; %bb.6:
	s_or_b32 exec_lo, exec_lo, s1
	s_wait_storecnt_dscnt 0x0
	s_barrier_signal -1
	s_barrier_wait -1
	scratch_load_b64 v[86:87], v0, off scale_offset
	s_wait_loadcnt 0x0
	v_cmp_eq_f32_e32 vcc_lo, 0, v86
	v_cmp_eq_f32_e64 s1, 0, v87
	s_and_b32 s1, vcc_lo, s1
	s_delay_alu instid0(SALU_CYCLE_1)
	s_and_saveexec_b32 s4, s1
	s_cbranch_execz .LBB104_10
; %bb.7:
	v_mov_b32_e32 v1, 0
	s_mov_b32 s5, 0
	ds_load_b32 v7, v1 offset:328
	s_wait_dscnt 0x0
	v_readfirstlane_b32 s1, v7
	v_add_nc_u32_e32 v7, 1, v0
	s_cmp_eq_u32 s1, 0
	s_delay_alu instid0(VALU_DEP_1) | instskip(SKIP_1) | instid1(SALU_CYCLE_1)
	v_cmp_gt_i32_e32 vcc_lo, s1, v7
	s_cselect_b32 s13, -1, 0
	s_or_b32 s13, s13, vcc_lo
	s_delay_alu instid0(SALU_CYCLE_1)
	s_and_b32 exec_lo, exec_lo, s13
	s_cbranch_execz .LBB104_10
; %bb.8:
	v_mov_b32_e32 v9, s1
.LBB104_9:                              ; =>This Inner Loop Header: Depth=1
	ds_cmpstore_rtn_b32 v9, v1, v7, v9 offset:328
	s_wait_dscnt 0x0
	v_cmp_ne_u32_e32 vcc_lo, 0, v9
	v_cmp_le_i32_e64 s1, v9, v7
	s_and_b32 s1, vcc_lo, s1
	s_delay_alu instid0(SALU_CYCLE_1) | instskip(NEXT) | instid1(SALU_CYCLE_1)
	s_and_b32 s1, exec_lo, s1
	s_or_b32 s5, s1, s5
	s_delay_alu instid0(SALU_CYCLE_1)
	s_and_not1_b32 exec_lo, exec_lo, s5
	s_cbranch_execnz .LBB104_9
.LBB104_10:
	s_or_b32 exec_lo, exec_lo, s4
	v_mov_b32_e32 v1, 0
	s_barrier_signal -1
	s_barrier_wait -1
	ds_load_b32 v7, v1 offset:328
	s_and_saveexec_b32 s1, s0
	s_cbranch_execz .LBB104_12
; %bb.11:
	s_lshl_b64 s[4:5], s[10:11], 2
	s_delay_alu instid0(SALU_CYCLE_1)
	s_add_nc_u64 s[4:5], s[6:7], s[4:5]
	s_wait_dscnt 0x0
	global_store_b32 v1, v7, s[4:5]
.LBB104_12:
	s_wait_xcnt 0x0
	s_or_b32 exec_lo, exec_lo, s1
	s_wait_dscnt 0x0
	v_cmp_ne_u32_e32 vcc_lo, 0, v7
	s_mov_b32 s1, 0
	s_cbranch_vccnz .LBB104_176
; %bb.13:
	v_lshl_add_u32 v7, v0, 3, 0
                                        ; implicit-def: $vgpr89
                                        ; implicit-def: $vgpr90
	scratch_load_b64 v[86:87], v7, off
	s_wait_loadcnt 0x0
	v_cmp_ngt_f32_e64 s1, |v86|, |v87|
	s_wait_xcnt 0x0
	s_and_saveexec_b32 s4, s1
	s_delay_alu instid0(SALU_CYCLE_1)
	s_xor_b32 s1, exec_lo, s4
	s_cbranch_execz .LBB104_15
; %bb.14:
	v_div_scale_f32 v1, null, v87, v87, v86
	v_div_scale_f32 v13, vcc_lo, v86, v87, v86
	s_delay_alu instid0(VALU_DEP_2) | instskip(SKIP_1) | instid1(TRANS32_DEP_1)
	v_rcp_f32_e32 v9, v1
	v_nop
	v_fma_f32 v11, -v1, v9, 1.0
	s_delay_alu instid0(VALU_DEP_1) | instskip(NEXT) | instid1(VALU_DEP_1)
	v_fmac_f32_e32 v9, v11, v9
	v_mul_f32_e32 v11, v13, v9
	s_delay_alu instid0(VALU_DEP_1) | instskip(NEXT) | instid1(VALU_DEP_1)
	v_fma_f32 v15, -v1, v11, v13
	v_fmac_f32_e32 v11, v15, v9
	s_delay_alu instid0(VALU_DEP_1) | instskip(NEXT) | instid1(VALU_DEP_1)
	v_fma_f32 v1, -v1, v11, v13
	v_div_fmas_f32 v1, v1, v9, v11
	s_delay_alu instid0(VALU_DEP_1) | instskip(NEXT) | instid1(VALU_DEP_1)
	v_div_fixup_f32 v1, v1, v87, v86
	v_fmac_f32_e32 v87, v86, v1
	s_delay_alu instid0(VALU_DEP_1) | instskip(NEXT) | instid1(VALU_DEP_1)
	v_div_scale_f32 v9, null, v87, v87, -1.0
	v_rcp_f32_e32 v11, v9
	v_nop
	s_delay_alu instid0(TRANS32_DEP_1) | instskip(NEXT) | instid1(VALU_DEP_1)
	v_fma_f32 v13, -v9, v11, 1.0
	v_fmac_f32_e32 v11, v13, v11
	v_div_scale_f32 v13, vcc_lo, -1.0, v87, -1.0
	s_delay_alu instid0(VALU_DEP_1) | instskip(NEXT) | instid1(VALU_DEP_1)
	v_mul_f32_e32 v15, v13, v11
	v_fma_f32 v17, -v9, v15, v13
	s_delay_alu instid0(VALU_DEP_1) | instskip(NEXT) | instid1(VALU_DEP_1)
	v_fmac_f32_e32 v15, v17, v11
	v_fma_f32 v9, -v9, v15, v13
	s_delay_alu instid0(VALU_DEP_1) | instskip(NEXT) | instid1(VALU_DEP_1)
	v_div_fmas_f32 v9, v9, v11, v15
	v_div_fixup_f32 v89, v9, v87, -1.0
                                        ; implicit-def: $vgpr86_vgpr87
	s_delay_alu instid0(VALU_DEP_1) | instskip(NEXT) | instid1(VALU_DEP_1)
	v_mul_f32_e32 v90, v1, v89
	v_xor_b32_e32 v88, 0x80000000, v90
.LBB104_15:
	s_and_not1_saveexec_b32 s1, s1
	s_cbranch_execz .LBB104_17
; %bb.16:
	v_div_scale_f32 v1, null, v86, v86, v87
	v_div_scale_f32 v13, vcc_lo, v87, v86, v87
	s_delay_alu instid0(VALU_DEP_2) | instskip(SKIP_1) | instid1(TRANS32_DEP_1)
	v_rcp_f32_e32 v9, v1
	v_nop
	v_fma_f32 v11, -v1, v9, 1.0
	s_delay_alu instid0(VALU_DEP_1) | instskip(NEXT) | instid1(VALU_DEP_1)
	v_fmac_f32_e32 v9, v11, v9
	v_mul_f32_e32 v11, v13, v9
	s_delay_alu instid0(VALU_DEP_1) | instskip(NEXT) | instid1(VALU_DEP_1)
	v_fma_f32 v15, -v1, v11, v13
	v_fmac_f32_e32 v11, v15, v9
	s_delay_alu instid0(VALU_DEP_1) | instskip(NEXT) | instid1(VALU_DEP_1)
	v_fma_f32 v1, -v1, v11, v13
	v_div_fmas_f32 v1, v1, v9, v11
	s_delay_alu instid0(VALU_DEP_1) | instskip(NEXT) | instid1(VALU_DEP_1)
	v_div_fixup_f32 v1, v1, v86, v87
	v_fmac_f32_e32 v86, v87, v1
	s_delay_alu instid0(VALU_DEP_1) | instskip(SKIP_1) | instid1(VALU_DEP_2)
	v_div_scale_f32 v9, null, v86, v86, 1.0
	v_div_scale_f32 v15, vcc_lo, 1.0, v86, 1.0
	v_rcp_f32_e32 v11, v9
	v_nop
	s_delay_alu instid0(TRANS32_DEP_1) | instskip(NEXT) | instid1(VALU_DEP_1)
	v_fma_f32 v13, -v9, v11, 1.0
	v_fmac_f32_e32 v11, v13, v11
	s_delay_alu instid0(VALU_DEP_1) | instskip(NEXT) | instid1(VALU_DEP_1)
	v_mul_f32_e32 v13, v15, v11
	v_fma_f32 v17, -v9, v13, v15
	s_delay_alu instid0(VALU_DEP_1) | instskip(NEXT) | instid1(VALU_DEP_1)
	v_fmac_f32_e32 v13, v17, v11
	v_fma_f32 v9, -v9, v13, v15
	s_delay_alu instid0(VALU_DEP_1) | instskip(NEXT) | instid1(VALU_DEP_1)
	v_div_fmas_f32 v9, v9, v11, v13
	v_div_fixup_f32 v88, v9, v86, 1.0
	s_delay_alu instid0(VALU_DEP_1)
	v_xor_b32_e32 v90, 0x80000000, v88
	v_mul_f32_e64 v89, v1, -v88
.LBB104_17:
	s_or_b32 exec_lo, exec_lo, s1
	scratch_store_b64 v7, v[88:89], off
	scratch_load_b64 v[86:87], off, off offset:8
	v_xor_b32_e32 v91, 0x80000000, v89
	v_add_nc_u32_e32 v1, 0x150, v84
	s_wait_loadcnt 0x0
	ds_store_2addr_b64 v84, v[90:91], v[86:87] offset1:42
	s_wait_storecnt_dscnt 0x0
	s_barrier_signal -1
	s_barrier_wait -1
	s_wait_xcnt 0x0
	s_and_saveexec_b32 s1, s0
	s_cbranch_execz .LBB104_19
; %bb.18:
	scratch_load_b64 v[86:87], v7, off
	ds_load_b64 v[88:89], v1
	s_wait_loadcnt_dscnt 0x0
	v_pk_mul_f32 v[92:93], v[88:89], v[86:87] op_sel:[1,1] op_sel_hi:[0,1]
	s_delay_alu instid0(VALU_DEP_1) | instskip(SKIP_2) | instid1(VALU_DEP_3)
	v_pk_fma_f32 v[94:95], v[88:89], v[86:87], v[92:93] op_sel_hi:[1,0,1]
	v_mov_b32_e32 v9, 0
	v_pk_fma_f32 v[86:87], v[88:89], v[86:87], v[92:93] neg_lo:[0,0,1] neg_hi:[0,0,1]
	v_mov_b32_e32 v87, v95
	ds_load_b64 v[90:91], v9 offset:8
	v_pk_add_f32 v[86:87], v[86:87], 0 op_sel_hi:[1,0]
	s_wait_dscnt 0x0
	s_delay_alu instid0(VALU_DEP_1) | instskip(NEXT) | instid1(VALU_DEP_1)
	v_pk_mul_f32 v[88:89], v[86:87], v[90:91] op_sel:[1,1] op_sel_hi:[0,1]
	v_pk_fma_f32 v[92:93], v[86:87], v[90:91], v[88:89] op_sel_hi:[1,0,1]
	v_pk_fma_f32 v[86:87], v[86:87], v[90:91], v[88:89] neg_lo:[0,0,1] neg_hi:[0,0,1]
	s_delay_alu instid0(VALU_DEP_2)
	v_mov_b32_e32 v87, v93
	scratch_store_b64 off, v[86:87], off offset:8
.LBB104_19:
	s_wait_xcnt 0x0
	s_or_b32 exec_lo, exec_lo, s1
	s_wait_storecnt 0x0
	s_barrier_signal -1
	s_barrier_wait -1
	scratch_load_b64 v[86:87], off, off offset:16
	s_mov_b32 s1, exec_lo
	s_wait_loadcnt 0x0
	ds_store_b64 v1, v[86:87]
	s_wait_dscnt 0x0
	s_barrier_signal -1
	s_barrier_wait -1
	v_cmpx_gt_u32_e32 2, v0
	s_cbranch_execz .LBB104_23
; %bb.20:
	scratch_load_b64 v[86:87], v7, off
	ds_load_b64 v[88:89], v1
	s_wait_loadcnt_dscnt 0x0
	v_pk_mul_f32 v[90:91], v[88:89], v[86:87] op_sel:[1,1] op_sel_hi:[0,1]
	s_delay_alu instid0(VALU_DEP_1) | instskip(SKIP_1) | instid1(VALU_DEP_2)
	v_pk_fma_f32 v[92:93], v[88:89], v[86:87], v[90:91] op_sel_hi:[1,0,1]
	v_pk_fma_f32 v[86:87], v[88:89], v[86:87], v[90:91] neg_lo:[0,0,1] neg_hi:[0,0,1]
	v_mov_b32_e32 v87, v93
	s_delay_alu instid0(VALU_DEP_1)
	v_pk_add_f32 v[86:87], v[86:87], 0 op_sel_hi:[1,0]
	s_and_saveexec_b32 s4, s0
	s_cbranch_execz .LBB104_22
; %bb.21:
	scratch_load_b64 v[88:89], off, off offset:8
	v_mov_b32_e32 v7, 0
	ds_load_b64 v[90:91], v7 offset:344
	s_wait_loadcnt_dscnt 0x0
	v_pk_mul_f32 v[92:93], v[90:91], v[88:89] op_sel:[1,1] op_sel_hi:[0,1]
	s_delay_alu instid0(VALU_DEP_1) | instskip(SKIP_1) | instid1(VALU_DEP_2)
	v_pk_fma_f32 v[94:95], v[90:91], v[88:89], v[92:93] op_sel_hi:[1,0,1]
	v_pk_fma_f32 v[88:89], v[90:91], v[88:89], v[92:93] neg_lo:[0,0,1] neg_hi:[0,0,1]
	v_mov_b32_e32 v89, v95
	s_delay_alu instid0(VALU_DEP_1)
	v_pk_add_f32 v[86:87], v[86:87], v[88:89]
.LBB104_22:
	s_or_b32 exec_lo, exec_lo, s4
	v_mov_b32_e32 v7, 0
	ds_load_b64 v[88:89], v7 offset:16
	s_wait_dscnt 0x0
	v_pk_mul_f32 v[90:91], v[86:87], v[88:89] op_sel:[1,1] op_sel_hi:[0,1]
	s_delay_alu instid0(VALU_DEP_1) | instskip(SKIP_1) | instid1(VALU_DEP_2)
	v_pk_fma_f32 v[92:93], v[86:87], v[88:89], v[90:91] op_sel_hi:[1,0,1]
	v_pk_fma_f32 v[86:87], v[86:87], v[88:89], v[90:91] neg_lo:[0,0,1] neg_hi:[0,0,1]
	v_mov_b32_e32 v87, v93
	scratch_store_b64 off, v[86:87], off offset:16
.LBB104_23:
	s_wait_xcnt 0x0
	s_or_b32 exec_lo, exec_lo, s1
	s_wait_storecnt 0x0
	s_barrier_signal -1
	s_barrier_wait -1
	scratch_load_b64 v[86:87], off, off offset:24
	v_add_nc_u32_e32 v7, -1, v0
	s_mov_b32 s0, exec_lo
	s_wait_loadcnt 0x0
	ds_store_b64 v1, v[86:87]
	s_wait_dscnt 0x0
	s_barrier_signal -1
	s_barrier_wait -1
	v_cmpx_gt_u32_e32 3, v0
	s_cbranch_execz .LBB104_27
; %bb.24:
	v_dual_mov_b32 v86, 0 :: v_dual_add_nc_u32 v9, -1, v0
	v_add_nc_u32_e32 v11, 0x150, v84
	v_mov_b32_e32 v13, v84
	s_mov_b32 s1, 0
	s_delay_alu instid0(VALU_DEP_3)
	v_mov_b32_e32 v87, v86
.LBB104_25:                             ; =>This Inner Loop Header: Depth=1
	scratch_load_b64 v[88:89], v13, off
	ds_load_b64 v[90:91], v11
	s_wait_xcnt 0x0
	v_dual_add_nc_u32 v11, 8, v11 :: v_dual_add_nc_u32 v13, 8, v13
	s_wait_loadcnt_dscnt 0x0
	v_pk_mul_f32 v[92:93], v[90:91], v[88:89] op_sel:[1,1] op_sel_hi:[0,1]
	s_delay_alu instid0(VALU_DEP_1) | instskip(SKIP_2) | instid1(VALU_DEP_3)
	v_pk_fma_f32 v[94:95], v[90:91], v[88:89], v[92:93] op_sel_hi:[1,0,1]
	v_add_nc_u32_e32 v9, 1, v9
	v_pk_fma_f32 v[88:89], v[90:91], v[88:89], v[92:93] neg_lo:[0,0,1] neg_hi:[0,0,1]
	v_mov_b32_e32 v89, v95
	s_delay_alu instid0(VALU_DEP_3) | instskip(NEXT) | instid1(VALU_DEP_2)
	v_cmp_lt_u32_e32 vcc_lo, 1, v9
	v_pk_add_f32 v[86:87], v[86:87], v[88:89]
	s_or_b32 s1, vcc_lo, s1
	s_delay_alu instid0(SALU_CYCLE_1)
	s_and_not1_b32 exec_lo, exec_lo, s1
	s_cbranch_execnz .LBB104_25
; %bb.26:
	s_or_b32 exec_lo, exec_lo, s1
	v_mov_b32_e32 v9, 0
	ds_load_b64 v[88:89], v9 offset:24
	s_wait_dscnt 0x0
	v_pk_mul_f32 v[90:91], v[86:87], v[88:89] op_sel:[1,1] op_sel_hi:[0,1]
	s_delay_alu instid0(VALU_DEP_1) | instskip(SKIP_1) | instid1(VALU_DEP_2)
	v_pk_fma_f32 v[92:93], v[86:87], v[88:89], v[90:91] op_sel_hi:[1,0,1]
	v_pk_fma_f32 v[86:87], v[86:87], v[88:89], v[90:91] neg_lo:[0,0,1] neg_hi:[0,0,1]
	v_mov_b32_e32 v87, v93
	scratch_store_b64 off, v[86:87], off offset:24
.LBB104_27:
	s_wait_xcnt 0x0
	s_or_b32 exec_lo, exec_lo, s0
	s_wait_storecnt 0x0
	s_barrier_signal -1
	s_barrier_wait -1
	scratch_load_b64 v[86:87], off, off offset:32
	s_mov_b32 s0, exec_lo
	s_wait_loadcnt 0x0
	ds_store_b64 v1, v[86:87]
	s_wait_dscnt 0x0
	s_barrier_signal -1
	s_barrier_wait -1
	v_cmpx_gt_u32_e32 4, v0
	s_cbranch_execz .LBB104_31
; %bb.28:
	v_dual_mov_b32 v86, 0 :: v_dual_add_nc_u32 v9, -1, v0
	v_add_nc_u32_e32 v11, 0x150, v84
	v_mov_b32_e32 v13, v84
	s_mov_b32 s1, 0
	s_delay_alu instid0(VALU_DEP_3)
	v_mov_b32_e32 v87, v86
.LBB104_29:                             ; =>This Inner Loop Header: Depth=1
	scratch_load_b64 v[88:89], v13, off
	ds_load_b64 v[90:91], v11
	s_wait_xcnt 0x0
	v_dual_add_nc_u32 v11, 8, v11 :: v_dual_add_nc_u32 v13, 8, v13
	s_wait_loadcnt_dscnt 0x0
	v_pk_mul_f32 v[92:93], v[90:91], v[88:89] op_sel:[1,1] op_sel_hi:[0,1]
	s_delay_alu instid0(VALU_DEP_1) | instskip(SKIP_2) | instid1(VALU_DEP_3)
	v_pk_fma_f32 v[94:95], v[90:91], v[88:89], v[92:93] op_sel_hi:[1,0,1]
	v_add_nc_u32_e32 v9, 1, v9
	v_pk_fma_f32 v[88:89], v[90:91], v[88:89], v[92:93] neg_lo:[0,0,1] neg_hi:[0,0,1]
	v_mov_b32_e32 v89, v95
	s_delay_alu instid0(VALU_DEP_3) | instskip(NEXT) | instid1(VALU_DEP_2)
	v_cmp_lt_u32_e32 vcc_lo, 2, v9
	v_pk_add_f32 v[86:87], v[86:87], v[88:89]
	s_or_b32 s1, vcc_lo, s1
	s_delay_alu instid0(SALU_CYCLE_1)
	s_and_not1_b32 exec_lo, exec_lo, s1
	s_cbranch_execnz .LBB104_29
; %bb.30:
	s_or_b32 exec_lo, exec_lo, s1
	v_mov_b32_e32 v9, 0
	ds_load_b64 v[88:89], v9 offset:32
	s_wait_dscnt 0x0
	v_pk_mul_f32 v[90:91], v[86:87], v[88:89] op_sel:[1,1] op_sel_hi:[0,1]
	s_delay_alu instid0(VALU_DEP_1) | instskip(SKIP_1) | instid1(VALU_DEP_2)
	v_pk_fma_f32 v[92:93], v[86:87], v[88:89], v[90:91] op_sel_hi:[1,0,1]
	v_pk_fma_f32 v[86:87], v[86:87], v[88:89], v[90:91] neg_lo:[0,0,1] neg_hi:[0,0,1]
	v_mov_b32_e32 v87, v93
	scratch_store_b64 off, v[86:87], off offset:32
.LBB104_31:
	s_wait_xcnt 0x0
	s_or_b32 exec_lo, exec_lo, s0
	s_wait_storecnt 0x0
	s_barrier_signal -1
	s_barrier_wait -1
	scratch_load_b64 v[86:87], off, off offset:40
	;; [unrolled: 52-line block ×19, first 2 shown]
	s_mov_b32 s0, exec_lo
	s_wait_loadcnt 0x0
	ds_store_b64 v1, v[86:87]
	s_wait_dscnt 0x0
	s_barrier_signal -1
	s_barrier_wait -1
	v_cmpx_gt_u32_e32 22, v0
	s_cbranch_execz .LBB104_103
; %bb.100:
	v_dual_mov_b32 v86, 0 :: v_dual_add_nc_u32 v9, -1, v0
	v_add_nc_u32_e32 v11, 0x150, v84
	v_mov_b32_e32 v13, v84
	s_mov_b32 s1, 0
	s_delay_alu instid0(VALU_DEP_3)
	v_mov_b32_e32 v87, v86
.LBB104_101:                            ; =>This Inner Loop Header: Depth=1
	scratch_load_b64 v[88:89], v13, off
	ds_load_b64 v[90:91], v11
	s_wait_xcnt 0x0
	v_dual_add_nc_u32 v11, 8, v11 :: v_dual_add_nc_u32 v13, 8, v13
	s_wait_loadcnt_dscnt 0x0
	v_pk_mul_f32 v[92:93], v[90:91], v[88:89] op_sel:[1,1] op_sel_hi:[0,1]
	s_delay_alu instid0(VALU_DEP_1) | instskip(SKIP_2) | instid1(VALU_DEP_3)
	v_pk_fma_f32 v[94:95], v[90:91], v[88:89], v[92:93] op_sel_hi:[1,0,1]
	v_add_nc_u32_e32 v9, 1, v9
	v_pk_fma_f32 v[88:89], v[90:91], v[88:89], v[92:93] neg_lo:[0,0,1] neg_hi:[0,0,1]
	v_mov_b32_e32 v89, v95
	s_delay_alu instid0(VALU_DEP_3) | instskip(NEXT) | instid1(VALU_DEP_2)
	v_cmp_lt_u32_e32 vcc_lo, 20, v9
	v_pk_add_f32 v[86:87], v[86:87], v[88:89]
	s_or_b32 s1, vcc_lo, s1
	s_delay_alu instid0(SALU_CYCLE_1)
	s_and_not1_b32 exec_lo, exec_lo, s1
	s_cbranch_execnz .LBB104_101
; %bb.102:
	s_or_b32 exec_lo, exec_lo, s1
	v_mov_b32_e32 v9, 0
	ds_load_b64 v[88:89], v9 offset:176
	s_wait_dscnt 0x0
	v_pk_mul_f32 v[90:91], v[86:87], v[88:89] op_sel:[1,1] op_sel_hi:[0,1]
	s_delay_alu instid0(VALU_DEP_1) | instskip(SKIP_1) | instid1(VALU_DEP_2)
	v_pk_fma_f32 v[92:93], v[86:87], v[88:89], v[90:91] op_sel_hi:[1,0,1]
	v_pk_fma_f32 v[86:87], v[86:87], v[88:89], v[90:91] neg_lo:[0,0,1] neg_hi:[0,0,1]
	v_mov_b32_e32 v87, v93
	scratch_store_b64 off, v[86:87], off offset:176
.LBB104_103:
	s_wait_xcnt 0x0
	s_or_b32 exec_lo, exec_lo, s0
	s_wait_storecnt 0x0
	s_barrier_signal -1
	s_barrier_wait -1
	scratch_load_b64 v[86:87], off, off offset:184
	s_mov_b32 s0, exec_lo
	s_wait_loadcnt 0x0
	ds_store_b64 v1, v[86:87]
	s_wait_dscnt 0x0
	s_barrier_signal -1
	s_barrier_wait -1
	v_cmpx_gt_u32_e32 23, v0
	s_cbranch_execz .LBB104_107
; %bb.104:
	v_dual_mov_b32 v86, 0 :: v_dual_add_nc_u32 v9, -1, v0
	v_add_nc_u32_e32 v11, 0x150, v84
	v_mov_b32_e32 v13, v84
	s_mov_b32 s1, 0
	s_delay_alu instid0(VALU_DEP_3)
	v_mov_b32_e32 v87, v86
.LBB104_105:                            ; =>This Inner Loop Header: Depth=1
	scratch_load_b64 v[88:89], v13, off
	ds_load_b64 v[90:91], v11
	s_wait_xcnt 0x0
	v_dual_add_nc_u32 v11, 8, v11 :: v_dual_add_nc_u32 v13, 8, v13
	s_wait_loadcnt_dscnt 0x0
	v_pk_mul_f32 v[92:93], v[90:91], v[88:89] op_sel:[1,1] op_sel_hi:[0,1]
	s_delay_alu instid0(VALU_DEP_1) | instskip(SKIP_2) | instid1(VALU_DEP_3)
	v_pk_fma_f32 v[94:95], v[90:91], v[88:89], v[92:93] op_sel_hi:[1,0,1]
	v_add_nc_u32_e32 v9, 1, v9
	v_pk_fma_f32 v[88:89], v[90:91], v[88:89], v[92:93] neg_lo:[0,0,1] neg_hi:[0,0,1]
	v_mov_b32_e32 v89, v95
	s_delay_alu instid0(VALU_DEP_3) | instskip(NEXT) | instid1(VALU_DEP_2)
	v_cmp_lt_u32_e32 vcc_lo, 21, v9
	v_pk_add_f32 v[86:87], v[86:87], v[88:89]
	s_or_b32 s1, vcc_lo, s1
	s_delay_alu instid0(SALU_CYCLE_1)
	s_and_not1_b32 exec_lo, exec_lo, s1
	s_cbranch_execnz .LBB104_105
; %bb.106:
	s_or_b32 exec_lo, exec_lo, s1
	v_mov_b32_e32 v9, 0
	ds_load_b64 v[88:89], v9 offset:184
	s_wait_dscnt 0x0
	v_pk_mul_f32 v[90:91], v[86:87], v[88:89] op_sel:[1,1] op_sel_hi:[0,1]
	s_delay_alu instid0(VALU_DEP_1) | instskip(SKIP_1) | instid1(VALU_DEP_2)
	v_pk_fma_f32 v[92:93], v[86:87], v[88:89], v[90:91] op_sel_hi:[1,0,1]
	v_pk_fma_f32 v[86:87], v[86:87], v[88:89], v[90:91] neg_lo:[0,0,1] neg_hi:[0,0,1]
	v_mov_b32_e32 v87, v93
	scratch_store_b64 off, v[86:87], off offset:184
.LBB104_107:
	s_wait_xcnt 0x0
	s_or_b32 exec_lo, exec_lo, s0
	s_wait_storecnt 0x0
	s_barrier_signal -1
	s_barrier_wait -1
	scratch_load_b64 v[86:87], off, off offset:192
	;; [unrolled: 52-line block ×18, first 2 shown]
	s_mov_b32 s0, exec_lo
	s_wait_loadcnt 0x0
	ds_store_b64 v1, v[86:87]
	s_wait_dscnt 0x0
	s_barrier_signal -1
	s_barrier_wait -1
	v_cmpx_ne_u32_e32 40, v0
	s_cbranch_execz .LBB104_175
; %bb.172:
	v_dual_mov_b32 v86, 0 :: v_dual_mov_b32 v9, v84
	s_mov_b32 s1, 0
	s_delay_alu instid0(VALU_DEP_1)
	v_mov_b32_e32 v87, v86
.LBB104_173:                            ; =>This Inner Loop Header: Depth=1
	scratch_load_b64 v[84:85], v9, off
	ds_load_b64 v[88:89], v1
	v_add_nc_u32_e32 v1, 8, v1
	s_wait_xcnt 0x0
	v_add_nc_u32_e32 v9, 8, v9
	s_wait_loadcnt_dscnt 0x0
	v_pk_mul_f32 v[90:91], v[88:89], v[84:85] op_sel:[1,1] op_sel_hi:[0,1]
	s_delay_alu instid0(VALU_DEP_1) | instskip(SKIP_2) | instid1(VALU_DEP_3)
	v_pk_fma_f32 v[92:93], v[88:89], v[84:85], v[90:91] op_sel_hi:[1,0,1]
	v_add_nc_u32_e32 v7, 1, v7
	v_pk_fma_f32 v[84:85], v[88:89], v[84:85], v[90:91] neg_lo:[0,0,1] neg_hi:[0,0,1]
	v_mov_b32_e32 v85, v93
	s_delay_alu instid0(VALU_DEP_3) | instskip(NEXT) | instid1(VALU_DEP_2)
	v_cmp_lt_u32_e32 vcc_lo, 38, v7
	v_pk_add_f32 v[86:87], v[86:87], v[84:85]
	s_or_b32 s1, vcc_lo, s1
	s_delay_alu instid0(SALU_CYCLE_1)
	s_and_not1_b32 exec_lo, exec_lo, s1
	s_cbranch_execnz .LBB104_173
; %bb.174:
	s_or_b32 exec_lo, exec_lo, s1
	v_mov_b32_e32 v1, 0
	ds_load_b64 v[84:85], v1 offset:320
	s_wait_dscnt 0x0
	v_pk_mul_f32 v[88:89], v[86:87], v[84:85] op_sel:[1,1] op_sel_hi:[0,1]
	s_delay_alu instid0(VALU_DEP_1) | instskip(SKIP_1) | instid1(VALU_DEP_2)
	v_pk_fma_f32 v[90:91], v[86:87], v[84:85], v[88:89] op_sel_hi:[1,0,1]
	v_pk_fma_f32 v[84:85], v[86:87], v[84:85], v[88:89] neg_lo:[0,0,1] neg_hi:[0,0,1]
	v_mov_b32_e32 v85, v91
	scratch_store_b64 off, v[84:85], off offset:320
.LBB104_175:
	s_wait_xcnt 0x0
	s_or_b32 exec_lo, exec_lo, s0
	s_mov_b32 s1, -1
	s_wait_storecnt 0x0
	s_barrier_signal -1
	s_barrier_wait -1
.LBB104_176:
	s_and_b32 vcc_lo, exec_lo, s1
	s_cbranch_vccz .LBB104_178
; %bb.177:
	v_mov_b32_e32 v1, 0
	s_lshl_b64 s[0:1], s[10:11], 2
	s_delay_alu instid0(SALU_CYCLE_1)
	s_add_nc_u64 s[0:1], s[6:7], s[0:1]
	global_load_b32 v1, v1, s[0:1]
	s_wait_loadcnt 0x0
	v_cmp_ne_u32_e32 vcc_lo, 0, v1
	s_cbranch_vccz .LBB104_179
.LBB104_178:
	s_sendmsg sendmsg(MSG_DEALLOC_VGPRS)
	s_endpgm
.LBB104_179:
	s_wait_xcnt 0x0
	v_lshl_add_u32 v1, v0, 3, 0x150
	s_mov_b32 s0, exec_lo
	v_cmpx_eq_u32_e32 40, v0
	s_cbranch_execz .LBB104_181
; %bb.180:
	scratch_load_b64 v[84:85], off, off offset:312
	v_mov_b64_e32 v[86:87], 0
	scratch_store_b64 off, v[86:87], off offset:312
	s_wait_loadcnt 0x0
	ds_store_b64 v1, v[84:85]
.LBB104_181:
	s_wait_xcnt 0x0
	s_or_b32 exec_lo, exec_lo, s0
	s_wait_storecnt_dscnt 0x0
	s_barrier_signal -1
	s_barrier_wait -1
	s_clause 0x1
	scratch_load_b64 v[84:85], off, off offset:320
	scratch_load_b64 v[86:87], off, off offset:312
	v_mov_b32_e32 v7, 0
	s_mov_b32 s0, exec_lo
	ds_load_b64 v[88:89], v7 offset:656
	s_wait_loadcnt_dscnt 0x100
	v_pk_mul_f32 v[90:91], v[88:89], v[84:85] op_sel:[1,1] op_sel_hi:[0,1]
	s_delay_alu instid0(VALU_DEP_1) | instskip(SKIP_1) | instid1(VALU_DEP_2)
	v_pk_fma_f32 v[92:93], v[88:89], v[84:85], v[90:91] op_sel_hi:[1,0,1]
	v_pk_fma_f32 v[84:85], v[88:89], v[84:85], v[90:91] neg_lo:[0,0,1] neg_hi:[0,0,1]
	v_mov_b32_e32 v85, v93
	s_delay_alu instid0(VALU_DEP_1) | instskip(SKIP_1) | instid1(VALU_DEP_1)
	v_pk_add_f32 v[84:85], v[84:85], 0 op_sel_hi:[1,0]
	s_wait_loadcnt 0x0
	v_pk_add_f32 v[84:85], v[86:87], v[84:85] neg_lo:[0,1] neg_hi:[0,1]
	scratch_store_b64 off, v[84:85], off offset:312
	s_wait_xcnt 0x0
	v_cmpx_lt_u32_e32 38, v0
	s_cbranch_execz .LBB104_183
; %bb.182:
	scratch_load_b64 v[84:85], off, off offset:304
	v_mov_b64_e32 v[86:87], 0
	scratch_store_b64 off, v[86:87], off offset:304
	s_wait_loadcnt 0x0
	ds_store_b64 v1, v[84:85]
.LBB104_183:
	s_wait_xcnt 0x0
	s_or_b32 exec_lo, exec_lo, s0
	s_wait_storecnt_dscnt 0x0
	s_barrier_signal -1
	s_barrier_wait -1
	s_clause 0x1
	scratch_load_b128 v[84:87], off, off offset:312
	scratch_load_b64 v[92:93], off, off offset:304
	ds_load_2addr_b64 v[88:91], v7 offset0:81 offset1:82
	s_mov_b32 s0, exec_lo
	s_wait_dscnt 0x0
	v_dual_mov_b32 v94, v91 :: v_dual_mov_b32 v95, v90
	s_wait_loadcnt 0x1
	v_pk_mul_f32 v[96:97], v[88:89], v[84:85] op_sel:[1,1] op_sel_hi:[0,1]
	s_delay_alu instid0(VALU_DEP_1) | instskip(SKIP_2) | instid1(VALU_DEP_3)
	v_pk_fma_f32 v[100:101], v[88:89], v[84:85], v[96:97] op_sel_hi:[1,0,1]
	v_mov_b32_e32 v98, v87
	v_pk_fma_f32 v[84:85], v[88:89], v[84:85], v[96:97] neg_lo:[0,0,1] neg_hi:[0,0,1]
	v_mov_b32_e32 v85, v101
	s_delay_alu instid0(VALU_DEP_3) | instskip(NEXT) | instid1(VALU_DEP_2)
	v_pk_mul_f32 v[94:95], v[94:95], v[98:99] op_sel_hi:[1,0]
	v_pk_add_f32 v[84:85], v[84:85], 0 op_sel_hi:[1,0]
	s_delay_alu instid0(VALU_DEP_2) | instskip(SKIP_1) | instid1(VALU_DEP_2)
	v_pk_fma_f32 v[88:89], v[90:91], v[86:87], v[94:95] op_sel_hi:[1,0,1]
	v_pk_fma_f32 v[86:87], v[90:91], v[86:87], v[94:95] neg_lo:[0,0,1] neg_hi:[0,0,1]
	v_mov_b32_e32 v87, v89
	s_delay_alu instid0(VALU_DEP_1) | instskip(SKIP_1) | instid1(VALU_DEP_1)
	v_pk_add_f32 v[84:85], v[84:85], v[86:87]
	s_wait_loadcnt 0x0
	v_pk_add_f32 v[84:85], v[92:93], v[84:85] neg_lo:[0,1] neg_hi:[0,1]
	scratch_store_b64 off, v[84:85], off offset:304
	s_wait_xcnt 0x0
	v_cmpx_lt_u32_e32 37, v0
	s_cbranch_execz .LBB104_185
; %bb.184:
	scratch_load_b64 v[84:85], off, off offset:296
	v_mov_b64_e32 v[86:87], 0
	scratch_store_b64 off, v[86:87], off offset:296
	s_wait_loadcnt 0x0
	ds_store_b64 v1, v[84:85]
.LBB104_185:
	s_wait_xcnt 0x0
	s_or_b32 exec_lo, exec_lo, s0
	s_wait_storecnt_dscnt 0x0
	s_barrier_signal -1
	s_barrier_wait -1
	s_clause 0x2
	scratch_load_b128 v[84:87], off, off offset:304
	scratch_load_b64 v[92:93], off, off offset:320
	scratch_load_b64 v[94:95], off, off offset:296
	v_mov_b32_e32 v7, 0
	ds_load_b128 v[88:91], v7 offset:640
	ds_load_b64 v[96:97], v7 offset:656
	s_mov_b32 s0, exec_lo
	s_wait_dscnt 0x1
	v_dual_mov_b32 v98, v91 :: v_dual_mov_b32 v99, v90
	s_wait_loadcnt 0x2
	v_mov_b32_e32 v102, v87
	v_pk_mul_f32 v[100:101], v[88:89], v[84:85] op_sel:[1,1] op_sel_hi:[0,1]
	s_delay_alu instid0(VALU_DEP_2) | instskip(NEXT) | instid1(VALU_DEP_2)
	v_pk_mul_f32 v[98:99], v[98:99], v[102:103] op_sel_hi:[1,0]
	v_pk_fma_f32 v[104:105], v[88:89], v[84:85], v[100:101] op_sel_hi:[1,0,1]
	v_pk_fma_f32 v[84:85], v[88:89], v[84:85], v[100:101] neg_lo:[0,0,1] neg_hi:[0,0,1]
	s_wait_loadcnt_dscnt 0x100
	v_pk_mul_f32 v[100:101], v[96:97], v[92:93] op_sel:[1,1] op_sel_hi:[0,1]
	v_pk_fma_f32 v[88:89], v[90:91], v[86:87], v[98:99] op_sel_hi:[1,0,1]
	v_mov_b32_e32 v85, v105
	v_pk_fma_f32 v[86:87], v[90:91], v[86:87], v[98:99] neg_lo:[0,0,1] neg_hi:[0,0,1]
	s_delay_alu instid0(VALU_DEP_4) | instskip(NEXT) | instid1(VALU_DEP_4)
	v_pk_fma_f32 v[90:91], v[96:97], v[92:93], v[100:101] neg_lo:[0,0,1] neg_hi:[0,0,1]
	v_mov_b32_e32 v87, v89
	s_delay_alu instid0(VALU_DEP_4) | instskip(SKIP_1) | instid1(VALU_DEP_2)
	v_pk_add_f32 v[84:85], v[84:85], 0 op_sel_hi:[1,0]
	v_pk_fma_f32 v[88:89], v[96:97], v[92:93], v[100:101] op_sel_hi:[1,0,1]
	v_pk_add_f32 v[84:85], v[84:85], v[86:87]
	s_delay_alu instid0(VALU_DEP_2) | instskip(NEXT) | instid1(VALU_DEP_1)
	v_mov_b32_e32 v91, v89
	v_pk_add_f32 v[84:85], v[84:85], v[90:91]
	s_wait_loadcnt 0x0
	s_delay_alu instid0(VALU_DEP_1)
	v_pk_add_f32 v[84:85], v[94:95], v[84:85] neg_lo:[0,1] neg_hi:[0,1]
	scratch_store_b64 off, v[84:85], off offset:296
	s_wait_xcnt 0x0
	v_cmpx_lt_u32_e32 36, v0
	s_cbranch_execz .LBB104_187
; %bb.186:
	scratch_load_b64 v[84:85], off, off offset:288
	v_mov_b64_e32 v[86:87], 0
	scratch_store_b64 off, v[86:87], off offset:288
	s_wait_loadcnt 0x0
	ds_store_b64 v1, v[84:85]
.LBB104_187:
	s_wait_xcnt 0x0
	s_or_b32 exec_lo, exec_lo, s0
	s_wait_storecnt_dscnt 0x0
	s_barrier_signal -1
	s_barrier_wait -1
	s_clause 0x2
	scratch_load_b128 v[84:87], off, off offset:296
	scratch_load_b128 v[88:91], off, off offset:312
	scratch_load_b64 v[100:101], off, off offset:288
	ds_load_2addr_b64 v[92:95], v7 offset0:79 offset1:80
	ds_load_2addr_b64 v[96:99], v7 offset0:81 offset1:82
	s_mov_b32 s0, exec_lo
	s_wait_dscnt 0x1
	v_dual_mov_b32 v102, v95 :: v_dual_mov_b32 v103, v94
	s_wait_loadcnt_dscnt 0x200
	v_dual_mov_b32 v108, v99 :: v_dual_mov_b32 v106, v87
	v_pk_mul_f32 v[104:105], v[92:93], v[84:85] op_sel:[1,1] op_sel_hi:[0,1]
	s_delay_alu instid0(VALU_DEP_2) | instskip(NEXT) | instid1(VALU_DEP_2)
	v_pk_mul_f32 v[102:103], v[102:103], v[106:107] op_sel_hi:[1,0]
	v_pk_fma_f32 v[110:111], v[92:93], v[84:85], v[104:105] op_sel_hi:[1,0,1]
	v_pk_fma_f32 v[84:85], v[92:93], v[84:85], v[104:105] neg_lo:[0,0,1] neg_hi:[0,0,1]
	v_mov_b32_e32 v109, v98
	s_wait_loadcnt 0x1
	v_pk_mul_f32 v[106:107], v[96:97], v[88:89] op_sel:[1,1] op_sel_hi:[0,1]
	v_pk_fma_f32 v[92:93], v[94:95], v[86:87], v[102:103] op_sel_hi:[1,0,1]
	v_dual_mov_b32 v85, v111 :: v_dual_mov_b32 v92, v91
	v_pk_fma_f32 v[86:87], v[94:95], v[86:87], v[102:103] neg_lo:[0,0,1] neg_hi:[0,0,1]
	s_delay_alu instid0(VALU_DEP_4) | instskip(NEXT) | instid1(VALU_DEP_4)
	v_pk_fma_f32 v[104:105], v[96:97], v[88:89], v[106:107] op_sel_hi:[1,0,1]
	v_mov_b32_e32 v87, v93
	s_delay_alu instid0(VALU_DEP_4) | instskip(SKIP_2) | instid1(VALU_DEP_3)
	v_pk_add_f32 v[84:85], v[84:85], 0 op_sel_hi:[1,0]
	v_pk_mul_f32 v[92:93], v[108:109], v[92:93] op_sel_hi:[1,0]
	v_pk_fma_f32 v[88:89], v[96:97], v[88:89], v[106:107] neg_lo:[0,0,1] neg_hi:[0,0,1]
	v_pk_add_f32 v[84:85], v[84:85], v[86:87]
	s_delay_alu instid0(VALU_DEP_3) | instskip(SKIP_2) | instid1(VALU_DEP_3)
	v_pk_fma_f32 v[86:87], v[98:99], v[90:91], v[92:93] op_sel_hi:[1,0,1]
	v_mov_b32_e32 v89, v105
	v_pk_fma_f32 v[90:91], v[98:99], v[90:91], v[92:93] neg_lo:[0,0,1] neg_hi:[0,0,1]
	v_mov_b32_e32 v91, v87
	s_delay_alu instid0(VALU_DEP_3) | instskip(NEXT) | instid1(VALU_DEP_1)
	v_pk_add_f32 v[84:85], v[84:85], v[88:89]
	v_pk_add_f32 v[84:85], v[84:85], v[90:91]
	s_wait_loadcnt 0x0
	s_delay_alu instid0(VALU_DEP_1)
	v_pk_add_f32 v[84:85], v[100:101], v[84:85] neg_lo:[0,1] neg_hi:[0,1]
	scratch_store_b64 off, v[84:85], off offset:288
	s_wait_xcnt 0x0
	v_cmpx_lt_u32_e32 35, v0
	s_cbranch_execz .LBB104_189
; %bb.188:
	scratch_load_b64 v[84:85], off, off offset:280
	v_mov_b64_e32 v[86:87], 0
	scratch_store_b64 off, v[86:87], off offset:280
	s_wait_loadcnt 0x0
	ds_store_b64 v1, v[84:85]
.LBB104_189:
	s_wait_xcnt 0x0
	s_or_b32 exec_lo, exec_lo, s0
	s_wait_storecnt_dscnt 0x0
	s_barrier_signal -1
	s_barrier_wait -1
	s_clause 0x3
	scratch_load_b128 v[84:87], off, off offset:288
	scratch_load_b128 v[88:91], off, off offset:304
	scratch_load_b64 v[100:101], off, off offset:320
	scratch_load_b64 v[102:103], off, off offset:280
	v_mov_b32_e32 v7, 0
	ds_load_b128 v[92:95], v7 offset:624
	ds_load_b128 v[96:99], v7 offset:640
	s_mov_b32 s0, exec_lo
	s_wait_dscnt 0x1
	v_dual_mov_b32 v104, v95 :: v_dual_mov_b32 v105, v94
	ds_load_b64 v[110:111], v7 offset:656
	s_wait_dscnt 0x1
	v_dual_mov_b32 v112, v99 :: v_dual_mov_b32 v113, v98
	s_wait_loadcnt 0x3
	v_pk_mul_f32 v[106:107], v[92:93], v[84:85] op_sel:[1,1] op_sel_hi:[0,1]
	v_mov_b32_e32 v108, v87
	s_delay_alu instid0(VALU_DEP_2) | instskip(NEXT) | instid1(VALU_DEP_2)
	v_pk_fma_f32 v[114:115], v[92:93], v[84:85], v[106:107] op_sel_hi:[1,0,1]
	v_pk_mul_f32 v[104:105], v[104:105], v[108:109] op_sel_hi:[1,0]
	v_pk_fma_f32 v[84:85], v[92:93], v[84:85], v[106:107] neg_lo:[0,0,1] neg_hi:[0,0,1]
	s_wait_loadcnt 0x2
	v_pk_mul_f32 v[108:109], v[96:97], v[88:89] op_sel:[1,1] op_sel_hi:[0,1]
	v_dual_mov_b32 v114, v91 :: v_dual_mov_b32 v85, v115
	v_pk_fma_f32 v[92:93], v[94:95], v[86:87], v[104:105] op_sel_hi:[1,0,1]
	v_pk_fma_f32 v[86:87], v[94:95], v[86:87], v[104:105] neg_lo:[0,0,1] neg_hi:[0,0,1]
	s_delay_alu instid0(VALU_DEP_4) | instskip(NEXT) | instid1(VALU_DEP_4)
	v_pk_fma_f32 v[106:107], v[96:97], v[88:89], v[108:109] op_sel_hi:[1,0,1]
	v_pk_mul_f32 v[112:113], v[112:113], v[114:115] op_sel_hi:[1,0]
	v_pk_add_f32 v[84:85], v[84:85], 0 op_sel_hi:[1,0]
	v_mov_b32_e32 v87, v93
	v_pk_fma_f32 v[88:89], v[96:97], v[88:89], v[108:109] neg_lo:[0,0,1] neg_hi:[0,0,1]
	v_mov_b32_e32 v89, v107
	v_pk_fma_f32 v[92:93], v[98:99], v[90:91], v[112:113] op_sel_hi:[1,0,1]
	v_pk_fma_f32 v[90:91], v[98:99], v[90:91], v[112:113] neg_lo:[0,0,1] neg_hi:[0,0,1]
	v_pk_add_f32 v[84:85], v[84:85], v[86:87]
	s_wait_loadcnt_dscnt 0x100
	v_pk_mul_f32 v[86:87], v[110:111], v[100:101] op_sel:[1,1] op_sel_hi:[0,1]
	s_delay_alu instid0(VALU_DEP_2) | instskip(NEXT) | instid1(VALU_DEP_2)
	v_pk_add_f32 v[84:85], v[84:85], v[88:89]
	v_pk_fma_f32 v[88:89], v[110:111], v[100:101], v[86:87] op_sel_hi:[1,0,1]
	v_mov_b32_e32 v91, v93
	v_pk_fma_f32 v[86:87], v[110:111], v[100:101], v[86:87] neg_lo:[0,0,1] neg_hi:[0,0,1]
	s_delay_alu instid0(VALU_DEP_3) | instskip(NEXT) | instid1(VALU_DEP_3)
	v_mov_b32_e32 v87, v89
	v_pk_add_f32 v[84:85], v[84:85], v[90:91]
	s_delay_alu instid0(VALU_DEP_1) | instskip(SKIP_1) | instid1(VALU_DEP_1)
	v_pk_add_f32 v[84:85], v[84:85], v[86:87]
	s_wait_loadcnt 0x0
	v_pk_add_f32 v[84:85], v[102:103], v[84:85] neg_lo:[0,1] neg_hi:[0,1]
	scratch_store_b64 off, v[84:85], off offset:280
	s_wait_xcnt 0x0
	v_cmpx_lt_u32_e32 34, v0
	s_cbranch_execz .LBB104_191
; %bb.190:
	scratch_load_b64 v[84:85], off, off offset:272
	v_mov_b64_e32 v[86:87], 0
	scratch_store_b64 off, v[86:87], off offset:272
	s_wait_loadcnt 0x0
	ds_store_b64 v1, v[84:85]
.LBB104_191:
	s_wait_xcnt 0x0
	s_or_b32 exec_lo, exec_lo, s0
	s_wait_storecnt_dscnt 0x0
	s_barrier_signal -1
	s_barrier_wait -1
	s_clause 0x3
	scratch_load_b128 v[84:87], off, off offset:280
	scratch_load_b128 v[88:91], off, off offset:296
	;; [unrolled: 1-line block ×3, first 2 shown]
	scratch_load_b64 v[108:109], off, off offset:272
	ds_load_2addr_b64 v[96:99], v7 offset0:77 offset1:78
	ds_load_2addr_b64 v[100:103], v7 offset0:79 offset1:80
	;; [unrolled: 1-line block ×3, first 2 shown]
	s_mov_b32 s0, exec_lo
	s_wait_dscnt 0x2
	v_dual_mov_b32 v110, v99 :: v_dual_mov_b32 v111, v98
	s_wait_dscnt 0x1
	v_dual_mov_b32 v112, v103 :: v_dual_mov_b32 v113, v102
	;; [unrolled: 2-line block ×3, first 2 shown]
	s_wait_loadcnt 0x3
	v_pk_mul_f32 v[114:115], v[96:97], v[84:85] op_sel:[1,1] op_sel_hi:[0,1]
	v_mov_b32_e32 v116, v87
	s_delay_alu instid0(VALU_DEP_2) | instskip(NEXT) | instid1(VALU_DEP_2)
	v_pk_fma_f32 v[120:121], v[96:97], v[84:85], v[114:115] op_sel_hi:[1,0,1]
	v_pk_mul_f32 v[110:111], v[110:111], v[116:117] op_sel_hi:[1,0]
	v_pk_fma_f32 v[84:85], v[96:97], v[84:85], v[114:115] neg_lo:[0,0,1] neg_hi:[0,0,1]
	s_wait_loadcnt 0x2
	v_pk_mul_f32 v[116:117], v[100:101], v[88:89] op_sel:[1,1] op_sel_hi:[0,1]
	v_mov_b32_e32 v120, v91
	v_pk_fma_f32 v[96:97], v[98:99], v[86:87], v[110:111] op_sel_hi:[1,0,1]
	v_mov_b32_e32 v85, v121
	v_pk_fma_f32 v[86:87], v[98:99], v[86:87], v[110:111] neg_lo:[0,0,1] neg_hi:[0,0,1]
	v_pk_fma_f32 v[114:115], v[100:101], v[88:89], v[116:117] op_sel_hi:[1,0,1]
	v_pk_mul_f32 v[112:113], v[112:113], v[120:121] op_sel_hi:[1,0]
	v_mov_b32_e32 v87, v97
	v_pk_add_f32 v[84:85], v[84:85], 0 op_sel_hi:[1,0]
	v_pk_fma_f32 v[88:89], v[100:101], v[88:89], v[116:117] neg_lo:[0,0,1] neg_hi:[0,0,1]
	s_wait_loadcnt 0x1
	v_pk_mul_f32 v[96:97], v[104:105], v[92:93] op_sel:[1,1] op_sel_hi:[0,1]
	v_mov_b32_e32 v89, v115
	v_pk_fma_f32 v[98:99], v[102:103], v[90:91], v[112:113] op_sel_hi:[1,0,1]
	v_pk_add_f32 v[84:85], v[84:85], v[86:87]
	v_mov_b32_e32 v86, v95
	v_pk_fma_f32 v[90:91], v[102:103], v[90:91], v[112:113] neg_lo:[0,0,1] neg_hi:[0,0,1]
	v_pk_fma_f32 v[100:101], v[104:105], v[92:93], v[96:97] op_sel_hi:[1,0,1]
	v_mov_b32_e32 v91, v99
	v_pk_add_f32 v[84:85], v[84:85], v[88:89]
	v_pk_mul_f32 v[86:87], v[118:119], v[86:87] op_sel_hi:[1,0]
	v_pk_fma_f32 v[88:89], v[104:105], v[92:93], v[96:97] neg_lo:[0,0,1] neg_hi:[0,0,1]
	v_mov_b32_e32 v89, v101
	s_delay_alu instid0(VALU_DEP_4) | instskip(NEXT) | instid1(VALU_DEP_4)
	v_pk_add_f32 v[84:85], v[84:85], v[90:91]
	v_pk_fma_f32 v[90:91], v[106:107], v[94:95], v[86:87] op_sel_hi:[1,0,1]
	v_pk_fma_f32 v[86:87], v[106:107], v[94:95], v[86:87] neg_lo:[0,0,1] neg_hi:[0,0,1]
	s_delay_alu instid0(VALU_DEP_3) | instskip(NEXT) | instid1(VALU_DEP_3)
	v_pk_add_f32 v[84:85], v[84:85], v[88:89]
	v_mov_b32_e32 v87, v91
	s_delay_alu instid0(VALU_DEP_1) | instskip(SKIP_1) | instid1(VALU_DEP_1)
	v_pk_add_f32 v[84:85], v[84:85], v[86:87]
	s_wait_loadcnt 0x0
	v_pk_add_f32 v[84:85], v[108:109], v[84:85] neg_lo:[0,1] neg_hi:[0,1]
	scratch_store_b64 off, v[84:85], off offset:272
	s_wait_xcnt 0x0
	v_cmpx_lt_u32_e32 33, v0
	s_cbranch_execz .LBB104_193
; %bb.192:
	scratch_load_b64 v[84:85], off, off offset:264
	v_mov_b64_e32 v[86:87], 0
	scratch_store_b64 off, v[86:87], off offset:264
	s_wait_loadcnt 0x0
	ds_store_b64 v1, v[84:85]
.LBB104_193:
	s_wait_xcnt 0x0
	s_or_b32 exec_lo, exec_lo, s0
	s_wait_storecnt_dscnt 0x0
	s_barrier_signal -1
	s_barrier_wait -1
	s_clause 0x4
	scratch_load_b128 v[84:87], off, off offset:272
	scratch_load_b128 v[88:91], off, off offset:288
	scratch_load_b128 v[92:95], off, off offset:304
	scratch_load_b64 v[108:109], off, off offset:320
	scratch_load_b64 v[110:111], off, off offset:264
	v_mov_b32_e32 v7, 0
	ds_load_b128 v[96:99], v7 offset:608
	ds_load_b128 v[100:103], v7 offset:624
	;; [unrolled: 1-line block ×3, first 2 shown]
	ds_load_b64 v[112:113], v7 offset:656
	s_mov_b32 s0, exec_lo
	s_wait_dscnt 0x3
	v_dual_mov_b32 v114, v99 :: v_dual_mov_b32 v115, v98
	s_wait_dscnt 0x2
	v_dual_mov_b32 v116, v103 :: v_dual_mov_b32 v117, v102
	;; [unrolled: 2-line block ×3, first 2 shown]
	s_wait_loadcnt 0x4
	v_pk_mul_f32 v[118:119], v[96:97], v[84:85] op_sel:[1,1] op_sel_hi:[0,1]
	v_mov_b32_e32 v120, v87
	s_wait_loadcnt 0x3
	v_pk_mul_f32 v[124:125], v[100:101], v[88:89] op_sel:[1,1] op_sel_hi:[0,1]
	s_wait_loadcnt 0x2
	v_pk_mul_f32 v[128:129], v[104:105], v[92:93] op_sel:[1,1] op_sel_hi:[0,1]
	v_pk_fma_f32 v[126:127], v[96:97], v[84:85], v[118:119] op_sel_hi:[1,0,1]
	v_pk_mul_f32 v[114:115], v[114:115], v[120:121] op_sel_hi:[1,0]
	v_pk_fma_f32 v[84:85], v[96:97], v[84:85], v[118:119] neg_lo:[0,0,1] neg_hi:[0,0,1]
	v_mov_b32_e32 v120, v91
	v_pk_fma_f32 v[118:119], v[100:101], v[88:89], v[124:125] op_sel_hi:[1,0,1]
	v_mov_b32_e32 v85, v127
	v_pk_fma_f32 v[96:97], v[98:99], v[86:87], v[114:115] op_sel_hi:[1,0,1]
	v_pk_fma_f32 v[86:87], v[98:99], v[86:87], v[114:115] neg_lo:[0,0,1] neg_hi:[0,0,1]
	v_pk_mul_f32 v[116:117], v[116:117], v[120:121] op_sel_hi:[1,0]
	v_pk_fma_f32 v[88:89], v[100:101], v[88:89], v[124:125] neg_lo:[0,0,1] neg_hi:[0,0,1]
	v_pk_add_f32 v[84:85], v[84:85], 0 op_sel_hi:[1,0]
	v_dual_mov_b32 v87, v97 :: v_dual_mov_b32 v96, v95
	s_delay_alu instid0(VALU_DEP_4) | instskip(SKIP_2) | instid1(VALU_DEP_4)
	v_pk_fma_f32 v[98:99], v[102:103], v[90:91], v[116:117] op_sel_hi:[1,0,1]
	v_mov_b32_e32 v89, v119
	v_pk_fma_f32 v[90:91], v[102:103], v[90:91], v[116:117] neg_lo:[0,0,1] neg_hi:[0,0,1]
	v_pk_add_f32 v[84:85], v[84:85], v[86:87]
	v_pk_fma_f32 v[86:87], v[104:105], v[92:93], v[128:129] op_sel_hi:[1,0,1]
	v_pk_mul_f32 v[96:97], v[122:123], v[96:97] op_sel_hi:[1,0]
	v_mov_b32_e32 v91, v99
	s_delay_alu instid0(VALU_DEP_4)
	v_pk_add_f32 v[84:85], v[84:85], v[88:89]
	v_pk_fma_f32 v[88:89], v[104:105], v[92:93], v[128:129] neg_lo:[0,0,1] neg_hi:[0,0,1]
	v_mov_b32_e32 v89, v87
	v_pk_fma_f32 v[86:87], v[106:107], v[94:95], v[96:97] op_sel_hi:[1,0,1]
	v_pk_fma_f32 v[92:93], v[106:107], v[94:95], v[96:97] neg_lo:[0,0,1] neg_hi:[0,0,1]
	v_pk_add_f32 v[84:85], v[84:85], v[90:91]
	s_wait_loadcnt_dscnt 0x100
	v_pk_mul_f32 v[90:91], v[112:113], v[108:109] op_sel:[1,1] op_sel_hi:[0,1]
	v_mov_b32_e32 v93, v87
	s_delay_alu instid0(VALU_DEP_3) | instskip(NEXT) | instid1(VALU_DEP_3)
	v_pk_add_f32 v[84:85], v[84:85], v[88:89]
	v_pk_fma_f32 v[86:87], v[112:113], v[108:109], v[90:91] op_sel_hi:[1,0,1]
	v_pk_fma_f32 v[88:89], v[112:113], v[108:109], v[90:91] neg_lo:[0,0,1] neg_hi:[0,0,1]
	s_delay_alu instid0(VALU_DEP_3) | instskip(NEXT) | instid1(VALU_DEP_3)
	v_pk_add_f32 v[84:85], v[84:85], v[92:93]
	v_mov_b32_e32 v89, v87
	s_delay_alu instid0(VALU_DEP_1) | instskip(SKIP_1) | instid1(VALU_DEP_1)
	v_pk_add_f32 v[84:85], v[84:85], v[88:89]
	s_wait_loadcnt 0x0
	v_pk_add_f32 v[84:85], v[110:111], v[84:85] neg_lo:[0,1] neg_hi:[0,1]
	scratch_store_b64 off, v[84:85], off offset:264
	s_wait_xcnt 0x0
	v_cmpx_lt_u32_e32 32, v0
	s_cbranch_execz .LBB104_195
; %bb.194:
	scratch_load_b64 v[84:85], off, off offset:256
	v_mov_b64_e32 v[86:87], 0
	scratch_store_b64 off, v[86:87], off offset:256
	s_wait_loadcnt 0x0
	ds_store_b64 v1, v[84:85]
.LBB104_195:
	s_wait_xcnt 0x0
	s_or_b32 exec_lo, exec_lo, s0
	s_wait_storecnt_dscnt 0x0
	s_barrier_signal -1
	s_barrier_wait -1
	s_clause 0x4
	scratch_load_b128 v[84:87], off, off offset:264
	scratch_load_b128 v[88:91], off, off offset:280
	;; [unrolled: 1-line block ×4, first 2 shown]
	scratch_load_b64 v[116:117], off, off offset:256
	ds_load_2addr_b64 v[100:103], v7 offset0:75 offset1:76
	ds_load_2addr_b64 v[104:107], v7 offset0:77 offset1:78
	;; [unrolled: 1-line block ×4, first 2 shown]
	s_mov_b32 s0, exec_lo
	s_wait_dscnt 0x3
	v_dual_mov_b32 v118, v103 :: v_dual_mov_b32 v119, v102
	s_wait_dscnt 0x2
	v_dual_mov_b32 v120, v107 :: v_dual_mov_b32 v121, v106
	;; [unrolled: 2-line block ×3, first 2 shown]
	v_dual_mov_b32 v123, v110 :: v_dual_mov_b32 v128, v115
	s_wait_loadcnt 0x4
	v_mov_b32_e32 v126, v87
	v_pk_mul_f32 v[124:125], v[100:101], v[84:85] op_sel:[1,1] op_sel_hi:[0,1]
	s_wait_loadcnt 0x3
	v_pk_mul_f32 v[130:131], v[104:105], v[88:89] op_sel:[1,1] op_sel_hi:[0,1]
	s_wait_loadcnt 0x2
	v_pk_mul_f32 v[134:135], v[108:109], v[92:93] op_sel:[1,1] op_sel_hi:[0,1]
	v_pk_mul_f32 v[118:119], v[118:119], v[126:127] op_sel_hi:[1,0]
	v_pk_fma_f32 v[132:133], v[100:101], v[84:85], v[124:125] op_sel_hi:[1,0,1]
	v_pk_fma_f32 v[84:85], v[100:101], v[84:85], v[124:125] neg_lo:[0,0,1] neg_hi:[0,0,1]
	v_mov_b32_e32 v126, v91
	v_pk_fma_f32 v[124:125], v[104:105], v[88:89], v[130:131] op_sel_hi:[1,0,1]
	v_pk_fma_f32 v[100:101], v[102:103], v[86:87], v[118:119] op_sel_hi:[1,0,1]
	v_mov_b32_e32 v85, v133
	v_pk_fma_f32 v[86:87], v[102:103], v[86:87], v[118:119] neg_lo:[0,0,1] neg_hi:[0,0,1]
	v_pk_mul_f32 v[120:121], v[120:121], v[126:127] op_sel_hi:[1,0]
	s_delay_alu instid0(VALU_DEP_4) | instskip(NEXT) | instid1(VALU_DEP_4)
	v_dual_mov_b32 v100, v95 :: v_dual_mov_b32 v87, v101
	v_pk_add_f32 v[84:85], v[84:85], 0 op_sel_hi:[1,0]
	v_pk_fma_f32 v[88:89], v[104:105], v[88:89], v[130:131] neg_lo:[0,0,1] neg_hi:[0,0,1]
	v_mov_b32_e32 v89, v125
	v_pk_fma_f32 v[102:103], v[106:107], v[90:91], v[120:121] op_sel_hi:[1,0,1]
	v_pk_mul_f32 v[100:101], v[122:123], v[100:101] op_sel_hi:[1,0]
	v_pk_add_f32 v[84:85], v[84:85], v[86:87]
	v_pk_fma_f32 v[86:87], v[108:109], v[92:93], v[134:135] op_sel_hi:[1,0,1]
	v_pk_fma_f32 v[90:91], v[106:107], v[90:91], v[120:121] neg_lo:[0,0,1] neg_hi:[0,0,1]
	v_mov_b32_e32 v91, v103
	v_pk_fma_f32 v[92:93], v[108:109], v[92:93], v[134:135] neg_lo:[0,0,1] neg_hi:[0,0,1]
	v_pk_add_f32 v[84:85], v[84:85], v[88:89]
	v_mov_b32_e32 v93, v87
	v_pk_fma_f32 v[86:87], v[110:111], v[94:95], v[100:101] op_sel_hi:[1,0,1]
	s_wait_loadcnt 0x1
	v_pk_mul_f32 v[88:89], v[112:113], v[96:97] op_sel:[1,1] op_sel_hi:[0,1]
	v_mov_b32_e32 v86, v99
	v_pk_add_f32 v[84:85], v[84:85], v[90:91]
	v_pk_fma_f32 v[94:95], v[110:111], v[94:95], v[100:101] neg_lo:[0,0,1] neg_hi:[0,0,1]
	v_mov_b32_e32 v95, v87
	v_pk_fma_f32 v[90:91], v[112:113], v[96:97], v[88:89] op_sel_hi:[1,0,1]
	v_pk_mul_f32 v[86:87], v[128:129], v[86:87] op_sel_hi:[1,0]
	v_pk_add_f32 v[84:85], v[84:85], v[92:93]
	v_pk_fma_f32 v[88:89], v[112:113], v[96:97], v[88:89] neg_lo:[0,0,1] neg_hi:[0,0,1]
	s_delay_alu instid0(VALU_DEP_4) | instskip(NEXT) | instid1(VALU_DEP_4)
	v_mov_b32_e32 v89, v91
	v_pk_fma_f32 v[90:91], v[114:115], v[98:99], v[86:87] op_sel_hi:[1,0,1]
	s_delay_alu instid0(VALU_DEP_4) | instskip(SKIP_1) | instid1(VALU_DEP_3)
	v_pk_add_f32 v[84:85], v[84:85], v[94:95]
	v_pk_fma_f32 v[86:87], v[114:115], v[98:99], v[86:87] neg_lo:[0,0,1] neg_hi:[0,0,1]
	v_mov_b32_e32 v87, v91
	s_delay_alu instid0(VALU_DEP_3) | instskip(NEXT) | instid1(VALU_DEP_1)
	v_pk_add_f32 v[84:85], v[84:85], v[88:89]
	v_pk_add_f32 v[84:85], v[84:85], v[86:87]
	s_wait_loadcnt 0x0
	s_delay_alu instid0(VALU_DEP_1)
	v_pk_add_f32 v[84:85], v[116:117], v[84:85] neg_lo:[0,1] neg_hi:[0,1]
	scratch_store_b64 off, v[84:85], off offset:256
	s_wait_xcnt 0x0
	v_cmpx_lt_u32_e32 31, v0
	s_cbranch_execz .LBB104_197
; %bb.196:
	scratch_load_b64 v[84:85], off, off offset:248
	v_mov_b64_e32 v[86:87], 0
	scratch_store_b64 off, v[86:87], off offset:248
	s_wait_loadcnt 0x0
	ds_store_b64 v1, v[84:85]
.LBB104_197:
	s_wait_xcnt 0x0
	s_or_b32 exec_lo, exec_lo, s0
	s_wait_storecnt_dscnt 0x0
	s_barrier_signal -1
	s_barrier_wait -1
	s_clause 0x5
	scratch_load_b128 v[84:87], off, off offset:256
	scratch_load_b128 v[88:91], off, off offset:272
	;; [unrolled: 1-line block ×4, first 2 shown]
	scratch_load_b64 v[116:117], off, off offset:320
	scratch_load_b64 v[118:119], off, off offset:248
	v_mov_b32_e32 v7, 0
	ds_load_b128 v[100:103], v7 offset:592
	ds_load_b128 v[104:107], v7 offset:608
	;; [unrolled: 1-line block ×4, first 2 shown]
	ds_load_b64 v[120:121], v7 offset:656
	s_mov_b32 s0, exec_lo
	s_wait_dscnt 0x4
	v_dual_mov_b32 v122, v103 :: v_dual_mov_b32 v123, v102
	s_wait_dscnt 0x1
	v_dual_mov_b32 v124, v107 :: v_dual_mov_b32 v129, v114
	v_dual_mov_b32 v125, v106 :: v_dual_mov_b32 v126, v111
	;; [unrolled: 1-line block ×3, first 2 shown]
	s_wait_loadcnt 0x5
	v_dual_mov_b32 v130, v87 :: v_dual_mul_f32 v131, v100, v85
	v_mul_f32_e32 v9, v101, v85
	s_wait_loadcnt 0x4
	v_pk_mul_f32 v[132:133], v[104:105], v[88:89] op_sel:[1,1] op_sel_hi:[0,1]
	v_mov_b32_e32 v134, v91
	s_wait_loadcnt 0x3
	v_pk_mul_f32 v[136:137], v[108:109], v[92:93] op_sel:[1,1] op_sel_hi:[0,1]
	v_pk_mul_f32 v[122:123], v[122:123], v[130:131] op_sel_hi:[1,0]
	v_dual_fmac_f32 v131, v101, v84 :: v_dual_fma_f32 v130, v100, v84, -v9
	v_mov_b32_e32 v84, v95
	v_pk_fma_f32 v[138:139], v[104:105], v[88:89], v[132:133] op_sel_hi:[1,0,1]
	s_delay_alu instid0(VALU_DEP_4)
	v_pk_fma_f32 v[100:101], v[102:103], v[86:87], v[122:123] op_sel_hi:[1,0,1]
	v_pk_fma_f32 v[86:87], v[102:103], v[86:87], v[122:123] neg_lo:[0,0,1] neg_hi:[0,0,1]
	v_pk_mul_f32 v[124:125], v[124:125], v[134:135] op_sel_hi:[1,0]
	v_pk_add_f32 v[130:131], v[130:131], 0 op_sel_hi:[1,0]
	v_pk_fma_f32 v[88:89], v[104:105], v[88:89], v[132:133] neg_lo:[0,0,1] neg_hi:[0,0,1]
	v_dual_mov_b32 v87, v101 :: v_dual_mov_b32 v89, v139
	s_delay_alu instid0(VALU_DEP_4) | instskip(SKIP_2) | instid1(VALU_DEP_4)
	v_pk_fma_f32 v[102:103], v[106:107], v[90:91], v[124:125] op_sel_hi:[1,0,1]
	v_pk_fma_f32 v[90:91], v[106:107], v[90:91], v[124:125] neg_lo:[0,0,1] neg_hi:[0,0,1]
	v_pk_fma_f32 v[104:105], v[108:109], v[92:93], v[136:137] op_sel_hi:[1,0,1]
	v_pk_add_f32 v[86:87], v[130:131], v[86:87]
	v_pk_mul_f32 v[84:85], v[126:127], v[84:85] op_sel_hi:[1,0]
	v_mov_b32_e32 v91, v103
	v_pk_fma_f32 v[92:93], v[108:109], v[92:93], v[136:137] neg_lo:[0,0,1] neg_hi:[0,0,1]
	s_wait_loadcnt 0x2
	v_pk_mul_f32 v[100:101], v[112:113], v[96:97] op_sel:[1,1] op_sel_hi:[0,1]
	v_pk_add_f32 v[86:87], v[86:87], v[88:89]
	v_mov_b32_e32 v88, v99
	v_pk_fma_f32 v[102:103], v[110:111], v[94:95], v[84:85] op_sel_hi:[1,0,1]
	v_mov_b32_e32 v93, v105
	v_pk_fma_f32 v[84:85], v[110:111], v[94:95], v[84:85] neg_lo:[0,0,1] neg_hi:[0,0,1]
	v_pk_add_f32 v[86:87], v[86:87], v[90:91]
	v_pk_fma_f32 v[90:91], v[112:113], v[96:97], v[100:101] op_sel_hi:[1,0,1]
	v_pk_mul_f32 v[88:89], v[128:129], v[88:89] op_sel_hi:[1,0]
	v_mov_b32_e32 v85, v103
	s_delay_alu instid0(VALU_DEP_4)
	v_pk_add_f32 v[86:87], v[86:87], v[92:93]
	v_pk_fma_f32 v[92:93], v[112:113], v[96:97], v[100:101] neg_lo:[0,0,1] neg_hi:[0,0,1]
	v_mov_b32_e32 v93, v91
	v_pk_fma_f32 v[90:91], v[114:115], v[98:99], v[88:89] op_sel_hi:[1,0,1]
	v_pk_fma_f32 v[88:89], v[114:115], v[98:99], v[88:89] neg_lo:[0,0,1] neg_hi:[0,0,1]
	v_pk_add_f32 v[84:85], v[86:87], v[84:85]
	s_wait_loadcnt_dscnt 0x100
	v_pk_mul_f32 v[86:87], v[120:121], v[116:117] op_sel:[1,1] op_sel_hi:[0,1]
	v_mov_b32_e32 v89, v91
	s_delay_alu instid0(VALU_DEP_3) | instskip(NEXT) | instid1(VALU_DEP_3)
	v_pk_add_f32 v[84:85], v[84:85], v[92:93]
	v_pk_fma_f32 v[90:91], v[120:121], v[116:117], v[86:87] op_sel_hi:[1,0,1]
	v_pk_fma_f32 v[86:87], v[120:121], v[116:117], v[86:87] neg_lo:[0,0,1] neg_hi:[0,0,1]
	s_delay_alu instid0(VALU_DEP_3) | instskip(NEXT) | instid1(VALU_DEP_3)
	v_pk_add_f32 v[84:85], v[84:85], v[88:89]
	v_mov_b32_e32 v87, v91
	s_delay_alu instid0(VALU_DEP_1) | instskip(SKIP_1) | instid1(VALU_DEP_1)
	v_pk_add_f32 v[84:85], v[84:85], v[86:87]
	s_wait_loadcnt 0x0
	v_pk_add_f32 v[84:85], v[118:119], v[84:85] neg_lo:[0,1] neg_hi:[0,1]
	scratch_store_b64 off, v[84:85], off offset:248
	s_wait_xcnt 0x0
	v_cmpx_lt_u32_e32 30, v0
	s_cbranch_execz .LBB104_199
; %bb.198:
	scratch_load_b64 v[84:85], off, off offset:240
	v_mov_b64_e32 v[86:87], 0
	scratch_store_b64 off, v[86:87], off offset:240
	s_wait_loadcnt 0x0
	ds_store_b64 v1, v[84:85]
.LBB104_199:
	s_wait_xcnt 0x0
	s_or_b32 exec_lo, exec_lo, s0
	s_wait_storecnt_dscnt 0x0
	s_barrier_signal -1
	s_barrier_wait -1
	s_clause 0x5
	scratch_load_b128 v[84:87], off, off offset:248
	scratch_load_b128 v[88:91], off, off offset:264
	;; [unrolled: 1-line block ×5, first 2 shown]
	scratch_load_b64 v[124:125], off, off offset:240
	ds_load_2addr_b64 v[104:107], v7 offset0:75 offset1:76
	ds_load_2addr_b64 v[108:111], v7 offset0:77 offset1:78
	;; [unrolled: 1-line block ×5, first 2 shown]
	s_mov_b32 s0, exec_lo
	s_wait_dscnt 0x4
	v_dual_mov_b32 v126, v107 :: v_dual_mov_b32 v127, v106
	s_wait_dscnt 0x3
	v_dual_mov_b32 v128, v111 :: v_dual_mov_b32 v129, v110
	s_wait_dscnt 0x2
	v_dual_mov_b32 v130, v115 :: v_dual_mov_b32 v131, v114
	s_wait_dscnt 0x1
	v_dual_mov_b32 v132, v119 :: v_dual_mov_b32 v133, v118
	s_wait_loadcnt_dscnt 0x500
	v_dual_mul_f32 v135, v120, v85 :: v_dual_mul_f32 v137, v122, v87
	v_dual_mul_f32 v7, v121, v85 :: v_dual_mul_f32 v9, v123, v87
	s_wait_loadcnt 0x4
	v_pk_mul_f32 v[138:139], v[104:105], v[88:89] op_sel:[1,1] op_sel_hi:[0,1]
	s_wait_loadcnt 0x3
	v_dual_mov_b32 v140, v91 :: v_dual_mov_b32 v144, v95
	v_dual_fmac_f32 v135, v121, v84 :: v_dual_fmac_f32 v137, v123, v86
	v_dual_fma_f32 v134, v120, v84, -v7 :: v_dual_fma_f32 v136, v122, v86, -v9
	v_pk_fma_f32 v[84:85], v[104:105], v[88:89], v[138:139] op_sel_hi:[1,0,1]
	s_delay_alu instid0(VALU_DEP_4) | instskip(SKIP_1) | instid1(VALU_DEP_4)
	v_pk_mul_f32 v[86:87], v[126:127], v[140:141] op_sel_hi:[1,0]
	v_pk_fma_f32 v[88:89], v[104:105], v[88:89], v[138:139] neg_lo:[0,0,1] neg_hi:[0,0,1]
	v_pk_add_f32 v[120:121], v[134:135], 0 op_sel_hi:[1,0]
	v_pk_mul_f32 v[142:143], v[108:109], v[92:93] op_sel:[1,1] op_sel_hi:[0,1]
	v_mov_b32_e32 v89, v85
	v_pk_fma_f32 v[84:85], v[106:107], v[90:91], v[86:87] op_sel_hi:[1,0,1]
	v_pk_fma_f32 v[86:87], v[106:107], v[90:91], v[86:87] neg_lo:[0,0,1] neg_hi:[0,0,1]
	v_pk_add_f32 v[104:105], v[120:121], v[136:137]
	v_pk_fma_f32 v[120:121], v[108:109], v[92:93], v[142:143] op_sel_hi:[1,0,1]
	v_pk_mul_f32 v[126:127], v[128:129], v[144:145] op_sel_hi:[1,0]
	v_mov_b32_e32 v87, v85
	s_wait_loadcnt 0x2
	v_pk_mul_f32 v[122:123], v[112:113], v[96:97] op_sel:[1,1] op_sel_hi:[0,1]
	v_pk_add_f32 v[84:85], v[104:105], v[88:89]
	v_mov_b32_e32 v88, v99
	v_pk_fma_f32 v[90:91], v[108:109], v[92:93], v[142:143] neg_lo:[0,0,1] neg_hi:[0,0,1]
	v_mov_b32_e32 v91, v121
	v_pk_fma_f32 v[92:93], v[110:111], v[94:95], v[126:127] op_sel_hi:[1,0,1]
	v_pk_add_f32 v[84:85], v[84:85], v[86:87]
	v_pk_fma_f32 v[86:87], v[112:113], v[96:97], v[122:123] op_sel_hi:[1,0,1]
	v_pk_mul_f32 v[88:89], v[130:131], v[88:89] op_sel_hi:[1,0]
	v_pk_fma_f32 v[94:95], v[110:111], v[94:95], v[126:127] neg_lo:[0,0,1] neg_hi:[0,0,1]
	v_mov_b32_e32 v95, v93
	v_pk_add_f32 v[84:85], v[84:85], v[90:91]
	v_pk_fma_f32 v[92:93], v[112:113], v[96:97], v[122:123] neg_lo:[0,0,1] neg_hi:[0,0,1]
	v_mov_b32_e32 v93, v87
	v_pk_fma_f32 v[86:87], v[114:115], v[98:99], v[88:89] op_sel_hi:[1,0,1]
	s_wait_loadcnt 0x1
	v_pk_mul_f32 v[90:91], v[116:117], v[100:101] op_sel:[1,1] op_sel_hi:[0,1]
	v_pk_add_f32 v[84:85], v[84:85], v[94:95]
	v_mov_b32_e32 v86, v103
	v_pk_fma_f32 v[88:89], v[114:115], v[98:99], v[88:89] neg_lo:[0,0,1] neg_hi:[0,0,1]
	v_mov_b32_e32 v89, v87
	v_pk_fma_f32 v[94:95], v[116:117], v[100:101], v[90:91] op_sel_hi:[1,0,1]
	v_pk_add_f32 v[84:85], v[84:85], v[92:93]
	v_pk_mul_f32 v[86:87], v[132:133], v[86:87] op_sel_hi:[1,0]
	v_pk_fma_f32 v[90:91], v[116:117], v[100:101], v[90:91] neg_lo:[0,0,1] neg_hi:[0,0,1]
	s_delay_alu instid0(VALU_DEP_3) | instskip(NEXT) | instid1(VALU_DEP_3)
	v_pk_add_f32 v[84:85], v[84:85], v[88:89]
	v_pk_fma_f32 v[88:89], v[118:119], v[102:103], v[86:87] op_sel_hi:[1,0,1]
	v_mov_b32_e32 v91, v95
	v_pk_fma_f32 v[86:87], v[118:119], v[102:103], v[86:87] neg_lo:[0,0,1] neg_hi:[0,0,1]
	s_delay_alu instid0(VALU_DEP_3) | instskip(NEXT) | instid1(VALU_DEP_3)
	v_mov_b32_e32 v87, v89
	v_pk_add_f32 v[84:85], v[84:85], v[90:91]
	s_delay_alu instid0(VALU_DEP_1) | instskip(SKIP_1) | instid1(VALU_DEP_1)
	v_pk_add_f32 v[84:85], v[84:85], v[86:87]
	s_wait_loadcnt 0x0
	v_pk_add_f32 v[84:85], v[124:125], v[84:85] neg_lo:[0,1] neg_hi:[0,1]
	scratch_store_b64 off, v[84:85], off offset:240
	s_wait_xcnt 0x0
	v_cmpx_lt_u32_e32 29, v0
	s_cbranch_execz .LBB104_201
; %bb.200:
	scratch_load_b64 v[84:85], off, off offset:232
	v_mov_b64_e32 v[86:87], 0
	scratch_store_b64 off, v[86:87], off offset:232
	s_wait_loadcnt 0x0
	ds_store_b64 v1, v[84:85]
.LBB104_201:
	s_wait_xcnt 0x0
	s_or_b32 exec_lo, exec_lo, s0
	s_wait_storecnt_dscnt 0x0
	s_barrier_signal -1
	s_barrier_wait -1
	s_clause 0x6
	scratch_load_b128 v[84:87], off, off offset:240
	scratch_load_b128 v[88:91], off, off offset:256
	;; [unrolled: 1-line block ×5, first 2 shown]
	scratch_load_b64 v[124:125], off, off offset:320
	scratch_load_b64 v[126:127], off, off offset:232
	v_mov_b32_e32 v7, 0
	ds_load_b128 v[104:107], v7 offset:592
	ds_load_b128 v[108:111], v7 offset:608
	;; [unrolled: 1-line block ×5, first 2 shown]
	ds_load_b64 v[128:129], v7 offset:656
	s_mov_b32 s0, exec_lo
	s_wait_dscnt 0x5
	v_dual_mov_b32 v130, v107 :: v_dual_mov_b32 v131, v106
	s_wait_dscnt 0x2
	v_dual_mov_b32 v132, v111 :: v_dual_mov_b32 v137, v118
	v_dual_mov_b32 v133, v110 :: v_dual_mov_b32 v134, v115
	;; [unrolled: 1-line block ×3, first 2 shown]
	s_wait_loadcnt_dscnt 0x601
	v_dual_mul_f32 v9, v120, v85 :: v_dual_mul_f32 v11, v121, v85
	v_dual_mul_f32 v13, v123, v87 :: v_dual_mul_f32 v139, v122, v87
	s_wait_loadcnt 0x5
	v_dual_mul_f32 v141, v104, v89 :: v_dual_mul_f32 v15, v105, v89
	s_wait_loadcnt 0x4
	v_dual_mov_b32 v140, v91 :: v_dual_mov_b32 v144, v95
	v_dual_fmac_f32 v9, v121, v84 :: v_dual_fma_f32 v11, v120, v84, -v11
	v_dual_fma_f32 v138, v122, v86, -v13 :: v_dual_fmac_f32 v139, v123, v86
	s_delay_alu instid0(VALU_DEP_3) | instskip(NEXT) | instid1(VALU_DEP_3)
	v_pk_mul_f32 v[84:85], v[130:131], v[140:141] op_sel_hi:[1,0]
	v_dual_add_f32 v87, 0, v9 :: v_dual_add_f32 v86, 0, v11
	s_wait_loadcnt 0x3
	v_mov_b32_e32 v120, v99
	v_pk_mul_f32 v[142:143], v[108:109], v[92:93] op_sel:[1,1] op_sel_hi:[0,1]
	v_dual_fmac_f32 v141, v105, v88 :: v_dual_fma_f32 v140, v104, v88, -v15
	v_pk_fma_f32 v[88:89], v[106:107], v[90:91], v[84:85] op_sel_hi:[1,0,1]
	v_pk_add_f32 v[86:87], v[86:87], v[138:139]
	v_pk_fma_f32 v[84:85], v[106:107], v[90:91], v[84:85] neg_lo:[0,0,1] neg_hi:[0,0,1]
	v_pk_fma_f32 v[104:105], v[108:109], v[92:93], v[142:143] op_sel_hi:[1,0,1]
	v_pk_mul_f32 v[122:123], v[132:133], v[144:145] op_sel_hi:[1,0]
	v_mov_b32_e32 v85, v89
	v_pk_add_f32 v[86:87], v[86:87], v[140:141]
	v_pk_fma_f32 v[90:91], v[108:109], v[92:93], v[142:143] neg_lo:[0,0,1] neg_hi:[0,0,1]
	v_pk_mul_f32 v[146:147], v[112:113], v[96:97] op_sel:[1,1] op_sel_hi:[0,1]
	v_mov_b32_e32 v91, v105
	v_pk_fma_f32 v[92:93], v[110:111], v[94:95], v[122:123] op_sel_hi:[1,0,1]
	v_pk_add_f32 v[84:85], v[86:87], v[84:85]
	v_pk_fma_f32 v[94:95], v[110:111], v[94:95], v[122:123] neg_lo:[0,0,1] neg_hi:[0,0,1]
	v_pk_fma_f32 v[86:87], v[112:113], v[96:97], v[146:147] op_sel_hi:[1,0,1]
	v_pk_mul_f32 v[104:105], v[134:135], v[120:121] op_sel_hi:[1,0]
	s_wait_loadcnt 0x2
	v_dual_mov_b32 v95, v93 :: v_dual_mov_b32 v86, v103
	v_pk_add_f32 v[84:85], v[84:85], v[90:91]
	v_pk_fma_f32 v[90:91], v[112:113], v[96:97], v[146:147] neg_lo:[0,0,1] neg_hi:[0,0,1]
	v_pk_mul_f32 v[88:89], v[116:117], v[100:101] op_sel:[1,1] op_sel_hi:[0,1]
	v_pk_fma_f32 v[92:93], v[114:115], v[98:99], v[104:105] op_sel_hi:[1,0,1]
	v_mov_b32_e32 v91, v87
	v_pk_add_f32 v[84:85], v[84:85], v[94:95]
	v_pk_fma_f32 v[96:97], v[114:115], v[98:99], v[104:105] neg_lo:[0,0,1] neg_hi:[0,0,1]
	v_pk_fma_f32 v[94:95], v[116:117], v[100:101], v[88:89] op_sel_hi:[1,0,1]
	v_pk_mul_f32 v[86:87], v[136:137], v[86:87] op_sel_hi:[1,0]
	v_mov_b32_e32 v97, v93
	v_pk_add_f32 v[84:85], v[84:85], v[90:91]
	v_pk_fma_f32 v[88:89], v[116:117], v[100:101], v[88:89] neg_lo:[0,0,1] neg_hi:[0,0,1]
	s_wait_loadcnt_dscnt 0x100
	v_pk_mul_f32 v[92:93], v[128:129], v[124:125] op_sel:[1,1] op_sel_hi:[0,1]
	v_pk_fma_f32 v[90:91], v[118:119], v[102:103], v[86:87] op_sel_hi:[1,0,1]
	v_mov_b32_e32 v89, v95
	v_pk_add_f32 v[84:85], v[84:85], v[96:97]
	v_pk_fma_f32 v[86:87], v[118:119], v[102:103], v[86:87] neg_lo:[0,0,1] neg_hi:[0,0,1]
	s_delay_alu instid0(VALU_DEP_4) | instskip(SKIP_1) | instid1(VALU_DEP_4)
	v_mov_b32_e32 v87, v91
	v_pk_fma_f32 v[90:91], v[128:129], v[124:125], v[92:93] neg_lo:[0,0,1] neg_hi:[0,0,1]
	v_pk_add_f32 v[84:85], v[84:85], v[88:89]
	v_pk_fma_f32 v[88:89], v[128:129], v[124:125], v[92:93] op_sel_hi:[1,0,1]
	s_delay_alu instid0(VALU_DEP_2) | instskip(NEXT) | instid1(VALU_DEP_2)
	v_pk_add_f32 v[84:85], v[84:85], v[86:87]
	v_mov_b32_e32 v91, v89
	s_delay_alu instid0(VALU_DEP_1) | instskip(SKIP_1) | instid1(VALU_DEP_1)
	v_pk_add_f32 v[84:85], v[84:85], v[90:91]
	s_wait_loadcnt 0x0
	v_pk_add_f32 v[84:85], v[126:127], v[84:85] neg_lo:[0,1] neg_hi:[0,1]
	scratch_store_b64 off, v[84:85], off offset:232
	s_wait_xcnt 0x0
	v_cmpx_lt_u32_e32 28, v0
	s_cbranch_execz .LBB104_203
; %bb.202:
	scratch_load_b64 v[84:85], off, off offset:224
	v_mov_b64_e32 v[86:87], 0
	scratch_store_b64 off, v[86:87], off offset:224
	s_wait_loadcnt 0x0
	ds_store_b64 v1, v[84:85]
.LBB104_203:
	s_wait_xcnt 0x0
	s_or_b32 exec_lo, exec_lo, s0
	s_wait_storecnt_dscnt 0x0
	s_barrier_signal -1
	s_barrier_wait -1
	s_clause 0x6
	scratch_load_b128 v[84:87], off, off offset:232
	scratch_load_b128 v[88:91], off, off offset:248
	;; [unrolled: 1-line block ×6, first 2 shown]
	scratch_load_b64 v[132:133], off, off offset:224
	ds_load_2addr_b64 v[108:111], v7 offset0:75 offset1:76
	ds_load_2addr_b64 v[112:115], v7 offset0:77 offset1:78
	;; [unrolled: 1-line block ×6, first 2 shown]
	s_mov_b32 s0, exec_lo
	s_wait_dscnt 0x5
	v_dual_mov_b32 v134, v111 :: v_dual_mov_b32 v135, v110
	s_wait_dscnt 0x4
	v_dual_mov_b32 v136, v115 :: v_dual_mov_b32 v137, v114
	s_wait_dscnt 0x3
	v_dual_mov_b32 v138, v119 :: v_dual_mov_b32 v139, v118
	s_wait_dscnt 0x2
	v_dual_mov_b32 v140, v123 :: v_dual_mov_b32 v141, v122
	s_wait_loadcnt_dscnt 0x601
	v_dual_mul_f32 v7, v124, v85 :: v_dual_mul_f32 v9, v126, v87
	v_dual_mul_f32 v11, v125, v85 :: v_dual_mul_f32 v13, v127, v87
	s_wait_loadcnt 0x4
	s_delay_alu instid0(VALU_DEP_2)
	v_dual_mov_b32 v148, v95 :: v_dual_fmac_f32 v7, v125, v84
	s_wait_dscnt 0x0
	v_dual_mul_f32 v143, v128, v89 :: v_dual_mul_f32 v145, v130, v91
	v_dual_fma_f32 v11, v124, v84, -v11 :: v_dual_fmac_f32 v9, v127, v86
	v_dual_mul_f32 v15, v129, v89 :: v_dual_mul_f32 v17, v131, v91
	v_dual_fma_f32 v13, v126, v86, -v13 :: v_dual_add_f32 v7, 0, v7
	s_wait_loadcnt 0x3
	s_delay_alu instid0(VALU_DEP_3) | instskip(SKIP_3) | instid1(VALU_DEP_4)
	v_dual_add_f32 v11, 0, v11 :: v_dual_mov_b32 v86, v99
	v_pk_mul_f32 v[146:147], v[108:109], v[92:93] op_sel:[1,1] op_sel_hi:[0,1]
	v_pk_mul_f32 v[84:85], v[112:113], v[96:97] op_sel:[1,1] op_sel_hi:[0,1]
	v_dual_fmac_f32 v143, v129, v88 :: v_dual_add_f32 v89, v7, v9
	v_dual_fma_f32 v142, v128, v88, -v15 :: v_dual_add_f32 v88, v11, v13
	v_fmac_f32_e32 v145, v131, v90
	v_fma_f32 v144, v130, v90, -v17
	v_pk_fma_f32 v[90:91], v[108:109], v[92:93], v[146:147] op_sel_hi:[1,0,1]
	v_pk_mul_f32 v[124:125], v[134:135], v[148:149] op_sel_hi:[1,0]
	v_pk_add_f32 v[88:89], v[88:89], v[142:143]
	v_pk_fma_f32 v[92:93], v[108:109], v[92:93], v[146:147] neg_lo:[0,0,1] neg_hi:[0,0,1]
	v_pk_fma_f32 v[108:109], v[112:113], v[96:97], v[84:85] op_sel_hi:[1,0,1]
	v_pk_fma_f32 v[84:85], v[112:113], v[96:97], v[84:85] neg_lo:[0,0,1] neg_hi:[0,0,1]
	v_mov_b32_e32 v93, v91
	v_pk_fma_f32 v[90:91], v[110:111], v[94:95], v[124:125] op_sel_hi:[1,0,1]
	v_pk_fma_f32 v[94:95], v[110:111], v[94:95], v[124:125] neg_lo:[0,0,1] neg_hi:[0,0,1]
	v_mov_b32_e32 v85, v109
	v_pk_add_f32 v[88:89], v[88:89], v[144:145]
	v_pk_mul_f32 v[86:87], v[136:137], v[86:87] op_sel_hi:[1,0]
	s_wait_loadcnt 0x2
	v_dual_mov_b32 v95, v91 :: v_dual_mov_b32 v90, v103
	v_pk_mul_f32 v[126:127], v[116:117], v[100:101] op_sel:[1,1] op_sel_hi:[0,1]
	v_pk_add_f32 v[88:89], v[88:89], v[92:93]
	v_pk_fma_f32 v[92:93], v[114:115], v[98:99], v[86:87] op_sel_hi:[1,0,1]
	v_pk_fma_f32 v[86:87], v[114:115], v[98:99], v[86:87] neg_lo:[0,0,1] neg_hi:[0,0,1]
	v_pk_mul_f32 v[90:91], v[138:139], v[90:91] op_sel_hi:[1,0]
	s_delay_alu instid0(VALU_DEP_4) | instskip(SKIP_3) | instid1(VALU_DEP_4)
	v_pk_add_f32 v[88:89], v[88:89], v[94:95]
	v_pk_fma_f32 v[94:95], v[116:117], v[100:101], v[126:127] op_sel_hi:[1,0,1]
	v_mov_b32_e32 v87, v93
	v_pk_fma_f32 v[92:93], v[116:117], v[100:101], v[126:127] neg_lo:[0,0,1] neg_hi:[0,0,1]
	v_pk_add_f32 v[84:85], v[88:89], v[84:85]
	s_wait_loadcnt 0x1
	v_pk_mul_f32 v[88:89], v[120:121], v[104:105] op_sel:[1,1] op_sel_hi:[0,1]
	v_mov_b32_e32 v93, v95
	v_pk_fma_f32 v[94:95], v[118:119], v[102:103], v[90:91] op_sel_hi:[1,0,1]
	v_pk_fma_f32 v[90:91], v[118:119], v[102:103], v[90:91] neg_lo:[0,0,1] neg_hi:[0,0,1]
	v_pk_add_f32 v[84:85], v[84:85], v[86:87]
	v_mov_b32_e32 v86, v107
	v_pk_fma_f32 v[96:97], v[120:121], v[104:105], v[88:89] op_sel_hi:[1,0,1]
	v_mov_b32_e32 v91, v95
	v_pk_fma_f32 v[88:89], v[120:121], v[104:105], v[88:89] neg_lo:[0,0,1] neg_hi:[0,0,1]
	v_pk_add_f32 v[84:85], v[84:85], v[92:93]
	v_pk_mul_f32 v[86:87], v[140:141], v[86:87] op_sel_hi:[1,0]
	s_delay_alu instid0(VALU_DEP_2) | instskip(NEXT) | instid1(VALU_DEP_2)
	v_pk_add_f32 v[84:85], v[84:85], v[90:91]
	v_pk_fma_f32 v[90:91], v[122:123], v[106:107], v[86:87] op_sel_hi:[1,0,1]
	v_mov_b32_e32 v89, v97
	v_pk_fma_f32 v[86:87], v[122:123], v[106:107], v[86:87] neg_lo:[0,0,1] neg_hi:[0,0,1]
	s_delay_alu instid0(VALU_DEP_3) | instskip(NEXT) | instid1(VALU_DEP_3)
	v_mov_b32_e32 v87, v91
	v_pk_add_f32 v[84:85], v[84:85], v[88:89]
	s_delay_alu instid0(VALU_DEP_1) | instskip(SKIP_1) | instid1(VALU_DEP_1)
	v_pk_add_f32 v[84:85], v[84:85], v[86:87]
	s_wait_loadcnt 0x0
	v_pk_add_f32 v[84:85], v[132:133], v[84:85] neg_lo:[0,1] neg_hi:[0,1]
	scratch_store_b64 off, v[84:85], off offset:224
	s_wait_xcnt 0x0
	v_cmpx_lt_u32_e32 27, v0
	s_cbranch_execz .LBB104_205
; %bb.204:
	scratch_load_b64 v[84:85], off, off offset:216
	v_mov_b64_e32 v[86:87], 0
	scratch_store_b64 off, v[86:87], off offset:216
	s_wait_loadcnt 0x0
	ds_store_b64 v1, v[84:85]
.LBB104_205:
	s_wait_xcnt 0x0
	s_or_b32 exec_lo, exec_lo, s0
	s_wait_storecnt_dscnt 0x0
	s_barrier_signal -1
	s_barrier_wait -1
	s_clause 0x7
	scratch_load_b128 v[84:87], off, off offset:224
	scratch_load_b128 v[88:91], off, off offset:240
	;; [unrolled: 1-line block ×6, first 2 shown]
	scratch_load_b64 v[132:133], off, off offset:320
	scratch_load_b64 v[134:135], off, off offset:216
	v_mov_b32_e32 v7, 0
	ds_load_b128 v[108:111], v7 offset:592
	ds_load_b128 v[112:115], v7 offset:608
	;; [unrolled: 1-line block ×6, first 2 shown]
	ds_load_b64 v[136:137], v7 offset:656
	s_mov_b32 s0, exec_lo
	s_wait_dscnt 0x6
	v_dual_mov_b32 v138, v111 :: v_dual_mov_b32 v139, v110
	s_wait_dscnt 0x3
	v_dual_mov_b32 v140, v115 :: v_dual_mov_b32 v145, v122
	v_dual_mov_b32 v141, v114 :: v_dual_mov_b32 v142, v119
	;; [unrolled: 1-line block ×3, first 2 shown]
	s_wait_loadcnt_dscnt 0x702
	v_dual_mul_f32 v9, v124, v85 :: v_dual_mul_f32 v15, v125, v85
	v_dual_mul_f32 v17, v127, v87 :: v_dual_mul_f32 v11, v126, v87
	s_wait_loadcnt_dscnt 0x601
	s_delay_alu instid0(VALU_DEP_2) | instskip(NEXT) | instid1(VALU_DEP_3)
	v_dual_mul_f32 v13, v128, v89 :: v_dual_fmac_f32 v9, v125, v84
	v_dual_fma_f32 v15, v124, v84, -v15 :: v_dual_mul_f32 v19, v129, v89
	v_mul_f32_e32 v21, v131, v91
	s_wait_loadcnt 0x4
	v_dual_mov_b32 v84, v99 :: v_dual_fma_f32 v17, v126, v86, -v17
	v_dual_fmac_f32 v11, v127, v86 :: v_dual_add_f32 v9, 0, v9
	v_dual_add_f32 v15, 0, v15 :: v_dual_fmac_f32 v13, v129, v88
	v_dual_mul_f32 v147, v130, v91 :: v_dual_mul_f32 v149, v108, v93
	v_dual_mul_f32 v23, v109, v93 :: v_dual_mov_b32 v148, v95
	s_delay_alu instid0(VALU_DEP_4) | instskip(NEXT) | instid1(VALU_DEP_4)
	v_dual_fma_f32 v19, v128, v88, -v19 :: v_dual_add_f32 v9, v9, v11
	v_dual_add_f32 v11, v15, v17 :: v_dual_fma_f32 v146, v130, v90, -v21
	s_delay_alu instid0(VALU_DEP_4) | instskip(NEXT) | instid1(VALU_DEP_4)
	v_fmac_f32_e32 v147, v131, v90
	v_pk_mul_f32 v[88:89], v[138:139], v[148:149] op_sel_hi:[1,0]
	s_delay_alu instid0(VALU_DEP_3)
	v_dual_add_f32 v91, v9, v13 :: v_dual_add_f32 v90, v11, v19
	v_fmac_f32_e32 v149, v109, v92
	v_pk_mul_f32 v[150:151], v[112:113], v[96:97] op_sel:[1,1] op_sel_hi:[0,1]
	s_wait_loadcnt 0x3
	v_dual_mov_b32 v124, v103 :: v_dual_fma_f32 v148, v108, v92, -v23
	v_pk_fma_f32 v[92:93], v[110:111], v[94:95], v[88:89] op_sel_hi:[1,0,1]
	v_pk_add_f32 v[90:91], v[90:91], v[146:147]
	v_pk_fma_f32 v[88:89], v[110:111], v[94:95], v[88:89] neg_lo:[0,0,1] neg_hi:[0,0,1]
	v_pk_fma_f32 v[108:109], v[112:113], v[96:97], v[150:151] op_sel_hi:[1,0,1]
	v_pk_mul_f32 v[84:85], v[140:141], v[84:85] op_sel_hi:[1,0]
	v_mov_b32_e32 v89, v93
	v_pk_add_f32 v[90:91], v[90:91], v[148:149]
	v_pk_fma_f32 v[94:95], v[112:113], v[96:97], v[150:151] neg_lo:[0,0,1] neg_hi:[0,0,1]
	v_pk_mul_f32 v[86:87], v[116:117], v[100:101] op_sel:[1,1] op_sel_hi:[0,1]
	v_mov_b32_e32 v95, v109
	v_pk_fma_f32 v[96:97], v[114:115], v[98:99], v[84:85] op_sel_hi:[1,0,1]
	v_pk_add_f32 v[88:89], v[90:91], v[88:89]
	v_pk_fma_f32 v[84:85], v[114:115], v[98:99], v[84:85] neg_lo:[0,0,1] neg_hi:[0,0,1]
	v_pk_fma_f32 v[90:91], v[116:117], v[100:101], v[86:87] op_sel_hi:[1,0,1]
	v_pk_mul_f32 v[108:109], v[142:143], v[124:125] op_sel_hi:[1,0]
	s_wait_loadcnt 0x2
	v_dual_mov_b32 v85, v97 :: v_dual_mov_b32 v90, v107
	v_pk_add_f32 v[88:89], v[88:89], v[94:95]
	v_pk_fma_f32 v[86:87], v[116:117], v[100:101], v[86:87] neg_lo:[0,0,1] neg_hi:[0,0,1]
	v_pk_mul_f32 v[92:93], v[120:121], v[104:105] op_sel:[1,1] op_sel_hi:[0,1]
	v_pk_fma_f32 v[94:95], v[118:119], v[102:103], v[108:109] op_sel_hi:[1,0,1]
	v_mov_b32_e32 v87, v91
	v_pk_add_f32 v[84:85], v[88:89], v[84:85]
	v_pk_fma_f32 v[96:97], v[118:119], v[102:103], v[108:109] neg_lo:[0,0,1] neg_hi:[0,0,1]
	v_pk_fma_f32 v[88:89], v[120:121], v[104:105], v[92:93] op_sel_hi:[1,0,1]
	v_pk_mul_f32 v[90:91], v[144:145], v[90:91] op_sel_hi:[1,0]
	v_mov_b32_e32 v97, v95
	v_pk_add_f32 v[84:85], v[84:85], v[86:87]
	v_pk_fma_f32 v[86:87], v[120:121], v[104:105], v[92:93] neg_lo:[0,0,1] neg_hi:[0,0,1]
	v_mov_b32_e32 v87, v89
	v_pk_fma_f32 v[88:89], v[122:123], v[106:107], v[90:91] op_sel_hi:[1,0,1]
	s_wait_loadcnt_dscnt 0x100
	v_pk_mul_f32 v[92:93], v[136:137], v[132:133] op_sel:[1,1] op_sel_hi:[0,1]
	v_pk_add_f32 v[84:85], v[84:85], v[96:97]
	v_pk_fma_f32 v[90:91], v[122:123], v[106:107], v[90:91] neg_lo:[0,0,1] neg_hi:[0,0,1]
	v_mov_b32_e32 v91, v89
	s_delay_alu instid0(VALU_DEP_4) | instskip(NEXT) | instid1(VALU_DEP_4)
	v_pk_fma_f32 v[88:89], v[136:137], v[132:133], v[92:93] neg_lo:[0,0,1] neg_hi:[0,0,1]
	v_pk_add_f32 v[84:85], v[84:85], v[86:87]
	v_pk_fma_f32 v[86:87], v[136:137], v[132:133], v[92:93] op_sel_hi:[1,0,1]
	s_delay_alu instid0(VALU_DEP_2) | instskip(NEXT) | instid1(VALU_DEP_2)
	v_pk_add_f32 v[84:85], v[84:85], v[90:91]
	v_mov_b32_e32 v89, v87
	s_delay_alu instid0(VALU_DEP_1) | instskip(SKIP_1) | instid1(VALU_DEP_1)
	v_pk_add_f32 v[84:85], v[84:85], v[88:89]
	s_wait_loadcnt 0x0
	v_pk_add_f32 v[84:85], v[134:135], v[84:85] neg_lo:[0,1] neg_hi:[0,1]
	scratch_store_b64 off, v[84:85], off offset:216
	s_wait_xcnt 0x0
	v_cmpx_lt_u32_e32 26, v0
	s_cbranch_execz .LBB104_207
; %bb.206:
	scratch_load_b64 v[84:85], off, off offset:208
	v_mov_b64_e32 v[86:87], 0
	scratch_store_b64 off, v[86:87], off offset:208
	s_wait_loadcnt 0x0
	ds_store_b64 v1, v[84:85]
.LBB104_207:
	s_wait_xcnt 0x0
	s_or_b32 exec_lo, exec_lo, s0
	s_wait_storecnt_dscnt 0x0
	s_barrier_signal -1
	s_barrier_wait -1
	s_clause 0x7
	scratch_load_b128 v[84:87], off, off offset:216
	scratch_load_b128 v[88:91], off, off offset:232
	;; [unrolled: 1-line block ×7, first 2 shown]
	scratch_load_b64 v[140:141], off, off offset:208
	ds_load_2addr_b64 v[112:115], v7 offset0:75 offset1:76
	ds_load_2addr_b64 v[116:119], v7 offset0:77 offset1:78
	;; [unrolled: 1-line block ×7, first 2 shown]
	s_mov_b32 s0, exec_lo
	s_wait_dscnt 0x6
	v_dual_mov_b32 v142, v115 :: v_dual_mov_b32 v143, v114
	s_wait_dscnt 0x5
	v_dual_mov_b32 v144, v119 :: v_dual_mov_b32 v145, v118
	;; [unrolled: 2-line block ×4, first 2 shown]
	s_wait_loadcnt_dscnt 0x702
	v_dual_mul_f32 v7, v128, v85 :: v_dual_mul_f32 v9, v130, v87
	v_dual_mul_f32 v15, v129, v85 :: v_dual_mul_f32 v17, v131, v87
	s_wait_loadcnt_dscnt 0x601
	v_dual_mul_f32 v11, v132, v89 :: v_dual_mul_f32 v13, v134, v91
	s_delay_alu instid0(VALU_DEP_3) | instskip(NEXT) | instid1(VALU_DEP_3)
	v_dual_fmac_f32 v7, v129, v84 :: v_dual_fmac_f32 v9, v131, v86
	v_dual_fma_f32 v15, v128, v84, -v15 :: v_dual_fma_f32 v17, v130, v86, -v17
	v_dual_mul_f32 v19, v133, v89 :: v_dual_mul_f32 v21, v135, v91
	s_wait_loadcnt 0x4
	s_delay_alu instid0(VALU_DEP_3) | instskip(NEXT) | instid1(VALU_DEP_3)
	v_dual_add_f32 v7, 0, v7 :: v_dual_mov_b32 v86, v99
	v_dual_add_f32 v15, 0, v15 :: v_dual_fmac_f32 v11, v133, v88
	s_delay_alu instid0(VALU_DEP_2) | instskip(SKIP_2) | instid1(VALU_DEP_3)
	v_dual_fma_f32 v19, v132, v88, -v19 :: v_dual_add_f32 v7, v7, v9
	s_wait_dscnt 0x0
	v_dual_mul_f32 v151, v136, v93 :: v_dual_mul_f32 v153, v138, v95
	v_dual_add_f32 v9, v15, v17 :: v_dual_fma_f32 v15, v134, v90, -v21
	v_dual_mul_f32 v23, v137, v93 :: v_dual_mul_f32 v25, v139, v95
	s_delay_alu instid0(VALU_DEP_2) | instskip(NEXT) | instid1(VALU_DEP_4)
	v_dual_fmac_f32 v13, v135, v90 :: v_dual_add_f32 v9, v9, v19
	v_dual_add_f32 v7, v7, v11 :: v_dual_fmac_f32 v151, v137, v92
	v_pk_mul_f32 v[84:85], v[112:113], v[96:97] op_sel:[1,1] op_sel_hi:[0,1]
	s_wait_loadcnt 0x3
	v_pk_mul_f32 v[88:89], v[116:117], v[100:101] op_sel:[1,1] op_sel_hi:[0,1]
	v_dual_mov_b32 v90, v103 :: v_dual_fma_f32 v150, v136, v92, -v23
	v_dual_add_f32 v93, v7, v13 :: v_dual_add_f32 v92, v9, v15
	v_fmac_f32_e32 v153, v139, v94
	v_fma_f32 v152, v138, v94, -v25
	v_pk_fma_f32 v[94:95], v[112:113], v[96:97], v[84:85] op_sel_hi:[1,0,1]
	v_pk_mul_f32 v[86:87], v[142:143], v[86:87] op_sel_hi:[1,0]
	v_pk_add_f32 v[92:93], v[92:93], v[150:151]
	v_pk_fma_f32 v[84:85], v[112:113], v[96:97], v[84:85] neg_lo:[0,0,1] neg_hi:[0,0,1]
	v_pk_fma_f32 v[96:97], v[116:117], v[100:101], v[88:89] op_sel_hi:[1,0,1]
	v_pk_fma_f32 v[88:89], v[116:117], v[100:101], v[88:89] neg_lo:[0,0,1] neg_hi:[0,0,1]
	v_mov_b32_e32 v85, v95
	v_pk_fma_f32 v[94:95], v[114:115], v[98:99], v[86:87] op_sel_hi:[1,0,1]
	v_pk_fma_f32 v[86:87], v[114:115], v[98:99], v[86:87] neg_lo:[0,0,1] neg_hi:[0,0,1]
	v_mov_b32_e32 v89, v97
	v_pk_add_f32 v[92:93], v[92:93], v[152:153]
	v_pk_mul_f32 v[90:91], v[144:145], v[90:91] op_sel_hi:[1,0]
	v_mov_b32_e32 v87, v95
	s_wait_loadcnt 0x2
	v_pk_mul_f32 v[128:129], v[120:121], v[104:105] op_sel:[1,1] op_sel_hi:[0,1]
	v_pk_add_f32 v[84:85], v[92:93], v[84:85]
	v_mov_b32_e32 v92, v107
	v_pk_fma_f32 v[94:95], v[118:119], v[102:103], v[90:91] op_sel_hi:[1,0,1]
	v_pk_fma_f32 v[90:91], v[118:119], v[102:103], v[90:91] neg_lo:[0,0,1] neg_hi:[0,0,1]
	s_delay_alu instid0(VALU_DEP_4)
	v_pk_add_f32 v[84:85], v[84:85], v[86:87]
	v_pk_fma_f32 v[86:87], v[120:121], v[104:105], v[128:129] op_sel_hi:[1,0,1]
	v_pk_mul_f32 v[92:93], v[146:147], v[92:93] op_sel_hi:[1,0]
	v_mov_b32_e32 v91, v95
	v_pk_fma_f32 v[94:95], v[120:121], v[104:105], v[128:129] neg_lo:[0,0,1] neg_hi:[0,0,1]
	v_pk_add_f32 v[84:85], v[84:85], v[88:89]
	v_mov_b32_e32 v95, v87
	v_pk_fma_f32 v[86:87], v[122:123], v[106:107], v[92:93] op_sel_hi:[1,0,1]
	s_wait_loadcnt 0x1
	v_pk_mul_f32 v[88:89], v[124:125], v[108:109] op_sel:[1,1] op_sel_hi:[0,1]
	v_mov_b32_e32 v86, v111
	v_pk_add_f32 v[84:85], v[84:85], v[90:91]
	v_pk_fma_f32 v[92:93], v[122:123], v[106:107], v[92:93] neg_lo:[0,0,1] neg_hi:[0,0,1]
	v_mov_b32_e32 v93, v87
	v_pk_fma_f32 v[90:91], v[124:125], v[108:109], v[88:89] op_sel_hi:[1,0,1]
	v_pk_mul_f32 v[86:87], v[148:149], v[86:87] op_sel_hi:[1,0]
	v_pk_add_f32 v[84:85], v[84:85], v[94:95]
	v_pk_fma_f32 v[88:89], v[124:125], v[108:109], v[88:89] neg_lo:[0,0,1] neg_hi:[0,0,1]
	s_delay_alu instid0(VALU_DEP_4) | instskip(NEXT) | instid1(VALU_DEP_4)
	v_mov_b32_e32 v89, v91
	v_pk_fma_f32 v[90:91], v[126:127], v[110:111], v[86:87] op_sel_hi:[1,0,1]
	s_delay_alu instid0(VALU_DEP_4) | instskip(SKIP_1) | instid1(VALU_DEP_3)
	v_pk_add_f32 v[84:85], v[84:85], v[92:93]
	v_pk_fma_f32 v[86:87], v[126:127], v[110:111], v[86:87] neg_lo:[0,0,1] neg_hi:[0,0,1]
	v_mov_b32_e32 v87, v91
	s_delay_alu instid0(VALU_DEP_3) | instskip(NEXT) | instid1(VALU_DEP_1)
	v_pk_add_f32 v[84:85], v[84:85], v[88:89]
	v_pk_add_f32 v[84:85], v[84:85], v[86:87]
	s_wait_loadcnt 0x0
	s_delay_alu instid0(VALU_DEP_1)
	v_pk_add_f32 v[84:85], v[140:141], v[84:85] neg_lo:[0,1] neg_hi:[0,1]
	scratch_store_b64 off, v[84:85], off offset:208
	s_wait_xcnt 0x0
	v_cmpx_lt_u32_e32 25, v0
	s_cbranch_execz .LBB104_209
; %bb.208:
	scratch_load_b64 v[84:85], off, off offset:200
	v_mov_b64_e32 v[86:87], 0
	scratch_store_b64 off, v[86:87], off offset:200
	s_wait_loadcnt 0x0
	ds_store_b64 v1, v[84:85]
.LBB104_209:
	s_wait_xcnt 0x0
	s_or_b32 exec_lo, exec_lo, s0
	s_wait_storecnt_dscnt 0x0
	s_barrier_signal -1
	s_barrier_wait -1
	s_clause 0x8
	scratch_load_b128 v[84:87], off, off offset:208
	scratch_load_b128 v[88:91], off, off offset:224
	;; [unrolled: 1-line block ×7, first 2 shown]
	scratch_load_b64 v[140:141], off, off offset:320
	scratch_load_b64 v[142:143], off, off offset:200
	v_mov_b32_e32 v7, 0
	ds_load_b128 v[112:115], v7 offset:592
	ds_load_b128 v[116:119], v7 offset:608
	ds_load_b128 v[120:123], v7 offset:624
	ds_load_b128 v[124:127], v7 offset:640
	ds_load_b128 v[128:131], v7 offset:544
	ds_load_b128 v[132:135], v7 offset:560
	ds_load_b128 v[136:139], v7 offset:576
	ds_load_b64 v[144:145], v7 offset:656
	s_mov_b32 s0, exec_lo
	s_wait_dscnt 0x7
	v_dual_mov_b32 v146, v115 :: v_dual_mov_b32 v147, v114
	s_wait_dscnt 0x4
	v_dual_mov_b32 v148, v119 :: v_dual_mov_b32 v153, v126
	v_dual_mov_b32 v149, v118 :: v_dual_mov_b32 v150, v123
	;; [unrolled: 1-line block ×3, first 2 shown]
	s_wait_loadcnt_dscnt 0x803
	v_dual_mul_f32 v9, v128, v85 :: v_dual_mul_f32 v19, v129, v85
	v_dual_mul_f32 v21, v131, v87 :: v_dual_mul_f32 v11, v130, v87
	s_wait_loadcnt_dscnt 0x702
	v_mul_f32_e32 v13, v132, v89
	s_wait_loadcnt 0x5
	v_dual_mul_f32 v31, v113, v97 :: v_dual_fma_f32 v19, v128, v84, -v19
	v_dual_fmac_f32 v9, v129, v84 :: v_dual_mov_b32 v84, v99
	v_dual_mul_f32 v23, v133, v89 :: v_dual_mul_f32 v25, v135, v91
	v_dual_fmac_f32 v11, v131, v86 :: v_dual_fma_f32 v21, v130, v86, -v21
	s_delay_alu instid0(VALU_DEP_3) | instskip(SKIP_3) | instid1(VALU_DEP_3)
	v_dual_add_f32 v9, 0, v9 :: v_dual_add_f32 v19, 0, v19
	s_wait_dscnt 0x1
	v_dual_mul_f32 v15, v134, v91 :: v_dual_mul_f32 v17, v136, v93
	v_dual_fmac_f32 v13, v133, v88 :: v_dual_fma_f32 v23, v132, v88, -v23
	v_dual_add_f32 v9, v9, v11 :: v_dual_add_f32 v11, v19, v21
	v_dual_mul_f32 v27, v137, v93 :: v_dual_mul_f32 v29, v139, v95
	s_wait_loadcnt 0x4
	v_dual_mov_b32 v88, v103 :: v_dual_fma_f32 v19, v134, v90, -v25
	s_delay_alu instid0(VALU_DEP_3) | instskip(SKIP_2) | instid1(VALU_DEP_3)
	v_dual_fmac_f32 v15, v135, v90 :: v_dual_add_f32 v9, v9, v13
	v_dual_add_f32 v11, v11, v23 :: v_dual_fmac_f32 v17, v137, v92
	v_dual_mul_f32 v155, v138, v95 :: v_dual_mul_f32 v157, v112, v97
	v_dual_fma_f32 v13, v136, v92, -v27 :: v_dual_add_f32 v9, v9, v15
	s_delay_alu instid0(VALU_DEP_3) | instskip(NEXT) | instid1(VALU_DEP_3)
	v_dual_add_f32 v11, v11, v19 :: v_dual_fma_f32 v154, v138, v94, -v29
	v_fmac_f32_e32 v155, v139, v94
	v_pk_mul_f32 v[84:85], v[146:147], v[84:85] op_sel_hi:[1,0]
	s_delay_alu instid0(VALU_DEP_4) | instskip(NEXT) | instid1(VALU_DEP_4)
	v_add_f32_e32 v93, v9, v17
	v_dual_add_f32 v92, v11, v13 :: v_dual_fmac_f32 v157, v113, v96
	v_pk_mul_f32 v[86:87], v[116:117], v[100:101] op_sel:[1,1] op_sel_hi:[0,1]
	s_wait_loadcnt 0x3
	v_dual_mov_b32 v94, v107 :: v_dual_fma_f32 v156, v112, v96, -v31
	v_pk_fma_f32 v[96:97], v[114:115], v[98:99], v[84:85] op_sel_hi:[1,0,1]
	v_pk_add_f32 v[92:93], v[92:93], v[154:155]
	v_pk_fma_f32 v[84:85], v[114:115], v[98:99], v[84:85] neg_lo:[0,0,1] neg_hi:[0,0,1]
	v_pk_fma_f32 v[112:113], v[116:117], v[100:101], v[86:87] op_sel_hi:[1,0,1]
	v_pk_mul_f32 v[88:89], v[148:149], v[88:89] op_sel_hi:[1,0]
	v_mov_b32_e32 v85, v97
	v_pk_add_f32 v[92:93], v[92:93], v[156:157]
	v_pk_fma_f32 v[86:87], v[116:117], v[100:101], v[86:87] neg_lo:[0,0,1] neg_hi:[0,0,1]
	v_pk_mul_f32 v[90:91], v[120:121], v[104:105] op_sel:[1,1] op_sel_hi:[0,1]
	v_mov_b32_e32 v87, v113
	v_pk_fma_f32 v[98:99], v[118:119], v[102:103], v[88:89] op_sel_hi:[1,0,1]
	v_pk_add_f32 v[84:85], v[92:93], v[84:85]
	v_pk_fma_f32 v[88:89], v[118:119], v[102:103], v[88:89] neg_lo:[0,0,1] neg_hi:[0,0,1]
	v_pk_fma_f32 v[92:93], v[120:121], v[104:105], v[90:91] op_sel_hi:[1,0,1]
	v_pk_mul_f32 v[94:95], v[150:151], v[94:95] op_sel_hi:[1,0]
	v_mov_b32_e32 v89, v99
	v_pk_add_f32 v[84:85], v[84:85], v[86:87]
	v_pk_fma_f32 v[90:91], v[120:121], v[104:105], v[90:91] neg_lo:[0,0,1] neg_hi:[0,0,1]
	s_wait_loadcnt 0x2
	v_pk_mul_f32 v[96:97], v[124:125], v[108:109] op_sel:[1,1] op_sel_hi:[0,1]
	v_dual_mov_b32 v86, v111 :: v_dual_mov_b32 v91, v93
	v_pk_fma_f32 v[92:93], v[122:123], v[106:107], v[94:95] op_sel_hi:[1,0,1]
	v_pk_add_f32 v[84:85], v[84:85], v[88:89]
	v_pk_fma_f32 v[94:95], v[122:123], v[106:107], v[94:95] neg_lo:[0,0,1] neg_hi:[0,0,1]
	v_pk_fma_f32 v[88:89], v[124:125], v[108:109], v[96:97] op_sel_hi:[1,0,1]
	v_pk_mul_f32 v[86:87], v[152:153], v[86:87] op_sel_hi:[1,0]
	v_mov_b32_e32 v95, v93
	v_pk_add_f32 v[84:85], v[84:85], v[90:91]
	v_pk_fma_f32 v[90:91], v[124:125], v[108:109], v[96:97] neg_lo:[0,0,1] neg_hi:[0,0,1]
	v_mov_b32_e32 v91, v89
	v_pk_fma_f32 v[88:89], v[126:127], v[110:111], v[86:87] op_sel_hi:[1,0,1]
	s_wait_loadcnt_dscnt 0x100
	v_pk_mul_f32 v[92:93], v[144:145], v[140:141] op_sel:[1,1] op_sel_hi:[0,1]
	v_pk_add_f32 v[84:85], v[84:85], v[94:95]
	v_pk_fma_f32 v[86:87], v[126:127], v[110:111], v[86:87] neg_lo:[0,0,1] neg_hi:[0,0,1]
	v_mov_b32_e32 v87, v89
	s_delay_alu instid0(VALU_DEP_4) | instskip(NEXT) | instid1(VALU_DEP_4)
	v_pk_fma_f32 v[88:89], v[144:145], v[140:141], v[92:93] op_sel_hi:[1,0,1]
	v_pk_add_f32 v[84:85], v[84:85], v[90:91]
	v_pk_fma_f32 v[90:91], v[144:145], v[140:141], v[92:93] neg_lo:[0,0,1] neg_hi:[0,0,1]
	s_delay_alu instid0(VALU_DEP_3) | instskip(NEXT) | instid1(VALU_DEP_3)
	v_mov_b32_e32 v91, v89
	v_pk_add_f32 v[84:85], v[84:85], v[86:87]
	s_delay_alu instid0(VALU_DEP_1) | instskip(SKIP_1) | instid1(VALU_DEP_1)
	v_pk_add_f32 v[84:85], v[84:85], v[90:91]
	s_wait_loadcnt 0x0
	v_pk_add_f32 v[84:85], v[142:143], v[84:85] neg_lo:[0,1] neg_hi:[0,1]
	scratch_store_b64 off, v[84:85], off offset:200
	s_wait_xcnt 0x0
	v_cmpx_lt_u32_e32 24, v0
	s_cbranch_execz .LBB104_211
; %bb.210:
	scratch_load_b64 v[84:85], off, off offset:192
	v_mov_b64_e32 v[86:87], 0
	scratch_store_b64 off, v[86:87], off offset:192
	s_wait_loadcnt 0x0
	ds_store_b64 v1, v[84:85]
.LBB104_211:
	s_wait_xcnt 0x0
	s_or_b32 exec_lo, exec_lo, s0
	s_wait_storecnt_dscnt 0x0
	s_barrier_signal -1
	s_barrier_wait -1
	s_clause 0x8
	scratch_load_b128 v[84:87], off, off offset:200
	scratch_load_b128 v[88:91], off, off offset:216
	;; [unrolled: 1-line block ×8, first 2 shown]
	scratch_load_b64 v[148:149], off, off offset:192
	ds_load_2addr_b64 v[116:119], v7 offset0:75 offset1:76
	ds_load_2addr_b64 v[120:123], v7 offset0:77 offset1:78
	;; [unrolled: 1-line block ×8, first 2 shown]
	s_mov_b32 s0, exec_lo
	s_wait_dscnt 0x7
	v_dual_mov_b32 v150, v119 :: v_dual_mov_b32 v151, v118
	s_wait_dscnt 0x6
	v_dual_mov_b32 v152, v123 :: v_dual_mov_b32 v153, v122
	;; [unrolled: 2-line block ×4, first 2 shown]
	s_wait_loadcnt_dscnt 0x803
	v_dual_mul_f32 v7, v132, v85 :: v_dual_mul_f32 v9, v134, v87
	v_dual_mul_f32 v19, v133, v85 :: v_dual_mul_f32 v21, v135, v87
	s_wait_loadcnt_dscnt 0x702
	v_dual_mul_f32 v11, v136, v89 :: v_dual_mul_f32 v13, v138, v91
	s_delay_alu instid0(VALU_DEP_3) | instskip(SKIP_3) | instid1(VALU_DEP_3)
	v_dual_fmac_f32 v7, v133, v84 :: v_dual_fmac_f32 v9, v135, v86
	s_wait_loadcnt_dscnt 0x500
	v_dual_fma_f32 v19, v132, v84, -v19 :: v_dual_mul_f32 v31, v145, v97
	v_dual_mul_f32 v23, v137, v89 :: v_dual_mul_f32 v25, v139, v91
	v_dual_fma_f32 v21, v134, v86, -v21 :: v_dual_add_f32 v7, 0, v7
	s_delay_alu instid0(VALU_DEP_3) | instskip(SKIP_1) | instid1(VALU_DEP_4)
	v_dual_add_f32 v19, 0, v19 :: v_dual_fmac_f32 v11, v137, v88
	v_dual_mul_f32 v15, v140, v93 :: v_dual_mul_f32 v17, v142, v95
	v_dual_mul_f32 v33, v147, v99 :: v_dual_fma_f32 v23, v136, v88, -v23
	s_delay_alu instid0(VALU_DEP_4) | instskip(NEXT) | instid1(VALU_DEP_3)
	v_add_f32_e32 v7, v7, v9
	v_dual_add_f32 v9, v19, v21 :: v_dual_fmac_f32 v15, v141, v92
	v_dual_mul_f32 v27, v141, v93 :: v_dual_mul_f32 v29, v143, v95
	s_delay_alu instid0(VALU_DEP_2) | instskip(NEXT) | instid1(VALU_DEP_4)
	v_dual_fmac_f32 v13, v139, v90 :: v_dual_add_f32 v9, v9, v23
	v_dual_fma_f32 v19, v138, v90, -v25 :: v_dual_add_f32 v7, v7, v11
	s_wait_loadcnt 0x4
	s_delay_alu instid0(VALU_DEP_3) | instskip(SKIP_1) | instid1(VALU_DEP_3)
	v_dual_fma_f32 v11, v140, v92, -v27 :: v_dual_mov_b32 v86, v103
	v_dual_mul_f32 v159, v144, v97 :: v_dual_mul_f32 v161, v146, v99
	v_dual_add_f32 v7, v7, v13 :: v_dual_fma_f32 v13, v142, v94, -v29
	v_dual_add_f32 v9, v9, v19 :: v_dual_fmac_f32 v17, v143, v94
	v_pk_mul_f32 v[84:85], v[116:117], v[100:101] op_sel:[1,1] op_sel_hi:[0,1]
	s_delay_alu instid0(VALU_DEP_3) | instskip(SKIP_1) | instid1(VALU_DEP_3)
	v_dual_add_f32 v7, v7, v15 :: v_dual_fmac_f32 v159, v145, v96
	s_wait_loadcnt 0x3
	v_dual_add_f32 v9, v9, v11 :: v_dual_mov_b32 v90, v107
	s_delay_alu instid0(VALU_DEP_2) | instskip(NEXT) | instid1(VALU_DEP_2)
	v_dual_fma_f32 v158, v144, v96, -v31 :: v_dual_add_f32 v93, v7, v17
	v_dual_fma_f32 v160, v146, v98, -v33 :: v_dual_add_f32 v92, v9, v13
	v_fmac_f32_e32 v161, v147, v98
	v_pk_fma_f32 v[94:95], v[116:117], v[100:101], v[84:85] op_sel_hi:[1,0,1]
	v_pk_mul_f32 v[86:87], v[150:151], v[86:87] op_sel_hi:[1,0]
	v_pk_fma_f32 v[84:85], v[116:117], v[100:101], v[84:85] neg_lo:[0,0,1] neg_hi:[0,0,1]
	v_pk_add_f32 v[92:93], v[92:93], v[158:159]
	v_pk_mul_f32 v[88:89], v[120:121], v[104:105] op_sel:[1,1] op_sel_hi:[0,1]
	v_mov_b32_e32 v85, v95
	v_pk_fma_f32 v[94:95], v[118:119], v[102:103], v[86:87] op_sel_hi:[1,0,1]
	v_pk_fma_f32 v[86:87], v[118:119], v[102:103], v[86:87] neg_lo:[0,0,1] neg_hi:[0,0,1]
	v_pk_add_f32 v[92:93], v[92:93], v[160:161]
	v_pk_fma_f32 v[98:99], v[120:121], v[104:105], v[88:89] op_sel_hi:[1,0,1]
	v_pk_mul_f32 v[90:91], v[152:153], v[90:91] op_sel_hi:[1,0]
	v_mov_b32_e32 v87, v95
	s_wait_loadcnt 0x2
	v_pk_mul_f32 v[96:97], v[124:125], v[108:109] op_sel:[1,1] op_sel_hi:[0,1]
	v_pk_add_f32 v[84:85], v[92:93], v[84:85]
	v_mov_b32_e32 v92, v111
	v_pk_fma_f32 v[88:89], v[120:121], v[104:105], v[88:89] neg_lo:[0,0,1] neg_hi:[0,0,1]
	v_mov_b32_e32 v89, v99
	v_pk_fma_f32 v[94:95], v[122:123], v[106:107], v[90:91] op_sel_hi:[1,0,1]
	v_pk_add_f32 v[84:85], v[84:85], v[86:87]
	v_pk_fma_f32 v[86:87], v[124:125], v[108:109], v[96:97] op_sel_hi:[1,0,1]
	v_pk_mul_f32 v[92:93], v[154:155], v[92:93] op_sel_hi:[1,0]
	v_pk_fma_f32 v[90:91], v[122:123], v[106:107], v[90:91] neg_lo:[0,0,1] neg_hi:[0,0,1]
	v_mov_b32_e32 v91, v95
	v_pk_add_f32 v[84:85], v[84:85], v[88:89]
	v_pk_fma_f32 v[94:95], v[124:125], v[108:109], v[96:97] neg_lo:[0,0,1] neg_hi:[0,0,1]
	v_mov_b32_e32 v95, v87
	v_pk_fma_f32 v[86:87], v[126:127], v[110:111], v[92:93] op_sel_hi:[1,0,1]
	s_wait_loadcnt 0x1
	v_pk_mul_f32 v[88:89], v[128:129], v[112:113] op_sel:[1,1] op_sel_hi:[0,1]
	v_pk_add_f32 v[84:85], v[84:85], v[90:91]
	v_mov_b32_e32 v86, v115
	v_pk_fma_f32 v[92:93], v[126:127], v[110:111], v[92:93] neg_lo:[0,0,1] neg_hi:[0,0,1]
	v_mov_b32_e32 v93, v87
	v_pk_fma_f32 v[90:91], v[128:129], v[112:113], v[88:89] op_sel_hi:[1,0,1]
	v_pk_add_f32 v[84:85], v[84:85], v[94:95]
	v_pk_mul_f32 v[86:87], v[156:157], v[86:87] op_sel_hi:[1,0]
	v_pk_fma_f32 v[88:89], v[128:129], v[112:113], v[88:89] neg_lo:[0,0,1] neg_hi:[0,0,1]
	s_delay_alu instid0(VALU_DEP_4) | instskip(NEXT) | instid1(VALU_DEP_4)
	v_mov_b32_e32 v89, v91
	v_pk_add_f32 v[84:85], v[84:85], v[92:93]
	s_delay_alu instid0(VALU_DEP_4) | instskip(SKIP_1) | instid1(VALU_DEP_2)
	v_pk_fma_f32 v[90:91], v[130:131], v[114:115], v[86:87] op_sel_hi:[1,0,1]
	v_pk_fma_f32 v[86:87], v[130:131], v[114:115], v[86:87] neg_lo:[0,0,1] neg_hi:[0,0,1]
	v_mov_b32_e32 v87, v91
	s_delay_alu instid0(VALU_DEP_4) | instskip(NEXT) | instid1(VALU_DEP_1)
	v_pk_add_f32 v[84:85], v[84:85], v[88:89]
	v_pk_add_f32 v[84:85], v[84:85], v[86:87]
	s_wait_loadcnt 0x0
	s_delay_alu instid0(VALU_DEP_1)
	v_pk_add_f32 v[84:85], v[148:149], v[84:85] neg_lo:[0,1] neg_hi:[0,1]
	scratch_store_b64 off, v[84:85], off offset:192
	s_wait_xcnt 0x0
	v_cmpx_lt_u32_e32 23, v0
	s_cbranch_execz .LBB104_213
; %bb.212:
	scratch_load_b64 v[84:85], off, off offset:184
	v_mov_b64_e32 v[86:87], 0
	scratch_store_b64 off, v[86:87], off offset:184
	s_wait_loadcnt 0x0
	ds_store_b64 v1, v[84:85]
.LBB104_213:
	s_wait_xcnt 0x0
	s_or_b32 exec_lo, exec_lo, s0
	s_wait_storecnt_dscnt 0x0
	s_barrier_signal -1
	s_barrier_wait -1
	s_clause 0x9
	scratch_load_b128 v[84:87], off, off offset:192
	scratch_load_b128 v[88:91], off, off offset:208
	;; [unrolled: 1-line block ×8, first 2 shown]
	scratch_load_b64 v[148:149], off, off offset:320
	scratch_load_b64 v[150:151], off, off offset:184
	v_mov_b32_e32 v7, 0
	ds_load_b128 v[116:119], v7 offset:592
	ds_load_b128 v[120:123], v7 offset:608
	;; [unrolled: 1-line block ×8, first 2 shown]
	ds_load_b64 v[152:153], v7 offset:656
	s_mov_b32 s0, exec_lo
	s_wait_dscnt 0x8
	v_dual_mov_b32 v154, v119 :: v_dual_mov_b32 v155, v118
	s_wait_dscnt 0x5
	v_dual_mov_b32 v156, v123 :: v_dual_mov_b32 v161, v130
	v_dual_mov_b32 v157, v122 :: v_dual_mov_b32 v158, v127
	;; [unrolled: 1-line block ×3, first 2 shown]
	s_wait_loadcnt_dscnt 0x904
	v_dual_mul_f32 v9, v132, v85 :: v_dual_mul_f32 v23, v133, v85
	v_dual_mul_f32 v25, v135, v87 :: v_dual_mul_f32 v11, v134, v87
	s_wait_loadcnt_dscnt 0x803
	v_mul_f32_e32 v13, v136, v89
	s_wait_loadcnt_dscnt 0x601
	v_dual_mul_f32 v35, v145, v97 :: v_dual_fma_f32 v23, v132, v84, -v23
	v_dual_fmac_f32 v9, v133, v84 :: v_dual_mul_f32 v37, v147, v99
	v_dual_mul_f32 v27, v137, v89 :: v_dual_mul_f32 v29, v139, v91
	v_dual_fmac_f32 v11, v135, v86 :: v_dual_fma_f32 v25, v134, v86, -v25
	s_delay_alu instid0(VALU_DEP_3)
	v_dual_add_f32 v9, 0, v9 :: v_dual_add_f32 v23, 0, v23
	v_dual_mul_f32 v15, v138, v91 :: v_dual_mul_f32 v17, v140, v93
	s_wait_loadcnt 0x5
	v_dual_mul_f32 v39, v117, v101 :: v_dual_fma_f32 v27, v136, v88, -v27
	v_fmac_f32_e32 v13, v137, v88
	v_dual_add_f32 v9, v9, v11 :: v_dual_mov_b32 v84, v103
	v_add_f32_e32 v11, v23, v25
	v_dual_mul_f32 v31, v141, v93 :: v_dual_mul_f32 v33, v143, v95
	v_dual_fmac_f32 v15, v139, v90 :: v_dual_fma_f32 v23, v138, v90, -v29
	s_delay_alu instid0(VALU_DEP_3) | instskip(SKIP_1) | instid1(VALU_DEP_4)
	v_dual_add_f32 v9, v9, v13 :: v_dual_add_f32 v11, v11, v27
	v_dual_mul_f32 v19, v142, v95 :: v_dual_mul_f32 v21, v144, v97
	v_dual_fmac_f32 v17, v141, v92 :: v_dual_fma_f32 v13, v140, v92, -v31
	s_wait_loadcnt 0x4
	s_delay_alu instid0(VALU_DEP_3) | instskip(SKIP_1) | instid1(VALU_DEP_2)
	v_dual_add_f32 v9, v9, v15 :: v_dual_mov_b32 v88, v107
	v_dual_add_f32 v11, v11, v23 :: v_dual_fma_f32 v15, v142, v94, -v33
	v_dual_fmac_f32 v19, v143, v94 :: v_dual_add_f32 v9, v9, v17
	v_dual_mul_f32 v163, v146, v99 :: v_dual_mul_f32 v165, v116, v101
	s_delay_alu instid0(VALU_DEP_3) | instskip(NEXT) | instid1(VALU_DEP_3)
	v_dual_add_f32 v11, v11, v13 :: v_dual_fmac_f32 v21, v145, v96
	v_dual_fma_f32 v13, v144, v96, -v35 :: v_dual_add_f32 v9, v9, v19
	s_delay_alu instid0(VALU_DEP_3) | instskip(NEXT) | instid1(VALU_DEP_3)
	v_fmac_f32_e32 v163, v147, v98
	v_dual_add_f32 v11, v11, v15 :: v_dual_fma_f32 v162, v146, v98, -v37
	v_pk_mul_f32 v[84:85], v[154:155], v[84:85] op_sel_hi:[1,0]
	s_delay_alu instid0(VALU_DEP_4) | instskip(SKIP_1) | instid1(VALU_DEP_4)
	v_add_f32_e32 v93, v9, v21
	v_pk_mul_f32 v[86:87], v[120:121], v[104:105] op_sel:[1,1] op_sel_hi:[0,1]
	v_dual_add_f32 v92, v11, v13 :: v_dual_fmac_f32 v165, v117, v100
	s_wait_loadcnt 0x3
	v_dual_mov_b32 v94, v111 :: v_dual_fma_f32 v164, v116, v100, -v39
	v_pk_fma_f32 v[96:97], v[118:119], v[102:103], v[84:85] op_sel_hi:[1,0,1]
	s_delay_alu instid0(VALU_DEP_3)
	v_pk_add_f32 v[92:93], v[92:93], v[162:163]
	v_pk_fma_f32 v[84:85], v[118:119], v[102:103], v[84:85] neg_lo:[0,0,1] neg_hi:[0,0,1]
	v_pk_fma_f32 v[98:99], v[120:121], v[104:105], v[86:87] op_sel_hi:[1,0,1]
	v_pk_mul_f32 v[88:89], v[156:157], v[88:89] op_sel_hi:[1,0]
	v_mov_b32_e32 v85, v97
	v_pk_add_f32 v[92:93], v[92:93], v[164:165]
	v_pk_fma_f32 v[86:87], v[120:121], v[104:105], v[86:87] neg_lo:[0,0,1] neg_hi:[0,0,1]
	v_pk_mul_f32 v[90:91], v[124:125], v[108:109] op_sel:[1,1] op_sel_hi:[0,1]
	v_mov_b32_e32 v87, v99
	v_pk_fma_f32 v[98:99], v[122:123], v[106:107], v[88:89] op_sel_hi:[1,0,1]
	v_pk_add_f32 v[84:85], v[92:93], v[84:85]
	v_pk_fma_f32 v[88:89], v[122:123], v[106:107], v[88:89] neg_lo:[0,0,1] neg_hi:[0,0,1]
	v_pk_fma_f32 v[92:93], v[124:125], v[108:109], v[90:91] op_sel_hi:[1,0,1]
	v_pk_mul_f32 v[94:95], v[158:159], v[94:95] op_sel_hi:[1,0]
	v_mov_b32_e32 v89, v99
	v_pk_add_f32 v[84:85], v[84:85], v[86:87]
	v_pk_fma_f32 v[90:91], v[124:125], v[108:109], v[90:91] neg_lo:[0,0,1] neg_hi:[0,0,1]
	s_wait_loadcnt 0x2
	v_pk_mul_f32 v[96:97], v[128:129], v[112:113] op_sel:[1,1] op_sel_hi:[0,1]
	v_dual_mov_b32 v86, v115 :: v_dual_mov_b32 v91, v93
	v_pk_fma_f32 v[92:93], v[126:127], v[110:111], v[94:95] op_sel_hi:[1,0,1]
	v_pk_add_f32 v[84:85], v[84:85], v[88:89]
	v_pk_fma_f32 v[94:95], v[126:127], v[110:111], v[94:95] neg_lo:[0,0,1] neg_hi:[0,0,1]
	v_pk_fma_f32 v[88:89], v[128:129], v[112:113], v[96:97] op_sel_hi:[1,0,1]
	v_pk_mul_f32 v[86:87], v[160:161], v[86:87] op_sel_hi:[1,0]
	v_mov_b32_e32 v95, v93
	v_pk_add_f32 v[84:85], v[84:85], v[90:91]
	v_pk_fma_f32 v[90:91], v[128:129], v[112:113], v[96:97] neg_lo:[0,0,1] neg_hi:[0,0,1]
	v_mov_b32_e32 v91, v89
	v_pk_fma_f32 v[88:89], v[130:131], v[114:115], v[86:87] op_sel_hi:[1,0,1]
	s_wait_loadcnt_dscnt 0x100
	v_pk_mul_f32 v[92:93], v[152:153], v[148:149] op_sel:[1,1] op_sel_hi:[0,1]
	v_pk_add_f32 v[84:85], v[84:85], v[94:95]
	v_pk_fma_f32 v[86:87], v[130:131], v[114:115], v[86:87] neg_lo:[0,0,1] neg_hi:[0,0,1]
	v_mov_b32_e32 v87, v89
	s_delay_alu instid0(VALU_DEP_4) | instskip(NEXT) | instid1(VALU_DEP_4)
	v_pk_fma_f32 v[88:89], v[152:153], v[148:149], v[92:93] op_sel_hi:[1,0,1]
	v_pk_add_f32 v[84:85], v[84:85], v[90:91]
	v_pk_fma_f32 v[90:91], v[152:153], v[148:149], v[92:93] neg_lo:[0,0,1] neg_hi:[0,0,1]
	s_delay_alu instid0(VALU_DEP_3) | instskip(NEXT) | instid1(VALU_DEP_3)
	v_mov_b32_e32 v91, v89
	v_pk_add_f32 v[84:85], v[84:85], v[86:87]
	s_delay_alu instid0(VALU_DEP_1) | instskip(SKIP_1) | instid1(VALU_DEP_1)
	v_pk_add_f32 v[84:85], v[84:85], v[90:91]
	s_wait_loadcnt 0x0
	v_pk_add_f32 v[84:85], v[150:151], v[84:85] neg_lo:[0,1] neg_hi:[0,1]
	scratch_store_b64 off, v[84:85], off offset:184
	s_wait_xcnt 0x0
	v_cmpx_lt_u32_e32 22, v0
	s_cbranch_execz .LBB104_215
; %bb.214:
	scratch_load_b64 v[84:85], off, off offset:176
	v_mov_b64_e32 v[86:87], 0
	scratch_store_b64 off, v[86:87], off offset:176
	s_wait_loadcnt 0x0
	ds_store_b64 v1, v[84:85]
.LBB104_215:
	s_wait_xcnt 0x0
	s_or_b32 exec_lo, exec_lo, s0
	s_wait_storecnt_dscnt 0x0
	s_barrier_signal -1
	s_barrier_wait -1
	s_clause 0x9
	scratch_load_b128 v[84:87], off, off offset:184
	scratch_load_b128 v[88:91], off, off offset:200
	;; [unrolled: 1-line block ×9, first 2 shown]
	scratch_load_b64 v[156:157], off, off offset:176
	ds_load_2addr_b64 v[120:123], v7 offset0:75 offset1:76
	ds_load_2addr_b64 v[124:127], v7 offset0:77 offset1:78
	;; [unrolled: 1-line block ×9, first 2 shown]
	s_mov_b32 s0, exec_lo
	s_wait_dscnt 0x8
	v_dual_mov_b32 v158, v123 :: v_dual_mov_b32 v159, v122
	s_wait_dscnt 0x7
	v_dual_mov_b32 v160, v127 :: v_dual_mov_b32 v161, v126
	;; [unrolled: 2-line block ×4, first 2 shown]
	s_wait_loadcnt_dscnt 0x904
	v_dual_mul_f32 v7, v136, v85 :: v_dual_mul_f32 v9, v138, v87
	v_dual_mul_f32 v23, v137, v85 :: v_dual_mul_f32 v25, v139, v87
	s_wait_loadcnt_dscnt 0x803
	v_dual_mul_f32 v11, v140, v89 :: v_dual_mul_f32 v13, v142, v91
	s_delay_alu instid0(VALU_DEP_3) | instskip(SKIP_3) | instid1(VALU_DEP_3)
	v_dual_fmac_f32 v7, v137, v84 :: v_dual_fmac_f32 v9, v139, v86
	s_wait_loadcnt_dscnt 0x601
	v_dual_fma_f32 v23, v136, v84, -v23 :: v_dual_mul_f32 v35, v149, v97
	v_dual_mul_f32 v27, v141, v89 :: v_dual_mul_f32 v29, v143, v91
	v_dual_fma_f32 v25, v138, v86, -v25 :: v_dual_add_f32 v7, 0, v7
	s_delay_alu instid0(VALU_DEP_3) | instskip(SKIP_1) | instid1(VALU_DEP_4)
	v_dual_add_f32 v23, 0, v23 :: v_dual_fmac_f32 v11, v141, v88
	v_dual_mul_f32 v15, v144, v93 :: v_dual_mul_f32 v17, v146, v95
	v_dual_mul_f32 v37, v151, v99 :: v_dual_fma_f32 v27, v140, v88, -v27
	s_delay_alu instid0(VALU_DEP_4) | instskip(NEXT) | instid1(VALU_DEP_3)
	v_add_f32_e32 v7, v7, v9
	v_dual_add_f32 v9, v23, v25 :: v_dual_fmac_f32 v15, v145, v92
	v_dual_mul_f32 v31, v145, v93 :: v_dual_mul_f32 v33, v147, v95
	s_wait_loadcnt_dscnt 0x500
	v_dual_mul_f32 v23, v153, v101 :: v_dual_fmac_f32 v13, v143, v90
	v_dual_fma_f32 v25, v142, v90, -v29 :: v_dual_add_f32 v7, v7, v11
	s_delay_alu instid0(VALU_DEP_3) | instskip(SKIP_1) | instid1(VALU_DEP_3)
	v_dual_add_f32 v9, v9, v27 :: v_dual_fma_f32 v27, v144, v92, -v31
	v_dual_mul_f32 v19, v148, v97 :: v_dual_mul_f32 v21, v150, v99
	v_add_f32_e32 v7, v7, v13
	s_delay_alu instid0(VALU_DEP_3) | instskip(SKIP_1) | instid1(VALU_DEP_3)
	v_dual_mul_f32 v11, v155, v103 :: v_dual_add_f32 v9, v9, v25
	v_fmac_f32_e32 v17, v147, v94
	v_dual_fma_f32 v13, v146, v94, -v33 :: v_dual_add_f32 v7, v7, v15
	s_wait_loadcnt 0x4
	v_dual_mov_b32 v86, v107 :: v_dual_fmac_f32 v19, v149, v96
	v_dual_add_f32 v9, v9, v27 :: v_dual_fma_f32 v15, v148, v96, -v35
	s_delay_alu instid0(VALU_DEP_3) | instskip(SKIP_1) | instid1(VALU_DEP_3)
	v_add_f32_e32 v7, v7, v17
	v_dual_mul_f32 v167, v152, v101 :: v_dual_mul_f32 v169, v154, v103
	v_dual_add_f32 v9, v9, v13 :: v_dual_fmac_f32 v21, v151, v98
	s_delay_alu instid0(VALU_DEP_3) | instskip(SKIP_2) | instid1(VALU_DEP_3)
	v_dual_fma_f32 v13, v150, v98, -v37 :: v_dual_add_f32 v7, v7, v19
	v_pk_mul_f32 v[84:85], v[120:121], v[104:105] op_sel:[1,1] op_sel_hi:[0,1]
	s_wait_loadcnt 0x3
	v_dual_add_f32 v9, v9, v15 :: v_dual_mov_b32 v90, v111
	s_delay_alu instid0(VALU_DEP_3) | instskip(NEXT) | instid1(VALU_DEP_2)
	v_dual_fmac_f32 v167, v153, v100 :: v_dual_add_f32 v93, v7, v21
	v_dual_fma_f32 v166, v152, v100, -v23 :: v_dual_add_f32 v92, v9, v13
	v_dual_fmac_f32 v169, v155, v102 :: v_dual_fma_f32 v168, v154, v102, -v11
	v_pk_fma_f32 v[94:95], v[120:121], v[104:105], v[84:85] op_sel_hi:[1,0,1]
	v_pk_mul_f32 v[86:87], v[158:159], v[86:87] op_sel_hi:[1,0]
	s_delay_alu instid0(VALU_DEP_4)
	v_pk_add_f32 v[92:93], v[92:93], v[166:167]
	v_pk_fma_f32 v[84:85], v[120:121], v[104:105], v[84:85] neg_lo:[0,0,1] neg_hi:[0,0,1]
	v_pk_mul_f32 v[88:89], v[124:125], v[108:109] op_sel:[1,1] op_sel_hi:[0,1]
	v_mov_b32_e32 v85, v95
	v_pk_fma_f32 v[94:95], v[122:123], v[106:107], v[86:87] op_sel_hi:[1,0,1]
	v_pk_add_f32 v[92:93], v[92:93], v[168:169]
	v_pk_fma_f32 v[86:87], v[122:123], v[106:107], v[86:87] neg_lo:[0,0,1] neg_hi:[0,0,1]
	v_pk_fma_f32 v[98:99], v[124:125], v[108:109], v[88:89] op_sel_hi:[1,0,1]
	v_pk_mul_f32 v[90:91], v[160:161], v[90:91] op_sel_hi:[1,0]
	v_mov_b32_e32 v87, v95
	v_pk_add_f32 v[84:85], v[92:93], v[84:85]
	s_wait_loadcnt 0x2
	v_pk_mul_f32 v[96:97], v[128:129], v[112:113] op_sel:[1,1] op_sel_hi:[0,1]
	v_mov_b32_e32 v92, v115
	v_pk_fma_f32 v[88:89], v[124:125], v[108:109], v[88:89] neg_lo:[0,0,1] neg_hi:[0,0,1]
	v_mov_b32_e32 v89, v99
	v_pk_fma_f32 v[94:95], v[126:127], v[110:111], v[90:91] op_sel_hi:[1,0,1]
	v_pk_add_f32 v[84:85], v[84:85], v[86:87]
	v_pk_fma_f32 v[86:87], v[128:129], v[112:113], v[96:97] op_sel_hi:[1,0,1]
	v_pk_mul_f32 v[92:93], v[162:163], v[92:93] op_sel_hi:[1,0]
	v_pk_fma_f32 v[90:91], v[126:127], v[110:111], v[90:91] neg_lo:[0,0,1] neg_hi:[0,0,1]
	v_mov_b32_e32 v91, v95
	v_pk_add_f32 v[84:85], v[84:85], v[88:89]
	v_pk_fma_f32 v[94:95], v[128:129], v[112:113], v[96:97] neg_lo:[0,0,1] neg_hi:[0,0,1]
	v_mov_b32_e32 v95, v87
	v_pk_fma_f32 v[86:87], v[130:131], v[114:115], v[92:93] op_sel_hi:[1,0,1]
	s_wait_loadcnt 0x1
	v_pk_mul_f32 v[88:89], v[132:133], v[116:117] op_sel:[1,1] op_sel_hi:[0,1]
	v_pk_add_f32 v[84:85], v[84:85], v[90:91]
	v_mov_b32_e32 v86, v119
	v_pk_fma_f32 v[92:93], v[130:131], v[114:115], v[92:93] neg_lo:[0,0,1] neg_hi:[0,0,1]
	v_mov_b32_e32 v93, v87
	v_pk_fma_f32 v[90:91], v[132:133], v[116:117], v[88:89] op_sel_hi:[1,0,1]
	v_pk_add_f32 v[84:85], v[84:85], v[94:95]
	v_pk_mul_f32 v[86:87], v[164:165], v[86:87] op_sel_hi:[1,0]
	v_pk_fma_f32 v[88:89], v[132:133], v[116:117], v[88:89] neg_lo:[0,0,1] neg_hi:[0,0,1]
	s_delay_alu instid0(VALU_DEP_4) | instskip(NEXT) | instid1(VALU_DEP_4)
	v_mov_b32_e32 v89, v91
	v_pk_add_f32 v[84:85], v[84:85], v[92:93]
	s_delay_alu instid0(VALU_DEP_4) | instskip(SKIP_1) | instid1(VALU_DEP_2)
	v_pk_fma_f32 v[90:91], v[134:135], v[118:119], v[86:87] op_sel_hi:[1,0,1]
	v_pk_fma_f32 v[86:87], v[134:135], v[118:119], v[86:87] neg_lo:[0,0,1] neg_hi:[0,0,1]
	v_mov_b32_e32 v87, v91
	s_delay_alu instid0(VALU_DEP_4) | instskip(NEXT) | instid1(VALU_DEP_1)
	v_pk_add_f32 v[84:85], v[84:85], v[88:89]
	v_pk_add_f32 v[84:85], v[84:85], v[86:87]
	s_wait_loadcnt 0x0
	s_delay_alu instid0(VALU_DEP_1)
	v_pk_add_f32 v[84:85], v[156:157], v[84:85] neg_lo:[0,1] neg_hi:[0,1]
	scratch_store_b64 off, v[84:85], off offset:176
	s_wait_xcnt 0x0
	v_cmpx_lt_u32_e32 21, v0
	s_cbranch_execz .LBB104_217
; %bb.216:
	scratch_load_b64 v[84:85], off, off offset:168
	v_mov_b64_e32 v[86:87], 0
	scratch_store_b64 off, v[86:87], off offset:168
	s_wait_loadcnt 0x0
	ds_store_b64 v1, v[84:85]
.LBB104_217:
	s_wait_xcnt 0x0
	s_or_b32 exec_lo, exec_lo, s0
	s_wait_storecnt_dscnt 0x0
	s_barrier_signal -1
	s_barrier_wait -1
	s_clause 0xa
	scratch_load_b128 v[84:87], off, off offset:176
	scratch_load_b128 v[88:91], off, off offset:192
	scratch_load_b128 v[92:95], off, off offset:208
	scratch_load_b128 v[96:99], off, off offset:224
	scratch_load_b128 v[100:103], off, off offset:240
	scratch_load_b128 v[104:107], off, off offset:256
	scratch_load_b128 v[108:111], off, off offset:272
	scratch_load_b128 v[112:115], off, off offset:288
	scratch_load_b128 v[116:119], off, off offset:304
	scratch_load_b64 v[156:157], off, off offset:320
	scratch_load_b64 v[158:159], off, off offset:168
	v_mov_b32_e32 v7, 0
	ds_load_b128 v[120:123], v7 offset:592
	ds_load_b128 v[124:127], v7 offset:608
	;; [unrolled: 1-line block ×9, first 2 shown]
	ds_load_b64 v[160:161], v7 offset:656
	s_mov_b32 s0, exec_lo
	s_wait_dscnt 0x9
	v_dual_mov_b32 v162, v123 :: v_dual_mov_b32 v163, v122
	s_wait_dscnt 0x6
	v_dual_mov_b32 v164, v127 :: v_dual_mov_b32 v169, v134
	v_dual_mov_b32 v165, v126 :: v_dual_mov_b32 v166, v131
	;; [unrolled: 1-line block ×3, first 2 shown]
	s_wait_loadcnt_dscnt 0xa05
	v_dual_mul_f32 v9, v136, v85 :: v_dual_mul_f32 v27, v137, v85
	v_dual_mul_f32 v29, v139, v87 :: v_dual_mul_f32 v11, v138, v87
	s_wait_loadcnt_dscnt 0x904
	v_mul_f32_e32 v13, v140, v89
	s_wait_loadcnt_dscnt 0x702
	v_dual_mul_f32 v39, v149, v97 :: v_dual_fma_f32 v27, v136, v84, -v27
	v_dual_fmac_f32 v9, v137, v84 :: v_dual_mul_f32 v41, v151, v99
	v_dual_mul_f32 v31, v141, v89 :: v_dual_mul_f32 v33, v143, v91
	v_dual_fmac_f32 v11, v139, v86 :: v_dual_fma_f32 v29, v138, v86, -v29
	s_delay_alu instid0(VALU_DEP_3) | instskip(SKIP_4) | instid1(VALU_DEP_3)
	v_dual_add_f32 v9, 0, v9 :: v_dual_add_f32 v27, 0, v27
	v_dual_mul_f32 v15, v142, v91 :: v_dual_mul_f32 v17, v144, v93
	s_wait_loadcnt_dscnt 0x601
	v_dual_mul_f32 v43, v153, v101 :: v_dual_fma_f32 v31, v140, v88, -v31
	v_fmac_f32_e32 v13, v141, v88
	v_dual_add_f32 v9, v9, v11 :: v_dual_fmac_f32 v15, v143, v90
	v_add_f32_e32 v11, v27, v29
	v_dual_mul_f32 v35, v145, v93 :: v_dual_mul_f32 v37, v147, v95
	v_dual_mul_f32 v27, v155, v103 :: v_dual_fma_f32 v29, v142, v90, -v33
	s_delay_alu instid0(VALU_DEP_3) | instskip(SKIP_3) | instid1(VALU_DEP_3)
	v_dual_add_f32 v9, v9, v13 :: v_dual_add_f32 v11, v11, v31
	v_dual_mul_f32 v19, v146, v95 :: v_dual_mul_f32 v21, v148, v97
	s_wait_loadcnt 0x5
	v_dual_mul_f32 v13, v121, v105 :: v_dual_fma_f32 v31, v144, v92, -v35
	v_dual_fmac_f32 v17, v145, v92 :: v_dual_add_f32 v11, v11, v29
	v_dual_add_f32 v9, v9, v15 :: v_dual_mov_b32 v84, v107
	v_dual_fmac_f32 v19, v147, v94 :: v_dual_fma_f32 v15, v146, v94, -v37
	s_delay_alu instid0(VALU_DEP_2) | instskip(SKIP_3) | instid1(VALU_DEP_3)
	v_dual_add_f32 v11, v11, v31 :: v_dual_add_f32 v9, v9, v17
	v_dual_mul_f32 v23, v150, v99 :: v_dual_mul_f32 v25, v152, v101
	v_dual_fmac_f32 v21, v149, v96 :: v_dual_fma_f32 v17, v148, v96, -v39
	s_wait_loadcnt 0x4
	v_dual_add_f32 v9, v9, v19 :: v_dual_mov_b32 v88, v111
	v_dual_add_f32 v11, v11, v15 :: v_dual_fma_f32 v15, v150, v98, -v41
	s_delay_alu instid0(VALU_DEP_2) | instskip(SKIP_1) | instid1(VALU_DEP_3)
	v_dual_fmac_f32 v23, v151, v98 :: v_dual_add_f32 v9, v9, v21
	v_dual_mul_f32 v171, v154, v103 :: v_dual_mul_f32 v173, v120, v105
	v_dual_add_f32 v11, v11, v17 :: v_dual_fmac_f32 v25, v153, v100
	s_delay_alu instid0(VALU_DEP_3) | instskip(NEXT) | instid1(VALU_DEP_3)
	v_dual_fma_f32 v17, v152, v100, -v43 :: v_dual_add_f32 v9, v9, v23
	v_fmac_f32_e32 v171, v155, v102
	s_delay_alu instid0(VALU_DEP_3) | instskip(SKIP_1) | instid1(VALU_DEP_4)
	v_dual_add_f32 v11, v11, v15 :: v_dual_fma_f32 v170, v154, v102, -v27
	v_pk_mul_f32 v[84:85], v[162:163], v[84:85] op_sel_hi:[1,0]
	v_add_f32_e32 v93, v9, v25
	v_pk_mul_f32 v[86:87], v[124:125], v[108:109] op_sel:[1,1] op_sel_hi:[0,1]
	s_delay_alu instid0(VALU_DEP_4) | instskip(SKIP_3) | instid1(VALU_DEP_3)
	v_dual_add_f32 v92, v11, v17 :: v_dual_fmac_f32 v173, v121, v104
	s_wait_loadcnt 0x3
	v_dual_mov_b32 v94, v115 :: v_dual_fma_f32 v172, v120, v104, -v13
	v_pk_fma_f32 v[96:97], v[122:123], v[106:107], v[84:85] op_sel_hi:[1,0,1]
	v_pk_add_f32 v[92:93], v[92:93], v[170:171]
	v_pk_fma_f32 v[84:85], v[122:123], v[106:107], v[84:85] neg_lo:[0,0,1] neg_hi:[0,0,1]
	v_pk_fma_f32 v[98:99], v[124:125], v[108:109], v[86:87] op_sel_hi:[1,0,1]
	v_pk_mul_f32 v[88:89], v[164:165], v[88:89] op_sel_hi:[1,0]
	v_mov_b32_e32 v85, v97
	v_pk_add_f32 v[92:93], v[92:93], v[172:173]
	v_pk_fma_f32 v[86:87], v[124:125], v[108:109], v[86:87] neg_lo:[0,0,1] neg_hi:[0,0,1]
	v_pk_mul_f32 v[90:91], v[128:129], v[112:113] op_sel:[1,1] op_sel_hi:[0,1]
	v_mov_b32_e32 v87, v99
	v_pk_fma_f32 v[98:99], v[126:127], v[110:111], v[88:89] op_sel_hi:[1,0,1]
	v_pk_add_f32 v[84:85], v[92:93], v[84:85]
	v_pk_fma_f32 v[88:89], v[126:127], v[110:111], v[88:89] neg_lo:[0,0,1] neg_hi:[0,0,1]
	v_pk_fma_f32 v[92:93], v[128:129], v[112:113], v[90:91] op_sel_hi:[1,0,1]
	v_pk_mul_f32 v[94:95], v[166:167], v[94:95] op_sel_hi:[1,0]
	v_mov_b32_e32 v89, v99
	v_pk_add_f32 v[84:85], v[84:85], v[86:87]
	v_pk_fma_f32 v[90:91], v[128:129], v[112:113], v[90:91] neg_lo:[0,0,1] neg_hi:[0,0,1]
	s_wait_loadcnt 0x2
	v_pk_mul_f32 v[96:97], v[132:133], v[116:117] op_sel:[1,1] op_sel_hi:[0,1]
	v_dual_mov_b32 v86, v119 :: v_dual_mov_b32 v91, v93
	v_pk_fma_f32 v[92:93], v[130:131], v[114:115], v[94:95] op_sel_hi:[1,0,1]
	v_pk_add_f32 v[84:85], v[84:85], v[88:89]
	v_pk_fma_f32 v[94:95], v[130:131], v[114:115], v[94:95] neg_lo:[0,0,1] neg_hi:[0,0,1]
	v_pk_fma_f32 v[88:89], v[132:133], v[116:117], v[96:97] op_sel_hi:[1,0,1]
	v_pk_mul_f32 v[86:87], v[168:169], v[86:87] op_sel_hi:[1,0]
	v_mov_b32_e32 v95, v93
	v_pk_add_f32 v[84:85], v[84:85], v[90:91]
	v_pk_fma_f32 v[90:91], v[132:133], v[116:117], v[96:97] neg_lo:[0,0,1] neg_hi:[0,0,1]
	v_mov_b32_e32 v91, v89
	v_pk_fma_f32 v[88:89], v[134:135], v[118:119], v[86:87] op_sel_hi:[1,0,1]
	s_wait_loadcnt_dscnt 0x100
	v_pk_mul_f32 v[92:93], v[160:161], v[156:157] op_sel:[1,1] op_sel_hi:[0,1]
	v_pk_add_f32 v[84:85], v[84:85], v[94:95]
	v_pk_fma_f32 v[86:87], v[134:135], v[118:119], v[86:87] neg_lo:[0,0,1] neg_hi:[0,0,1]
	v_mov_b32_e32 v87, v89
	s_delay_alu instid0(VALU_DEP_4) | instskip(NEXT) | instid1(VALU_DEP_4)
	v_pk_fma_f32 v[88:89], v[160:161], v[156:157], v[92:93] op_sel_hi:[1,0,1]
	v_pk_add_f32 v[84:85], v[84:85], v[90:91]
	v_pk_fma_f32 v[90:91], v[160:161], v[156:157], v[92:93] neg_lo:[0,0,1] neg_hi:[0,0,1]
	s_delay_alu instid0(VALU_DEP_3) | instskip(NEXT) | instid1(VALU_DEP_3)
	v_mov_b32_e32 v91, v89
	v_pk_add_f32 v[84:85], v[84:85], v[86:87]
	s_delay_alu instid0(VALU_DEP_1) | instskip(SKIP_1) | instid1(VALU_DEP_1)
	v_pk_add_f32 v[84:85], v[84:85], v[90:91]
	s_wait_loadcnt 0x0
	v_pk_add_f32 v[84:85], v[158:159], v[84:85] neg_lo:[0,1] neg_hi:[0,1]
	scratch_store_b64 off, v[84:85], off offset:168
	s_wait_xcnt 0x0
	v_cmpx_lt_u32_e32 20, v0
	s_cbranch_execz .LBB104_219
; %bb.218:
	scratch_load_b64 v[84:85], off, off offset:160
	v_mov_b64_e32 v[86:87], 0
	scratch_store_b64 off, v[86:87], off offset:160
	s_wait_loadcnt 0x0
	ds_store_b64 v1, v[84:85]
.LBB104_219:
	s_wait_xcnt 0x0
	s_or_b32 exec_lo, exec_lo, s0
	s_wait_storecnt_dscnt 0x0
	s_barrier_signal -1
	s_barrier_wait -1
	s_clause 0xa
	scratch_load_b128 v[84:87], off, off offset:168
	scratch_load_b128 v[88:91], off, off offset:184
	;; [unrolled: 1-line block ×10, first 2 shown]
	scratch_load_b64 v[164:165], off, off offset:160
	ds_load_2addr_b64 v[124:127], v7 offset0:75 offset1:76
	ds_load_2addr_b64 v[128:131], v7 offset0:77 offset1:78
	;; [unrolled: 1-line block ×10, first 2 shown]
	s_mov_b32 s0, exec_lo
	s_wait_dscnt 0x9
	v_dual_mov_b32 v166, v127 :: v_dual_mov_b32 v167, v126
	s_wait_dscnt 0x8
	v_dual_mov_b32 v168, v131 :: v_dual_mov_b32 v169, v130
	;; [unrolled: 2-line block ×4, first 2 shown]
	s_wait_loadcnt_dscnt 0xa05
	v_dual_mul_f32 v7, v140, v85 :: v_dual_mul_f32 v9, v142, v87
	v_dual_mul_f32 v27, v141, v85 :: v_dual_mul_f32 v29, v143, v87
	s_wait_loadcnt_dscnt 0x904
	v_dual_mul_f32 v11, v144, v89 :: v_dual_mul_f32 v13, v146, v91
	s_delay_alu instid0(VALU_DEP_3) | instskip(SKIP_3) | instid1(VALU_DEP_3)
	v_dual_fmac_f32 v7, v141, v84 :: v_dual_fmac_f32 v9, v143, v86
	s_wait_loadcnt_dscnt 0x702
	v_dual_fma_f32 v27, v140, v84, -v27 :: v_dual_mul_f32 v39, v153, v97
	v_dual_mul_f32 v31, v145, v89 :: v_dual_mul_f32 v33, v147, v91
	v_dual_fma_f32 v29, v142, v86, -v29 :: v_dual_add_f32 v7, 0, v7
	s_delay_alu instid0(VALU_DEP_3) | instskip(SKIP_1) | instid1(VALU_DEP_4)
	v_dual_add_f32 v27, 0, v27 :: v_dual_fmac_f32 v11, v145, v88
	v_dual_mul_f32 v15, v148, v93 :: v_dual_mul_f32 v17, v150, v95
	v_dual_mul_f32 v41, v155, v99 :: v_dual_fma_f32 v31, v144, v88, -v31
	s_delay_alu instid0(VALU_DEP_4) | instskip(NEXT) | instid1(VALU_DEP_3)
	v_add_f32_e32 v7, v7, v9
	v_dual_add_f32 v9, v27, v29 :: v_dual_fmac_f32 v15, v149, v92
	v_dual_mul_f32 v35, v149, v93 :: v_dual_mul_f32 v37, v151, v95
	s_wait_loadcnt_dscnt 0x601
	v_dual_mul_f32 v27, v157, v101 :: v_dual_fmac_f32 v13, v147, v90
	v_dual_fma_f32 v29, v146, v90, -v33 :: v_dual_add_f32 v7, v7, v11
	s_delay_alu instid0(VALU_DEP_3) | instskip(SKIP_1) | instid1(VALU_DEP_3)
	v_dual_add_f32 v9, v9, v31 :: v_dual_fma_f32 v31, v148, v92, -v35
	v_dual_mul_f32 v19, v152, v97 :: v_dual_mul_f32 v21, v154, v99
	v_add_f32_e32 v7, v7, v13
	s_delay_alu instid0(VALU_DEP_3) | instskip(SKIP_2) | instid1(VALU_DEP_3)
	v_dual_mul_f32 v11, v159, v103 :: v_dual_add_f32 v9, v9, v29
	s_wait_loadcnt_dscnt 0x500
	v_dual_mul_f32 v13, v161, v105 :: v_dual_fmac_f32 v17, v151, v94
	v_dual_fma_f32 v29, v150, v94, -v37 :: v_dual_add_f32 v7, v7, v15
	s_delay_alu instid0(VALU_DEP_3) | instskip(SKIP_1) | instid1(VALU_DEP_3)
	v_dual_add_f32 v9, v9, v31 :: v_dual_fma_f32 v31, v152, v96, -v39
	v_dual_mul_f32 v15, v163, v107 :: v_dual_fmac_f32 v19, v153, v96
	v_dual_add_f32 v7, v7, v17 :: v_dual_fma_f32 v17, v154, v98, -v41
	s_delay_alu instid0(VALU_DEP_3) | instskip(SKIP_1) | instid1(VALU_DEP_3)
	v_dual_add_f32 v9, v9, v29 :: v_dual_fmac_f32 v21, v155, v98
	v_dual_mul_f32 v23, v156, v101 :: v_dual_mul_f32 v25, v158, v103
	v_add_f32_e32 v7, v7, v19
	s_wait_loadcnt 0x4
	s_delay_alu instid0(VALU_DEP_3) | instskip(NEXT) | instid1(VALU_DEP_3)
	v_dual_add_f32 v9, v9, v31 :: v_dual_mov_b32 v86, v111
	v_fmac_f32_e32 v23, v157, v100
	s_delay_alu instid0(VALU_DEP_3) | instskip(NEXT) | instid1(VALU_DEP_3)
	v_dual_fma_f32 v19, v156, v100, -v27 :: v_dual_add_f32 v7, v7, v21
	v_dual_add_f32 v9, v9, v17 :: v_dual_fmac_f32 v25, v159, v102
	v_dual_mul_f32 v175, v160, v105 :: v_dual_mul_f32 v177, v162, v107
	s_delay_alu instid0(VALU_DEP_3) | instskip(SKIP_1) | instid1(VALU_DEP_3)
	v_dual_fma_f32 v11, v158, v102, -v11 :: v_dual_add_f32 v7, v7, v23
	s_wait_loadcnt 0x3
	v_dual_add_f32 v9, v9, v19 :: v_dual_mov_b32 v90, v115
	v_pk_mul_f32 v[84:85], v[124:125], v[108:109] op_sel:[1,1] op_sel_hi:[0,1]
	v_dual_fmac_f32 v175, v161, v104 :: v_dual_fma_f32 v174, v160, v104, -v13
	s_delay_alu instid0(VALU_DEP_3) | instskip(SKIP_1) | instid1(VALU_DEP_4)
	v_dual_add_f32 v93, v7, v25 :: v_dual_add_f32 v92, v9, v11
	v_dual_fmac_f32 v177, v163, v106 :: v_dual_fma_f32 v176, v162, v106, -v15
	v_pk_fma_f32 v[94:95], v[124:125], v[108:109], v[84:85] op_sel_hi:[1,0,1]
	v_pk_mul_f32 v[86:87], v[166:167], v[86:87] op_sel_hi:[1,0]
	s_delay_alu instid0(VALU_DEP_4)
	v_pk_add_f32 v[92:93], v[92:93], v[174:175]
	v_pk_fma_f32 v[84:85], v[124:125], v[108:109], v[84:85] neg_lo:[0,0,1] neg_hi:[0,0,1]
	v_pk_mul_f32 v[88:89], v[128:129], v[112:113] op_sel:[1,1] op_sel_hi:[0,1]
	v_mov_b32_e32 v85, v95
	v_pk_fma_f32 v[94:95], v[126:127], v[110:111], v[86:87] op_sel_hi:[1,0,1]
	v_pk_add_f32 v[92:93], v[92:93], v[176:177]
	v_pk_fma_f32 v[86:87], v[126:127], v[110:111], v[86:87] neg_lo:[0,0,1] neg_hi:[0,0,1]
	v_pk_fma_f32 v[98:99], v[128:129], v[112:113], v[88:89] op_sel_hi:[1,0,1]
	v_pk_mul_f32 v[90:91], v[168:169], v[90:91] op_sel_hi:[1,0]
	v_mov_b32_e32 v87, v95
	v_pk_add_f32 v[84:85], v[92:93], v[84:85]
	s_wait_loadcnt 0x2
	v_pk_mul_f32 v[96:97], v[132:133], v[116:117] op_sel:[1,1] op_sel_hi:[0,1]
	v_mov_b32_e32 v92, v119
	v_pk_fma_f32 v[88:89], v[128:129], v[112:113], v[88:89] neg_lo:[0,0,1] neg_hi:[0,0,1]
	v_mov_b32_e32 v89, v99
	v_pk_fma_f32 v[94:95], v[130:131], v[114:115], v[90:91] op_sel_hi:[1,0,1]
	v_pk_add_f32 v[84:85], v[84:85], v[86:87]
	v_pk_fma_f32 v[86:87], v[132:133], v[116:117], v[96:97] op_sel_hi:[1,0,1]
	v_pk_mul_f32 v[92:93], v[170:171], v[92:93] op_sel_hi:[1,0]
	v_pk_fma_f32 v[90:91], v[130:131], v[114:115], v[90:91] neg_lo:[0,0,1] neg_hi:[0,0,1]
	v_mov_b32_e32 v91, v95
	v_pk_add_f32 v[84:85], v[84:85], v[88:89]
	v_pk_fma_f32 v[94:95], v[132:133], v[116:117], v[96:97] neg_lo:[0,0,1] neg_hi:[0,0,1]
	v_mov_b32_e32 v95, v87
	v_pk_fma_f32 v[86:87], v[134:135], v[118:119], v[92:93] op_sel_hi:[1,0,1]
	s_wait_loadcnt 0x1
	v_pk_mul_f32 v[88:89], v[136:137], v[120:121] op_sel:[1,1] op_sel_hi:[0,1]
	v_pk_add_f32 v[84:85], v[84:85], v[90:91]
	v_mov_b32_e32 v86, v123
	v_pk_fma_f32 v[92:93], v[134:135], v[118:119], v[92:93] neg_lo:[0,0,1] neg_hi:[0,0,1]
	v_mov_b32_e32 v93, v87
	v_pk_fma_f32 v[90:91], v[136:137], v[120:121], v[88:89] op_sel_hi:[1,0,1]
	v_pk_add_f32 v[84:85], v[84:85], v[94:95]
	v_pk_mul_f32 v[86:87], v[172:173], v[86:87] op_sel_hi:[1,0]
	v_pk_fma_f32 v[88:89], v[136:137], v[120:121], v[88:89] neg_lo:[0,0,1] neg_hi:[0,0,1]
	s_delay_alu instid0(VALU_DEP_4) | instskip(NEXT) | instid1(VALU_DEP_4)
	v_mov_b32_e32 v89, v91
	v_pk_add_f32 v[84:85], v[84:85], v[92:93]
	s_delay_alu instid0(VALU_DEP_4) | instskip(SKIP_1) | instid1(VALU_DEP_2)
	v_pk_fma_f32 v[90:91], v[138:139], v[122:123], v[86:87] op_sel_hi:[1,0,1]
	v_pk_fma_f32 v[86:87], v[138:139], v[122:123], v[86:87] neg_lo:[0,0,1] neg_hi:[0,0,1]
	v_mov_b32_e32 v87, v91
	s_delay_alu instid0(VALU_DEP_4) | instskip(NEXT) | instid1(VALU_DEP_1)
	v_pk_add_f32 v[84:85], v[84:85], v[88:89]
	v_pk_add_f32 v[84:85], v[84:85], v[86:87]
	s_wait_loadcnt 0x0
	s_delay_alu instid0(VALU_DEP_1)
	v_pk_add_f32 v[84:85], v[164:165], v[84:85] neg_lo:[0,1] neg_hi:[0,1]
	scratch_store_b64 off, v[84:85], off offset:160
	s_wait_xcnt 0x0
	v_cmpx_lt_u32_e32 19, v0
	s_cbranch_execz .LBB104_221
; %bb.220:
	scratch_load_b64 v[84:85], off, off offset:152
	v_mov_b64_e32 v[86:87], 0
	scratch_store_b64 off, v[86:87], off offset:152
	s_wait_loadcnt 0x0
	ds_store_b64 v1, v[84:85]
.LBB104_221:
	s_wait_xcnt 0x0
	s_or_b32 exec_lo, exec_lo, s0
	s_wait_storecnt_dscnt 0x0
	s_barrier_signal -1
	s_barrier_wait -1
	s_clause 0xb
	scratch_load_b128 v[84:87], off, off offset:160
	scratch_load_b128 v[88:91], off, off offset:176
	;; [unrolled: 1-line block ×10, first 2 shown]
	scratch_load_b64 v[164:165], off, off offset:320
	scratch_load_b64 v[166:167], off, off offset:152
	v_mov_b32_e32 v7, 0
	ds_load_b128 v[124:127], v7 offset:592
	ds_load_b128 v[128:131], v7 offset:608
	ds_load_b128 v[132:135], v7 offset:624
	ds_load_b128 v[136:139], v7 offset:640
	ds_load_b128 v[140:143], v7 offset:496
	ds_load_b128 v[144:147], v7 offset:512
	ds_load_b128 v[148:151], v7 offset:528
	ds_load_b128 v[152:155], v7 offset:544
	ds_load_b128 v[156:159], v7 offset:560
	ds_load_b128 v[160:163], v7 offset:576
	ds_load_b64 v[168:169], v7 offset:656
	s_mov_b32 s0, exec_lo
	s_wait_dscnt 0xa
	v_dual_mov_b32 v170, v127 :: v_dual_mov_b32 v171, v126
	s_wait_dscnt 0x7
	v_dual_mov_b32 v172, v131 :: v_dual_mov_b32 v177, v138
	v_dual_mov_b32 v173, v130 :: v_dual_mov_b32 v174, v135
	;; [unrolled: 1-line block ×3, first 2 shown]
	s_wait_loadcnt_dscnt 0xb06
	v_dual_mul_f32 v9, v140, v85 :: v_dual_mul_f32 v31, v141, v85
	v_dual_mul_f32 v33, v143, v87 :: v_dual_mul_f32 v11, v142, v87
	s_wait_loadcnt_dscnt 0xa05
	v_mul_f32_e32 v13, v144, v89
	s_wait_loadcnt_dscnt 0x803
	v_dual_mul_f32 v43, v153, v97 :: v_dual_fma_f32 v31, v140, v84, -v31
	v_dual_fmac_f32 v9, v141, v84 :: v_dual_mul_f32 v45, v155, v99
	v_dual_mul_f32 v35, v145, v89 :: v_dual_mul_f32 v37, v147, v91
	v_dual_fmac_f32 v11, v143, v86 :: v_dual_fma_f32 v33, v142, v86, -v33
	s_delay_alu instid0(VALU_DEP_3) | instskip(SKIP_4) | instid1(VALU_DEP_3)
	v_dual_add_f32 v9, 0, v9 :: v_dual_add_f32 v31, 0, v31
	v_dual_mul_f32 v15, v146, v91 :: v_dual_mul_f32 v17, v148, v93
	s_wait_loadcnt_dscnt 0x702
	v_dual_mul_f32 v47, v157, v101 :: v_dual_fma_f32 v35, v144, v88, -v35
	v_fmac_f32_e32 v13, v145, v88
	v_dual_add_f32 v9, v9, v11 :: v_dual_fmac_f32 v15, v147, v90
	v_add_f32_e32 v11, v31, v33
	v_dual_mul_f32 v39, v149, v93 :: v_dual_mul_f32 v41, v151, v95
	v_dual_mul_f32 v31, v159, v103 :: v_dual_fma_f32 v33, v146, v90, -v37
	s_delay_alu instid0(VALU_DEP_3) | instskip(SKIP_3) | instid1(VALU_DEP_3)
	v_dual_add_f32 v9, v9, v13 :: v_dual_add_f32 v11, v11, v35
	v_dual_mul_f32 v19, v150, v95 :: v_dual_mul_f32 v21, v152, v97
	s_wait_loadcnt_dscnt 0x601
	v_dual_mul_f32 v13, v161, v105 :: v_dual_fma_f32 v35, v148, v92, -v39
	v_dual_fmac_f32 v17, v149, v92 :: v_dual_add_f32 v11, v11, v33
	s_delay_alu instid0(VALU_DEP_3) | instskip(SKIP_1) | instid1(VALU_DEP_2)
	v_dual_add_f32 v9, v9, v15 :: v_dual_fmac_f32 v19, v151, v94
	v_dual_mul_f32 v15, v163, v107 :: v_dual_fma_f32 v33, v150, v94, -v41
	v_dual_add_f32 v11, v11, v35 :: v_dual_add_f32 v9, v9, v17
	v_dual_mul_f32 v23, v154, v99 :: v_dual_mul_f32 v25, v156, v101
	s_wait_loadcnt 0x5
	v_dual_mul_f32 v17, v125, v109 :: v_dual_fma_f32 v35, v152, v96, -v43
	s_delay_alu instid0(VALU_DEP_3) | instskip(SKIP_2) | instid1(VALU_DEP_2)
	v_dual_fmac_f32 v21, v153, v96 :: v_dual_add_f32 v11, v11, v33
	v_dual_add_f32 v9, v9, v19 :: v_dual_mov_b32 v84, v111
	v_dual_fmac_f32 v23, v155, v98 :: v_dual_fma_f32 v19, v154, v98, -v45
	v_dual_add_f32 v11, v11, v35 :: v_dual_add_f32 v9, v9, v21
	v_dual_mul_f32 v27, v158, v103 :: v_dual_mul_f32 v29, v160, v105
	v_dual_fmac_f32 v25, v157, v100 :: v_dual_fma_f32 v21, v156, v100, -v47
	s_wait_loadcnt 0x4
	s_delay_alu instid0(VALU_DEP_3) | instskip(SKIP_1) | instid1(VALU_DEP_2)
	v_dual_add_f32 v9, v9, v23 :: v_dual_mov_b32 v88, v115
	v_dual_add_f32 v11, v11, v19 :: v_dual_fma_f32 v19, v158, v102, -v31
	v_dual_fmac_f32 v27, v159, v102 :: v_dual_add_f32 v9, v9, v25
	v_dual_mul_f32 v179, v162, v107 :: v_dual_mul_f32 v181, v124, v109
	s_delay_alu instid0(VALU_DEP_3) | instskip(NEXT) | instid1(VALU_DEP_3)
	v_dual_add_f32 v11, v11, v21 :: v_dual_fmac_f32 v29, v161, v104
	v_dual_fma_f32 v13, v160, v104, -v13 :: v_dual_add_f32 v9, v9, v27
	s_delay_alu instid0(VALU_DEP_3) | instskip(NEXT) | instid1(VALU_DEP_3)
	v_fmac_f32_e32 v179, v163, v106
	v_dual_add_f32 v11, v11, v19 :: v_dual_fma_f32 v178, v162, v106, -v15
	v_pk_mul_f32 v[84:85], v[170:171], v[84:85] op_sel_hi:[1,0]
	s_delay_alu instid0(VALU_DEP_4) | instskip(SKIP_1) | instid1(VALU_DEP_4)
	v_add_f32_e32 v93, v9, v29
	v_pk_mul_f32 v[86:87], v[128:129], v[112:113] op_sel:[1,1] op_sel_hi:[0,1]
	v_dual_add_f32 v92, v11, v13 :: v_dual_fmac_f32 v181, v125, v108
	s_wait_loadcnt 0x3
	v_dual_mov_b32 v94, v119 :: v_dual_fma_f32 v180, v124, v108, -v17
	v_pk_fma_f32 v[96:97], v[126:127], v[110:111], v[84:85] op_sel_hi:[1,0,1]
	s_delay_alu instid0(VALU_DEP_3)
	v_pk_add_f32 v[92:93], v[92:93], v[178:179]
	v_pk_fma_f32 v[84:85], v[126:127], v[110:111], v[84:85] neg_lo:[0,0,1] neg_hi:[0,0,1]
	v_pk_fma_f32 v[98:99], v[128:129], v[112:113], v[86:87] op_sel_hi:[1,0,1]
	v_pk_mul_f32 v[88:89], v[172:173], v[88:89] op_sel_hi:[1,0]
	v_mov_b32_e32 v85, v97
	v_pk_add_f32 v[92:93], v[92:93], v[180:181]
	v_pk_fma_f32 v[86:87], v[128:129], v[112:113], v[86:87] neg_lo:[0,0,1] neg_hi:[0,0,1]
	v_pk_mul_f32 v[90:91], v[132:133], v[116:117] op_sel:[1,1] op_sel_hi:[0,1]
	v_mov_b32_e32 v87, v99
	v_pk_fma_f32 v[98:99], v[130:131], v[114:115], v[88:89] op_sel_hi:[1,0,1]
	v_pk_add_f32 v[84:85], v[92:93], v[84:85]
	v_pk_fma_f32 v[88:89], v[130:131], v[114:115], v[88:89] neg_lo:[0,0,1] neg_hi:[0,0,1]
	v_pk_fma_f32 v[92:93], v[132:133], v[116:117], v[90:91] op_sel_hi:[1,0,1]
	v_pk_mul_f32 v[94:95], v[174:175], v[94:95] op_sel_hi:[1,0]
	v_mov_b32_e32 v89, v99
	v_pk_add_f32 v[84:85], v[84:85], v[86:87]
	v_pk_fma_f32 v[90:91], v[132:133], v[116:117], v[90:91] neg_lo:[0,0,1] neg_hi:[0,0,1]
	s_wait_loadcnt 0x2
	v_pk_mul_f32 v[96:97], v[136:137], v[120:121] op_sel:[1,1] op_sel_hi:[0,1]
	v_dual_mov_b32 v86, v123 :: v_dual_mov_b32 v91, v93
	v_pk_fma_f32 v[92:93], v[134:135], v[118:119], v[94:95] op_sel_hi:[1,0,1]
	v_pk_add_f32 v[84:85], v[84:85], v[88:89]
	v_pk_fma_f32 v[94:95], v[134:135], v[118:119], v[94:95] neg_lo:[0,0,1] neg_hi:[0,0,1]
	v_pk_fma_f32 v[88:89], v[136:137], v[120:121], v[96:97] op_sel_hi:[1,0,1]
	v_pk_mul_f32 v[86:87], v[176:177], v[86:87] op_sel_hi:[1,0]
	v_mov_b32_e32 v95, v93
	v_pk_add_f32 v[84:85], v[84:85], v[90:91]
	v_pk_fma_f32 v[90:91], v[136:137], v[120:121], v[96:97] neg_lo:[0,0,1] neg_hi:[0,0,1]
	v_mov_b32_e32 v91, v89
	v_pk_fma_f32 v[88:89], v[138:139], v[122:123], v[86:87] op_sel_hi:[1,0,1]
	s_wait_loadcnt_dscnt 0x100
	v_pk_mul_f32 v[92:93], v[168:169], v[164:165] op_sel:[1,1] op_sel_hi:[0,1]
	v_pk_add_f32 v[84:85], v[84:85], v[94:95]
	v_pk_fma_f32 v[86:87], v[138:139], v[122:123], v[86:87] neg_lo:[0,0,1] neg_hi:[0,0,1]
	v_mov_b32_e32 v87, v89
	s_delay_alu instid0(VALU_DEP_4) | instskip(NEXT) | instid1(VALU_DEP_4)
	v_pk_fma_f32 v[88:89], v[168:169], v[164:165], v[92:93] op_sel_hi:[1,0,1]
	v_pk_add_f32 v[84:85], v[84:85], v[90:91]
	v_pk_fma_f32 v[90:91], v[168:169], v[164:165], v[92:93] neg_lo:[0,0,1] neg_hi:[0,0,1]
	s_delay_alu instid0(VALU_DEP_3) | instskip(NEXT) | instid1(VALU_DEP_3)
	v_mov_b32_e32 v91, v89
	v_pk_add_f32 v[84:85], v[84:85], v[86:87]
	s_delay_alu instid0(VALU_DEP_1) | instskip(SKIP_1) | instid1(VALU_DEP_1)
	v_pk_add_f32 v[84:85], v[84:85], v[90:91]
	s_wait_loadcnt 0x0
	v_pk_add_f32 v[84:85], v[166:167], v[84:85] neg_lo:[0,1] neg_hi:[0,1]
	scratch_store_b64 off, v[84:85], off offset:152
	s_wait_xcnt 0x0
	v_cmpx_lt_u32_e32 18, v0
	s_cbranch_execz .LBB104_223
; %bb.222:
	scratch_load_b64 v[84:85], off, off offset:144
	v_mov_b64_e32 v[86:87], 0
	scratch_store_b64 off, v[86:87], off offset:144
	s_wait_loadcnt 0x0
	ds_store_b64 v1, v[84:85]
.LBB104_223:
	s_wait_xcnt 0x0
	s_or_b32 exec_lo, exec_lo, s0
	s_wait_storecnt_dscnt 0x0
	s_barrier_signal -1
	s_barrier_wait -1
	s_clause 0xb
	scratch_load_b128 v[84:87], off, off offset:152
	scratch_load_b128 v[88:91], off, off offset:168
	scratch_load_b128 v[92:95], off, off offset:184
	scratch_load_b128 v[96:99], off, off offset:200
	scratch_load_b128 v[100:103], off, off offset:216
	scratch_load_b128 v[104:107], off, off offset:232
	scratch_load_b128 v[108:111], off, off offset:248
	scratch_load_b128 v[112:115], off, off offset:264
	scratch_load_b128 v[116:119], off, off offset:280
	scratch_load_b128 v[120:123], off, off offset:296
	scratch_load_b128 v[124:127], off, off offset:312
	scratch_load_b64 v[172:173], off, off offset:144
	ds_load_2addr_b64 v[128:131], v7 offset0:75 offset1:76
	ds_load_2addr_b64 v[132:135], v7 offset0:77 offset1:78
	;; [unrolled: 1-line block ×11, first 2 shown]
	s_mov_b32 s0, exec_lo
	s_wait_dscnt 0xa
	v_dual_mov_b32 v174, v131 :: v_dual_mov_b32 v175, v130
	s_wait_dscnt 0x9
	v_dual_mov_b32 v176, v135 :: v_dual_mov_b32 v177, v134
	;; [unrolled: 2-line block ×4, first 2 shown]
	s_wait_loadcnt_dscnt 0xb06
	v_dual_mul_f32 v7, v144, v85 :: v_dual_mul_f32 v9, v146, v87
	v_dual_mul_f32 v31, v145, v85 :: v_dual_mul_f32 v33, v147, v87
	s_wait_loadcnt_dscnt 0xa05
	v_dual_mul_f32 v11, v148, v89 :: v_dual_mul_f32 v13, v150, v91
	s_delay_alu instid0(VALU_DEP_3) | instskip(SKIP_3) | instid1(VALU_DEP_3)
	v_dual_fmac_f32 v7, v145, v84 :: v_dual_fmac_f32 v9, v147, v86
	s_wait_loadcnt_dscnt 0x803
	v_dual_fma_f32 v31, v144, v84, -v31 :: v_dual_mul_f32 v43, v157, v97
	v_dual_mul_f32 v35, v149, v89 :: v_dual_mul_f32 v37, v151, v91
	v_dual_fma_f32 v33, v146, v86, -v33 :: v_dual_add_f32 v7, 0, v7
	s_delay_alu instid0(VALU_DEP_3) | instskip(SKIP_1) | instid1(VALU_DEP_4)
	v_dual_add_f32 v31, 0, v31 :: v_dual_fmac_f32 v11, v149, v88
	v_dual_mul_f32 v15, v152, v93 :: v_dual_mul_f32 v17, v154, v95
	v_dual_mul_f32 v45, v159, v99 :: v_dual_fma_f32 v35, v148, v88, -v35
	s_delay_alu instid0(VALU_DEP_4) | instskip(NEXT) | instid1(VALU_DEP_3)
	v_add_f32_e32 v7, v7, v9
	v_dual_add_f32 v9, v31, v33 :: v_dual_fmac_f32 v15, v153, v92
	v_dual_mul_f32 v39, v153, v93 :: v_dual_mul_f32 v41, v155, v95
	s_wait_loadcnt_dscnt 0x702
	v_dual_mul_f32 v31, v161, v101 :: v_dual_fmac_f32 v13, v151, v90
	v_dual_fma_f32 v33, v150, v90, -v37 :: v_dual_add_f32 v7, v7, v11
	s_delay_alu instid0(VALU_DEP_3) | instskip(SKIP_1) | instid1(VALU_DEP_3)
	v_dual_add_f32 v9, v9, v35 :: v_dual_fma_f32 v35, v152, v92, -v39
	v_dual_mul_f32 v19, v156, v97 :: v_dual_mul_f32 v21, v158, v99
	v_add_f32_e32 v7, v7, v13
	s_delay_alu instid0(VALU_DEP_3) | instskip(SKIP_2) | instid1(VALU_DEP_3)
	v_dual_mul_f32 v11, v163, v103 :: v_dual_add_f32 v9, v9, v33
	s_wait_loadcnt_dscnt 0x601
	v_dual_mul_f32 v13, v165, v105 :: v_dual_fmac_f32 v17, v155, v94
	v_dual_fma_f32 v33, v154, v94, -v41 :: v_dual_add_f32 v7, v7, v15
	s_delay_alu instid0(VALU_DEP_3) | instskip(SKIP_1) | instid1(VALU_DEP_3)
	v_dual_add_f32 v9, v9, v35 :: v_dual_fma_f32 v35, v156, v96, -v43
	v_dual_mul_f32 v15, v167, v107 :: v_dual_fmac_f32 v19, v157, v96
	v_add_f32_e32 v7, v7, v17
	s_delay_alu instid0(VALU_DEP_3)
	v_dual_add_f32 v9, v9, v33 :: v_dual_fmac_f32 v21, v159, v98
	v_dual_mul_f32 v23, v160, v101 :: v_dual_mul_f32 v25, v162, v103
	s_wait_loadcnt_dscnt 0x500
	v_dual_fma_f32 v33, v158, v98, -v45 :: v_dual_mul_f32 v17, v169, v109
	v_add_f32_e32 v7, v7, v19
	v_dual_add_f32 v9, v9, v35 :: v_dual_fma_f32 v31, v160, v100, -v31
	v_dual_mul_f32 v19, v171, v111 :: v_dual_fmac_f32 v23, v161, v100
	s_delay_alu instid0(VALU_DEP_3) | instskip(NEXT) | instid1(VALU_DEP_3)
	v_dual_add_f32 v7, v7, v21 :: v_dual_fma_f32 v11, v162, v102, -v11
	v_dual_add_f32 v9, v9, v33 :: v_dual_fmac_f32 v25, v163, v102
	v_dual_mul_f32 v27, v164, v105 :: v_dual_mul_f32 v29, v166, v107
	s_delay_alu instid0(VALU_DEP_3) | instskip(SKIP_1) | instid1(VALU_DEP_3)
	v_add_f32_e32 v7, v7, v23
	s_wait_loadcnt 0x4
	v_dual_add_f32 v9, v9, v31 :: v_dual_mov_b32 v86, v115
	s_delay_alu instid0(VALU_DEP_3) | instskip(NEXT) | instid1(VALU_DEP_2)
	v_dual_fmac_f32 v27, v165, v104 :: v_dual_fma_f32 v13, v164, v104, -v13
	v_dual_add_f32 v7, v7, v25 :: v_dual_add_f32 v9, v9, v11
	v_dual_fmac_f32 v29, v167, v106 :: v_dual_mul_f32 v183, v168, v109
	v_mul_f32_e32 v185, v170, v111
	s_delay_alu instid0(VALU_DEP_3) | instskip(SKIP_4) | instid1(VALU_DEP_3)
	v_dual_fma_f32 v11, v166, v106, -v15 :: v_dual_add_f32 v7, v7, v27
	s_wait_loadcnt 0x3
	v_dual_add_f32 v9, v9, v13 :: v_dual_mov_b32 v90, v119
	v_pk_mul_f32 v[84:85], v[128:129], v[112:113] op_sel:[1,1] op_sel_hi:[0,1]
	v_dual_fmac_f32 v183, v169, v108 :: v_dual_fma_f32 v182, v168, v108, -v17
	v_dual_add_f32 v93, v7, v29 :: v_dual_add_f32 v92, v9, v11
	v_dual_fmac_f32 v185, v171, v110 :: v_dual_fma_f32 v184, v170, v110, -v19
	s_delay_alu instid0(VALU_DEP_4) | instskip(SKIP_1) | instid1(VALU_DEP_4)
	v_pk_fma_f32 v[94:95], v[128:129], v[112:113], v[84:85] op_sel_hi:[1,0,1]
	v_pk_mul_f32 v[86:87], v[174:175], v[86:87] op_sel_hi:[1,0]
	v_pk_add_f32 v[92:93], v[92:93], v[182:183]
	v_pk_fma_f32 v[84:85], v[128:129], v[112:113], v[84:85] neg_lo:[0,0,1] neg_hi:[0,0,1]
	v_pk_mul_f32 v[88:89], v[132:133], v[116:117] op_sel:[1,1] op_sel_hi:[0,1]
	v_mov_b32_e32 v85, v95
	v_pk_fma_f32 v[94:95], v[130:131], v[114:115], v[86:87] op_sel_hi:[1,0,1]
	v_pk_add_f32 v[92:93], v[92:93], v[184:185]
	v_pk_fma_f32 v[86:87], v[130:131], v[114:115], v[86:87] neg_lo:[0,0,1] neg_hi:[0,0,1]
	v_pk_fma_f32 v[98:99], v[132:133], v[116:117], v[88:89] op_sel_hi:[1,0,1]
	v_pk_mul_f32 v[90:91], v[176:177], v[90:91] op_sel_hi:[1,0]
	v_mov_b32_e32 v87, v95
	v_pk_add_f32 v[84:85], v[92:93], v[84:85]
	s_wait_loadcnt 0x2
	v_pk_mul_f32 v[96:97], v[136:137], v[120:121] op_sel:[1,1] op_sel_hi:[0,1]
	v_mov_b32_e32 v92, v123
	v_pk_fma_f32 v[88:89], v[132:133], v[116:117], v[88:89] neg_lo:[0,0,1] neg_hi:[0,0,1]
	v_mov_b32_e32 v89, v99
	v_pk_fma_f32 v[94:95], v[134:135], v[118:119], v[90:91] op_sel_hi:[1,0,1]
	v_pk_add_f32 v[84:85], v[84:85], v[86:87]
	v_pk_fma_f32 v[86:87], v[136:137], v[120:121], v[96:97] op_sel_hi:[1,0,1]
	v_pk_mul_f32 v[92:93], v[178:179], v[92:93] op_sel_hi:[1,0]
	v_pk_fma_f32 v[90:91], v[134:135], v[118:119], v[90:91] neg_lo:[0,0,1] neg_hi:[0,0,1]
	v_mov_b32_e32 v91, v95
	v_pk_add_f32 v[84:85], v[84:85], v[88:89]
	v_pk_fma_f32 v[94:95], v[136:137], v[120:121], v[96:97] neg_lo:[0,0,1] neg_hi:[0,0,1]
	v_mov_b32_e32 v95, v87
	v_pk_fma_f32 v[86:87], v[138:139], v[122:123], v[92:93] op_sel_hi:[1,0,1]
	s_wait_loadcnt 0x1
	v_pk_mul_f32 v[88:89], v[140:141], v[124:125] op_sel:[1,1] op_sel_hi:[0,1]
	v_pk_add_f32 v[84:85], v[84:85], v[90:91]
	v_mov_b32_e32 v86, v127
	v_pk_fma_f32 v[92:93], v[138:139], v[122:123], v[92:93] neg_lo:[0,0,1] neg_hi:[0,0,1]
	v_mov_b32_e32 v93, v87
	v_pk_fma_f32 v[90:91], v[140:141], v[124:125], v[88:89] op_sel_hi:[1,0,1]
	v_pk_add_f32 v[84:85], v[84:85], v[94:95]
	v_pk_mul_f32 v[86:87], v[180:181], v[86:87] op_sel_hi:[1,0]
	v_pk_fma_f32 v[88:89], v[140:141], v[124:125], v[88:89] neg_lo:[0,0,1] neg_hi:[0,0,1]
	s_delay_alu instid0(VALU_DEP_4) | instskip(NEXT) | instid1(VALU_DEP_4)
	v_mov_b32_e32 v89, v91
	v_pk_add_f32 v[84:85], v[84:85], v[92:93]
	s_delay_alu instid0(VALU_DEP_4) | instskip(SKIP_1) | instid1(VALU_DEP_2)
	v_pk_fma_f32 v[90:91], v[142:143], v[126:127], v[86:87] op_sel_hi:[1,0,1]
	v_pk_fma_f32 v[86:87], v[142:143], v[126:127], v[86:87] neg_lo:[0,0,1] neg_hi:[0,0,1]
	v_mov_b32_e32 v87, v91
	s_delay_alu instid0(VALU_DEP_4) | instskip(NEXT) | instid1(VALU_DEP_1)
	v_pk_add_f32 v[84:85], v[84:85], v[88:89]
	v_pk_add_f32 v[84:85], v[84:85], v[86:87]
	s_wait_loadcnt 0x0
	s_delay_alu instid0(VALU_DEP_1)
	v_pk_add_f32 v[84:85], v[172:173], v[84:85] neg_lo:[0,1] neg_hi:[0,1]
	scratch_store_b64 off, v[84:85], off offset:144
	s_wait_xcnt 0x0
	v_cmpx_lt_u32_e32 17, v0
	s_cbranch_execz .LBB104_225
; %bb.224:
	scratch_load_b64 v[84:85], off, off offset:136
	v_mov_b64_e32 v[86:87], 0
	scratch_store_b64 off, v[86:87], off offset:136
	s_wait_loadcnt 0x0
	ds_store_b64 v1, v[84:85]
.LBB104_225:
	s_wait_xcnt 0x0
	s_or_b32 exec_lo, exec_lo, s0
	s_wait_storecnt_dscnt 0x0
	s_barrier_signal -1
	s_barrier_wait -1
	s_clause 0xc
	scratch_load_b128 v[84:87], off, off offset:144
	scratch_load_b128 v[88:91], off, off offset:160
	;; [unrolled: 1-line block ×11, first 2 shown]
	scratch_load_b64 v[172:173], off, off offset:320
	scratch_load_b64 v[174:175], off, off offset:136
	v_mov_b32_e32 v7, 0
	ds_load_b128 v[128:131], v7 offset:592
	ds_load_b128 v[132:135], v7 offset:608
	;; [unrolled: 1-line block ×11, first 2 shown]
	ds_load_b64 v[176:177], v7 offset:656
	s_mov_b32 s0, exec_lo
	s_wait_dscnt 0xb
	v_dual_mov_b32 v178, v131 :: v_dual_mov_b32 v179, v130
	s_wait_dscnt 0x8
	v_dual_mov_b32 v180, v135 :: v_dual_mov_b32 v185, v142
	v_dual_mov_b32 v181, v134 :: v_dual_mov_b32 v182, v139
	;; [unrolled: 1-line block ×3, first 2 shown]
	s_wait_loadcnt_dscnt 0xc07
	v_dual_mul_f32 v9, v144, v85 :: v_dual_mul_f32 v35, v145, v85
	v_dual_mul_f32 v37, v147, v87 :: v_dual_mul_f32 v11, v146, v87
	s_wait_loadcnt_dscnt 0xb06
	v_mul_f32_e32 v13, v148, v89
	s_wait_loadcnt_dscnt 0x904
	v_dual_mul_f32 v47, v157, v97 :: v_dual_fma_f32 v35, v144, v84, -v35
	v_dual_fmac_f32 v9, v145, v84 :: v_dual_mul_f32 v49, v159, v99
	v_dual_mul_f32 v39, v149, v89 :: v_dual_mul_f32 v41, v151, v91
	v_dual_fmac_f32 v11, v147, v86 :: v_dual_fma_f32 v37, v146, v86, -v37
	s_delay_alu instid0(VALU_DEP_3) | instskip(SKIP_4) | instid1(VALU_DEP_3)
	v_dual_add_f32 v9, 0, v9 :: v_dual_add_f32 v35, 0, v35
	v_dual_mul_f32 v15, v150, v91 :: v_dual_mul_f32 v17, v152, v93
	s_wait_loadcnt_dscnt 0x803
	v_dual_mul_f32 v51, v161, v101 :: v_dual_fma_f32 v39, v148, v88, -v39
	v_fmac_f32_e32 v13, v149, v88
	v_dual_add_f32 v9, v9, v11 :: v_dual_fmac_f32 v15, v151, v90
	v_add_f32_e32 v11, v35, v37
	v_dual_mul_f32 v43, v153, v93 :: v_dual_mul_f32 v45, v155, v95
	v_dual_mul_f32 v35, v163, v103 :: v_dual_fma_f32 v37, v150, v90, -v41
	s_delay_alu instid0(VALU_DEP_3) | instskip(SKIP_3) | instid1(VALU_DEP_3)
	v_dual_add_f32 v9, v9, v13 :: v_dual_add_f32 v11, v11, v39
	v_dual_mul_f32 v19, v154, v95 :: v_dual_mul_f32 v21, v156, v97
	s_wait_loadcnt_dscnt 0x701
	v_dual_mul_f32 v13, v169, v105 :: v_dual_fma_f32 v39, v152, v92, -v43
	v_dual_fmac_f32 v17, v153, v92 :: v_dual_add_f32 v11, v11, v37
	s_delay_alu instid0(VALU_DEP_3) | instskip(SKIP_1) | instid1(VALU_DEP_2)
	v_dual_add_f32 v9, v9, v15 :: v_dual_fmac_f32 v19, v155, v94
	v_dual_mul_f32 v15, v171, v107 :: v_dual_fma_f32 v37, v154, v94, -v45
	v_dual_add_f32 v11, v11, v39 :: v_dual_add_f32 v9, v9, v17
	v_dual_mul_f32 v23, v158, v99 :: v_dual_mul_f32 v25, v160, v101
	s_wait_loadcnt 0x6
	v_dual_mul_f32 v17, v165, v109 :: v_dual_fma_f32 v39, v156, v96, -v47
	s_delay_alu instid0(VALU_DEP_3) | instskip(NEXT) | instid1(VALU_DEP_3)
	v_dual_fmac_f32 v21, v157, v96 :: v_dual_add_f32 v11, v11, v37
	v_dual_add_f32 v9, v9, v19 :: v_dual_fmac_f32 v23, v159, v98
	v_dual_mul_f32 v19, v167, v111 :: v_dual_fma_f32 v37, v158, v98, -v49
	s_delay_alu instid0(VALU_DEP_2) | instskip(SKIP_3) | instid1(VALU_DEP_3)
	v_dual_add_f32 v11, v11, v39 :: v_dual_add_f32 v9, v9, v21
	v_dual_mul_f32 v27, v162, v103 :: v_dual_mul_f32 v29, v168, v105
	s_wait_loadcnt 0x5
	v_dual_mul_f32 v21, v129, v113 :: v_dual_fma_f32 v39, v160, v100, -v51
	v_dual_fmac_f32 v25, v161, v100 :: v_dual_add_f32 v11, v11, v37
	v_dual_add_f32 v9, v9, v23 :: v_dual_mov_b32 v84, v115
	v_fmac_f32_e32 v27, v163, v102
	s_delay_alu instid0(VALU_DEP_3) | instskip(NEXT) | instid1(VALU_DEP_3)
	v_dual_fma_f32 v23, v162, v102, -v35 :: v_dual_add_f32 v11, v11, v39
	v_dual_add_f32 v9, v9, v25 :: v_dual_mul_f32 v31, v170, v107
	v_dual_mul_f32 v33, v164, v109 :: v_dual_fmac_f32 v29, v169, v104
	s_delay_alu instid0(VALU_DEP_3) | instskip(SKIP_1) | instid1(VALU_DEP_3)
	v_dual_add_f32 v11, v11, v23 :: v_dual_fma_f32 v13, v168, v104, -v13
	s_wait_loadcnt 0x4
	v_dual_add_f32 v9, v9, v27 :: v_dual_mov_b32 v88, v119
	v_fma_f32 v15, v170, v106, -v15
	v_fmac_f32_e32 v31, v171, v106
	v_dual_add_f32 v11, v11, v13 :: v_dual_fmac_f32 v33, v165, v108
	s_delay_alu instid0(VALU_DEP_4) | instskip(SKIP_1) | instid1(VALU_DEP_3)
	v_dual_add_f32 v9, v9, v29 :: v_dual_mul_f32 v187, v166, v111
	v_mul_f32_e32 v189, v128, v113
	v_dual_fma_f32 v13, v164, v108, -v17 :: v_dual_add_f32 v11, v11, v15
	s_delay_alu instid0(VALU_DEP_3) | instskip(NEXT) | instid1(VALU_DEP_4)
	v_dual_fma_f32 v186, v166, v110, -v19 :: v_dual_add_f32 v9, v9, v31
	v_fmac_f32_e32 v187, v167, v110
	v_pk_mul_f32 v[84:85], v[178:179], v[84:85] op_sel_hi:[1,0]
	s_delay_alu instid0(VALU_DEP_4) | instskip(NEXT) | instid1(VALU_DEP_4)
	v_dual_add_f32 v92, v11, v13 :: v_dual_fmac_f32 v189, v129, v112
	v_add_f32_e32 v93, v9, v33
	v_pk_mul_f32 v[86:87], v[132:133], v[116:117] op_sel:[1,1] op_sel_hi:[0,1]
	s_wait_loadcnt 0x3
	v_dual_mov_b32 v94, v123 :: v_dual_fma_f32 v188, v128, v112, -v21
	v_pk_fma_f32 v[96:97], v[130:131], v[114:115], v[84:85] op_sel_hi:[1,0,1]
	v_pk_add_f32 v[92:93], v[92:93], v[186:187]
	v_pk_fma_f32 v[84:85], v[130:131], v[114:115], v[84:85] neg_lo:[0,0,1] neg_hi:[0,0,1]
	v_pk_fma_f32 v[98:99], v[132:133], v[116:117], v[86:87] op_sel_hi:[1,0,1]
	v_pk_mul_f32 v[88:89], v[180:181], v[88:89] op_sel_hi:[1,0]
	v_mov_b32_e32 v85, v97
	v_pk_add_f32 v[92:93], v[92:93], v[188:189]
	v_pk_fma_f32 v[86:87], v[132:133], v[116:117], v[86:87] neg_lo:[0,0,1] neg_hi:[0,0,1]
	v_pk_mul_f32 v[90:91], v[136:137], v[120:121] op_sel:[1,1] op_sel_hi:[0,1]
	v_mov_b32_e32 v87, v99
	v_pk_fma_f32 v[98:99], v[134:135], v[118:119], v[88:89] op_sel_hi:[1,0,1]
	v_pk_add_f32 v[84:85], v[92:93], v[84:85]
	v_pk_fma_f32 v[88:89], v[134:135], v[118:119], v[88:89] neg_lo:[0,0,1] neg_hi:[0,0,1]
	v_pk_fma_f32 v[92:93], v[136:137], v[120:121], v[90:91] op_sel_hi:[1,0,1]
	v_pk_mul_f32 v[94:95], v[182:183], v[94:95] op_sel_hi:[1,0]
	v_mov_b32_e32 v89, v99
	v_pk_add_f32 v[84:85], v[84:85], v[86:87]
	v_pk_fma_f32 v[90:91], v[136:137], v[120:121], v[90:91] neg_lo:[0,0,1] neg_hi:[0,0,1]
	s_wait_loadcnt 0x2
	v_pk_mul_f32 v[96:97], v[140:141], v[124:125] op_sel:[1,1] op_sel_hi:[0,1]
	v_dual_mov_b32 v86, v127 :: v_dual_mov_b32 v91, v93
	v_pk_fma_f32 v[92:93], v[138:139], v[122:123], v[94:95] op_sel_hi:[1,0,1]
	v_pk_add_f32 v[84:85], v[84:85], v[88:89]
	v_pk_fma_f32 v[94:95], v[138:139], v[122:123], v[94:95] neg_lo:[0,0,1] neg_hi:[0,0,1]
	v_pk_fma_f32 v[88:89], v[140:141], v[124:125], v[96:97] op_sel_hi:[1,0,1]
	v_pk_mul_f32 v[86:87], v[184:185], v[86:87] op_sel_hi:[1,0]
	v_mov_b32_e32 v95, v93
	v_pk_add_f32 v[84:85], v[84:85], v[90:91]
	v_pk_fma_f32 v[90:91], v[140:141], v[124:125], v[96:97] neg_lo:[0,0,1] neg_hi:[0,0,1]
	v_mov_b32_e32 v91, v89
	v_pk_fma_f32 v[88:89], v[142:143], v[126:127], v[86:87] op_sel_hi:[1,0,1]
	s_wait_loadcnt_dscnt 0x100
	v_pk_mul_f32 v[92:93], v[176:177], v[172:173] op_sel:[1,1] op_sel_hi:[0,1]
	v_pk_add_f32 v[84:85], v[84:85], v[94:95]
	v_pk_fma_f32 v[86:87], v[142:143], v[126:127], v[86:87] neg_lo:[0,0,1] neg_hi:[0,0,1]
	v_mov_b32_e32 v87, v89
	s_delay_alu instid0(VALU_DEP_4) | instskip(NEXT) | instid1(VALU_DEP_4)
	v_pk_fma_f32 v[88:89], v[176:177], v[172:173], v[92:93] op_sel_hi:[1,0,1]
	v_pk_add_f32 v[84:85], v[84:85], v[90:91]
	v_pk_fma_f32 v[90:91], v[176:177], v[172:173], v[92:93] neg_lo:[0,0,1] neg_hi:[0,0,1]
	s_delay_alu instid0(VALU_DEP_3) | instskip(NEXT) | instid1(VALU_DEP_3)
	v_mov_b32_e32 v91, v89
	v_pk_add_f32 v[84:85], v[84:85], v[86:87]
	s_delay_alu instid0(VALU_DEP_1) | instskip(SKIP_1) | instid1(VALU_DEP_1)
	v_pk_add_f32 v[84:85], v[84:85], v[90:91]
	s_wait_loadcnt 0x0
	v_pk_add_f32 v[84:85], v[174:175], v[84:85] neg_lo:[0,1] neg_hi:[0,1]
	scratch_store_b64 off, v[84:85], off offset:136
	s_wait_xcnt 0x0
	v_cmpx_lt_u32_e32 16, v0
	s_cbranch_execz .LBB104_227
; %bb.226:
	scratch_load_b64 v[84:85], off, off offset:128
	v_mov_b64_e32 v[86:87], 0
	scratch_store_b64 off, v[86:87], off offset:128
	s_wait_loadcnt 0x0
	ds_store_b64 v1, v[84:85]
.LBB104_227:
	s_wait_xcnt 0x0
	s_or_b32 exec_lo, exec_lo, s0
	s_wait_storecnt_dscnt 0x0
	s_barrier_signal -1
	s_barrier_wait -1
	s_clause 0xc
	scratch_load_b128 v[84:87], off, off offset:136
	scratch_load_b128 v[88:91], off, off offset:152
	;; [unrolled: 1-line block ×12, first 2 shown]
	scratch_load_b64 v[180:181], off, off offset:128
	ds_load_2addr_b64 v[132:135], v7 offset0:75 offset1:76
	ds_load_2addr_b64 v[136:139], v7 offset0:77 offset1:78
	;; [unrolled: 1-line block ×12, first 2 shown]
	s_mov_b32 s0, exec_lo
	s_wait_dscnt 0xb
	v_dual_mov_b32 v182, v135 :: v_dual_mov_b32 v183, v134
	s_wait_dscnt 0xa
	v_dual_mov_b32 v184, v139 :: v_dual_mov_b32 v185, v138
	;; [unrolled: 2-line block ×4, first 2 shown]
	s_wait_loadcnt_dscnt 0xc07
	v_dual_mul_f32 v7, v148, v85 :: v_dual_mul_f32 v9, v150, v87
	v_dual_mul_f32 v35, v149, v85 :: v_dual_mul_f32 v37, v151, v87
	s_wait_loadcnt_dscnt 0xb06
	v_dual_mul_f32 v11, v152, v89 :: v_dual_mul_f32 v13, v154, v91
	s_delay_alu instid0(VALU_DEP_3) | instskip(SKIP_3) | instid1(VALU_DEP_3)
	v_dual_fmac_f32 v7, v149, v84 :: v_dual_fmac_f32 v9, v151, v86
	s_wait_loadcnt_dscnt 0x904
	v_dual_fma_f32 v35, v148, v84, -v35 :: v_dual_mul_f32 v47, v161, v97
	v_dual_mul_f32 v39, v153, v89 :: v_dual_mul_f32 v41, v155, v91
	v_dual_fma_f32 v37, v150, v86, -v37 :: v_dual_add_f32 v7, 0, v7
	s_delay_alu instid0(VALU_DEP_3) | instskip(SKIP_1) | instid1(VALU_DEP_4)
	v_dual_add_f32 v35, 0, v35 :: v_dual_fmac_f32 v11, v153, v88
	v_dual_mul_f32 v15, v156, v93 :: v_dual_mul_f32 v17, v158, v95
	v_dual_mul_f32 v49, v163, v99 :: v_dual_fma_f32 v39, v152, v88, -v39
	s_delay_alu instid0(VALU_DEP_4) | instskip(NEXT) | instid1(VALU_DEP_3)
	v_add_f32_e32 v7, v7, v9
	v_dual_add_f32 v9, v35, v37 :: v_dual_fmac_f32 v15, v157, v92
	v_dual_mul_f32 v43, v157, v93 :: v_dual_mul_f32 v45, v159, v95
	s_wait_loadcnt_dscnt 0x803
	v_dual_mul_f32 v35, v165, v101 :: v_dual_fmac_f32 v13, v155, v90
	v_dual_fma_f32 v37, v154, v90, -v41 :: v_dual_add_f32 v7, v7, v11
	s_delay_alu instid0(VALU_DEP_3) | instskip(SKIP_1) | instid1(VALU_DEP_3)
	v_dual_add_f32 v9, v9, v39 :: v_dual_fma_f32 v39, v156, v92, -v43
	v_dual_mul_f32 v19, v160, v97 :: v_dual_mul_f32 v21, v162, v99
	v_add_f32_e32 v7, v7, v13
	s_delay_alu instid0(VALU_DEP_3) | instskip(SKIP_2) | instid1(VALU_DEP_3)
	v_dual_mul_f32 v11, v167, v103 :: v_dual_add_f32 v9, v9, v37
	s_wait_loadcnt_dscnt 0x702
	v_dual_mul_f32 v13, v169, v105 :: v_dual_fmac_f32 v17, v159, v94
	v_dual_fma_f32 v37, v158, v94, -v45 :: v_dual_add_f32 v7, v7, v15
	s_delay_alu instid0(VALU_DEP_3) | instskip(SKIP_1) | instid1(VALU_DEP_3)
	v_dual_add_f32 v9, v9, v39 :: v_dual_fma_f32 v39, v160, v96, -v47
	v_dual_mul_f32 v15, v171, v107 :: v_dual_fmac_f32 v19, v161, v96
	v_add_f32_e32 v7, v7, v17
	s_delay_alu instid0(VALU_DEP_3)
	v_dual_add_f32 v9, v9, v37 :: v_dual_fmac_f32 v21, v163, v98
	v_dual_mul_f32 v23, v164, v101 :: v_dual_mul_f32 v25, v166, v103
	s_wait_loadcnt_dscnt 0x601
	v_dual_fma_f32 v37, v162, v98, -v49 :: v_dual_mul_f32 v17, v173, v109
	v_add_f32_e32 v7, v7, v19
	v_dual_add_f32 v9, v9, v39 :: v_dual_fma_f32 v35, v164, v100, -v35
	v_dual_mul_f32 v19, v175, v111 :: v_dual_fmac_f32 v23, v165, v100
	s_delay_alu instid0(VALU_DEP_3) | instskip(NEXT) | instid1(VALU_DEP_3)
	v_dual_add_f32 v7, v7, v21 :: v_dual_fma_f32 v11, v166, v102, -v11
	v_dual_add_f32 v9, v9, v37 :: v_dual_fmac_f32 v25, v167, v102
	v_dual_mul_f32 v27, v168, v105 :: v_dual_mul_f32 v29, v170, v107
	s_wait_loadcnt_dscnt 0x500
	s_delay_alu instid0(VALU_DEP_3) | instskip(NEXT) | instid1(VALU_DEP_3)
	v_dual_mul_f32 v21, v177, v113 :: v_dual_add_f32 v7, v7, v23
	v_dual_add_f32 v9, v9, v35 :: v_dual_fma_f32 v13, v168, v104, -v13
	s_delay_alu instid0(VALU_DEP_3) | instskip(NEXT) | instid1(VALU_DEP_2)
	v_dual_mul_f32 v23, v179, v115 :: v_dual_fmac_f32 v27, v169, v104
	v_dual_add_f32 v7, v7, v25 :: v_dual_add_f32 v9, v9, v11
	v_dual_mul_f32 v31, v172, v109 :: v_dual_mul_f32 v33, v174, v111
	v_dual_fmac_f32 v29, v171, v106 :: v_dual_fma_f32 v11, v170, v106, -v15
	s_delay_alu instid0(VALU_DEP_3) | instskip(SKIP_1) | instid1(VALU_DEP_3)
	v_dual_add_f32 v7, v7, v27 :: v_dual_add_f32 v9, v9, v13
	s_wait_loadcnt 0x4
	v_dual_mov_b32 v86, v119 :: v_dual_fmac_f32 v31, v173, v108
	s_delay_alu instid0(VALU_DEP_2) | instskip(NEXT) | instid1(VALU_DEP_3)
	v_dual_fma_f32 v13, v172, v108, -v17 :: v_dual_add_f32 v7, v7, v29
	v_dual_add_f32 v9, v9, v11 :: v_dual_fmac_f32 v33, v175, v110
	v_dual_mul_f32 v191, v176, v113 :: v_dual_mul_f32 v193, v178, v115
	s_delay_alu instid0(VALU_DEP_3) | instskip(SKIP_1) | instid1(VALU_DEP_3)
	v_dual_fma_f32 v11, v174, v110, -v19 :: v_dual_add_f32 v7, v7, v31
	s_wait_loadcnt 0x3
	v_dual_add_f32 v9, v9, v13 :: v_dual_mov_b32 v90, v123
	v_pk_mul_f32 v[84:85], v[132:133], v[116:117] op_sel:[1,1] op_sel_hi:[0,1]
	v_dual_fmac_f32 v191, v177, v112 :: v_dual_fma_f32 v190, v176, v112, -v21
	s_delay_alu instid0(VALU_DEP_3) | instskip(SKIP_1) | instid1(VALU_DEP_4)
	v_dual_add_f32 v93, v7, v33 :: v_dual_add_f32 v92, v9, v11
	v_dual_fmac_f32 v193, v179, v114 :: v_dual_fma_f32 v192, v178, v114, -v23
	v_pk_fma_f32 v[94:95], v[132:133], v[116:117], v[84:85] op_sel_hi:[1,0,1]
	v_pk_mul_f32 v[86:87], v[182:183], v[86:87] op_sel_hi:[1,0]
	s_delay_alu instid0(VALU_DEP_4)
	v_pk_add_f32 v[92:93], v[92:93], v[190:191]
	v_pk_fma_f32 v[84:85], v[132:133], v[116:117], v[84:85] neg_lo:[0,0,1] neg_hi:[0,0,1]
	v_pk_mul_f32 v[88:89], v[136:137], v[120:121] op_sel:[1,1] op_sel_hi:[0,1]
	v_mov_b32_e32 v85, v95
	v_pk_fma_f32 v[94:95], v[134:135], v[118:119], v[86:87] op_sel_hi:[1,0,1]
	v_pk_add_f32 v[92:93], v[92:93], v[192:193]
	v_pk_fma_f32 v[86:87], v[134:135], v[118:119], v[86:87] neg_lo:[0,0,1] neg_hi:[0,0,1]
	v_pk_fma_f32 v[98:99], v[136:137], v[120:121], v[88:89] op_sel_hi:[1,0,1]
	v_pk_mul_f32 v[90:91], v[184:185], v[90:91] op_sel_hi:[1,0]
	v_mov_b32_e32 v87, v95
	v_pk_add_f32 v[84:85], v[92:93], v[84:85]
	s_wait_loadcnt 0x2
	v_pk_mul_f32 v[96:97], v[140:141], v[124:125] op_sel:[1,1] op_sel_hi:[0,1]
	v_mov_b32_e32 v92, v127
	v_pk_fma_f32 v[88:89], v[136:137], v[120:121], v[88:89] neg_lo:[0,0,1] neg_hi:[0,0,1]
	v_mov_b32_e32 v89, v99
	v_pk_fma_f32 v[94:95], v[138:139], v[122:123], v[90:91] op_sel_hi:[1,0,1]
	v_pk_add_f32 v[84:85], v[84:85], v[86:87]
	v_pk_fma_f32 v[86:87], v[140:141], v[124:125], v[96:97] op_sel_hi:[1,0,1]
	v_pk_mul_f32 v[92:93], v[186:187], v[92:93] op_sel_hi:[1,0]
	v_pk_fma_f32 v[90:91], v[138:139], v[122:123], v[90:91] neg_lo:[0,0,1] neg_hi:[0,0,1]
	v_mov_b32_e32 v91, v95
	v_pk_add_f32 v[84:85], v[84:85], v[88:89]
	v_pk_fma_f32 v[94:95], v[140:141], v[124:125], v[96:97] neg_lo:[0,0,1] neg_hi:[0,0,1]
	v_mov_b32_e32 v95, v87
	v_pk_fma_f32 v[86:87], v[142:143], v[126:127], v[92:93] op_sel_hi:[1,0,1]
	s_wait_loadcnt 0x1
	v_pk_mul_f32 v[88:89], v[144:145], v[128:129] op_sel:[1,1] op_sel_hi:[0,1]
	v_pk_add_f32 v[84:85], v[84:85], v[90:91]
	v_mov_b32_e32 v86, v131
	v_pk_fma_f32 v[92:93], v[142:143], v[126:127], v[92:93] neg_lo:[0,0,1] neg_hi:[0,0,1]
	v_mov_b32_e32 v93, v87
	v_pk_fma_f32 v[90:91], v[144:145], v[128:129], v[88:89] op_sel_hi:[1,0,1]
	v_pk_add_f32 v[84:85], v[84:85], v[94:95]
	v_pk_mul_f32 v[86:87], v[188:189], v[86:87] op_sel_hi:[1,0]
	v_pk_fma_f32 v[88:89], v[144:145], v[128:129], v[88:89] neg_lo:[0,0,1] neg_hi:[0,0,1]
	s_delay_alu instid0(VALU_DEP_4) | instskip(NEXT) | instid1(VALU_DEP_4)
	v_mov_b32_e32 v89, v91
	v_pk_add_f32 v[84:85], v[84:85], v[92:93]
	s_delay_alu instid0(VALU_DEP_4) | instskip(SKIP_1) | instid1(VALU_DEP_2)
	v_pk_fma_f32 v[90:91], v[146:147], v[130:131], v[86:87] op_sel_hi:[1,0,1]
	v_pk_fma_f32 v[86:87], v[146:147], v[130:131], v[86:87] neg_lo:[0,0,1] neg_hi:[0,0,1]
	v_mov_b32_e32 v87, v91
	s_delay_alu instid0(VALU_DEP_4) | instskip(NEXT) | instid1(VALU_DEP_1)
	v_pk_add_f32 v[84:85], v[84:85], v[88:89]
	v_pk_add_f32 v[84:85], v[84:85], v[86:87]
	s_wait_loadcnt 0x0
	s_delay_alu instid0(VALU_DEP_1)
	v_pk_add_f32 v[84:85], v[180:181], v[84:85] neg_lo:[0,1] neg_hi:[0,1]
	scratch_store_b64 off, v[84:85], off offset:128
	s_wait_xcnt 0x0
	v_cmpx_lt_u32_e32 15, v0
	s_cbranch_execz .LBB104_229
; %bb.228:
	scratch_load_b64 v[84:85], off, off offset:120
	v_mov_b64_e32 v[86:87], 0
	scratch_store_b64 off, v[86:87], off offset:120
	s_wait_loadcnt 0x0
	ds_store_b64 v1, v[84:85]
.LBB104_229:
	s_wait_xcnt 0x0
	s_or_b32 exec_lo, exec_lo, s0
	s_wait_storecnt_dscnt 0x0
	s_barrier_signal -1
	s_barrier_wait -1
	s_clause 0xd
	scratch_load_b128 v[84:87], off, off offset:128
	scratch_load_b128 v[88:91], off, off offset:144
	;; [unrolled: 1-line block ×12, first 2 shown]
	scratch_load_b64 v[180:181], off, off offset:320
	scratch_load_b64 v[182:183], off, off offset:120
	v_mov_b32_e32 v7, 0
	ds_load_b128 v[132:135], v7 offset:592
	ds_load_b128 v[136:139], v7 offset:608
	;; [unrolled: 1-line block ×12, first 2 shown]
	ds_load_b64 v[184:185], v7 offset:656
	s_mov_b32 s0, exec_lo
	s_wait_dscnt 0xc
	v_dual_mov_b32 v186, v135 :: v_dual_mov_b32 v187, v134
	s_wait_dscnt 0x9
	v_dual_mov_b32 v188, v139 :: v_dual_mov_b32 v193, v146
	v_dual_mov_b32 v189, v138 :: v_dual_mov_b32 v190, v143
	;; [unrolled: 1-line block ×3, first 2 shown]
	s_wait_loadcnt_dscnt 0xd08
	v_dual_mul_f32 v9, v148, v85 :: v_dual_mul_f32 v39, v149, v85
	v_dual_mul_f32 v41, v151, v87 :: v_dual_mul_f32 v11, v150, v87
	s_wait_loadcnt_dscnt 0xc07
	v_mul_f32_e32 v13, v152, v89
	s_wait_loadcnt_dscnt 0xa05
	v_dual_mul_f32 v51, v161, v97 :: v_dual_fma_f32 v39, v148, v84, -v39
	v_dual_fmac_f32 v9, v149, v84 :: v_dual_mul_f32 v53, v163, v99
	v_dual_mul_f32 v43, v153, v89 :: v_dual_mul_f32 v45, v155, v91
	v_dual_fmac_f32 v11, v151, v86 :: v_dual_fma_f32 v41, v150, v86, -v41
	s_delay_alu instid0(VALU_DEP_3) | instskip(SKIP_4) | instid1(VALU_DEP_3)
	v_dual_add_f32 v9, 0, v9 :: v_dual_add_f32 v39, 0, v39
	v_dual_mul_f32 v15, v154, v91 :: v_dual_mul_f32 v17, v156, v93
	s_wait_loadcnt_dscnt 0x904
	v_dual_mul_f32 v55, v165, v101 :: v_dual_fma_f32 v43, v152, v88, -v43
	v_fmac_f32_e32 v13, v153, v88
	v_dual_add_f32 v9, v9, v11 :: v_dual_fmac_f32 v15, v155, v90
	v_add_f32_e32 v11, v39, v41
	v_dual_mul_f32 v47, v157, v93 :: v_dual_mul_f32 v49, v159, v95
	v_dual_mul_f32 v39, v167, v103 :: v_dual_fma_f32 v41, v154, v90, -v45
	s_delay_alu instid0(VALU_DEP_3) | instskip(SKIP_3) | instid1(VALU_DEP_3)
	v_dual_add_f32 v9, v9, v13 :: v_dual_add_f32 v11, v11, v43
	v_dual_mul_f32 v19, v158, v95 :: v_dual_mul_f32 v21, v160, v97
	s_wait_loadcnt_dscnt 0x803
	v_dual_mul_f32 v13, v169, v105 :: v_dual_fma_f32 v43, v156, v92, -v47
	v_dual_fmac_f32 v17, v157, v92 :: v_dual_add_f32 v11, v11, v41
	s_delay_alu instid0(VALU_DEP_3) | instskip(SKIP_1) | instid1(VALU_DEP_2)
	v_dual_add_f32 v9, v9, v15 :: v_dual_fmac_f32 v19, v159, v94
	v_dual_mul_f32 v15, v171, v107 :: v_dual_fma_f32 v41, v158, v94, -v49
	v_dual_add_f32 v11, v11, v43 :: v_dual_add_f32 v9, v9, v17
	v_dual_mul_f32 v23, v162, v99 :: v_dual_mul_f32 v25, v164, v101
	s_wait_loadcnt_dscnt 0x702
	v_dual_mul_f32 v17, v173, v109 :: v_dual_fma_f32 v43, v160, v96, -v51
	s_delay_alu instid0(VALU_DEP_3) | instskip(NEXT) | instid1(VALU_DEP_3)
	v_dual_fmac_f32 v21, v161, v96 :: v_dual_add_f32 v11, v11, v41
	v_dual_add_f32 v9, v9, v19 :: v_dual_fmac_f32 v23, v163, v98
	v_dual_mul_f32 v19, v175, v111 :: v_dual_fma_f32 v41, v162, v98, -v53
	s_delay_alu instid0(VALU_DEP_2) | instskip(SKIP_3) | instid1(VALU_DEP_3)
	v_dual_add_f32 v11, v11, v43 :: v_dual_add_f32 v9, v9, v21
	v_dual_mul_f32 v27, v166, v103 :: v_dual_mul_f32 v29, v168, v105
	s_wait_loadcnt_dscnt 0x601
	v_dual_mul_f32 v21, v177, v113 :: v_dual_fma_f32 v43, v164, v100, -v55
	v_dual_fmac_f32 v25, v165, v100 :: v_dual_add_f32 v11, v11, v41
	s_delay_alu instid0(VALU_DEP_3) | instskip(SKIP_1) | instid1(VALU_DEP_2)
	v_dual_add_f32 v9, v9, v23 :: v_dual_fmac_f32 v27, v167, v102
	v_dual_mul_f32 v23, v179, v115 :: v_dual_fma_f32 v39, v166, v102, -v39
	v_dual_add_f32 v11, v11, v43 :: v_dual_add_f32 v9, v9, v25
	v_dual_mul_f32 v31, v170, v107 :: v_dual_mul_f32 v33, v172, v109
	s_wait_loadcnt 0x5
	v_dual_mul_f32 v25, v133, v117 :: v_dual_fma_f32 v13, v168, v104, -v13
	s_delay_alu instid0(VALU_DEP_3) | instskip(SKIP_2) | instid1(VALU_DEP_3)
	v_dual_fmac_f32 v29, v169, v104 :: v_dual_add_f32 v11, v11, v39
	v_dual_add_f32 v9, v9, v27 :: v_dual_mov_b32 v84, v119
	v_fmac_f32_e32 v31, v171, v106
	v_dual_fma_f32 v15, v170, v106, -v15 :: v_dual_add_f32 v11, v11, v13
	s_delay_alu instid0(VALU_DEP_3) | instskip(SKIP_1) | instid1(VALU_DEP_3)
	v_dual_add_f32 v9, v9, v29 :: v_dual_mul_f32 v35, v174, v111
	v_dual_mul_f32 v37, v176, v113 :: v_dual_fmac_f32 v33, v173, v108
	v_dual_add_f32 v11, v11, v15 :: v_dual_fma_f32 v13, v172, v108, -v17
	s_wait_loadcnt 0x4
	s_delay_alu instid0(VALU_DEP_3) | instskip(SKIP_3) | instid1(VALU_DEP_4)
	v_dual_add_f32 v9, v9, v31 :: v_dual_mov_b32 v88, v123
	v_fma_f32 v15, v174, v110, -v19
	v_fmac_f32_e32 v35, v175, v110
	v_dual_add_f32 v11, v11, v13 :: v_dual_fmac_f32 v37, v177, v112
	v_dual_add_f32 v9, v9, v33 :: v_dual_mul_f32 v195, v178, v115
	v_mul_f32_e32 v197, v132, v117
	s_delay_alu instid0(VALU_DEP_3) | instskip(NEXT) | instid1(VALU_DEP_3)
	v_dual_fma_f32 v13, v176, v112, -v21 :: v_dual_add_f32 v11, v11, v15
	v_dual_fma_f32 v194, v178, v114, -v23 :: v_dual_add_f32 v9, v9, v35
	s_delay_alu instid0(VALU_DEP_4) | instskip(SKIP_1) | instid1(VALU_DEP_4)
	v_fmac_f32_e32 v195, v179, v114
	v_pk_mul_f32 v[84:85], v[186:187], v[84:85] op_sel_hi:[1,0]
	v_dual_add_f32 v92, v11, v13 :: v_dual_fmac_f32 v197, v133, v116
	s_delay_alu instid0(VALU_DEP_4)
	v_add_f32_e32 v93, v9, v37
	v_pk_mul_f32 v[86:87], v[136:137], v[120:121] op_sel:[1,1] op_sel_hi:[0,1]
	s_wait_loadcnt 0x3
	v_dual_mov_b32 v94, v127 :: v_dual_fma_f32 v196, v132, v116, -v25
	v_pk_fma_f32 v[96:97], v[134:135], v[118:119], v[84:85] op_sel_hi:[1,0,1]
	v_pk_add_f32 v[92:93], v[92:93], v[194:195]
	v_pk_fma_f32 v[84:85], v[134:135], v[118:119], v[84:85] neg_lo:[0,0,1] neg_hi:[0,0,1]
	v_pk_fma_f32 v[98:99], v[136:137], v[120:121], v[86:87] op_sel_hi:[1,0,1]
	v_pk_mul_f32 v[88:89], v[188:189], v[88:89] op_sel_hi:[1,0]
	v_mov_b32_e32 v85, v97
	v_pk_add_f32 v[92:93], v[92:93], v[196:197]
	v_pk_fma_f32 v[86:87], v[136:137], v[120:121], v[86:87] neg_lo:[0,0,1] neg_hi:[0,0,1]
	v_pk_mul_f32 v[90:91], v[140:141], v[124:125] op_sel:[1,1] op_sel_hi:[0,1]
	v_mov_b32_e32 v87, v99
	v_pk_fma_f32 v[98:99], v[138:139], v[122:123], v[88:89] op_sel_hi:[1,0,1]
	v_pk_add_f32 v[84:85], v[92:93], v[84:85]
	v_pk_fma_f32 v[88:89], v[138:139], v[122:123], v[88:89] neg_lo:[0,0,1] neg_hi:[0,0,1]
	v_pk_fma_f32 v[92:93], v[140:141], v[124:125], v[90:91] op_sel_hi:[1,0,1]
	v_pk_mul_f32 v[94:95], v[190:191], v[94:95] op_sel_hi:[1,0]
	v_mov_b32_e32 v89, v99
	v_pk_add_f32 v[84:85], v[84:85], v[86:87]
	v_pk_fma_f32 v[90:91], v[140:141], v[124:125], v[90:91] neg_lo:[0,0,1] neg_hi:[0,0,1]
	s_wait_loadcnt 0x2
	v_pk_mul_f32 v[96:97], v[144:145], v[128:129] op_sel:[1,1] op_sel_hi:[0,1]
	v_dual_mov_b32 v86, v131 :: v_dual_mov_b32 v91, v93
	v_pk_fma_f32 v[92:93], v[142:143], v[126:127], v[94:95] op_sel_hi:[1,0,1]
	v_pk_add_f32 v[84:85], v[84:85], v[88:89]
	v_pk_fma_f32 v[94:95], v[142:143], v[126:127], v[94:95] neg_lo:[0,0,1] neg_hi:[0,0,1]
	v_pk_fma_f32 v[88:89], v[144:145], v[128:129], v[96:97] op_sel_hi:[1,0,1]
	v_pk_mul_f32 v[86:87], v[192:193], v[86:87] op_sel_hi:[1,0]
	v_mov_b32_e32 v95, v93
	v_pk_add_f32 v[84:85], v[84:85], v[90:91]
	v_pk_fma_f32 v[90:91], v[144:145], v[128:129], v[96:97] neg_lo:[0,0,1] neg_hi:[0,0,1]
	v_mov_b32_e32 v91, v89
	v_pk_fma_f32 v[88:89], v[146:147], v[130:131], v[86:87] op_sel_hi:[1,0,1]
	s_wait_loadcnt_dscnt 0x100
	v_pk_mul_f32 v[92:93], v[184:185], v[180:181] op_sel:[1,1] op_sel_hi:[0,1]
	v_pk_add_f32 v[84:85], v[84:85], v[94:95]
	v_pk_fma_f32 v[86:87], v[146:147], v[130:131], v[86:87] neg_lo:[0,0,1] neg_hi:[0,0,1]
	v_mov_b32_e32 v87, v89
	s_delay_alu instid0(VALU_DEP_4) | instskip(NEXT) | instid1(VALU_DEP_4)
	v_pk_fma_f32 v[88:89], v[184:185], v[180:181], v[92:93] op_sel_hi:[1,0,1]
	v_pk_add_f32 v[84:85], v[84:85], v[90:91]
	v_pk_fma_f32 v[90:91], v[184:185], v[180:181], v[92:93] neg_lo:[0,0,1] neg_hi:[0,0,1]
	s_delay_alu instid0(VALU_DEP_3) | instskip(NEXT) | instid1(VALU_DEP_3)
	v_mov_b32_e32 v91, v89
	v_pk_add_f32 v[84:85], v[84:85], v[86:87]
	s_delay_alu instid0(VALU_DEP_1) | instskip(SKIP_1) | instid1(VALU_DEP_1)
	v_pk_add_f32 v[84:85], v[84:85], v[90:91]
	s_wait_loadcnt 0x0
	v_pk_add_f32 v[84:85], v[182:183], v[84:85] neg_lo:[0,1] neg_hi:[0,1]
	scratch_store_b64 off, v[84:85], off offset:120
	s_wait_xcnt 0x0
	v_cmpx_lt_u32_e32 14, v0
	s_cbranch_execz .LBB104_231
; %bb.230:
	scratch_load_b64 v[84:85], off, off offset:112
	v_mov_b64_e32 v[86:87], 0
	scratch_store_b64 off, v[86:87], off offset:112
	s_wait_loadcnt 0x0
	ds_store_b64 v1, v[84:85]
.LBB104_231:
	s_wait_xcnt 0x0
	s_or_b32 exec_lo, exec_lo, s0
	s_wait_storecnt_dscnt 0x0
	s_barrier_signal -1
	s_barrier_wait -1
	s_clause 0xd
	scratch_load_b128 v[84:87], off, off offset:120
	scratch_load_b128 v[88:91], off, off offset:136
	;; [unrolled: 1-line block ×13, first 2 shown]
	scratch_load_b64 v[188:189], off, off offset:112
	ds_load_2addr_b64 v[136:139], v7 offset0:75 offset1:76
	ds_load_2addr_b64 v[140:143], v7 offset0:77 offset1:78
	;; [unrolled: 1-line block ×13, first 2 shown]
	s_mov_b32 s0, exec_lo
	s_wait_dscnt 0xc
	v_dual_mov_b32 v190, v139 :: v_dual_mov_b32 v191, v138
	s_wait_dscnt 0xb
	v_dual_mov_b32 v192, v143 :: v_dual_mov_b32 v193, v142
	;; [unrolled: 2-line block ×4, first 2 shown]
	s_wait_loadcnt_dscnt 0xd08
	v_dual_mul_f32 v7, v152, v85 :: v_dual_mul_f32 v9, v154, v87
	v_dual_mul_f32 v39, v153, v85 :: v_dual_mul_f32 v41, v155, v87
	s_wait_loadcnt_dscnt 0xc07
	v_dual_mul_f32 v11, v156, v89 :: v_dual_mul_f32 v13, v158, v91
	s_delay_alu instid0(VALU_DEP_3) | instskip(SKIP_3) | instid1(VALU_DEP_3)
	v_dual_fmac_f32 v7, v153, v84 :: v_dual_fmac_f32 v9, v155, v86
	s_wait_loadcnt_dscnt 0xa05
	v_dual_fma_f32 v39, v152, v84, -v39 :: v_dual_mul_f32 v51, v165, v97
	v_dual_mul_f32 v43, v157, v89 :: v_dual_mul_f32 v45, v159, v91
	v_dual_fma_f32 v41, v154, v86, -v41 :: v_dual_add_f32 v7, 0, v7
	s_delay_alu instid0(VALU_DEP_3) | instskip(SKIP_1) | instid1(VALU_DEP_4)
	v_dual_add_f32 v39, 0, v39 :: v_dual_fmac_f32 v11, v157, v88
	v_dual_mul_f32 v15, v160, v93 :: v_dual_mul_f32 v17, v162, v95
	v_dual_mul_f32 v53, v167, v99 :: v_dual_fma_f32 v43, v156, v88, -v43
	s_delay_alu instid0(VALU_DEP_4) | instskip(NEXT) | instid1(VALU_DEP_3)
	v_add_f32_e32 v7, v7, v9
	v_dual_add_f32 v9, v39, v41 :: v_dual_fmac_f32 v15, v161, v92
	v_dual_mul_f32 v47, v161, v93 :: v_dual_mul_f32 v49, v163, v95
	s_wait_loadcnt_dscnt 0x903
	v_dual_mul_f32 v39, v173, v101 :: v_dual_fmac_f32 v13, v159, v90
	v_dual_fma_f32 v41, v158, v90, -v45 :: v_dual_add_f32 v7, v7, v11
	s_delay_alu instid0(VALU_DEP_3) | instskip(SKIP_1) | instid1(VALU_DEP_3)
	v_dual_add_f32 v9, v9, v43 :: v_dual_fma_f32 v43, v160, v92, -v47
	v_dual_mul_f32 v19, v164, v97 :: v_dual_mul_f32 v21, v166, v99
	v_add_f32_e32 v7, v7, v13
	s_delay_alu instid0(VALU_DEP_3) | instskip(SKIP_2) | instid1(VALU_DEP_3)
	v_dual_mul_f32 v11, v175, v103 :: v_dual_add_f32 v9, v9, v41
	s_wait_loadcnt_dscnt 0x802
	v_dual_mul_f32 v13, v177, v105 :: v_dual_fmac_f32 v17, v163, v94
	v_dual_fma_f32 v41, v162, v94, -v49 :: v_dual_add_f32 v7, v7, v15
	s_delay_alu instid0(VALU_DEP_3) | instskip(SKIP_1) | instid1(VALU_DEP_3)
	v_dual_add_f32 v9, v9, v43 :: v_dual_fma_f32 v43, v164, v96, -v51
	v_dual_mul_f32 v15, v179, v107 :: v_dual_fmac_f32 v19, v165, v96
	v_add_f32_e32 v7, v7, v17
	s_delay_alu instid0(VALU_DEP_3)
	v_dual_add_f32 v9, v9, v41 :: v_dual_fmac_f32 v21, v167, v98
	v_dual_mul_f32 v23, v172, v101 :: v_dual_mul_f32 v25, v174, v103
	s_wait_loadcnt_dscnt 0x701
	v_dual_fma_f32 v41, v166, v98, -v53 :: v_dual_mul_f32 v17, v181, v109
	v_add_f32_e32 v7, v7, v19
	v_dual_add_f32 v9, v9, v43 :: v_dual_fma_f32 v39, v172, v100, -v39
	v_dual_mul_f32 v19, v183, v111 :: v_dual_fmac_f32 v23, v173, v100
	s_delay_alu instid0(VALU_DEP_3) | instskip(NEXT) | instid1(VALU_DEP_3)
	v_dual_add_f32 v7, v7, v21 :: v_dual_fma_f32 v11, v174, v102, -v11
	v_dual_add_f32 v9, v9, v41 :: v_dual_fmac_f32 v25, v175, v102
	v_dual_mul_f32 v27, v176, v105 :: v_dual_mul_f32 v29, v178, v107
	s_wait_loadcnt_dscnt 0x600
	s_delay_alu instid0(VALU_DEP_3) | instskip(NEXT) | instid1(VALU_DEP_3)
	v_dual_mul_f32 v21, v185, v113 :: v_dual_add_f32 v7, v7, v23
	v_dual_add_f32 v9, v9, v39 :: v_dual_fma_f32 v13, v176, v104, -v13
	s_delay_alu instid0(VALU_DEP_3) | instskip(NEXT) | instid1(VALU_DEP_2)
	v_dual_mul_f32 v23, v187, v115 :: v_dual_fmac_f32 v27, v177, v104
	v_dual_add_f32 v7, v7, v25 :: v_dual_add_f32 v9, v9, v11
	v_dual_mul_f32 v31, v180, v109 :: v_dual_mul_f32 v33, v182, v111
	s_wait_loadcnt 0x5
	v_dual_mul_f32 v11, v169, v117 :: v_dual_fmac_f32 v29, v179, v106
	s_delay_alu instid0(VALU_DEP_3) | instskip(SKIP_2) | instid1(VALU_DEP_2)
	v_dual_fma_f32 v15, v178, v106, -v15 :: v_dual_add_f32 v7, v7, v27
	v_dual_add_f32 v9, v9, v13 :: v_dual_mul_f32 v13, v171, v119
	v_dual_fmac_f32 v31, v181, v108 :: v_dual_fma_f32 v17, v180, v108, -v17
	v_dual_add_f32 v7, v7, v29 :: v_dual_add_f32 v9, v9, v15
	v_dual_mul_f32 v35, v184, v113 :: v_dual_mul_f32 v37, v186, v115
	v_dual_fmac_f32 v33, v183, v110 :: v_dual_fma_f32 v15, v182, v110, -v19
	s_delay_alu instid0(VALU_DEP_3) | instskip(SKIP_1) | instid1(VALU_DEP_3)
	v_dual_add_f32 v7, v7, v31 :: v_dual_add_f32 v9, v9, v17
	s_wait_loadcnt 0x4
	v_dual_mov_b32 v86, v123 :: v_dual_fmac_f32 v35, v185, v112
	s_delay_alu instid0(VALU_DEP_2) | instskip(NEXT) | instid1(VALU_DEP_3)
	v_dual_fma_f32 v17, v184, v112, -v21 :: v_dual_add_f32 v7, v7, v33
	v_dual_add_f32 v9, v9, v15 :: v_dual_fmac_f32 v37, v187, v114
	v_dual_mul_f32 v199, v168, v117 :: v_dual_mul_f32 v201, v170, v119
	s_delay_alu instid0(VALU_DEP_3) | instskip(SKIP_1) | instid1(VALU_DEP_3)
	v_dual_fma_f32 v15, v186, v114, -v23 :: v_dual_add_f32 v7, v7, v35
	s_wait_loadcnt 0x3
	v_dual_add_f32 v9, v9, v17 :: v_dual_mov_b32 v90, v127
	v_pk_mul_f32 v[84:85], v[136:137], v[120:121] op_sel:[1,1] op_sel_hi:[0,1]
	s_delay_alu instid0(VALU_DEP_3) | instskip(NEXT) | instid1(VALU_DEP_3)
	v_dual_fmac_f32 v199, v169, v116 :: v_dual_add_f32 v93, v7, v37
	v_dual_fma_f32 v198, v168, v116, -v11 :: v_dual_add_f32 v92, v9, v15
	v_fmac_f32_e32 v201, v171, v118
	s_delay_alu instid0(VALU_DEP_4)
	v_pk_fma_f32 v[94:95], v[136:137], v[120:121], v[84:85] op_sel_hi:[1,0,1]
	v_fma_f32 v200, v170, v118, -v13
	v_pk_mul_f32 v[86:87], v[190:191], v[86:87] op_sel_hi:[1,0]
	v_pk_add_f32 v[92:93], v[92:93], v[198:199]
	v_pk_fma_f32 v[84:85], v[136:137], v[120:121], v[84:85] neg_lo:[0,0,1] neg_hi:[0,0,1]
	v_pk_mul_f32 v[88:89], v[140:141], v[124:125] op_sel:[1,1] op_sel_hi:[0,1]
	v_mov_b32_e32 v85, v95
	v_pk_fma_f32 v[94:95], v[138:139], v[122:123], v[86:87] op_sel_hi:[1,0,1]
	v_pk_add_f32 v[92:93], v[92:93], v[200:201]
	v_pk_fma_f32 v[86:87], v[138:139], v[122:123], v[86:87] neg_lo:[0,0,1] neg_hi:[0,0,1]
	v_pk_fma_f32 v[98:99], v[140:141], v[124:125], v[88:89] op_sel_hi:[1,0,1]
	v_pk_mul_f32 v[90:91], v[192:193], v[90:91] op_sel_hi:[1,0]
	v_mov_b32_e32 v87, v95
	v_pk_add_f32 v[84:85], v[92:93], v[84:85]
	s_wait_loadcnt 0x2
	v_pk_mul_f32 v[96:97], v[144:145], v[128:129] op_sel:[1,1] op_sel_hi:[0,1]
	v_mov_b32_e32 v92, v131
	v_pk_fma_f32 v[88:89], v[140:141], v[124:125], v[88:89] neg_lo:[0,0,1] neg_hi:[0,0,1]
	v_pk_fma_f32 v[94:95], v[142:143], v[126:127], v[90:91] op_sel_hi:[1,0,1]
	v_mov_b32_e32 v89, v99
	v_pk_add_f32 v[84:85], v[84:85], v[86:87]
	v_pk_fma_f32 v[86:87], v[144:145], v[128:129], v[96:97] op_sel_hi:[1,0,1]
	v_pk_mul_f32 v[92:93], v[194:195], v[92:93] op_sel_hi:[1,0]
	v_pk_fma_f32 v[90:91], v[142:143], v[126:127], v[90:91] neg_lo:[0,0,1] neg_hi:[0,0,1]
	v_mov_b32_e32 v91, v95
	v_pk_add_f32 v[84:85], v[84:85], v[88:89]
	v_pk_fma_f32 v[94:95], v[144:145], v[128:129], v[96:97] neg_lo:[0,0,1] neg_hi:[0,0,1]
	v_mov_b32_e32 v95, v87
	v_pk_fma_f32 v[86:87], v[146:147], v[130:131], v[92:93] op_sel_hi:[1,0,1]
	s_wait_loadcnt 0x1
	v_pk_mul_f32 v[88:89], v[148:149], v[132:133] op_sel:[1,1] op_sel_hi:[0,1]
	v_pk_add_f32 v[84:85], v[84:85], v[90:91]
	v_mov_b32_e32 v86, v135
	v_pk_fma_f32 v[92:93], v[146:147], v[130:131], v[92:93] neg_lo:[0,0,1] neg_hi:[0,0,1]
	s_delay_alu instid0(VALU_DEP_4)
	v_pk_fma_f32 v[90:91], v[148:149], v[132:133], v[88:89] op_sel_hi:[1,0,1]
	v_mov_b32_e32 v93, v87
	v_pk_add_f32 v[84:85], v[84:85], v[94:95]
	v_pk_mul_f32 v[86:87], v[196:197], v[86:87] op_sel_hi:[1,0]
	v_pk_fma_f32 v[88:89], v[148:149], v[132:133], v[88:89] neg_lo:[0,0,1] neg_hi:[0,0,1]
	v_mov_b32_e32 v89, v91
	s_delay_alu instid0(VALU_DEP_4) | instskip(NEXT) | instid1(VALU_DEP_4)
	v_pk_add_f32 v[84:85], v[84:85], v[92:93]
	v_pk_fma_f32 v[90:91], v[150:151], v[134:135], v[86:87] op_sel_hi:[1,0,1]
	v_pk_fma_f32 v[86:87], v[150:151], v[134:135], v[86:87] neg_lo:[0,0,1] neg_hi:[0,0,1]
	s_delay_alu instid0(VALU_DEP_3) | instskip(NEXT) | instid1(VALU_DEP_3)
	v_pk_add_f32 v[84:85], v[84:85], v[88:89]
	v_mov_b32_e32 v87, v91
	s_delay_alu instid0(VALU_DEP_1) | instskip(SKIP_1) | instid1(VALU_DEP_1)
	v_pk_add_f32 v[84:85], v[84:85], v[86:87]
	s_wait_loadcnt 0x0
	v_pk_add_f32 v[84:85], v[188:189], v[84:85] neg_lo:[0,1] neg_hi:[0,1]
	scratch_store_b64 off, v[84:85], off offset:112
	s_wait_xcnt 0x0
	v_cmpx_lt_u32_e32 13, v0
	s_cbranch_execz .LBB104_233
; %bb.232:
	scratch_load_b64 v[84:85], off, off offset:104
	v_mov_b64_e32 v[86:87], 0
	scratch_store_b64 off, v[86:87], off offset:104
	s_wait_loadcnt 0x0
	ds_store_b64 v1, v[84:85]
.LBB104_233:
	s_wait_xcnt 0x0
	s_or_b32 exec_lo, exec_lo, s0
	s_wait_storecnt_dscnt 0x0
	s_barrier_signal -1
	s_barrier_wait -1
	s_clause 0xe
	scratch_load_b128 v[84:87], off, off offset:112
	scratch_load_b128 v[88:91], off, off offset:128
	;; [unrolled: 1-line block ×13, first 2 shown]
	scratch_load_b64 v[188:189], off, off offset:320
	scratch_load_b64 v[190:191], off, off offset:104
	v_mov_b32_e32 v7, 0
	ds_load_b128 v[136:139], v7 offset:592
	ds_load_b128 v[140:143], v7 offset:608
	;; [unrolled: 1-line block ×13, first 2 shown]
	ds_load_b64 v[192:193], v7 offset:656
	s_mov_b32 s0, exec_lo
	s_wait_dscnt 0xd
	v_dual_mov_b32 v194, v139 :: v_dual_mov_b32 v195, v138
	s_wait_dscnt 0xa
	v_dual_mov_b32 v196, v143 :: v_dual_mov_b32 v201, v150
	v_dual_mov_b32 v197, v142 :: v_dual_mov_b32 v198, v147
	;; [unrolled: 1-line block ×3, first 2 shown]
	s_wait_loadcnt_dscnt 0xe09
	v_dual_mul_f32 v9, v152, v85 :: v_dual_mul_f32 v43, v153, v85
	v_dual_mul_f32 v45, v155, v87 :: v_dual_mul_f32 v11, v154, v87
	s_wait_loadcnt_dscnt 0xd08
	v_mul_f32_e32 v13, v156, v89
	s_wait_loadcnt_dscnt 0xb05
	v_dual_mul_f32 v55, v169, v97 :: v_dual_fma_f32 v43, v152, v84, -v43
	v_dual_fmac_f32 v9, v153, v84 :: v_dual_mul_f32 v57, v171, v99
	v_dual_mul_f32 v47, v157, v89 :: v_dual_mul_f32 v49, v159, v91
	v_dual_fmac_f32 v11, v155, v86 :: v_dual_fma_f32 v45, v154, v86, -v45
	s_delay_alu instid0(VALU_DEP_3) | instskip(SKIP_4) | instid1(VALU_DEP_3)
	v_dual_add_f32 v9, 0, v9 :: v_dual_add_f32 v43, 0, v43
	v_dual_mul_f32 v15, v158, v91 :: v_dual_mul_f32 v17, v160, v93
	s_wait_loadcnt_dscnt 0xa04
	v_dual_mul_f32 v59, v173, v101 :: v_dual_fma_f32 v47, v156, v88, -v47
	v_fmac_f32_e32 v13, v157, v88
	v_dual_add_f32 v9, v9, v11 :: v_dual_fmac_f32 v15, v159, v90
	v_add_f32_e32 v11, v43, v45
	v_dual_mul_f32 v51, v161, v93 :: v_dual_mul_f32 v53, v163, v95
	v_dual_mul_f32 v43, v175, v103 :: v_dual_fma_f32 v45, v158, v90, -v49
	s_delay_alu instid0(VALU_DEP_3) | instskip(SKIP_3) | instid1(VALU_DEP_3)
	v_dual_add_f32 v9, v9, v13 :: v_dual_add_f32 v11, v11, v47
	v_dual_mul_f32 v19, v162, v95 :: v_dual_mul_f32 v21, v168, v97
	s_wait_loadcnt_dscnt 0x903
	v_dual_mul_f32 v13, v177, v105 :: v_dual_fma_f32 v47, v160, v92, -v51
	v_dual_fmac_f32 v17, v161, v92 :: v_dual_add_f32 v11, v11, v45
	s_delay_alu instid0(VALU_DEP_3) | instskip(SKIP_1) | instid1(VALU_DEP_2)
	v_dual_add_f32 v9, v9, v15 :: v_dual_fmac_f32 v19, v163, v94
	v_dual_mul_f32 v15, v179, v107 :: v_dual_fma_f32 v45, v162, v94, -v53
	v_dual_add_f32 v11, v11, v47 :: v_dual_add_f32 v9, v9, v17
	v_dual_mul_f32 v23, v170, v99 :: v_dual_mul_f32 v25, v172, v101
	s_wait_loadcnt_dscnt 0x802
	v_dual_mul_f32 v17, v181, v109 :: v_dual_fma_f32 v47, v168, v96, -v55
	s_delay_alu instid0(VALU_DEP_3) | instskip(NEXT) | instid1(VALU_DEP_3)
	v_dual_fmac_f32 v21, v169, v96 :: v_dual_add_f32 v11, v11, v45
	v_dual_add_f32 v9, v9, v19 :: v_dual_fmac_f32 v23, v171, v98
	v_dual_mul_f32 v19, v183, v111 :: v_dual_fma_f32 v45, v170, v98, -v57
	s_delay_alu instid0(VALU_DEP_2) | instskip(SKIP_3) | instid1(VALU_DEP_3)
	v_dual_add_f32 v11, v11, v47 :: v_dual_add_f32 v9, v9, v21
	v_dual_mul_f32 v27, v174, v103 :: v_dual_mul_f32 v29, v176, v105
	s_wait_loadcnt_dscnt 0x701
	v_dual_mul_f32 v21, v185, v113 :: v_dual_fma_f32 v47, v172, v100, -v59
	v_dual_fmac_f32 v25, v173, v100 :: v_dual_add_f32 v11, v11, v45
	s_delay_alu instid0(VALU_DEP_3) | instskip(SKIP_1) | instid1(VALU_DEP_2)
	v_dual_add_f32 v9, v9, v23 :: v_dual_fmac_f32 v27, v175, v102
	v_dual_mul_f32 v23, v187, v115 :: v_dual_fma_f32 v43, v174, v102, -v43
	v_dual_add_f32 v11, v11, v47 :: v_dual_add_f32 v9, v9, v25
	v_dual_mul_f32 v31, v178, v107 :: v_dual_mul_f32 v33, v180, v109
	s_wait_loadcnt 0x6
	v_dual_mul_f32 v25, v165, v117 :: v_dual_fma_f32 v13, v176, v104, -v13
	s_delay_alu instid0(VALU_DEP_3) | instskip(NEXT) | instid1(VALU_DEP_3)
	v_dual_fmac_f32 v29, v177, v104 :: v_dual_add_f32 v11, v11, v43
	v_dual_add_f32 v9, v9, v27 :: v_dual_fmac_f32 v31, v179, v106
	v_dual_mul_f32 v27, v167, v119 :: v_dual_fma_f32 v15, v178, v106, -v15
	s_delay_alu instid0(VALU_DEP_3) | instskip(NEXT) | instid1(VALU_DEP_3)
	v_dual_add_f32 v11, v11, v13 :: v_dual_fmac_f32 v33, v181, v108
	v_dual_add_f32 v9, v9, v29 :: v_dual_fma_f32 v17, v180, v108, -v17
	v_dual_mul_f32 v35, v182, v111 :: v_dual_mul_f32 v37, v184, v113
	s_wait_loadcnt 0x5
	s_delay_alu instid0(VALU_DEP_3) | instskip(NEXT) | instid1(VALU_DEP_3)
	v_dual_mul_f32 v13, v137, v121 :: v_dual_add_f32 v11, v11, v15
	v_dual_add_f32 v9, v9, v31 :: v_dual_mov_b32 v84, v123
	s_delay_alu instid0(VALU_DEP_3) | instskip(NEXT) | instid1(VALU_DEP_3)
	v_fmac_f32_e32 v35, v183, v110
	v_dual_fma_f32 v15, v182, v110, -v19 :: v_dual_add_f32 v11, v11, v17
	s_delay_alu instid0(VALU_DEP_3) | instskip(SKIP_1) | instid1(VALU_DEP_3)
	v_dual_add_f32 v9, v9, v33 :: v_dual_mul_f32 v39, v186, v115
	v_dual_mul_f32 v41, v164, v117 :: v_dual_fmac_f32 v37, v185, v112
	v_dual_add_f32 v11, v11, v15 :: v_dual_fma_f32 v17, v184, v112, -v21
	s_wait_loadcnt 0x4
	s_delay_alu instid0(VALU_DEP_3) | instskip(SKIP_3) | instid1(VALU_DEP_4)
	v_dual_add_f32 v9, v9, v35 :: v_dual_mov_b32 v88, v127
	v_fma_f32 v15, v186, v114, -v23
	v_fmac_f32_e32 v39, v187, v114
	v_dual_add_f32 v11, v11, v17 :: v_dual_fmac_f32 v41, v165, v116
	v_dual_add_f32 v9, v9, v37 :: v_dual_mul_f32 v203, v166, v119
	v_mul_f32_e32 v205, v136, v121
	s_delay_alu instid0(VALU_DEP_3) | instskip(NEXT) | instid1(VALU_DEP_3)
	v_dual_fma_f32 v17, v164, v116, -v25 :: v_dual_add_f32 v11, v11, v15
	v_dual_fma_f32 v202, v166, v118, -v27 :: v_dual_add_f32 v9, v9, v39
	s_delay_alu instid0(VALU_DEP_4) | instskip(SKIP_1) | instid1(VALU_DEP_4)
	v_fmac_f32_e32 v203, v167, v118
	v_pk_mul_f32 v[84:85], v[194:195], v[84:85] op_sel_hi:[1,0]
	v_dual_add_f32 v92, v11, v17 :: v_dual_fmac_f32 v205, v137, v120
	s_delay_alu instid0(VALU_DEP_4)
	v_add_f32_e32 v93, v9, v41
	v_pk_mul_f32 v[86:87], v[140:141], v[124:125] op_sel:[1,1] op_sel_hi:[0,1]
	s_wait_loadcnt 0x3
	v_dual_mov_b32 v94, v131 :: v_dual_fma_f32 v204, v136, v120, -v13
	v_pk_fma_f32 v[96:97], v[138:139], v[122:123], v[84:85] op_sel_hi:[1,0,1]
	v_pk_add_f32 v[92:93], v[92:93], v[202:203]
	v_pk_fma_f32 v[84:85], v[138:139], v[122:123], v[84:85] neg_lo:[0,0,1] neg_hi:[0,0,1]
	v_pk_fma_f32 v[98:99], v[140:141], v[124:125], v[86:87] op_sel_hi:[1,0,1]
	v_pk_mul_f32 v[88:89], v[196:197], v[88:89] op_sel_hi:[1,0]
	v_mov_b32_e32 v85, v97
	v_pk_add_f32 v[92:93], v[92:93], v[204:205]
	v_pk_fma_f32 v[86:87], v[140:141], v[124:125], v[86:87] neg_lo:[0,0,1] neg_hi:[0,0,1]
	v_pk_mul_f32 v[90:91], v[144:145], v[128:129] op_sel:[1,1] op_sel_hi:[0,1]
	v_mov_b32_e32 v87, v99
	v_pk_fma_f32 v[98:99], v[142:143], v[126:127], v[88:89] op_sel_hi:[1,0,1]
	v_pk_add_f32 v[84:85], v[92:93], v[84:85]
	v_pk_fma_f32 v[88:89], v[142:143], v[126:127], v[88:89] neg_lo:[0,0,1] neg_hi:[0,0,1]
	v_pk_fma_f32 v[92:93], v[144:145], v[128:129], v[90:91] op_sel_hi:[1,0,1]
	v_pk_mul_f32 v[94:95], v[198:199], v[94:95] op_sel_hi:[1,0]
	v_mov_b32_e32 v89, v99
	v_pk_add_f32 v[84:85], v[84:85], v[86:87]
	v_pk_fma_f32 v[90:91], v[144:145], v[128:129], v[90:91] neg_lo:[0,0,1] neg_hi:[0,0,1]
	s_wait_loadcnt 0x2
	v_pk_mul_f32 v[96:97], v[148:149], v[132:133] op_sel:[1,1] op_sel_hi:[0,1]
	v_dual_mov_b32 v86, v135 :: v_dual_mov_b32 v91, v93
	v_pk_fma_f32 v[92:93], v[146:147], v[130:131], v[94:95] op_sel_hi:[1,0,1]
	v_pk_add_f32 v[84:85], v[84:85], v[88:89]
	v_pk_fma_f32 v[94:95], v[146:147], v[130:131], v[94:95] neg_lo:[0,0,1] neg_hi:[0,0,1]
	v_pk_fma_f32 v[88:89], v[148:149], v[132:133], v[96:97] op_sel_hi:[1,0,1]
	v_pk_mul_f32 v[86:87], v[200:201], v[86:87] op_sel_hi:[1,0]
	v_mov_b32_e32 v95, v93
	v_pk_add_f32 v[84:85], v[84:85], v[90:91]
	v_pk_fma_f32 v[90:91], v[148:149], v[132:133], v[96:97] neg_lo:[0,0,1] neg_hi:[0,0,1]
	v_mov_b32_e32 v91, v89
	v_pk_fma_f32 v[88:89], v[150:151], v[134:135], v[86:87] op_sel_hi:[1,0,1]
	s_wait_loadcnt_dscnt 0x100
	v_pk_mul_f32 v[92:93], v[192:193], v[188:189] op_sel:[1,1] op_sel_hi:[0,1]
	v_pk_add_f32 v[84:85], v[84:85], v[94:95]
	v_pk_fma_f32 v[86:87], v[150:151], v[134:135], v[86:87] neg_lo:[0,0,1] neg_hi:[0,0,1]
	v_mov_b32_e32 v87, v89
	s_delay_alu instid0(VALU_DEP_4) | instskip(NEXT) | instid1(VALU_DEP_4)
	v_pk_fma_f32 v[88:89], v[192:193], v[188:189], v[92:93] op_sel_hi:[1,0,1]
	v_pk_add_f32 v[84:85], v[84:85], v[90:91]
	v_pk_fma_f32 v[90:91], v[192:193], v[188:189], v[92:93] neg_lo:[0,0,1] neg_hi:[0,0,1]
	s_delay_alu instid0(VALU_DEP_3) | instskip(NEXT) | instid1(VALU_DEP_3)
	v_mov_b32_e32 v91, v89
	v_pk_add_f32 v[84:85], v[84:85], v[86:87]
	s_delay_alu instid0(VALU_DEP_1) | instskip(SKIP_1) | instid1(VALU_DEP_1)
	v_pk_add_f32 v[84:85], v[84:85], v[90:91]
	s_wait_loadcnt 0x0
	v_pk_add_f32 v[84:85], v[190:191], v[84:85] neg_lo:[0,1] neg_hi:[0,1]
	scratch_store_b64 off, v[84:85], off offset:104
	s_wait_xcnt 0x0
	v_cmpx_lt_u32_e32 12, v0
	s_cbranch_execz .LBB104_235
; %bb.234:
	scratch_load_b64 v[84:85], off, off offset:96
	v_mov_b64_e32 v[86:87], 0
	scratch_store_b64 off, v[86:87], off offset:96
	s_wait_loadcnt 0x0
	ds_store_b64 v1, v[84:85]
.LBB104_235:
	s_wait_xcnt 0x0
	s_or_b32 exec_lo, exec_lo, s0
	s_wait_storecnt_dscnt 0x0
	s_barrier_signal -1
	s_barrier_wait -1
	s_clause 0xe
	scratch_load_b128 v[84:87], off, off offset:104
	scratch_load_b128 v[88:91], off, off offset:120
	;; [unrolled: 1-line block ×14, first 2 shown]
	scratch_load_b64 v[196:197], off, off offset:96
	ds_load_2addr_b64 v[140:143], v7 offset0:75 offset1:76
	ds_load_2addr_b64 v[144:147], v7 offset0:77 offset1:78
	;; [unrolled: 1-line block ×14, first 2 shown]
	s_mov_b32 s0, exec_lo
	s_wait_dscnt 0xd
	v_dual_mov_b32 v198, v143 :: v_dual_mov_b32 v199, v142
	s_wait_dscnt 0xc
	v_dual_mov_b32 v200, v147 :: v_dual_mov_b32 v201, v146
	;; [unrolled: 2-line block ×4, first 2 shown]
	s_wait_loadcnt_dscnt 0xe09
	v_dual_mul_f32 v7, v156, v85 :: v_dual_mul_f32 v9, v158, v87
	v_dual_mul_f32 v43, v157, v85 :: v_dual_mul_f32 v45, v159, v87
	s_wait_loadcnt_dscnt 0xd08
	v_dual_mul_f32 v11, v160, v89 :: v_dual_mul_f32 v13, v162, v91
	s_delay_alu instid0(VALU_DEP_3) | instskip(SKIP_3) | instid1(VALU_DEP_3)
	v_dual_fmac_f32 v7, v157, v84 :: v_dual_fmac_f32 v9, v159, v86
	s_wait_loadcnt_dscnt 0xb06
	v_dual_fma_f32 v43, v156, v84, -v43 :: v_dual_mul_f32 v55, v169, v97
	v_dual_mul_f32 v47, v161, v89 :: v_dual_mul_f32 v49, v163, v91
	v_dual_fma_f32 v45, v158, v86, -v45 :: v_dual_add_f32 v7, 0, v7
	s_delay_alu instid0(VALU_DEP_3) | instskip(SKIP_1) | instid1(VALU_DEP_4)
	v_dual_add_f32 v43, 0, v43 :: v_dual_fmac_f32 v11, v161, v88
	v_dual_mul_f32 v15, v164, v93 :: v_dual_mul_f32 v17, v166, v95
	v_dual_mul_f32 v57, v171, v99 :: v_dual_fma_f32 v47, v160, v88, -v47
	s_delay_alu instid0(VALU_DEP_4) | instskip(NEXT) | instid1(VALU_DEP_3)
	v_add_f32_e32 v7, v7, v9
	v_dual_add_f32 v9, v43, v45 :: v_dual_fmac_f32 v15, v165, v92
	v_dual_mul_f32 v51, v165, v93 :: v_dual_mul_f32 v53, v167, v95
	s_wait_loadcnt_dscnt 0xa05
	v_dual_mul_f32 v43, v173, v101 :: v_dual_fmac_f32 v13, v163, v90
	v_dual_fma_f32 v45, v162, v90, -v49 :: v_dual_add_f32 v7, v7, v11
	s_delay_alu instid0(VALU_DEP_3) | instskip(SKIP_1) | instid1(VALU_DEP_3)
	v_dual_add_f32 v9, v9, v47 :: v_dual_fma_f32 v47, v164, v92, -v51
	v_dual_mul_f32 v19, v168, v97 :: v_dual_mul_f32 v21, v170, v99
	v_add_f32_e32 v7, v7, v13
	s_delay_alu instid0(VALU_DEP_3) | instskip(SKIP_2) | instid1(VALU_DEP_3)
	v_dual_mul_f32 v11, v175, v103 :: v_dual_add_f32 v9, v9, v45
	s_wait_loadcnt_dscnt 0x904
	v_dual_mul_f32 v13, v177, v105 :: v_dual_fmac_f32 v17, v167, v94
	v_dual_fma_f32 v45, v166, v94, -v53 :: v_dual_add_f32 v7, v7, v15
	s_delay_alu instid0(VALU_DEP_3) | instskip(SKIP_1) | instid1(VALU_DEP_3)
	v_dual_add_f32 v9, v9, v47 :: v_dual_fma_f32 v47, v168, v96, -v55
	v_dual_mul_f32 v15, v179, v107 :: v_dual_fmac_f32 v19, v169, v96
	v_add_f32_e32 v7, v7, v17
	s_delay_alu instid0(VALU_DEP_3)
	v_dual_add_f32 v9, v9, v45 :: v_dual_fmac_f32 v21, v171, v98
	v_dual_mul_f32 v23, v172, v101 :: v_dual_mul_f32 v25, v174, v103
	s_wait_loadcnt_dscnt 0x803
	v_dual_fma_f32 v45, v170, v98, -v57 :: v_dual_mul_f32 v17, v181, v109
	v_add_f32_e32 v7, v7, v19
	v_dual_add_f32 v9, v9, v47 :: v_dual_fma_f32 v43, v172, v100, -v43
	v_dual_mul_f32 v19, v183, v111 :: v_dual_fmac_f32 v23, v173, v100
	s_delay_alu instid0(VALU_DEP_3) | instskip(NEXT) | instid1(VALU_DEP_3)
	v_dual_add_f32 v7, v7, v21 :: v_dual_fma_f32 v11, v174, v102, -v11
	v_dual_add_f32 v9, v9, v45 :: v_dual_fmac_f32 v25, v175, v102
	v_dual_mul_f32 v27, v176, v105 :: v_dual_mul_f32 v29, v178, v107
	s_wait_loadcnt_dscnt 0x702
	s_delay_alu instid0(VALU_DEP_3) | instskip(NEXT) | instid1(VALU_DEP_3)
	v_dual_mul_f32 v21, v185, v113 :: v_dual_add_f32 v7, v7, v23
	v_dual_add_f32 v9, v9, v43 :: v_dual_fma_f32 v13, v176, v104, -v13
	s_delay_alu instid0(VALU_DEP_3) | instskip(NEXT) | instid1(VALU_DEP_2)
	v_dual_mul_f32 v23, v187, v115 :: v_dual_fmac_f32 v27, v177, v104
	v_dual_add_f32 v7, v7, v25 :: v_dual_add_f32 v9, v9, v11
	v_dual_mul_f32 v31, v180, v109 :: v_dual_mul_f32 v33, v182, v111
	s_wait_loadcnt_dscnt 0x601
	v_dual_mul_f32 v11, v189, v117 :: v_dual_fmac_f32 v29, v179, v106
	s_delay_alu instid0(VALU_DEP_3) | instskip(SKIP_2) | instid1(VALU_DEP_2)
	v_dual_fma_f32 v15, v178, v106, -v15 :: v_dual_add_f32 v7, v7, v27
	v_dual_add_f32 v9, v9, v13 :: v_dual_mul_f32 v13, v191, v119
	v_dual_fmac_f32 v31, v181, v108 :: v_dual_fma_f32 v17, v180, v108, -v17
	v_dual_add_f32 v7, v7, v29 :: v_dual_add_f32 v9, v9, v15
	v_dual_mul_f32 v35, v184, v113 :: v_dual_mul_f32 v37, v186, v115
	s_wait_loadcnt_dscnt 0x500
	v_dual_mul_f32 v15, v193, v121 :: v_dual_fmac_f32 v33, v183, v110
	s_delay_alu instid0(VALU_DEP_3) | instskip(SKIP_2) | instid1(VALU_DEP_2)
	v_dual_fma_f32 v19, v182, v110, -v19 :: v_dual_add_f32 v7, v7, v31
	v_dual_add_f32 v9, v9, v17 :: v_dual_mul_f32 v17, v195, v123
	v_dual_fmac_f32 v35, v185, v112 :: v_dual_fma_f32 v21, v184, v112, -v21
	v_dual_add_f32 v7, v7, v33 :: v_dual_add_f32 v9, v9, v19
	v_dual_mul_f32 v39, v188, v117 :: v_dual_mul_f32 v41, v190, v119
	v_dual_fmac_f32 v37, v187, v114 :: v_dual_fma_f32 v19, v186, v114, -v23
	s_delay_alu instid0(VALU_DEP_3) | instskip(SKIP_1) | instid1(VALU_DEP_3)
	v_dual_add_f32 v7, v7, v35 :: v_dual_add_f32 v9, v9, v21
	s_wait_loadcnt 0x4
	v_dual_mov_b32 v86, v127 :: v_dual_fmac_f32 v39, v189, v116
	s_delay_alu instid0(VALU_DEP_2) | instskip(NEXT) | instid1(VALU_DEP_3)
	v_dual_fma_f32 v11, v188, v116, -v11 :: v_dual_add_f32 v7, v7, v37
	v_dual_add_f32 v9, v9, v19 :: v_dual_fmac_f32 v41, v191, v118
	v_dual_mul_f32 v207, v192, v121 :: v_dual_mul_f32 v209, v194, v123
	s_delay_alu instid0(VALU_DEP_3) | instskip(SKIP_1) | instid1(VALU_DEP_3)
	v_dual_fma_f32 v13, v190, v118, -v13 :: v_dual_add_f32 v7, v7, v39
	s_wait_loadcnt 0x3
	v_dual_add_f32 v9, v9, v11 :: v_dual_mov_b32 v90, v131
	v_pk_mul_f32 v[84:85], v[140:141], v[124:125] op_sel:[1,1] op_sel_hi:[0,1]
	s_delay_alu instid0(VALU_DEP_3) | instskip(NEXT) | instid1(VALU_DEP_3)
	v_dual_fmac_f32 v207, v193, v120 :: v_dual_add_f32 v93, v7, v41
	v_dual_fma_f32 v206, v192, v120, -v15 :: v_dual_add_f32 v92, v9, v13
	v_fmac_f32_e32 v209, v195, v122
	s_delay_alu instid0(VALU_DEP_4)
	v_pk_fma_f32 v[94:95], v[140:141], v[124:125], v[84:85] op_sel_hi:[1,0,1]
	v_fma_f32 v208, v194, v122, -v17
	v_pk_mul_f32 v[86:87], v[198:199], v[86:87] op_sel_hi:[1,0]
	v_pk_add_f32 v[92:93], v[92:93], v[206:207]
	v_pk_fma_f32 v[84:85], v[140:141], v[124:125], v[84:85] neg_lo:[0,0,1] neg_hi:[0,0,1]
	v_pk_mul_f32 v[88:89], v[144:145], v[128:129] op_sel:[1,1] op_sel_hi:[0,1]
	v_mov_b32_e32 v85, v95
	v_pk_fma_f32 v[94:95], v[142:143], v[126:127], v[86:87] op_sel_hi:[1,0,1]
	v_pk_add_f32 v[92:93], v[92:93], v[208:209]
	v_pk_fma_f32 v[86:87], v[142:143], v[126:127], v[86:87] neg_lo:[0,0,1] neg_hi:[0,0,1]
	v_pk_fma_f32 v[98:99], v[144:145], v[128:129], v[88:89] op_sel_hi:[1,0,1]
	v_pk_mul_f32 v[90:91], v[200:201], v[90:91] op_sel_hi:[1,0]
	v_mov_b32_e32 v87, v95
	v_pk_add_f32 v[84:85], v[92:93], v[84:85]
	s_wait_loadcnt 0x2
	v_pk_mul_f32 v[96:97], v[148:149], v[132:133] op_sel:[1,1] op_sel_hi:[0,1]
	v_mov_b32_e32 v92, v135
	v_pk_fma_f32 v[88:89], v[144:145], v[128:129], v[88:89] neg_lo:[0,0,1] neg_hi:[0,0,1]
	v_pk_fma_f32 v[94:95], v[146:147], v[130:131], v[90:91] op_sel_hi:[1,0,1]
	v_mov_b32_e32 v89, v99
	v_pk_add_f32 v[84:85], v[84:85], v[86:87]
	v_pk_fma_f32 v[86:87], v[148:149], v[132:133], v[96:97] op_sel_hi:[1,0,1]
	v_pk_mul_f32 v[92:93], v[202:203], v[92:93] op_sel_hi:[1,0]
	v_pk_fma_f32 v[90:91], v[146:147], v[130:131], v[90:91] neg_lo:[0,0,1] neg_hi:[0,0,1]
	v_mov_b32_e32 v91, v95
	v_pk_add_f32 v[84:85], v[84:85], v[88:89]
	v_pk_fma_f32 v[94:95], v[148:149], v[132:133], v[96:97] neg_lo:[0,0,1] neg_hi:[0,0,1]
	v_mov_b32_e32 v95, v87
	v_pk_fma_f32 v[86:87], v[150:151], v[134:135], v[92:93] op_sel_hi:[1,0,1]
	s_wait_loadcnt 0x1
	v_pk_mul_f32 v[88:89], v[152:153], v[136:137] op_sel:[1,1] op_sel_hi:[0,1]
	v_pk_add_f32 v[84:85], v[84:85], v[90:91]
	v_mov_b32_e32 v86, v139
	v_pk_fma_f32 v[92:93], v[150:151], v[134:135], v[92:93] neg_lo:[0,0,1] neg_hi:[0,0,1]
	s_delay_alu instid0(VALU_DEP_4)
	v_pk_fma_f32 v[90:91], v[152:153], v[136:137], v[88:89] op_sel_hi:[1,0,1]
	v_mov_b32_e32 v93, v87
	v_pk_add_f32 v[84:85], v[84:85], v[94:95]
	v_pk_mul_f32 v[86:87], v[204:205], v[86:87] op_sel_hi:[1,0]
	v_pk_fma_f32 v[88:89], v[152:153], v[136:137], v[88:89] neg_lo:[0,0,1] neg_hi:[0,0,1]
	v_mov_b32_e32 v89, v91
	s_delay_alu instid0(VALU_DEP_4) | instskip(NEXT) | instid1(VALU_DEP_4)
	v_pk_add_f32 v[84:85], v[84:85], v[92:93]
	v_pk_fma_f32 v[90:91], v[154:155], v[138:139], v[86:87] op_sel_hi:[1,0,1]
	v_pk_fma_f32 v[86:87], v[154:155], v[138:139], v[86:87] neg_lo:[0,0,1] neg_hi:[0,0,1]
	s_delay_alu instid0(VALU_DEP_3) | instskip(NEXT) | instid1(VALU_DEP_3)
	v_pk_add_f32 v[84:85], v[84:85], v[88:89]
	v_mov_b32_e32 v87, v91
	s_delay_alu instid0(VALU_DEP_1) | instskip(SKIP_1) | instid1(VALU_DEP_1)
	v_pk_add_f32 v[84:85], v[84:85], v[86:87]
	s_wait_loadcnt 0x0
	v_pk_add_f32 v[84:85], v[196:197], v[84:85] neg_lo:[0,1] neg_hi:[0,1]
	scratch_store_b64 off, v[84:85], off offset:96
	s_wait_xcnt 0x0
	v_cmpx_lt_u32_e32 11, v0
	s_cbranch_execz .LBB104_237
; %bb.236:
	scratch_load_b64 v[84:85], off, off offset:88
	v_mov_b64_e32 v[86:87], 0
	scratch_store_b64 off, v[86:87], off offset:88
	s_wait_loadcnt 0x0
	ds_store_b64 v1, v[84:85]
.LBB104_237:
	s_wait_xcnt 0x0
	s_or_b32 exec_lo, exec_lo, s0
	s_wait_storecnt_dscnt 0x0
	s_barrier_signal -1
	s_barrier_wait -1
	s_clause 0xf
	scratch_load_b128 v[84:87], off, off offset:96
	scratch_load_b128 v[88:91], off, off offset:112
	;; [unrolled: 1-line block ×14, first 2 shown]
	scratch_load_b64 v[196:197], off, off offset:320
	scratch_load_b64 v[198:199], off, off offset:88
	v_mov_b32_e32 v7, 0
	ds_load_b128 v[140:143], v7 offset:592
	ds_load_b128 v[144:147], v7 offset:608
	;; [unrolled: 1-line block ×14, first 2 shown]
	ds_load_b64 v[200:201], v7 offset:656
	s_mov_b32 s0, exec_lo
	s_wait_dscnt 0xe
	v_dual_mov_b32 v202, v143 :: v_dual_mov_b32 v203, v142
	s_wait_dscnt 0xb
	v_dual_mov_b32 v204, v147 :: v_dual_mov_b32 v209, v154
	v_dual_mov_b32 v205, v146 :: v_dual_mov_b32 v206, v151
	;; [unrolled: 1-line block ×3, first 2 shown]
	s_wait_loadcnt_dscnt 0xf0a
	v_dual_mul_f32 v9, v156, v85 :: v_dual_mul_f32 v47, v157, v85
	v_dual_mul_f32 v49, v159, v87 :: v_dual_mul_f32 v11, v158, v87
	s_wait_loadcnt_dscnt 0xe09
	v_mul_f32_e32 v13, v160, v89
	s_wait_loadcnt_dscnt 0xc07
	v_dual_mul_f32 v59, v169, v97 :: v_dual_fma_f32 v47, v156, v84, -v47
	v_dual_fmac_f32 v9, v157, v84 :: v_dual_mul_f32 v61, v171, v99
	v_dual_mul_f32 v51, v161, v89 :: v_dual_mul_f32 v53, v163, v91
	v_dual_fmac_f32 v11, v159, v86 :: v_dual_fma_f32 v49, v158, v86, -v49
	s_delay_alu instid0(VALU_DEP_3) | instskip(SKIP_4) | instid1(VALU_DEP_3)
	v_dual_add_f32 v9, 0, v9 :: v_dual_add_f32 v47, 0, v47
	v_dual_mul_f32 v15, v162, v91 :: v_dual_mul_f32 v17, v164, v93
	s_wait_loadcnt_dscnt 0xb06
	v_dual_mul_f32 v63, v173, v101 :: v_dual_fma_f32 v51, v160, v88, -v51
	v_fmac_f32_e32 v13, v161, v88
	v_dual_add_f32 v9, v9, v11 :: v_dual_fmac_f32 v15, v163, v90
	v_add_f32_e32 v11, v47, v49
	v_dual_mul_f32 v55, v165, v93 :: v_dual_mul_f32 v57, v167, v95
	v_dual_mul_f32 v47, v175, v103 :: v_dual_fma_f32 v49, v162, v90, -v53
	s_delay_alu instid0(VALU_DEP_3) | instskip(SKIP_3) | instid1(VALU_DEP_3)
	v_dual_add_f32 v9, v9, v13 :: v_dual_add_f32 v11, v11, v51
	v_dual_mul_f32 v19, v166, v95 :: v_dual_mul_f32 v21, v168, v97
	s_wait_loadcnt_dscnt 0xa05
	v_dual_mul_f32 v13, v177, v105 :: v_dual_fma_f32 v51, v164, v92, -v55
	v_dual_fmac_f32 v17, v165, v92 :: v_dual_add_f32 v11, v11, v49
	s_delay_alu instid0(VALU_DEP_3) | instskip(SKIP_1) | instid1(VALU_DEP_2)
	v_dual_add_f32 v9, v9, v15 :: v_dual_fmac_f32 v19, v167, v94
	v_dual_mul_f32 v15, v179, v107 :: v_dual_fma_f32 v49, v166, v94, -v57
	v_dual_add_f32 v11, v11, v51 :: v_dual_add_f32 v9, v9, v17
	v_dual_mul_f32 v23, v170, v99 :: v_dual_mul_f32 v25, v172, v101
	s_wait_loadcnt_dscnt 0x904
	v_dual_mul_f32 v17, v181, v109 :: v_dual_fma_f32 v51, v168, v96, -v59
	s_delay_alu instid0(VALU_DEP_3) | instskip(NEXT) | instid1(VALU_DEP_3)
	v_dual_fmac_f32 v21, v169, v96 :: v_dual_add_f32 v11, v11, v49
	v_dual_add_f32 v9, v9, v19 :: v_dual_fmac_f32 v23, v171, v98
	v_dual_mul_f32 v19, v183, v111 :: v_dual_fma_f32 v49, v170, v98, -v61
	s_delay_alu instid0(VALU_DEP_2) | instskip(SKIP_3) | instid1(VALU_DEP_3)
	v_dual_add_f32 v11, v11, v51 :: v_dual_add_f32 v9, v9, v21
	v_dual_mul_f32 v27, v174, v103 :: v_dual_mul_f32 v29, v176, v105
	s_wait_loadcnt_dscnt 0x803
	v_dual_mul_f32 v21, v185, v113 :: v_dual_fma_f32 v51, v172, v100, -v63
	v_dual_fmac_f32 v25, v173, v100 :: v_dual_add_f32 v11, v11, v49
	s_delay_alu instid0(VALU_DEP_3) | instskip(SKIP_1) | instid1(VALU_DEP_2)
	v_dual_add_f32 v9, v9, v23 :: v_dual_fmac_f32 v27, v175, v102
	v_dual_mul_f32 v23, v187, v115 :: v_dual_fma_f32 v47, v174, v102, -v47
	v_dual_add_f32 v11, v11, v51 :: v_dual_add_f32 v9, v9, v25
	v_dual_mul_f32 v31, v178, v107 :: v_dual_mul_f32 v33, v180, v109
	s_wait_loadcnt_dscnt 0x702
	v_dual_mul_f32 v25, v189, v117 :: v_dual_fma_f32 v13, v176, v104, -v13
	s_delay_alu instid0(VALU_DEP_3) | instskip(NEXT) | instid1(VALU_DEP_3)
	v_dual_fmac_f32 v29, v177, v104 :: v_dual_add_f32 v11, v11, v47
	v_dual_add_f32 v9, v9, v27 :: v_dual_fmac_f32 v31, v179, v106
	v_dual_mul_f32 v27, v191, v119 :: v_dual_fma_f32 v15, v178, v106, -v15
	s_delay_alu instid0(VALU_DEP_3) | instskip(NEXT) | instid1(VALU_DEP_3)
	v_dual_add_f32 v11, v11, v13 :: v_dual_fmac_f32 v33, v181, v108
	v_dual_add_f32 v9, v9, v29 :: v_dual_fma_f32 v17, v180, v108, -v17
	v_dual_mul_f32 v35, v182, v111 :: v_dual_mul_f32 v37, v184, v113
	s_wait_loadcnt_dscnt 0x601
	s_delay_alu instid0(VALU_DEP_3) | instskip(NEXT) | instid1(VALU_DEP_2)
	v_dual_mul_f32 v13, v193, v121 :: v_dual_add_f32 v11, v11, v15
	v_dual_add_f32 v9, v9, v31 :: v_dual_fmac_f32 v35, v183, v110
	v_dual_mul_f32 v15, v195, v123 :: v_dual_fma_f32 v19, v182, v110, -v19
	s_delay_alu instid0(VALU_DEP_3) | instskip(NEXT) | instid1(VALU_DEP_3)
	v_dual_add_f32 v11, v11, v17 :: v_dual_fmac_f32 v37, v185, v112
	v_dual_add_f32 v9, v9, v33 :: v_dual_fma_f32 v21, v184, v112, -v21
	v_dual_mul_f32 v39, v186, v115 :: v_dual_mul_f32 v41, v188, v117
	s_wait_loadcnt 0x5
	s_delay_alu instid0(VALU_DEP_3) | instskip(NEXT) | instid1(VALU_DEP_3)
	v_dual_mul_f32 v17, v141, v125 :: v_dual_add_f32 v11, v11, v19
	v_dual_add_f32 v9, v9, v35 :: v_dual_mov_b32 v84, v127
	s_delay_alu instid0(VALU_DEP_3) | instskip(NEXT) | instid1(VALU_DEP_3)
	v_fmac_f32_e32 v39, v187, v114
	v_dual_fma_f32 v19, v186, v114, -v23 :: v_dual_add_f32 v11, v11, v21
	s_delay_alu instid0(VALU_DEP_3) | instskip(SKIP_1) | instid1(VALU_DEP_3)
	v_dual_add_f32 v9, v9, v37 :: v_dual_mul_f32 v43, v190, v119
	v_dual_mul_f32 v45, v192, v121 :: v_dual_fmac_f32 v41, v189, v116
	v_dual_add_f32 v11, v11, v19 :: v_dual_fma_f32 v21, v188, v116, -v25
	s_wait_loadcnt 0x4
	s_delay_alu instid0(VALU_DEP_3) | instskip(SKIP_3) | instid1(VALU_DEP_4)
	v_dual_add_f32 v9, v9, v39 :: v_dual_mov_b32 v88, v131
	v_fma_f32 v19, v190, v118, -v27
	v_fmac_f32_e32 v43, v191, v118
	v_dual_add_f32 v11, v11, v21 :: v_dual_fmac_f32 v45, v193, v120
	v_dual_add_f32 v9, v9, v41 :: v_dual_mul_f32 v211, v194, v123
	v_mul_f32_e32 v213, v140, v125
	s_delay_alu instid0(VALU_DEP_3) | instskip(NEXT) | instid1(VALU_DEP_3)
	v_dual_fma_f32 v13, v192, v120, -v13 :: v_dual_add_f32 v11, v11, v19
	v_dual_fma_f32 v210, v194, v122, -v15 :: v_dual_add_f32 v9, v9, v43
	s_delay_alu instid0(VALU_DEP_4) | instskip(SKIP_1) | instid1(VALU_DEP_4)
	v_fmac_f32_e32 v211, v195, v122
	v_pk_mul_f32 v[84:85], v[202:203], v[84:85] op_sel_hi:[1,0]
	v_dual_add_f32 v92, v11, v13 :: v_dual_fmac_f32 v213, v141, v124
	s_delay_alu instid0(VALU_DEP_4)
	v_add_f32_e32 v93, v9, v45
	v_pk_mul_f32 v[86:87], v[144:145], v[128:129] op_sel:[1,1] op_sel_hi:[0,1]
	s_wait_loadcnt 0x3
	v_dual_mov_b32 v94, v135 :: v_dual_fma_f32 v212, v140, v124, -v17
	v_pk_fma_f32 v[96:97], v[142:143], v[126:127], v[84:85] op_sel_hi:[1,0,1]
	v_pk_add_f32 v[92:93], v[92:93], v[210:211]
	v_pk_fma_f32 v[84:85], v[142:143], v[126:127], v[84:85] neg_lo:[0,0,1] neg_hi:[0,0,1]
	v_pk_fma_f32 v[98:99], v[144:145], v[128:129], v[86:87] op_sel_hi:[1,0,1]
	v_pk_mul_f32 v[88:89], v[204:205], v[88:89] op_sel_hi:[1,0]
	v_mov_b32_e32 v85, v97
	v_pk_add_f32 v[92:93], v[92:93], v[212:213]
	v_pk_fma_f32 v[86:87], v[144:145], v[128:129], v[86:87] neg_lo:[0,0,1] neg_hi:[0,0,1]
	v_pk_mul_f32 v[90:91], v[148:149], v[132:133] op_sel:[1,1] op_sel_hi:[0,1]
	v_mov_b32_e32 v87, v99
	v_pk_fma_f32 v[98:99], v[146:147], v[130:131], v[88:89] op_sel_hi:[1,0,1]
	v_pk_add_f32 v[84:85], v[92:93], v[84:85]
	v_pk_fma_f32 v[88:89], v[146:147], v[130:131], v[88:89] neg_lo:[0,0,1] neg_hi:[0,0,1]
	v_pk_fma_f32 v[92:93], v[148:149], v[132:133], v[90:91] op_sel_hi:[1,0,1]
	v_pk_mul_f32 v[94:95], v[206:207], v[94:95] op_sel_hi:[1,0]
	v_mov_b32_e32 v89, v99
	v_pk_add_f32 v[84:85], v[84:85], v[86:87]
	v_pk_fma_f32 v[90:91], v[148:149], v[132:133], v[90:91] neg_lo:[0,0,1] neg_hi:[0,0,1]
	s_wait_loadcnt 0x2
	v_pk_mul_f32 v[96:97], v[152:153], v[136:137] op_sel:[1,1] op_sel_hi:[0,1]
	v_dual_mov_b32 v86, v139 :: v_dual_mov_b32 v91, v93
	v_pk_fma_f32 v[92:93], v[150:151], v[134:135], v[94:95] op_sel_hi:[1,0,1]
	v_pk_add_f32 v[84:85], v[84:85], v[88:89]
	v_pk_fma_f32 v[94:95], v[150:151], v[134:135], v[94:95] neg_lo:[0,0,1] neg_hi:[0,0,1]
	v_pk_fma_f32 v[88:89], v[152:153], v[136:137], v[96:97] op_sel_hi:[1,0,1]
	v_pk_mul_f32 v[86:87], v[208:209], v[86:87] op_sel_hi:[1,0]
	v_mov_b32_e32 v95, v93
	v_pk_add_f32 v[84:85], v[84:85], v[90:91]
	v_pk_fma_f32 v[90:91], v[152:153], v[136:137], v[96:97] neg_lo:[0,0,1] neg_hi:[0,0,1]
	v_mov_b32_e32 v91, v89
	v_pk_fma_f32 v[88:89], v[154:155], v[138:139], v[86:87] op_sel_hi:[1,0,1]
	s_wait_loadcnt_dscnt 0x100
	v_pk_mul_f32 v[92:93], v[200:201], v[196:197] op_sel:[1,1] op_sel_hi:[0,1]
	v_pk_add_f32 v[84:85], v[84:85], v[94:95]
	v_pk_fma_f32 v[86:87], v[154:155], v[138:139], v[86:87] neg_lo:[0,0,1] neg_hi:[0,0,1]
	v_mov_b32_e32 v87, v89
	s_delay_alu instid0(VALU_DEP_4) | instskip(NEXT) | instid1(VALU_DEP_4)
	v_pk_fma_f32 v[88:89], v[200:201], v[196:197], v[92:93] op_sel_hi:[1,0,1]
	v_pk_add_f32 v[84:85], v[84:85], v[90:91]
	v_pk_fma_f32 v[90:91], v[200:201], v[196:197], v[92:93] neg_lo:[0,0,1] neg_hi:[0,0,1]
	s_delay_alu instid0(VALU_DEP_3) | instskip(NEXT) | instid1(VALU_DEP_3)
	v_mov_b32_e32 v91, v89
	v_pk_add_f32 v[84:85], v[84:85], v[86:87]
	s_delay_alu instid0(VALU_DEP_1) | instskip(SKIP_1) | instid1(VALU_DEP_1)
	v_pk_add_f32 v[84:85], v[84:85], v[90:91]
	s_wait_loadcnt 0x0
	v_pk_add_f32 v[84:85], v[198:199], v[84:85] neg_lo:[0,1] neg_hi:[0,1]
	scratch_store_b64 off, v[84:85], off offset:88
	s_wait_xcnt 0x0
	v_cmpx_lt_u32_e32 10, v0
	s_cbranch_execz .LBB104_239
; %bb.238:
	scratch_load_b64 v[84:85], off, off offset:80
	v_mov_b64_e32 v[86:87], 0
	scratch_store_b64 off, v[86:87], off offset:80
	s_wait_loadcnt 0x0
	ds_store_b64 v1, v[84:85]
.LBB104_239:
	s_wait_xcnt 0x0
	s_or_b32 exec_lo, exec_lo, s0
	s_wait_storecnt_dscnt 0x0
	s_barrier_signal -1
	s_barrier_wait -1
	s_clause 0xf
	scratch_load_b128 v[84:87], off, off offset:88
	scratch_load_b128 v[88:91], off, off offset:104
	;; [unrolled: 1-line block ×15, first 2 shown]
	scratch_load_b64 v[204:205], off, off offset:80
	ds_load_2addr_b64 v[144:147], v7 offset0:75 offset1:76
	ds_load_2addr_b64 v[148:151], v7 offset0:77 offset1:78
	;; [unrolled: 1-line block ×15, first 2 shown]
	s_mov_b32 s0, exec_lo
	s_wait_dscnt 0xe
	v_dual_mov_b32 v206, v147 :: v_dual_mov_b32 v207, v146
	s_wait_dscnt 0xd
	v_dual_mov_b32 v208, v151 :: v_dual_mov_b32 v209, v150
	;; [unrolled: 2-line block ×4, first 2 shown]
	s_wait_loadcnt_dscnt 0xf0a
	v_dual_mul_f32 v7, v160, v85 :: v_dual_mul_f32 v9, v162, v87
	v_dual_mul_f32 v47, v161, v85 :: v_dual_mul_f32 v49, v163, v87
	s_wait_loadcnt_dscnt 0xe09
	v_dual_mul_f32 v11, v164, v89 :: v_dual_mul_f32 v13, v166, v91
	s_delay_alu instid0(VALU_DEP_3) | instskip(SKIP_3) | instid1(VALU_DEP_3)
	v_dual_fmac_f32 v7, v161, v84 :: v_dual_fmac_f32 v9, v163, v86
	s_wait_loadcnt_dscnt 0xc06
	v_dual_fma_f32 v47, v160, v84, -v47 :: v_dual_mul_f32 v59, v177, v97
	v_dual_mul_f32 v51, v165, v89 :: v_dual_mul_f32 v53, v167, v91
	v_dual_fma_f32 v49, v162, v86, -v49 :: v_dual_add_f32 v7, 0, v7
	s_delay_alu instid0(VALU_DEP_3) | instskip(SKIP_1) | instid1(VALU_DEP_4)
	v_dual_add_f32 v47, 0, v47 :: v_dual_fmac_f32 v11, v165, v88
	v_dual_mul_f32 v15, v172, v93 :: v_dual_mul_f32 v17, v174, v95
	v_dual_mul_f32 v61, v179, v99 :: v_dual_fma_f32 v51, v164, v88, -v51
	s_delay_alu instid0(VALU_DEP_4) | instskip(NEXT) | instid1(VALU_DEP_3)
	v_add_f32_e32 v7, v7, v9
	v_dual_add_f32 v9, v47, v49 :: v_dual_fmac_f32 v15, v173, v92
	v_dual_mul_f32 v55, v173, v93 :: v_dual_mul_f32 v57, v175, v95
	s_wait_loadcnt_dscnt 0xb05
	v_dual_mul_f32 v47, v181, v101 :: v_dual_fmac_f32 v13, v167, v90
	v_dual_fma_f32 v49, v166, v90, -v53 :: v_dual_add_f32 v7, v7, v11
	s_delay_alu instid0(VALU_DEP_3) | instskip(SKIP_1) | instid1(VALU_DEP_3)
	v_dual_add_f32 v9, v9, v51 :: v_dual_fma_f32 v51, v172, v92, -v55
	v_dual_mul_f32 v19, v176, v97 :: v_dual_mul_f32 v21, v178, v99
	v_add_f32_e32 v7, v7, v13
	s_delay_alu instid0(VALU_DEP_3) | instskip(SKIP_2) | instid1(VALU_DEP_3)
	v_dual_mul_f32 v11, v183, v103 :: v_dual_add_f32 v9, v9, v49
	s_wait_loadcnt_dscnt 0xa04
	v_dual_mul_f32 v13, v185, v105 :: v_dual_fmac_f32 v17, v175, v94
	v_dual_fma_f32 v49, v174, v94, -v57 :: v_dual_add_f32 v7, v7, v15
	s_delay_alu instid0(VALU_DEP_3) | instskip(SKIP_1) | instid1(VALU_DEP_3)
	v_dual_add_f32 v9, v9, v51 :: v_dual_fma_f32 v51, v176, v96, -v59
	v_dual_mul_f32 v15, v187, v107 :: v_dual_fmac_f32 v19, v177, v96
	v_add_f32_e32 v7, v7, v17
	s_delay_alu instid0(VALU_DEP_3)
	v_dual_add_f32 v9, v9, v49 :: v_dual_fmac_f32 v21, v179, v98
	v_dual_mul_f32 v23, v180, v101 :: v_dual_mul_f32 v25, v182, v103
	s_wait_loadcnt_dscnt 0x903
	v_dual_fma_f32 v49, v178, v98, -v61 :: v_dual_mul_f32 v17, v189, v109
	v_add_f32_e32 v7, v7, v19
	v_dual_add_f32 v9, v9, v51 :: v_dual_fma_f32 v47, v180, v100, -v47
	v_dual_mul_f32 v19, v191, v111 :: v_dual_fmac_f32 v23, v181, v100
	s_delay_alu instid0(VALU_DEP_3) | instskip(NEXT) | instid1(VALU_DEP_3)
	v_dual_add_f32 v7, v7, v21 :: v_dual_fma_f32 v11, v182, v102, -v11
	v_dual_add_f32 v9, v9, v49 :: v_dual_fmac_f32 v25, v183, v102
	v_dual_mul_f32 v27, v184, v105 :: v_dual_mul_f32 v29, v186, v107
	s_wait_loadcnt_dscnt 0x802
	s_delay_alu instid0(VALU_DEP_3) | instskip(NEXT) | instid1(VALU_DEP_3)
	v_dual_mul_f32 v21, v193, v113 :: v_dual_add_f32 v7, v7, v23
	v_dual_add_f32 v9, v9, v47 :: v_dual_fma_f32 v13, v184, v104, -v13
	s_delay_alu instid0(VALU_DEP_3) | instskip(NEXT) | instid1(VALU_DEP_2)
	v_dual_mul_f32 v23, v195, v115 :: v_dual_fmac_f32 v27, v185, v104
	v_dual_add_f32 v7, v7, v25 :: v_dual_add_f32 v9, v9, v11
	v_dual_mul_f32 v31, v188, v109 :: v_dual_mul_f32 v33, v190, v111
	s_wait_loadcnt_dscnt 0x701
	v_dual_mul_f32 v11, v197, v117 :: v_dual_fmac_f32 v29, v187, v106
	s_delay_alu instid0(VALU_DEP_3) | instskip(SKIP_2) | instid1(VALU_DEP_2)
	v_dual_fma_f32 v15, v186, v106, -v15 :: v_dual_add_f32 v7, v7, v27
	v_dual_add_f32 v9, v9, v13 :: v_dual_mul_f32 v13, v199, v119
	v_dual_fmac_f32 v31, v189, v108 :: v_dual_fma_f32 v17, v188, v108, -v17
	v_dual_add_f32 v7, v7, v29 :: v_dual_add_f32 v9, v9, v15
	v_dual_mul_f32 v35, v192, v113 :: v_dual_mul_f32 v37, v194, v115
	s_wait_loadcnt_dscnt 0x600
	v_dual_mul_f32 v15, v201, v121 :: v_dual_fmac_f32 v33, v191, v110
	s_delay_alu instid0(VALU_DEP_3) | instskip(SKIP_2) | instid1(VALU_DEP_2)
	v_dual_fma_f32 v19, v190, v110, -v19 :: v_dual_add_f32 v7, v7, v31
	v_dual_add_f32 v9, v9, v17 :: v_dual_mul_f32 v17, v203, v123
	v_dual_fmac_f32 v35, v193, v112 :: v_dual_fma_f32 v21, v192, v112, -v21
	v_dual_add_f32 v7, v7, v33 :: v_dual_add_f32 v9, v9, v19
	v_dual_mul_f32 v39, v196, v117 :: v_dual_mul_f32 v41, v198, v119
	s_wait_loadcnt 0x5
	v_dual_mul_f32 v19, v169, v125 :: v_dual_fmac_f32 v37, v195, v114
	s_delay_alu instid0(VALU_DEP_3) | instskip(SKIP_2) | instid1(VALU_DEP_3)
	v_dual_fma_f32 v23, v194, v114, -v23 :: v_dual_add_f32 v7, v7, v35
	v_dual_add_f32 v9, v9, v21 :: v_dual_mul_f32 v21, v171, v127
	v_fmac_f32_e32 v39, v197, v116
	v_dual_fma_f32 v11, v196, v116, -v11 :: v_dual_add_f32 v7, v7, v37
	s_delay_alu instid0(VALU_DEP_3) | instskip(SKIP_1) | instid1(VALU_DEP_3)
	v_dual_add_f32 v9, v9, v23 :: v_dual_mul_f32 v43, v200, v121
	v_dual_mul_f32 v45, v202, v123 :: v_dual_fmac_f32 v41, v199, v118
	v_dual_fma_f32 v13, v198, v118, -v13 :: v_dual_add_f32 v7, v7, v39
	s_wait_loadcnt 0x4
	s_delay_alu instid0(VALU_DEP_3) | instskip(SKIP_1) | instid1(VALU_DEP_3)
	v_dual_add_f32 v9, v9, v11 :: v_dual_mov_b32 v86, v131
	v_fmac_f32_e32 v43, v201, v120
	v_dual_fma_f32 v11, v200, v120, -v15 :: v_dual_add_f32 v7, v7, v41
	s_delay_alu instid0(VALU_DEP_3) | instskip(SKIP_1) | instid1(VALU_DEP_3)
	v_dual_add_f32 v9, v9, v13 :: v_dual_fmac_f32 v45, v203, v122
	v_dual_mul_f32 v215, v168, v125 :: v_dual_mul_f32 v217, v170, v127
	v_dual_fma_f32 v13, v202, v122, -v17 :: v_dual_add_f32 v7, v7, v43
	s_wait_loadcnt 0x3
	s_delay_alu instid0(VALU_DEP_3) | instskip(SKIP_1) | instid1(VALU_DEP_3)
	v_dual_add_f32 v9, v9, v11 :: v_dual_mov_b32 v90, v135
	v_pk_mul_f32 v[84:85], v[144:145], v[128:129] op_sel:[1,1] op_sel_hi:[0,1]
	v_dual_fmac_f32 v215, v169, v124 :: v_dual_add_f32 v93, v7, v45
	s_delay_alu instid0(VALU_DEP_3) | instskip(SKIP_1) | instid1(VALU_DEP_4)
	v_dual_fma_f32 v214, v168, v124, -v19 :: v_dual_add_f32 v92, v9, v13
	v_fmac_f32_e32 v217, v171, v126
	v_pk_fma_f32 v[94:95], v[144:145], v[128:129], v[84:85] op_sel_hi:[1,0,1]
	v_fma_f32 v216, v170, v126, -v21
	v_pk_mul_f32 v[86:87], v[206:207], v[86:87] op_sel_hi:[1,0]
	v_pk_add_f32 v[92:93], v[92:93], v[214:215]
	v_pk_fma_f32 v[84:85], v[144:145], v[128:129], v[84:85] neg_lo:[0,0,1] neg_hi:[0,0,1]
	v_pk_mul_f32 v[88:89], v[148:149], v[132:133] op_sel:[1,1] op_sel_hi:[0,1]
	v_mov_b32_e32 v85, v95
	v_pk_fma_f32 v[94:95], v[146:147], v[130:131], v[86:87] op_sel_hi:[1,0,1]
	v_pk_add_f32 v[92:93], v[92:93], v[216:217]
	v_pk_fma_f32 v[86:87], v[146:147], v[130:131], v[86:87] neg_lo:[0,0,1] neg_hi:[0,0,1]
	v_pk_fma_f32 v[98:99], v[148:149], v[132:133], v[88:89] op_sel_hi:[1,0,1]
	v_pk_mul_f32 v[90:91], v[208:209], v[90:91] op_sel_hi:[1,0]
	v_mov_b32_e32 v87, v95
	v_pk_add_f32 v[84:85], v[92:93], v[84:85]
	s_wait_loadcnt 0x2
	v_pk_mul_f32 v[96:97], v[152:153], v[136:137] op_sel:[1,1] op_sel_hi:[0,1]
	v_mov_b32_e32 v92, v139
	v_pk_fma_f32 v[88:89], v[148:149], v[132:133], v[88:89] neg_lo:[0,0,1] neg_hi:[0,0,1]
	v_pk_fma_f32 v[94:95], v[150:151], v[134:135], v[90:91] op_sel_hi:[1,0,1]
	v_mov_b32_e32 v89, v99
	v_pk_add_f32 v[84:85], v[84:85], v[86:87]
	v_pk_fma_f32 v[86:87], v[152:153], v[136:137], v[96:97] op_sel_hi:[1,0,1]
	v_pk_mul_f32 v[92:93], v[210:211], v[92:93] op_sel_hi:[1,0]
	v_pk_fma_f32 v[90:91], v[150:151], v[134:135], v[90:91] neg_lo:[0,0,1] neg_hi:[0,0,1]
	v_mov_b32_e32 v91, v95
	v_pk_add_f32 v[84:85], v[84:85], v[88:89]
	v_pk_fma_f32 v[94:95], v[152:153], v[136:137], v[96:97] neg_lo:[0,0,1] neg_hi:[0,0,1]
	v_mov_b32_e32 v95, v87
	v_pk_fma_f32 v[86:87], v[154:155], v[138:139], v[92:93] op_sel_hi:[1,0,1]
	s_wait_loadcnt 0x1
	v_pk_mul_f32 v[88:89], v[156:157], v[140:141] op_sel:[1,1] op_sel_hi:[0,1]
	v_pk_add_f32 v[84:85], v[84:85], v[90:91]
	v_mov_b32_e32 v86, v143
	v_pk_fma_f32 v[92:93], v[154:155], v[138:139], v[92:93] neg_lo:[0,0,1] neg_hi:[0,0,1]
	s_delay_alu instid0(VALU_DEP_4)
	v_pk_fma_f32 v[90:91], v[156:157], v[140:141], v[88:89] op_sel_hi:[1,0,1]
	v_mov_b32_e32 v93, v87
	v_pk_add_f32 v[84:85], v[84:85], v[94:95]
	v_pk_mul_f32 v[86:87], v[212:213], v[86:87] op_sel_hi:[1,0]
	v_pk_fma_f32 v[88:89], v[156:157], v[140:141], v[88:89] neg_lo:[0,0,1] neg_hi:[0,0,1]
	v_mov_b32_e32 v89, v91
	s_delay_alu instid0(VALU_DEP_4) | instskip(NEXT) | instid1(VALU_DEP_4)
	v_pk_add_f32 v[84:85], v[84:85], v[92:93]
	v_pk_fma_f32 v[90:91], v[158:159], v[142:143], v[86:87] op_sel_hi:[1,0,1]
	v_pk_fma_f32 v[86:87], v[158:159], v[142:143], v[86:87] neg_lo:[0,0,1] neg_hi:[0,0,1]
	s_delay_alu instid0(VALU_DEP_3) | instskip(NEXT) | instid1(VALU_DEP_3)
	v_pk_add_f32 v[84:85], v[84:85], v[88:89]
	v_mov_b32_e32 v87, v91
	s_delay_alu instid0(VALU_DEP_1) | instskip(SKIP_1) | instid1(VALU_DEP_1)
	v_pk_add_f32 v[84:85], v[84:85], v[86:87]
	s_wait_loadcnt 0x0
	v_pk_add_f32 v[84:85], v[204:205], v[84:85] neg_lo:[0,1] neg_hi:[0,1]
	scratch_store_b64 off, v[84:85], off offset:80
	s_wait_xcnt 0x0
	v_cmpx_lt_u32_e32 9, v0
	s_cbranch_execz .LBB104_241
; %bb.240:
	scratch_load_b64 v[84:85], off, off offset:72
	v_mov_b64_e32 v[86:87], 0
	scratch_store_b64 off, v[86:87], off offset:72
	s_wait_loadcnt 0x0
	ds_store_b64 v1, v[84:85]
.LBB104_241:
	s_wait_xcnt 0x0
	s_or_b32 exec_lo, exec_lo, s0
	s_wait_storecnt_dscnt 0x0
	s_barrier_signal -1
	s_barrier_wait -1
	s_clause 0x10
	scratch_load_b128 v[84:87], off, off offset:80
	scratch_load_b128 v[88:91], off, off offset:96
	scratch_load_b128 v[92:95], off, off offset:112
	scratch_load_b128 v[96:99], off, off offset:128
	scratch_load_b128 v[100:103], off, off offset:144
	scratch_load_b128 v[104:107], off, off offset:160
	scratch_load_b128 v[108:111], off, off offset:176
	scratch_load_b128 v[112:115], off, off offset:192
	scratch_load_b128 v[116:119], off, off offset:208
	scratch_load_b128 v[120:123], off, off offset:224
	scratch_load_b128 v[124:127], off, off offset:240
	scratch_load_b128 v[128:131], off, off offset:256
	scratch_load_b128 v[132:135], off, off offset:272
	scratch_load_b128 v[136:139], off, off offset:288
	scratch_load_b128 v[140:143], off, off offset:304
	scratch_load_b64 v[204:205], off, off offset:320
	scratch_load_b64 v[206:207], off, off offset:72
	v_mov_b32_e32 v7, 0
	ds_load_b128 v[144:147], v7 offset:592
	ds_load_b128 v[148:151], v7 offset:608
	;; [unrolled: 1-line block ×15, first 2 shown]
	ds_load_b64 v[208:209], v7 offset:656
	s_mov_b32 s0, exec_lo
	s_wait_dscnt 0xf
	v_dual_mov_b32 v210, v147 :: v_dual_mov_b32 v211, v146
	s_wait_dscnt 0xc
	v_dual_mov_b32 v212, v151 :: v_dual_mov_b32 v217, v158
	v_dual_mov_b32 v213, v150 :: v_dual_mov_b32 v214, v155
	;; [unrolled: 1-line block ×3, first 2 shown]
	s_wait_loadcnt_dscnt 0x100b
	v_dual_mul_f32 v9, v160, v85 :: v_dual_mul_f32 v51, v161, v85
	v_dual_mul_f32 v53, v163, v87 :: v_dual_mul_f32 v11, v162, v87
	s_wait_loadcnt_dscnt 0xf09
	v_mul_f32_e32 v13, v168, v89
	s_wait_loadcnt_dscnt 0xd07
	v_dual_mul_f32 v63, v177, v97 :: v_dual_fma_f32 v51, v160, v84, -v51
	v_dual_fmac_f32 v9, v161, v84 :: v_dual_mul_f32 v65, v179, v99
	v_dual_mul_f32 v55, v169, v89 :: v_dual_mul_f32 v57, v171, v91
	v_dual_fmac_f32 v11, v163, v86 :: v_dual_fma_f32 v53, v162, v86, -v53
	s_delay_alu instid0(VALU_DEP_3) | instskip(SKIP_4) | instid1(VALU_DEP_3)
	v_dual_add_f32 v9, 0, v9 :: v_dual_add_f32 v51, 0, v51
	v_dual_mul_f32 v15, v170, v91 :: v_dual_mul_f32 v17, v172, v93
	s_wait_loadcnt_dscnt 0xc06
	v_dual_mul_f32 v67, v181, v101 :: v_dual_fma_f32 v55, v168, v88, -v55
	v_fmac_f32_e32 v13, v169, v88
	v_dual_add_f32 v9, v9, v11 :: v_dual_fmac_f32 v15, v171, v90
	v_add_f32_e32 v11, v51, v53
	v_dual_mul_f32 v59, v173, v93 :: v_dual_mul_f32 v61, v175, v95
	v_dual_mul_f32 v51, v183, v103 :: v_dual_fma_f32 v53, v170, v90, -v57
	s_delay_alu instid0(VALU_DEP_3) | instskip(SKIP_3) | instid1(VALU_DEP_3)
	v_dual_add_f32 v9, v9, v13 :: v_dual_add_f32 v11, v11, v55
	v_dual_mul_f32 v19, v174, v95 :: v_dual_mul_f32 v21, v176, v97
	s_wait_loadcnt_dscnt 0xb05
	v_dual_mul_f32 v13, v185, v105 :: v_dual_fma_f32 v55, v172, v92, -v59
	v_dual_fmac_f32 v17, v173, v92 :: v_dual_add_f32 v11, v11, v53
	s_delay_alu instid0(VALU_DEP_3) | instskip(SKIP_1) | instid1(VALU_DEP_2)
	v_dual_add_f32 v9, v9, v15 :: v_dual_fmac_f32 v19, v175, v94
	v_dual_mul_f32 v15, v187, v107 :: v_dual_fma_f32 v53, v174, v94, -v61
	v_dual_add_f32 v11, v11, v55 :: v_dual_add_f32 v9, v9, v17
	v_dual_mul_f32 v23, v178, v99 :: v_dual_mul_f32 v25, v180, v101
	s_wait_loadcnt_dscnt 0xa04
	v_dual_mul_f32 v17, v189, v109 :: v_dual_fma_f32 v55, v176, v96, -v63
	s_delay_alu instid0(VALU_DEP_3) | instskip(NEXT) | instid1(VALU_DEP_3)
	v_dual_fmac_f32 v21, v177, v96 :: v_dual_add_f32 v11, v11, v53
	v_dual_add_f32 v9, v9, v19 :: v_dual_fmac_f32 v23, v179, v98
	v_dual_mul_f32 v19, v191, v111 :: v_dual_fma_f32 v53, v178, v98, -v65
	s_delay_alu instid0(VALU_DEP_2) | instskip(SKIP_3) | instid1(VALU_DEP_3)
	v_dual_add_f32 v11, v11, v55 :: v_dual_add_f32 v9, v9, v21
	v_dual_mul_f32 v27, v182, v103 :: v_dual_mul_f32 v29, v184, v105
	s_wait_loadcnt_dscnt 0x903
	v_dual_mul_f32 v21, v193, v113 :: v_dual_fma_f32 v55, v180, v100, -v67
	v_dual_fmac_f32 v25, v181, v100 :: v_dual_add_f32 v11, v11, v53
	s_delay_alu instid0(VALU_DEP_3) | instskip(SKIP_1) | instid1(VALU_DEP_2)
	v_dual_add_f32 v9, v9, v23 :: v_dual_fmac_f32 v27, v183, v102
	v_dual_mul_f32 v23, v195, v115 :: v_dual_fma_f32 v51, v182, v102, -v51
	v_dual_add_f32 v11, v11, v55 :: v_dual_add_f32 v9, v9, v25
	v_dual_mul_f32 v31, v186, v107 :: v_dual_mul_f32 v33, v188, v109
	s_wait_loadcnt_dscnt 0x802
	v_dual_mul_f32 v25, v197, v117 :: v_dual_fma_f32 v13, v184, v104, -v13
	s_delay_alu instid0(VALU_DEP_3) | instskip(NEXT) | instid1(VALU_DEP_3)
	v_dual_fmac_f32 v29, v185, v104 :: v_dual_add_f32 v11, v11, v51
	v_dual_add_f32 v9, v9, v27 :: v_dual_fmac_f32 v31, v187, v106
	v_dual_mul_f32 v27, v199, v119 :: v_dual_fma_f32 v15, v186, v106, -v15
	s_delay_alu instid0(VALU_DEP_3) | instskip(NEXT) | instid1(VALU_DEP_3)
	v_dual_add_f32 v11, v11, v13 :: v_dual_fmac_f32 v33, v189, v108
	v_dual_add_f32 v9, v9, v29 :: v_dual_fma_f32 v17, v188, v108, -v17
	v_dual_mul_f32 v35, v190, v111 :: v_dual_mul_f32 v37, v192, v113
	s_wait_loadcnt_dscnt 0x701
	s_delay_alu instid0(VALU_DEP_3) | instskip(NEXT) | instid1(VALU_DEP_2)
	v_dual_mul_f32 v13, v201, v121 :: v_dual_add_f32 v11, v11, v15
	v_dual_add_f32 v9, v9, v31 :: v_dual_fmac_f32 v35, v191, v110
	v_dual_mul_f32 v15, v203, v123 :: v_dual_fma_f32 v19, v190, v110, -v19
	s_delay_alu instid0(VALU_DEP_3) | instskip(NEXT) | instid1(VALU_DEP_3)
	v_dual_add_f32 v11, v11, v17 :: v_dual_fmac_f32 v37, v193, v112
	v_dual_add_f32 v9, v9, v33 :: v_dual_fma_f32 v21, v192, v112, -v21
	v_dual_mul_f32 v39, v194, v115 :: v_dual_mul_f32 v41, v196, v117
	s_wait_loadcnt 0x6
	s_delay_alu instid0(VALU_DEP_3) | instskip(NEXT) | instid1(VALU_DEP_2)
	v_dual_mul_f32 v17, v165, v125 :: v_dual_add_f32 v11, v11, v19
	v_dual_add_f32 v9, v9, v35 :: v_dual_fmac_f32 v39, v195, v114
	v_dual_mul_f32 v19, v167, v127 :: v_dual_fma_f32 v23, v194, v114, -v23
	s_delay_alu instid0(VALU_DEP_3) | instskip(NEXT) | instid1(VALU_DEP_3)
	v_dual_add_f32 v11, v11, v21 :: v_dual_fmac_f32 v41, v197, v116
	v_dual_add_f32 v9, v9, v37 :: v_dual_fma_f32 v25, v196, v116, -v25
	v_dual_mul_f32 v43, v198, v119 :: v_dual_mul_f32 v45, v200, v121
	s_wait_loadcnt 0x5
	s_delay_alu instid0(VALU_DEP_3) | instskip(NEXT) | instid1(VALU_DEP_3)
	v_dual_mul_f32 v21, v145, v129 :: v_dual_add_f32 v11, v11, v23
	v_dual_add_f32 v9, v9, v39 :: v_dual_mov_b32 v84, v131
	s_delay_alu instid0(VALU_DEP_3) | instskip(NEXT) | instid1(VALU_DEP_3)
	v_fmac_f32_e32 v43, v199, v118
	v_dual_fma_f32 v23, v198, v118, -v27 :: v_dual_add_f32 v11, v11, v25
	s_delay_alu instid0(VALU_DEP_3) | instskip(SKIP_1) | instid1(VALU_DEP_3)
	v_dual_add_f32 v9, v9, v41 :: v_dual_mul_f32 v47, v202, v123
	v_dual_mul_f32 v49, v164, v125 :: v_dual_fmac_f32 v45, v201, v120
	v_dual_add_f32 v11, v11, v23 :: v_dual_fma_f32 v13, v200, v120, -v13
	s_wait_loadcnt 0x4
	s_delay_alu instid0(VALU_DEP_3) | instskip(SKIP_3) | instid1(VALU_DEP_4)
	v_dual_add_f32 v9, v9, v43 :: v_dual_mov_b32 v88, v135
	v_fma_f32 v15, v202, v122, -v15
	v_fmac_f32_e32 v47, v203, v122
	v_dual_add_f32 v11, v11, v13 :: v_dual_fmac_f32 v49, v165, v124
	v_dual_add_f32 v9, v9, v45 :: v_dual_mul_f32 v219, v166, v127
	v_mul_f32_e32 v221, v144, v129
	s_delay_alu instid0(VALU_DEP_3) | instskip(NEXT) | instid1(VALU_DEP_3)
	v_dual_fma_f32 v13, v164, v124, -v17 :: v_dual_add_f32 v11, v11, v15
	v_dual_fma_f32 v218, v166, v126, -v19 :: v_dual_add_f32 v9, v9, v47
	s_delay_alu instid0(VALU_DEP_4) | instskip(SKIP_1) | instid1(VALU_DEP_4)
	v_fmac_f32_e32 v219, v167, v126
	v_pk_mul_f32 v[84:85], v[210:211], v[84:85] op_sel_hi:[1,0]
	v_dual_add_f32 v92, v11, v13 :: v_dual_fmac_f32 v221, v145, v128
	s_delay_alu instid0(VALU_DEP_4)
	v_add_f32_e32 v93, v9, v49
	v_pk_mul_f32 v[86:87], v[148:149], v[132:133] op_sel:[1,1] op_sel_hi:[0,1]
	s_wait_loadcnt 0x3
	v_dual_mov_b32 v94, v139 :: v_dual_fma_f32 v220, v144, v128, -v21
	v_pk_fma_f32 v[96:97], v[146:147], v[130:131], v[84:85] op_sel_hi:[1,0,1]
	v_pk_add_f32 v[92:93], v[92:93], v[218:219]
	v_pk_fma_f32 v[84:85], v[146:147], v[130:131], v[84:85] neg_lo:[0,0,1] neg_hi:[0,0,1]
	v_pk_fma_f32 v[98:99], v[148:149], v[132:133], v[86:87] op_sel_hi:[1,0,1]
	v_pk_mul_f32 v[88:89], v[212:213], v[88:89] op_sel_hi:[1,0]
	v_mov_b32_e32 v85, v97
	v_pk_add_f32 v[92:93], v[92:93], v[220:221]
	v_pk_fma_f32 v[86:87], v[148:149], v[132:133], v[86:87] neg_lo:[0,0,1] neg_hi:[0,0,1]
	v_pk_mul_f32 v[90:91], v[152:153], v[136:137] op_sel:[1,1] op_sel_hi:[0,1]
	v_mov_b32_e32 v87, v99
	v_pk_fma_f32 v[98:99], v[150:151], v[134:135], v[88:89] op_sel_hi:[1,0,1]
	v_pk_add_f32 v[84:85], v[92:93], v[84:85]
	v_pk_fma_f32 v[88:89], v[150:151], v[134:135], v[88:89] neg_lo:[0,0,1] neg_hi:[0,0,1]
	v_pk_fma_f32 v[92:93], v[152:153], v[136:137], v[90:91] op_sel_hi:[1,0,1]
	v_pk_mul_f32 v[94:95], v[214:215], v[94:95] op_sel_hi:[1,0]
	v_mov_b32_e32 v89, v99
	v_pk_add_f32 v[84:85], v[84:85], v[86:87]
	v_pk_fma_f32 v[90:91], v[152:153], v[136:137], v[90:91] neg_lo:[0,0,1] neg_hi:[0,0,1]
	s_wait_loadcnt 0x2
	v_pk_mul_f32 v[96:97], v[156:157], v[140:141] op_sel:[1,1] op_sel_hi:[0,1]
	v_dual_mov_b32 v86, v143 :: v_dual_mov_b32 v91, v93
	v_pk_fma_f32 v[92:93], v[154:155], v[138:139], v[94:95] op_sel_hi:[1,0,1]
	v_pk_add_f32 v[84:85], v[84:85], v[88:89]
	v_pk_fma_f32 v[94:95], v[154:155], v[138:139], v[94:95] neg_lo:[0,0,1] neg_hi:[0,0,1]
	v_pk_fma_f32 v[88:89], v[156:157], v[140:141], v[96:97] op_sel_hi:[1,0,1]
	v_pk_mul_f32 v[86:87], v[216:217], v[86:87] op_sel_hi:[1,0]
	v_mov_b32_e32 v95, v93
	v_pk_add_f32 v[84:85], v[84:85], v[90:91]
	v_pk_fma_f32 v[90:91], v[156:157], v[140:141], v[96:97] neg_lo:[0,0,1] neg_hi:[0,0,1]
	v_mov_b32_e32 v91, v89
	v_pk_fma_f32 v[88:89], v[158:159], v[142:143], v[86:87] op_sel_hi:[1,0,1]
	s_wait_loadcnt_dscnt 0x100
	v_pk_mul_f32 v[92:93], v[208:209], v[204:205] op_sel:[1,1] op_sel_hi:[0,1]
	v_pk_add_f32 v[84:85], v[84:85], v[94:95]
	v_pk_fma_f32 v[86:87], v[158:159], v[142:143], v[86:87] neg_lo:[0,0,1] neg_hi:[0,0,1]
	v_mov_b32_e32 v87, v89
	s_delay_alu instid0(VALU_DEP_4) | instskip(NEXT) | instid1(VALU_DEP_4)
	v_pk_fma_f32 v[88:89], v[208:209], v[204:205], v[92:93] op_sel_hi:[1,0,1]
	v_pk_add_f32 v[84:85], v[84:85], v[90:91]
	v_pk_fma_f32 v[90:91], v[208:209], v[204:205], v[92:93] neg_lo:[0,0,1] neg_hi:[0,0,1]
	s_delay_alu instid0(VALU_DEP_3) | instskip(NEXT) | instid1(VALU_DEP_3)
	v_mov_b32_e32 v91, v89
	v_pk_add_f32 v[84:85], v[84:85], v[86:87]
	s_delay_alu instid0(VALU_DEP_1) | instskip(SKIP_1) | instid1(VALU_DEP_1)
	v_pk_add_f32 v[84:85], v[84:85], v[90:91]
	s_wait_loadcnt 0x0
	v_pk_add_f32 v[84:85], v[206:207], v[84:85] neg_lo:[0,1] neg_hi:[0,1]
	scratch_store_b64 off, v[84:85], off offset:72
	s_wait_xcnt 0x0
	v_cmpx_lt_u32_e32 8, v0
	s_cbranch_execz .LBB104_243
; %bb.242:
	scratch_load_b64 v[84:85], off, off offset:64
	v_mov_b64_e32 v[86:87], 0
	scratch_store_b64 off, v[86:87], off offset:64
	s_wait_loadcnt 0x0
	ds_store_b64 v1, v[84:85]
.LBB104_243:
	s_wait_xcnt 0x0
	s_or_b32 exec_lo, exec_lo, s0
	s_wait_storecnt_dscnt 0x0
	s_barrier_signal -1
	s_barrier_wait -1
	s_clause 0x10
	scratch_load_b128 v[84:87], off, off offset:72
	scratch_load_b128 v[88:91], off, off offset:88
	;; [unrolled: 1-line block ×16, first 2 shown]
	scratch_load_b64 v[212:213], off, off offset:64
	ds_load_2addr_b64 v[148:151], v7 offset0:75 offset1:76
	ds_load_2addr_b64 v[152:155], v7 offset0:77 offset1:78
	;; [unrolled: 1-line block ×16, first 2 shown]
	s_mov_b32 s0, exec_lo
	s_wait_dscnt 0xf
	v_dual_mov_b32 v214, v151 :: v_dual_mov_b32 v215, v150
	s_wait_dscnt 0xe
	v_dual_mov_b32 v216, v155 :: v_dual_mov_b32 v217, v154
	;; [unrolled: 2-line block ×4, first 2 shown]
	s_wait_loadcnt_dscnt 0x100b
	v_dual_mul_f32 v7, v164, v85 :: v_dual_mul_f32 v9, v166, v87
	v_dual_mul_f32 v51, v165, v85 :: v_dual_mul_f32 v53, v167, v87
	s_wait_loadcnt_dscnt 0xf0a
	v_dual_mul_f32 v11, v168, v89 :: v_dual_mul_f32 v13, v170, v91
	s_delay_alu instid0(VALU_DEP_3) | instskip(SKIP_3) | instid1(VALU_DEP_3)
	v_dual_fmac_f32 v7, v165, v84 :: v_dual_fmac_f32 v9, v167, v86
	s_wait_loadcnt_dscnt 0xd08
	v_dual_fma_f32 v51, v164, v84, -v51 :: v_dual_mul_f32 v63, v177, v97
	v_dual_mul_f32 v55, v169, v89 :: v_dual_mul_f32 v57, v171, v91
	v_dual_fma_f32 v53, v166, v86, -v53 :: v_dual_add_f32 v7, 0, v7
	s_delay_alu instid0(VALU_DEP_3) | instskip(SKIP_1) | instid1(VALU_DEP_4)
	v_dual_add_f32 v51, 0, v51 :: v_dual_fmac_f32 v11, v169, v88
	v_dual_mul_f32 v15, v172, v93 :: v_dual_mul_f32 v17, v174, v95
	v_dual_mul_f32 v65, v179, v99 :: v_dual_fma_f32 v55, v168, v88, -v55
	s_delay_alu instid0(VALU_DEP_4) | instskip(NEXT) | instid1(VALU_DEP_3)
	v_add_f32_e32 v7, v7, v9
	v_dual_add_f32 v9, v51, v53 :: v_dual_fmac_f32 v15, v173, v92
	v_dual_mul_f32 v59, v173, v93 :: v_dual_mul_f32 v61, v175, v95
	s_wait_loadcnt_dscnt 0xc07
	v_dual_mul_f32 v51, v181, v101 :: v_dual_fmac_f32 v13, v171, v90
	v_dual_fma_f32 v53, v170, v90, -v57 :: v_dual_add_f32 v7, v7, v11
	s_delay_alu instid0(VALU_DEP_3) | instskip(SKIP_1) | instid1(VALU_DEP_3)
	v_dual_add_f32 v9, v9, v55 :: v_dual_fma_f32 v55, v172, v92, -v59
	v_dual_mul_f32 v19, v176, v97 :: v_dual_mul_f32 v21, v178, v99
	v_add_f32_e32 v7, v7, v13
	s_delay_alu instid0(VALU_DEP_3) | instskip(SKIP_2) | instid1(VALU_DEP_3)
	v_dual_mul_f32 v11, v183, v103 :: v_dual_add_f32 v9, v9, v53
	s_wait_loadcnt_dscnt 0xb06
	v_dual_mul_f32 v13, v185, v105 :: v_dual_fmac_f32 v17, v175, v94
	v_dual_fma_f32 v53, v174, v94, -v61 :: v_dual_add_f32 v7, v7, v15
	s_delay_alu instid0(VALU_DEP_3) | instskip(SKIP_1) | instid1(VALU_DEP_3)
	v_dual_add_f32 v9, v9, v55 :: v_dual_fma_f32 v55, v176, v96, -v63
	v_dual_mul_f32 v15, v187, v107 :: v_dual_fmac_f32 v19, v177, v96
	v_add_f32_e32 v7, v7, v17
	s_delay_alu instid0(VALU_DEP_3)
	v_dual_add_f32 v9, v9, v53 :: v_dual_fmac_f32 v21, v179, v98
	v_dual_mul_f32 v23, v180, v101 :: v_dual_mul_f32 v25, v182, v103
	s_wait_loadcnt_dscnt 0xa05
	v_dual_fma_f32 v53, v178, v98, -v65 :: v_dual_mul_f32 v17, v189, v109
	v_add_f32_e32 v7, v7, v19
	v_dual_add_f32 v9, v9, v55 :: v_dual_fma_f32 v51, v180, v100, -v51
	v_dual_mul_f32 v19, v191, v111 :: v_dual_fmac_f32 v23, v181, v100
	s_delay_alu instid0(VALU_DEP_3) | instskip(NEXT) | instid1(VALU_DEP_3)
	v_dual_add_f32 v7, v7, v21 :: v_dual_fma_f32 v11, v182, v102, -v11
	v_dual_add_f32 v9, v9, v53 :: v_dual_fmac_f32 v25, v183, v102
	v_dual_mul_f32 v27, v184, v105 :: v_dual_mul_f32 v29, v186, v107
	s_wait_loadcnt_dscnt 0x904
	s_delay_alu instid0(VALU_DEP_3) | instskip(NEXT) | instid1(VALU_DEP_3)
	v_dual_mul_f32 v21, v193, v113 :: v_dual_add_f32 v7, v7, v23
	v_dual_add_f32 v9, v9, v51 :: v_dual_fma_f32 v13, v184, v104, -v13
	s_delay_alu instid0(VALU_DEP_3) | instskip(NEXT) | instid1(VALU_DEP_2)
	v_dual_mul_f32 v23, v195, v115 :: v_dual_fmac_f32 v27, v185, v104
	v_dual_add_f32 v7, v7, v25 :: v_dual_add_f32 v9, v9, v11
	v_dual_mul_f32 v31, v188, v109 :: v_dual_mul_f32 v33, v190, v111
	s_wait_loadcnt_dscnt 0x803
	v_dual_mul_f32 v11, v197, v117 :: v_dual_fmac_f32 v29, v187, v106
	s_delay_alu instid0(VALU_DEP_3) | instskip(SKIP_2) | instid1(VALU_DEP_2)
	v_dual_fma_f32 v15, v186, v106, -v15 :: v_dual_add_f32 v7, v7, v27
	v_dual_add_f32 v9, v9, v13 :: v_dual_mul_f32 v13, v199, v119
	v_dual_fmac_f32 v31, v189, v108 :: v_dual_fma_f32 v17, v188, v108, -v17
	v_dual_add_f32 v7, v7, v29 :: v_dual_add_f32 v9, v9, v15
	v_dual_mul_f32 v35, v192, v113 :: v_dual_mul_f32 v37, v194, v115
	s_wait_loadcnt_dscnt 0x702
	v_dual_mul_f32 v15, v201, v121 :: v_dual_fmac_f32 v33, v191, v110
	s_delay_alu instid0(VALU_DEP_3) | instskip(SKIP_2) | instid1(VALU_DEP_2)
	v_dual_fma_f32 v19, v190, v110, -v19 :: v_dual_add_f32 v7, v7, v31
	v_dual_add_f32 v9, v9, v17 :: v_dual_mul_f32 v17, v203, v123
	v_dual_fmac_f32 v35, v193, v112 :: v_dual_fma_f32 v21, v192, v112, -v21
	v_dual_add_f32 v7, v7, v33 :: v_dual_add_f32 v9, v9, v19
	v_dual_mul_f32 v39, v196, v117 :: v_dual_mul_f32 v41, v198, v119
	s_wait_loadcnt_dscnt 0x601
	v_dual_mul_f32 v19, v205, v125 :: v_dual_fmac_f32 v37, v195, v114
	s_delay_alu instid0(VALU_DEP_3) | instskip(SKIP_2) | instid1(VALU_DEP_3)
	v_dual_fma_f32 v23, v194, v114, -v23 :: v_dual_add_f32 v7, v7, v35
	v_dual_add_f32 v9, v9, v21 :: v_dual_mul_f32 v21, v207, v127
	v_fmac_f32_e32 v39, v197, v116
	v_dual_fma_f32 v11, v196, v116, -v11 :: v_dual_add_f32 v7, v7, v37
	s_delay_alu instid0(VALU_DEP_3)
	v_dual_add_f32 v9, v9, v23 :: v_dual_mul_f32 v43, v200, v121
	s_wait_loadcnt_dscnt 0x500
	v_dual_mul_f32 v45, v202, v123 :: v_dual_mul_f32 v23, v209, v129
	v_fmac_f32_e32 v41, v199, v118
	v_dual_fma_f32 v13, v198, v118, -v13 :: v_dual_add_f32 v7, v7, v39
	v_dual_add_f32 v9, v9, v11 :: v_dual_fma_f32 v15, v200, v120, -v15
	v_dual_mul_f32 v11, v211, v131 :: v_dual_fmac_f32 v43, v201, v120
	s_delay_alu instid0(VALU_DEP_3) | instskip(NEXT) | instid1(VALU_DEP_3)
	v_add_f32_e32 v7, v7, v41
	v_dual_add_f32 v9, v9, v13 :: v_dual_fmac_f32 v45, v203, v122
	v_dual_mul_f32 v47, v204, v125 :: v_dual_mul_f32 v49, v206, v127
	s_delay_alu instid0(VALU_DEP_3) | instskip(SKIP_1) | instid1(VALU_DEP_3)
	v_dual_fma_f32 v13, v202, v122, -v17 :: v_dual_add_f32 v7, v7, v43
	s_wait_loadcnt 0x4
	v_dual_add_f32 v9, v9, v15 :: v_dual_mov_b32 v86, v135
	s_delay_alu instid0(VALU_DEP_3) | instskip(NEXT) | instid1(VALU_DEP_3)
	v_fmac_f32_e32 v47, v205, v124
	v_dual_fma_f32 v15, v204, v124, -v19 :: v_dual_add_f32 v7, v7, v45
	s_delay_alu instid0(VALU_DEP_3) | instskip(SKIP_1) | instid1(VALU_DEP_3)
	v_dual_add_f32 v9, v9, v13 :: v_dual_fmac_f32 v49, v207, v126
	v_dual_mul_f32 v223, v208, v129 :: v_dual_mul_f32 v225, v210, v131
	v_dual_fma_f32 v13, v206, v126, -v21 :: v_dual_add_f32 v7, v7, v47
	s_wait_loadcnt 0x3
	s_delay_alu instid0(VALU_DEP_3) | instskip(SKIP_1) | instid1(VALU_DEP_3)
	v_dual_add_f32 v9, v9, v15 :: v_dual_mov_b32 v90, v139
	v_pk_mul_f32 v[84:85], v[148:149], v[132:133] op_sel:[1,1] op_sel_hi:[0,1]
	v_dual_fmac_f32 v223, v209, v128 :: v_dual_add_f32 v93, v7, v49
	s_delay_alu instid0(VALU_DEP_3) | instskip(SKIP_1) | instid1(VALU_DEP_4)
	v_dual_fma_f32 v222, v208, v128, -v23 :: v_dual_add_f32 v92, v9, v13
	v_dual_fmac_f32 v225, v211, v130 :: v_dual_fma_f32 v224, v210, v130, -v11
	v_pk_fma_f32 v[94:95], v[148:149], v[132:133], v[84:85] op_sel_hi:[1,0,1]
	v_pk_mul_f32 v[86:87], v[214:215], v[86:87] op_sel_hi:[1,0]
	s_delay_alu instid0(VALU_DEP_4)
	v_pk_add_f32 v[92:93], v[92:93], v[222:223]
	v_pk_fma_f32 v[84:85], v[148:149], v[132:133], v[84:85] neg_lo:[0,0,1] neg_hi:[0,0,1]
	v_pk_mul_f32 v[88:89], v[152:153], v[136:137] op_sel:[1,1] op_sel_hi:[0,1]
	v_mov_b32_e32 v85, v95
	v_pk_fma_f32 v[94:95], v[150:151], v[134:135], v[86:87] op_sel_hi:[1,0,1]
	v_pk_add_f32 v[92:93], v[92:93], v[224:225]
	v_pk_fma_f32 v[86:87], v[150:151], v[134:135], v[86:87] neg_lo:[0,0,1] neg_hi:[0,0,1]
	v_pk_fma_f32 v[98:99], v[152:153], v[136:137], v[88:89] op_sel_hi:[1,0,1]
	v_pk_mul_f32 v[90:91], v[216:217], v[90:91] op_sel_hi:[1,0]
	v_mov_b32_e32 v87, v95
	v_pk_add_f32 v[84:85], v[92:93], v[84:85]
	s_wait_loadcnt 0x2
	v_pk_mul_f32 v[96:97], v[156:157], v[140:141] op_sel:[1,1] op_sel_hi:[0,1]
	v_mov_b32_e32 v92, v143
	v_pk_fma_f32 v[88:89], v[152:153], v[136:137], v[88:89] neg_lo:[0,0,1] neg_hi:[0,0,1]
	v_mov_b32_e32 v89, v99
	v_pk_fma_f32 v[94:95], v[154:155], v[138:139], v[90:91] op_sel_hi:[1,0,1]
	v_pk_add_f32 v[84:85], v[84:85], v[86:87]
	v_pk_fma_f32 v[86:87], v[156:157], v[140:141], v[96:97] op_sel_hi:[1,0,1]
	v_pk_mul_f32 v[92:93], v[218:219], v[92:93] op_sel_hi:[1,0]
	v_pk_fma_f32 v[90:91], v[154:155], v[138:139], v[90:91] neg_lo:[0,0,1] neg_hi:[0,0,1]
	v_mov_b32_e32 v91, v95
	v_pk_add_f32 v[84:85], v[84:85], v[88:89]
	v_pk_fma_f32 v[94:95], v[156:157], v[140:141], v[96:97] neg_lo:[0,0,1] neg_hi:[0,0,1]
	v_mov_b32_e32 v95, v87
	v_pk_fma_f32 v[86:87], v[158:159], v[142:143], v[92:93] op_sel_hi:[1,0,1]
	s_wait_loadcnt 0x1
	v_pk_mul_f32 v[88:89], v[160:161], v[144:145] op_sel:[1,1] op_sel_hi:[0,1]
	v_pk_add_f32 v[84:85], v[84:85], v[90:91]
	v_mov_b32_e32 v86, v147
	v_pk_fma_f32 v[92:93], v[158:159], v[142:143], v[92:93] neg_lo:[0,0,1] neg_hi:[0,0,1]
	v_mov_b32_e32 v93, v87
	v_pk_fma_f32 v[90:91], v[160:161], v[144:145], v[88:89] op_sel_hi:[1,0,1]
	v_pk_add_f32 v[84:85], v[84:85], v[94:95]
	v_pk_mul_f32 v[86:87], v[220:221], v[86:87] op_sel_hi:[1,0]
	v_pk_fma_f32 v[88:89], v[160:161], v[144:145], v[88:89] neg_lo:[0,0,1] neg_hi:[0,0,1]
	s_delay_alu instid0(VALU_DEP_4) | instskip(NEXT) | instid1(VALU_DEP_4)
	v_mov_b32_e32 v89, v91
	v_pk_add_f32 v[84:85], v[84:85], v[92:93]
	s_delay_alu instid0(VALU_DEP_4) | instskip(SKIP_1) | instid1(VALU_DEP_2)
	v_pk_fma_f32 v[90:91], v[162:163], v[146:147], v[86:87] op_sel_hi:[1,0,1]
	v_pk_fma_f32 v[86:87], v[162:163], v[146:147], v[86:87] neg_lo:[0,0,1] neg_hi:[0,0,1]
	v_mov_b32_e32 v87, v91
	s_delay_alu instid0(VALU_DEP_4) | instskip(NEXT) | instid1(VALU_DEP_1)
	v_pk_add_f32 v[84:85], v[84:85], v[88:89]
	v_pk_add_f32 v[84:85], v[84:85], v[86:87]
	s_wait_loadcnt 0x0
	s_delay_alu instid0(VALU_DEP_1)
	v_pk_add_f32 v[84:85], v[212:213], v[84:85] neg_lo:[0,1] neg_hi:[0,1]
	scratch_store_b64 off, v[84:85], off offset:64
	s_wait_xcnt 0x0
	v_cmpx_lt_u32_e32 7, v0
	s_cbranch_execz .LBB104_245
; %bb.244:
	scratch_load_b64 v[84:85], off, off offset:56
	v_mov_b64_e32 v[86:87], 0
	scratch_store_b64 off, v[86:87], off offset:56
	s_wait_loadcnt 0x0
	ds_store_b64 v1, v[84:85]
.LBB104_245:
	s_wait_xcnt 0x0
	s_or_b32 exec_lo, exec_lo, s0
	s_wait_storecnt_dscnt 0x0
	s_barrier_signal -1
	s_barrier_wait -1
	s_clause 0x11
	scratch_load_b128 v[84:87], off, off offset:64
	scratch_load_b128 v[88:91], off, off offset:80
	;; [unrolled: 1-line block ×16, first 2 shown]
	scratch_load_b64 v[212:213], off, off offset:320
	scratch_load_b64 v[214:215], off, off offset:56
	v_mov_b32_e32 v7, 0
	ds_load_b128 v[148:151], v7 offset:592
	ds_load_b128 v[152:155], v7 offset:608
	;; [unrolled: 1-line block ×16, first 2 shown]
	ds_load_b64 v[216:217], v7 offset:656
	s_mov_b32 s0, exec_lo
	s_wait_dscnt 0x10
	v_dual_mov_b32 v218, v151 :: v_dual_mov_b32 v219, v150
	s_wait_dscnt 0xd
	v_dual_mov_b32 v220, v155 :: v_dual_mov_b32 v225, v162
	v_dual_mov_b32 v221, v154 :: v_dual_mov_b32 v222, v159
	;; [unrolled: 1-line block ×3, first 2 shown]
	s_wait_loadcnt_dscnt 0x110c
	v_dual_mul_f32 v9, v164, v85 :: v_dual_mul_f32 v55, v165, v85
	v_dual_mul_f32 v57, v167, v87 :: v_dual_mul_f32 v11, v166, v87
	s_wait_loadcnt_dscnt 0x100b
	v_mul_f32_e32 v13, v168, v89
	s_wait_loadcnt_dscnt 0xe09
	v_dual_mul_f32 v67, v177, v97 :: v_dual_fma_f32 v55, v164, v84, -v55
	v_dual_fmac_f32 v9, v165, v84 :: v_dual_mul_f32 v69, v179, v99
	v_dual_mul_f32 v59, v169, v89 :: v_dual_mul_f32 v61, v171, v91
	v_dual_fmac_f32 v11, v167, v86 :: v_dual_fma_f32 v57, v166, v86, -v57
	s_delay_alu instid0(VALU_DEP_3) | instskip(SKIP_4) | instid1(VALU_DEP_3)
	v_dual_add_f32 v9, 0, v9 :: v_dual_add_f32 v55, 0, v55
	v_dual_mul_f32 v15, v170, v91 :: v_dual_mul_f32 v17, v172, v93
	s_wait_loadcnt_dscnt 0xd08
	v_dual_mul_f32 v71, v181, v101 :: v_dual_fma_f32 v59, v168, v88, -v59
	v_fmac_f32_e32 v13, v169, v88
	v_dual_add_f32 v9, v9, v11 :: v_dual_fmac_f32 v15, v171, v90
	v_add_f32_e32 v11, v55, v57
	v_dual_mul_f32 v63, v173, v93 :: v_dual_mul_f32 v65, v175, v95
	v_dual_mul_f32 v55, v183, v103 :: v_dual_fma_f32 v57, v170, v90, -v61
	s_delay_alu instid0(VALU_DEP_3) | instskip(SKIP_3) | instid1(VALU_DEP_3)
	v_dual_add_f32 v9, v9, v13 :: v_dual_add_f32 v11, v11, v59
	v_dual_mul_f32 v19, v174, v95 :: v_dual_mul_f32 v21, v176, v97
	s_wait_loadcnt_dscnt 0xc07
	v_dual_mul_f32 v13, v185, v105 :: v_dual_fma_f32 v59, v172, v92, -v63
	v_dual_fmac_f32 v17, v173, v92 :: v_dual_add_f32 v11, v11, v57
	s_delay_alu instid0(VALU_DEP_3) | instskip(SKIP_1) | instid1(VALU_DEP_2)
	v_dual_add_f32 v9, v9, v15 :: v_dual_fmac_f32 v19, v175, v94
	v_dual_mul_f32 v15, v187, v107 :: v_dual_fma_f32 v57, v174, v94, -v65
	v_dual_add_f32 v11, v11, v59 :: v_dual_add_f32 v9, v9, v17
	v_dual_mul_f32 v23, v178, v99 :: v_dual_mul_f32 v25, v180, v101
	s_wait_loadcnt_dscnt 0xb06
	v_dual_mul_f32 v17, v189, v109 :: v_dual_fma_f32 v59, v176, v96, -v67
	s_delay_alu instid0(VALU_DEP_3) | instskip(NEXT) | instid1(VALU_DEP_3)
	v_dual_fmac_f32 v21, v177, v96 :: v_dual_add_f32 v11, v11, v57
	v_dual_add_f32 v9, v9, v19 :: v_dual_fmac_f32 v23, v179, v98
	v_dual_mul_f32 v19, v191, v111 :: v_dual_fma_f32 v57, v178, v98, -v69
	s_delay_alu instid0(VALU_DEP_2) | instskip(SKIP_3) | instid1(VALU_DEP_3)
	v_dual_add_f32 v11, v11, v59 :: v_dual_add_f32 v9, v9, v21
	v_dual_mul_f32 v27, v182, v103 :: v_dual_mul_f32 v29, v184, v105
	s_wait_loadcnt_dscnt 0xa05
	v_dual_mul_f32 v21, v193, v113 :: v_dual_fma_f32 v59, v180, v100, -v71
	v_dual_fmac_f32 v25, v181, v100 :: v_dual_add_f32 v11, v11, v57
	s_delay_alu instid0(VALU_DEP_3) | instskip(SKIP_1) | instid1(VALU_DEP_2)
	v_dual_add_f32 v9, v9, v23 :: v_dual_fmac_f32 v27, v183, v102
	v_dual_mul_f32 v23, v195, v115 :: v_dual_fma_f32 v55, v182, v102, -v55
	v_dual_add_f32 v11, v11, v59 :: v_dual_add_f32 v9, v9, v25
	v_dual_mul_f32 v31, v186, v107 :: v_dual_mul_f32 v33, v188, v109
	s_wait_loadcnt_dscnt 0x904
	v_dual_mul_f32 v25, v197, v117 :: v_dual_fma_f32 v13, v184, v104, -v13
	s_delay_alu instid0(VALU_DEP_3) | instskip(NEXT) | instid1(VALU_DEP_3)
	v_dual_fmac_f32 v29, v185, v104 :: v_dual_add_f32 v11, v11, v55
	v_dual_add_f32 v9, v9, v27 :: v_dual_fmac_f32 v31, v187, v106
	v_dual_mul_f32 v27, v199, v119 :: v_dual_fma_f32 v15, v186, v106, -v15
	s_delay_alu instid0(VALU_DEP_3) | instskip(NEXT) | instid1(VALU_DEP_3)
	v_dual_add_f32 v11, v11, v13 :: v_dual_fmac_f32 v33, v189, v108
	v_dual_add_f32 v9, v9, v29 :: v_dual_fma_f32 v17, v188, v108, -v17
	v_dual_mul_f32 v35, v190, v111 :: v_dual_mul_f32 v37, v192, v113
	s_wait_loadcnt_dscnt 0x803
	s_delay_alu instid0(VALU_DEP_3) | instskip(NEXT) | instid1(VALU_DEP_2)
	v_dual_mul_f32 v13, v201, v121 :: v_dual_add_f32 v11, v11, v15
	v_dual_add_f32 v9, v9, v31 :: v_dual_fmac_f32 v35, v191, v110
	v_dual_mul_f32 v15, v203, v123 :: v_dual_fma_f32 v19, v190, v110, -v19
	s_delay_alu instid0(VALU_DEP_3) | instskip(NEXT) | instid1(VALU_DEP_3)
	v_dual_add_f32 v11, v11, v17 :: v_dual_fmac_f32 v37, v193, v112
	v_dual_add_f32 v9, v9, v33 :: v_dual_fma_f32 v21, v192, v112, -v21
	v_dual_mul_f32 v39, v194, v115 :: v_dual_mul_f32 v41, v196, v117
	s_wait_loadcnt_dscnt 0x702
	s_delay_alu instid0(VALU_DEP_3) | instskip(NEXT) | instid1(VALU_DEP_2)
	v_dual_mul_f32 v17, v205, v125 :: v_dual_add_f32 v11, v11, v19
	;; [unrolled: 9-line block ×3, first 2 shown]
	v_dual_add_f32 v9, v9, v39 :: v_dual_fmac_f32 v43, v199, v118
	v_dual_mul_f32 v23, v211, v131 :: v_dual_fma_f32 v27, v198, v118, -v27
	s_delay_alu instid0(VALU_DEP_3) | instskip(NEXT) | instid1(VALU_DEP_3)
	v_dual_add_f32 v11, v11, v25 :: v_dual_fmac_f32 v45, v201, v120
	v_dual_add_f32 v9, v9, v41 :: v_dual_fma_f32 v13, v200, v120, -v13
	v_dual_mul_f32 v47, v202, v123 :: v_dual_mul_f32 v49, v204, v125
	s_wait_loadcnt 0x5
	s_delay_alu instid0(VALU_DEP_3) | instskip(NEXT) | instid1(VALU_DEP_3)
	v_dual_mul_f32 v25, v149, v133 :: v_dual_add_f32 v11, v11, v27
	v_dual_add_f32 v9, v9, v43 :: v_dual_mov_b32 v84, v135
	s_delay_alu instid0(VALU_DEP_3) | instskip(NEXT) | instid1(VALU_DEP_3)
	v_fmac_f32_e32 v47, v203, v122
	v_dual_fma_f32 v15, v202, v122, -v15 :: v_dual_add_f32 v11, v11, v13
	s_delay_alu instid0(VALU_DEP_3) | instskip(SKIP_1) | instid1(VALU_DEP_3)
	v_dual_add_f32 v9, v9, v45 :: v_dual_mul_f32 v51, v206, v127
	v_dual_mul_f32 v53, v208, v129 :: v_dual_fmac_f32 v49, v205, v124
	v_dual_add_f32 v11, v11, v15 :: v_dual_fma_f32 v13, v204, v124, -v17
	s_wait_loadcnt 0x4
	s_delay_alu instid0(VALU_DEP_3) | instskip(SKIP_3) | instid1(VALU_DEP_4)
	v_dual_add_f32 v9, v9, v47 :: v_dual_mov_b32 v88, v139
	v_fma_f32 v15, v206, v126, -v19
	v_fmac_f32_e32 v51, v207, v126
	v_dual_add_f32 v11, v11, v13 :: v_dual_fmac_f32 v53, v209, v128
	v_dual_add_f32 v9, v9, v49 :: v_dual_mul_f32 v227, v210, v131
	v_mul_f32_e32 v229, v148, v133
	s_delay_alu instid0(VALU_DEP_3) | instskip(NEXT) | instid1(VALU_DEP_3)
	v_dual_fma_f32 v13, v208, v128, -v21 :: v_dual_add_f32 v11, v11, v15
	v_dual_fma_f32 v226, v210, v130, -v23 :: v_dual_add_f32 v9, v9, v51
	s_delay_alu instid0(VALU_DEP_4) | instskip(SKIP_1) | instid1(VALU_DEP_4)
	v_fmac_f32_e32 v227, v211, v130
	v_pk_mul_f32 v[84:85], v[218:219], v[84:85] op_sel_hi:[1,0]
	v_dual_add_f32 v92, v11, v13 :: v_dual_fmac_f32 v229, v149, v132
	s_delay_alu instid0(VALU_DEP_4)
	v_add_f32_e32 v93, v9, v53
	v_pk_mul_f32 v[86:87], v[152:153], v[136:137] op_sel:[1,1] op_sel_hi:[0,1]
	s_wait_loadcnt 0x3
	v_dual_mov_b32 v94, v143 :: v_dual_fma_f32 v228, v148, v132, -v25
	v_pk_fma_f32 v[96:97], v[150:151], v[134:135], v[84:85] op_sel_hi:[1,0,1]
	v_pk_add_f32 v[92:93], v[92:93], v[226:227]
	v_pk_fma_f32 v[84:85], v[150:151], v[134:135], v[84:85] neg_lo:[0,0,1] neg_hi:[0,0,1]
	v_pk_fma_f32 v[98:99], v[152:153], v[136:137], v[86:87] op_sel_hi:[1,0,1]
	v_pk_mul_f32 v[88:89], v[220:221], v[88:89] op_sel_hi:[1,0]
	v_mov_b32_e32 v85, v97
	v_pk_add_f32 v[92:93], v[92:93], v[228:229]
	v_pk_fma_f32 v[86:87], v[152:153], v[136:137], v[86:87] neg_lo:[0,0,1] neg_hi:[0,0,1]
	v_pk_mul_f32 v[90:91], v[156:157], v[140:141] op_sel:[1,1] op_sel_hi:[0,1]
	v_mov_b32_e32 v87, v99
	v_pk_fma_f32 v[98:99], v[154:155], v[138:139], v[88:89] op_sel_hi:[1,0,1]
	v_pk_add_f32 v[84:85], v[92:93], v[84:85]
	v_pk_fma_f32 v[88:89], v[154:155], v[138:139], v[88:89] neg_lo:[0,0,1] neg_hi:[0,0,1]
	v_pk_fma_f32 v[92:93], v[156:157], v[140:141], v[90:91] op_sel_hi:[1,0,1]
	v_pk_mul_f32 v[94:95], v[222:223], v[94:95] op_sel_hi:[1,0]
	v_mov_b32_e32 v89, v99
	v_pk_add_f32 v[84:85], v[84:85], v[86:87]
	v_pk_fma_f32 v[90:91], v[156:157], v[140:141], v[90:91] neg_lo:[0,0,1] neg_hi:[0,0,1]
	s_wait_loadcnt 0x2
	v_pk_mul_f32 v[96:97], v[160:161], v[144:145] op_sel:[1,1] op_sel_hi:[0,1]
	v_dual_mov_b32 v86, v147 :: v_dual_mov_b32 v91, v93
	v_pk_fma_f32 v[92:93], v[158:159], v[142:143], v[94:95] op_sel_hi:[1,0,1]
	v_pk_add_f32 v[84:85], v[84:85], v[88:89]
	v_pk_fma_f32 v[94:95], v[158:159], v[142:143], v[94:95] neg_lo:[0,0,1] neg_hi:[0,0,1]
	v_pk_fma_f32 v[88:89], v[160:161], v[144:145], v[96:97] op_sel_hi:[1,0,1]
	v_pk_mul_f32 v[86:87], v[224:225], v[86:87] op_sel_hi:[1,0]
	v_mov_b32_e32 v95, v93
	v_pk_add_f32 v[84:85], v[84:85], v[90:91]
	v_pk_fma_f32 v[90:91], v[160:161], v[144:145], v[96:97] neg_lo:[0,0,1] neg_hi:[0,0,1]
	v_mov_b32_e32 v91, v89
	v_pk_fma_f32 v[88:89], v[162:163], v[146:147], v[86:87] op_sel_hi:[1,0,1]
	s_wait_loadcnt_dscnt 0x100
	v_pk_mul_f32 v[92:93], v[216:217], v[212:213] op_sel:[1,1] op_sel_hi:[0,1]
	v_pk_add_f32 v[84:85], v[84:85], v[94:95]
	v_pk_fma_f32 v[86:87], v[162:163], v[146:147], v[86:87] neg_lo:[0,0,1] neg_hi:[0,0,1]
	v_mov_b32_e32 v87, v89
	s_delay_alu instid0(VALU_DEP_4) | instskip(NEXT) | instid1(VALU_DEP_4)
	v_pk_fma_f32 v[88:89], v[216:217], v[212:213], v[92:93] op_sel_hi:[1,0,1]
	v_pk_add_f32 v[84:85], v[84:85], v[90:91]
	v_pk_fma_f32 v[90:91], v[216:217], v[212:213], v[92:93] neg_lo:[0,0,1] neg_hi:[0,0,1]
	s_delay_alu instid0(VALU_DEP_3) | instskip(NEXT) | instid1(VALU_DEP_3)
	v_mov_b32_e32 v91, v89
	v_pk_add_f32 v[84:85], v[84:85], v[86:87]
	s_delay_alu instid0(VALU_DEP_1) | instskip(SKIP_1) | instid1(VALU_DEP_1)
	v_pk_add_f32 v[84:85], v[84:85], v[90:91]
	s_wait_loadcnt 0x0
	v_pk_add_f32 v[84:85], v[214:215], v[84:85] neg_lo:[0,1] neg_hi:[0,1]
	scratch_store_b64 off, v[84:85], off offset:56
	s_wait_xcnt 0x0
	v_cmpx_lt_u32_e32 6, v0
	s_cbranch_execz .LBB104_247
; %bb.246:
	scratch_load_b64 v[84:85], off, off offset:48
	v_mov_b64_e32 v[86:87], 0
	scratch_store_b64 off, v[86:87], off offset:48
	s_wait_loadcnt 0x0
	ds_store_b64 v1, v[84:85]
.LBB104_247:
	s_wait_xcnt 0x0
	s_or_b32 exec_lo, exec_lo, s0
	s_wait_storecnt_dscnt 0x0
	s_barrier_signal -1
	s_barrier_wait -1
	s_clause 0x11
	scratch_load_b128 v[84:87], off, off offset:56
	scratch_load_b128 v[88:91], off, off offset:72
	;; [unrolled: 1-line block ×17, first 2 shown]
	scratch_load_b64 v[220:221], off, off offset:48
	ds_load_2addr_b64 v[152:155], v7 offset0:75 offset1:76
	ds_load_2addr_b64 v[156:159], v7 offset0:77 offset1:78
	;; [unrolled: 1-line block ×17, first 2 shown]
	s_mov_b32 s0, exec_lo
	s_wait_dscnt 0x10
	v_dual_mov_b32 v222, v155 :: v_dual_mov_b32 v223, v154
	s_wait_dscnt 0xf
	v_dual_mov_b32 v224, v159 :: v_dual_mov_b32 v225, v158
	;; [unrolled: 2-line block ×4, first 2 shown]
	s_wait_loadcnt_dscnt 0x110b
	v_dual_mul_f32 v7, v172, v85 :: v_dual_mul_f32 v9, v174, v87
	v_dual_mul_f32 v55, v173, v85 :: v_dual_mul_f32 v57, v175, v87
	s_wait_loadcnt_dscnt 0x100a
	v_dual_mul_f32 v11, v176, v89 :: v_dual_mul_f32 v13, v178, v91
	s_delay_alu instid0(VALU_DEP_3) | instskip(SKIP_3) | instid1(VALU_DEP_3)
	v_dual_fmac_f32 v7, v173, v84 :: v_dual_fmac_f32 v9, v175, v86
	s_wait_loadcnt_dscnt 0xe08
	v_dual_fma_f32 v55, v172, v84, -v55 :: v_dual_mul_f32 v67, v185, v97
	v_dual_mul_f32 v59, v177, v89 :: v_dual_mul_f32 v61, v179, v91
	v_dual_fma_f32 v57, v174, v86, -v57 :: v_dual_add_f32 v7, 0, v7
	s_delay_alu instid0(VALU_DEP_3) | instskip(SKIP_1) | instid1(VALU_DEP_4)
	v_dual_add_f32 v55, 0, v55 :: v_dual_fmac_f32 v11, v177, v88
	v_dual_mul_f32 v15, v180, v93 :: v_dual_mul_f32 v17, v182, v95
	v_dual_mul_f32 v69, v187, v99 :: v_dual_fma_f32 v59, v176, v88, -v59
	s_delay_alu instid0(VALU_DEP_4) | instskip(NEXT) | instid1(VALU_DEP_3)
	v_add_f32_e32 v7, v7, v9
	v_dual_add_f32 v9, v55, v57 :: v_dual_fmac_f32 v15, v181, v92
	v_dual_mul_f32 v63, v181, v93 :: v_dual_mul_f32 v65, v183, v95
	s_wait_loadcnt_dscnt 0xd07
	v_dual_mul_f32 v55, v189, v101 :: v_dual_fmac_f32 v13, v179, v90
	v_dual_fma_f32 v57, v178, v90, -v61 :: v_dual_add_f32 v7, v7, v11
	s_delay_alu instid0(VALU_DEP_3) | instskip(SKIP_1) | instid1(VALU_DEP_3)
	v_dual_add_f32 v9, v9, v59 :: v_dual_fma_f32 v59, v180, v92, -v63
	v_dual_mul_f32 v19, v184, v97 :: v_dual_mul_f32 v21, v186, v99
	v_add_f32_e32 v7, v7, v13
	s_delay_alu instid0(VALU_DEP_3) | instskip(SKIP_2) | instid1(VALU_DEP_3)
	v_dual_mul_f32 v11, v191, v103 :: v_dual_add_f32 v9, v9, v57
	s_wait_loadcnt_dscnt 0xc06
	v_dual_mul_f32 v13, v193, v105 :: v_dual_fmac_f32 v17, v183, v94
	v_dual_fma_f32 v57, v182, v94, -v65 :: v_dual_add_f32 v7, v7, v15
	s_delay_alu instid0(VALU_DEP_3) | instskip(SKIP_1) | instid1(VALU_DEP_3)
	v_dual_add_f32 v9, v9, v59 :: v_dual_fma_f32 v59, v184, v96, -v67
	v_dual_mul_f32 v15, v195, v107 :: v_dual_fmac_f32 v19, v185, v96
	v_add_f32_e32 v7, v7, v17
	s_delay_alu instid0(VALU_DEP_3)
	v_dual_add_f32 v9, v9, v57 :: v_dual_fmac_f32 v21, v187, v98
	v_dual_mul_f32 v23, v188, v101 :: v_dual_mul_f32 v25, v190, v103
	s_wait_loadcnt_dscnt 0xb05
	v_dual_fma_f32 v57, v186, v98, -v69 :: v_dual_mul_f32 v17, v197, v109
	v_add_f32_e32 v7, v7, v19
	v_dual_add_f32 v9, v9, v59 :: v_dual_fma_f32 v55, v188, v100, -v55
	v_dual_mul_f32 v19, v199, v111 :: v_dual_fmac_f32 v23, v189, v100
	s_delay_alu instid0(VALU_DEP_3) | instskip(NEXT) | instid1(VALU_DEP_3)
	v_dual_add_f32 v7, v7, v21 :: v_dual_fma_f32 v11, v190, v102, -v11
	v_dual_add_f32 v9, v9, v57 :: v_dual_fmac_f32 v25, v191, v102
	v_dual_mul_f32 v27, v192, v105 :: v_dual_mul_f32 v29, v194, v107
	s_wait_loadcnt_dscnt 0xa04
	s_delay_alu instid0(VALU_DEP_3) | instskip(NEXT) | instid1(VALU_DEP_3)
	v_dual_mul_f32 v21, v201, v113 :: v_dual_add_f32 v7, v7, v23
	v_dual_add_f32 v9, v9, v55 :: v_dual_fma_f32 v13, v192, v104, -v13
	s_delay_alu instid0(VALU_DEP_3) | instskip(NEXT) | instid1(VALU_DEP_2)
	v_dual_mul_f32 v23, v203, v115 :: v_dual_fmac_f32 v27, v193, v104
	v_dual_add_f32 v7, v7, v25 :: v_dual_add_f32 v9, v9, v11
	v_dual_mul_f32 v31, v196, v109 :: v_dual_mul_f32 v33, v198, v111
	s_wait_loadcnt_dscnt 0x903
	v_dual_mul_f32 v11, v205, v117 :: v_dual_fmac_f32 v29, v195, v106
	s_delay_alu instid0(VALU_DEP_3) | instskip(SKIP_2) | instid1(VALU_DEP_2)
	v_dual_fma_f32 v15, v194, v106, -v15 :: v_dual_add_f32 v7, v7, v27
	v_dual_add_f32 v9, v9, v13 :: v_dual_mul_f32 v13, v207, v119
	v_dual_fmac_f32 v31, v197, v108 :: v_dual_fma_f32 v17, v196, v108, -v17
	v_dual_add_f32 v7, v7, v29 :: v_dual_add_f32 v9, v9, v15
	v_dual_mul_f32 v35, v200, v113 :: v_dual_mul_f32 v37, v202, v115
	s_wait_loadcnt_dscnt 0x802
	v_dual_mul_f32 v15, v209, v121 :: v_dual_fmac_f32 v33, v199, v110
	s_delay_alu instid0(VALU_DEP_3) | instskip(SKIP_2) | instid1(VALU_DEP_2)
	v_dual_fma_f32 v19, v198, v110, -v19 :: v_dual_add_f32 v7, v7, v31
	v_dual_add_f32 v9, v9, v17 :: v_dual_mul_f32 v17, v211, v123
	v_dual_fmac_f32 v35, v201, v112 :: v_dual_fma_f32 v21, v200, v112, -v21
	v_dual_add_f32 v7, v7, v33 :: v_dual_add_f32 v9, v9, v19
	v_dual_mul_f32 v39, v204, v117 :: v_dual_mul_f32 v41, v206, v119
	s_wait_loadcnt_dscnt 0x701
	v_dual_mul_f32 v19, v213, v125 :: v_dual_fmac_f32 v37, v203, v114
	s_delay_alu instid0(VALU_DEP_3) | instskip(SKIP_2) | instid1(VALU_DEP_3)
	v_dual_fma_f32 v23, v202, v114, -v23 :: v_dual_add_f32 v7, v7, v35
	v_dual_add_f32 v9, v9, v21 :: v_dual_mul_f32 v21, v215, v127
	v_fmac_f32_e32 v39, v205, v116
	v_dual_fma_f32 v11, v204, v116, -v11 :: v_dual_add_f32 v7, v7, v37
	s_delay_alu instid0(VALU_DEP_3)
	v_dual_add_f32 v9, v9, v23 :: v_dual_mul_f32 v43, v208, v121
	s_wait_loadcnt_dscnt 0x600
	v_dual_mul_f32 v45, v210, v123 :: v_dual_mul_f32 v23, v217, v129
	v_fmac_f32_e32 v41, v207, v118
	v_dual_fma_f32 v13, v206, v118, -v13 :: v_dual_add_f32 v7, v7, v39
	v_dual_add_f32 v9, v9, v11 :: v_dual_fma_f32 v15, v208, v120, -v15
	v_dual_mul_f32 v11, v219, v131 :: v_dual_fmac_f32 v43, v209, v120
	s_delay_alu instid0(VALU_DEP_3) | instskip(NEXT) | instid1(VALU_DEP_3)
	v_dual_add_f32 v7, v7, v41 :: v_dual_fma_f32 v17, v210, v122, -v17
	v_dual_add_f32 v9, v9, v13 :: v_dual_fmac_f32 v45, v211, v122
	v_dual_mul_f32 v47, v212, v125 :: v_dual_mul_f32 v49, v214, v127
	s_wait_loadcnt 0x5
	s_delay_alu instid0(VALU_DEP_3) | instskip(NEXT) | instid1(VALU_DEP_3)
	v_dual_mul_f32 v13, v169, v133 :: v_dual_add_f32 v7, v7, v43
	v_dual_add_f32 v9, v9, v15 :: v_dual_fma_f32 v19, v212, v124, -v19
	s_delay_alu instid0(VALU_DEP_3) | instskip(NEXT) | instid1(VALU_DEP_3)
	v_dual_mul_f32 v15, v171, v135 :: v_dual_fmac_f32 v47, v213, v124
	v_add_f32_e32 v7, v7, v45
	s_delay_alu instid0(VALU_DEP_3) | instskip(SKIP_1) | instid1(VALU_DEP_3)
	v_dual_add_f32 v9, v9, v17 :: v_dual_fmac_f32 v49, v215, v126
	v_dual_mul_f32 v51, v216, v129 :: v_dual_mul_f32 v53, v218, v131
	v_dual_fma_f32 v17, v214, v126, -v21 :: v_dual_add_f32 v7, v7, v47
	s_wait_loadcnt 0x4
	s_delay_alu instid0(VALU_DEP_3) | instskip(NEXT) | instid1(VALU_DEP_3)
	v_dual_add_f32 v9, v9, v19 :: v_dual_mov_b32 v86, v139
	v_fmac_f32_e32 v51, v217, v128
	s_delay_alu instid0(VALU_DEP_3) | instskip(NEXT) | instid1(VALU_DEP_3)
	v_dual_fma_f32 v19, v216, v128, -v23 :: v_dual_add_f32 v7, v7, v49
	v_dual_add_f32 v9, v9, v17 :: v_dual_fmac_f32 v53, v219, v130
	v_dual_mul_f32 v231, v168, v133 :: v_dual_mul_f32 v233, v170, v135
	s_delay_alu instid0(VALU_DEP_3) | instskip(SKIP_1) | instid1(VALU_DEP_3)
	v_dual_fma_f32 v11, v218, v130, -v11 :: v_dual_add_f32 v7, v7, v51
	s_wait_loadcnt 0x3
	v_dual_add_f32 v9, v9, v19 :: v_dual_mov_b32 v90, v143
	v_pk_mul_f32 v[84:85], v[152:153], v[136:137] op_sel:[1,1] op_sel_hi:[0,1]
	v_dual_fmac_f32 v231, v169, v132 :: v_dual_fma_f32 v230, v168, v132, -v13
	s_delay_alu instid0(VALU_DEP_3) | instskip(SKIP_1) | instid1(VALU_DEP_4)
	v_dual_add_f32 v93, v7, v53 :: v_dual_add_f32 v92, v9, v11
	v_dual_fmac_f32 v233, v171, v134 :: v_dual_fma_f32 v232, v170, v134, -v15
	v_pk_fma_f32 v[94:95], v[152:153], v[136:137], v[84:85] op_sel_hi:[1,0,1]
	v_pk_mul_f32 v[86:87], v[222:223], v[86:87] op_sel_hi:[1,0]
	s_delay_alu instid0(VALU_DEP_4)
	v_pk_add_f32 v[92:93], v[92:93], v[230:231]
	v_pk_fma_f32 v[84:85], v[152:153], v[136:137], v[84:85] neg_lo:[0,0,1] neg_hi:[0,0,1]
	v_pk_mul_f32 v[88:89], v[156:157], v[140:141] op_sel:[1,1] op_sel_hi:[0,1]
	v_mov_b32_e32 v85, v95
	v_pk_fma_f32 v[94:95], v[154:155], v[138:139], v[86:87] op_sel_hi:[1,0,1]
	v_pk_add_f32 v[92:93], v[92:93], v[232:233]
	v_pk_fma_f32 v[86:87], v[154:155], v[138:139], v[86:87] neg_lo:[0,0,1] neg_hi:[0,0,1]
	v_pk_fma_f32 v[98:99], v[156:157], v[140:141], v[88:89] op_sel_hi:[1,0,1]
	v_pk_mul_f32 v[90:91], v[224:225], v[90:91] op_sel_hi:[1,0]
	v_mov_b32_e32 v87, v95
	v_pk_add_f32 v[84:85], v[92:93], v[84:85]
	s_wait_loadcnt 0x2
	v_pk_mul_f32 v[96:97], v[160:161], v[144:145] op_sel:[1,1] op_sel_hi:[0,1]
	v_mov_b32_e32 v92, v147
	v_pk_fma_f32 v[88:89], v[156:157], v[140:141], v[88:89] neg_lo:[0,0,1] neg_hi:[0,0,1]
	v_mov_b32_e32 v89, v99
	v_pk_fma_f32 v[94:95], v[158:159], v[142:143], v[90:91] op_sel_hi:[1,0,1]
	v_pk_add_f32 v[84:85], v[84:85], v[86:87]
	v_pk_fma_f32 v[86:87], v[160:161], v[144:145], v[96:97] op_sel_hi:[1,0,1]
	v_pk_mul_f32 v[92:93], v[226:227], v[92:93] op_sel_hi:[1,0]
	v_pk_fma_f32 v[90:91], v[158:159], v[142:143], v[90:91] neg_lo:[0,0,1] neg_hi:[0,0,1]
	v_mov_b32_e32 v91, v95
	v_pk_add_f32 v[84:85], v[84:85], v[88:89]
	v_pk_fma_f32 v[94:95], v[160:161], v[144:145], v[96:97] neg_lo:[0,0,1] neg_hi:[0,0,1]
	v_mov_b32_e32 v95, v87
	v_pk_fma_f32 v[86:87], v[162:163], v[146:147], v[92:93] op_sel_hi:[1,0,1]
	s_wait_loadcnt 0x1
	v_pk_mul_f32 v[88:89], v[164:165], v[148:149] op_sel:[1,1] op_sel_hi:[0,1]
	v_pk_add_f32 v[84:85], v[84:85], v[90:91]
	v_mov_b32_e32 v86, v151
	v_pk_fma_f32 v[92:93], v[162:163], v[146:147], v[92:93] neg_lo:[0,0,1] neg_hi:[0,0,1]
	v_mov_b32_e32 v93, v87
	v_pk_fma_f32 v[90:91], v[164:165], v[148:149], v[88:89] op_sel_hi:[1,0,1]
	v_pk_add_f32 v[84:85], v[84:85], v[94:95]
	v_pk_mul_f32 v[86:87], v[228:229], v[86:87] op_sel_hi:[1,0]
	v_pk_fma_f32 v[88:89], v[164:165], v[148:149], v[88:89] neg_lo:[0,0,1] neg_hi:[0,0,1]
	s_delay_alu instid0(VALU_DEP_4) | instskip(NEXT) | instid1(VALU_DEP_4)
	v_mov_b32_e32 v89, v91
	v_pk_add_f32 v[84:85], v[84:85], v[92:93]
	s_delay_alu instid0(VALU_DEP_4) | instskip(SKIP_1) | instid1(VALU_DEP_2)
	v_pk_fma_f32 v[90:91], v[166:167], v[150:151], v[86:87] op_sel_hi:[1,0,1]
	v_pk_fma_f32 v[86:87], v[166:167], v[150:151], v[86:87] neg_lo:[0,0,1] neg_hi:[0,0,1]
	v_mov_b32_e32 v87, v91
	s_delay_alu instid0(VALU_DEP_4) | instskip(NEXT) | instid1(VALU_DEP_1)
	v_pk_add_f32 v[84:85], v[84:85], v[88:89]
	v_pk_add_f32 v[84:85], v[84:85], v[86:87]
	s_wait_loadcnt 0x0
	s_delay_alu instid0(VALU_DEP_1)
	v_pk_add_f32 v[84:85], v[220:221], v[84:85] neg_lo:[0,1] neg_hi:[0,1]
	scratch_store_b64 off, v[84:85], off offset:48
	s_wait_xcnt 0x0
	v_cmpx_lt_u32_e32 5, v0
	s_cbranch_execz .LBB104_249
; %bb.248:
	scratch_load_b64 v[84:85], off, off offset:40
	v_mov_b64_e32 v[86:87], 0
	scratch_store_b64 off, v[86:87], off offset:40
	s_wait_loadcnt 0x0
	ds_store_b64 v1, v[84:85]
.LBB104_249:
	s_wait_xcnt 0x0
	s_or_b32 exec_lo, exec_lo, s0
	s_wait_storecnt_dscnt 0x0
	s_barrier_signal -1
	s_barrier_wait -1
	s_clause 0x12
	scratch_load_b128 v[84:87], off, off offset:48
	scratch_load_b128 v[88:91], off, off offset:64
	;; [unrolled: 1-line block ×17, first 2 shown]
	scratch_load_b64 v[220:221], off, off offset:320
	scratch_load_b64 v[222:223], off, off offset:40
	v_mov_b32_e32 v7, 0
	ds_load_b128 v[152:155], v7 offset:592
	ds_load_b128 v[156:159], v7 offset:608
	;; [unrolled: 1-line block ×17, first 2 shown]
	ds_load_b64 v[224:225], v7 offset:656
	s_mov_b32 s0, exec_lo
	s_wait_dscnt 0x11
	v_dual_mov_b32 v226, v155 :: v_dual_mov_b32 v227, v154
	s_wait_dscnt 0x10
	v_dual_mov_b32 v228, v159 :: v_dual_mov_b32 v229, v158
	;; [unrolled: 2-line block ×3, first 2 shown]
	v_dual_mov_b32 v231, v162 :: v_dual_mov_b32 v232, v171
	s_wait_loadcnt_dscnt 0x120c
	v_dual_mul_f32 v9, v172, v85 :: v_dual_mul_f32 v59, v173, v85
	v_dual_mul_f32 v61, v175, v87 :: v_dual_mul_f32 v11, v174, v87
	s_wait_loadcnt_dscnt 0x110b
	v_mul_f32_e32 v13, v176, v89
	s_wait_loadcnt_dscnt 0xf09
	v_dual_mul_f32 v71, v185, v97 :: v_dual_fma_f32 v59, v172, v84, -v59
	v_dual_fmac_f32 v9, v173, v84 :: v_dual_mul_f32 v73, v187, v99
	v_dual_mul_f32 v63, v177, v89 :: v_dual_mul_f32 v65, v179, v91
	v_dual_fmac_f32 v11, v175, v86 :: v_dual_fma_f32 v61, v174, v86, -v61
	s_delay_alu instid0(VALU_DEP_3) | instskip(SKIP_4) | instid1(VALU_DEP_3)
	v_dual_add_f32 v9, 0, v9 :: v_dual_add_f32 v59, 0, v59
	v_dual_mul_f32 v15, v178, v91 :: v_dual_mul_f32 v17, v180, v93
	s_wait_loadcnt_dscnt 0xe08
	v_dual_mul_f32 v75, v189, v101 :: v_dual_fma_f32 v63, v176, v88, -v63
	v_fmac_f32_e32 v13, v177, v88
	v_dual_add_f32 v9, v9, v11 :: v_dual_fmac_f32 v15, v179, v90
	v_add_f32_e32 v11, v59, v61
	v_dual_mul_f32 v67, v181, v93 :: v_dual_mul_f32 v69, v183, v95
	v_dual_mul_f32 v59, v191, v103 :: v_dual_fma_f32 v61, v178, v90, -v65
	s_delay_alu instid0(VALU_DEP_3) | instskip(SKIP_3) | instid1(VALU_DEP_3)
	v_dual_add_f32 v9, v9, v13 :: v_dual_add_f32 v11, v11, v63
	v_dual_mul_f32 v19, v182, v95 :: v_dual_mul_f32 v21, v184, v97
	s_wait_loadcnt_dscnt 0xd07
	v_dual_mul_f32 v13, v193, v105 :: v_dual_fma_f32 v63, v180, v92, -v67
	v_dual_fmac_f32 v17, v181, v92 :: v_dual_add_f32 v11, v11, v61
	s_delay_alu instid0(VALU_DEP_3) | instskip(SKIP_1) | instid1(VALU_DEP_2)
	v_dual_add_f32 v9, v9, v15 :: v_dual_fmac_f32 v19, v183, v94
	v_dual_mul_f32 v15, v195, v107 :: v_dual_fma_f32 v61, v182, v94, -v69
	v_dual_add_f32 v11, v11, v63 :: v_dual_add_f32 v9, v9, v17
	v_dual_mul_f32 v23, v186, v99 :: v_dual_mul_f32 v25, v188, v101
	s_wait_loadcnt_dscnt 0xc06
	v_dual_mul_f32 v17, v197, v109 :: v_dual_fma_f32 v63, v184, v96, -v71
	s_delay_alu instid0(VALU_DEP_3) | instskip(NEXT) | instid1(VALU_DEP_3)
	v_dual_fmac_f32 v21, v185, v96 :: v_dual_add_f32 v11, v11, v61
	v_dual_add_f32 v9, v9, v19 :: v_dual_fmac_f32 v23, v187, v98
	v_dual_mul_f32 v19, v199, v111 :: v_dual_fma_f32 v61, v186, v98, -v73
	s_delay_alu instid0(VALU_DEP_2) | instskip(SKIP_3) | instid1(VALU_DEP_3)
	v_dual_add_f32 v11, v11, v63 :: v_dual_add_f32 v9, v9, v21
	v_dual_mul_f32 v27, v190, v103 :: v_dual_mul_f32 v29, v192, v105
	s_wait_loadcnt_dscnt 0xb05
	v_dual_mul_f32 v21, v201, v113 :: v_dual_fma_f32 v63, v188, v100, -v75
	v_dual_fmac_f32 v25, v189, v100 :: v_dual_add_f32 v11, v11, v61
	s_delay_alu instid0(VALU_DEP_3) | instskip(SKIP_1) | instid1(VALU_DEP_2)
	v_dual_add_f32 v9, v9, v23 :: v_dual_fmac_f32 v27, v191, v102
	v_dual_mul_f32 v23, v203, v115 :: v_dual_fma_f32 v59, v190, v102, -v59
	v_dual_add_f32 v11, v11, v63 :: v_dual_add_f32 v9, v9, v25
	v_dual_mul_f32 v31, v194, v107 :: v_dual_mul_f32 v33, v196, v109
	s_wait_loadcnt_dscnt 0xa04
	v_dual_mul_f32 v25, v205, v117 :: v_dual_fma_f32 v13, v192, v104, -v13
	s_delay_alu instid0(VALU_DEP_3) | instskip(NEXT) | instid1(VALU_DEP_3)
	v_dual_fmac_f32 v29, v193, v104 :: v_dual_add_f32 v11, v11, v59
	v_dual_add_f32 v9, v9, v27 :: v_dual_fmac_f32 v31, v195, v106
	v_dual_mul_f32 v27, v207, v119 :: v_dual_fma_f32 v15, v194, v106, -v15
	s_delay_alu instid0(VALU_DEP_3) | instskip(NEXT) | instid1(VALU_DEP_3)
	v_dual_add_f32 v11, v11, v13 :: v_dual_fmac_f32 v33, v197, v108
	v_dual_add_f32 v9, v9, v29 :: v_dual_fma_f32 v17, v196, v108, -v17
	v_dual_mul_f32 v35, v198, v111 :: v_dual_mul_f32 v37, v200, v113
	s_wait_loadcnt_dscnt 0x903
	s_delay_alu instid0(VALU_DEP_3) | instskip(NEXT) | instid1(VALU_DEP_2)
	v_dual_mul_f32 v13, v209, v121 :: v_dual_add_f32 v11, v11, v15
	v_dual_add_f32 v9, v9, v31 :: v_dual_fmac_f32 v35, v199, v110
	v_dual_mul_f32 v15, v211, v123 :: v_dual_fma_f32 v19, v198, v110, -v19
	s_delay_alu instid0(VALU_DEP_3) | instskip(NEXT) | instid1(VALU_DEP_3)
	v_dual_add_f32 v11, v11, v17 :: v_dual_fmac_f32 v37, v201, v112
	v_dual_add_f32 v9, v9, v33 :: v_dual_fma_f32 v21, v200, v112, -v21
	v_dual_mul_f32 v39, v202, v115 :: v_dual_mul_f32 v41, v204, v117
	s_wait_loadcnt_dscnt 0x802
	s_delay_alu instid0(VALU_DEP_3) | instskip(NEXT) | instid1(VALU_DEP_2)
	v_dual_mul_f32 v17, v213, v125 :: v_dual_add_f32 v11, v11, v19
	;; [unrolled: 9-line block ×3, first 2 shown]
	v_dual_add_f32 v9, v9, v39 :: v_dual_fmac_f32 v43, v207, v118
	v_dual_mul_f32 v23, v219, v131 :: v_dual_fma_f32 v27, v206, v118, -v27
	s_delay_alu instid0(VALU_DEP_3) | instskip(NEXT) | instid1(VALU_DEP_3)
	v_dual_add_f32 v11, v11, v25 :: v_dual_fmac_f32 v45, v209, v120
	v_dual_add_f32 v9, v9, v41 :: v_dual_fma_f32 v13, v208, v120, -v13
	v_dual_mul_f32 v47, v210, v123 :: v_dual_mul_f32 v49, v212, v125
	s_wait_loadcnt 0x6
	s_delay_alu instid0(VALU_DEP_3) | instskip(NEXT) | instid1(VALU_DEP_2)
	v_dual_mul_f32 v25, v165, v133 :: v_dual_add_f32 v11, v11, v27
	v_dual_add_f32 v9, v9, v43 :: v_dual_fmac_f32 v47, v211, v122
	v_dual_mul_f32 v27, v167, v135 :: v_dual_fma_f32 v15, v210, v122, -v15
	s_delay_alu instid0(VALU_DEP_3) | instskip(NEXT) | instid1(VALU_DEP_3)
	v_dual_add_f32 v11, v11, v13 :: v_dual_fmac_f32 v49, v213, v124
	v_dual_add_f32 v9, v9, v45 :: v_dual_fma_f32 v17, v212, v124, -v17
	v_dual_mul_f32 v51, v214, v127 :: v_dual_mul_f32 v53, v216, v129
	s_wait_loadcnt 0x5
	s_delay_alu instid0(VALU_DEP_3) | instskip(NEXT) | instid1(VALU_DEP_3)
	v_dual_mul_f32 v13, v153, v137 :: v_dual_add_f32 v11, v11, v15
	v_dual_add_f32 v9, v9, v47 :: v_dual_mov_b32 v84, v139
	s_delay_alu instid0(VALU_DEP_3) | instskip(NEXT) | instid1(VALU_DEP_3)
	v_fmac_f32_e32 v51, v215, v126
	v_dual_fma_f32 v15, v214, v126, -v19 :: v_dual_add_f32 v11, v11, v17
	s_delay_alu instid0(VALU_DEP_3) | instskip(SKIP_1) | instid1(VALU_DEP_3)
	v_dual_add_f32 v9, v9, v49 :: v_dual_mul_f32 v55, v218, v131
	v_dual_mul_f32 v57, v164, v133 :: v_dual_fmac_f32 v53, v217, v128
	v_dual_add_f32 v11, v11, v15 :: v_dual_fma_f32 v17, v216, v128, -v21
	s_wait_loadcnt 0x4
	s_delay_alu instid0(VALU_DEP_3) | instskip(SKIP_3) | instid1(VALU_DEP_4)
	v_dual_add_f32 v9, v9, v51 :: v_dual_mov_b32 v88, v143
	v_fma_f32 v15, v218, v130, -v23
	v_fmac_f32_e32 v55, v219, v130
	v_dual_add_f32 v11, v11, v17 :: v_dual_fmac_f32 v57, v165, v132
	v_dual_add_f32 v9, v9, v53 :: v_dual_mul_f32 v235, v166, v135
	v_mul_f32_e32 v237, v152, v137
	s_delay_alu instid0(VALU_DEP_3) | instskip(NEXT) | instid1(VALU_DEP_3)
	v_dual_fma_f32 v17, v164, v132, -v25 :: v_dual_add_f32 v11, v11, v15
	v_dual_fma_f32 v234, v166, v134, -v27 :: v_dual_add_f32 v9, v9, v55
	s_delay_alu instid0(VALU_DEP_4) | instskip(SKIP_1) | instid1(VALU_DEP_4)
	v_fmac_f32_e32 v235, v167, v134
	v_pk_mul_f32 v[84:85], v[226:227], v[84:85] op_sel_hi:[1,0]
	v_dual_add_f32 v92, v11, v17 :: v_dual_fmac_f32 v237, v153, v136
	s_delay_alu instid0(VALU_DEP_4)
	v_add_f32_e32 v93, v9, v57
	v_pk_mul_f32 v[86:87], v[156:157], v[140:141] op_sel:[1,1] op_sel_hi:[0,1]
	s_wait_loadcnt 0x3
	v_dual_mov_b32 v94, v147 :: v_dual_fma_f32 v236, v152, v136, -v13
	v_pk_fma_f32 v[96:97], v[154:155], v[138:139], v[84:85] op_sel_hi:[1,0,1]
	v_pk_add_f32 v[92:93], v[92:93], v[234:235]
	v_pk_fma_f32 v[84:85], v[154:155], v[138:139], v[84:85] neg_lo:[0,0,1] neg_hi:[0,0,1]
	v_pk_fma_f32 v[98:99], v[156:157], v[140:141], v[86:87] op_sel_hi:[1,0,1]
	v_pk_mul_f32 v[88:89], v[228:229], v[88:89] op_sel_hi:[1,0]
	v_mov_b32_e32 v85, v97
	v_pk_add_f32 v[92:93], v[92:93], v[236:237]
	v_pk_fma_f32 v[86:87], v[156:157], v[140:141], v[86:87] neg_lo:[0,0,1] neg_hi:[0,0,1]
	v_pk_mul_f32 v[90:91], v[160:161], v[144:145] op_sel:[1,1] op_sel_hi:[0,1]
	v_mov_b32_e32 v87, v99
	v_pk_fma_f32 v[98:99], v[158:159], v[142:143], v[88:89] op_sel_hi:[1,0,1]
	v_pk_add_f32 v[84:85], v[92:93], v[84:85]
	v_pk_fma_f32 v[88:89], v[158:159], v[142:143], v[88:89] neg_lo:[0,0,1] neg_hi:[0,0,1]
	v_pk_fma_f32 v[92:93], v[160:161], v[144:145], v[90:91] op_sel_hi:[1,0,1]
	v_pk_mul_f32 v[94:95], v[230:231], v[94:95] op_sel_hi:[1,0]
	v_mov_b32_e32 v89, v99
	v_pk_add_f32 v[84:85], v[84:85], v[86:87]
	v_pk_fma_f32 v[90:91], v[160:161], v[144:145], v[90:91] neg_lo:[0,0,1] neg_hi:[0,0,1]
	s_wait_loadcnt 0x2
	v_pk_mul_f32 v[96:97], v[168:169], v[148:149] op_sel:[1,1] op_sel_hi:[0,1]
	v_dual_mov_b32 v86, v151 :: v_dual_mov_b32 v91, v93
	v_pk_fma_f32 v[92:93], v[162:163], v[146:147], v[94:95] op_sel_hi:[1,0,1]
	v_pk_add_f32 v[84:85], v[84:85], v[88:89]
	v_pk_fma_f32 v[94:95], v[162:163], v[146:147], v[94:95] neg_lo:[0,0,1] neg_hi:[0,0,1]
	v_pk_fma_f32 v[88:89], v[168:169], v[148:149], v[96:97] op_sel_hi:[1,0,1]
	v_pk_mul_f32 v[86:87], v[232:233], v[86:87] op_sel_hi:[1,0]
	v_mov_b32_e32 v95, v93
	v_pk_add_f32 v[84:85], v[84:85], v[90:91]
	v_pk_fma_f32 v[90:91], v[168:169], v[148:149], v[96:97] neg_lo:[0,0,1] neg_hi:[0,0,1]
	v_mov_b32_e32 v91, v89
	v_pk_fma_f32 v[88:89], v[170:171], v[150:151], v[86:87] op_sel_hi:[1,0,1]
	s_wait_loadcnt_dscnt 0x100
	v_pk_mul_f32 v[92:93], v[224:225], v[220:221] op_sel:[1,1] op_sel_hi:[0,1]
	v_pk_add_f32 v[84:85], v[84:85], v[94:95]
	v_pk_fma_f32 v[86:87], v[170:171], v[150:151], v[86:87] neg_lo:[0,0,1] neg_hi:[0,0,1]
	v_mov_b32_e32 v87, v89
	s_delay_alu instid0(VALU_DEP_4) | instskip(NEXT) | instid1(VALU_DEP_4)
	v_pk_fma_f32 v[88:89], v[224:225], v[220:221], v[92:93] op_sel_hi:[1,0,1]
	v_pk_add_f32 v[84:85], v[84:85], v[90:91]
	v_pk_fma_f32 v[90:91], v[224:225], v[220:221], v[92:93] neg_lo:[0,0,1] neg_hi:[0,0,1]
	s_delay_alu instid0(VALU_DEP_3) | instskip(NEXT) | instid1(VALU_DEP_3)
	v_mov_b32_e32 v91, v89
	v_pk_add_f32 v[84:85], v[84:85], v[86:87]
	s_delay_alu instid0(VALU_DEP_1) | instskip(SKIP_1) | instid1(VALU_DEP_1)
	v_pk_add_f32 v[84:85], v[84:85], v[90:91]
	s_wait_loadcnt 0x0
	v_pk_add_f32 v[84:85], v[222:223], v[84:85] neg_lo:[0,1] neg_hi:[0,1]
	scratch_store_b64 off, v[84:85], off offset:40
	s_wait_xcnt 0x0
	v_cmpx_lt_u32_e32 4, v0
	s_cbranch_execz .LBB104_251
; %bb.250:
	scratch_load_b64 v[84:85], off, off offset:32
	v_mov_b64_e32 v[86:87], 0
	scratch_store_b64 off, v[86:87], off offset:32
	s_wait_loadcnt 0x0
	ds_store_b64 v1, v[84:85]
.LBB104_251:
	s_wait_xcnt 0x0
	s_or_b32 exec_lo, exec_lo, s0
	s_wait_storecnt_dscnt 0x0
	s_barrier_signal -1
	s_barrier_wait -1
	s_clause 0x12
	scratch_load_b128 v[84:87], off, off offset:40
	scratch_load_b128 v[88:91], off, off offset:56
	;; [unrolled: 1-line block ×18, first 2 shown]
	scratch_load_b64 v[228:229], off, off offset:32
	ds_load_2addr_b64 v[156:159], v7 offset0:75 offset1:76
	ds_load_2addr_b64 v[160:163], v7 offset0:77 offset1:78
	;; [unrolled: 1-line block ×18, first 2 shown]
	s_mov_b32 s0, exec_lo
	s_wait_dscnt 0x11
	v_dual_mov_b32 v230, v159 :: v_dual_mov_b32 v231, v158
	s_wait_dscnt 0x10
	v_dual_mov_b32 v232, v163 :: v_dual_mov_b32 v233, v162
	s_wait_dscnt 0xf
	v_dual_mov_b32 v234, v167 :: v_dual_mov_b32 v235, v166
	s_wait_dscnt 0xe
	v_dual_mov_b32 v236, v171 :: v_dual_mov_b32 v237, v170
	s_wait_loadcnt_dscnt 0x120d
	v_dual_mul_f32 v7, v172, v85 :: v_dual_mul_f32 v9, v174, v87
	v_dual_mul_f32 v59, v173, v85 :: v_dual_mul_f32 v61, v175, v87
	s_wait_loadcnt_dscnt 0x110c
	v_dual_mul_f32 v11, v176, v89 :: v_dual_mul_f32 v13, v178, v91
	s_delay_alu instid0(VALU_DEP_3) | instskip(SKIP_3) | instid1(VALU_DEP_3)
	v_dual_fmac_f32 v7, v173, v84 :: v_dual_fmac_f32 v9, v175, v86
	s_wait_loadcnt_dscnt 0xf0a
	v_dual_fma_f32 v59, v172, v84, -v59 :: v_dual_mul_f32 v71, v185, v97
	v_dual_mul_f32 v63, v177, v89 :: v_dual_mul_f32 v65, v179, v91
	v_dual_fma_f32 v61, v174, v86, -v61 :: v_dual_add_f32 v7, 0, v7
	s_delay_alu instid0(VALU_DEP_3) | instskip(SKIP_1) | instid1(VALU_DEP_4)
	v_dual_add_f32 v59, 0, v59 :: v_dual_fmac_f32 v11, v177, v88
	v_dual_mul_f32 v15, v180, v93 :: v_dual_mul_f32 v17, v182, v95
	v_dual_mul_f32 v73, v187, v99 :: v_dual_fma_f32 v63, v176, v88, -v63
	s_delay_alu instid0(VALU_DEP_4) | instskip(NEXT) | instid1(VALU_DEP_3)
	v_add_f32_e32 v7, v7, v9
	v_dual_add_f32 v9, v59, v61 :: v_dual_fmac_f32 v15, v181, v92
	v_dual_mul_f32 v67, v181, v93 :: v_dual_mul_f32 v69, v183, v95
	s_wait_loadcnt_dscnt 0xe09
	v_dual_mul_f32 v59, v189, v101 :: v_dual_fmac_f32 v13, v179, v90
	v_dual_fma_f32 v61, v178, v90, -v65 :: v_dual_add_f32 v7, v7, v11
	s_delay_alu instid0(VALU_DEP_3) | instskip(SKIP_1) | instid1(VALU_DEP_3)
	v_dual_add_f32 v9, v9, v63 :: v_dual_fma_f32 v63, v180, v92, -v67
	v_dual_mul_f32 v19, v184, v97 :: v_dual_mul_f32 v21, v186, v99
	v_add_f32_e32 v7, v7, v13
	s_delay_alu instid0(VALU_DEP_3) | instskip(SKIP_2) | instid1(VALU_DEP_3)
	v_dual_mul_f32 v11, v191, v103 :: v_dual_add_f32 v9, v9, v61
	s_wait_loadcnt_dscnt 0xd08
	v_dual_mul_f32 v13, v193, v105 :: v_dual_fmac_f32 v17, v183, v94
	v_dual_fma_f32 v61, v182, v94, -v69 :: v_dual_add_f32 v7, v7, v15
	s_delay_alu instid0(VALU_DEP_3) | instskip(SKIP_1) | instid1(VALU_DEP_3)
	v_dual_add_f32 v9, v9, v63 :: v_dual_fma_f32 v63, v184, v96, -v71
	v_dual_mul_f32 v15, v195, v107 :: v_dual_fmac_f32 v19, v185, v96
	v_add_f32_e32 v7, v7, v17
	s_delay_alu instid0(VALU_DEP_3)
	v_dual_add_f32 v9, v9, v61 :: v_dual_fmac_f32 v21, v187, v98
	v_dual_mul_f32 v23, v188, v101 :: v_dual_mul_f32 v25, v190, v103
	s_wait_loadcnt_dscnt 0xc07
	v_dual_fma_f32 v61, v186, v98, -v73 :: v_dual_mul_f32 v17, v197, v109
	v_add_f32_e32 v7, v7, v19
	v_dual_add_f32 v9, v9, v63 :: v_dual_fma_f32 v59, v188, v100, -v59
	v_dual_mul_f32 v19, v199, v111 :: v_dual_fmac_f32 v23, v189, v100
	s_delay_alu instid0(VALU_DEP_3) | instskip(NEXT) | instid1(VALU_DEP_3)
	v_dual_add_f32 v7, v7, v21 :: v_dual_fma_f32 v11, v190, v102, -v11
	v_dual_add_f32 v9, v9, v61 :: v_dual_fmac_f32 v25, v191, v102
	v_dual_mul_f32 v27, v192, v105 :: v_dual_mul_f32 v29, v194, v107
	s_wait_loadcnt_dscnt 0xb06
	s_delay_alu instid0(VALU_DEP_3) | instskip(NEXT) | instid1(VALU_DEP_3)
	v_dual_mul_f32 v21, v201, v113 :: v_dual_add_f32 v7, v7, v23
	v_dual_add_f32 v9, v9, v59 :: v_dual_fma_f32 v13, v192, v104, -v13
	s_delay_alu instid0(VALU_DEP_3) | instskip(NEXT) | instid1(VALU_DEP_2)
	v_dual_mul_f32 v23, v203, v115 :: v_dual_fmac_f32 v27, v193, v104
	v_dual_add_f32 v7, v7, v25 :: v_dual_add_f32 v9, v9, v11
	v_dual_mul_f32 v31, v196, v109 :: v_dual_mul_f32 v33, v198, v111
	s_wait_loadcnt_dscnt 0xa05
	v_dual_mul_f32 v11, v205, v117 :: v_dual_fmac_f32 v29, v195, v106
	s_delay_alu instid0(VALU_DEP_3) | instskip(SKIP_2) | instid1(VALU_DEP_2)
	v_dual_fma_f32 v15, v194, v106, -v15 :: v_dual_add_f32 v7, v7, v27
	v_dual_add_f32 v9, v9, v13 :: v_dual_mul_f32 v13, v207, v119
	v_dual_fmac_f32 v31, v197, v108 :: v_dual_fma_f32 v17, v196, v108, -v17
	v_dual_add_f32 v7, v7, v29 :: v_dual_add_f32 v9, v9, v15
	v_dual_mul_f32 v35, v200, v113 :: v_dual_mul_f32 v37, v202, v115
	s_wait_loadcnt_dscnt 0x904
	v_dual_mul_f32 v15, v209, v121 :: v_dual_fmac_f32 v33, v199, v110
	s_delay_alu instid0(VALU_DEP_3) | instskip(SKIP_2) | instid1(VALU_DEP_2)
	v_dual_fma_f32 v19, v198, v110, -v19 :: v_dual_add_f32 v7, v7, v31
	v_dual_add_f32 v9, v9, v17 :: v_dual_mul_f32 v17, v211, v123
	v_dual_fmac_f32 v35, v201, v112 :: v_dual_fma_f32 v21, v200, v112, -v21
	v_dual_add_f32 v7, v7, v33 :: v_dual_add_f32 v9, v9, v19
	v_dual_mul_f32 v39, v204, v117 :: v_dual_mul_f32 v41, v206, v119
	s_wait_loadcnt_dscnt 0x803
	v_dual_mul_f32 v19, v213, v125 :: v_dual_fmac_f32 v37, v203, v114
	s_delay_alu instid0(VALU_DEP_3) | instskip(SKIP_2) | instid1(VALU_DEP_3)
	v_dual_fma_f32 v23, v202, v114, -v23 :: v_dual_add_f32 v7, v7, v35
	v_dual_add_f32 v9, v9, v21 :: v_dual_mul_f32 v21, v215, v127
	v_fmac_f32_e32 v39, v205, v116
	v_dual_fma_f32 v11, v204, v116, -v11 :: v_dual_add_f32 v7, v7, v37
	s_delay_alu instid0(VALU_DEP_3)
	v_dual_add_f32 v9, v9, v23 :: v_dual_mul_f32 v43, v208, v121
	s_wait_loadcnt_dscnt 0x702
	v_dual_mul_f32 v45, v210, v123 :: v_dual_mul_f32 v23, v217, v129
	v_fmac_f32_e32 v41, v207, v118
	v_dual_fma_f32 v13, v206, v118, -v13 :: v_dual_add_f32 v7, v7, v39
	v_dual_add_f32 v9, v9, v11 :: v_dual_fma_f32 v15, v208, v120, -v15
	v_dual_mul_f32 v11, v219, v131 :: v_dual_fmac_f32 v43, v209, v120
	s_delay_alu instid0(VALU_DEP_3) | instskip(NEXT) | instid1(VALU_DEP_3)
	v_dual_add_f32 v7, v7, v41 :: v_dual_fma_f32 v17, v210, v122, -v17
	v_dual_add_f32 v9, v9, v13 :: v_dual_fmac_f32 v45, v211, v122
	v_dual_mul_f32 v47, v212, v125 :: v_dual_mul_f32 v49, v214, v127
	s_wait_loadcnt_dscnt 0x601
	s_delay_alu instid0(VALU_DEP_3) | instskip(NEXT) | instid1(VALU_DEP_3)
	v_dual_mul_f32 v13, v221, v133 :: v_dual_add_f32 v7, v7, v43
	v_dual_add_f32 v9, v9, v15 :: v_dual_fma_f32 v19, v212, v124, -v19
	s_delay_alu instid0(VALU_DEP_3) | instskip(NEXT) | instid1(VALU_DEP_3)
	v_dual_mul_f32 v15, v223, v135 :: v_dual_fmac_f32 v47, v213, v124
	v_dual_add_f32 v7, v7, v45 :: v_dual_fma_f32 v21, v214, v126, -v21
	s_delay_alu instid0(VALU_DEP_3) | instskip(SKIP_2) | instid1(VALU_DEP_3)
	v_dual_add_f32 v9, v9, v17 :: v_dual_fmac_f32 v49, v215, v126
	v_dual_mul_f32 v51, v216, v129 :: v_dual_mul_f32 v53, v218, v131
	s_wait_loadcnt_dscnt 0x500
	v_dual_mul_f32 v17, v225, v137 :: v_dual_add_f32 v7, v7, v47
	s_delay_alu instid0(VALU_DEP_3) | instskip(NEXT) | instid1(VALU_DEP_3)
	v_dual_add_f32 v9, v9, v19 :: v_dual_fma_f32 v23, v216, v128, -v23
	v_dual_mul_f32 v19, v227, v139 :: v_dual_fmac_f32 v51, v217, v128
	s_delay_alu instid0(VALU_DEP_3) | instskip(NEXT) | instid1(VALU_DEP_3)
	v_dual_add_f32 v7, v7, v49 :: v_dual_fma_f32 v11, v218, v130, -v11
	v_dual_add_f32 v9, v9, v21 :: v_dual_fmac_f32 v53, v219, v130
	v_dual_mul_f32 v55, v220, v133 :: v_dual_mul_f32 v57, v222, v135
	s_delay_alu instid0(VALU_DEP_3) | instskip(SKIP_1) | instid1(VALU_DEP_3)
	v_add_f32_e32 v7, v7, v51
	s_wait_loadcnt 0x4
	v_dual_add_f32 v9, v9, v23 :: v_dual_mov_b32 v86, v143
	s_delay_alu instid0(VALU_DEP_3) | instskip(NEXT) | instid1(VALU_DEP_2)
	v_dual_fmac_f32 v55, v221, v132 :: v_dual_fma_f32 v13, v220, v132, -v13
	v_dual_add_f32 v7, v7, v53 :: v_dual_add_f32 v9, v9, v11
	v_dual_fmac_f32 v57, v223, v134 :: v_dual_mul_f32 v239, v224, v137
	v_mul_f32_e32 v241, v226, v139
	s_delay_alu instid0(VALU_DEP_3) | instskip(SKIP_4) | instid1(VALU_DEP_3)
	v_dual_fma_f32 v11, v222, v134, -v15 :: v_dual_add_f32 v7, v7, v55
	s_wait_loadcnt 0x3
	v_dual_add_f32 v9, v9, v13 :: v_dual_mov_b32 v90, v147
	v_pk_mul_f32 v[84:85], v[156:157], v[140:141] op_sel:[1,1] op_sel_hi:[0,1]
	v_dual_fmac_f32 v239, v225, v136 :: v_dual_fma_f32 v238, v224, v136, -v17
	v_dual_add_f32 v93, v7, v57 :: v_dual_add_f32 v92, v9, v11
	v_dual_fmac_f32 v241, v227, v138 :: v_dual_fma_f32 v240, v226, v138, -v19
	s_delay_alu instid0(VALU_DEP_4) | instskip(SKIP_1) | instid1(VALU_DEP_4)
	v_pk_fma_f32 v[94:95], v[156:157], v[140:141], v[84:85] op_sel_hi:[1,0,1]
	v_pk_mul_f32 v[86:87], v[230:231], v[86:87] op_sel_hi:[1,0]
	v_pk_add_f32 v[92:93], v[92:93], v[238:239]
	v_pk_fma_f32 v[84:85], v[156:157], v[140:141], v[84:85] neg_lo:[0,0,1] neg_hi:[0,0,1]
	v_pk_mul_f32 v[88:89], v[160:161], v[144:145] op_sel:[1,1] op_sel_hi:[0,1]
	v_mov_b32_e32 v85, v95
	v_pk_fma_f32 v[94:95], v[158:159], v[142:143], v[86:87] op_sel_hi:[1,0,1]
	v_pk_add_f32 v[92:93], v[92:93], v[240:241]
	v_pk_fma_f32 v[86:87], v[158:159], v[142:143], v[86:87] neg_lo:[0,0,1] neg_hi:[0,0,1]
	v_pk_fma_f32 v[98:99], v[160:161], v[144:145], v[88:89] op_sel_hi:[1,0,1]
	v_pk_mul_f32 v[90:91], v[232:233], v[90:91] op_sel_hi:[1,0]
	v_mov_b32_e32 v87, v95
	v_pk_add_f32 v[84:85], v[92:93], v[84:85]
	s_wait_loadcnt 0x2
	v_pk_mul_f32 v[96:97], v[164:165], v[148:149] op_sel:[1,1] op_sel_hi:[0,1]
	v_mov_b32_e32 v92, v151
	v_pk_fma_f32 v[88:89], v[160:161], v[144:145], v[88:89] neg_lo:[0,0,1] neg_hi:[0,0,1]
	v_mov_b32_e32 v89, v99
	v_pk_fma_f32 v[94:95], v[162:163], v[146:147], v[90:91] op_sel_hi:[1,0,1]
	v_pk_add_f32 v[84:85], v[84:85], v[86:87]
	v_pk_fma_f32 v[86:87], v[164:165], v[148:149], v[96:97] op_sel_hi:[1,0,1]
	v_pk_mul_f32 v[92:93], v[234:235], v[92:93] op_sel_hi:[1,0]
	v_pk_fma_f32 v[90:91], v[162:163], v[146:147], v[90:91] neg_lo:[0,0,1] neg_hi:[0,0,1]
	v_mov_b32_e32 v91, v95
	v_pk_add_f32 v[84:85], v[84:85], v[88:89]
	v_pk_fma_f32 v[94:95], v[164:165], v[148:149], v[96:97] neg_lo:[0,0,1] neg_hi:[0,0,1]
	v_mov_b32_e32 v95, v87
	v_pk_fma_f32 v[86:87], v[166:167], v[150:151], v[92:93] op_sel_hi:[1,0,1]
	s_wait_loadcnt 0x1
	v_pk_mul_f32 v[88:89], v[168:169], v[152:153] op_sel:[1,1] op_sel_hi:[0,1]
	v_pk_add_f32 v[84:85], v[84:85], v[90:91]
	v_mov_b32_e32 v86, v155
	v_pk_fma_f32 v[92:93], v[166:167], v[150:151], v[92:93] neg_lo:[0,0,1] neg_hi:[0,0,1]
	v_mov_b32_e32 v93, v87
	v_pk_fma_f32 v[90:91], v[168:169], v[152:153], v[88:89] op_sel_hi:[1,0,1]
	v_pk_add_f32 v[84:85], v[84:85], v[94:95]
	v_pk_mul_f32 v[86:87], v[236:237], v[86:87] op_sel_hi:[1,0]
	v_pk_fma_f32 v[88:89], v[168:169], v[152:153], v[88:89] neg_lo:[0,0,1] neg_hi:[0,0,1]
	s_delay_alu instid0(VALU_DEP_4) | instskip(NEXT) | instid1(VALU_DEP_4)
	v_mov_b32_e32 v89, v91
	v_pk_add_f32 v[84:85], v[84:85], v[92:93]
	s_delay_alu instid0(VALU_DEP_4) | instskip(SKIP_1) | instid1(VALU_DEP_2)
	v_pk_fma_f32 v[90:91], v[170:171], v[154:155], v[86:87] op_sel_hi:[1,0,1]
	v_pk_fma_f32 v[86:87], v[170:171], v[154:155], v[86:87] neg_lo:[0,0,1] neg_hi:[0,0,1]
	v_mov_b32_e32 v87, v91
	s_delay_alu instid0(VALU_DEP_4) | instskip(NEXT) | instid1(VALU_DEP_1)
	v_pk_add_f32 v[84:85], v[84:85], v[88:89]
	v_pk_add_f32 v[84:85], v[84:85], v[86:87]
	s_wait_loadcnt 0x0
	s_delay_alu instid0(VALU_DEP_1)
	v_pk_add_f32 v[84:85], v[228:229], v[84:85] neg_lo:[0,1] neg_hi:[0,1]
	scratch_store_b64 off, v[84:85], off offset:32
	s_wait_xcnt 0x0
	v_cmpx_lt_u32_e32 3, v0
	s_cbranch_execz .LBB104_253
; %bb.252:
	scratch_load_b64 v[84:85], off, off offset:24
	v_mov_b64_e32 v[86:87], 0
	scratch_store_b64 off, v[86:87], off offset:24
	s_wait_loadcnt 0x0
	ds_store_b64 v1, v[84:85]
.LBB104_253:
	s_wait_xcnt 0x0
	s_or_b32 exec_lo, exec_lo, s0
	s_wait_storecnt_dscnt 0x0
	s_barrier_signal -1
	s_barrier_wait -1
	s_clause 0x13
	scratch_load_b128 v[84:87], off, off offset:32
	scratch_load_b128 v[88:91], off, off offset:48
	;; [unrolled: 1-line block ×18, first 2 shown]
	scratch_load_b64 v[228:229], off, off offset:320
	scratch_load_b64 v[230:231], off, off offset:24
	v_mov_b32_e32 v7, 0
	ds_load_b128 v[156:159], v7 offset:592
	ds_load_b128 v[160:163], v7 offset:608
	;; [unrolled: 1-line block ×18, first 2 shown]
	ds_load_b64 v[232:233], v7 offset:656
	s_mov_b32 s0, exec_lo
	s_wait_dscnt 0x12
	v_dual_mov_b32 v234, v159 :: v_dual_mov_b32 v235, v158
	s_wait_dscnt 0x11
	v_dual_mov_b32 v236, v163 :: v_dual_mov_b32 v237, v162
	;; [unrolled: 2-line block ×3, first 2 shown]
	v_dual_mov_b32 v239, v166 :: v_dual_mov_b32 v240, v179
	s_wait_loadcnt 0x13
	v_dual_mul_f32 v9, v168, v85 :: v_dual_mul_f32 v63, v169, v85
	v_dual_mul_f32 v65, v171, v87 :: v_dual_mul_f32 v11, v170, v87
	s_wait_loadcnt 0x12
	v_mul_f32_e32 v13, v172, v89
	s_wait_loadcnt_dscnt 0x100b
	v_dual_mul_f32 v75, v185, v97 :: v_dual_fma_f32 v63, v168, v84, -v63
	v_dual_fmac_f32 v9, v169, v84 :: v_dual_mul_f32 v77, v187, v99
	v_dual_mul_f32 v67, v173, v89 :: v_dual_mul_f32 v69, v175, v91
	v_dual_fmac_f32 v11, v171, v86 :: v_dual_fma_f32 v65, v170, v86, -v65
	s_delay_alu instid0(VALU_DEP_3) | instskip(SKIP_4) | instid1(VALU_DEP_3)
	v_dual_add_f32 v9, 0, v9 :: v_dual_add_f32 v63, 0, v63
	v_dual_mul_f32 v15, v174, v91 :: v_dual_mul_f32 v17, v180, v93
	s_wait_loadcnt_dscnt 0xf0a
	v_dual_mul_f32 v79, v189, v101 :: v_dual_fma_f32 v67, v172, v88, -v67
	v_fmac_f32_e32 v13, v173, v88
	v_dual_add_f32 v9, v9, v11 :: v_dual_fmac_f32 v15, v175, v90
	v_add_f32_e32 v11, v63, v65
	v_dual_mul_f32 v71, v181, v93 :: v_dual_mul_f32 v73, v183, v95
	v_dual_mul_f32 v63, v191, v103 :: v_dual_fma_f32 v65, v174, v90, -v69
	s_delay_alu instid0(VALU_DEP_3) | instskip(SKIP_3) | instid1(VALU_DEP_3)
	v_dual_add_f32 v9, v9, v13 :: v_dual_add_f32 v11, v11, v67
	v_dual_mul_f32 v19, v182, v95 :: v_dual_mul_f32 v21, v184, v97
	s_wait_loadcnt_dscnt 0xe09
	v_dual_mul_f32 v13, v193, v105 :: v_dual_fma_f32 v67, v180, v92, -v71
	v_dual_fmac_f32 v17, v181, v92 :: v_dual_add_f32 v11, v11, v65
	s_delay_alu instid0(VALU_DEP_3) | instskip(SKIP_1) | instid1(VALU_DEP_2)
	v_dual_add_f32 v9, v9, v15 :: v_dual_fmac_f32 v19, v183, v94
	v_dual_mul_f32 v15, v195, v107 :: v_dual_fma_f32 v65, v182, v94, -v73
	v_dual_add_f32 v11, v11, v67 :: v_dual_add_f32 v9, v9, v17
	v_dual_mul_f32 v23, v186, v99 :: v_dual_mul_f32 v25, v188, v101
	s_wait_loadcnt_dscnt 0xd08
	v_dual_mul_f32 v17, v197, v109 :: v_dual_fma_f32 v67, v184, v96, -v75
	s_delay_alu instid0(VALU_DEP_3) | instskip(NEXT) | instid1(VALU_DEP_3)
	v_dual_fmac_f32 v21, v185, v96 :: v_dual_add_f32 v11, v11, v65
	v_dual_add_f32 v9, v9, v19 :: v_dual_fmac_f32 v23, v187, v98
	v_dual_mul_f32 v19, v199, v111 :: v_dual_fma_f32 v65, v186, v98, -v77
	s_delay_alu instid0(VALU_DEP_2) | instskip(SKIP_3) | instid1(VALU_DEP_3)
	v_dual_add_f32 v11, v11, v67 :: v_dual_add_f32 v9, v9, v21
	v_dual_mul_f32 v27, v190, v103 :: v_dual_mul_f32 v29, v192, v105
	s_wait_loadcnt_dscnt 0xc07
	v_dual_mul_f32 v21, v201, v113 :: v_dual_fma_f32 v67, v188, v100, -v79
	v_dual_fmac_f32 v25, v189, v100 :: v_dual_add_f32 v11, v11, v65
	s_delay_alu instid0(VALU_DEP_3) | instskip(SKIP_1) | instid1(VALU_DEP_2)
	v_dual_add_f32 v9, v9, v23 :: v_dual_fmac_f32 v27, v191, v102
	v_dual_mul_f32 v23, v203, v115 :: v_dual_fma_f32 v63, v190, v102, -v63
	v_dual_add_f32 v11, v11, v67 :: v_dual_add_f32 v9, v9, v25
	v_dual_mul_f32 v31, v194, v107 :: v_dual_mul_f32 v33, v196, v109
	s_wait_loadcnt_dscnt 0xb06
	v_dual_mul_f32 v25, v205, v117 :: v_dual_fma_f32 v13, v192, v104, -v13
	s_delay_alu instid0(VALU_DEP_3) | instskip(NEXT) | instid1(VALU_DEP_3)
	v_dual_fmac_f32 v29, v193, v104 :: v_dual_add_f32 v11, v11, v63
	v_dual_add_f32 v9, v9, v27 :: v_dual_fmac_f32 v31, v195, v106
	v_dual_mul_f32 v27, v207, v119 :: v_dual_fma_f32 v15, v194, v106, -v15
	s_delay_alu instid0(VALU_DEP_3) | instskip(NEXT) | instid1(VALU_DEP_3)
	v_dual_add_f32 v11, v11, v13 :: v_dual_fmac_f32 v33, v197, v108
	v_dual_add_f32 v9, v9, v29 :: v_dual_fma_f32 v17, v196, v108, -v17
	v_dual_mul_f32 v35, v198, v111 :: v_dual_mul_f32 v37, v200, v113
	s_wait_loadcnt_dscnt 0xa05
	s_delay_alu instid0(VALU_DEP_3) | instskip(NEXT) | instid1(VALU_DEP_2)
	v_dual_mul_f32 v13, v209, v121 :: v_dual_add_f32 v11, v11, v15
	v_dual_add_f32 v9, v9, v31 :: v_dual_fmac_f32 v35, v199, v110
	v_dual_mul_f32 v15, v211, v123 :: v_dual_fma_f32 v19, v198, v110, -v19
	s_delay_alu instid0(VALU_DEP_3) | instskip(NEXT) | instid1(VALU_DEP_3)
	v_dual_add_f32 v11, v11, v17 :: v_dual_fmac_f32 v37, v201, v112
	v_dual_add_f32 v9, v9, v33 :: v_dual_fma_f32 v21, v200, v112, -v21
	v_dual_mul_f32 v39, v202, v115 :: v_dual_mul_f32 v41, v204, v117
	s_wait_loadcnt_dscnt 0x904
	s_delay_alu instid0(VALU_DEP_3) | instskip(NEXT) | instid1(VALU_DEP_2)
	v_dual_mul_f32 v17, v213, v125 :: v_dual_add_f32 v11, v11, v19
	;; [unrolled: 9-line block ×5, first 2 shown]
	v_dual_add_f32 v9, v9, v47 :: v_dual_fmac_f32 v51, v215, v126
	v_dual_mul_f32 v15, v227, v139 :: v_dual_fma_f32 v19, v214, v126, -v19
	s_delay_alu instid0(VALU_DEP_3) | instskip(NEXT) | instid1(VALU_DEP_3)
	v_dual_add_f32 v11, v11, v17 :: v_dual_fmac_f32 v53, v217, v128
	v_dual_add_f32 v9, v9, v49 :: v_dual_fma_f32 v21, v216, v128, -v21
	v_dual_mul_f32 v55, v218, v131 :: v_dual_mul_f32 v57, v220, v133
	s_wait_loadcnt 0x5
	s_delay_alu instid0(VALU_DEP_3) | instskip(NEXT) | instid1(VALU_DEP_3)
	v_dual_mul_f32 v17, v157, v141 :: v_dual_add_f32 v11, v11, v19
	v_dual_add_f32 v9, v9, v51 :: v_dual_mov_b32 v84, v143
	s_delay_alu instid0(VALU_DEP_3) | instskip(NEXT) | instid1(VALU_DEP_3)
	v_fmac_f32_e32 v55, v219, v130
	v_dual_fma_f32 v19, v218, v130, -v23 :: v_dual_add_f32 v11, v11, v21
	s_delay_alu instid0(VALU_DEP_3) | instskip(SKIP_1) | instid1(VALU_DEP_3)
	v_dual_add_f32 v9, v9, v53 :: v_dual_mul_f32 v59, v222, v135
	v_dual_mul_f32 v61, v224, v137 :: v_dual_fmac_f32 v57, v221, v132
	v_dual_add_f32 v11, v11, v19 :: v_dual_fma_f32 v21, v220, v132, -v25
	s_wait_loadcnt 0x4
	s_delay_alu instid0(VALU_DEP_3) | instskip(SKIP_3) | instid1(VALU_DEP_4)
	v_dual_add_f32 v9, v9, v55 :: v_dual_mov_b32 v88, v147
	v_fma_f32 v19, v222, v134, -v27
	v_fmac_f32_e32 v59, v223, v134
	v_dual_add_f32 v11, v11, v21 :: v_dual_fmac_f32 v61, v225, v136
	v_dual_add_f32 v9, v9, v57 :: v_dual_mul_f32 v243, v226, v139
	v_mul_f32_e32 v245, v156, v141
	s_delay_alu instid0(VALU_DEP_3) | instskip(NEXT) | instid1(VALU_DEP_3)
	v_dual_fma_f32 v13, v224, v136, -v13 :: v_dual_add_f32 v11, v11, v19
	v_dual_fma_f32 v242, v226, v138, -v15 :: v_dual_add_f32 v9, v9, v59
	s_delay_alu instid0(VALU_DEP_4) | instskip(SKIP_1) | instid1(VALU_DEP_4)
	v_fmac_f32_e32 v243, v227, v138
	v_pk_mul_f32 v[84:85], v[234:235], v[84:85] op_sel_hi:[1,0]
	v_dual_add_f32 v92, v11, v13 :: v_dual_fmac_f32 v245, v157, v140
	s_delay_alu instid0(VALU_DEP_4)
	v_add_f32_e32 v93, v9, v61
	v_pk_mul_f32 v[86:87], v[160:161], v[144:145] op_sel:[1,1] op_sel_hi:[0,1]
	s_wait_loadcnt 0x3
	v_dual_mov_b32 v94, v151 :: v_dual_fma_f32 v244, v156, v140, -v17
	v_pk_fma_f32 v[96:97], v[158:159], v[142:143], v[84:85] op_sel_hi:[1,0,1]
	v_pk_add_f32 v[92:93], v[92:93], v[242:243]
	v_pk_fma_f32 v[84:85], v[158:159], v[142:143], v[84:85] neg_lo:[0,0,1] neg_hi:[0,0,1]
	v_pk_fma_f32 v[98:99], v[160:161], v[144:145], v[86:87] op_sel_hi:[1,0,1]
	v_pk_mul_f32 v[88:89], v[236:237], v[88:89] op_sel_hi:[1,0]
	v_mov_b32_e32 v85, v97
	v_pk_add_f32 v[92:93], v[92:93], v[244:245]
	v_pk_fma_f32 v[86:87], v[160:161], v[144:145], v[86:87] neg_lo:[0,0,1] neg_hi:[0,0,1]
	v_pk_mul_f32 v[90:91], v[164:165], v[148:149] op_sel:[1,1] op_sel_hi:[0,1]
	v_mov_b32_e32 v87, v99
	v_pk_fma_f32 v[98:99], v[162:163], v[146:147], v[88:89] op_sel_hi:[1,0,1]
	v_pk_add_f32 v[84:85], v[92:93], v[84:85]
	v_pk_fma_f32 v[88:89], v[162:163], v[146:147], v[88:89] neg_lo:[0,0,1] neg_hi:[0,0,1]
	v_pk_fma_f32 v[92:93], v[164:165], v[148:149], v[90:91] op_sel_hi:[1,0,1]
	v_pk_mul_f32 v[94:95], v[238:239], v[94:95] op_sel_hi:[1,0]
	v_mov_b32_e32 v89, v99
	v_pk_add_f32 v[84:85], v[84:85], v[86:87]
	v_pk_fma_f32 v[90:91], v[164:165], v[148:149], v[90:91] neg_lo:[0,0,1] neg_hi:[0,0,1]
	s_wait_loadcnt 0x2
	v_pk_mul_f32 v[96:97], v[176:177], v[152:153] op_sel:[1,1] op_sel_hi:[0,1]
	v_dual_mov_b32 v86, v155 :: v_dual_mov_b32 v91, v93
	v_pk_fma_f32 v[92:93], v[166:167], v[150:151], v[94:95] op_sel_hi:[1,0,1]
	v_pk_add_f32 v[84:85], v[84:85], v[88:89]
	v_pk_fma_f32 v[94:95], v[166:167], v[150:151], v[94:95] neg_lo:[0,0,1] neg_hi:[0,0,1]
	v_pk_fma_f32 v[88:89], v[176:177], v[152:153], v[96:97] op_sel_hi:[1,0,1]
	v_pk_mul_f32 v[86:87], v[240:241], v[86:87] op_sel_hi:[1,0]
	v_mov_b32_e32 v95, v93
	v_pk_add_f32 v[84:85], v[84:85], v[90:91]
	v_pk_fma_f32 v[90:91], v[176:177], v[152:153], v[96:97] neg_lo:[0,0,1] neg_hi:[0,0,1]
	v_mov_b32_e32 v91, v89
	v_pk_fma_f32 v[88:89], v[178:179], v[154:155], v[86:87] op_sel_hi:[1,0,1]
	s_wait_loadcnt_dscnt 0x100
	v_pk_mul_f32 v[92:93], v[232:233], v[228:229] op_sel:[1,1] op_sel_hi:[0,1]
	v_pk_add_f32 v[84:85], v[84:85], v[94:95]
	v_pk_fma_f32 v[86:87], v[178:179], v[154:155], v[86:87] neg_lo:[0,0,1] neg_hi:[0,0,1]
	v_mov_b32_e32 v87, v89
	s_delay_alu instid0(VALU_DEP_4) | instskip(NEXT) | instid1(VALU_DEP_4)
	v_pk_fma_f32 v[88:89], v[232:233], v[228:229], v[92:93] op_sel_hi:[1,0,1]
	v_pk_add_f32 v[84:85], v[84:85], v[90:91]
	v_pk_fma_f32 v[90:91], v[232:233], v[228:229], v[92:93] neg_lo:[0,0,1] neg_hi:[0,0,1]
	s_delay_alu instid0(VALU_DEP_3) | instskip(NEXT) | instid1(VALU_DEP_3)
	v_mov_b32_e32 v91, v89
	v_pk_add_f32 v[84:85], v[84:85], v[86:87]
	s_delay_alu instid0(VALU_DEP_1) | instskip(SKIP_1) | instid1(VALU_DEP_1)
	v_pk_add_f32 v[84:85], v[84:85], v[90:91]
	s_wait_loadcnt 0x0
	v_pk_add_f32 v[84:85], v[230:231], v[84:85] neg_lo:[0,1] neg_hi:[0,1]
	scratch_store_b64 off, v[84:85], off offset:24
	s_wait_xcnt 0x0
	v_cmpx_lt_u32_e32 2, v0
	s_cbranch_execz .LBB104_255
; %bb.254:
	scratch_load_b64 v[84:85], off, off offset:16
	v_mov_b64_e32 v[86:87], 0
	scratch_store_b64 off, v[86:87], off offset:16
	s_wait_loadcnt 0x0
	ds_store_b64 v1, v[84:85]
.LBB104_255:
	s_wait_xcnt 0x0
	s_or_b32 exec_lo, exec_lo, s0
	s_wait_storecnt_dscnt 0x0
	s_barrier_signal -1
	s_barrier_wait -1
	s_clause 0x13
	scratch_load_b128 v[84:87], off, off offset:24
	scratch_load_b128 v[88:91], off, off offset:40
	;; [unrolled: 1-line block ×19, first 2 shown]
	scratch_load_b64 v[236:237], off, off offset:16
	ds_load_2addr_b64 v[160:163], v7 offset0:75 offset1:76
	ds_load_2addr_b64 v[164:167], v7 offset0:77 offset1:78
	;; [unrolled: 1-line block ×19, first 2 shown]
	s_mov_b32 s0, exec_lo
	s_wait_dscnt 0x12
	v_dual_mov_b32 v238, v163 :: v_dual_mov_b32 v239, v162
	s_wait_dscnt 0x11
	v_dual_mov_b32 v240, v167 :: v_dual_mov_b32 v241, v166
	;; [unrolled: 2-line block ×4, first 2 shown]
	s_wait_loadcnt_dscnt 0x130d
	v_dual_mul_f32 v7, v180, v85 :: v_dual_mul_f32 v9, v182, v87
	v_dual_mul_f32 v63, v181, v85 :: v_dual_mul_f32 v65, v183, v87
	s_wait_loadcnt_dscnt 0x120c
	v_dual_mul_f32 v11, v184, v89 :: v_dual_mul_f32 v13, v186, v91
	s_delay_alu instid0(VALU_DEP_3) | instskip(SKIP_3) | instid1(VALU_DEP_3)
	v_dual_fmac_f32 v7, v181, v84 :: v_dual_fmac_f32 v9, v183, v86
	s_wait_loadcnt_dscnt 0x100a
	v_dual_fma_f32 v63, v180, v84, -v63 :: v_dual_mul_f32 v75, v193, v97
	v_dual_mul_f32 v67, v185, v89 :: v_dual_mul_f32 v69, v187, v91
	v_dual_fma_f32 v65, v182, v86, -v65 :: v_dual_add_f32 v7, 0, v7
	s_delay_alu instid0(VALU_DEP_3) | instskip(SKIP_1) | instid1(VALU_DEP_4)
	v_dual_add_f32 v63, 0, v63 :: v_dual_fmac_f32 v11, v185, v88
	v_dual_mul_f32 v15, v188, v93 :: v_dual_mul_f32 v17, v190, v95
	v_dual_mul_f32 v77, v195, v99 :: v_dual_fma_f32 v67, v184, v88, -v67
	s_delay_alu instid0(VALU_DEP_4) | instskip(NEXT) | instid1(VALU_DEP_3)
	v_add_f32_e32 v7, v7, v9
	v_dual_add_f32 v9, v63, v65 :: v_dual_fmac_f32 v15, v189, v92
	v_dual_mul_f32 v71, v189, v93 :: v_dual_mul_f32 v73, v191, v95
	s_wait_loadcnt_dscnt 0xf09
	v_dual_mul_f32 v63, v197, v101 :: v_dual_fmac_f32 v13, v187, v90
	v_dual_fma_f32 v65, v186, v90, -v69 :: v_dual_add_f32 v7, v7, v11
	s_delay_alu instid0(VALU_DEP_3) | instskip(SKIP_1) | instid1(VALU_DEP_3)
	v_dual_add_f32 v9, v9, v67 :: v_dual_fma_f32 v67, v188, v92, -v71
	v_dual_mul_f32 v19, v192, v97 :: v_dual_mul_f32 v21, v194, v99
	v_add_f32_e32 v7, v7, v13
	s_delay_alu instid0(VALU_DEP_3) | instskip(SKIP_2) | instid1(VALU_DEP_3)
	v_dual_mul_f32 v11, v199, v103 :: v_dual_add_f32 v9, v9, v65
	s_wait_loadcnt_dscnt 0xe08
	v_dual_mul_f32 v13, v201, v105 :: v_dual_fmac_f32 v17, v191, v94
	v_dual_fma_f32 v65, v190, v94, -v73 :: v_dual_add_f32 v7, v7, v15
	s_delay_alu instid0(VALU_DEP_3) | instskip(SKIP_1) | instid1(VALU_DEP_3)
	v_dual_add_f32 v9, v9, v67 :: v_dual_fma_f32 v67, v192, v96, -v75
	v_dual_mul_f32 v15, v203, v107 :: v_dual_fmac_f32 v19, v193, v96
	v_add_f32_e32 v7, v7, v17
	s_delay_alu instid0(VALU_DEP_3)
	v_dual_add_f32 v9, v9, v65 :: v_dual_fmac_f32 v21, v195, v98
	v_dual_mul_f32 v23, v196, v101 :: v_dual_mul_f32 v25, v198, v103
	s_wait_loadcnt_dscnt 0xd07
	v_dual_fma_f32 v65, v194, v98, -v77 :: v_dual_mul_f32 v17, v205, v109
	v_add_f32_e32 v7, v7, v19
	v_dual_add_f32 v9, v9, v67 :: v_dual_fma_f32 v63, v196, v100, -v63
	v_dual_mul_f32 v19, v207, v111 :: v_dual_fmac_f32 v23, v197, v100
	s_delay_alu instid0(VALU_DEP_3) | instskip(NEXT) | instid1(VALU_DEP_3)
	v_dual_add_f32 v7, v7, v21 :: v_dual_fma_f32 v11, v198, v102, -v11
	v_dual_add_f32 v9, v9, v65 :: v_dual_fmac_f32 v25, v199, v102
	v_dual_mul_f32 v27, v200, v105 :: v_dual_mul_f32 v29, v202, v107
	s_wait_loadcnt_dscnt 0xc06
	s_delay_alu instid0(VALU_DEP_3) | instskip(NEXT) | instid1(VALU_DEP_3)
	v_dual_mul_f32 v21, v209, v113 :: v_dual_add_f32 v7, v7, v23
	v_dual_add_f32 v9, v9, v63 :: v_dual_fma_f32 v13, v200, v104, -v13
	s_delay_alu instid0(VALU_DEP_3) | instskip(NEXT) | instid1(VALU_DEP_2)
	v_dual_mul_f32 v23, v211, v115 :: v_dual_fmac_f32 v27, v201, v104
	v_dual_add_f32 v7, v7, v25 :: v_dual_add_f32 v9, v9, v11
	v_dual_mul_f32 v31, v204, v109 :: v_dual_mul_f32 v33, v206, v111
	s_wait_loadcnt_dscnt 0xb05
	v_dual_mul_f32 v11, v213, v117 :: v_dual_fmac_f32 v29, v203, v106
	s_delay_alu instid0(VALU_DEP_3) | instskip(SKIP_2) | instid1(VALU_DEP_2)
	v_dual_fma_f32 v15, v202, v106, -v15 :: v_dual_add_f32 v7, v7, v27
	v_dual_add_f32 v9, v9, v13 :: v_dual_mul_f32 v13, v215, v119
	v_dual_fmac_f32 v31, v205, v108 :: v_dual_fma_f32 v17, v204, v108, -v17
	v_dual_add_f32 v7, v7, v29 :: v_dual_add_f32 v9, v9, v15
	v_dual_mul_f32 v35, v208, v113 :: v_dual_mul_f32 v37, v210, v115
	s_wait_loadcnt_dscnt 0xa04
	v_dual_mul_f32 v15, v217, v121 :: v_dual_fmac_f32 v33, v207, v110
	s_delay_alu instid0(VALU_DEP_3) | instskip(SKIP_2) | instid1(VALU_DEP_2)
	v_dual_fma_f32 v19, v206, v110, -v19 :: v_dual_add_f32 v7, v7, v31
	v_dual_add_f32 v9, v9, v17 :: v_dual_mul_f32 v17, v219, v123
	v_dual_fmac_f32 v35, v209, v112 :: v_dual_fma_f32 v21, v208, v112, -v21
	v_dual_add_f32 v7, v7, v33 :: v_dual_add_f32 v9, v9, v19
	v_dual_mul_f32 v39, v212, v117 :: v_dual_mul_f32 v41, v214, v119
	s_wait_loadcnt_dscnt 0x903
	v_dual_mul_f32 v19, v221, v125 :: v_dual_fmac_f32 v37, v211, v114
	s_delay_alu instid0(VALU_DEP_3) | instskip(SKIP_2) | instid1(VALU_DEP_3)
	v_dual_fma_f32 v23, v210, v114, -v23 :: v_dual_add_f32 v7, v7, v35
	v_dual_add_f32 v9, v9, v21 :: v_dual_mul_f32 v21, v223, v127
	v_fmac_f32_e32 v39, v213, v116
	v_dual_fma_f32 v11, v212, v116, -v11 :: v_dual_add_f32 v7, v7, v37
	s_delay_alu instid0(VALU_DEP_3)
	v_dual_add_f32 v9, v9, v23 :: v_dual_mul_f32 v43, v216, v121
	s_wait_loadcnt_dscnt 0x802
	v_dual_mul_f32 v45, v218, v123 :: v_dual_mul_f32 v23, v225, v129
	v_fmac_f32_e32 v41, v215, v118
	v_dual_fma_f32 v13, v214, v118, -v13 :: v_dual_add_f32 v7, v7, v39
	v_dual_add_f32 v9, v9, v11 :: v_dual_fma_f32 v15, v216, v120, -v15
	v_dual_mul_f32 v11, v227, v131 :: v_dual_fmac_f32 v43, v217, v120
	s_delay_alu instid0(VALU_DEP_3) | instskip(NEXT) | instid1(VALU_DEP_3)
	v_dual_add_f32 v7, v7, v41 :: v_dual_fma_f32 v17, v218, v122, -v17
	v_dual_add_f32 v9, v9, v13 :: v_dual_fmac_f32 v45, v219, v122
	v_dual_mul_f32 v47, v220, v125 :: v_dual_mul_f32 v49, v222, v127
	s_wait_loadcnt_dscnt 0x701
	s_delay_alu instid0(VALU_DEP_3) | instskip(NEXT) | instid1(VALU_DEP_3)
	v_dual_mul_f32 v13, v229, v133 :: v_dual_add_f32 v7, v7, v43
	v_dual_add_f32 v9, v9, v15 :: v_dual_fma_f32 v19, v220, v124, -v19
	s_delay_alu instid0(VALU_DEP_3) | instskip(NEXT) | instid1(VALU_DEP_3)
	v_dual_mul_f32 v15, v231, v135 :: v_dual_fmac_f32 v47, v221, v124
	v_dual_add_f32 v7, v7, v45 :: v_dual_fma_f32 v21, v222, v126, -v21
	s_delay_alu instid0(VALU_DEP_3) | instskip(SKIP_2) | instid1(VALU_DEP_3)
	v_dual_add_f32 v9, v9, v17 :: v_dual_fmac_f32 v49, v223, v126
	v_dual_mul_f32 v51, v224, v129 :: v_dual_mul_f32 v53, v226, v131
	s_wait_loadcnt_dscnt 0x600
	v_dual_mul_f32 v17, v233, v137 :: v_dual_add_f32 v7, v7, v47
	s_delay_alu instid0(VALU_DEP_3) | instskip(NEXT) | instid1(VALU_DEP_3)
	v_dual_add_f32 v9, v9, v19 :: v_dual_fma_f32 v23, v224, v128, -v23
	v_dual_mul_f32 v19, v235, v139 :: v_dual_fmac_f32 v51, v225, v128
	s_delay_alu instid0(VALU_DEP_3) | instskip(NEXT) | instid1(VALU_DEP_3)
	v_dual_add_f32 v7, v7, v49 :: v_dual_fma_f32 v11, v226, v130, -v11
	v_dual_add_f32 v9, v9, v21 :: v_dual_fmac_f32 v53, v227, v130
	v_dual_mul_f32 v55, v228, v133 :: v_dual_mul_f32 v57, v230, v135
	s_wait_loadcnt 0x5
	s_delay_alu instid0(VALU_DEP_3) | instskip(NEXT) | instid1(VALU_DEP_3)
	v_dual_mul_f32 v21, v169, v141 :: v_dual_add_f32 v7, v7, v51
	v_dual_add_f32 v9, v9, v23 :: v_dual_fma_f32 v13, v228, v132, -v13
	s_delay_alu instid0(VALU_DEP_3) | instskip(NEXT) | instid1(VALU_DEP_2)
	v_dual_mul_f32 v23, v171, v143 :: v_dual_fmac_f32 v55, v229, v132
	v_dual_add_f32 v7, v7, v53 :: v_dual_add_f32 v9, v9, v11
	v_dual_mul_f32 v59, v232, v137 :: v_dual_mul_f32 v61, v234, v139
	v_dual_fmac_f32 v57, v231, v134 :: v_dual_fma_f32 v11, v230, v134, -v15
	s_delay_alu instid0(VALU_DEP_3) | instskip(SKIP_1) | instid1(VALU_DEP_3)
	v_dual_add_f32 v7, v7, v55 :: v_dual_add_f32 v9, v9, v13
	s_wait_loadcnt 0x4
	v_dual_mov_b32 v86, v147 :: v_dual_fmac_f32 v59, v233, v136
	s_delay_alu instid0(VALU_DEP_2) | instskip(NEXT) | instid1(VALU_DEP_3)
	v_dual_fma_f32 v13, v232, v136, -v17 :: v_dual_add_f32 v7, v7, v57
	v_dual_add_f32 v9, v9, v11 :: v_dual_fmac_f32 v61, v235, v138
	v_dual_mul_f32 v247, v168, v141 :: v_dual_mul_f32 v249, v170, v143
	s_delay_alu instid0(VALU_DEP_3) | instskip(SKIP_1) | instid1(VALU_DEP_3)
	v_dual_fma_f32 v11, v234, v138, -v19 :: v_dual_add_f32 v7, v7, v59
	s_wait_loadcnt 0x3
	v_dual_add_f32 v9, v9, v13 :: v_dual_mov_b32 v90, v151
	v_pk_mul_f32 v[84:85], v[160:161], v[144:145] op_sel:[1,1] op_sel_hi:[0,1]
	v_dual_fmac_f32 v247, v169, v140 :: v_dual_fma_f32 v246, v168, v140, -v21
	s_delay_alu instid0(VALU_DEP_3) | instskip(SKIP_1) | instid1(VALU_DEP_4)
	v_dual_add_f32 v93, v7, v61 :: v_dual_add_f32 v92, v9, v11
	v_dual_fmac_f32 v249, v171, v142 :: v_dual_fma_f32 v248, v170, v142, -v23
	v_pk_fma_f32 v[94:95], v[160:161], v[144:145], v[84:85] op_sel_hi:[1,0,1]
	v_pk_mul_f32 v[86:87], v[238:239], v[86:87] op_sel_hi:[1,0]
	s_delay_alu instid0(VALU_DEP_4)
	v_pk_add_f32 v[92:93], v[92:93], v[246:247]
	v_pk_fma_f32 v[84:85], v[160:161], v[144:145], v[84:85] neg_lo:[0,0,1] neg_hi:[0,0,1]
	v_pk_mul_f32 v[88:89], v[164:165], v[148:149] op_sel:[1,1] op_sel_hi:[0,1]
	v_mov_b32_e32 v85, v95
	v_pk_fma_f32 v[94:95], v[162:163], v[146:147], v[86:87] op_sel_hi:[1,0,1]
	v_pk_add_f32 v[92:93], v[92:93], v[248:249]
	v_pk_fma_f32 v[86:87], v[162:163], v[146:147], v[86:87] neg_lo:[0,0,1] neg_hi:[0,0,1]
	v_pk_fma_f32 v[98:99], v[164:165], v[148:149], v[88:89] op_sel_hi:[1,0,1]
	v_pk_mul_f32 v[90:91], v[240:241], v[90:91] op_sel_hi:[1,0]
	v_mov_b32_e32 v87, v95
	v_pk_add_f32 v[84:85], v[92:93], v[84:85]
	s_wait_loadcnt 0x2
	v_pk_mul_f32 v[96:97], v[172:173], v[152:153] op_sel:[1,1] op_sel_hi:[0,1]
	v_mov_b32_e32 v92, v155
	v_pk_fma_f32 v[88:89], v[164:165], v[148:149], v[88:89] neg_lo:[0,0,1] neg_hi:[0,0,1]
	v_mov_b32_e32 v89, v99
	v_pk_fma_f32 v[94:95], v[166:167], v[150:151], v[90:91] op_sel_hi:[1,0,1]
	v_pk_add_f32 v[84:85], v[84:85], v[86:87]
	v_pk_fma_f32 v[86:87], v[172:173], v[152:153], v[96:97] op_sel_hi:[1,0,1]
	v_pk_mul_f32 v[92:93], v[242:243], v[92:93] op_sel_hi:[1,0]
	v_pk_fma_f32 v[90:91], v[166:167], v[150:151], v[90:91] neg_lo:[0,0,1] neg_hi:[0,0,1]
	v_mov_b32_e32 v91, v95
	v_pk_add_f32 v[84:85], v[84:85], v[88:89]
	v_pk_fma_f32 v[94:95], v[172:173], v[152:153], v[96:97] neg_lo:[0,0,1] neg_hi:[0,0,1]
	v_mov_b32_e32 v95, v87
	v_pk_fma_f32 v[86:87], v[174:175], v[154:155], v[92:93] op_sel_hi:[1,0,1]
	s_wait_loadcnt 0x1
	v_pk_mul_f32 v[88:89], v[176:177], v[156:157] op_sel:[1,1] op_sel_hi:[0,1]
	v_pk_add_f32 v[84:85], v[84:85], v[90:91]
	v_mov_b32_e32 v86, v159
	v_pk_fma_f32 v[92:93], v[174:175], v[154:155], v[92:93] neg_lo:[0,0,1] neg_hi:[0,0,1]
	v_mov_b32_e32 v93, v87
	v_pk_fma_f32 v[90:91], v[176:177], v[156:157], v[88:89] op_sel_hi:[1,0,1]
	v_pk_add_f32 v[84:85], v[84:85], v[94:95]
	v_pk_mul_f32 v[86:87], v[244:245], v[86:87] op_sel_hi:[1,0]
	v_pk_fma_f32 v[88:89], v[176:177], v[156:157], v[88:89] neg_lo:[0,0,1] neg_hi:[0,0,1]
	s_delay_alu instid0(VALU_DEP_4) | instskip(NEXT) | instid1(VALU_DEP_4)
	v_mov_b32_e32 v89, v91
	v_pk_add_f32 v[84:85], v[84:85], v[92:93]
	s_delay_alu instid0(VALU_DEP_4) | instskip(SKIP_1) | instid1(VALU_DEP_2)
	v_pk_fma_f32 v[90:91], v[178:179], v[158:159], v[86:87] op_sel_hi:[1,0,1]
	v_pk_fma_f32 v[86:87], v[178:179], v[158:159], v[86:87] neg_lo:[0,0,1] neg_hi:[0,0,1]
	v_mov_b32_e32 v87, v91
	s_delay_alu instid0(VALU_DEP_4) | instskip(NEXT) | instid1(VALU_DEP_1)
	v_pk_add_f32 v[84:85], v[84:85], v[88:89]
	v_pk_add_f32 v[84:85], v[84:85], v[86:87]
	s_wait_loadcnt 0x0
	s_delay_alu instid0(VALU_DEP_1)
	v_pk_add_f32 v[84:85], v[236:237], v[84:85] neg_lo:[0,1] neg_hi:[0,1]
	scratch_store_b64 off, v[84:85], off offset:16
	s_wait_xcnt 0x0
	v_cmpx_lt_u32_e32 1, v0
	s_cbranch_execz .LBB104_257
; %bb.256:
	scratch_load_b64 v[84:85], off, off offset:8
	v_mov_b64_e32 v[86:87], 0
	scratch_store_b64 off, v[86:87], off offset:8
	s_wait_loadcnt 0x0
	ds_store_b64 v1, v[84:85]
.LBB104_257:
	s_wait_xcnt 0x0
	s_or_b32 exec_lo, exec_lo, s0
	s_wait_storecnt_dscnt 0x0
	s_barrier_signal -1
	s_barrier_wait -1
	s_clause 0x14
	scratch_load_b128 v[86:89], off, off offset:16
	scratch_load_b128 v[90:93], off, off offset:32
	scratch_load_b128 v[94:97], off, off offset:48
	scratch_load_b128 v[98:101], off, off offset:64
	scratch_load_b128 v[102:105], off, off offset:80
	scratch_load_b128 v[106:109], off, off offset:96
	scratch_load_b128 v[110:113], off, off offset:112
	scratch_load_b128 v[114:117], off, off offset:128
	scratch_load_b128 v[118:121], off, off offset:144
	scratch_load_b128 v[122:125], off, off offset:160
	scratch_load_b128 v[126:129], off, off offset:176
	scratch_load_b128 v[130:133], off, off offset:192
	scratch_load_b128 v[134:137], off, off offset:208
	scratch_load_b128 v[138:141], off, off offset:224
	scratch_load_b128 v[142:145], off, off offset:240
	scratch_load_b128 v[146:149], off, off offset:256
	scratch_load_b128 v[150:153], off, off offset:272
	scratch_load_b128 v[154:157], off, off offset:288
	scratch_load_b128 v[158:161], off, off offset:304
	scratch_load_b64 v[238:239], off, off offset:320
	scratch_load_b64 v[240:241], off, off offset:8
	v_dual_mov_b32 v84, 0 :: v_dual_ashrrev_i32 v51, 31, v50
	ds_load_b128 v[162:165], v84 offset:576
	ds_load_b128 v[166:169], v84 offset:592
	;; [unrolled: 1-line block ×19, first 2 shown]
	ds_load_b64 v[242:243], v84 offset:656
	v_dual_ashrrev_i32 v7, 31, v6 :: v_dual_ashrrev_i32 v9, 31, v8
	s_wait_dscnt 0x11
	v_dual_mov_b32 v246, v173 :: v_dual_mov_b32 v247, v172
	s_wait_dscnt 0x10
	v_dual_mov_b32 v248, v177 :: v_dual_mov_b32 v249, v176
	;; [unrolled: 2-line block ×3, first 2 shown]
	v_dual_ashrrev_i32 v11, 31, v10 :: v_dual_ashrrev_i32 v13, 31, v12
	v_dual_ashrrev_i32 v15, 31, v14 :: v_dual_ashrrev_i32 v17, 31, v16
	;; [unrolled: 1-line block ×5, first 2 shown]
	v_dual_mov_b32 v244, v169 :: v_dual_mov_b32 v245, v168
	v_dual_ashrrev_i32 v31, 31, v30 :: v_dual_ashrrev_i32 v33, 31, v32
	v_dual_ashrrev_i32 v35, 31, v34 :: v_dual_ashrrev_i32 v37, 31, v36
	;; [unrolled: 1-line block ×7, first 2 shown]
	s_mov_b32 s0, exec_lo
	s_wait_loadcnt 0x14
	v_dual_mul_f32 v61, v178, v87 :: v_dual_mul_f32 v63, v180, v89
	s_wait_loadcnt 0x13
	v_dual_mul_f32 v67, v179, v87 :: v_dual_mul_f32 v71, v184, v93
	v_dual_mul_f32 v65, v182, v91 :: v_dual_mul_f32 v69, v181, v89
	s_delay_alu instid0(VALU_DEP_3) | instskip(NEXT) | instid1(VALU_DEP_3)
	v_dual_fmac_f32 v61, v179, v86 :: v_dual_fmac_f32 v63, v181, v88
	v_dual_fma_f32 v67, v178, v86, -v67 :: v_dual_mul_f32 v83, v183, v91
	s_wait_loadcnt_dscnt 0x100a
	v_mul_f32_e32 v86, v200, v105
	s_delay_alu instid0(VALU_DEP_3)
	v_dual_fma_f32 v69, v180, v88, -v69 :: v_dual_add_f32 v61, 0, v61
	s_wait_loadcnt_dscnt 0xa04
	v_mul_f32_e32 v181, v222, v127
	v_add_f32_e32 v67, 0, v67
	v_dual_mul_f32 v81, v198, v103 :: v_dual_mul_f32 v85, v185, v93
	v_dual_fmac_f32 v65, v183, v90 :: v_dual_fmac_f32 v71, v185, v92
	v_dual_fma_f32 v83, v182, v90, -v83 :: v_dual_mul_f32 v182, v224, v129
	s_delay_alu instid0(VALU_DEP_4)
	v_dual_add_f32 v61, v61, v63 :: v_dual_add_f32 v67, v67, v69
	v_dual_mul_f32 v73, v190, v95 :: v_dual_mul_f32 v75, v192, v97
	v_dual_fma_f32 v85, v184, v92, -v85 :: v_dual_mul_f32 v87, v191, v95
	s_wait_loadcnt_dscnt 0x802
	v_dual_mul_f32 v95, v212, v117 :: v_dual_mul_f32 v69, v230, v135
	v_dual_add_f32 v61, v61, v65 :: v_dual_add_f32 v67, v67, v83
	v_dual_mul_f32 v83, v232, v137 :: v_dual_mul_f32 v93, v210, v115
	v_dual_mul_f32 v89, v193, v97 :: v_dual_fmac_f32 v73, v191, v94
	v_fmac_f32_e32 v75, v193, v96
	s_delay_alu instid0(VALU_DEP_4)
	v_dual_fma_f32 v94, v190, v94, -v87 :: v_dual_add_f32 v61, v61, v71
	v_dual_add_f32 v67, v67, v85 :: v_dual_mul_f32 v77, v194, v99
	v_mul_f32_e32 v79, v196, v101
	v_dual_fma_f32 v96, v192, v96, -v89 :: v_dual_mul_f32 v87, v195, v99
	s_wait_loadcnt 0x5
	v_dual_mul_f32 v65, v197, v101 :: v_dual_mul_f32 v89, v166, v147
	v_dual_add_f32 v61, v61, v73 :: v_dual_add_f32 v67, v67, v94
	v_dual_mul_f32 v85, v201, v105 :: v_dual_fmac_f32 v77, v195, v98
	v_fmac_f32_e32 v79, v197, v100
	s_delay_alu instid0(VALU_DEP_4) | instskip(NEXT) | instid1(VALU_DEP_4)
	v_dual_fma_f32 v98, v194, v98, -v87 :: v_dual_fma_f32 v65, v196, v100, -v65
	v_dual_add_f32 v61, v61, v75 :: v_dual_add_f32 v67, v67, v96
	v_dual_mul_f32 v73, v199, v103 :: v_dual_mul_f32 v75, v205, v109
	s_delay_alu instid0(VALU_DEP_2) | instskip(NEXT) | instid1(VALU_DEP_3)
	v_dual_mul_f32 v96, v207, v111 :: v_dual_add_f32 v61, v61, v77
	v_add_f32_e32 v67, v67, v98
	s_delay_alu instid0(VALU_DEP_3) | instskip(SKIP_1) | instid1(VALU_DEP_3)
	v_dual_mul_f32 v77, v211, v115 :: v_dual_fma_f32 v73, v198, v102, -v73
	v_dual_mul_f32 v88, v202, v107 :: v_dual_mul_f32 v90, v204, v109
	v_dual_add_f32 v61, v61, v79 :: v_dual_add_f32 v65, v67, v65
	v_dual_fmac_f32 v86, v201, v104 :: v_dual_mul_f32 v94, v203, v107
	v_dual_mul_f32 v101, v209, v113 :: v_dual_fmac_f32 v81, v199, v102
	v_dual_mul_f32 v67, v213, v117 :: v_dual_fma_f32 v79, v200, v104, -v85
	s_delay_alu instid0(VALU_DEP_4) | instskip(SKIP_1) | instid1(VALU_DEP_4)
	v_dual_add_f32 v65, v65, v73 :: v_dual_mul_f32 v73, v215, v119
	v_dual_mul_f32 v91, v206, v111 :: v_dual_mul_f32 v92, v208, v113
	v_dual_add_f32 v61, v61, v81 :: v_dual_fmac_f32 v88, v203, v106
	s_delay_alu instid0(VALU_DEP_3) | instskip(NEXT) | instid1(VALU_DEP_3)
	v_dual_fma_f32 v81, v202, v106, -v94 :: v_dual_add_f32 v65, v65, v79
	v_fmac_f32_e32 v91, v207, v110
	s_delay_alu instid0(VALU_DEP_3) | instskip(SKIP_1) | instid1(VALU_DEP_4)
	v_dual_add_f32 v61, v61, v86 :: v_dual_fma_f32 v75, v204, v108, -v75
	v_dual_fmac_f32 v90, v205, v108 :: v_dual_fma_f32 v85, v206, v110, -v96
	v_dual_add_f32 v65, v65, v81 :: v_dual_fma_f32 v86, v208, v112, -v101
	v_dual_fmac_f32 v93, v211, v114 :: v_dual_mul_f32 v79, v217, v121
	v_mul_f32_e32 v81, v219, v123
	s_delay_alu instid0(VALU_DEP_3) | instskip(SKIP_2) | instid1(VALU_DEP_3)
	v_add_f32_e32 v65, v65, v75
	v_add_f32_e32 v61, v61, v88
	v_dual_mul_f32 v75, v221, v125 :: v_dual_fma_f32 v77, v210, v114, -v77
	v_dual_fma_f32 v73, v214, v118, -v73 :: v_dual_add_f32 v65, v65, v85
	s_delay_alu instid0(VALU_DEP_3) | instskip(SKIP_1) | instid1(VALU_DEP_3)
	v_dual_mul_f32 v85, v223, v127 :: v_dual_add_f32 v61, v61, v90
	v_fma_f32 v67, v212, v116, -v67
	v_dual_fma_f32 v79, v216, v120, -v79 :: v_dual_add_f32 v65, v65, v86
	v_dual_mul_f32 v97, v214, v119 :: v_dual_mul_f32 v178, v216, v121
	v_fmac_f32_e32 v92, v209, v112
	v_add_f32_e32 v61, v61, v91
	s_delay_alu instid0(VALU_DEP_4) | instskip(SKIP_1) | instid1(VALU_DEP_2)
	v_dual_add_f32 v65, v65, v77 :: v_dual_mul_f32 v77, v227, v131
	v_dual_fma_f32 v85, v222, v126, -v85 :: v_dual_fmac_f32 v95, v213, v116
	v_dual_fma_f32 v81, v218, v122, -v81 :: v_dual_add_f32 v65, v65, v67
	s_delay_alu instid0(VALU_DEP_4) | instskip(NEXT) | instid1(VALU_DEP_4)
	v_dual_fmac_f32 v97, v215, v118 :: v_dual_add_f32 v61, v61, v92
	v_fma_f32 v77, v226, v130, -v77
	s_wait_dscnt 0x1
	v_dual_mul_f32 v99, v234, v139 :: v_dual_mul_f32 v100, v236, v141
	v_dual_add_f32 v65, v65, v73 :: v_dual_mul_f32 v73, v231, v135
	v_dual_add_f32 v61, v61, v93 :: v_dual_fma_f32 v75, v220, v124, -v75
	s_delay_alu instid0(VALU_DEP_2) | instskip(SKIP_2) | instid1(VALU_DEP_4)
	v_dual_fmac_f32 v69, v231, v134 :: v_dual_add_f32 v65, v65, v79
	v_dual_mul_f32 v179, v218, v123 :: v_dual_mul_f32 v180, v220, v125
	v_mul_f32_e32 v86, v225, v129
	v_dual_add_f32 v61, v61, v95 :: v_dual_fmac_f32 v181, v223, v126
	s_delay_alu instid0(VALU_DEP_4) | instskip(SKIP_2) | instid1(VALU_DEP_3)
	v_dual_add_f32 v65, v65, v81 :: v_dual_fmac_f32 v99, v235, v138
	v_mul_f32_e32 v81, v235, v139
	v_dual_mul_f32 v183, v226, v131 :: v_dual_mul_f32 v63, v228, v133
	v_add_f32_e32 v65, v65, v75
	v_fmac_f32_e32 v178, v217, v120
	s_delay_alu instid0(VALU_DEP_3) | instskip(SKIP_1) | instid1(VALU_DEP_4)
	v_dual_add_f32 v61, v61, v97 :: v_dual_fmac_f32 v183, v227, v130
	v_dual_fmac_f32 v179, v219, v122 :: v_dual_mul_f32 v67, v229, v133
	v_dual_fma_f32 v86, v224, v128, -v86 :: v_dual_add_f32 v65, v65, v85
	v_dual_mul_f32 v71, v162, v143 :: v_dual_mul_f32 v87, v164, v145
	s_delay_alu instid0(VALU_DEP_4) | instskip(NEXT) | instid1(VALU_DEP_3)
	v_dual_mul_f32 v85, v163, v143 :: v_dual_add_f32 v61, v61, v178
	v_dual_fma_f32 v67, v228, v132, -v67 :: v_dual_add_f32 v65, v65, v86
	s_delay_alu instid0(VALU_DEP_3) | instskip(SKIP_2) | instid1(VALU_DEP_3)
	v_dual_mul_f32 v86, v165, v145 :: v_dual_fmac_f32 v71, v163, v142
	v_mul_f32_e32 v79, v233, v137
	v_dual_fmac_f32 v180, v221, v124 :: v_dual_fma_f32 v73, v230, v134, -v73
	v_dual_fma_f32 v86, v164, v144, -v86 :: v_dual_add_f32 v65, v65, v77
	v_mul_f32_e32 v77, v167, v147
	v_add_f32_e32 v61, v61, v179
	v_dual_mul_f32 v75, v237, v141 :: v_dual_fmac_f32 v100, v237, v140
	v_fmac_f32_e32 v182, v225, v128
	s_wait_loadcnt 0x4
	v_dual_mov_b32 v88, v149 :: v_dual_mov_b32 v92, v153
	v_add_f32_e32 v61, v61, v180
	v_fmac_f32_e32 v63, v229, v132
	v_fmac_f32_e32 v83, v233, v136
	s_delay_alu instid0(VALU_DEP_4) | instskip(NEXT) | instid1(VALU_DEP_4)
	v_pk_mul_f32 v[96:97], v[244:245], v[88:89] op_sel_hi:[1,0]
	v_dual_fmac_f32 v89, v167, v146 :: v_dual_add_f32 v61, v61, v181
	v_dual_fma_f32 v88, v166, v146, -v77 :: v_dual_fmac_f32 v87, v165, v144
	s_delay_alu instid0(VALU_DEP_3) | instskip(SKIP_1) | instid1(VALU_DEP_4)
	v_pk_fma_f32 v[102:103], v[168:169], v[148:149], v[96:97] op_sel_hi:[1,0,1]
	v_pk_fma_f32 v[96:97], v[168:169], v[148:149], v[96:97] neg_lo:[0,0,1] neg_hi:[0,0,1]
	v_add_f32_e32 v61, v61, v182
	v_pk_mul_f32 v[90:91], v[170:171], v[150:151] op_sel:[1,1] op_sel_hi:[0,1]
	v_pk_mul_f32 v[92:93], v[246:247], v[92:93] op_sel_hi:[1,0]
	v_mov_b32_e32 v97, v103
	s_wait_loadcnt 0x3
	v_pk_mul_f32 v[94:95], v[174:175], v[154:155] op_sel:[1,1] op_sel_hi:[0,1]
	v_dual_add_f32 v61, v61, v183 :: v_dual_ashrrev_i32 v77, 31, v76
	s_delay_alu instid0(VALU_DEP_1) | instskip(SKIP_2) | instid1(VALU_DEP_3)
	v_add_f32_e32 v61, v61, v63
	v_dual_add_f32 v63, v65, v67 :: v_dual_fma_f32 v65, v232, v136, -v79
	v_fma_f32 v67, v234, v138, -v81
	v_dual_ashrrev_i32 v79, 31, v78 :: v_dual_add_f32 v61, v61, v69
	s_delay_alu instid0(VALU_DEP_3) | instskip(SKIP_1) | instid1(VALU_DEP_3)
	v_dual_add_f32 v63, v63, v73 :: v_dual_ashrrev_i32 v73, 31, v72
	v_ashrrev_i32_e32 v81, 31, v80
	v_dual_ashrrev_i32 v69, 31, v68 :: v_dual_add_f32 v61, v61, v83
	s_delay_alu instid0(VALU_DEP_3) | instskip(SKIP_1) | instid1(VALU_DEP_2)
	v_dual_add_f32 v63, v63, v65 :: v_dual_fma_f32 v65, v236, v140, -v75
	v_ashrrev_i32_e32 v75, 31, v74
	v_dual_ashrrev_i32 v83, 31, v82 :: v_dual_add_f32 v63, v63, v67
	s_delay_alu instid0(VALU_DEP_1) | instskip(NEXT) | instid1(VALU_DEP_1)
	v_dual_fma_f32 v67, v162, v142, -v85 :: v_dual_add_f32 v63, v63, v65
	v_dual_add_f32 v98, v63, v67 :: v_dual_ashrrev_i32 v65, 31, v64
	v_dual_ashrrev_i32 v63, 31, v62 :: v_dual_add_f32 v61, v61, v99
	s_delay_alu instid0(VALU_DEP_1) | instskip(SKIP_1) | instid1(VALU_DEP_2)
	v_dual_ashrrev_i32 v67, 31, v66 :: v_dual_add_f32 v61, v61, v100
	v_mov_b32_e32 v100, v157
	v_dual_add_f32 v99, v61, v71 :: v_dual_ashrrev_i32 v61, 31, v60
	v_ashrrev_i32_e32 v71, 31, v70
	s_delay_alu instid0(VALU_DEP_2) | instskip(SKIP_2) | instid1(VALU_DEP_3)
	v_pk_add_f32 v[86:87], v[98:99], v[86:87]
	v_pk_fma_f32 v[98:99], v[170:171], v[150:151], v[90:91] op_sel_hi:[1,0,1]
	v_pk_fma_f32 v[90:91], v[170:171], v[150:151], v[90:91] neg_lo:[0,0,1] neg_hi:[0,0,1]
	v_pk_add_f32 v[86:87], v[86:87], v[88:89]
	s_delay_alu instid0(VALU_DEP_3)
	v_mov_b32_e32 v91, v99
	v_pk_fma_f32 v[98:99], v[172:173], v[152:153], v[92:93] op_sel_hi:[1,0,1]
	v_pk_fma_f32 v[92:93], v[172:173], v[152:153], v[92:93] neg_lo:[0,0,1] neg_hi:[0,0,1]
	s_wait_loadcnt 0x2
	v_pk_mul_f32 v[88:89], v[186:187], v[158:159] op_sel:[1,1] op_sel_hi:[0,1]
	v_pk_add_f32 v[86:87], v[86:87], v[96:97]
	v_pk_fma_f32 v[96:97], v[174:175], v[154:155], v[94:95] op_sel_hi:[1,0,1]
	v_mov_b32_e32 v93, v99
	v_pk_fma_f32 v[94:95], v[174:175], v[154:155], v[94:95] neg_lo:[0,0,1] neg_hi:[0,0,1]
	s_delay_alu instid0(VALU_DEP_4) | instskip(SKIP_3) | instid1(VALU_DEP_4)
	v_pk_add_f32 v[86:87], v[86:87], v[90:91]
	v_mov_b32_e32 v90, v161
	v_pk_mul_f32 v[100:101], v[248:249], v[100:101] op_sel_hi:[1,0]
	v_mov_b32_e32 v95, v97
	v_pk_add_f32 v[86:87], v[86:87], v[92:93]
	v_pk_fma_f32 v[92:93], v[186:187], v[158:159], v[88:89] op_sel_hi:[1,0,1]
	s_delay_alu instid0(VALU_DEP_4) | instskip(SKIP_3) | instid1(VALU_DEP_4)
	v_pk_fma_f32 v[96:97], v[176:177], v[156:157], v[100:101] op_sel_hi:[1,0,1]
	v_pk_fma_f32 v[98:99], v[176:177], v[156:157], v[100:101] neg_lo:[0,0,1] neg_hi:[0,0,1]
	v_pk_mul_f32 v[90:91], v[250:251], v[90:91] op_sel_hi:[1,0]
	v_pk_fma_f32 v[88:89], v[186:187], v[158:159], v[88:89] neg_lo:[0,0,1] neg_hi:[0,0,1]
	v_dual_mov_b32 v89, v93 :: v_dual_mov_b32 v99, v97
	v_pk_add_f32 v[86:87], v[86:87], v[94:95]
	s_delay_alu instid0(VALU_DEP_4)
	v_pk_fma_f32 v[92:93], v[188:189], v[160:161], v[90:91] op_sel_hi:[1,0,1]
	s_wait_loadcnt_dscnt 0x100
	v_pk_mul_f32 v[94:95], v[242:243], v[238:239] op_sel:[1,1] op_sel_hi:[0,1]
	v_pk_fma_f32 v[90:91], v[188:189], v[160:161], v[90:91] neg_lo:[0,0,1] neg_hi:[0,0,1]
	v_pk_add_f32 v[86:87], v[86:87], v[98:99]
	v_mov_b32_e32 v91, v93
	s_delay_alu instid0(VALU_DEP_4) | instskip(NEXT) | instid1(VALU_DEP_3)
	v_pk_fma_f32 v[92:93], v[242:243], v[238:239], v[94:95] neg_lo:[0,0,1] neg_hi:[0,0,1]
	v_pk_add_f32 v[86:87], v[86:87], v[88:89]
	v_pk_fma_f32 v[88:89], v[242:243], v[238:239], v[94:95] op_sel_hi:[1,0,1]
	s_delay_alu instid0(VALU_DEP_2) | instskip(NEXT) | instid1(VALU_DEP_2)
	v_pk_add_f32 v[86:87], v[86:87], v[90:91]
	v_mov_b32_e32 v93, v89
	s_delay_alu instid0(VALU_DEP_1) | instskip(SKIP_1) | instid1(VALU_DEP_1)
	v_pk_add_f32 v[86:87], v[86:87], v[92:93]
	s_wait_loadcnt 0x0
	v_pk_add_f32 v[86:87], v[240:241], v[86:87] neg_lo:[0,1] neg_hi:[0,1]
	scratch_store_b64 off, v[86:87], off offset:8
	s_wait_xcnt 0x0
	v_cmpx_ne_u32_e32 0, v0
	s_cbranch_execz .LBB104_259
; %bb.258:
	scratch_load_b64 v[86:87], off, off
	v_mov_b64_e32 v[88:89], 0
	scratch_store_b64 off, v[88:89], off
	s_wait_loadcnt 0x0
	ds_store_b64 v1, v[86:87]
.LBB104_259:
	s_wait_xcnt 0x0
	s_or_b32 exec_lo, exec_lo, s0
	s_wait_storecnt_dscnt 0x0
	s_barrier_signal -1
	s_barrier_wait -1
	s_clause 0xf
	scratch_load_b128 v[90:93], off, off offset:8
	scratch_load_b128 v[98:101], off, off offset:24
	;; [unrolled: 1-line block ×16, first 2 shown]
	ds_load_2addr_b64 v[86:89], v84 offset0:43 offset1:44
	ds_load_2addr_b64 v[94:97], v84 offset0:45 offset1:46
	;; [unrolled: 1-line block ×16, first 2 shown]
	s_clause 0x3
	scratch_load_b128 v[214:217], off, off offset:264
	scratch_load_b128 v[218:221], off, off offset:280
	;; [unrolled: 1-line block ×4, first 2 shown]
	s_and_b32 vcc_lo, exec_lo, s12
	s_wait_loadcnt_dscnt 0x130f
	v_dual_mul_f32 v0, v86, v91 :: v_dual_mul_f32 v1, v88, v93
	s_wait_loadcnt_dscnt 0x100c
	v_dual_mul_f32 v85, v89, v93 :: v_dual_mul_f32 v231, v206, v211
	s_delay_alu instid0(VALU_DEP_2) | instskip(NEXT) | instid1(VALU_DEP_3)
	v_dual_mul_f32 v233, v208, v213 :: v_dual_fmac_f32 v0, v87, v90
	v_fmac_f32_e32 v1, v89, v92
	s_delay_alu instid0(VALU_DEP_3) | instskip(NEXT) | instid1(VALU_DEP_3)
	v_dual_fma_f32 v85, v88, v92, -v85 :: v_dual_fmac_f32 v231, v207, v210
	v_fmac_f32_e32 v233, v209, v212
	s_delay_alu instid0(VALU_DEP_4) | instskip(NEXT) | instid1(VALU_DEP_1)
	v_add_f32_e32 v0, 0, v0
	v_dual_add_f32 v0, v0, v1 :: v_dual_mul_f32 v1, v94, v99
	s_delay_alu instid0(VALU_DEP_1) | instskip(NEXT) | instid1(VALU_DEP_1)
	v_fmac_f32_e32 v1, v95, v98
	v_add_f32_e32 v0, v0, v1
	v_mul_f32_e32 v1, v96, v101
	s_delay_alu instid0(VALU_DEP_1) | instskip(SKIP_1) | instid1(VALU_DEP_1)
	v_fmac_f32_e32 v1, v97, v100
	s_wait_loadcnt_dscnt 0xf0b
	v_dual_add_f32 v0, v0, v1 :: v_dual_mul_f32 v1, v102, v107
	s_delay_alu instid0(VALU_DEP_1) | instskip(NEXT) | instid1(VALU_DEP_1)
	v_fmac_f32_e32 v1, v103, v106
	v_add_f32_e32 v0, v0, v1
	v_mul_f32_e32 v1, v104, v109
	s_delay_alu instid0(VALU_DEP_1) | instskip(SKIP_1) | instid1(VALU_DEP_1)
	v_fmac_f32_e32 v1, v105, v108
	s_wait_loadcnt_dscnt 0xe0a
	;; [unrolled: 8-line block ×12, first 2 shown]
	v_dual_add_f32 v0, v0, v1 :: v_dual_mul_f32 v1, v190, v195
	s_delay_alu instid0(VALU_DEP_1) | instskip(NEXT) | instid1(VALU_DEP_1)
	v_fmac_f32_e32 v1, v191, v194
	v_add_f32_e32 v0, v0, v1
	v_mul_f32_e32 v1, v192, v197
	s_delay_alu instid0(VALU_DEP_1) | instskip(NEXT) | instid1(VALU_DEP_1)
	v_fmac_f32_e32 v1, v193, v196
	v_dual_add_f32 v0, v0, v1 :: v_dual_mul_f32 v1, v198, v203
	s_delay_alu instid0(VALU_DEP_1) | instskip(NEXT) | instid1(VALU_DEP_1)
	v_fmac_f32_e32 v1, v199, v202
	v_add_f32_e32 v0, v0, v1
	v_mul_f32_e32 v1, v200, v205
	s_delay_alu instid0(VALU_DEP_1) | instskip(NEXT) | instid1(VALU_DEP_1)
	v_fmac_f32_e32 v1, v201, v204
	v_dual_add_f32 v1, v0, v1 :: v_dual_mul_f32 v0, v87, v91
	s_delay_alu instid0(VALU_DEP_1) | instskip(NEXT) | instid1(VALU_DEP_1)
	v_fma_f32 v0, v86, v90, -v0
	v_add_f32_e32 v0, 0, v0
	s_delay_alu instid0(VALU_DEP_1) | instskip(NEXT) | instid1(VALU_DEP_1)
	v_dual_add_f32 v0, v0, v85 :: v_dual_mul_f32 v85, v95, v99
	v_fma_f32 v85, v94, v98, -v85
	s_delay_alu instid0(VALU_DEP_1) | instskip(SKIP_1) | instid1(VALU_DEP_1)
	v_add_f32_e32 v0, v0, v85
	v_mul_f32_e32 v85, v97, v101
	v_fma_f32 v85, v96, v100, -v85
	ds_load_2addr_b64 v[86:89], v84 offset0:75 offset1:76
	ds_load_2addr_b64 v[90:93], v84 offset0:77 offset1:78
	;; [unrolled: 1-line block ×4, first 2 shown]
	v_dual_add_f32 v0, v0, v85 :: v_dual_mul_f32 v85, v103, v107
	s_delay_alu instid0(VALU_DEP_1) | instskip(NEXT) | instid1(VALU_DEP_1)
	v_fma_f32 v85, v102, v106, -v85
	v_add_f32_e32 v0, v0, v85
	v_mul_f32_e32 v85, v105, v109
	s_delay_alu instid0(VALU_DEP_1) | instskip(NEXT) | instid1(VALU_DEP_1)
	v_fma_f32 v85, v104, v108, -v85
	v_dual_add_f32 v0, v0, v85 :: v_dual_mul_f32 v85, v111, v115
	s_delay_alu instid0(VALU_DEP_1) | instskip(NEXT) | instid1(VALU_DEP_1)
	v_fma_f32 v85, v110, v114, -v85
	v_add_f32_e32 v0, v0, v85
	v_mul_f32_e32 v85, v113, v117
	s_delay_alu instid0(VALU_DEP_1) | instskip(NEXT) | instid1(VALU_DEP_1)
	v_fma_f32 v85, v112, v116, -v85
	;; [unrolled: 7-line block ×13, first 2 shown]
	v_dual_add_f32 v0, v0, v85 :: v_dual_mul_f32 v85, v207, v211
	s_delay_alu instid0(VALU_DEP_1) | instskip(NEXT) | instid1(VALU_DEP_1)
	v_dual_fma_f32 v230, v206, v210, -v85 :: v_dual_mul_f32 v85, v209, v213
	v_fma_f32 v232, v208, v212, -v85
	s_wait_loadcnt_dscnt 0x303
	v_pk_mul_f32 v[84:85], v[86:87], v[214:215] op_sel:[1,1] op_sel_hi:[0,1]
	s_delay_alu instid0(VALU_DEP_1) | instskip(SKIP_2) | instid1(VALU_DEP_2)
	v_pk_fma_f32 v[102:103], v[86:87], v[214:215], v[84:85] neg_lo:[0,0,1] neg_hi:[0,0,1]
	v_pk_fma_f32 v[84:85], v[86:87], v[214:215], v[84:85] op_sel_hi:[1,0,1]
	v_dual_mov_b32 v84, v89 :: v_dual_mov_b32 v86, v217
	v_dual_mov_b32 v103, v85 :: v_dual_mov_b32 v85, v88
	s_delay_alu instid0(VALU_DEP_1) | instskip(NEXT) | instid1(VALU_DEP_1)
	v_pk_mul_f32 v[84:85], v[84:85], v[86:87] op_sel_hi:[1,0]
	v_pk_fma_f32 v[86:87], v[88:89], v[216:217], v[84:85] neg_lo:[0,0,1] neg_hi:[0,0,1]
	v_pk_fma_f32 v[84:85], v[88:89], v[216:217], v[84:85] op_sel_hi:[1,0,1]
	s_delay_alu instid0(VALU_DEP_1) | instskip(SKIP_3) | instid1(VALU_DEP_2)
	v_mov_b32_e32 v87, v85
	v_pk_add_f32 v[0:1], v[0:1], v[230:231]
	s_wait_loadcnt_dscnt 0x202
	v_pk_mul_f32 v[84:85], v[90:91], v[218:219] op_sel:[1,1] op_sel_hi:[0,1]
	v_pk_add_f32 v[0:1], v[0:1], v[232:233]
	s_delay_alu instid0(VALU_DEP_1) | instskip(NEXT) | instid1(VALU_DEP_1)
	v_pk_add_f32 v[0:1], v[0:1], v[102:103]
	v_pk_add_f32 v[0:1], v[0:1], v[86:87]
	s_delay_alu instid0(VALU_DEP_4) | instskip(SKIP_1) | instid1(VALU_DEP_1)
	v_pk_fma_f32 v[86:87], v[90:91], v[218:219], v[84:85] neg_lo:[0,0,1] neg_hi:[0,0,1]
	v_pk_fma_f32 v[84:85], v[90:91], v[218:219], v[84:85] op_sel_hi:[1,0,1]
	v_dual_mov_b32 v84, v93 :: v_dual_mov_b32 v87, v85
	v_mov_b32_e32 v85, v92
	s_delay_alu instid0(VALU_DEP_2) | instskip(SKIP_1) | instid1(VALU_DEP_1)
	v_pk_add_f32 v[0:1], v[0:1], v[86:87]
	v_mov_b32_e32 v86, v221
	v_pk_mul_f32 v[84:85], v[84:85], v[86:87] op_sel_hi:[1,0]
	s_delay_alu instid0(VALU_DEP_1) | instskip(SKIP_1) | instid1(VALU_DEP_1)
	v_pk_fma_f32 v[86:87], v[92:93], v[220:221], v[84:85] neg_lo:[0,0,1] neg_hi:[0,0,1]
	v_pk_fma_f32 v[84:85], v[92:93], v[220:221], v[84:85] op_sel_hi:[1,0,1]
	v_mov_b32_e32 v87, v85
	s_wait_loadcnt_dscnt 0x101
	v_pk_mul_f32 v[84:85], v[94:95], v[222:223] op_sel:[1,1] op_sel_hi:[0,1]
	s_delay_alu instid0(VALU_DEP_2) | instskip(NEXT) | instid1(VALU_DEP_2)
	v_pk_add_f32 v[0:1], v[0:1], v[86:87]
	v_pk_fma_f32 v[86:87], v[94:95], v[222:223], v[84:85] neg_lo:[0,0,1] neg_hi:[0,0,1]
	v_pk_fma_f32 v[84:85], v[94:95], v[222:223], v[84:85] op_sel_hi:[1,0,1]
	s_delay_alu instid0(VALU_DEP_1) | instskip(SKIP_1) | instid1(VALU_DEP_2)
	v_dual_mov_b32 v84, v97 :: v_dual_mov_b32 v87, v85
	v_mov_b32_e32 v85, v96
	v_pk_add_f32 v[0:1], v[0:1], v[86:87]
	v_mov_b32_e32 v86, v225
	s_delay_alu instid0(VALU_DEP_1) | instskip(NEXT) | instid1(VALU_DEP_1)
	v_pk_mul_f32 v[84:85], v[84:85], v[86:87] op_sel_hi:[1,0]
	v_pk_fma_f32 v[86:87], v[96:97], v[224:225], v[84:85] neg_lo:[0,0,1] neg_hi:[0,0,1]
	v_pk_fma_f32 v[84:85], v[96:97], v[224:225], v[84:85] op_sel_hi:[1,0,1]
	s_delay_alu instid0(VALU_DEP_1) | instskip(SKIP_2) | instid1(VALU_DEP_2)
	v_mov_b32_e32 v87, v85
	s_wait_loadcnt_dscnt 0x0
	v_pk_mul_f32 v[84:85], v[98:99], v[226:227] op_sel:[1,1] op_sel_hi:[0,1]
	v_pk_add_f32 v[0:1], v[0:1], v[86:87]
	s_delay_alu instid0(VALU_DEP_2) | instskip(SKIP_1) | instid1(VALU_DEP_1)
	v_pk_fma_f32 v[86:87], v[98:99], v[226:227], v[84:85] neg_lo:[0,0,1] neg_hi:[0,0,1]
	v_pk_fma_f32 v[84:85], v[98:99], v[226:227], v[84:85] op_sel_hi:[1,0,1]
	v_dual_mov_b32 v84, v101 :: v_dual_mov_b32 v87, v85
	v_mov_b32_e32 v85, v100
	s_delay_alu instid0(VALU_DEP_2) | instskip(SKIP_1) | instid1(VALU_DEP_1)
	v_pk_add_f32 v[0:1], v[0:1], v[86:87]
	v_mov_b32_e32 v86, v229
	v_pk_mul_f32 v[84:85], v[84:85], v[86:87] op_sel_hi:[1,0]
	s_delay_alu instid0(VALU_DEP_1) | instskip(SKIP_1) | instid1(VALU_DEP_1)
	v_pk_fma_f32 v[86:87], v[100:101], v[228:229], v[84:85] neg_lo:[0,0,1] neg_hi:[0,0,1]
	v_pk_fma_f32 v[84:85], v[100:101], v[228:229], v[84:85] op_sel_hi:[1,0,1]
	v_mov_b32_e32 v87, v85
	scratch_load_b64 v[84:85], off, off
	v_pk_add_f32 v[0:1], v[0:1], v[86:87]
	s_wait_loadcnt 0x0
	s_delay_alu instid0(VALU_DEP_1)
	v_pk_add_f32 v[84:85], v[84:85], v[0:1] neg_lo:[0,1] neg_hi:[0,1]
	scratch_store_b64 off, v[84:85], off
	s_cbranch_vccz .LBB104_340
; %bb.260:
	v_mov_b32_e32 v0, 0
	global_load_b32 v1, v0, s[8:9] offset:156
	s_wait_loadcnt 0x0
	v_cmp_ne_u32_e32 vcc_lo, 40, v1
	s_cbranch_vccz .LBB104_262
; %bb.261:
	v_lshlrev_b32_e32 v1, 3, v1
	scratch_load_b64 v[84:85], v1, off offset:-8
	scratch_load_b64 v[86:87], off, off offset:312
	s_wait_loadcnt 0x1
	scratch_store_b64 off, v[84:85], off offset:312
	s_wait_loadcnt 0x0
	scratch_store_b64 v1, v[86:87], off offset:-8
.LBB104_262:
	global_load_b32 v0, v0, s[8:9] offset:152
	s_wait_loadcnt 0x0
	v_cmp_eq_u32_e32 vcc_lo, 39, v0
	s_cbranch_vccnz .LBB104_264
; %bb.263:
	s_wait_xcnt 0x0
	v_lshlrev_b32_e32 v0, 3, v0
	s_delay_alu instid0(VALU_DEP_1)
	v_mov_b32_e32 v86, v0
	scratch_load_b64 v[0:1], v86, off offset:-8
	scratch_load_b64 v[84:85], off, off offset:304
	s_wait_loadcnt 0x1
	scratch_store_b64 off, v[0:1], off offset:304
	s_wait_loadcnt 0x0
	scratch_store_b64 v86, v[84:85], off offset:-8
.LBB104_264:
	s_wait_xcnt 0x0
	v_mov_b32_e32 v0, 0
	global_load_b32 v1, v0, s[8:9] offset:148
	s_wait_loadcnt 0x0
	v_cmp_eq_u32_e32 vcc_lo, 38, v1
	s_cbranch_vccnz .LBB104_266
; %bb.265:
	v_lshlrev_b32_e32 v1, 3, v1
	scratch_load_b64 v[84:85], v1, off offset:-8
	scratch_load_b64 v[86:87], off, off offset:296
	s_wait_loadcnt 0x1
	scratch_store_b64 off, v[84:85], off offset:296
	s_wait_loadcnt 0x0
	scratch_store_b64 v1, v[86:87], off offset:-8
.LBB104_266:
	global_load_b32 v0, v0, s[8:9] offset:144
	s_wait_loadcnt 0x0
	v_cmp_eq_u32_e32 vcc_lo, 37, v0
	s_cbranch_vccnz .LBB104_268
; %bb.267:
	s_wait_xcnt 0x0
	v_lshlrev_b32_e32 v0, 3, v0
	s_delay_alu instid0(VALU_DEP_1)
	v_mov_b32_e32 v86, v0
	scratch_load_b64 v[0:1], v86, off offset:-8
	scratch_load_b64 v[84:85], off, off offset:288
	s_wait_loadcnt 0x1
	scratch_store_b64 off, v[0:1], off offset:288
	s_wait_loadcnt 0x0
	scratch_store_b64 v86, v[84:85], off offset:-8
.LBB104_268:
	s_wait_xcnt 0x0
	v_mov_b32_e32 v0, 0
	global_load_b32 v1, v0, s[8:9] offset:140
	s_wait_loadcnt 0x0
	v_cmp_eq_u32_e32 vcc_lo, 36, v1
	s_cbranch_vccnz .LBB104_270
; %bb.269:
	v_lshlrev_b32_e32 v1, 3, v1
	scratch_load_b64 v[84:85], v1, off offset:-8
	scratch_load_b64 v[86:87], off, off offset:280
	s_wait_loadcnt 0x1
	scratch_store_b64 off, v[84:85], off offset:280
	s_wait_loadcnt 0x0
	scratch_store_b64 v1, v[86:87], off offset:-8
.LBB104_270:
	;; [unrolled: 31-line block ×19, first 2 shown]
	global_load_b32 v0, v0, s[8:9]
	scratch_load_b64 v[84:85], off, off
	s_wait_loadcnt 0x1
	v_cmp_eq_u32_e32 vcc_lo, 1, v0
	s_cbranch_vccnz .LBB104_340
; %bb.339:
	s_wait_xcnt 0x1
	v_lshlrev_b32_e32 v0, 3, v0
	s_delay_alu instid0(VALU_DEP_1)
	v_mov_b32_e32 v86, v0
	scratch_load_b64 v[0:1], v86, off offset:-8
	s_wait_loadcnt 0x0
	scratch_store_b64 off, v[0:1], off
	scratch_store_b64 v86, v[84:85], off offset:-8
	scratch_load_b64 v[84:85], off, off
.LBB104_340:
	s_wait_loadcnt 0x0
	flat_store_b64 v[2:3], v[84:85]
	scratch_load_b64 v[2:3], off, off offset:8
	v_lshl_add_u64 v[122:123], v[6:7], 3, s[2:3]
	v_lshl_add_u64 v[120:121], v[8:9], 3, s[2:3]
	;; [unrolled: 1-line block ×39, first 2 shown]
	s_wait_loadcnt 0x0
	flat_store_b64 v[4:5], v[2:3]
	scratch_load_b64 v[2:3], off, off offset:16
	s_wait_loadcnt 0x0
	flat_store_b64 v[122:123], v[2:3]
	scratch_load_b64 v[2:3], off, off offset:24
	;; [unrolled: 3-line block ×39, first 2 shown]
	s_wait_loadcnt 0x0
	flat_store_b64 v[0:1], v[2:3]
	s_sendmsg sendmsg(MSG_DEALLOC_VGPRS)
	s_endpgm
	.section	.rodata,"a",@progbits
	.p2align	6, 0x0
	.amdhsa_kernel _ZN9rocsolver6v33100L18getri_kernel_smallILi41E19rocblas_complex_numIfEPKPS3_EEvT1_iilPiilS8_bb
		.amdhsa_group_segment_fixed_size 664
		.amdhsa_private_segment_fixed_size 336
		.amdhsa_kernarg_size 60
		.amdhsa_user_sgpr_count 2
		.amdhsa_user_sgpr_dispatch_ptr 0
		.amdhsa_user_sgpr_queue_ptr 0
		.amdhsa_user_sgpr_kernarg_segment_ptr 1
		.amdhsa_user_sgpr_dispatch_id 0
		.amdhsa_user_sgpr_kernarg_preload_length 0
		.amdhsa_user_sgpr_kernarg_preload_offset 0
		.amdhsa_user_sgpr_private_segment_size 0
		.amdhsa_wavefront_size32 1
		.amdhsa_uses_dynamic_stack 0
		.amdhsa_enable_private_segment 1
		.amdhsa_system_sgpr_workgroup_id_x 1
		.amdhsa_system_sgpr_workgroup_id_y 0
		.amdhsa_system_sgpr_workgroup_id_z 0
		.amdhsa_system_sgpr_workgroup_info 0
		.amdhsa_system_vgpr_workitem_id 0
		.amdhsa_next_free_vgpr 252
		.amdhsa_next_free_sgpr 19
		.amdhsa_named_barrier_count 0
		.amdhsa_reserve_vcc 1
		.amdhsa_float_round_mode_32 0
		.amdhsa_float_round_mode_16_64 0
		.amdhsa_float_denorm_mode_32 3
		.amdhsa_float_denorm_mode_16_64 3
		.amdhsa_fp16_overflow 0
		.amdhsa_memory_ordered 1
		.amdhsa_forward_progress 1
		.amdhsa_inst_pref_size 255
		.amdhsa_round_robin_scheduling 0
		.amdhsa_exception_fp_ieee_invalid_op 0
		.amdhsa_exception_fp_denorm_src 0
		.amdhsa_exception_fp_ieee_div_zero 0
		.amdhsa_exception_fp_ieee_overflow 0
		.amdhsa_exception_fp_ieee_underflow 0
		.amdhsa_exception_fp_ieee_inexact 0
		.amdhsa_exception_int_div_zero 0
	.end_amdhsa_kernel
	.section	.text._ZN9rocsolver6v33100L18getri_kernel_smallILi41E19rocblas_complex_numIfEPKPS3_EEvT1_iilPiilS8_bb,"axG",@progbits,_ZN9rocsolver6v33100L18getri_kernel_smallILi41E19rocblas_complex_numIfEPKPS3_EEvT1_iilPiilS8_bb,comdat
.Lfunc_end104:
	.size	_ZN9rocsolver6v33100L18getri_kernel_smallILi41E19rocblas_complex_numIfEPKPS3_EEvT1_iilPiilS8_bb, .Lfunc_end104-_ZN9rocsolver6v33100L18getri_kernel_smallILi41E19rocblas_complex_numIfEPKPS3_EEvT1_iilPiilS8_bb
                                        ; -- End function
	.set _ZN9rocsolver6v33100L18getri_kernel_smallILi41E19rocblas_complex_numIfEPKPS3_EEvT1_iilPiilS8_bb.num_vgpr, 252
	.set _ZN9rocsolver6v33100L18getri_kernel_smallILi41E19rocblas_complex_numIfEPKPS3_EEvT1_iilPiilS8_bb.num_agpr, 0
	.set _ZN9rocsolver6v33100L18getri_kernel_smallILi41E19rocblas_complex_numIfEPKPS3_EEvT1_iilPiilS8_bb.numbered_sgpr, 19
	.set _ZN9rocsolver6v33100L18getri_kernel_smallILi41E19rocblas_complex_numIfEPKPS3_EEvT1_iilPiilS8_bb.num_named_barrier, 0
	.set _ZN9rocsolver6v33100L18getri_kernel_smallILi41E19rocblas_complex_numIfEPKPS3_EEvT1_iilPiilS8_bb.private_seg_size, 336
	.set _ZN9rocsolver6v33100L18getri_kernel_smallILi41E19rocblas_complex_numIfEPKPS3_EEvT1_iilPiilS8_bb.uses_vcc, 1
	.set _ZN9rocsolver6v33100L18getri_kernel_smallILi41E19rocblas_complex_numIfEPKPS3_EEvT1_iilPiilS8_bb.uses_flat_scratch, 1
	.set _ZN9rocsolver6v33100L18getri_kernel_smallILi41E19rocblas_complex_numIfEPKPS3_EEvT1_iilPiilS8_bb.has_dyn_sized_stack, 0
	.set _ZN9rocsolver6v33100L18getri_kernel_smallILi41E19rocblas_complex_numIfEPKPS3_EEvT1_iilPiilS8_bb.has_recursion, 0
	.set _ZN9rocsolver6v33100L18getri_kernel_smallILi41E19rocblas_complex_numIfEPKPS3_EEvT1_iilPiilS8_bb.has_indirect_call, 0
	.section	.AMDGPU.csdata,"",@progbits
; Kernel info:
; codeLenInByte = 66776
; TotalNumSgprs: 21
; NumVgprs: 252
; ScratchSize: 336
; MemoryBound: 0
; FloatMode: 240
; IeeeMode: 1
; LDSByteSize: 664 bytes/workgroup (compile time only)
; SGPRBlocks: 0
; VGPRBlocks: 15
; NumSGPRsForWavesPerEU: 21
; NumVGPRsForWavesPerEU: 252
; NamedBarCnt: 0
; Occupancy: 4
; WaveLimiterHint : 1
; COMPUTE_PGM_RSRC2:SCRATCH_EN: 1
; COMPUTE_PGM_RSRC2:USER_SGPR: 2
; COMPUTE_PGM_RSRC2:TRAP_HANDLER: 0
; COMPUTE_PGM_RSRC2:TGID_X_EN: 1
; COMPUTE_PGM_RSRC2:TGID_Y_EN: 0
; COMPUTE_PGM_RSRC2:TGID_Z_EN: 0
; COMPUTE_PGM_RSRC2:TIDIG_COMP_CNT: 0
	.section	.text._ZN9rocsolver6v33100L18getri_kernel_smallILi42E19rocblas_complex_numIfEPKPS3_EEvT1_iilPiilS8_bb,"axG",@progbits,_ZN9rocsolver6v33100L18getri_kernel_smallILi42E19rocblas_complex_numIfEPKPS3_EEvT1_iilPiilS8_bb,comdat
	.globl	_ZN9rocsolver6v33100L18getri_kernel_smallILi42E19rocblas_complex_numIfEPKPS3_EEvT1_iilPiilS8_bb ; -- Begin function _ZN9rocsolver6v33100L18getri_kernel_smallILi42E19rocblas_complex_numIfEPKPS3_EEvT1_iilPiilS8_bb
	.p2align	8
	.type	_ZN9rocsolver6v33100L18getri_kernel_smallILi42E19rocblas_complex_numIfEPKPS3_EEvT1_iilPiilS8_bb,@function
_ZN9rocsolver6v33100L18getri_kernel_smallILi42E19rocblas_complex_numIfEPKPS3_EEvT1_iilPiilS8_bb: ; @_ZN9rocsolver6v33100L18getri_kernel_smallILi42E19rocblas_complex_numIfEPKPS3_EEvT1_iilPiilS8_bb
; %bb.0:
	s_mov_b32 s2, exec_lo
	v_cmpx_gt_u32_e32 42, v0
	s_cbranch_execz .LBB105_182
; %bb.1:
	s_clause 0x1
	s_load_b32 s13, s[0:1], 0x38
	s_load_b64 s[2:3], s[0:1], 0x0
	s_getreg_b32 s6, hwreg(HW_REG_IB_STS2, 6, 4)
	s_wait_kmcnt 0x0
	s_bitcmp1_b32 s13, 8
	s_cselect_b32 s12, -1, 0
	s_bfe_u32 s4, ttmp6, 0x4000c
	s_and_b32 s5, ttmp6, 15
	s_add_co_i32 s4, s4, 1
	s_delay_alu instid0(SALU_CYCLE_1) | instskip(NEXT) | instid1(SALU_CYCLE_1)
	s_mul_i32 s4, ttmp9, s4
	s_add_co_i32 s5, s5, s4
	s_cmp_eq_u32 s6, 0
	s_cselect_b32 s10, ttmp9, s5
	s_load_b128 s[4:7], s[0:1], 0x28
	s_ashr_i32 s11, s10, 31
	s_delay_alu instid0(SALU_CYCLE_1) | instskip(NEXT) | instid1(SALU_CYCLE_1)
	s_lshl_b64 s[8:9], s[10:11], 3
	s_add_nc_u64 s[2:3], s[2:3], s[8:9]
	s_bfe_u32 s8, s13, 0x10008
	s_load_b64 s[2:3], s[2:3], 0x0
	s_cmp_eq_u32 s8, 0
                                        ; implicit-def: $sgpr8_sgpr9
	s_cbranch_scc1 .LBB105_3
; %bb.2:
	s_load_b96 s[16:18], s[0:1], 0x18
	s_wait_kmcnt 0x0
	s_mul_u64 s[4:5], s[4:5], s[10:11]
	s_delay_alu instid0(SALU_CYCLE_1) | instskip(SKIP_4) | instid1(SALU_CYCLE_1)
	s_lshl_b64 s[4:5], s[4:5], 2
	s_ashr_i32 s9, s18, 31
	s_mov_b32 s8, s18
	s_add_nc_u64 s[4:5], s[16:17], s[4:5]
	s_lshl_b64 s[8:9], s[8:9], 2
	s_add_nc_u64 s[8:9], s[4:5], s[8:9]
.LBB105_3:
	s_wait_kmcnt 0x0
	s_clause 0x1
	s_load_b64 s[4:5], s[0:1], 0x8
	s_load_b32 s13, s[0:1], 0x38
	v_dual_mov_b32 v87, 0 :: v_dual_lshlrev_b32 v86, 3, v0
	s_wait_kmcnt 0x0
	s_ashr_i32 s1, s4, 31
	s_mov_b32 s0, s4
	s_delay_alu instid0(SALU_CYCLE_1) | instskip(NEXT) | instid1(SALU_CYCLE_1)
	s_lshl_b64 s[0:1], s[0:1], 3
	s_add_nc_u64 s[2:3], s[2:3], s[0:1]
	s_ashr_i32 s1, s5, 31
	flat_load_b64 v[6:7], v0, s[2:3] scale_offset
	v_add_nc_u64_e32 v[2:3], s[2:3], v[86:87]
	s_mov_b32 s0, s5
	s_bitcmp0_b32 s13, 0
	s_delay_alu instid0(VALU_DEP_1)
	v_lshl_add_u64 v[4:5], s[0:1], 3, v[2:3]
	s_mov_b32 s1, -1
	s_wait_loadcnt_dscnt 0x0
	scratch_store_b64 off, v[6:7], off
	flat_load_b64 v[8:9], v[4:5]
	s_wait_xcnt 0x1
	v_add3_u32 v6, s5, s5, v0
	s_wait_loadcnt_dscnt 0x0
	scratch_store_b64 off, v[8:9], off offset:8
	flat_load_b64 v[10:11], v6, s[2:3] scale_offset
	s_wait_xcnt 0x1
	v_add_nc_u32_e32 v8, s5, v6
	s_wait_loadcnt_dscnt 0x0
	scratch_store_b64 off, v[10:11], off offset:16
	flat_load_b64 v[12:13], v8, s[2:3] scale_offset
	s_wait_xcnt 0x1
	v_add_nc_u32_e32 v10, s5, v8
	;; [unrolled: 5-line block ×39, first 2 shown]
	s_wait_loadcnt_dscnt 0x0
	scratch_store_b64 off, v[88:89], off offset:320
	flat_load_b64 v[88:89], v84, s[2:3] scale_offset
	s_wait_loadcnt_dscnt 0x0
	scratch_store_b64 off, v[88:89], off offset:328
	s_cbranch_scc1 .LBB105_180
; %bb.4:
	v_cmp_eq_u32_e64 s0, 0, v0
	s_wait_xcnt 0x0
	s_and_saveexec_b32 s1, s0
; %bb.5:
	v_mov_b32_e32 v1, 0
	ds_store_b32 v1, v1 offset:672
; %bb.6:
	s_or_b32 exec_lo, exec_lo, s1
	s_wait_storecnt_dscnt 0x0
	s_barrier_signal -1
	s_barrier_wait -1
	scratch_load_b64 v[88:89], v0, off scale_offset
	s_wait_loadcnt 0x0
	v_cmp_eq_f32_e32 vcc_lo, 0, v88
	v_cmp_eq_f32_e64 s1, 0, v89
	s_and_b32 s1, vcc_lo, s1
	s_delay_alu instid0(SALU_CYCLE_1)
	s_and_saveexec_b32 s4, s1
	s_cbranch_execz .LBB105_10
; %bb.7:
	v_mov_b32_e32 v1, 0
	s_mov_b32 s5, 0
	ds_load_b32 v7, v1 offset:672
	s_wait_dscnt 0x0
	v_readfirstlane_b32 s1, v7
	v_add_nc_u32_e32 v7, 1, v0
	s_cmp_eq_u32 s1, 0
	s_delay_alu instid0(VALU_DEP_1) | instskip(SKIP_1) | instid1(SALU_CYCLE_1)
	v_cmp_gt_i32_e32 vcc_lo, s1, v7
	s_cselect_b32 s13, -1, 0
	s_or_b32 s13, s13, vcc_lo
	s_delay_alu instid0(SALU_CYCLE_1)
	s_and_b32 exec_lo, exec_lo, s13
	s_cbranch_execz .LBB105_10
; %bb.8:
	v_mov_b32_e32 v9, s1
.LBB105_9:                              ; =>This Inner Loop Header: Depth=1
	ds_cmpstore_rtn_b32 v9, v1, v7, v9 offset:672
	s_wait_dscnt 0x0
	v_cmp_ne_u32_e32 vcc_lo, 0, v9
	v_cmp_le_i32_e64 s1, v9, v7
	s_and_b32 s1, vcc_lo, s1
	s_delay_alu instid0(SALU_CYCLE_1) | instskip(NEXT) | instid1(SALU_CYCLE_1)
	s_and_b32 s1, exec_lo, s1
	s_or_b32 s5, s1, s5
	s_delay_alu instid0(SALU_CYCLE_1)
	s_and_not1_b32 exec_lo, exec_lo, s5
	s_cbranch_execnz .LBB105_9
.LBB105_10:
	s_or_b32 exec_lo, exec_lo, s4
	v_mov_b32_e32 v1, 0
	s_barrier_signal -1
	s_barrier_wait -1
	ds_load_b32 v7, v1 offset:672
	s_and_saveexec_b32 s1, s0
	s_cbranch_execz .LBB105_12
; %bb.11:
	s_lshl_b64 s[4:5], s[10:11], 2
	s_delay_alu instid0(SALU_CYCLE_1)
	s_add_nc_u64 s[4:5], s[6:7], s[4:5]
	s_wait_dscnt 0x0
	global_store_b32 v1, v7, s[4:5]
.LBB105_12:
	s_wait_xcnt 0x0
	s_or_b32 exec_lo, exec_lo, s1
	s_wait_dscnt 0x0
	v_cmp_ne_u32_e32 vcc_lo, 0, v7
	s_mov_b32 s1, 0
	s_cbranch_vccnz .LBB105_180
; %bb.13:
	v_lshl_add_u32 v7, v0, 3, 0
                                        ; implicit-def: $vgpr91
                                        ; implicit-def: $vgpr92
	scratch_load_b64 v[88:89], v7, off
	s_wait_loadcnt 0x0
	v_cmp_ngt_f32_e64 s1, |v88|, |v89|
	s_wait_xcnt 0x0
	s_and_saveexec_b32 s4, s1
	s_delay_alu instid0(SALU_CYCLE_1)
	s_xor_b32 s1, exec_lo, s4
	s_cbranch_execz .LBB105_15
; %bb.14:
	v_div_scale_f32 v1, null, v89, v89, v88
	v_div_scale_f32 v13, vcc_lo, v88, v89, v88
	s_delay_alu instid0(VALU_DEP_2) | instskip(SKIP_1) | instid1(TRANS32_DEP_1)
	v_rcp_f32_e32 v9, v1
	v_nop
	v_fma_f32 v11, -v1, v9, 1.0
	s_delay_alu instid0(VALU_DEP_1) | instskip(NEXT) | instid1(VALU_DEP_1)
	v_fmac_f32_e32 v9, v11, v9
	v_mul_f32_e32 v11, v13, v9
	s_delay_alu instid0(VALU_DEP_1) | instskip(NEXT) | instid1(VALU_DEP_1)
	v_fma_f32 v15, -v1, v11, v13
	v_fmac_f32_e32 v11, v15, v9
	s_delay_alu instid0(VALU_DEP_1) | instskip(NEXT) | instid1(VALU_DEP_1)
	v_fma_f32 v1, -v1, v11, v13
	v_div_fmas_f32 v1, v1, v9, v11
	s_delay_alu instid0(VALU_DEP_1) | instskip(NEXT) | instid1(VALU_DEP_1)
	v_div_fixup_f32 v1, v1, v89, v88
	v_fmac_f32_e32 v89, v88, v1
	s_delay_alu instid0(VALU_DEP_1) | instskip(NEXT) | instid1(VALU_DEP_1)
	v_div_scale_f32 v9, null, v89, v89, -1.0
	v_rcp_f32_e32 v11, v9
	v_nop
	s_delay_alu instid0(TRANS32_DEP_1) | instskip(NEXT) | instid1(VALU_DEP_1)
	v_fma_f32 v13, -v9, v11, 1.0
	v_fmac_f32_e32 v11, v13, v11
	v_div_scale_f32 v13, vcc_lo, -1.0, v89, -1.0
	s_delay_alu instid0(VALU_DEP_1) | instskip(NEXT) | instid1(VALU_DEP_1)
	v_mul_f32_e32 v15, v13, v11
	v_fma_f32 v17, -v9, v15, v13
	s_delay_alu instid0(VALU_DEP_1) | instskip(NEXT) | instid1(VALU_DEP_1)
	v_fmac_f32_e32 v15, v17, v11
	v_fma_f32 v9, -v9, v15, v13
	s_delay_alu instid0(VALU_DEP_1) | instskip(NEXT) | instid1(VALU_DEP_1)
	v_div_fmas_f32 v9, v9, v11, v15
	v_div_fixup_f32 v91, v9, v89, -1.0
                                        ; implicit-def: $vgpr88_vgpr89
	s_delay_alu instid0(VALU_DEP_1) | instskip(NEXT) | instid1(VALU_DEP_1)
	v_mul_f32_e32 v92, v1, v91
	v_xor_b32_e32 v90, 0x80000000, v92
.LBB105_15:
	s_and_not1_saveexec_b32 s1, s1
	s_cbranch_execz .LBB105_17
; %bb.16:
	v_div_scale_f32 v1, null, v88, v88, v89
	v_div_scale_f32 v13, vcc_lo, v89, v88, v89
	s_delay_alu instid0(VALU_DEP_2) | instskip(SKIP_1) | instid1(TRANS32_DEP_1)
	v_rcp_f32_e32 v9, v1
	v_nop
	v_fma_f32 v11, -v1, v9, 1.0
	s_delay_alu instid0(VALU_DEP_1) | instskip(NEXT) | instid1(VALU_DEP_1)
	v_fmac_f32_e32 v9, v11, v9
	v_mul_f32_e32 v11, v13, v9
	s_delay_alu instid0(VALU_DEP_1) | instskip(NEXT) | instid1(VALU_DEP_1)
	v_fma_f32 v15, -v1, v11, v13
	v_fmac_f32_e32 v11, v15, v9
	s_delay_alu instid0(VALU_DEP_1) | instskip(NEXT) | instid1(VALU_DEP_1)
	v_fma_f32 v1, -v1, v11, v13
	v_div_fmas_f32 v1, v1, v9, v11
	s_delay_alu instid0(VALU_DEP_1) | instskip(NEXT) | instid1(VALU_DEP_1)
	v_div_fixup_f32 v1, v1, v88, v89
	v_fmac_f32_e32 v88, v89, v1
	s_delay_alu instid0(VALU_DEP_1) | instskip(SKIP_1) | instid1(VALU_DEP_2)
	v_div_scale_f32 v9, null, v88, v88, 1.0
	v_div_scale_f32 v15, vcc_lo, 1.0, v88, 1.0
	v_rcp_f32_e32 v11, v9
	v_nop
	s_delay_alu instid0(TRANS32_DEP_1) | instskip(NEXT) | instid1(VALU_DEP_1)
	v_fma_f32 v13, -v9, v11, 1.0
	v_fmac_f32_e32 v11, v13, v11
	s_delay_alu instid0(VALU_DEP_1) | instskip(NEXT) | instid1(VALU_DEP_1)
	v_mul_f32_e32 v13, v15, v11
	v_fma_f32 v17, -v9, v13, v15
	s_delay_alu instid0(VALU_DEP_1) | instskip(NEXT) | instid1(VALU_DEP_1)
	v_fmac_f32_e32 v13, v17, v11
	v_fma_f32 v9, -v9, v13, v15
	s_delay_alu instid0(VALU_DEP_1) | instskip(NEXT) | instid1(VALU_DEP_1)
	v_div_fmas_f32 v9, v9, v11, v13
	v_div_fixup_f32 v90, v9, v88, 1.0
	s_delay_alu instid0(VALU_DEP_1)
	v_xor_b32_e32 v92, 0x80000000, v90
	v_mul_f32_e64 v91, v1, -v90
.LBB105_17:
	s_or_b32 exec_lo, exec_lo, s1
	scratch_store_b64 v7, v[90:91], off
	scratch_load_b64 v[88:89], off, off offset:8
	v_xor_b32_e32 v93, 0x80000000, v91
	v_add_nc_u32_e32 v1, 0x150, v86
	s_wait_loadcnt 0x0
	ds_store_2addr_b64 v86, v[92:93], v[88:89] offset1:42
	s_wait_storecnt_dscnt 0x0
	s_barrier_signal -1
	s_barrier_wait -1
	s_wait_xcnt 0x0
	s_and_saveexec_b32 s1, s0
	s_cbranch_execz .LBB105_19
; %bb.18:
	scratch_load_b64 v[88:89], v7, off
	ds_load_b64 v[90:91], v1
	s_wait_loadcnt_dscnt 0x0
	v_pk_mul_f32 v[94:95], v[90:91], v[88:89] op_sel:[1,1] op_sel_hi:[0,1]
	s_delay_alu instid0(VALU_DEP_1) | instskip(SKIP_2) | instid1(VALU_DEP_3)
	v_pk_fma_f32 v[96:97], v[90:91], v[88:89], v[94:95] op_sel_hi:[1,0,1]
	v_mov_b32_e32 v9, 0
	v_pk_fma_f32 v[88:89], v[90:91], v[88:89], v[94:95] neg_lo:[0,0,1] neg_hi:[0,0,1]
	v_mov_b32_e32 v89, v97
	ds_load_b64 v[92:93], v9 offset:8
	v_pk_add_f32 v[88:89], v[88:89], 0 op_sel_hi:[1,0]
	s_wait_dscnt 0x0
	s_delay_alu instid0(VALU_DEP_1) | instskip(NEXT) | instid1(VALU_DEP_1)
	v_pk_mul_f32 v[90:91], v[88:89], v[92:93] op_sel:[1,1] op_sel_hi:[0,1]
	v_pk_fma_f32 v[94:95], v[88:89], v[92:93], v[90:91] op_sel_hi:[1,0,1]
	v_pk_fma_f32 v[88:89], v[88:89], v[92:93], v[90:91] neg_lo:[0,0,1] neg_hi:[0,0,1]
	s_delay_alu instid0(VALU_DEP_2)
	v_mov_b32_e32 v89, v95
	scratch_store_b64 off, v[88:89], off offset:8
.LBB105_19:
	s_wait_xcnt 0x0
	s_or_b32 exec_lo, exec_lo, s1
	s_wait_storecnt 0x0
	s_barrier_signal -1
	s_barrier_wait -1
	scratch_load_b64 v[88:89], off, off offset:16
	s_mov_b32 s1, exec_lo
	s_wait_loadcnt 0x0
	ds_store_b64 v1, v[88:89]
	s_wait_dscnt 0x0
	s_barrier_signal -1
	s_barrier_wait -1
	v_cmpx_gt_u32_e32 2, v0
	s_cbranch_execz .LBB105_23
; %bb.20:
	scratch_load_b64 v[88:89], v7, off
	ds_load_b64 v[90:91], v1
	s_wait_loadcnt_dscnt 0x0
	v_pk_mul_f32 v[92:93], v[90:91], v[88:89] op_sel:[1,1] op_sel_hi:[0,1]
	s_delay_alu instid0(VALU_DEP_1) | instskip(SKIP_1) | instid1(VALU_DEP_2)
	v_pk_fma_f32 v[94:95], v[90:91], v[88:89], v[92:93] op_sel_hi:[1,0,1]
	v_pk_fma_f32 v[88:89], v[90:91], v[88:89], v[92:93] neg_lo:[0,0,1] neg_hi:[0,0,1]
	v_mov_b32_e32 v89, v95
	s_delay_alu instid0(VALU_DEP_1)
	v_pk_add_f32 v[88:89], v[88:89], 0 op_sel_hi:[1,0]
	s_and_saveexec_b32 s4, s0
	s_cbranch_execz .LBB105_22
; %bb.21:
	scratch_load_b64 v[90:91], off, off offset:8
	v_mov_b32_e32 v7, 0
	ds_load_b64 v[92:93], v7 offset:344
	s_wait_loadcnt_dscnt 0x0
	v_pk_mul_f32 v[94:95], v[92:93], v[90:91] op_sel:[1,1] op_sel_hi:[0,1]
	s_delay_alu instid0(VALU_DEP_1) | instskip(SKIP_1) | instid1(VALU_DEP_2)
	v_pk_fma_f32 v[96:97], v[92:93], v[90:91], v[94:95] op_sel_hi:[1,0,1]
	v_pk_fma_f32 v[90:91], v[92:93], v[90:91], v[94:95] neg_lo:[0,0,1] neg_hi:[0,0,1]
	v_mov_b32_e32 v91, v97
	s_delay_alu instid0(VALU_DEP_1)
	v_pk_add_f32 v[88:89], v[88:89], v[90:91]
.LBB105_22:
	s_or_b32 exec_lo, exec_lo, s4
	v_mov_b32_e32 v7, 0
	ds_load_b64 v[90:91], v7 offset:16
	s_wait_dscnt 0x0
	v_pk_mul_f32 v[92:93], v[88:89], v[90:91] op_sel:[1,1] op_sel_hi:[0,1]
	s_delay_alu instid0(VALU_DEP_1) | instskip(SKIP_1) | instid1(VALU_DEP_2)
	v_pk_fma_f32 v[94:95], v[88:89], v[90:91], v[92:93] op_sel_hi:[1,0,1]
	v_pk_fma_f32 v[88:89], v[88:89], v[90:91], v[92:93] neg_lo:[0,0,1] neg_hi:[0,0,1]
	v_mov_b32_e32 v89, v95
	scratch_store_b64 off, v[88:89], off offset:16
.LBB105_23:
	s_wait_xcnt 0x0
	s_or_b32 exec_lo, exec_lo, s1
	s_wait_storecnt 0x0
	s_barrier_signal -1
	s_barrier_wait -1
	scratch_load_b64 v[88:89], off, off offset:24
	v_add_nc_u32_e32 v7, -1, v0
	s_mov_b32 s0, exec_lo
	s_wait_loadcnt 0x0
	ds_store_b64 v1, v[88:89]
	s_wait_dscnt 0x0
	s_barrier_signal -1
	s_barrier_wait -1
	v_cmpx_gt_u32_e32 3, v0
	s_cbranch_execz .LBB105_27
; %bb.24:
	v_dual_mov_b32 v88, 0 :: v_dual_add_nc_u32 v9, -1, v0
	v_add_nc_u32_e32 v11, 0x150, v86
	v_mov_b32_e32 v13, v86
	s_mov_b32 s1, 0
	s_delay_alu instid0(VALU_DEP_3)
	v_mov_b32_e32 v89, v88
.LBB105_25:                             ; =>This Inner Loop Header: Depth=1
	scratch_load_b64 v[90:91], v13, off
	ds_load_b64 v[92:93], v11
	s_wait_xcnt 0x0
	v_dual_add_nc_u32 v11, 8, v11 :: v_dual_add_nc_u32 v13, 8, v13
	s_wait_loadcnt_dscnt 0x0
	v_pk_mul_f32 v[94:95], v[92:93], v[90:91] op_sel:[1,1] op_sel_hi:[0,1]
	s_delay_alu instid0(VALU_DEP_1) | instskip(SKIP_2) | instid1(VALU_DEP_3)
	v_pk_fma_f32 v[96:97], v[92:93], v[90:91], v[94:95] op_sel_hi:[1,0,1]
	v_add_nc_u32_e32 v9, 1, v9
	v_pk_fma_f32 v[90:91], v[92:93], v[90:91], v[94:95] neg_lo:[0,0,1] neg_hi:[0,0,1]
	v_mov_b32_e32 v91, v97
	s_delay_alu instid0(VALU_DEP_3) | instskip(NEXT) | instid1(VALU_DEP_2)
	v_cmp_lt_u32_e32 vcc_lo, 1, v9
	v_pk_add_f32 v[88:89], v[88:89], v[90:91]
	s_or_b32 s1, vcc_lo, s1
	s_delay_alu instid0(SALU_CYCLE_1)
	s_and_not1_b32 exec_lo, exec_lo, s1
	s_cbranch_execnz .LBB105_25
; %bb.26:
	s_or_b32 exec_lo, exec_lo, s1
	v_mov_b32_e32 v9, 0
	ds_load_b64 v[90:91], v9 offset:24
	s_wait_dscnt 0x0
	v_pk_mul_f32 v[92:93], v[88:89], v[90:91] op_sel:[1,1] op_sel_hi:[0,1]
	s_delay_alu instid0(VALU_DEP_1) | instskip(SKIP_1) | instid1(VALU_DEP_2)
	v_pk_fma_f32 v[94:95], v[88:89], v[90:91], v[92:93] op_sel_hi:[1,0,1]
	v_pk_fma_f32 v[88:89], v[88:89], v[90:91], v[92:93] neg_lo:[0,0,1] neg_hi:[0,0,1]
	v_mov_b32_e32 v89, v95
	scratch_store_b64 off, v[88:89], off offset:24
.LBB105_27:
	s_wait_xcnt 0x0
	s_or_b32 exec_lo, exec_lo, s0
	s_wait_storecnt 0x0
	s_barrier_signal -1
	s_barrier_wait -1
	scratch_load_b64 v[88:89], off, off offset:32
	s_mov_b32 s0, exec_lo
	s_wait_loadcnt 0x0
	ds_store_b64 v1, v[88:89]
	s_wait_dscnt 0x0
	s_barrier_signal -1
	s_barrier_wait -1
	v_cmpx_gt_u32_e32 4, v0
	s_cbranch_execz .LBB105_31
; %bb.28:
	v_dual_mov_b32 v88, 0 :: v_dual_add_nc_u32 v9, -1, v0
	v_add_nc_u32_e32 v11, 0x150, v86
	v_mov_b32_e32 v13, v86
	s_mov_b32 s1, 0
	s_delay_alu instid0(VALU_DEP_3)
	v_mov_b32_e32 v89, v88
.LBB105_29:                             ; =>This Inner Loop Header: Depth=1
	scratch_load_b64 v[90:91], v13, off
	ds_load_b64 v[92:93], v11
	s_wait_xcnt 0x0
	v_dual_add_nc_u32 v11, 8, v11 :: v_dual_add_nc_u32 v13, 8, v13
	s_wait_loadcnt_dscnt 0x0
	v_pk_mul_f32 v[94:95], v[92:93], v[90:91] op_sel:[1,1] op_sel_hi:[0,1]
	s_delay_alu instid0(VALU_DEP_1) | instskip(SKIP_2) | instid1(VALU_DEP_3)
	v_pk_fma_f32 v[96:97], v[92:93], v[90:91], v[94:95] op_sel_hi:[1,0,1]
	v_add_nc_u32_e32 v9, 1, v9
	v_pk_fma_f32 v[90:91], v[92:93], v[90:91], v[94:95] neg_lo:[0,0,1] neg_hi:[0,0,1]
	v_mov_b32_e32 v91, v97
	s_delay_alu instid0(VALU_DEP_3) | instskip(NEXT) | instid1(VALU_DEP_2)
	v_cmp_lt_u32_e32 vcc_lo, 2, v9
	v_pk_add_f32 v[88:89], v[88:89], v[90:91]
	s_or_b32 s1, vcc_lo, s1
	s_delay_alu instid0(SALU_CYCLE_1)
	s_and_not1_b32 exec_lo, exec_lo, s1
	s_cbranch_execnz .LBB105_29
; %bb.30:
	s_or_b32 exec_lo, exec_lo, s1
	v_mov_b32_e32 v9, 0
	ds_load_b64 v[90:91], v9 offset:32
	s_wait_dscnt 0x0
	v_pk_mul_f32 v[92:93], v[88:89], v[90:91] op_sel:[1,1] op_sel_hi:[0,1]
	s_delay_alu instid0(VALU_DEP_1) | instskip(SKIP_1) | instid1(VALU_DEP_2)
	v_pk_fma_f32 v[94:95], v[88:89], v[90:91], v[92:93] op_sel_hi:[1,0,1]
	v_pk_fma_f32 v[88:89], v[88:89], v[90:91], v[92:93] neg_lo:[0,0,1] neg_hi:[0,0,1]
	v_mov_b32_e32 v89, v95
	scratch_store_b64 off, v[88:89], off offset:32
.LBB105_31:
	s_wait_xcnt 0x0
	s_or_b32 exec_lo, exec_lo, s0
	s_wait_storecnt 0x0
	s_barrier_signal -1
	s_barrier_wait -1
	scratch_load_b64 v[88:89], off, off offset:40
	;; [unrolled: 52-line block ×19, first 2 shown]
	s_mov_b32 s0, exec_lo
	s_wait_loadcnt 0x0
	ds_store_b64 v1, v[88:89]
	s_wait_dscnt 0x0
	s_barrier_signal -1
	s_barrier_wait -1
	v_cmpx_gt_u32_e32 22, v0
	s_cbranch_execz .LBB105_103
; %bb.100:
	v_dual_mov_b32 v88, 0 :: v_dual_add_nc_u32 v9, -1, v0
	v_add_nc_u32_e32 v11, 0x150, v86
	v_mov_b32_e32 v13, v86
	s_mov_b32 s1, 0
	s_delay_alu instid0(VALU_DEP_3)
	v_mov_b32_e32 v89, v88
.LBB105_101:                            ; =>This Inner Loop Header: Depth=1
	scratch_load_b64 v[90:91], v13, off
	ds_load_b64 v[92:93], v11
	s_wait_xcnt 0x0
	v_dual_add_nc_u32 v11, 8, v11 :: v_dual_add_nc_u32 v13, 8, v13
	s_wait_loadcnt_dscnt 0x0
	v_pk_mul_f32 v[94:95], v[92:93], v[90:91] op_sel:[1,1] op_sel_hi:[0,1]
	s_delay_alu instid0(VALU_DEP_1) | instskip(SKIP_2) | instid1(VALU_DEP_3)
	v_pk_fma_f32 v[96:97], v[92:93], v[90:91], v[94:95] op_sel_hi:[1,0,1]
	v_add_nc_u32_e32 v9, 1, v9
	v_pk_fma_f32 v[90:91], v[92:93], v[90:91], v[94:95] neg_lo:[0,0,1] neg_hi:[0,0,1]
	v_mov_b32_e32 v91, v97
	s_delay_alu instid0(VALU_DEP_3) | instskip(NEXT) | instid1(VALU_DEP_2)
	v_cmp_lt_u32_e32 vcc_lo, 20, v9
	v_pk_add_f32 v[88:89], v[88:89], v[90:91]
	s_or_b32 s1, vcc_lo, s1
	s_delay_alu instid0(SALU_CYCLE_1)
	s_and_not1_b32 exec_lo, exec_lo, s1
	s_cbranch_execnz .LBB105_101
; %bb.102:
	s_or_b32 exec_lo, exec_lo, s1
	v_mov_b32_e32 v9, 0
	ds_load_b64 v[90:91], v9 offset:176
	s_wait_dscnt 0x0
	v_pk_mul_f32 v[92:93], v[88:89], v[90:91] op_sel:[1,1] op_sel_hi:[0,1]
	s_delay_alu instid0(VALU_DEP_1) | instskip(SKIP_1) | instid1(VALU_DEP_2)
	v_pk_fma_f32 v[94:95], v[88:89], v[90:91], v[92:93] op_sel_hi:[1,0,1]
	v_pk_fma_f32 v[88:89], v[88:89], v[90:91], v[92:93] neg_lo:[0,0,1] neg_hi:[0,0,1]
	v_mov_b32_e32 v89, v95
	scratch_store_b64 off, v[88:89], off offset:176
.LBB105_103:
	s_wait_xcnt 0x0
	s_or_b32 exec_lo, exec_lo, s0
	s_wait_storecnt 0x0
	s_barrier_signal -1
	s_barrier_wait -1
	scratch_load_b64 v[88:89], off, off offset:184
	s_mov_b32 s0, exec_lo
	s_wait_loadcnt 0x0
	ds_store_b64 v1, v[88:89]
	s_wait_dscnt 0x0
	s_barrier_signal -1
	s_barrier_wait -1
	v_cmpx_gt_u32_e32 23, v0
	s_cbranch_execz .LBB105_107
; %bb.104:
	v_dual_mov_b32 v88, 0 :: v_dual_add_nc_u32 v9, -1, v0
	v_add_nc_u32_e32 v11, 0x150, v86
	v_mov_b32_e32 v13, v86
	s_mov_b32 s1, 0
	s_delay_alu instid0(VALU_DEP_3)
	v_mov_b32_e32 v89, v88
.LBB105_105:                            ; =>This Inner Loop Header: Depth=1
	scratch_load_b64 v[90:91], v13, off
	ds_load_b64 v[92:93], v11
	s_wait_xcnt 0x0
	v_dual_add_nc_u32 v11, 8, v11 :: v_dual_add_nc_u32 v13, 8, v13
	s_wait_loadcnt_dscnt 0x0
	v_pk_mul_f32 v[94:95], v[92:93], v[90:91] op_sel:[1,1] op_sel_hi:[0,1]
	s_delay_alu instid0(VALU_DEP_1) | instskip(SKIP_2) | instid1(VALU_DEP_3)
	v_pk_fma_f32 v[96:97], v[92:93], v[90:91], v[94:95] op_sel_hi:[1,0,1]
	v_add_nc_u32_e32 v9, 1, v9
	v_pk_fma_f32 v[90:91], v[92:93], v[90:91], v[94:95] neg_lo:[0,0,1] neg_hi:[0,0,1]
	v_mov_b32_e32 v91, v97
	s_delay_alu instid0(VALU_DEP_3) | instskip(NEXT) | instid1(VALU_DEP_2)
	v_cmp_lt_u32_e32 vcc_lo, 21, v9
	v_pk_add_f32 v[88:89], v[88:89], v[90:91]
	s_or_b32 s1, vcc_lo, s1
	s_delay_alu instid0(SALU_CYCLE_1)
	s_and_not1_b32 exec_lo, exec_lo, s1
	s_cbranch_execnz .LBB105_105
; %bb.106:
	s_or_b32 exec_lo, exec_lo, s1
	v_mov_b32_e32 v9, 0
	ds_load_b64 v[90:91], v9 offset:184
	s_wait_dscnt 0x0
	v_pk_mul_f32 v[92:93], v[88:89], v[90:91] op_sel:[1,1] op_sel_hi:[0,1]
	s_delay_alu instid0(VALU_DEP_1) | instskip(SKIP_1) | instid1(VALU_DEP_2)
	v_pk_fma_f32 v[94:95], v[88:89], v[90:91], v[92:93] op_sel_hi:[1,0,1]
	v_pk_fma_f32 v[88:89], v[88:89], v[90:91], v[92:93] neg_lo:[0,0,1] neg_hi:[0,0,1]
	v_mov_b32_e32 v89, v95
	scratch_store_b64 off, v[88:89], off offset:184
.LBB105_107:
	s_wait_xcnt 0x0
	s_or_b32 exec_lo, exec_lo, s0
	s_wait_storecnt 0x0
	s_barrier_signal -1
	s_barrier_wait -1
	scratch_load_b64 v[88:89], off, off offset:192
	;; [unrolled: 52-line block ×19, first 2 shown]
	s_mov_b32 s0, exec_lo
	s_wait_loadcnt 0x0
	ds_store_b64 v1, v[88:89]
	s_wait_dscnt 0x0
	s_barrier_signal -1
	s_barrier_wait -1
	v_cmpx_ne_u32_e32 41, v0
	s_cbranch_execz .LBB105_179
; %bb.176:
	v_dual_mov_b32 v88, 0 :: v_dual_mov_b32 v9, v86
	s_mov_b32 s1, 0
	s_delay_alu instid0(VALU_DEP_1)
	v_mov_b32_e32 v89, v88
.LBB105_177:                            ; =>This Inner Loop Header: Depth=1
	scratch_load_b64 v[86:87], v9, off
	ds_load_b64 v[90:91], v1
	v_add_nc_u32_e32 v1, 8, v1
	s_wait_xcnt 0x0
	v_add_nc_u32_e32 v9, 8, v9
	s_wait_loadcnt_dscnt 0x0
	v_pk_mul_f32 v[92:93], v[90:91], v[86:87] op_sel:[1,1] op_sel_hi:[0,1]
	s_delay_alu instid0(VALU_DEP_1) | instskip(SKIP_2) | instid1(VALU_DEP_3)
	v_pk_fma_f32 v[94:95], v[90:91], v[86:87], v[92:93] op_sel_hi:[1,0,1]
	v_add_nc_u32_e32 v7, 1, v7
	v_pk_fma_f32 v[86:87], v[90:91], v[86:87], v[92:93] neg_lo:[0,0,1] neg_hi:[0,0,1]
	v_mov_b32_e32 v87, v95
	s_delay_alu instid0(VALU_DEP_3) | instskip(NEXT) | instid1(VALU_DEP_2)
	v_cmp_lt_u32_e32 vcc_lo, 39, v7
	v_pk_add_f32 v[88:89], v[88:89], v[86:87]
	s_or_b32 s1, vcc_lo, s1
	s_delay_alu instid0(SALU_CYCLE_1)
	s_and_not1_b32 exec_lo, exec_lo, s1
	s_cbranch_execnz .LBB105_177
; %bb.178:
	s_or_b32 exec_lo, exec_lo, s1
	v_mov_b32_e32 v1, 0
	ds_load_b64 v[86:87], v1 offset:328
	s_wait_dscnt 0x0
	v_pk_mul_f32 v[90:91], v[88:89], v[86:87] op_sel:[1,1] op_sel_hi:[0,1]
	s_delay_alu instid0(VALU_DEP_1) | instskip(SKIP_1) | instid1(VALU_DEP_2)
	v_pk_fma_f32 v[92:93], v[88:89], v[86:87], v[90:91] op_sel_hi:[1,0,1]
	v_pk_fma_f32 v[86:87], v[88:89], v[86:87], v[90:91] neg_lo:[0,0,1] neg_hi:[0,0,1]
	v_mov_b32_e32 v87, v93
	scratch_store_b64 off, v[86:87], off offset:328
.LBB105_179:
	s_wait_xcnt 0x0
	s_or_b32 exec_lo, exec_lo, s0
	s_mov_b32 s1, -1
	s_wait_storecnt 0x0
	s_barrier_signal -1
	s_barrier_wait -1
.LBB105_180:
	s_and_b32 vcc_lo, exec_lo, s1
	s_cbranch_vccz .LBB105_182
; %bb.181:
	v_mov_b32_e32 v1, 0
	s_lshl_b64 s[0:1], s[10:11], 2
	s_delay_alu instid0(SALU_CYCLE_1)
	s_add_nc_u64 s[0:1], s[6:7], s[0:1]
	global_load_b32 v1, v1, s[0:1]
	s_wait_loadcnt 0x0
	v_cmp_ne_u32_e32 vcc_lo, 0, v1
	s_cbranch_vccz .LBB105_183
.LBB105_182:
	s_sendmsg sendmsg(MSG_DEALLOC_VGPRS)
	s_endpgm
.LBB105_183:
	s_wait_xcnt 0x0
	v_lshl_add_u32 v1, v0, 3, 0x150
	s_mov_b32 s0, exec_lo
	v_cmpx_eq_u32_e32 41, v0
	s_cbranch_execz .LBB105_185
; %bb.184:
	scratch_load_b64 v[86:87], off, off offset:320
	v_mov_b64_e32 v[88:89], 0
	scratch_store_b64 off, v[88:89], off offset:320
	s_wait_loadcnt 0x0
	ds_store_b64 v1, v[86:87]
.LBB105_185:
	s_wait_xcnt 0x0
	s_or_b32 exec_lo, exec_lo, s0
	s_wait_storecnt_dscnt 0x0
	s_barrier_signal -1
	s_barrier_wait -1
	s_clause 0x1
	scratch_load_b64 v[86:87], off, off offset:328
	scratch_load_b64 v[88:89], off, off offset:320
	v_mov_b32_e32 v7, 0
	s_mov_b32 s0, exec_lo
	ds_load_b64 v[90:91], v7 offset:664
	s_wait_loadcnt_dscnt 0x100
	v_pk_mul_f32 v[92:93], v[90:91], v[86:87] op_sel:[1,1] op_sel_hi:[0,1]
	s_delay_alu instid0(VALU_DEP_1) | instskip(SKIP_1) | instid1(VALU_DEP_2)
	v_pk_fma_f32 v[94:95], v[90:91], v[86:87], v[92:93] op_sel_hi:[1,0,1]
	v_pk_fma_f32 v[86:87], v[90:91], v[86:87], v[92:93] neg_lo:[0,0,1] neg_hi:[0,0,1]
	v_mov_b32_e32 v87, v95
	s_delay_alu instid0(VALU_DEP_1) | instskip(SKIP_1) | instid1(VALU_DEP_1)
	v_pk_add_f32 v[86:87], v[86:87], 0 op_sel_hi:[1,0]
	s_wait_loadcnt 0x0
	v_pk_add_f32 v[86:87], v[88:89], v[86:87] neg_lo:[0,1] neg_hi:[0,1]
	scratch_store_b64 off, v[86:87], off offset:320
	s_wait_xcnt 0x0
	v_cmpx_lt_u32_e32 39, v0
	s_cbranch_execz .LBB105_187
; %bb.186:
	scratch_load_b64 v[86:87], off, off offset:312
	v_mov_b64_e32 v[88:89], 0
	scratch_store_b64 off, v[88:89], off offset:312
	s_wait_loadcnt 0x0
	ds_store_b64 v1, v[86:87]
.LBB105_187:
	s_wait_xcnt 0x0
	s_or_b32 exec_lo, exec_lo, s0
	s_wait_storecnt_dscnt 0x0
	s_barrier_signal -1
	s_barrier_wait -1
	s_clause 0x1
	scratch_load_b128 v[86:89], off, off offset:320
	scratch_load_b64 v[94:95], off, off offset:312
	ds_load_b128 v[90:93], v7 offset:656
	s_mov_b32 s0, exec_lo
	s_wait_dscnt 0x0
	v_dual_mov_b32 v96, v93 :: v_dual_mov_b32 v97, v92
	s_wait_loadcnt 0x1
	v_pk_mul_f32 v[98:99], v[90:91], v[86:87] op_sel:[1,1] op_sel_hi:[0,1]
	s_delay_alu instid0(VALU_DEP_1) | instskip(SKIP_2) | instid1(VALU_DEP_3)
	v_pk_fma_f32 v[102:103], v[90:91], v[86:87], v[98:99] op_sel_hi:[1,0,1]
	v_mov_b32_e32 v100, v89
	v_pk_fma_f32 v[86:87], v[90:91], v[86:87], v[98:99] neg_lo:[0,0,1] neg_hi:[0,0,1]
	v_mov_b32_e32 v87, v103
	s_delay_alu instid0(VALU_DEP_3) | instskip(NEXT) | instid1(VALU_DEP_2)
	v_pk_mul_f32 v[96:97], v[96:97], v[100:101] op_sel_hi:[1,0]
	v_pk_add_f32 v[86:87], v[86:87], 0 op_sel_hi:[1,0]
	s_delay_alu instid0(VALU_DEP_2) | instskip(SKIP_1) | instid1(VALU_DEP_2)
	v_pk_fma_f32 v[90:91], v[92:93], v[88:89], v[96:97] op_sel_hi:[1,0,1]
	v_pk_fma_f32 v[88:89], v[92:93], v[88:89], v[96:97] neg_lo:[0,0,1] neg_hi:[0,0,1]
	v_mov_b32_e32 v89, v91
	s_delay_alu instid0(VALU_DEP_1) | instskip(SKIP_1) | instid1(VALU_DEP_1)
	v_pk_add_f32 v[86:87], v[86:87], v[88:89]
	s_wait_loadcnt 0x0
	v_pk_add_f32 v[86:87], v[94:95], v[86:87] neg_lo:[0,1] neg_hi:[0,1]
	scratch_store_b64 off, v[86:87], off offset:312
	s_wait_xcnt 0x0
	v_cmpx_lt_u32_e32 38, v0
	s_cbranch_execz .LBB105_189
; %bb.188:
	scratch_load_b64 v[86:87], off, off offset:304
	v_mov_b64_e32 v[88:89], 0
	scratch_store_b64 off, v[88:89], off offset:304
	s_wait_loadcnt 0x0
	ds_store_b64 v1, v[86:87]
.LBB105_189:
	s_wait_xcnt 0x0
	s_or_b32 exec_lo, exec_lo, s0
	s_wait_storecnt_dscnt 0x0
	s_barrier_signal -1
	s_barrier_wait -1
	s_clause 0x2
	scratch_load_b128 v[86:89], off, off offset:312
	scratch_load_b64 v[94:95], off, off offset:328
	scratch_load_b64 v[96:97], off, off offset:304
	v_mov_b32_e32 v7, 0
	ds_load_2addr_b64 v[90:93], v7 offset0:81 offset1:82
	ds_load_b64 v[98:99], v7 offset:664
	s_mov_b32 s0, exec_lo
	s_wait_dscnt 0x1
	v_dual_mov_b32 v100, v93 :: v_dual_mov_b32 v101, v92
	s_wait_loadcnt 0x2
	v_mov_b32_e32 v104, v89
	v_pk_mul_f32 v[102:103], v[90:91], v[86:87] op_sel:[1,1] op_sel_hi:[0,1]
	s_delay_alu instid0(VALU_DEP_2) | instskip(NEXT) | instid1(VALU_DEP_2)
	v_pk_mul_f32 v[100:101], v[100:101], v[104:105] op_sel_hi:[1,0]
	v_pk_fma_f32 v[106:107], v[90:91], v[86:87], v[102:103] op_sel_hi:[1,0,1]
	v_pk_fma_f32 v[86:87], v[90:91], v[86:87], v[102:103] neg_lo:[0,0,1] neg_hi:[0,0,1]
	s_wait_loadcnt_dscnt 0x100
	v_pk_mul_f32 v[102:103], v[98:99], v[94:95] op_sel:[1,1] op_sel_hi:[0,1]
	v_pk_fma_f32 v[90:91], v[92:93], v[88:89], v[100:101] op_sel_hi:[1,0,1]
	v_mov_b32_e32 v87, v107
	v_pk_fma_f32 v[88:89], v[92:93], v[88:89], v[100:101] neg_lo:[0,0,1] neg_hi:[0,0,1]
	s_delay_alu instid0(VALU_DEP_4) | instskip(NEXT) | instid1(VALU_DEP_4)
	v_pk_fma_f32 v[92:93], v[98:99], v[94:95], v[102:103] neg_lo:[0,0,1] neg_hi:[0,0,1]
	v_mov_b32_e32 v89, v91
	s_delay_alu instid0(VALU_DEP_4) | instskip(SKIP_1) | instid1(VALU_DEP_2)
	v_pk_add_f32 v[86:87], v[86:87], 0 op_sel_hi:[1,0]
	v_pk_fma_f32 v[90:91], v[98:99], v[94:95], v[102:103] op_sel_hi:[1,0,1]
	v_pk_add_f32 v[86:87], v[86:87], v[88:89]
	s_delay_alu instid0(VALU_DEP_2) | instskip(NEXT) | instid1(VALU_DEP_1)
	v_mov_b32_e32 v93, v91
	v_pk_add_f32 v[86:87], v[86:87], v[92:93]
	s_wait_loadcnt 0x0
	s_delay_alu instid0(VALU_DEP_1)
	v_pk_add_f32 v[86:87], v[96:97], v[86:87] neg_lo:[0,1] neg_hi:[0,1]
	scratch_store_b64 off, v[86:87], off offset:304
	s_wait_xcnt 0x0
	v_cmpx_lt_u32_e32 37, v0
	s_cbranch_execz .LBB105_191
; %bb.190:
	scratch_load_b64 v[86:87], off, off offset:296
	v_mov_b64_e32 v[88:89], 0
	scratch_store_b64 off, v[88:89], off offset:296
	s_wait_loadcnt 0x0
	ds_store_b64 v1, v[86:87]
.LBB105_191:
	s_wait_xcnt 0x0
	s_or_b32 exec_lo, exec_lo, s0
	s_wait_storecnt_dscnt 0x0
	s_barrier_signal -1
	s_barrier_wait -1
	s_clause 0x2
	scratch_load_b128 v[86:89], off, off offset:304
	scratch_load_b128 v[90:93], off, off offset:320
	scratch_load_b64 v[102:103], off, off offset:296
	ds_load_b128 v[94:97], v7 offset:640
	ds_load_b128 v[98:101], v7 offset:656
	s_mov_b32 s0, exec_lo
	s_wait_dscnt 0x1
	v_dual_mov_b32 v104, v97 :: v_dual_mov_b32 v105, v96
	s_wait_loadcnt_dscnt 0x200
	v_dual_mov_b32 v110, v101 :: v_dual_mov_b32 v108, v89
	v_pk_mul_f32 v[106:107], v[94:95], v[86:87] op_sel:[1,1] op_sel_hi:[0,1]
	s_delay_alu instid0(VALU_DEP_2) | instskip(NEXT) | instid1(VALU_DEP_2)
	v_pk_mul_f32 v[104:105], v[104:105], v[108:109] op_sel_hi:[1,0]
	v_pk_fma_f32 v[112:113], v[94:95], v[86:87], v[106:107] op_sel_hi:[1,0,1]
	v_pk_fma_f32 v[86:87], v[94:95], v[86:87], v[106:107] neg_lo:[0,0,1] neg_hi:[0,0,1]
	v_mov_b32_e32 v111, v100
	s_wait_loadcnt 0x1
	v_pk_mul_f32 v[108:109], v[98:99], v[90:91] op_sel:[1,1] op_sel_hi:[0,1]
	v_pk_fma_f32 v[94:95], v[96:97], v[88:89], v[104:105] op_sel_hi:[1,0,1]
	v_dual_mov_b32 v87, v113 :: v_dual_mov_b32 v94, v93
	v_pk_fma_f32 v[88:89], v[96:97], v[88:89], v[104:105] neg_lo:[0,0,1] neg_hi:[0,0,1]
	s_delay_alu instid0(VALU_DEP_4) | instskip(NEXT) | instid1(VALU_DEP_4)
	v_pk_fma_f32 v[106:107], v[98:99], v[90:91], v[108:109] op_sel_hi:[1,0,1]
	v_mov_b32_e32 v89, v95
	s_delay_alu instid0(VALU_DEP_4) | instskip(SKIP_2) | instid1(VALU_DEP_3)
	v_pk_add_f32 v[86:87], v[86:87], 0 op_sel_hi:[1,0]
	v_pk_mul_f32 v[94:95], v[110:111], v[94:95] op_sel_hi:[1,0]
	v_pk_fma_f32 v[90:91], v[98:99], v[90:91], v[108:109] neg_lo:[0,0,1] neg_hi:[0,0,1]
	v_pk_add_f32 v[86:87], v[86:87], v[88:89]
	s_delay_alu instid0(VALU_DEP_3) | instskip(SKIP_2) | instid1(VALU_DEP_3)
	v_pk_fma_f32 v[88:89], v[100:101], v[92:93], v[94:95] op_sel_hi:[1,0,1]
	v_mov_b32_e32 v91, v107
	v_pk_fma_f32 v[92:93], v[100:101], v[92:93], v[94:95] neg_lo:[0,0,1] neg_hi:[0,0,1]
	v_mov_b32_e32 v93, v89
	s_delay_alu instid0(VALU_DEP_3) | instskip(NEXT) | instid1(VALU_DEP_1)
	v_pk_add_f32 v[86:87], v[86:87], v[90:91]
	v_pk_add_f32 v[86:87], v[86:87], v[92:93]
	s_wait_loadcnt 0x0
	s_delay_alu instid0(VALU_DEP_1)
	v_pk_add_f32 v[86:87], v[102:103], v[86:87] neg_lo:[0,1] neg_hi:[0,1]
	scratch_store_b64 off, v[86:87], off offset:296
	s_wait_xcnt 0x0
	v_cmpx_lt_u32_e32 36, v0
	s_cbranch_execz .LBB105_193
; %bb.192:
	scratch_load_b64 v[86:87], off, off offset:288
	v_mov_b64_e32 v[88:89], 0
	scratch_store_b64 off, v[88:89], off offset:288
	s_wait_loadcnt 0x0
	ds_store_b64 v1, v[86:87]
.LBB105_193:
	s_wait_xcnt 0x0
	s_or_b32 exec_lo, exec_lo, s0
	s_wait_storecnt_dscnt 0x0
	s_barrier_signal -1
	s_barrier_wait -1
	s_clause 0x3
	scratch_load_b128 v[86:89], off, off offset:296
	scratch_load_b128 v[90:93], off, off offset:312
	scratch_load_b64 v[102:103], off, off offset:328
	scratch_load_b64 v[104:105], off, off offset:288
	v_mov_b32_e32 v7, 0
	ds_load_2addr_b64 v[94:97], v7 offset0:79 offset1:80
	ds_load_2addr_b64 v[98:101], v7 offset0:81 offset1:82
	s_mov_b32 s0, exec_lo
	s_wait_dscnt 0x1
	v_dual_mov_b32 v106, v97 :: v_dual_mov_b32 v107, v96
	ds_load_b64 v[112:113], v7 offset:664
	s_wait_dscnt 0x1
	v_dual_mov_b32 v114, v101 :: v_dual_mov_b32 v115, v100
	s_wait_loadcnt 0x3
	v_pk_mul_f32 v[108:109], v[94:95], v[86:87] op_sel:[1,1] op_sel_hi:[0,1]
	v_mov_b32_e32 v110, v89
	s_delay_alu instid0(VALU_DEP_2) | instskip(NEXT) | instid1(VALU_DEP_2)
	v_pk_fma_f32 v[116:117], v[94:95], v[86:87], v[108:109] op_sel_hi:[1,0,1]
	v_pk_mul_f32 v[106:107], v[106:107], v[110:111] op_sel_hi:[1,0]
	v_pk_fma_f32 v[86:87], v[94:95], v[86:87], v[108:109] neg_lo:[0,0,1] neg_hi:[0,0,1]
	s_wait_loadcnt 0x2
	v_pk_mul_f32 v[110:111], v[98:99], v[90:91] op_sel:[1,1] op_sel_hi:[0,1]
	v_dual_mov_b32 v116, v93 :: v_dual_mov_b32 v87, v117
	v_pk_fma_f32 v[94:95], v[96:97], v[88:89], v[106:107] op_sel_hi:[1,0,1]
	v_pk_fma_f32 v[88:89], v[96:97], v[88:89], v[106:107] neg_lo:[0,0,1] neg_hi:[0,0,1]
	s_delay_alu instid0(VALU_DEP_4) | instskip(NEXT) | instid1(VALU_DEP_4)
	v_pk_fma_f32 v[108:109], v[98:99], v[90:91], v[110:111] op_sel_hi:[1,0,1]
	v_pk_mul_f32 v[114:115], v[114:115], v[116:117] op_sel_hi:[1,0]
	v_pk_add_f32 v[86:87], v[86:87], 0 op_sel_hi:[1,0]
	v_mov_b32_e32 v89, v95
	v_pk_fma_f32 v[90:91], v[98:99], v[90:91], v[110:111] neg_lo:[0,0,1] neg_hi:[0,0,1]
	v_mov_b32_e32 v91, v109
	v_pk_fma_f32 v[94:95], v[100:101], v[92:93], v[114:115] op_sel_hi:[1,0,1]
	v_pk_fma_f32 v[92:93], v[100:101], v[92:93], v[114:115] neg_lo:[0,0,1] neg_hi:[0,0,1]
	v_pk_add_f32 v[86:87], v[86:87], v[88:89]
	s_wait_loadcnt_dscnt 0x100
	v_pk_mul_f32 v[88:89], v[112:113], v[102:103] op_sel:[1,1] op_sel_hi:[0,1]
	s_delay_alu instid0(VALU_DEP_2) | instskip(NEXT) | instid1(VALU_DEP_2)
	v_pk_add_f32 v[86:87], v[86:87], v[90:91]
	v_pk_fma_f32 v[90:91], v[112:113], v[102:103], v[88:89] op_sel_hi:[1,0,1]
	v_mov_b32_e32 v93, v95
	v_pk_fma_f32 v[88:89], v[112:113], v[102:103], v[88:89] neg_lo:[0,0,1] neg_hi:[0,0,1]
	s_delay_alu instid0(VALU_DEP_3) | instskip(NEXT) | instid1(VALU_DEP_3)
	v_mov_b32_e32 v89, v91
	v_pk_add_f32 v[86:87], v[86:87], v[92:93]
	s_delay_alu instid0(VALU_DEP_1) | instskip(SKIP_1) | instid1(VALU_DEP_1)
	v_pk_add_f32 v[86:87], v[86:87], v[88:89]
	s_wait_loadcnt 0x0
	v_pk_add_f32 v[86:87], v[104:105], v[86:87] neg_lo:[0,1] neg_hi:[0,1]
	scratch_store_b64 off, v[86:87], off offset:288
	s_wait_xcnt 0x0
	v_cmpx_lt_u32_e32 35, v0
	s_cbranch_execz .LBB105_195
; %bb.194:
	scratch_load_b64 v[86:87], off, off offset:280
	v_mov_b64_e32 v[88:89], 0
	scratch_store_b64 off, v[88:89], off offset:280
	s_wait_loadcnt 0x0
	ds_store_b64 v1, v[86:87]
.LBB105_195:
	s_wait_xcnt 0x0
	s_or_b32 exec_lo, exec_lo, s0
	s_wait_storecnt_dscnt 0x0
	s_barrier_signal -1
	s_barrier_wait -1
	s_clause 0x3
	scratch_load_b128 v[86:89], off, off offset:288
	scratch_load_b128 v[90:93], off, off offset:304
	;; [unrolled: 1-line block ×3, first 2 shown]
	scratch_load_b64 v[110:111], off, off offset:280
	ds_load_b128 v[98:101], v7 offset:624
	ds_load_b128 v[102:105], v7 offset:640
	;; [unrolled: 1-line block ×3, first 2 shown]
	s_mov_b32 s0, exec_lo
	s_wait_dscnt 0x2
	v_dual_mov_b32 v112, v101 :: v_dual_mov_b32 v113, v100
	s_wait_dscnt 0x1
	v_dual_mov_b32 v114, v105 :: v_dual_mov_b32 v115, v104
	;; [unrolled: 2-line block ×3, first 2 shown]
	s_wait_loadcnt 0x3
	v_pk_mul_f32 v[116:117], v[98:99], v[86:87] op_sel:[1,1] op_sel_hi:[0,1]
	v_mov_b32_e32 v118, v89
	s_delay_alu instid0(VALU_DEP_2) | instskip(NEXT) | instid1(VALU_DEP_2)
	v_pk_fma_f32 v[122:123], v[98:99], v[86:87], v[116:117] op_sel_hi:[1,0,1]
	v_pk_mul_f32 v[112:113], v[112:113], v[118:119] op_sel_hi:[1,0]
	v_pk_fma_f32 v[86:87], v[98:99], v[86:87], v[116:117] neg_lo:[0,0,1] neg_hi:[0,0,1]
	s_wait_loadcnt 0x2
	v_pk_mul_f32 v[118:119], v[102:103], v[90:91] op_sel:[1,1] op_sel_hi:[0,1]
	v_mov_b32_e32 v122, v93
	v_pk_fma_f32 v[98:99], v[100:101], v[88:89], v[112:113] op_sel_hi:[1,0,1]
	v_mov_b32_e32 v87, v123
	v_pk_fma_f32 v[88:89], v[100:101], v[88:89], v[112:113] neg_lo:[0,0,1] neg_hi:[0,0,1]
	v_pk_fma_f32 v[116:117], v[102:103], v[90:91], v[118:119] op_sel_hi:[1,0,1]
	v_pk_mul_f32 v[114:115], v[114:115], v[122:123] op_sel_hi:[1,0]
	v_mov_b32_e32 v89, v99
	v_pk_add_f32 v[86:87], v[86:87], 0 op_sel_hi:[1,0]
	v_pk_fma_f32 v[90:91], v[102:103], v[90:91], v[118:119] neg_lo:[0,0,1] neg_hi:[0,0,1]
	s_wait_loadcnt 0x1
	v_pk_mul_f32 v[98:99], v[106:107], v[94:95] op_sel:[1,1] op_sel_hi:[0,1]
	v_mov_b32_e32 v91, v117
	v_pk_fma_f32 v[100:101], v[104:105], v[92:93], v[114:115] op_sel_hi:[1,0,1]
	v_pk_add_f32 v[86:87], v[86:87], v[88:89]
	v_mov_b32_e32 v88, v97
	v_pk_fma_f32 v[92:93], v[104:105], v[92:93], v[114:115] neg_lo:[0,0,1] neg_hi:[0,0,1]
	v_pk_fma_f32 v[102:103], v[106:107], v[94:95], v[98:99] op_sel_hi:[1,0,1]
	v_mov_b32_e32 v93, v101
	v_pk_add_f32 v[86:87], v[86:87], v[90:91]
	v_pk_mul_f32 v[88:89], v[120:121], v[88:89] op_sel_hi:[1,0]
	v_pk_fma_f32 v[90:91], v[106:107], v[94:95], v[98:99] neg_lo:[0,0,1] neg_hi:[0,0,1]
	v_mov_b32_e32 v91, v103
	s_delay_alu instid0(VALU_DEP_4) | instskip(NEXT) | instid1(VALU_DEP_4)
	v_pk_add_f32 v[86:87], v[86:87], v[92:93]
	v_pk_fma_f32 v[92:93], v[108:109], v[96:97], v[88:89] op_sel_hi:[1,0,1]
	v_pk_fma_f32 v[88:89], v[108:109], v[96:97], v[88:89] neg_lo:[0,0,1] neg_hi:[0,0,1]
	s_delay_alu instid0(VALU_DEP_3) | instskip(NEXT) | instid1(VALU_DEP_3)
	v_pk_add_f32 v[86:87], v[86:87], v[90:91]
	v_mov_b32_e32 v89, v93
	s_delay_alu instid0(VALU_DEP_1) | instskip(SKIP_1) | instid1(VALU_DEP_1)
	v_pk_add_f32 v[86:87], v[86:87], v[88:89]
	s_wait_loadcnt 0x0
	v_pk_add_f32 v[86:87], v[110:111], v[86:87] neg_lo:[0,1] neg_hi:[0,1]
	scratch_store_b64 off, v[86:87], off offset:280
	s_wait_xcnt 0x0
	v_cmpx_lt_u32_e32 34, v0
	s_cbranch_execz .LBB105_197
; %bb.196:
	scratch_load_b64 v[86:87], off, off offset:272
	v_mov_b64_e32 v[88:89], 0
	scratch_store_b64 off, v[88:89], off offset:272
	s_wait_loadcnt 0x0
	ds_store_b64 v1, v[86:87]
.LBB105_197:
	s_wait_xcnt 0x0
	s_or_b32 exec_lo, exec_lo, s0
	s_wait_storecnt_dscnt 0x0
	s_barrier_signal -1
	s_barrier_wait -1
	s_clause 0x4
	scratch_load_b128 v[86:89], off, off offset:280
	scratch_load_b128 v[90:93], off, off offset:296
	;; [unrolled: 1-line block ×3, first 2 shown]
	scratch_load_b64 v[110:111], off, off offset:328
	scratch_load_b64 v[112:113], off, off offset:272
	v_mov_b32_e32 v7, 0
	ds_load_2addr_b64 v[98:101], v7 offset0:77 offset1:78
	ds_load_2addr_b64 v[102:105], v7 offset0:79 offset1:80
	;; [unrolled: 1-line block ×3, first 2 shown]
	ds_load_b64 v[114:115], v7 offset:664
	s_mov_b32 s0, exec_lo
	s_wait_dscnt 0x3
	v_dual_mov_b32 v116, v101 :: v_dual_mov_b32 v117, v100
	s_wait_dscnt 0x2
	v_dual_mov_b32 v118, v105 :: v_dual_mov_b32 v119, v104
	;; [unrolled: 2-line block ×3, first 2 shown]
	s_wait_loadcnt 0x4
	v_pk_mul_f32 v[120:121], v[98:99], v[86:87] op_sel:[1,1] op_sel_hi:[0,1]
	v_mov_b32_e32 v122, v89
	s_wait_loadcnt 0x3
	v_pk_mul_f32 v[126:127], v[102:103], v[90:91] op_sel:[1,1] op_sel_hi:[0,1]
	s_wait_loadcnt 0x2
	v_pk_mul_f32 v[130:131], v[106:107], v[94:95] op_sel:[1,1] op_sel_hi:[0,1]
	v_pk_fma_f32 v[128:129], v[98:99], v[86:87], v[120:121] op_sel_hi:[1,0,1]
	v_pk_mul_f32 v[116:117], v[116:117], v[122:123] op_sel_hi:[1,0]
	v_pk_fma_f32 v[86:87], v[98:99], v[86:87], v[120:121] neg_lo:[0,0,1] neg_hi:[0,0,1]
	v_mov_b32_e32 v122, v93
	v_pk_fma_f32 v[120:121], v[102:103], v[90:91], v[126:127] op_sel_hi:[1,0,1]
	v_mov_b32_e32 v87, v129
	v_pk_fma_f32 v[98:99], v[100:101], v[88:89], v[116:117] op_sel_hi:[1,0,1]
	v_pk_fma_f32 v[88:89], v[100:101], v[88:89], v[116:117] neg_lo:[0,0,1] neg_hi:[0,0,1]
	v_pk_mul_f32 v[118:119], v[118:119], v[122:123] op_sel_hi:[1,0]
	v_pk_fma_f32 v[90:91], v[102:103], v[90:91], v[126:127] neg_lo:[0,0,1] neg_hi:[0,0,1]
	v_pk_add_f32 v[86:87], v[86:87], 0 op_sel_hi:[1,0]
	v_dual_mov_b32 v89, v99 :: v_dual_mov_b32 v98, v97
	s_delay_alu instid0(VALU_DEP_4) | instskip(SKIP_2) | instid1(VALU_DEP_4)
	v_pk_fma_f32 v[100:101], v[104:105], v[92:93], v[118:119] op_sel_hi:[1,0,1]
	v_mov_b32_e32 v91, v121
	v_pk_fma_f32 v[92:93], v[104:105], v[92:93], v[118:119] neg_lo:[0,0,1] neg_hi:[0,0,1]
	v_pk_add_f32 v[86:87], v[86:87], v[88:89]
	v_pk_fma_f32 v[88:89], v[106:107], v[94:95], v[130:131] op_sel_hi:[1,0,1]
	v_pk_mul_f32 v[98:99], v[124:125], v[98:99] op_sel_hi:[1,0]
	v_mov_b32_e32 v93, v101
	s_delay_alu instid0(VALU_DEP_4)
	v_pk_add_f32 v[86:87], v[86:87], v[90:91]
	v_pk_fma_f32 v[90:91], v[106:107], v[94:95], v[130:131] neg_lo:[0,0,1] neg_hi:[0,0,1]
	v_mov_b32_e32 v91, v89
	v_pk_fma_f32 v[88:89], v[108:109], v[96:97], v[98:99] op_sel_hi:[1,0,1]
	v_pk_fma_f32 v[94:95], v[108:109], v[96:97], v[98:99] neg_lo:[0,0,1] neg_hi:[0,0,1]
	v_pk_add_f32 v[86:87], v[86:87], v[92:93]
	s_wait_loadcnt_dscnt 0x100
	v_pk_mul_f32 v[92:93], v[114:115], v[110:111] op_sel:[1,1] op_sel_hi:[0,1]
	v_mov_b32_e32 v95, v89
	s_delay_alu instid0(VALU_DEP_3) | instskip(NEXT) | instid1(VALU_DEP_3)
	v_pk_add_f32 v[86:87], v[86:87], v[90:91]
	v_pk_fma_f32 v[88:89], v[114:115], v[110:111], v[92:93] op_sel_hi:[1,0,1]
	v_pk_fma_f32 v[90:91], v[114:115], v[110:111], v[92:93] neg_lo:[0,0,1] neg_hi:[0,0,1]
	s_delay_alu instid0(VALU_DEP_3) | instskip(NEXT) | instid1(VALU_DEP_3)
	v_pk_add_f32 v[86:87], v[86:87], v[94:95]
	v_mov_b32_e32 v91, v89
	s_delay_alu instid0(VALU_DEP_1) | instskip(SKIP_1) | instid1(VALU_DEP_1)
	v_pk_add_f32 v[86:87], v[86:87], v[90:91]
	s_wait_loadcnt 0x0
	v_pk_add_f32 v[86:87], v[112:113], v[86:87] neg_lo:[0,1] neg_hi:[0,1]
	scratch_store_b64 off, v[86:87], off offset:272
	s_wait_xcnt 0x0
	v_cmpx_lt_u32_e32 33, v0
	s_cbranch_execz .LBB105_199
; %bb.198:
	scratch_load_b64 v[86:87], off, off offset:264
	v_mov_b64_e32 v[88:89], 0
	scratch_store_b64 off, v[88:89], off offset:264
	s_wait_loadcnt 0x0
	ds_store_b64 v1, v[86:87]
.LBB105_199:
	s_wait_xcnt 0x0
	s_or_b32 exec_lo, exec_lo, s0
	s_wait_storecnt_dscnt 0x0
	s_barrier_signal -1
	s_barrier_wait -1
	s_clause 0x4
	scratch_load_b128 v[86:89], off, off offset:272
	scratch_load_b128 v[90:93], off, off offset:288
	;; [unrolled: 1-line block ×4, first 2 shown]
	scratch_load_b64 v[118:119], off, off offset:264
	ds_load_b128 v[102:105], v7 offset:608
	ds_load_b128 v[106:109], v7 offset:624
	;; [unrolled: 1-line block ×4, first 2 shown]
	s_mov_b32 s0, exec_lo
	s_wait_dscnt 0x3
	v_dual_mov_b32 v120, v105 :: v_dual_mov_b32 v121, v104
	s_wait_dscnt 0x2
	v_dual_mov_b32 v122, v109 :: v_dual_mov_b32 v123, v108
	;; [unrolled: 2-line block ×3, first 2 shown]
	v_dual_mov_b32 v125, v112 :: v_dual_mov_b32 v130, v117
	s_wait_loadcnt 0x4
	v_mov_b32_e32 v128, v89
	v_pk_mul_f32 v[126:127], v[102:103], v[86:87] op_sel:[1,1] op_sel_hi:[0,1]
	s_wait_loadcnt 0x3
	v_pk_mul_f32 v[132:133], v[106:107], v[90:91] op_sel:[1,1] op_sel_hi:[0,1]
	s_wait_loadcnt 0x2
	v_pk_mul_f32 v[136:137], v[110:111], v[94:95] op_sel:[1,1] op_sel_hi:[0,1]
	v_pk_mul_f32 v[120:121], v[120:121], v[128:129] op_sel_hi:[1,0]
	v_pk_fma_f32 v[134:135], v[102:103], v[86:87], v[126:127] op_sel_hi:[1,0,1]
	v_pk_fma_f32 v[86:87], v[102:103], v[86:87], v[126:127] neg_lo:[0,0,1] neg_hi:[0,0,1]
	v_mov_b32_e32 v128, v93
	v_pk_fma_f32 v[126:127], v[106:107], v[90:91], v[132:133] op_sel_hi:[1,0,1]
	v_pk_fma_f32 v[102:103], v[104:105], v[88:89], v[120:121] op_sel_hi:[1,0,1]
	v_mov_b32_e32 v87, v135
	v_pk_fma_f32 v[88:89], v[104:105], v[88:89], v[120:121] neg_lo:[0,0,1] neg_hi:[0,0,1]
	v_pk_mul_f32 v[122:123], v[122:123], v[128:129] op_sel_hi:[1,0]
	s_delay_alu instid0(VALU_DEP_4) | instskip(NEXT) | instid1(VALU_DEP_4)
	v_dual_mov_b32 v102, v97 :: v_dual_mov_b32 v89, v103
	v_pk_add_f32 v[86:87], v[86:87], 0 op_sel_hi:[1,0]
	v_pk_fma_f32 v[90:91], v[106:107], v[90:91], v[132:133] neg_lo:[0,0,1] neg_hi:[0,0,1]
	v_mov_b32_e32 v91, v127
	v_pk_fma_f32 v[104:105], v[108:109], v[92:93], v[122:123] op_sel_hi:[1,0,1]
	v_pk_mul_f32 v[102:103], v[124:125], v[102:103] op_sel_hi:[1,0]
	v_pk_add_f32 v[86:87], v[86:87], v[88:89]
	v_pk_fma_f32 v[88:89], v[110:111], v[94:95], v[136:137] op_sel_hi:[1,0,1]
	v_pk_fma_f32 v[92:93], v[108:109], v[92:93], v[122:123] neg_lo:[0,0,1] neg_hi:[0,0,1]
	v_mov_b32_e32 v93, v105
	v_pk_fma_f32 v[94:95], v[110:111], v[94:95], v[136:137] neg_lo:[0,0,1] neg_hi:[0,0,1]
	v_pk_add_f32 v[86:87], v[86:87], v[90:91]
	v_mov_b32_e32 v95, v89
	v_pk_fma_f32 v[88:89], v[112:113], v[96:97], v[102:103] op_sel_hi:[1,0,1]
	s_wait_loadcnt 0x1
	v_pk_mul_f32 v[90:91], v[114:115], v[98:99] op_sel:[1,1] op_sel_hi:[0,1]
	v_mov_b32_e32 v88, v101
	v_pk_add_f32 v[86:87], v[86:87], v[92:93]
	v_pk_fma_f32 v[96:97], v[112:113], v[96:97], v[102:103] neg_lo:[0,0,1] neg_hi:[0,0,1]
	v_mov_b32_e32 v97, v89
	v_pk_fma_f32 v[92:93], v[114:115], v[98:99], v[90:91] op_sel_hi:[1,0,1]
	v_pk_mul_f32 v[88:89], v[130:131], v[88:89] op_sel_hi:[1,0]
	v_pk_add_f32 v[86:87], v[86:87], v[94:95]
	v_pk_fma_f32 v[90:91], v[114:115], v[98:99], v[90:91] neg_lo:[0,0,1] neg_hi:[0,0,1]
	s_delay_alu instid0(VALU_DEP_4) | instskip(NEXT) | instid1(VALU_DEP_4)
	v_mov_b32_e32 v91, v93
	v_pk_fma_f32 v[92:93], v[116:117], v[100:101], v[88:89] op_sel_hi:[1,0,1]
	s_delay_alu instid0(VALU_DEP_4) | instskip(SKIP_1) | instid1(VALU_DEP_3)
	v_pk_add_f32 v[86:87], v[86:87], v[96:97]
	v_pk_fma_f32 v[88:89], v[116:117], v[100:101], v[88:89] neg_lo:[0,0,1] neg_hi:[0,0,1]
	v_mov_b32_e32 v89, v93
	s_delay_alu instid0(VALU_DEP_3) | instskip(NEXT) | instid1(VALU_DEP_1)
	v_pk_add_f32 v[86:87], v[86:87], v[90:91]
	v_pk_add_f32 v[86:87], v[86:87], v[88:89]
	s_wait_loadcnt 0x0
	s_delay_alu instid0(VALU_DEP_1)
	v_pk_add_f32 v[86:87], v[118:119], v[86:87] neg_lo:[0,1] neg_hi:[0,1]
	scratch_store_b64 off, v[86:87], off offset:264
	s_wait_xcnt 0x0
	v_cmpx_lt_u32_e32 32, v0
	s_cbranch_execz .LBB105_201
; %bb.200:
	scratch_load_b64 v[86:87], off, off offset:256
	v_mov_b64_e32 v[88:89], 0
	scratch_store_b64 off, v[88:89], off offset:256
	s_wait_loadcnt 0x0
	ds_store_b64 v1, v[86:87]
.LBB105_201:
	s_wait_xcnt 0x0
	s_or_b32 exec_lo, exec_lo, s0
	s_wait_storecnt_dscnt 0x0
	s_barrier_signal -1
	s_barrier_wait -1
	s_clause 0x5
	scratch_load_b128 v[86:89], off, off offset:264
	scratch_load_b128 v[90:93], off, off offset:280
	;; [unrolled: 1-line block ×4, first 2 shown]
	scratch_load_b64 v[118:119], off, off offset:328
	scratch_load_b64 v[120:121], off, off offset:256
	v_mov_b32_e32 v7, 0
	ds_load_2addr_b64 v[102:105], v7 offset0:75 offset1:76
	ds_load_2addr_b64 v[106:109], v7 offset0:77 offset1:78
	ds_load_2addr_b64 v[110:113], v7 offset0:79 offset1:80
	ds_load_2addr_b64 v[114:117], v7 offset0:81 offset1:82
	ds_load_b64 v[122:123], v7 offset:664
	s_mov_b32 s0, exec_lo
	s_wait_dscnt 0x4
	v_dual_mov_b32 v124, v105 :: v_dual_mov_b32 v125, v104
	s_wait_dscnt 0x1
	v_dual_mov_b32 v126, v109 :: v_dual_mov_b32 v131, v116
	v_dual_mov_b32 v127, v108 :: v_dual_mov_b32 v128, v113
	;; [unrolled: 1-line block ×3, first 2 shown]
	s_wait_loadcnt 0x5
	v_dual_mov_b32 v132, v89 :: v_dual_mul_f32 v133, v102, v87
	v_mul_f32_e32 v9, v103, v87
	s_wait_loadcnt 0x4
	v_pk_mul_f32 v[134:135], v[106:107], v[90:91] op_sel:[1,1] op_sel_hi:[0,1]
	v_mov_b32_e32 v136, v93
	s_wait_loadcnt 0x3
	v_pk_mul_f32 v[138:139], v[110:111], v[94:95] op_sel:[1,1] op_sel_hi:[0,1]
	v_pk_mul_f32 v[124:125], v[124:125], v[132:133] op_sel_hi:[1,0]
	v_fmac_f32_e32 v133, v103, v86
	v_dual_fma_f32 v132, v102, v86, -v9 :: v_dual_mov_b32 v86, v97
	v_pk_fma_f32 v[140:141], v[106:107], v[90:91], v[134:135] op_sel_hi:[1,0,1]
	s_delay_alu instid0(VALU_DEP_4)
	v_pk_fma_f32 v[102:103], v[104:105], v[88:89], v[124:125] op_sel_hi:[1,0,1]
	v_pk_fma_f32 v[88:89], v[104:105], v[88:89], v[124:125] neg_lo:[0,0,1] neg_hi:[0,0,1]
	v_pk_mul_f32 v[126:127], v[126:127], v[136:137] op_sel_hi:[1,0]
	v_pk_add_f32 v[132:133], v[132:133], 0 op_sel_hi:[1,0]
	v_pk_fma_f32 v[90:91], v[106:107], v[90:91], v[134:135] neg_lo:[0,0,1] neg_hi:[0,0,1]
	v_dual_mov_b32 v89, v103 :: v_dual_mov_b32 v91, v141
	s_delay_alu instid0(VALU_DEP_4) | instskip(SKIP_2) | instid1(VALU_DEP_4)
	v_pk_fma_f32 v[104:105], v[108:109], v[92:93], v[126:127] op_sel_hi:[1,0,1]
	v_pk_fma_f32 v[92:93], v[108:109], v[92:93], v[126:127] neg_lo:[0,0,1] neg_hi:[0,0,1]
	v_pk_fma_f32 v[106:107], v[110:111], v[94:95], v[138:139] op_sel_hi:[1,0,1]
	v_pk_add_f32 v[88:89], v[132:133], v[88:89]
	v_pk_mul_f32 v[86:87], v[128:129], v[86:87] op_sel_hi:[1,0]
	v_mov_b32_e32 v93, v105
	v_pk_fma_f32 v[94:95], v[110:111], v[94:95], v[138:139] neg_lo:[0,0,1] neg_hi:[0,0,1]
	s_wait_loadcnt 0x2
	v_pk_mul_f32 v[102:103], v[114:115], v[98:99] op_sel:[1,1] op_sel_hi:[0,1]
	v_pk_add_f32 v[88:89], v[88:89], v[90:91]
	v_mov_b32_e32 v90, v101
	v_pk_fma_f32 v[104:105], v[112:113], v[96:97], v[86:87] op_sel_hi:[1,0,1]
	v_mov_b32_e32 v95, v107
	v_pk_fma_f32 v[86:87], v[112:113], v[96:97], v[86:87] neg_lo:[0,0,1] neg_hi:[0,0,1]
	v_pk_add_f32 v[88:89], v[88:89], v[92:93]
	v_pk_fma_f32 v[92:93], v[114:115], v[98:99], v[102:103] op_sel_hi:[1,0,1]
	v_pk_mul_f32 v[90:91], v[130:131], v[90:91] op_sel_hi:[1,0]
	v_mov_b32_e32 v87, v105
	s_delay_alu instid0(VALU_DEP_4)
	v_pk_add_f32 v[88:89], v[88:89], v[94:95]
	v_pk_fma_f32 v[94:95], v[114:115], v[98:99], v[102:103] neg_lo:[0,0,1] neg_hi:[0,0,1]
	v_mov_b32_e32 v95, v93
	v_pk_fma_f32 v[92:93], v[116:117], v[100:101], v[90:91] op_sel_hi:[1,0,1]
	v_pk_fma_f32 v[90:91], v[116:117], v[100:101], v[90:91] neg_lo:[0,0,1] neg_hi:[0,0,1]
	v_pk_add_f32 v[86:87], v[88:89], v[86:87]
	s_wait_loadcnt_dscnt 0x100
	v_pk_mul_f32 v[88:89], v[122:123], v[118:119] op_sel:[1,1] op_sel_hi:[0,1]
	v_mov_b32_e32 v91, v93
	s_delay_alu instid0(VALU_DEP_3) | instskip(NEXT) | instid1(VALU_DEP_3)
	v_pk_add_f32 v[86:87], v[86:87], v[94:95]
	v_pk_fma_f32 v[92:93], v[122:123], v[118:119], v[88:89] op_sel_hi:[1,0,1]
	v_pk_fma_f32 v[88:89], v[122:123], v[118:119], v[88:89] neg_lo:[0,0,1] neg_hi:[0,0,1]
	s_delay_alu instid0(VALU_DEP_3) | instskip(NEXT) | instid1(VALU_DEP_3)
	v_pk_add_f32 v[86:87], v[86:87], v[90:91]
	v_mov_b32_e32 v89, v93
	s_delay_alu instid0(VALU_DEP_1) | instskip(SKIP_1) | instid1(VALU_DEP_1)
	v_pk_add_f32 v[86:87], v[86:87], v[88:89]
	s_wait_loadcnt 0x0
	v_pk_add_f32 v[86:87], v[120:121], v[86:87] neg_lo:[0,1] neg_hi:[0,1]
	scratch_store_b64 off, v[86:87], off offset:256
	s_wait_xcnt 0x0
	v_cmpx_lt_u32_e32 31, v0
	s_cbranch_execz .LBB105_203
; %bb.202:
	scratch_load_b64 v[86:87], off, off offset:248
	v_mov_b64_e32 v[88:89], 0
	scratch_store_b64 off, v[88:89], off offset:248
	s_wait_loadcnt 0x0
	ds_store_b64 v1, v[86:87]
.LBB105_203:
	s_wait_xcnt 0x0
	s_or_b32 exec_lo, exec_lo, s0
	s_wait_storecnt_dscnt 0x0
	s_barrier_signal -1
	s_barrier_wait -1
	s_clause 0x5
	scratch_load_b128 v[86:89], off, off offset:256
	scratch_load_b128 v[90:93], off, off offset:272
	;; [unrolled: 1-line block ×5, first 2 shown]
	scratch_load_b64 v[126:127], off, off offset:248
	ds_load_b128 v[106:109], v7 offset:608
	ds_load_b128 v[110:113], v7 offset:624
	;; [unrolled: 1-line block ×5, first 2 shown]
	s_mov_b32 s0, exec_lo
	s_wait_dscnt 0x4
	v_dual_mov_b32 v128, v109 :: v_dual_mov_b32 v129, v108
	s_wait_dscnt 0x3
	v_dual_mov_b32 v130, v113 :: v_dual_mov_b32 v131, v112
	;; [unrolled: 2-line block ×4, first 2 shown]
	s_wait_loadcnt_dscnt 0x500
	v_dual_mul_f32 v137, v122, v87 :: v_dual_mul_f32 v139, v124, v89
	v_dual_mul_f32 v7, v123, v87 :: v_dual_mul_f32 v9, v125, v89
	s_wait_loadcnt 0x4
	v_pk_mul_f32 v[140:141], v[106:107], v[90:91] op_sel:[1,1] op_sel_hi:[0,1]
	s_wait_loadcnt 0x3
	v_dual_mov_b32 v142, v93 :: v_dual_mov_b32 v146, v97
	v_dual_fmac_f32 v137, v123, v86 :: v_dual_fma_f32 v136, v122, v86, -v7
	v_dual_fmac_f32 v139, v125, v88 :: v_dual_fma_f32 v138, v124, v88, -v9
	v_pk_fma_f32 v[86:87], v[106:107], v[90:91], v[140:141] op_sel_hi:[1,0,1]
	s_delay_alu instid0(VALU_DEP_4) | instskip(NEXT) | instid1(VALU_DEP_4)
	v_pk_mul_f32 v[88:89], v[128:129], v[142:143] op_sel_hi:[1,0]
	v_pk_add_f32 v[122:123], v[136:137], 0 op_sel_hi:[1,0]
	v_pk_fma_f32 v[90:91], v[106:107], v[90:91], v[140:141] neg_lo:[0,0,1] neg_hi:[0,0,1]
	v_pk_mul_f32 v[144:145], v[110:111], v[94:95] op_sel:[1,1] op_sel_hi:[0,1]
	v_mov_b32_e32 v91, v87
	v_pk_fma_f32 v[86:87], v[108:109], v[92:93], v[88:89] op_sel_hi:[1,0,1]
	v_pk_add_f32 v[106:107], v[122:123], v[138:139]
	v_pk_fma_f32 v[88:89], v[108:109], v[92:93], v[88:89] neg_lo:[0,0,1] neg_hi:[0,0,1]
	v_pk_fma_f32 v[122:123], v[110:111], v[94:95], v[144:145] op_sel_hi:[1,0,1]
	v_pk_mul_f32 v[128:129], v[130:131], v[146:147] op_sel_hi:[1,0]
	v_mov_b32_e32 v89, v87
	v_pk_add_f32 v[86:87], v[106:107], v[90:91]
	s_wait_loadcnt 0x2
	v_pk_mul_f32 v[124:125], v[114:115], v[98:99] op_sel:[1,1] op_sel_hi:[0,1]
	v_mov_b32_e32 v90, v101
	v_pk_fma_f32 v[92:93], v[110:111], v[94:95], v[144:145] neg_lo:[0,0,1] neg_hi:[0,0,1]
	v_mov_b32_e32 v93, v123
	v_pk_fma_f32 v[94:95], v[112:113], v[96:97], v[128:129] op_sel_hi:[1,0,1]
	v_pk_add_f32 v[86:87], v[86:87], v[88:89]
	v_pk_fma_f32 v[88:89], v[114:115], v[98:99], v[124:125] op_sel_hi:[1,0,1]
	v_pk_mul_f32 v[90:91], v[132:133], v[90:91] op_sel_hi:[1,0]
	v_pk_fma_f32 v[96:97], v[112:113], v[96:97], v[128:129] neg_lo:[0,0,1] neg_hi:[0,0,1]
	v_mov_b32_e32 v97, v95
	v_pk_add_f32 v[86:87], v[86:87], v[92:93]
	v_pk_fma_f32 v[94:95], v[114:115], v[98:99], v[124:125] neg_lo:[0,0,1] neg_hi:[0,0,1]
	v_mov_b32_e32 v95, v89
	v_pk_fma_f32 v[88:89], v[116:117], v[100:101], v[90:91] op_sel_hi:[1,0,1]
	s_wait_loadcnt 0x1
	v_pk_mul_f32 v[92:93], v[118:119], v[102:103] op_sel:[1,1] op_sel_hi:[0,1]
	v_pk_add_f32 v[86:87], v[86:87], v[96:97]
	v_mov_b32_e32 v88, v105
	v_pk_fma_f32 v[90:91], v[116:117], v[100:101], v[90:91] neg_lo:[0,0,1] neg_hi:[0,0,1]
	v_mov_b32_e32 v91, v89
	v_pk_fma_f32 v[96:97], v[118:119], v[102:103], v[92:93] op_sel_hi:[1,0,1]
	v_pk_add_f32 v[86:87], v[86:87], v[94:95]
	v_pk_mul_f32 v[88:89], v[134:135], v[88:89] op_sel_hi:[1,0]
	v_pk_fma_f32 v[92:93], v[118:119], v[102:103], v[92:93] neg_lo:[0,0,1] neg_hi:[0,0,1]
	s_delay_alu instid0(VALU_DEP_3) | instskip(NEXT) | instid1(VALU_DEP_3)
	v_pk_add_f32 v[86:87], v[86:87], v[90:91]
	v_pk_fma_f32 v[90:91], v[120:121], v[104:105], v[88:89] op_sel_hi:[1,0,1]
	v_mov_b32_e32 v93, v97
	v_pk_fma_f32 v[88:89], v[120:121], v[104:105], v[88:89] neg_lo:[0,0,1] neg_hi:[0,0,1]
	s_delay_alu instid0(VALU_DEP_3) | instskip(NEXT) | instid1(VALU_DEP_3)
	v_mov_b32_e32 v89, v91
	v_pk_add_f32 v[86:87], v[86:87], v[92:93]
	s_delay_alu instid0(VALU_DEP_1) | instskip(SKIP_1) | instid1(VALU_DEP_1)
	v_pk_add_f32 v[86:87], v[86:87], v[88:89]
	s_wait_loadcnt 0x0
	v_pk_add_f32 v[86:87], v[126:127], v[86:87] neg_lo:[0,1] neg_hi:[0,1]
	scratch_store_b64 off, v[86:87], off offset:248
	s_wait_xcnt 0x0
	v_cmpx_lt_u32_e32 30, v0
	s_cbranch_execz .LBB105_205
; %bb.204:
	scratch_load_b64 v[86:87], off, off offset:240
	v_mov_b64_e32 v[88:89], 0
	scratch_store_b64 off, v[88:89], off offset:240
	s_wait_loadcnt 0x0
	ds_store_b64 v1, v[86:87]
.LBB105_205:
	s_wait_xcnt 0x0
	s_or_b32 exec_lo, exec_lo, s0
	s_wait_storecnt_dscnt 0x0
	s_barrier_signal -1
	s_barrier_wait -1
	s_clause 0x6
	scratch_load_b128 v[86:89], off, off offset:248
	scratch_load_b128 v[90:93], off, off offset:264
	;; [unrolled: 1-line block ×5, first 2 shown]
	scratch_load_b64 v[126:127], off, off offset:328
	scratch_load_b64 v[128:129], off, off offset:240
	v_mov_b32_e32 v7, 0
	ds_load_2addr_b64 v[106:109], v7 offset0:75 offset1:76
	ds_load_2addr_b64 v[110:113], v7 offset0:77 offset1:78
	;; [unrolled: 1-line block ×5, first 2 shown]
	ds_load_b64 v[130:131], v7 offset:664
	s_mov_b32 s0, exec_lo
	s_wait_dscnt 0x5
	v_dual_mov_b32 v132, v109 :: v_dual_mov_b32 v133, v108
	s_wait_dscnt 0x2
	v_dual_mov_b32 v134, v113 :: v_dual_mov_b32 v139, v120
	v_dual_mov_b32 v135, v112 :: v_dual_mov_b32 v136, v117
	;; [unrolled: 1-line block ×3, first 2 shown]
	s_wait_loadcnt_dscnt 0x601
	v_dual_mul_f32 v9, v122, v87 :: v_dual_mul_f32 v11, v123, v87
	v_dual_mul_f32 v13, v125, v89 :: v_dual_mul_f32 v141, v124, v89
	s_wait_loadcnt 0x5
	v_dual_mul_f32 v143, v106, v91 :: v_dual_mul_f32 v15, v107, v91
	s_wait_loadcnt 0x4
	v_dual_mov_b32 v142, v93 :: v_dual_mov_b32 v146, v97
	v_dual_fmac_f32 v9, v123, v86 :: v_dual_fma_f32 v11, v122, v86, -v11
	v_fmac_f32_e32 v141, v125, v88
	v_pk_mul_f32 v[144:145], v[110:111], v[94:95] op_sel:[1,1] op_sel_hi:[0,1]
	s_delay_alu instid0(VALU_DEP_3)
	v_dual_fma_f32 v140, v124, v88, -v13 :: v_dual_add_f32 v89, 0, v9
	v_pk_mul_f32 v[86:87], v[132:133], v[142:143] op_sel_hi:[1,0]
	s_wait_loadcnt 0x3
	v_dual_add_f32 v88, 0, v11 :: v_dual_mov_b32 v122, v101
	v_fmac_f32_e32 v143, v107, v90
	v_fma_f32 v142, v106, v90, -v15
	v_pk_fma_f32 v[90:91], v[108:109], v[92:93], v[86:87] op_sel_hi:[1,0,1]
	s_delay_alu instid0(VALU_DEP_4) | instskip(SKIP_4) | instid1(VALU_DEP_4)
	v_pk_add_f32 v[88:89], v[88:89], v[140:141]
	v_pk_fma_f32 v[106:107], v[110:111], v[94:95], v[144:145] op_sel_hi:[1,0,1]
	v_pk_fma_f32 v[86:87], v[108:109], v[92:93], v[86:87] neg_lo:[0,0,1] neg_hi:[0,0,1]
	v_pk_fma_f32 v[92:93], v[110:111], v[94:95], v[144:145] neg_lo:[0,0,1] neg_hi:[0,0,1]
	v_pk_mul_f32 v[124:125], v[134:135], v[146:147] op_sel_hi:[1,0]
	v_dual_mov_b32 v87, v91 :: v_dual_mov_b32 v93, v107
	v_pk_add_f32 v[88:89], v[88:89], v[142:143]
	v_pk_mul_f32 v[148:149], v[114:115], v[98:99] op_sel:[1,1] op_sel_hi:[0,1]
	s_delay_alu instid0(VALU_DEP_4)
	v_pk_fma_f32 v[94:95], v[112:113], v[96:97], v[124:125] op_sel_hi:[1,0,1]
	v_pk_fma_f32 v[96:97], v[112:113], v[96:97], v[124:125] neg_lo:[0,0,1] neg_hi:[0,0,1]
	v_pk_mul_f32 v[106:107], v[136:137], v[122:123] op_sel_hi:[1,0]
	v_pk_add_f32 v[86:87], v[88:89], v[86:87]
	v_pk_fma_f32 v[88:89], v[114:115], v[98:99], v[148:149] op_sel_hi:[1,0,1]
	s_wait_loadcnt 0x2
	v_dual_mov_b32 v97, v95 :: v_dual_mov_b32 v88, v105
	v_pk_mul_f32 v[90:91], v[118:119], v[102:103] op_sel:[1,1] op_sel_hi:[0,1]
	v_pk_add_f32 v[86:87], v[86:87], v[92:93]
	v_pk_fma_f32 v[92:93], v[114:115], v[98:99], v[148:149] neg_lo:[0,0,1] neg_hi:[0,0,1]
	v_pk_fma_f32 v[94:95], v[116:117], v[100:101], v[106:107] op_sel_hi:[1,0,1]
	v_mov_b32_e32 v93, v89
	v_pk_fma_f32 v[98:99], v[116:117], v[100:101], v[106:107] neg_lo:[0,0,1] neg_hi:[0,0,1]
	v_pk_add_f32 v[86:87], v[86:87], v[96:97]
	v_pk_fma_f32 v[96:97], v[118:119], v[102:103], v[90:91] op_sel_hi:[1,0,1]
	v_pk_mul_f32 v[88:89], v[138:139], v[88:89] op_sel_hi:[1,0]
	v_mov_b32_e32 v99, v95
	v_pk_fma_f32 v[90:91], v[118:119], v[102:103], v[90:91] neg_lo:[0,0,1] neg_hi:[0,0,1]
	v_pk_add_f32 v[86:87], v[86:87], v[92:93]
	s_wait_loadcnt_dscnt 0x100
	v_pk_mul_f32 v[94:95], v[130:131], v[126:127] op_sel:[1,1] op_sel_hi:[0,1]
	v_pk_fma_f32 v[92:93], v[120:121], v[104:105], v[88:89] op_sel_hi:[1,0,1]
	v_mov_b32_e32 v91, v97
	v_pk_fma_f32 v[88:89], v[120:121], v[104:105], v[88:89] neg_lo:[0,0,1] neg_hi:[0,0,1]
	v_pk_add_f32 v[86:87], v[86:87], v[98:99]
	s_delay_alu instid0(VALU_DEP_4) | instskip(SKIP_1) | instid1(VALU_DEP_3)
	v_mov_b32_e32 v89, v93
	v_pk_fma_f32 v[92:93], v[130:131], v[126:127], v[94:95] neg_lo:[0,0,1] neg_hi:[0,0,1]
	v_pk_add_f32 v[86:87], v[86:87], v[90:91]
	v_pk_fma_f32 v[90:91], v[130:131], v[126:127], v[94:95] op_sel_hi:[1,0,1]
	s_delay_alu instid0(VALU_DEP_2) | instskip(NEXT) | instid1(VALU_DEP_2)
	v_pk_add_f32 v[86:87], v[86:87], v[88:89]
	v_mov_b32_e32 v93, v91
	s_delay_alu instid0(VALU_DEP_1) | instskip(SKIP_1) | instid1(VALU_DEP_1)
	v_pk_add_f32 v[86:87], v[86:87], v[92:93]
	s_wait_loadcnt 0x0
	v_pk_add_f32 v[86:87], v[128:129], v[86:87] neg_lo:[0,1] neg_hi:[0,1]
	scratch_store_b64 off, v[86:87], off offset:240
	s_wait_xcnt 0x0
	v_cmpx_lt_u32_e32 29, v0
	s_cbranch_execz .LBB105_207
; %bb.206:
	scratch_load_b64 v[86:87], off, off offset:232
	v_mov_b64_e32 v[88:89], 0
	scratch_store_b64 off, v[88:89], off offset:232
	s_wait_loadcnt 0x0
	ds_store_b64 v1, v[86:87]
.LBB105_207:
	s_wait_xcnt 0x0
	s_or_b32 exec_lo, exec_lo, s0
	s_wait_storecnt_dscnt 0x0
	s_barrier_signal -1
	s_barrier_wait -1
	s_clause 0x6
	scratch_load_b128 v[86:89], off, off offset:240
	scratch_load_b128 v[90:93], off, off offset:256
	;; [unrolled: 1-line block ×6, first 2 shown]
	scratch_load_b64 v[134:135], off, off offset:232
	ds_load_b128 v[110:113], v7 offset:608
	ds_load_b128 v[114:117], v7 offset:624
	;; [unrolled: 1-line block ×6, first 2 shown]
	s_mov_b32 s0, exec_lo
	s_wait_dscnt 0x5
	v_dual_mov_b32 v136, v113 :: v_dual_mov_b32 v137, v112
	s_wait_dscnt 0x4
	v_dual_mov_b32 v138, v117 :: v_dual_mov_b32 v139, v116
	;; [unrolled: 2-line block ×4, first 2 shown]
	s_wait_loadcnt_dscnt 0x601
	v_dual_mul_f32 v7, v126, v87 :: v_dual_mul_f32 v9, v128, v89
	v_dual_mul_f32 v11, v127, v87 :: v_dual_mul_f32 v13, v129, v89
	s_wait_loadcnt 0x4
	s_delay_alu instid0(VALU_DEP_2)
	v_dual_mov_b32 v150, v97 :: v_dual_fmac_f32 v7, v127, v86
	s_wait_dscnt 0x0
	v_dual_mul_f32 v145, v130, v91 :: v_dual_mul_f32 v147, v132, v93
	v_dual_fma_f32 v11, v126, v86, -v11 :: v_dual_fmac_f32 v9, v129, v88
	v_dual_mul_f32 v15, v131, v91 :: v_dual_mul_f32 v17, v133, v93
	v_dual_fma_f32 v13, v128, v88, -v13 :: v_dual_add_f32 v7, 0, v7
	s_wait_loadcnt 0x3
	s_delay_alu instid0(VALU_DEP_3) | instskip(SKIP_3) | instid1(VALU_DEP_4)
	v_dual_add_f32 v11, 0, v11 :: v_dual_mov_b32 v88, v101
	v_pk_mul_f32 v[148:149], v[110:111], v[94:95] op_sel:[1,1] op_sel_hi:[0,1]
	v_dual_fmac_f32 v145, v131, v90 :: v_dual_fma_f32 v144, v130, v90, -v15
	v_dual_add_f32 v91, v7, v9 :: v_dual_fmac_f32 v147, v133, v92
	v_dual_add_f32 v90, v11, v13 :: v_dual_fma_f32 v146, v132, v92, -v17
	s_delay_alu instid0(VALU_DEP_4) | instskip(SKIP_2) | instid1(VALU_DEP_4)
	v_pk_fma_f32 v[92:93], v[110:111], v[94:95], v[148:149] op_sel_hi:[1,0,1]
	v_pk_mul_f32 v[126:127], v[136:137], v[150:151] op_sel_hi:[1,0]
	v_pk_fma_f32 v[94:95], v[110:111], v[94:95], v[148:149] neg_lo:[0,0,1] neg_hi:[0,0,1]
	v_pk_add_f32 v[90:91], v[90:91], v[144:145]
	v_pk_mul_f32 v[86:87], v[114:115], v[98:99] op_sel:[1,1] op_sel_hi:[0,1]
	v_mov_b32_e32 v95, v93
	v_pk_fma_f32 v[92:93], v[112:113], v[96:97], v[126:127] op_sel_hi:[1,0,1]
	v_pk_fma_f32 v[96:97], v[112:113], v[96:97], v[126:127] neg_lo:[0,0,1] neg_hi:[0,0,1]
	v_pk_add_f32 v[90:91], v[90:91], v[146:147]
	v_pk_fma_f32 v[110:111], v[114:115], v[98:99], v[86:87] op_sel_hi:[1,0,1]
	v_pk_mul_f32 v[88:89], v[138:139], v[88:89] op_sel_hi:[1,0]
	v_mov_b32_e32 v97, v93
	v_pk_fma_f32 v[86:87], v[114:115], v[98:99], v[86:87] neg_lo:[0,0,1] neg_hi:[0,0,1]
	v_pk_add_f32 v[90:91], v[90:91], v[94:95]
	s_wait_loadcnt 0x2
	v_pk_mul_f32 v[128:129], v[118:119], v[102:103] op_sel:[1,1] op_sel_hi:[0,1]
	v_dual_mov_b32 v92, v105 :: v_dual_mov_b32 v87, v111
	v_pk_fma_f32 v[94:95], v[116:117], v[100:101], v[88:89] op_sel_hi:[1,0,1]
	v_pk_add_f32 v[90:91], v[90:91], v[96:97]
	v_pk_fma_f32 v[88:89], v[116:117], v[100:101], v[88:89] neg_lo:[0,0,1] neg_hi:[0,0,1]
	v_pk_fma_f32 v[96:97], v[118:119], v[102:103], v[128:129] op_sel_hi:[1,0,1]
	v_pk_mul_f32 v[92:93], v[140:141], v[92:93] op_sel_hi:[1,0]
	v_mov_b32_e32 v89, v95
	v_pk_add_f32 v[86:87], v[90:91], v[86:87]
	v_pk_fma_f32 v[94:95], v[118:119], v[102:103], v[128:129] neg_lo:[0,0,1] neg_hi:[0,0,1]
	s_wait_loadcnt 0x1
	v_pk_mul_f32 v[90:91], v[122:123], v[106:107] op_sel:[1,1] op_sel_hi:[0,1]
	v_mov_b32_e32 v95, v97
	v_pk_fma_f32 v[96:97], v[120:121], v[104:105], v[92:93] op_sel_hi:[1,0,1]
	v_pk_add_f32 v[86:87], v[86:87], v[88:89]
	v_mov_b32_e32 v88, v109
	v_pk_fma_f32 v[92:93], v[120:121], v[104:105], v[92:93] neg_lo:[0,0,1] neg_hi:[0,0,1]
	v_pk_fma_f32 v[98:99], v[122:123], v[106:107], v[90:91] op_sel_hi:[1,0,1]
	v_mov_b32_e32 v93, v97
	v_pk_add_f32 v[86:87], v[86:87], v[94:95]
	v_pk_mul_f32 v[88:89], v[142:143], v[88:89] op_sel_hi:[1,0]
	v_pk_fma_f32 v[90:91], v[122:123], v[106:107], v[90:91] neg_lo:[0,0,1] neg_hi:[0,0,1]
	s_delay_alu instid0(VALU_DEP_3) | instskip(NEXT) | instid1(VALU_DEP_3)
	v_pk_add_f32 v[86:87], v[86:87], v[92:93]
	v_pk_fma_f32 v[92:93], v[124:125], v[108:109], v[88:89] op_sel_hi:[1,0,1]
	v_mov_b32_e32 v91, v99
	v_pk_fma_f32 v[88:89], v[124:125], v[108:109], v[88:89] neg_lo:[0,0,1] neg_hi:[0,0,1]
	s_delay_alu instid0(VALU_DEP_3) | instskip(NEXT) | instid1(VALU_DEP_3)
	v_mov_b32_e32 v89, v93
	v_pk_add_f32 v[86:87], v[86:87], v[90:91]
	s_delay_alu instid0(VALU_DEP_1) | instskip(SKIP_1) | instid1(VALU_DEP_1)
	v_pk_add_f32 v[86:87], v[86:87], v[88:89]
	s_wait_loadcnt 0x0
	v_pk_add_f32 v[86:87], v[134:135], v[86:87] neg_lo:[0,1] neg_hi:[0,1]
	scratch_store_b64 off, v[86:87], off offset:232
	s_wait_xcnt 0x0
	v_cmpx_lt_u32_e32 28, v0
	s_cbranch_execz .LBB105_209
; %bb.208:
	scratch_load_b64 v[86:87], off, off offset:224
	v_mov_b64_e32 v[88:89], 0
	scratch_store_b64 off, v[88:89], off offset:224
	s_wait_loadcnt 0x0
	ds_store_b64 v1, v[86:87]
.LBB105_209:
	s_wait_xcnt 0x0
	s_or_b32 exec_lo, exec_lo, s0
	s_wait_storecnt_dscnt 0x0
	s_barrier_signal -1
	s_barrier_wait -1
	s_clause 0x7
	scratch_load_b128 v[86:89], off, off offset:232
	scratch_load_b128 v[90:93], off, off offset:248
	;; [unrolled: 1-line block ×6, first 2 shown]
	scratch_load_b64 v[134:135], off, off offset:328
	scratch_load_b64 v[136:137], off, off offset:224
	v_mov_b32_e32 v7, 0
	ds_load_2addr_b64 v[110:113], v7 offset0:75 offset1:76
	ds_load_2addr_b64 v[114:117], v7 offset0:77 offset1:78
	;; [unrolled: 1-line block ×6, first 2 shown]
	ds_load_b64 v[138:139], v7 offset:664
	s_mov_b32 s0, exec_lo
	s_wait_dscnt 0x6
	v_dual_mov_b32 v140, v113 :: v_dual_mov_b32 v141, v112
	s_wait_dscnt 0x3
	v_dual_mov_b32 v142, v117 :: v_dual_mov_b32 v147, v124
	v_dual_mov_b32 v143, v116 :: v_dual_mov_b32 v144, v121
	;; [unrolled: 1-line block ×3, first 2 shown]
	s_wait_loadcnt_dscnt 0x702
	v_dual_mul_f32 v9, v126, v87 :: v_dual_mul_f32 v15, v127, v87
	v_dual_mul_f32 v17, v129, v89 :: v_dual_mul_f32 v11, v128, v89
	s_wait_loadcnt_dscnt 0x601
	s_delay_alu instid0(VALU_DEP_2) | instskip(NEXT) | instid1(VALU_DEP_3)
	v_dual_mul_f32 v13, v130, v91 :: v_dual_fmac_f32 v9, v127, v86
	v_dual_fma_f32 v15, v126, v86, -v15 :: v_dual_mul_f32 v19, v131, v91
	v_mul_f32_e32 v21, v133, v93
	s_wait_loadcnt 0x4
	v_dual_mov_b32 v86, v101 :: v_dual_fma_f32 v17, v128, v88, -v17
	v_dual_fmac_f32 v11, v129, v88 :: v_dual_add_f32 v9, 0, v9
	v_dual_add_f32 v15, 0, v15 :: v_dual_fmac_f32 v13, v131, v90
	v_dual_mul_f32 v149, v132, v93 :: v_dual_mul_f32 v151, v110, v95
	v_dual_mul_f32 v23, v111, v95 :: v_dual_mov_b32 v150, v97
	s_delay_alu instid0(VALU_DEP_4) | instskip(NEXT) | instid1(VALU_DEP_3)
	v_dual_fma_f32 v19, v130, v90, -v19 :: v_dual_add_f32 v9, v9, v11
	v_dual_add_f32 v11, v15, v17 :: v_dual_fmac_f32 v149, v133, v92
	v_pk_mul_f32 v[152:153], v[114:115], v[98:99] op_sel:[1,1] op_sel_hi:[0,1]
	s_delay_alu instid0(VALU_DEP_3)
	v_dual_fma_f32 v148, v132, v92, -v21 :: v_dual_add_f32 v93, v9, v13
	v_pk_mul_f32 v[90:91], v[140:141], v[150:151] op_sel_hi:[1,0]
	s_wait_loadcnt 0x3
	v_dual_add_f32 v92, v11, v19 :: v_dual_mov_b32 v126, v105
	v_fmac_f32_e32 v151, v111, v94
	v_fma_f32 v150, v110, v94, -v23
	v_pk_fma_f32 v[94:95], v[112:113], v[96:97], v[90:91] op_sel_hi:[1,0,1]
	s_delay_alu instid0(VALU_DEP_4) | instskip(SKIP_4) | instid1(VALU_DEP_4)
	v_pk_add_f32 v[92:93], v[92:93], v[148:149]
	v_pk_fma_f32 v[110:111], v[114:115], v[98:99], v[152:153] op_sel_hi:[1,0,1]
	v_pk_fma_f32 v[90:91], v[112:113], v[96:97], v[90:91] neg_lo:[0,0,1] neg_hi:[0,0,1]
	v_pk_fma_f32 v[96:97], v[114:115], v[98:99], v[152:153] neg_lo:[0,0,1] neg_hi:[0,0,1]
	v_pk_mul_f32 v[86:87], v[142:143], v[86:87] op_sel_hi:[1,0]
	v_dual_mov_b32 v91, v95 :: v_dual_mov_b32 v97, v111
	v_pk_add_f32 v[92:93], v[92:93], v[150:151]
	v_pk_mul_f32 v[88:89], v[118:119], v[102:103] op_sel:[1,1] op_sel_hi:[0,1]
	s_delay_alu instid0(VALU_DEP_4)
	v_pk_fma_f32 v[98:99], v[116:117], v[100:101], v[86:87] op_sel_hi:[1,0,1]
	v_pk_fma_f32 v[86:87], v[116:117], v[100:101], v[86:87] neg_lo:[0,0,1] neg_hi:[0,0,1]
	v_pk_mul_f32 v[110:111], v[144:145], v[126:127] op_sel_hi:[1,0]
	v_pk_add_f32 v[90:91], v[92:93], v[90:91]
	v_pk_fma_f32 v[92:93], v[118:119], v[102:103], v[88:89] op_sel_hi:[1,0,1]
	s_wait_loadcnt 0x2
	v_dual_mov_b32 v87, v99 :: v_dual_mov_b32 v92, v109
	v_pk_fma_f32 v[88:89], v[118:119], v[102:103], v[88:89] neg_lo:[0,0,1] neg_hi:[0,0,1]
	v_pk_add_f32 v[90:91], v[90:91], v[96:97]
	v_pk_mul_f32 v[94:95], v[122:123], v[106:107] op_sel:[1,1] op_sel_hi:[0,1]
	v_pk_fma_f32 v[96:97], v[120:121], v[104:105], v[110:111] op_sel_hi:[1,0,1]
	v_mov_b32_e32 v89, v93
	v_pk_fma_f32 v[98:99], v[120:121], v[104:105], v[110:111] neg_lo:[0,0,1] neg_hi:[0,0,1]
	v_pk_add_f32 v[86:87], v[90:91], v[86:87]
	v_pk_fma_f32 v[90:91], v[122:123], v[106:107], v[94:95] op_sel_hi:[1,0,1]
	v_pk_mul_f32 v[92:93], v[146:147], v[92:93] op_sel_hi:[1,0]
	v_mov_b32_e32 v99, v97
	s_delay_alu instid0(VALU_DEP_4)
	v_pk_add_f32 v[86:87], v[86:87], v[88:89]
	v_pk_fma_f32 v[88:89], v[122:123], v[106:107], v[94:95] neg_lo:[0,0,1] neg_hi:[0,0,1]
	v_mov_b32_e32 v89, v91
	v_pk_fma_f32 v[90:91], v[124:125], v[108:109], v[92:93] op_sel_hi:[1,0,1]
	s_wait_loadcnt_dscnt 0x100
	v_pk_mul_f32 v[94:95], v[138:139], v[134:135] op_sel:[1,1] op_sel_hi:[0,1]
	v_pk_add_f32 v[86:87], v[86:87], v[98:99]
	v_pk_fma_f32 v[92:93], v[124:125], v[108:109], v[92:93] neg_lo:[0,0,1] neg_hi:[0,0,1]
	v_mov_b32_e32 v93, v91
	s_delay_alu instid0(VALU_DEP_4) | instskip(NEXT) | instid1(VALU_DEP_4)
	v_pk_fma_f32 v[90:91], v[138:139], v[134:135], v[94:95] neg_lo:[0,0,1] neg_hi:[0,0,1]
	v_pk_add_f32 v[86:87], v[86:87], v[88:89]
	v_pk_fma_f32 v[88:89], v[138:139], v[134:135], v[94:95] op_sel_hi:[1,0,1]
	s_delay_alu instid0(VALU_DEP_2) | instskip(NEXT) | instid1(VALU_DEP_2)
	v_pk_add_f32 v[86:87], v[86:87], v[92:93]
	v_mov_b32_e32 v91, v89
	s_delay_alu instid0(VALU_DEP_1) | instskip(SKIP_1) | instid1(VALU_DEP_1)
	v_pk_add_f32 v[86:87], v[86:87], v[90:91]
	s_wait_loadcnt 0x0
	v_pk_add_f32 v[86:87], v[136:137], v[86:87] neg_lo:[0,1] neg_hi:[0,1]
	scratch_store_b64 off, v[86:87], off offset:224
	s_wait_xcnt 0x0
	v_cmpx_lt_u32_e32 27, v0
	s_cbranch_execz .LBB105_211
; %bb.210:
	scratch_load_b64 v[86:87], off, off offset:216
	v_mov_b64_e32 v[88:89], 0
	scratch_store_b64 off, v[88:89], off offset:216
	s_wait_loadcnt 0x0
	ds_store_b64 v1, v[86:87]
.LBB105_211:
	s_wait_xcnt 0x0
	s_or_b32 exec_lo, exec_lo, s0
	s_wait_storecnt_dscnt 0x0
	s_barrier_signal -1
	s_barrier_wait -1
	s_clause 0x7
	scratch_load_b128 v[86:89], off, off offset:224
	scratch_load_b128 v[90:93], off, off offset:240
	;; [unrolled: 1-line block ×7, first 2 shown]
	scratch_load_b64 v[142:143], off, off offset:216
	ds_load_b128 v[114:117], v7 offset:608
	ds_load_b128 v[118:121], v7 offset:624
	;; [unrolled: 1-line block ×7, first 2 shown]
	s_mov_b32 s0, exec_lo
	s_wait_dscnt 0x6
	v_dual_mov_b32 v144, v117 :: v_dual_mov_b32 v145, v116
	s_wait_dscnt 0x5
	v_dual_mov_b32 v146, v121 :: v_dual_mov_b32 v147, v120
	;; [unrolled: 2-line block ×4, first 2 shown]
	s_wait_loadcnt_dscnt 0x702
	v_dual_mul_f32 v7, v130, v87 :: v_dual_mul_f32 v9, v132, v89
	v_dual_mul_f32 v15, v131, v87 :: v_dual_mul_f32 v17, v133, v89
	s_wait_loadcnt_dscnt 0x601
	v_dual_mul_f32 v11, v134, v91 :: v_dual_mul_f32 v13, v136, v93
	s_delay_alu instid0(VALU_DEP_3) | instskip(NEXT) | instid1(VALU_DEP_3)
	v_dual_fmac_f32 v7, v131, v86 :: v_dual_fmac_f32 v9, v133, v88
	v_dual_fma_f32 v15, v130, v86, -v15 :: v_dual_fma_f32 v17, v132, v88, -v17
	v_dual_mul_f32 v19, v135, v91 :: v_dual_mul_f32 v21, v137, v93
	s_wait_loadcnt 0x4
	s_delay_alu instid0(VALU_DEP_3) | instskip(NEXT) | instid1(VALU_DEP_3)
	v_dual_add_f32 v7, 0, v7 :: v_dual_mov_b32 v88, v101
	v_dual_add_f32 v15, 0, v15 :: v_dual_fmac_f32 v11, v135, v90
	s_delay_alu instid0(VALU_DEP_2) | instskip(SKIP_2) | instid1(VALU_DEP_3)
	v_dual_fma_f32 v19, v134, v90, -v19 :: v_dual_add_f32 v7, v7, v9
	s_wait_dscnt 0x0
	v_dual_mul_f32 v153, v138, v95 :: v_dual_mul_f32 v155, v140, v97
	v_dual_add_f32 v9, v15, v17 :: v_dual_fmac_f32 v13, v137, v92
	v_dual_mul_f32 v23, v139, v95 :: v_dual_mul_f32 v25, v141, v97
	v_dual_fma_f32 v15, v136, v92, -v21 :: v_dual_add_f32 v7, v7, v11
	s_delay_alu instid0(VALU_DEP_3) | instskip(SKIP_3) | instid1(VALU_DEP_3)
	v_dual_add_f32 v9, v9, v19 :: v_dual_fmac_f32 v153, v139, v94
	v_pk_mul_f32 v[86:87], v[114:115], v[98:99] op_sel:[1,1] op_sel_hi:[0,1]
	s_wait_loadcnt 0x3
	v_dual_mov_b32 v92, v105 :: v_dual_fma_f32 v152, v138, v94, -v23
	v_dual_add_f32 v95, v7, v13 :: v_dual_add_f32 v94, v9, v15
	v_dual_fmac_f32 v155, v141, v96 :: v_dual_fma_f32 v154, v140, v96, -v25
	v_pk_fma_f32 v[96:97], v[114:115], v[98:99], v[86:87] op_sel_hi:[1,0,1]
	v_pk_mul_f32 v[88:89], v[144:145], v[88:89] op_sel_hi:[1,0]
	s_delay_alu instid0(VALU_DEP_4)
	v_pk_add_f32 v[94:95], v[94:95], v[152:153]
	v_pk_fma_f32 v[86:87], v[114:115], v[98:99], v[86:87] neg_lo:[0,0,1] neg_hi:[0,0,1]
	v_pk_mul_f32 v[90:91], v[118:119], v[102:103] op_sel:[1,1] op_sel_hi:[0,1]
	v_mov_b32_e32 v87, v97
	v_pk_fma_f32 v[96:97], v[116:117], v[100:101], v[88:89] op_sel_hi:[1,0,1]
	v_pk_add_f32 v[94:95], v[94:95], v[154:155]
	v_pk_fma_f32 v[88:89], v[116:117], v[100:101], v[88:89] neg_lo:[0,0,1] neg_hi:[0,0,1]
	v_pk_fma_f32 v[98:99], v[118:119], v[102:103], v[90:91] op_sel_hi:[1,0,1]
	v_pk_mul_f32 v[92:93], v[146:147], v[92:93] op_sel_hi:[1,0]
	v_mov_b32_e32 v89, v97
	v_pk_add_f32 v[86:87], v[94:95], v[86:87]
	s_wait_loadcnt 0x2
	v_pk_mul_f32 v[130:131], v[122:123], v[106:107] op_sel:[1,1] op_sel_hi:[0,1]
	v_mov_b32_e32 v94, v109
	v_pk_fma_f32 v[90:91], v[118:119], v[102:103], v[90:91] neg_lo:[0,0,1] neg_hi:[0,0,1]
	v_mov_b32_e32 v91, v99
	v_pk_fma_f32 v[96:97], v[120:121], v[104:105], v[92:93] op_sel_hi:[1,0,1]
	v_pk_add_f32 v[86:87], v[86:87], v[88:89]
	v_pk_fma_f32 v[88:89], v[122:123], v[106:107], v[130:131] op_sel_hi:[1,0,1]
	v_pk_mul_f32 v[94:95], v[148:149], v[94:95] op_sel_hi:[1,0]
	v_pk_fma_f32 v[92:93], v[120:121], v[104:105], v[92:93] neg_lo:[0,0,1] neg_hi:[0,0,1]
	v_mov_b32_e32 v93, v97
	v_pk_add_f32 v[86:87], v[86:87], v[90:91]
	v_pk_fma_f32 v[96:97], v[122:123], v[106:107], v[130:131] neg_lo:[0,0,1] neg_hi:[0,0,1]
	v_mov_b32_e32 v97, v89
	v_pk_fma_f32 v[88:89], v[124:125], v[108:109], v[94:95] op_sel_hi:[1,0,1]
	s_wait_loadcnt 0x1
	v_pk_mul_f32 v[90:91], v[126:127], v[110:111] op_sel:[1,1] op_sel_hi:[0,1]
	v_pk_add_f32 v[86:87], v[86:87], v[92:93]
	v_mov_b32_e32 v88, v113
	v_pk_fma_f32 v[94:95], v[124:125], v[108:109], v[94:95] neg_lo:[0,0,1] neg_hi:[0,0,1]
	v_mov_b32_e32 v95, v89
	v_pk_fma_f32 v[92:93], v[126:127], v[110:111], v[90:91] op_sel_hi:[1,0,1]
	v_pk_add_f32 v[86:87], v[86:87], v[96:97]
	v_pk_mul_f32 v[88:89], v[150:151], v[88:89] op_sel_hi:[1,0]
	v_pk_fma_f32 v[90:91], v[126:127], v[110:111], v[90:91] neg_lo:[0,0,1] neg_hi:[0,0,1]
	s_delay_alu instid0(VALU_DEP_4) | instskip(NEXT) | instid1(VALU_DEP_4)
	v_mov_b32_e32 v91, v93
	v_pk_add_f32 v[86:87], v[86:87], v[94:95]
	s_delay_alu instid0(VALU_DEP_4) | instskip(SKIP_1) | instid1(VALU_DEP_2)
	v_pk_fma_f32 v[92:93], v[128:129], v[112:113], v[88:89] op_sel_hi:[1,0,1]
	v_pk_fma_f32 v[88:89], v[128:129], v[112:113], v[88:89] neg_lo:[0,0,1] neg_hi:[0,0,1]
	v_mov_b32_e32 v89, v93
	s_delay_alu instid0(VALU_DEP_4) | instskip(NEXT) | instid1(VALU_DEP_1)
	v_pk_add_f32 v[86:87], v[86:87], v[90:91]
	v_pk_add_f32 v[86:87], v[86:87], v[88:89]
	s_wait_loadcnt 0x0
	s_delay_alu instid0(VALU_DEP_1)
	v_pk_add_f32 v[86:87], v[142:143], v[86:87] neg_lo:[0,1] neg_hi:[0,1]
	scratch_store_b64 off, v[86:87], off offset:216
	s_wait_xcnt 0x0
	v_cmpx_lt_u32_e32 26, v0
	s_cbranch_execz .LBB105_213
; %bb.212:
	scratch_load_b64 v[86:87], off, off offset:208
	v_mov_b64_e32 v[88:89], 0
	scratch_store_b64 off, v[88:89], off offset:208
	s_wait_loadcnt 0x0
	ds_store_b64 v1, v[86:87]
.LBB105_213:
	s_wait_xcnt 0x0
	s_or_b32 exec_lo, exec_lo, s0
	s_wait_storecnt_dscnt 0x0
	s_barrier_signal -1
	s_barrier_wait -1
	s_clause 0x8
	scratch_load_b128 v[86:89], off, off offset:216
	scratch_load_b128 v[90:93], off, off offset:232
	;; [unrolled: 1-line block ×7, first 2 shown]
	scratch_load_b64 v[142:143], off, off offset:328
	scratch_load_b64 v[144:145], off, off offset:208
	v_mov_b32_e32 v7, 0
	ds_load_2addr_b64 v[114:117], v7 offset0:75 offset1:76
	ds_load_2addr_b64 v[118:121], v7 offset0:77 offset1:78
	;; [unrolled: 1-line block ×7, first 2 shown]
	ds_load_b64 v[146:147], v7 offset:664
	s_mov_b32 s0, exec_lo
	s_wait_dscnt 0x7
	v_dual_mov_b32 v148, v117 :: v_dual_mov_b32 v149, v116
	s_wait_dscnt 0x4
	v_dual_mov_b32 v150, v121 :: v_dual_mov_b32 v155, v128
	v_dual_mov_b32 v151, v120 :: v_dual_mov_b32 v152, v125
	;; [unrolled: 1-line block ×3, first 2 shown]
	s_wait_loadcnt_dscnt 0x803
	v_dual_mul_f32 v9, v130, v87 :: v_dual_mul_f32 v19, v131, v87
	v_dual_mul_f32 v21, v133, v89 :: v_dual_mul_f32 v11, v132, v89
	s_wait_loadcnt_dscnt 0x702
	v_mul_f32_e32 v13, v134, v91
	s_wait_loadcnt 0x5
	v_dual_mul_f32 v31, v115, v99 :: v_dual_fma_f32 v19, v130, v86, -v19
	v_dual_fmac_f32 v9, v131, v86 :: v_dual_mov_b32 v86, v101
	v_dual_mul_f32 v23, v135, v91 :: v_dual_mul_f32 v25, v137, v93
	v_dual_fmac_f32 v11, v133, v88 :: v_dual_fma_f32 v21, v132, v88, -v21
	s_delay_alu instid0(VALU_DEP_3) | instskip(SKIP_3) | instid1(VALU_DEP_3)
	v_dual_add_f32 v9, 0, v9 :: v_dual_add_f32 v19, 0, v19
	s_wait_dscnt 0x1
	v_dual_mul_f32 v15, v136, v93 :: v_dual_mul_f32 v17, v138, v95
	v_dual_fmac_f32 v13, v135, v90 :: v_dual_fma_f32 v23, v134, v90, -v23
	v_dual_add_f32 v9, v9, v11 :: v_dual_add_f32 v11, v19, v21
	v_dual_mul_f32 v27, v139, v95 :: v_dual_mul_f32 v29, v141, v97
	s_wait_loadcnt 0x4
	v_dual_mov_b32 v90, v105 :: v_dual_fma_f32 v19, v136, v92, -v25
	s_delay_alu instid0(VALU_DEP_3) | instskip(SKIP_2) | instid1(VALU_DEP_2)
	v_dual_fmac_f32 v15, v137, v92 :: v_dual_add_f32 v11, v11, v23
	v_dual_add_f32 v9, v9, v13 :: v_dual_fmac_f32 v17, v139, v94
	v_dual_mul_f32 v157, v140, v97 :: v_dual_mul_f32 v159, v114, v99
	v_dual_fma_f32 v13, v138, v94, -v27 :: v_dual_add_f32 v9, v9, v15
	s_delay_alu instid0(VALU_DEP_2) | instskip(SKIP_1) | instid1(VALU_DEP_3)
	v_dual_add_f32 v11, v11, v19 :: v_dual_fmac_f32 v157, v141, v96
	v_pk_mul_f32 v[88:89], v[118:119], v[102:103] op_sel:[1,1] op_sel_hi:[0,1]
	v_dual_fma_f32 v156, v140, v96, -v29 :: v_dual_add_f32 v95, v9, v17
	v_pk_mul_f32 v[86:87], v[148:149], v[86:87] op_sel_hi:[1,0]
	s_wait_loadcnt 0x3
	v_dual_add_f32 v94, v11, v13 :: v_dual_mov_b32 v96, v109
	v_fmac_f32_e32 v159, v115, v98
	v_fma_f32 v158, v114, v98, -v31
	v_pk_fma_f32 v[98:99], v[116:117], v[100:101], v[86:87] op_sel_hi:[1,0,1]
	s_delay_alu instid0(VALU_DEP_4) | instskip(SKIP_4) | instid1(VALU_DEP_4)
	v_pk_add_f32 v[94:95], v[94:95], v[156:157]
	v_pk_fma_f32 v[114:115], v[118:119], v[102:103], v[88:89] op_sel_hi:[1,0,1]
	v_pk_fma_f32 v[86:87], v[116:117], v[100:101], v[86:87] neg_lo:[0,0,1] neg_hi:[0,0,1]
	v_pk_fma_f32 v[88:89], v[118:119], v[102:103], v[88:89] neg_lo:[0,0,1] neg_hi:[0,0,1]
	v_pk_mul_f32 v[90:91], v[150:151], v[90:91] op_sel_hi:[1,0]
	v_dual_mov_b32 v87, v99 :: v_dual_mov_b32 v89, v115
	v_pk_add_f32 v[94:95], v[94:95], v[158:159]
	v_pk_mul_f32 v[92:93], v[122:123], v[106:107] op_sel:[1,1] op_sel_hi:[0,1]
	s_delay_alu instid0(VALU_DEP_4)
	v_pk_fma_f32 v[100:101], v[120:121], v[104:105], v[90:91] op_sel_hi:[1,0,1]
	v_pk_fma_f32 v[90:91], v[120:121], v[104:105], v[90:91] neg_lo:[0,0,1] neg_hi:[0,0,1]
	v_pk_mul_f32 v[96:97], v[152:153], v[96:97] op_sel_hi:[1,0]
	v_pk_add_f32 v[86:87], v[94:95], v[86:87]
	v_pk_fma_f32 v[94:95], v[122:123], v[106:107], v[92:93] op_sel_hi:[1,0,1]
	v_mov_b32_e32 v91, v101
	v_pk_fma_f32 v[92:93], v[122:123], v[106:107], v[92:93] neg_lo:[0,0,1] neg_hi:[0,0,1]
	s_wait_loadcnt 0x2
	v_pk_mul_f32 v[98:99], v[126:127], v[110:111] op_sel:[1,1] op_sel_hi:[0,1]
	v_pk_add_f32 v[86:87], v[86:87], v[88:89]
	v_dual_mov_b32 v88, v113 :: v_dual_mov_b32 v93, v95
	v_pk_fma_f32 v[94:95], v[124:125], v[108:109], v[96:97] op_sel_hi:[1,0,1]
	v_pk_fma_f32 v[96:97], v[124:125], v[108:109], v[96:97] neg_lo:[0,0,1] neg_hi:[0,0,1]
	s_delay_alu instid0(VALU_DEP_4)
	v_pk_add_f32 v[86:87], v[86:87], v[90:91]
	v_pk_fma_f32 v[90:91], v[126:127], v[110:111], v[98:99] op_sel_hi:[1,0,1]
	v_pk_mul_f32 v[88:89], v[154:155], v[88:89] op_sel_hi:[1,0]
	v_mov_b32_e32 v97, v95
	s_wait_loadcnt_dscnt 0x100
	v_pk_mul_f32 v[94:95], v[146:147], v[142:143] op_sel:[1,1] op_sel_hi:[0,1]
	v_pk_add_f32 v[86:87], v[86:87], v[92:93]
	v_pk_fma_f32 v[92:93], v[126:127], v[110:111], v[98:99] neg_lo:[0,0,1] neg_hi:[0,0,1]
	v_mov_b32_e32 v93, v91
	v_pk_fma_f32 v[90:91], v[128:129], v[112:113], v[88:89] op_sel_hi:[1,0,1]
	v_pk_fma_f32 v[88:89], v[128:129], v[112:113], v[88:89] neg_lo:[0,0,1] neg_hi:[0,0,1]
	v_pk_add_f32 v[86:87], v[86:87], v[96:97]
	s_delay_alu instid0(VALU_DEP_3) | instskip(SKIP_1) | instid1(VALU_DEP_3)
	v_mov_b32_e32 v89, v91
	v_pk_fma_f32 v[90:91], v[146:147], v[142:143], v[94:95] op_sel_hi:[1,0,1]
	v_pk_add_f32 v[86:87], v[86:87], v[92:93]
	v_pk_fma_f32 v[92:93], v[146:147], v[142:143], v[94:95] neg_lo:[0,0,1] neg_hi:[0,0,1]
	s_delay_alu instid0(VALU_DEP_3) | instskip(NEXT) | instid1(VALU_DEP_3)
	v_mov_b32_e32 v93, v91
	v_pk_add_f32 v[86:87], v[86:87], v[88:89]
	s_delay_alu instid0(VALU_DEP_1) | instskip(SKIP_1) | instid1(VALU_DEP_1)
	v_pk_add_f32 v[86:87], v[86:87], v[92:93]
	s_wait_loadcnt 0x0
	v_pk_add_f32 v[86:87], v[144:145], v[86:87] neg_lo:[0,1] neg_hi:[0,1]
	scratch_store_b64 off, v[86:87], off offset:208
	s_wait_xcnt 0x0
	v_cmpx_lt_u32_e32 25, v0
	s_cbranch_execz .LBB105_215
; %bb.214:
	scratch_load_b64 v[86:87], off, off offset:200
	v_mov_b64_e32 v[88:89], 0
	scratch_store_b64 off, v[88:89], off offset:200
	s_wait_loadcnt 0x0
	ds_store_b64 v1, v[86:87]
.LBB105_215:
	s_wait_xcnt 0x0
	s_or_b32 exec_lo, exec_lo, s0
	s_wait_storecnt_dscnt 0x0
	s_barrier_signal -1
	s_barrier_wait -1
	s_clause 0x8
	scratch_load_b128 v[86:89], off, off offset:208
	scratch_load_b128 v[90:93], off, off offset:224
	scratch_load_b128 v[94:97], off, off offset:240
	scratch_load_b128 v[98:101], off, off offset:256
	scratch_load_b128 v[102:105], off, off offset:272
	scratch_load_b128 v[106:109], off, off offset:288
	scratch_load_b128 v[110:113], off, off offset:304
	scratch_load_b128 v[114:117], off, off offset:320
	scratch_load_b64 v[150:151], off, off offset:200
	ds_load_b128 v[118:121], v7 offset:608
	ds_load_b128 v[122:125], v7 offset:624
	;; [unrolled: 1-line block ×8, first 2 shown]
	s_mov_b32 s0, exec_lo
	s_wait_dscnt 0x7
	v_dual_mov_b32 v152, v121 :: v_dual_mov_b32 v153, v120
	s_wait_dscnt 0x6
	v_dual_mov_b32 v154, v125 :: v_dual_mov_b32 v155, v124
	;; [unrolled: 2-line block ×4, first 2 shown]
	s_wait_loadcnt_dscnt 0x803
	v_dual_mul_f32 v7, v134, v87 :: v_dual_mul_f32 v9, v136, v89
	v_dual_mul_f32 v19, v135, v87 :: v_dual_mul_f32 v21, v137, v89
	s_wait_loadcnt_dscnt 0x702
	v_dual_mul_f32 v11, v138, v91 :: v_dual_mul_f32 v13, v140, v93
	s_delay_alu instid0(VALU_DEP_3) | instskip(SKIP_3) | instid1(VALU_DEP_3)
	v_dual_fmac_f32 v7, v135, v86 :: v_dual_fmac_f32 v9, v137, v88
	s_wait_loadcnt_dscnt 0x500
	v_dual_fma_f32 v19, v134, v86, -v19 :: v_dual_mul_f32 v31, v147, v99
	v_dual_mul_f32 v23, v139, v91 :: v_dual_mul_f32 v25, v141, v93
	v_dual_fma_f32 v21, v136, v88, -v21 :: v_dual_add_f32 v7, 0, v7
	s_delay_alu instid0(VALU_DEP_3) | instskip(SKIP_1) | instid1(VALU_DEP_3)
	v_dual_add_f32 v19, 0, v19 :: v_dual_mul_f32 v33, v149, v101
	v_dual_fmac_f32 v11, v139, v90 :: v_dual_fmac_f32 v13, v141, v92
	v_dual_fma_f32 v23, v138, v90, -v23 :: v_dual_add_f32 v7, v7, v9
	s_delay_alu instid0(VALU_DEP_3) | instskip(SKIP_4) | instid1(VALU_DEP_3)
	v_dual_add_f32 v9, v19, v21 :: v_dual_fma_f32 v19, v140, v92, -v25
	v_dual_mul_f32 v15, v142, v95 :: v_dual_mul_f32 v17, v144, v97
	v_dual_mul_f32 v27, v143, v95 :: v_dual_mul_f32 v29, v145, v97
	s_wait_loadcnt 0x4
	v_dual_add_f32 v7, v7, v11 :: v_dual_mov_b32 v88, v105
	v_dual_add_f32 v9, v9, v23 :: v_dual_fmac_f32 v15, v143, v94
	s_delay_alu instid0(VALU_DEP_2) | instskip(SKIP_1) | instid1(VALU_DEP_3)
	v_dual_fma_f32 v11, v142, v94, -v27 :: v_dual_add_f32 v7, v7, v13
	v_dual_mul_f32 v161, v146, v99 :: v_dual_mul_f32 v163, v148, v101
	v_dual_add_f32 v9, v9, v19 :: v_dual_fma_f32 v13, v144, v96, -v29
	s_delay_alu instid0(VALU_DEP_3) | instskip(SKIP_1) | instid1(VALU_DEP_3)
	v_dual_fmac_f32 v17, v145, v96 :: v_dual_add_f32 v7, v7, v15
	v_pk_mul_f32 v[86:87], v[118:119], v[102:103] op_sel:[1,1] op_sel_hi:[0,1]
	v_dual_add_f32 v9, v9, v11 :: v_dual_fmac_f32 v161, v147, v98
	s_wait_loadcnt 0x3
	v_dual_mov_b32 v92, v109 :: v_dual_fma_f32 v160, v146, v98, -v31
	v_dual_add_f32 v95, v7, v17 :: v_dual_fmac_f32 v163, v149, v100
	s_delay_alu instid0(VALU_DEP_3) | instskip(SKIP_3) | instid1(VALU_DEP_4)
	v_dual_add_f32 v94, v9, v13 :: v_dual_fma_f32 v162, v148, v100, -v33
	v_pk_fma_f32 v[96:97], v[118:119], v[102:103], v[86:87] op_sel_hi:[1,0,1]
	v_pk_mul_f32 v[88:89], v[152:153], v[88:89] op_sel_hi:[1,0]
	v_pk_fma_f32 v[86:87], v[118:119], v[102:103], v[86:87] neg_lo:[0,0,1] neg_hi:[0,0,1]
	v_pk_add_f32 v[94:95], v[94:95], v[160:161]
	v_pk_mul_f32 v[90:91], v[122:123], v[106:107] op_sel:[1,1] op_sel_hi:[0,1]
	v_mov_b32_e32 v87, v97
	v_pk_fma_f32 v[96:97], v[120:121], v[104:105], v[88:89] op_sel_hi:[1,0,1]
	v_pk_fma_f32 v[88:89], v[120:121], v[104:105], v[88:89] neg_lo:[0,0,1] neg_hi:[0,0,1]
	v_pk_add_f32 v[94:95], v[94:95], v[162:163]
	v_pk_fma_f32 v[100:101], v[122:123], v[106:107], v[90:91] op_sel_hi:[1,0,1]
	v_pk_mul_f32 v[92:93], v[154:155], v[92:93] op_sel_hi:[1,0]
	v_mov_b32_e32 v89, v97
	s_wait_loadcnt 0x2
	v_pk_mul_f32 v[98:99], v[126:127], v[110:111] op_sel:[1,1] op_sel_hi:[0,1]
	v_pk_add_f32 v[86:87], v[94:95], v[86:87]
	v_mov_b32_e32 v94, v113
	v_pk_fma_f32 v[90:91], v[122:123], v[106:107], v[90:91] neg_lo:[0,0,1] neg_hi:[0,0,1]
	v_mov_b32_e32 v91, v101
	v_pk_fma_f32 v[96:97], v[124:125], v[108:109], v[92:93] op_sel_hi:[1,0,1]
	v_pk_add_f32 v[86:87], v[86:87], v[88:89]
	v_pk_fma_f32 v[88:89], v[126:127], v[110:111], v[98:99] op_sel_hi:[1,0,1]
	v_pk_mul_f32 v[94:95], v[156:157], v[94:95] op_sel_hi:[1,0]
	v_pk_fma_f32 v[92:93], v[124:125], v[108:109], v[92:93] neg_lo:[0,0,1] neg_hi:[0,0,1]
	v_mov_b32_e32 v93, v97
	v_pk_add_f32 v[86:87], v[86:87], v[90:91]
	v_pk_fma_f32 v[96:97], v[126:127], v[110:111], v[98:99] neg_lo:[0,0,1] neg_hi:[0,0,1]
	v_mov_b32_e32 v97, v89
	v_pk_fma_f32 v[88:89], v[128:129], v[112:113], v[94:95] op_sel_hi:[1,0,1]
	s_wait_loadcnt 0x1
	v_pk_mul_f32 v[90:91], v[130:131], v[114:115] op_sel:[1,1] op_sel_hi:[0,1]
	v_pk_add_f32 v[86:87], v[86:87], v[92:93]
	v_mov_b32_e32 v88, v117
	v_pk_fma_f32 v[94:95], v[128:129], v[112:113], v[94:95] neg_lo:[0,0,1] neg_hi:[0,0,1]
	v_mov_b32_e32 v95, v89
	v_pk_fma_f32 v[92:93], v[130:131], v[114:115], v[90:91] op_sel_hi:[1,0,1]
	v_pk_add_f32 v[86:87], v[86:87], v[96:97]
	v_pk_mul_f32 v[88:89], v[158:159], v[88:89] op_sel_hi:[1,0]
	v_pk_fma_f32 v[90:91], v[130:131], v[114:115], v[90:91] neg_lo:[0,0,1] neg_hi:[0,0,1]
	s_delay_alu instid0(VALU_DEP_4) | instskip(NEXT) | instid1(VALU_DEP_4)
	v_mov_b32_e32 v91, v93
	v_pk_add_f32 v[86:87], v[86:87], v[94:95]
	s_delay_alu instid0(VALU_DEP_4) | instskip(SKIP_1) | instid1(VALU_DEP_2)
	v_pk_fma_f32 v[92:93], v[132:133], v[116:117], v[88:89] op_sel_hi:[1,0,1]
	v_pk_fma_f32 v[88:89], v[132:133], v[116:117], v[88:89] neg_lo:[0,0,1] neg_hi:[0,0,1]
	v_mov_b32_e32 v89, v93
	s_delay_alu instid0(VALU_DEP_4) | instskip(NEXT) | instid1(VALU_DEP_1)
	v_pk_add_f32 v[86:87], v[86:87], v[90:91]
	v_pk_add_f32 v[86:87], v[86:87], v[88:89]
	s_wait_loadcnt 0x0
	s_delay_alu instid0(VALU_DEP_1)
	v_pk_add_f32 v[86:87], v[150:151], v[86:87] neg_lo:[0,1] neg_hi:[0,1]
	scratch_store_b64 off, v[86:87], off offset:200
	s_wait_xcnt 0x0
	v_cmpx_lt_u32_e32 24, v0
	s_cbranch_execz .LBB105_217
; %bb.216:
	scratch_load_b64 v[86:87], off, off offset:192
	v_mov_b64_e32 v[88:89], 0
	scratch_store_b64 off, v[88:89], off offset:192
	s_wait_loadcnt 0x0
	ds_store_b64 v1, v[86:87]
.LBB105_217:
	s_wait_xcnt 0x0
	s_or_b32 exec_lo, exec_lo, s0
	s_wait_storecnt_dscnt 0x0
	s_barrier_signal -1
	s_barrier_wait -1
	s_clause 0x9
	scratch_load_b128 v[86:89], off, off offset:200
	scratch_load_b128 v[90:93], off, off offset:216
	;; [unrolled: 1-line block ×8, first 2 shown]
	scratch_load_b64 v[150:151], off, off offset:328
	scratch_load_b64 v[152:153], off, off offset:192
	v_mov_b32_e32 v7, 0
	ds_load_2addr_b64 v[118:121], v7 offset0:75 offset1:76
	ds_load_2addr_b64 v[122:125], v7 offset0:77 offset1:78
	;; [unrolled: 1-line block ×8, first 2 shown]
	ds_load_b64 v[154:155], v7 offset:664
	s_mov_b32 s0, exec_lo
	s_wait_dscnt 0x8
	v_dual_mov_b32 v156, v121 :: v_dual_mov_b32 v157, v120
	s_wait_dscnt 0x5
	v_dual_mov_b32 v158, v125 :: v_dual_mov_b32 v163, v132
	v_dual_mov_b32 v159, v124 :: v_dual_mov_b32 v160, v129
	;; [unrolled: 1-line block ×3, first 2 shown]
	s_wait_loadcnt_dscnt 0x904
	v_dual_mul_f32 v9, v134, v87 :: v_dual_mul_f32 v23, v135, v87
	v_dual_mul_f32 v25, v137, v89 :: v_dual_mul_f32 v11, v136, v89
	s_wait_loadcnt_dscnt 0x803
	v_mul_f32_e32 v13, v138, v91
	s_wait_loadcnt_dscnt 0x601
	v_dual_mul_f32 v35, v147, v99 :: v_dual_fma_f32 v23, v134, v86, -v23
	v_dual_fmac_f32 v9, v135, v86 :: v_dual_mul_f32 v37, v149, v101
	v_dual_mul_f32 v27, v139, v91 :: v_dual_mul_f32 v29, v141, v93
	v_dual_fmac_f32 v11, v137, v88 :: v_dual_fma_f32 v25, v136, v88, -v25
	s_delay_alu instid0(VALU_DEP_3) | instskip(SKIP_3) | instid1(VALU_DEP_3)
	v_dual_add_f32 v9, 0, v9 :: v_dual_add_f32 v23, 0, v23
	v_dual_mul_f32 v15, v140, v93 :: v_dual_mul_f32 v17, v142, v95
	s_wait_loadcnt 0x5
	v_dual_mul_f32 v39, v119, v103 :: v_dual_fma_f32 v27, v138, v90, -v27
	v_dual_fmac_f32 v13, v139, v90 :: v_dual_add_f32 v9, v9, v11
	v_dual_add_f32 v11, v23, v25 :: v_dual_mov_b32 v86, v105
	v_dual_mul_f32 v31, v143, v95 :: v_dual_mul_f32 v33, v145, v97
	v_dual_fmac_f32 v15, v141, v92 :: v_dual_fma_f32 v23, v140, v92, -v29
	s_delay_alu instid0(VALU_DEP_3) | instskip(SKIP_1) | instid1(VALU_DEP_4)
	v_dual_add_f32 v9, v9, v13 :: v_dual_add_f32 v11, v11, v27
	v_dual_mul_f32 v19, v144, v97 :: v_dual_mul_f32 v21, v146, v99
	v_dual_fmac_f32 v17, v143, v94 :: v_dual_fma_f32 v13, v142, v94, -v31
	s_delay_alu instid0(VALU_DEP_3) | instskip(SKIP_3) | instid1(VALU_DEP_3)
	v_dual_add_f32 v9, v9, v15 :: v_dual_fma_f32 v15, v144, v96, -v33
	s_wait_loadcnt 0x4
	v_dual_add_f32 v11, v11, v23 :: v_dual_mov_b32 v90, v109
	v_fmac_f32_e32 v19, v145, v96
	v_dual_add_f32 v9, v9, v17 :: v_dual_fmac_f32 v21, v147, v98
	s_delay_alu instid0(VALU_DEP_3) | instskip(SKIP_1) | instid1(VALU_DEP_3)
	v_add_f32_e32 v11, v11, v13
	v_dual_mul_f32 v165, v148, v101 :: v_dual_mul_f32 v167, v118, v103
	v_dual_fma_f32 v13, v146, v98, -v35 :: v_dual_add_f32 v9, v9, v19
	s_delay_alu instid0(VALU_DEP_2) | instskip(SKIP_1) | instid1(VALU_DEP_3)
	v_dual_add_f32 v11, v11, v15 :: v_dual_fmac_f32 v165, v149, v100
	v_pk_mul_f32 v[88:89], v[122:123], v[106:107] op_sel:[1,1] op_sel_hi:[0,1]
	v_dual_fma_f32 v164, v148, v100, -v37 :: v_dual_add_f32 v95, v9, v21
	v_pk_mul_f32 v[86:87], v[156:157], v[86:87] op_sel_hi:[1,0]
	s_wait_loadcnt 0x3
	v_dual_add_f32 v94, v11, v13 :: v_dual_mov_b32 v96, v113
	v_pk_fma_f32 v[100:101], v[122:123], v[106:107], v[88:89] op_sel_hi:[1,0,1]
	v_fmac_f32_e32 v167, v119, v102
	v_pk_fma_f32 v[98:99], v[120:121], v[104:105], v[86:87] op_sel_hi:[1,0,1]
	v_fma_f32 v166, v118, v102, -v39
	v_pk_add_f32 v[94:95], v[94:95], v[164:165]
	v_pk_fma_f32 v[86:87], v[120:121], v[104:105], v[86:87] neg_lo:[0,0,1] neg_hi:[0,0,1]
	v_pk_fma_f32 v[88:89], v[122:123], v[106:107], v[88:89] neg_lo:[0,0,1] neg_hi:[0,0,1]
	v_pk_mul_f32 v[90:91], v[158:159], v[90:91] op_sel_hi:[1,0]
	v_dual_mov_b32 v87, v99 :: v_dual_mov_b32 v89, v101
	v_pk_add_f32 v[94:95], v[94:95], v[166:167]
	v_pk_mul_f32 v[92:93], v[126:127], v[110:111] op_sel:[1,1] op_sel_hi:[0,1]
	s_delay_alu instid0(VALU_DEP_4)
	v_pk_fma_f32 v[100:101], v[124:125], v[108:109], v[90:91] op_sel_hi:[1,0,1]
	v_pk_fma_f32 v[90:91], v[124:125], v[108:109], v[90:91] neg_lo:[0,0,1] neg_hi:[0,0,1]
	v_pk_mul_f32 v[96:97], v[160:161], v[96:97] op_sel_hi:[1,0]
	v_pk_add_f32 v[86:87], v[94:95], v[86:87]
	v_pk_fma_f32 v[94:95], v[126:127], v[110:111], v[92:93] op_sel_hi:[1,0,1]
	v_mov_b32_e32 v91, v101
	v_pk_fma_f32 v[92:93], v[126:127], v[110:111], v[92:93] neg_lo:[0,0,1] neg_hi:[0,0,1]
	s_wait_loadcnt 0x2
	v_pk_mul_f32 v[98:99], v[130:131], v[114:115] op_sel:[1,1] op_sel_hi:[0,1]
	v_pk_add_f32 v[86:87], v[86:87], v[88:89]
	v_dual_mov_b32 v88, v117 :: v_dual_mov_b32 v93, v95
	v_pk_fma_f32 v[94:95], v[128:129], v[112:113], v[96:97] op_sel_hi:[1,0,1]
	v_pk_fma_f32 v[96:97], v[128:129], v[112:113], v[96:97] neg_lo:[0,0,1] neg_hi:[0,0,1]
	s_delay_alu instid0(VALU_DEP_4)
	v_pk_add_f32 v[86:87], v[86:87], v[90:91]
	v_pk_fma_f32 v[90:91], v[130:131], v[114:115], v[98:99] op_sel_hi:[1,0,1]
	v_pk_mul_f32 v[88:89], v[162:163], v[88:89] op_sel_hi:[1,0]
	v_mov_b32_e32 v97, v95
	s_wait_loadcnt_dscnt 0x100
	v_pk_mul_f32 v[94:95], v[154:155], v[150:151] op_sel:[1,1] op_sel_hi:[0,1]
	v_pk_add_f32 v[86:87], v[86:87], v[92:93]
	v_pk_fma_f32 v[92:93], v[130:131], v[114:115], v[98:99] neg_lo:[0,0,1] neg_hi:[0,0,1]
	v_mov_b32_e32 v93, v91
	v_pk_fma_f32 v[90:91], v[132:133], v[116:117], v[88:89] op_sel_hi:[1,0,1]
	v_pk_fma_f32 v[88:89], v[132:133], v[116:117], v[88:89] neg_lo:[0,0,1] neg_hi:[0,0,1]
	v_pk_add_f32 v[86:87], v[86:87], v[96:97]
	s_delay_alu instid0(VALU_DEP_3) | instskip(SKIP_1) | instid1(VALU_DEP_3)
	v_mov_b32_e32 v89, v91
	v_pk_fma_f32 v[90:91], v[154:155], v[150:151], v[94:95] op_sel_hi:[1,0,1]
	v_pk_add_f32 v[86:87], v[86:87], v[92:93]
	v_pk_fma_f32 v[92:93], v[154:155], v[150:151], v[94:95] neg_lo:[0,0,1] neg_hi:[0,0,1]
	s_delay_alu instid0(VALU_DEP_3) | instskip(NEXT) | instid1(VALU_DEP_3)
	v_mov_b32_e32 v93, v91
	v_pk_add_f32 v[86:87], v[86:87], v[88:89]
	s_delay_alu instid0(VALU_DEP_1) | instskip(SKIP_1) | instid1(VALU_DEP_1)
	v_pk_add_f32 v[86:87], v[86:87], v[92:93]
	s_wait_loadcnt 0x0
	v_pk_add_f32 v[86:87], v[152:153], v[86:87] neg_lo:[0,1] neg_hi:[0,1]
	scratch_store_b64 off, v[86:87], off offset:192
	s_wait_xcnt 0x0
	v_cmpx_lt_u32_e32 23, v0
	s_cbranch_execz .LBB105_219
; %bb.218:
	scratch_load_b64 v[86:87], off, off offset:184
	v_mov_b64_e32 v[88:89], 0
	scratch_store_b64 off, v[88:89], off offset:184
	s_wait_loadcnt 0x0
	ds_store_b64 v1, v[86:87]
.LBB105_219:
	s_wait_xcnt 0x0
	s_or_b32 exec_lo, exec_lo, s0
	s_wait_storecnt_dscnt 0x0
	s_barrier_signal -1
	s_barrier_wait -1
	s_clause 0x9
	scratch_load_b128 v[86:89], off, off offset:192
	scratch_load_b128 v[90:93], off, off offset:208
	;; [unrolled: 1-line block ×9, first 2 shown]
	scratch_load_b64 v[158:159], off, off offset:184
	ds_load_b128 v[122:125], v7 offset:608
	ds_load_b128 v[126:129], v7 offset:624
	ds_load_b128 v[130:133], v7 offset:640
	ds_load_b128 v[134:137], v7 offset:656
	ds_load_b128 v[138:141], v7 offset:528
	ds_load_b128 v[142:145], v7 offset:544
	ds_load_b128 v[146:149], v7 offset:560
	ds_load_b128 v[150:153], v7 offset:576
	ds_load_b128 v[154:157], v7 offset:592
	s_mov_b32 s0, exec_lo
	s_wait_dscnt 0x8
	v_dual_mov_b32 v160, v125 :: v_dual_mov_b32 v161, v124
	s_wait_dscnt 0x7
	v_dual_mov_b32 v162, v129 :: v_dual_mov_b32 v163, v128
	;; [unrolled: 2-line block ×4, first 2 shown]
	s_wait_loadcnt_dscnt 0x904
	v_dual_mul_f32 v7, v138, v87 :: v_dual_mul_f32 v9, v140, v89
	v_dual_mul_f32 v23, v139, v87 :: v_dual_mul_f32 v25, v141, v89
	s_wait_loadcnt_dscnt 0x803
	v_dual_mul_f32 v11, v142, v91 :: v_dual_mul_f32 v13, v144, v93
	s_delay_alu instid0(VALU_DEP_3) | instskip(SKIP_3) | instid1(VALU_DEP_3)
	v_dual_fmac_f32 v7, v139, v86 :: v_dual_fmac_f32 v9, v141, v88
	s_wait_loadcnt_dscnt 0x601
	v_dual_fma_f32 v23, v138, v86, -v23 :: v_dual_mul_f32 v35, v151, v99
	v_dual_mul_f32 v27, v143, v91 :: v_dual_mul_f32 v29, v145, v93
	v_dual_fma_f32 v25, v140, v88, -v25 :: v_dual_add_f32 v7, 0, v7
	s_delay_alu instid0(VALU_DEP_3) | instskip(SKIP_1) | instid1(VALU_DEP_3)
	v_dual_add_f32 v23, 0, v23 :: v_dual_mul_f32 v37, v153, v101
	v_dual_fmac_f32 v11, v143, v90 :: v_dual_fmac_f32 v13, v145, v92
	v_dual_fma_f32 v27, v142, v90, -v27 :: v_dual_add_f32 v7, v7, v9
	s_delay_alu instid0(VALU_DEP_3) | instskip(SKIP_2) | instid1(VALU_DEP_4)
	v_dual_add_f32 v9, v23, v25 :: v_dual_fma_f32 v25, v144, v92, -v29
	v_dual_mul_f32 v15, v146, v95 :: v_dual_mul_f32 v17, v148, v97
	v_dual_mul_f32 v31, v147, v95 :: v_dual_mul_f32 v33, v149, v97
	v_add_f32_e32 v7, v7, v11
	s_delay_alu instid0(VALU_DEP_3) | instskip(NEXT) | instid1(VALU_DEP_3)
	v_dual_add_f32 v9, v9, v27 :: v_dual_fmac_f32 v15, v147, v94
	v_fma_f32 v27, v146, v94, -v31
	v_dual_mul_f32 v19, v150, v99 :: v_dual_mul_f32 v21, v152, v101
	s_delay_alu instid0(VALU_DEP_4) | instskip(NEXT) | instid1(VALU_DEP_4)
	v_dual_add_f32 v7, v7, v13 :: v_dual_fmac_f32 v17, v149, v96
	v_dual_add_f32 v9, v9, v25 :: v_dual_fma_f32 v13, v148, v96, -v33
	s_wait_loadcnt 0x4
	s_delay_alu instid0(VALU_DEP_2) | instskip(NEXT) | instid1(VALU_DEP_2)
	v_dual_mov_b32 v88, v109 :: v_dual_add_f32 v7, v7, v15
	v_dual_fmac_f32 v19, v151, v98 :: v_dual_add_f32 v9, v9, v27
	v_fma_f32 v15, v150, v98, -v35
	s_wait_dscnt 0x0
	v_dual_mul_f32 v169, v154, v103 :: v_dual_mul_f32 v171, v156, v105
	v_add_f32_e32 v7, v7, v17
	v_dual_add_f32 v9, v9, v13 :: v_dual_fma_f32 v13, v152, v100, -v37
	v_dual_mul_f32 v23, v155, v103 :: v_dual_mul_f32 v11, v157, v105
	s_delay_alu instid0(VALU_DEP_3) | instskip(NEXT) | instid1(VALU_DEP_3)
	v_dual_fmac_f32 v21, v153, v100 :: v_dual_add_f32 v7, v7, v19
	v_dual_add_f32 v9, v9, v15 :: v_dual_fmac_f32 v169, v155, v102
	v_pk_mul_f32 v[86:87], v[122:123], v[106:107] op_sel:[1,1] op_sel_hi:[0,1]
	s_wait_loadcnt 0x3
	v_dual_mov_b32 v92, v113 :: v_dual_fma_f32 v168, v154, v102, -v23
	v_dual_add_f32 v95, v7, v21 :: v_dual_fmac_f32 v171, v157, v104
	v_dual_add_f32 v94, v9, v13 :: v_dual_fma_f32 v170, v156, v104, -v11
	v_pk_fma_f32 v[96:97], v[122:123], v[106:107], v[86:87] op_sel_hi:[1,0,1]
	v_pk_mul_f32 v[88:89], v[160:161], v[88:89] op_sel_hi:[1,0]
	v_pk_fma_f32 v[86:87], v[122:123], v[106:107], v[86:87] neg_lo:[0,0,1] neg_hi:[0,0,1]
	s_delay_alu instid0(VALU_DEP_4)
	v_pk_add_f32 v[94:95], v[94:95], v[168:169]
	v_pk_mul_f32 v[90:91], v[126:127], v[110:111] op_sel:[1,1] op_sel_hi:[0,1]
	v_mov_b32_e32 v87, v97
	v_pk_fma_f32 v[96:97], v[124:125], v[108:109], v[88:89] op_sel_hi:[1,0,1]
	v_pk_fma_f32 v[88:89], v[124:125], v[108:109], v[88:89] neg_lo:[0,0,1] neg_hi:[0,0,1]
	v_pk_add_f32 v[94:95], v[94:95], v[170:171]
	v_pk_fma_f32 v[100:101], v[126:127], v[110:111], v[90:91] op_sel_hi:[1,0,1]
	v_pk_mul_f32 v[92:93], v[162:163], v[92:93] op_sel_hi:[1,0]
	v_mov_b32_e32 v89, v97
	s_wait_loadcnt 0x2
	v_pk_mul_f32 v[98:99], v[130:131], v[114:115] op_sel:[1,1] op_sel_hi:[0,1]
	v_pk_add_f32 v[86:87], v[94:95], v[86:87]
	v_mov_b32_e32 v94, v117
	v_pk_fma_f32 v[90:91], v[126:127], v[110:111], v[90:91] neg_lo:[0,0,1] neg_hi:[0,0,1]
	v_mov_b32_e32 v91, v101
	v_pk_fma_f32 v[96:97], v[128:129], v[112:113], v[92:93] op_sel_hi:[1,0,1]
	v_pk_add_f32 v[86:87], v[86:87], v[88:89]
	v_pk_fma_f32 v[88:89], v[130:131], v[114:115], v[98:99] op_sel_hi:[1,0,1]
	v_pk_mul_f32 v[94:95], v[164:165], v[94:95] op_sel_hi:[1,0]
	v_pk_fma_f32 v[92:93], v[128:129], v[112:113], v[92:93] neg_lo:[0,0,1] neg_hi:[0,0,1]
	v_mov_b32_e32 v93, v97
	v_pk_add_f32 v[86:87], v[86:87], v[90:91]
	v_pk_fma_f32 v[96:97], v[130:131], v[114:115], v[98:99] neg_lo:[0,0,1] neg_hi:[0,0,1]
	v_mov_b32_e32 v97, v89
	v_pk_fma_f32 v[88:89], v[132:133], v[116:117], v[94:95] op_sel_hi:[1,0,1]
	s_wait_loadcnt 0x1
	v_pk_mul_f32 v[90:91], v[134:135], v[118:119] op_sel:[1,1] op_sel_hi:[0,1]
	v_pk_add_f32 v[86:87], v[86:87], v[92:93]
	v_mov_b32_e32 v88, v121
	v_pk_fma_f32 v[94:95], v[132:133], v[116:117], v[94:95] neg_lo:[0,0,1] neg_hi:[0,0,1]
	v_mov_b32_e32 v95, v89
	v_pk_fma_f32 v[92:93], v[134:135], v[118:119], v[90:91] op_sel_hi:[1,0,1]
	v_pk_add_f32 v[86:87], v[86:87], v[96:97]
	v_pk_mul_f32 v[88:89], v[166:167], v[88:89] op_sel_hi:[1,0]
	v_pk_fma_f32 v[90:91], v[134:135], v[118:119], v[90:91] neg_lo:[0,0,1] neg_hi:[0,0,1]
	s_delay_alu instid0(VALU_DEP_4) | instskip(NEXT) | instid1(VALU_DEP_4)
	v_mov_b32_e32 v91, v93
	v_pk_add_f32 v[86:87], v[86:87], v[94:95]
	s_delay_alu instid0(VALU_DEP_4) | instskip(SKIP_1) | instid1(VALU_DEP_2)
	v_pk_fma_f32 v[92:93], v[136:137], v[120:121], v[88:89] op_sel_hi:[1,0,1]
	v_pk_fma_f32 v[88:89], v[136:137], v[120:121], v[88:89] neg_lo:[0,0,1] neg_hi:[0,0,1]
	v_mov_b32_e32 v89, v93
	s_delay_alu instid0(VALU_DEP_4) | instskip(NEXT) | instid1(VALU_DEP_1)
	v_pk_add_f32 v[86:87], v[86:87], v[90:91]
	v_pk_add_f32 v[86:87], v[86:87], v[88:89]
	s_wait_loadcnt 0x0
	s_delay_alu instid0(VALU_DEP_1)
	v_pk_add_f32 v[86:87], v[158:159], v[86:87] neg_lo:[0,1] neg_hi:[0,1]
	scratch_store_b64 off, v[86:87], off offset:184
	s_wait_xcnt 0x0
	v_cmpx_lt_u32_e32 22, v0
	s_cbranch_execz .LBB105_221
; %bb.220:
	scratch_load_b64 v[86:87], off, off offset:176
	v_mov_b64_e32 v[88:89], 0
	scratch_store_b64 off, v[88:89], off offset:176
	s_wait_loadcnt 0x0
	ds_store_b64 v1, v[86:87]
.LBB105_221:
	s_wait_xcnt 0x0
	s_or_b32 exec_lo, exec_lo, s0
	s_wait_storecnt_dscnt 0x0
	s_barrier_signal -1
	s_barrier_wait -1
	s_clause 0xa
	scratch_load_b128 v[86:89], off, off offset:184
	scratch_load_b128 v[90:93], off, off offset:200
	;; [unrolled: 1-line block ×9, first 2 shown]
	scratch_load_b64 v[158:159], off, off offset:328
	scratch_load_b64 v[160:161], off, off offset:176
	v_mov_b32_e32 v7, 0
	ds_load_2addr_b64 v[122:125], v7 offset0:75 offset1:76
	ds_load_2addr_b64 v[126:129], v7 offset0:77 offset1:78
	;; [unrolled: 1-line block ×9, first 2 shown]
	ds_load_b64 v[162:163], v7 offset:664
	s_mov_b32 s0, exec_lo
	s_wait_dscnt 0x9
	v_dual_mov_b32 v164, v125 :: v_dual_mov_b32 v165, v124
	s_wait_dscnt 0x6
	v_dual_mov_b32 v166, v129 :: v_dual_mov_b32 v171, v136
	v_dual_mov_b32 v167, v128 :: v_dual_mov_b32 v168, v133
	;; [unrolled: 1-line block ×3, first 2 shown]
	s_wait_loadcnt_dscnt 0xa05
	v_dual_mul_f32 v9, v138, v87 :: v_dual_mul_f32 v27, v139, v87
	v_dual_mul_f32 v29, v141, v89 :: v_dual_mul_f32 v11, v140, v89
	s_wait_loadcnt_dscnt 0x904
	v_mul_f32_e32 v13, v142, v91
	s_wait_loadcnt_dscnt 0x702
	v_dual_mul_f32 v39, v151, v99 :: v_dual_fma_f32 v27, v138, v86, -v27
	v_dual_fmac_f32 v9, v139, v86 :: v_dual_mul_f32 v41, v153, v101
	v_dual_mul_f32 v31, v143, v91 :: v_dual_mul_f32 v33, v145, v93
	v_dual_fmac_f32 v11, v141, v88 :: v_dual_fma_f32 v29, v140, v88, -v29
	s_delay_alu instid0(VALU_DEP_3) | instskip(SKIP_3) | instid1(VALU_DEP_3)
	v_dual_add_f32 v9, 0, v9 :: v_dual_add_f32 v27, 0, v27
	v_dual_mul_f32 v15, v144, v93 :: v_dual_mul_f32 v17, v146, v95
	s_wait_loadcnt_dscnt 0x601
	v_dual_mul_f32 v43, v155, v103 :: v_dual_fma_f32 v31, v142, v90, -v31
	v_dual_fmac_f32 v13, v143, v90 :: v_dual_add_f32 v9, v9, v11
	s_delay_alu instid0(VALU_DEP_3) | instskip(SKIP_2) | instid1(VALU_DEP_3)
	v_dual_add_f32 v11, v27, v29 :: v_dual_fmac_f32 v15, v145, v92
	v_dual_mul_f32 v35, v147, v95 :: v_dual_mul_f32 v37, v149, v97
	v_dual_mul_f32 v27, v157, v105 :: v_dual_fma_f32 v29, v144, v92, -v33
	v_dual_add_f32 v9, v9, v13 :: v_dual_add_f32 v11, v11, v31
	v_dual_mul_f32 v19, v148, v97 :: v_dual_mul_f32 v21, v150, v99
	s_wait_loadcnt 0x5
	v_dual_mul_f32 v13, v123, v107 :: v_dual_fma_f32 v31, v146, v94, -v35
	s_delay_alu instid0(VALU_DEP_3) | instskip(SKIP_2) | instid1(VALU_DEP_2)
	v_dual_fmac_f32 v17, v147, v94 :: v_dual_add_f32 v9, v9, v15
	v_dual_add_f32 v11, v11, v29 :: v_dual_mov_b32 v86, v109
	v_dual_fmac_f32 v19, v149, v96 :: v_dual_fma_f32 v15, v148, v96, -v37
	v_dual_add_f32 v9, v9, v17 :: v_dual_add_f32 v11, v11, v31
	v_dual_mul_f32 v23, v152, v101 :: v_dual_mul_f32 v25, v154, v103
	v_dual_fmac_f32 v21, v151, v98 :: v_dual_fma_f32 v17, v150, v98, -v39
	s_delay_alu instid0(VALU_DEP_3) | instskip(SKIP_3) | instid1(VALU_DEP_3)
	v_add_f32_e32 v9, v9, v19
	s_wait_loadcnt 0x4
	v_dual_add_f32 v11, v11, v15 :: v_dual_mov_b32 v90, v113
	v_dual_fmac_f32 v23, v153, v100 :: v_dual_fma_f32 v15, v152, v100, -v41
	v_dual_add_f32 v9, v9, v21 :: v_dual_fmac_f32 v25, v155, v102
	s_delay_alu instid0(VALU_DEP_3) | instskip(SKIP_1) | instid1(VALU_DEP_3)
	v_add_f32_e32 v11, v11, v17
	v_dual_mul_f32 v173, v156, v105 :: v_dual_mul_f32 v175, v122, v107
	v_dual_fma_f32 v17, v154, v102, -v43 :: v_dual_add_f32 v9, v9, v23
	s_delay_alu instid0(VALU_DEP_2) | instskip(SKIP_2) | instid1(VALU_DEP_4)
	v_dual_add_f32 v11, v11, v15 :: v_dual_fmac_f32 v173, v157, v104
	v_fma_f32 v172, v156, v104, -v27
	v_pk_mul_f32 v[86:87], v[164:165], v[86:87] op_sel_hi:[1,0]
	v_add_f32_e32 v95, v9, v25
	s_wait_loadcnt 0x3
	v_dual_add_f32 v94, v11, v17 :: v_dual_mov_b32 v96, v117
	v_pk_mul_f32 v[88:89], v[126:127], v[110:111] op_sel:[1,1] op_sel_hi:[0,1]
	v_dual_fmac_f32 v175, v123, v106 :: v_dual_fma_f32 v174, v122, v106, -v13
	v_pk_fma_f32 v[98:99], v[124:125], v[108:109], v[86:87] op_sel_hi:[1,0,1]
	s_delay_alu instid0(VALU_DEP_4)
	v_pk_add_f32 v[94:95], v[94:95], v[172:173]
	v_pk_fma_f32 v[86:87], v[124:125], v[108:109], v[86:87] neg_lo:[0,0,1] neg_hi:[0,0,1]
	v_pk_fma_f32 v[100:101], v[126:127], v[110:111], v[88:89] op_sel_hi:[1,0,1]
	v_pk_mul_f32 v[90:91], v[166:167], v[90:91] op_sel_hi:[1,0]
	v_mov_b32_e32 v87, v99
	v_pk_add_f32 v[94:95], v[94:95], v[174:175]
	v_pk_fma_f32 v[88:89], v[126:127], v[110:111], v[88:89] neg_lo:[0,0,1] neg_hi:[0,0,1]
	v_pk_mul_f32 v[92:93], v[130:131], v[114:115] op_sel:[1,1] op_sel_hi:[0,1]
	v_mov_b32_e32 v89, v101
	v_pk_fma_f32 v[100:101], v[128:129], v[112:113], v[90:91] op_sel_hi:[1,0,1]
	v_pk_add_f32 v[86:87], v[94:95], v[86:87]
	v_pk_fma_f32 v[90:91], v[128:129], v[112:113], v[90:91] neg_lo:[0,0,1] neg_hi:[0,0,1]
	v_pk_fma_f32 v[94:95], v[130:131], v[114:115], v[92:93] op_sel_hi:[1,0,1]
	v_pk_mul_f32 v[96:97], v[168:169], v[96:97] op_sel_hi:[1,0]
	v_mov_b32_e32 v91, v101
	v_pk_add_f32 v[86:87], v[86:87], v[88:89]
	v_pk_fma_f32 v[92:93], v[130:131], v[114:115], v[92:93] neg_lo:[0,0,1] neg_hi:[0,0,1]
	s_wait_loadcnt 0x2
	v_pk_mul_f32 v[98:99], v[134:135], v[118:119] op_sel:[1,1] op_sel_hi:[0,1]
	v_dual_mov_b32 v88, v121 :: v_dual_mov_b32 v93, v95
	v_pk_fma_f32 v[94:95], v[132:133], v[116:117], v[96:97] op_sel_hi:[1,0,1]
	v_pk_add_f32 v[86:87], v[86:87], v[90:91]
	v_pk_fma_f32 v[96:97], v[132:133], v[116:117], v[96:97] neg_lo:[0,0,1] neg_hi:[0,0,1]
	v_pk_fma_f32 v[90:91], v[134:135], v[118:119], v[98:99] op_sel_hi:[1,0,1]
	v_pk_mul_f32 v[88:89], v[170:171], v[88:89] op_sel_hi:[1,0]
	v_mov_b32_e32 v97, v95
	v_pk_add_f32 v[86:87], v[86:87], v[92:93]
	v_pk_fma_f32 v[92:93], v[134:135], v[118:119], v[98:99] neg_lo:[0,0,1] neg_hi:[0,0,1]
	v_mov_b32_e32 v93, v91
	v_pk_fma_f32 v[90:91], v[136:137], v[120:121], v[88:89] op_sel_hi:[1,0,1]
	s_wait_loadcnt_dscnt 0x100
	v_pk_mul_f32 v[94:95], v[162:163], v[158:159] op_sel:[1,1] op_sel_hi:[0,1]
	v_pk_add_f32 v[86:87], v[86:87], v[96:97]
	v_pk_fma_f32 v[88:89], v[136:137], v[120:121], v[88:89] neg_lo:[0,0,1] neg_hi:[0,0,1]
	v_mov_b32_e32 v89, v91
	s_delay_alu instid0(VALU_DEP_4) | instskip(NEXT) | instid1(VALU_DEP_4)
	v_pk_fma_f32 v[90:91], v[162:163], v[158:159], v[94:95] op_sel_hi:[1,0,1]
	v_pk_add_f32 v[86:87], v[86:87], v[92:93]
	v_pk_fma_f32 v[92:93], v[162:163], v[158:159], v[94:95] neg_lo:[0,0,1] neg_hi:[0,0,1]
	s_delay_alu instid0(VALU_DEP_3) | instskip(NEXT) | instid1(VALU_DEP_3)
	v_mov_b32_e32 v93, v91
	v_pk_add_f32 v[86:87], v[86:87], v[88:89]
	s_delay_alu instid0(VALU_DEP_1) | instskip(SKIP_1) | instid1(VALU_DEP_1)
	v_pk_add_f32 v[86:87], v[86:87], v[92:93]
	s_wait_loadcnt 0x0
	v_pk_add_f32 v[86:87], v[160:161], v[86:87] neg_lo:[0,1] neg_hi:[0,1]
	scratch_store_b64 off, v[86:87], off offset:176
	s_wait_xcnt 0x0
	v_cmpx_lt_u32_e32 21, v0
	s_cbranch_execz .LBB105_223
; %bb.222:
	scratch_load_b64 v[86:87], off, off offset:168
	v_mov_b64_e32 v[88:89], 0
	scratch_store_b64 off, v[88:89], off offset:168
	s_wait_loadcnt 0x0
	ds_store_b64 v1, v[86:87]
.LBB105_223:
	s_wait_xcnt 0x0
	s_or_b32 exec_lo, exec_lo, s0
	s_wait_storecnt_dscnt 0x0
	s_barrier_signal -1
	s_barrier_wait -1
	s_clause 0xa
	scratch_load_b128 v[86:89], off, off offset:176
	scratch_load_b128 v[90:93], off, off offset:192
	;; [unrolled: 1-line block ×10, first 2 shown]
	scratch_load_b64 v[166:167], off, off offset:168
	ds_load_b128 v[126:129], v7 offset:608
	ds_load_b128 v[130:133], v7 offset:624
	;; [unrolled: 1-line block ×10, first 2 shown]
	s_mov_b32 s0, exec_lo
	s_wait_dscnt 0x9
	v_dual_mov_b32 v168, v129 :: v_dual_mov_b32 v169, v128
	s_wait_dscnt 0x8
	v_dual_mov_b32 v170, v133 :: v_dual_mov_b32 v171, v132
	;; [unrolled: 2-line block ×4, first 2 shown]
	s_wait_loadcnt_dscnt 0xa05
	v_dual_mul_f32 v7, v142, v87 :: v_dual_mul_f32 v9, v144, v89
	v_dual_mul_f32 v27, v143, v87 :: v_dual_mul_f32 v29, v145, v89
	s_wait_loadcnt_dscnt 0x904
	v_dual_mul_f32 v11, v146, v91 :: v_dual_mul_f32 v13, v148, v93
	s_delay_alu instid0(VALU_DEP_3) | instskip(SKIP_3) | instid1(VALU_DEP_3)
	v_dual_fmac_f32 v7, v143, v86 :: v_dual_fmac_f32 v9, v145, v88
	s_wait_loadcnt_dscnt 0x702
	v_dual_fma_f32 v27, v142, v86, -v27 :: v_dual_mul_f32 v39, v155, v99
	v_dual_mul_f32 v31, v147, v91 :: v_dual_mul_f32 v33, v149, v93
	v_dual_fma_f32 v29, v144, v88, -v29 :: v_dual_add_f32 v7, 0, v7
	s_delay_alu instid0(VALU_DEP_3) | instskip(SKIP_1) | instid1(VALU_DEP_3)
	v_dual_add_f32 v27, 0, v27 :: v_dual_mul_f32 v41, v157, v101
	v_dual_fmac_f32 v11, v147, v90 :: v_dual_fmac_f32 v13, v149, v92
	v_dual_fma_f32 v31, v146, v90, -v31 :: v_dual_add_f32 v7, v7, v9
	s_delay_alu instid0(VALU_DEP_3) | instskip(SKIP_2) | instid1(VALU_DEP_4)
	v_dual_add_f32 v9, v27, v29 :: v_dual_fma_f32 v29, v148, v92, -v33
	v_dual_mul_f32 v15, v150, v95 :: v_dual_mul_f32 v17, v152, v97
	v_dual_mul_f32 v35, v151, v95 :: v_dual_mul_f32 v37, v153, v97
	v_add_f32_e32 v7, v7, v11
	s_delay_alu instid0(VALU_DEP_3) | instskip(NEXT) | instid1(VALU_DEP_3)
	v_dual_add_f32 v9, v9, v31 :: v_dual_fmac_f32 v15, v151, v94
	v_fma_f32 v31, v150, v94, -v35
	v_dual_mul_f32 v19, v154, v99 :: v_dual_mul_f32 v21, v156, v101
	s_delay_alu instid0(VALU_DEP_4) | instskip(SKIP_2) | instid1(VALU_DEP_2)
	v_dual_add_f32 v7, v7, v13 :: v_dual_fmac_f32 v17, v153, v96
	s_wait_loadcnt_dscnt 0x500
	v_dual_add_f32 v9, v9, v29 :: v_dual_mul_f32 v13, v163, v107
	v_dual_fma_f32 v29, v152, v96, -v37 :: v_dual_add_f32 v7, v7, v15
	v_mul_f32_e32 v15, v165, v109
	s_delay_alu instid0(VALU_DEP_3) | instskip(NEXT) | instid1(VALU_DEP_3)
	v_dual_add_f32 v9, v9, v31 :: v_dual_fmac_f32 v19, v155, v98
	v_dual_fma_f32 v31, v154, v98, -v39 :: v_dual_add_f32 v7, v7, v17
	v_fmac_f32_e32 v21, v157, v100
	s_delay_alu instid0(VALU_DEP_3) | instskip(SKIP_4) | instid1(VALU_DEP_3)
	v_dual_add_f32 v9, v9, v29 :: v_dual_fma_f32 v17, v156, v100, -v41
	v_dual_mul_f32 v23, v158, v103 :: v_dual_mul_f32 v25, v160, v105
	v_dual_mul_f32 v27, v159, v103 :: v_dual_mul_f32 v11, v161, v105
	s_wait_loadcnt 0x4
	v_dual_add_f32 v7, v7, v19 :: v_dual_mov_b32 v88, v113
	v_dual_add_f32 v9, v9, v31 :: v_dual_fmac_f32 v23, v159, v102
	s_delay_alu instid0(VALU_DEP_2) | instskip(SKIP_1) | instid1(VALU_DEP_3)
	v_dual_fma_f32 v19, v158, v102, -v27 :: v_dual_add_f32 v7, v7, v21
	v_dual_mul_f32 v177, v162, v107 :: v_dual_mul_f32 v179, v164, v109
	v_dual_add_f32 v9, v9, v17 :: v_dual_fma_f32 v11, v160, v104, -v11
	s_delay_alu instid0(VALU_DEP_3) | instskip(SKIP_1) | instid1(VALU_DEP_3)
	v_dual_fmac_f32 v25, v161, v104 :: v_dual_add_f32 v7, v7, v23
	v_pk_mul_f32 v[86:87], v[126:127], v[110:111] op_sel:[1,1] op_sel_hi:[0,1]
	v_dual_add_f32 v9, v9, v19 :: v_dual_fmac_f32 v177, v163, v106
	s_wait_loadcnt 0x3
	v_dual_mov_b32 v92, v117 :: v_dual_fma_f32 v176, v162, v106, -v13
	s_delay_alu instid0(VALU_DEP_2)
	v_dual_add_f32 v95, v7, v25 :: v_dual_add_f32 v94, v9, v11
	v_fmac_f32_e32 v179, v165, v108
	v_pk_fma_f32 v[96:97], v[126:127], v[110:111], v[86:87] op_sel_hi:[1,0,1]
	v_fma_f32 v178, v164, v108, -v15
	v_pk_mul_f32 v[88:89], v[168:169], v[88:89] op_sel_hi:[1,0]
	v_pk_add_f32 v[94:95], v[94:95], v[176:177]
	v_pk_fma_f32 v[86:87], v[126:127], v[110:111], v[86:87] neg_lo:[0,0,1] neg_hi:[0,0,1]
	v_pk_mul_f32 v[90:91], v[130:131], v[114:115] op_sel:[1,1] op_sel_hi:[0,1]
	v_mov_b32_e32 v87, v97
	v_pk_fma_f32 v[96:97], v[128:129], v[112:113], v[88:89] op_sel_hi:[1,0,1]
	v_pk_add_f32 v[94:95], v[94:95], v[178:179]
	v_pk_fma_f32 v[88:89], v[128:129], v[112:113], v[88:89] neg_lo:[0,0,1] neg_hi:[0,0,1]
	v_pk_fma_f32 v[100:101], v[130:131], v[114:115], v[90:91] op_sel_hi:[1,0,1]
	v_pk_mul_f32 v[92:93], v[170:171], v[92:93] op_sel_hi:[1,0]
	v_mov_b32_e32 v89, v97
	v_pk_add_f32 v[86:87], v[94:95], v[86:87]
	s_wait_loadcnt 0x2
	v_pk_mul_f32 v[98:99], v[134:135], v[118:119] op_sel:[1,1] op_sel_hi:[0,1]
	v_mov_b32_e32 v94, v121
	v_pk_fma_f32 v[90:91], v[130:131], v[114:115], v[90:91] neg_lo:[0,0,1] neg_hi:[0,0,1]
	v_pk_fma_f32 v[96:97], v[132:133], v[116:117], v[92:93] op_sel_hi:[1,0,1]
	v_mov_b32_e32 v91, v101
	v_pk_add_f32 v[86:87], v[86:87], v[88:89]
	v_pk_fma_f32 v[88:89], v[134:135], v[118:119], v[98:99] op_sel_hi:[1,0,1]
	v_pk_mul_f32 v[94:95], v[172:173], v[94:95] op_sel_hi:[1,0]
	v_pk_fma_f32 v[92:93], v[132:133], v[116:117], v[92:93] neg_lo:[0,0,1] neg_hi:[0,0,1]
	v_mov_b32_e32 v93, v97
	v_pk_add_f32 v[86:87], v[86:87], v[90:91]
	v_pk_fma_f32 v[96:97], v[134:135], v[118:119], v[98:99] neg_lo:[0,0,1] neg_hi:[0,0,1]
	v_mov_b32_e32 v97, v89
	v_pk_fma_f32 v[88:89], v[136:137], v[120:121], v[94:95] op_sel_hi:[1,0,1]
	s_wait_loadcnt 0x1
	v_pk_mul_f32 v[90:91], v[138:139], v[122:123] op_sel:[1,1] op_sel_hi:[0,1]
	v_pk_add_f32 v[86:87], v[86:87], v[92:93]
	v_mov_b32_e32 v88, v125
	v_pk_fma_f32 v[94:95], v[136:137], v[120:121], v[94:95] neg_lo:[0,0,1] neg_hi:[0,0,1]
	s_delay_alu instid0(VALU_DEP_4)
	v_pk_fma_f32 v[92:93], v[138:139], v[122:123], v[90:91] op_sel_hi:[1,0,1]
	v_mov_b32_e32 v95, v89
	v_pk_add_f32 v[86:87], v[86:87], v[96:97]
	v_pk_mul_f32 v[88:89], v[174:175], v[88:89] op_sel_hi:[1,0]
	v_pk_fma_f32 v[90:91], v[138:139], v[122:123], v[90:91] neg_lo:[0,0,1] neg_hi:[0,0,1]
	v_mov_b32_e32 v91, v93
	s_delay_alu instid0(VALU_DEP_4) | instskip(NEXT) | instid1(VALU_DEP_4)
	v_pk_add_f32 v[86:87], v[86:87], v[94:95]
	v_pk_fma_f32 v[92:93], v[140:141], v[124:125], v[88:89] op_sel_hi:[1,0,1]
	v_pk_fma_f32 v[88:89], v[140:141], v[124:125], v[88:89] neg_lo:[0,0,1] neg_hi:[0,0,1]
	s_delay_alu instid0(VALU_DEP_3) | instskip(NEXT) | instid1(VALU_DEP_3)
	v_pk_add_f32 v[86:87], v[86:87], v[90:91]
	v_mov_b32_e32 v89, v93
	s_delay_alu instid0(VALU_DEP_1) | instskip(SKIP_1) | instid1(VALU_DEP_1)
	v_pk_add_f32 v[86:87], v[86:87], v[88:89]
	s_wait_loadcnt 0x0
	v_pk_add_f32 v[86:87], v[166:167], v[86:87] neg_lo:[0,1] neg_hi:[0,1]
	scratch_store_b64 off, v[86:87], off offset:168
	s_wait_xcnt 0x0
	v_cmpx_lt_u32_e32 20, v0
	s_cbranch_execz .LBB105_225
; %bb.224:
	scratch_load_b64 v[86:87], off, off offset:160
	v_mov_b64_e32 v[88:89], 0
	scratch_store_b64 off, v[88:89], off offset:160
	s_wait_loadcnt 0x0
	ds_store_b64 v1, v[86:87]
.LBB105_225:
	s_wait_xcnt 0x0
	s_or_b32 exec_lo, exec_lo, s0
	s_wait_storecnt_dscnt 0x0
	s_barrier_signal -1
	s_barrier_wait -1
	s_clause 0xb
	scratch_load_b128 v[86:89], off, off offset:168
	scratch_load_b128 v[90:93], off, off offset:184
	;; [unrolled: 1-line block ×10, first 2 shown]
	scratch_load_b64 v[166:167], off, off offset:328
	scratch_load_b64 v[168:169], off, off offset:160
	v_mov_b32_e32 v7, 0
	ds_load_2addr_b64 v[126:129], v7 offset0:75 offset1:76
	ds_load_2addr_b64 v[130:133], v7 offset0:77 offset1:78
	;; [unrolled: 1-line block ×10, first 2 shown]
	ds_load_b64 v[170:171], v7 offset:664
	s_mov_b32 s0, exec_lo
	s_wait_dscnt 0xa
	v_dual_mov_b32 v172, v129 :: v_dual_mov_b32 v173, v128
	s_wait_dscnt 0x7
	v_dual_mov_b32 v174, v133 :: v_dual_mov_b32 v179, v140
	v_dual_mov_b32 v175, v132 :: v_dual_mov_b32 v176, v137
	v_dual_mov_b32 v177, v136 :: v_dual_mov_b32 v178, v141
	s_wait_loadcnt_dscnt 0xb06
	v_dual_mul_f32 v9, v142, v87 :: v_dual_mul_f32 v31, v143, v87
	v_dual_mul_f32 v33, v145, v89 :: v_dual_mul_f32 v11, v144, v89
	s_wait_loadcnt_dscnt 0xa05
	v_mul_f32_e32 v13, v146, v91
	s_wait_loadcnt_dscnt 0x803
	v_dual_mul_f32 v43, v155, v99 :: v_dual_fma_f32 v31, v142, v86, -v31
	v_dual_fmac_f32 v9, v143, v86 :: v_dual_mul_f32 v45, v157, v101
	v_dual_mul_f32 v35, v147, v91 :: v_dual_mul_f32 v37, v149, v93
	v_dual_fmac_f32 v11, v145, v88 :: v_dual_fma_f32 v33, v144, v88, -v33
	s_delay_alu instid0(VALU_DEP_3) | instskip(SKIP_3) | instid1(VALU_DEP_3)
	v_dual_add_f32 v9, 0, v9 :: v_dual_add_f32 v31, 0, v31
	v_dual_mul_f32 v15, v148, v93 :: v_dual_mul_f32 v17, v150, v95
	s_wait_loadcnt_dscnt 0x702
	v_dual_mul_f32 v47, v159, v103 :: v_dual_fma_f32 v35, v146, v90, -v35
	v_dual_fmac_f32 v13, v147, v90 :: v_dual_add_f32 v9, v9, v11
	s_delay_alu instid0(VALU_DEP_3) | instskip(SKIP_2) | instid1(VALU_DEP_3)
	v_dual_add_f32 v11, v31, v33 :: v_dual_fmac_f32 v15, v149, v92
	v_dual_mul_f32 v39, v151, v95 :: v_dual_mul_f32 v41, v153, v97
	v_dual_mul_f32 v31, v161, v105 :: v_dual_fma_f32 v33, v148, v92, -v37
	v_dual_add_f32 v9, v9, v13 :: v_dual_add_f32 v11, v11, v35
	v_dual_mul_f32 v19, v152, v97 :: v_dual_mul_f32 v21, v154, v99
	s_wait_loadcnt_dscnt 0x601
	v_dual_mul_f32 v13, v163, v107 :: v_dual_fma_f32 v35, v150, v94, -v39
	s_delay_alu instid0(VALU_DEP_3) | instskip(NEXT) | instid1(VALU_DEP_3)
	v_dual_fmac_f32 v17, v151, v94 :: v_dual_add_f32 v9, v9, v15
	v_dual_add_f32 v11, v11, v33 :: v_dual_fmac_f32 v19, v153, v96
	v_dual_mul_f32 v15, v165, v109 :: v_dual_fma_f32 v33, v152, v96, -v41
	s_delay_alu instid0(VALU_DEP_2) | instskip(SKIP_3) | instid1(VALU_DEP_3)
	v_dual_add_f32 v9, v9, v17 :: v_dual_add_f32 v11, v11, v35
	v_dual_mul_f32 v23, v156, v101 :: v_dual_mul_f32 v25, v158, v103
	s_wait_loadcnt 0x5
	v_dual_mul_f32 v17, v127, v111 :: v_dual_fma_f32 v35, v154, v98, -v43
	v_dual_fmac_f32 v21, v155, v98 :: v_dual_add_f32 v9, v9, v19
	v_dual_add_f32 v11, v11, v33 :: v_dual_mov_b32 v86, v113
	v_dual_fmac_f32 v23, v157, v100 :: v_dual_fma_f32 v19, v156, v100, -v45
	s_delay_alu instid0(VALU_DEP_2) | instskip(SKIP_2) | instid1(VALU_DEP_3)
	v_dual_add_f32 v9, v9, v21 :: v_dual_add_f32 v11, v11, v35
	v_dual_mul_f32 v27, v160, v105 :: v_dual_mul_f32 v29, v162, v107
	v_dual_fmac_f32 v25, v159, v102 :: v_dual_fma_f32 v21, v158, v102, -v47
	v_add_f32_e32 v9, v9, v23
	s_wait_loadcnt 0x4
	v_dual_add_f32 v11, v11, v19 :: v_dual_mov_b32 v90, v117
	v_fmac_f32_e32 v27, v161, v104
	s_delay_alu instid0(VALU_DEP_3) | instskip(SKIP_1) | instid1(VALU_DEP_4)
	v_dual_fma_f32 v19, v160, v104, -v31 :: v_dual_add_f32 v9, v9, v25
	v_fmac_f32_e32 v29, v163, v106
	v_add_f32_e32 v11, v11, v21
	v_dual_mul_f32 v181, v164, v109 :: v_dual_mul_f32 v183, v126, v111
	s_delay_alu instid0(VALU_DEP_4) | instskip(NEXT) | instid1(VALU_DEP_2)
	v_dual_fma_f32 v13, v162, v106, -v13 :: v_dual_add_f32 v9, v9, v27
	v_dual_add_f32 v11, v11, v19 :: v_dual_fmac_f32 v181, v165, v108
	v_fma_f32 v180, v164, v108, -v15
	v_pk_mul_f32 v[86:87], v[172:173], v[86:87] op_sel_hi:[1,0]
	s_delay_alu instid0(VALU_DEP_4)
	v_add_f32_e32 v95, v9, v29
	s_wait_loadcnt 0x3
	v_dual_add_f32 v94, v11, v13 :: v_dual_mov_b32 v96, v121
	v_pk_mul_f32 v[88:89], v[130:131], v[114:115] op_sel:[1,1] op_sel_hi:[0,1]
	v_dual_fmac_f32 v183, v127, v110 :: v_dual_fma_f32 v182, v126, v110, -v17
	v_pk_fma_f32 v[98:99], v[128:129], v[112:113], v[86:87] op_sel_hi:[1,0,1]
	s_delay_alu instid0(VALU_DEP_4)
	v_pk_add_f32 v[94:95], v[94:95], v[180:181]
	v_pk_fma_f32 v[86:87], v[128:129], v[112:113], v[86:87] neg_lo:[0,0,1] neg_hi:[0,0,1]
	v_pk_fma_f32 v[100:101], v[130:131], v[114:115], v[88:89] op_sel_hi:[1,0,1]
	v_pk_mul_f32 v[90:91], v[174:175], v[90:91] op_sel_hi:[1,0]
	v_mov_b32_e32 v87, v99
	v_pk_add_f32 v[94:95], v[94:95], v[182:183]
	v_pk_fma_f32 v[88:89], v[130:131], v[114:115], v[88:89] neg_lo:[0,0,1] neg_hi:[0,0,1]
	v_pk_mul_f32 v[92:93], v[134:135], v[118:119] op_sel:[1,1] op_sel_hi:[0,1]
	v_mov_b32_e32 v89, v101
	v_pk_fma_f32 v[100:101], v[132:133], v[116:117], v[90:91] op_sel_hi:[1,0,1]
	v_pk_add_f32 v[86:87], v[94:95], v[86:87]
	v_pk_fma_f32 v[90:91], v[132:133], v[116:117], v[90:91] neg_lo:[0,0,1] neg_hi:[0,0,1]
	v_pk_fma_f32 v[94:95], v[134:135], v[118:119], v[92:93] op_sel_hi:[1,0,1]
	v_pk_mul_f32 v[96:97], v[176:177], v[96:97] op_sel_hi:[1,0]
	v_mov_b32_e32 v91, v101
	v_pk_add_f32 v[86:87], v[86:87], v[88:89]
	v_pk_fma_f32 v[92:93], v[134:135], v[118:119], v[92:93] neg_lo:[0,0,1] neg_hi:[0,0,1]
	s_wait_loadcnt 0x2
	v_pk_mul_f32 v[98:99], v[138:139], v[122:123] op_sel:[1,1] op_sel_hi:[0,1]
	v_dual_mov_b32 v88, v125 :: v_dual_mov_b32 v93, v95
	v_pk_fma_f32 v[94:95], v[136:137], v[120:121], v[96:97] op_sel_hi:[1,0,1]
	v_pk_add_f32 v[86:87], v[86:87], v[90:91]
	v_pk_fma_f32 v[96:97], v[136:137], v[120:121], v[96:97] neg_lo:[0,0,1] neg_hi:[0,0,1]
	v_pk_fma_f32 v[90:91], v[138:139], v[122:123], v[98:99] op_sel_hi:[1,0,1]
	v_pk_mul_f32 v[88:89], v[178:179], v[88:89] op_sel_hi:[1,0]
	v_mov_b32_e32 v97, v95
	v_pk_add_f32 v[86:87], v[86:87], v[92:93]
	v_pk_fma_f32 v[92:93], v[138:139], v[122:123], v[98:99] neg_lo:[0,0,1] neg_hi:[0,0,1]
	v_mov_b32_e32 v93, v91
	v_pk_fma_f32 v[90:91], v[140:141], v[124:125], v[88:89] op_sel_hi:[1,0,1]
	s_wait_loadcnt_dscnt 0x100
	v_pk_mul_f32 v[94:95], v[170:171], v[166:167] op_sel:[1,1] op_sel_hi:[0,1]
	v_pk_add_f32 v[86:87], v[86:87], v[96:97]
	v_pk_fma_f32 v[88:89], v[140:141], v[124:125], v[88:89] neg_lo:[0,0,1] neg_hi:[0,0,1]
	v_mov_b32_e32 v89, v91
	s_delay_alu instid0(VALU_DEP_4) | instskip(NEXT) | instid1(VALU_DEP_4)
	v_pk_fma_f32 v[90:91], v[170:171], v[166:167], v[94:95] op_sel_hi:[1,0,1]
	v_pk_add_f32 v[86:87], v[86:87], v[92:93]
	v_pk_fma_f32 v[92:93], v[170:171], v[166:167], v[94:95] neg_lo:[0,0,1] neg_hi:[0,0,1]
	s_delay_alu instid0(VALU_DEP_3) | instskip(NEXT) | instid1(VALU_DEP_3)
	v_mov_b32_e32 v93, v91
	v_pk_add_f32 v[86:87], v[86:87], v[88:89]
	s_delay_alu instid0(VALU_DEP_1) | instskip(SKIP_1) | instid1(VALU_DEP_1)
	v_pk_add_f32 v[86:87], v[86:87], v[92:93]
	s_wait_loadcnt 0x0
	v_pk_add_f32 v[86:87], v[168:169], v[86:87] neg_lo:[0,1] neg_hi:[0,1]
	scratch_store_b64 off, v[86:87], off offset:160
	s_wait_xcnt 0x0
	v_cmpx_lt_u32_e32 19, v0
	s_cbranch_execz .LBB105_227
; %bb.226:
	scratch_load_b64 v[86:87], off, off offset:152
	v_mov_b64_e32 v[88:89], 0
	scratch_store_b64 off, v[88:89], off offset:152
	s_wait_loadcnt 0x0
	ds_store_b64 v1, v[86:87]
.LBB105_227:
	s_wait_xcnt 0x0
	s_or_b32 exec_lo, exec_lo, s0
	s_wait_storecnt_dscnt 0x0
	s_barrier_signal -1
	s_barrier_wait -1
	s_clause 0xb
	scratch_load_b128 v[86:89], off, off offset:160
	scratch_load_b128 v[90:93], off, off offset:176
	;; [unrolled: 1-line block ×11, first 2 shown]
	scratch_load_b64 v[174:175], off, off offset:152
	ds_load_b128 v[130:133], v7 offset:608
	ds_load_b128 v[134:137], v7 offset:624
	;; [unrolled: 1-line block ×11, first 2 shown]
	s_mov_b32 s0, exec_lo
	s_wait_dscnt 0xa
	v_dual_mov_b32 v176, v133 :: v_dual_mov_b32 v177, v132
	s_wait_dscnt 0x9
	v_dual_mov_b32 v178, v137 :: v_dual_mov_b32 v179, v136
	;; [unrolled: 2-line block ×4, first 2 shown]
	s_wait_loadcnt_dscnt 0xb06
	v_dual_mul_f32 v7, v146, v87 :: v_dual_mul_f32 v9, v148, v89
	v_dual_mul_f32 v31, v147, v87 :: v_dual_mul_f32 v33, v149, v89
	s_wait_loadcnt_dscnt 0xa05
	v_dual_mul_f32 v11, v150, v91 :: v_dual_mul_f32 v13, v152, v93
	s_delay_alu instid0(VALU_DEP_3) | instskip(SKIP_3) | instid1(VALU_DEP_3)
	v_dual_fmac_f32 v7, v147, v86 :: v_dual_fmac_f32 v9, v149, v88
	s_wait_loadcnt_dscnt 0x803
	v_dual_fma_f32 v31, v146, v86, -v31 :: v_dual_mul_f32 v43, v159, v99
	v_dual_mul_f32 v35, v151, v91 :: v_dual_mul_f32 v37, v153, v93
	v_dual_fma_f32 v33, v148, v88, -v33 :: v_dual_add_f32 v7, 0, v7
	s_delay_alu instid0(VALU_DEP_3) | instskip(SKIP_1) | instid1(VALU_DEP_3)
	v_dual_add_f32 v31, 0, v31 :: v_dual_mul_f32 v45, v161, v101
	v_dual_fmac_f32 v11, v151, v90 :: v_dual_fmac_f32 v13, v153, v92
	v_dual_fma_f32 v35, v150, v90, -v35 :: v_dual_add_f32 v7, v7, v9
	s_delay_alu instid0(VALU_DEP_3) | instskip(SKIP_2) | instid1(VALU_DEP_4)
	v_dual_add_f32 v9, v31, v33 :: v_dual_fma_f32 v33, v152, v92, -v37
	v_dual_mul_f32 v15, v154, v95 :: v_dual_mul_f32 v17, v156, v97
	v_dual_mul_f32 v39, v155, v95 :: v_dual_mul_f32 v41, v157, v97
	v_add_f32_e32 v7, v7, v11
	s_delay_alu instid0(VALU_DEP_3) | instskip(NEXT) | instid1(VALU_DEP_3)
	v_dual_add_f32 v9, v9, v35 :: v_dual_fmac_f32 v15, v155, v94
	v_fma_f32 v35, v154, v94, -v39
	v_dual_mul_f32 v19, v158, v99 :: v_dual_mul_f32 v21, v160, v101
	s_delay_alu instid0(VALU_DEP_4) | instskip(SKIP_2) | instid1(VALU_DEP_2)
	v_dual_add_f32 v7, v7, v13 :: v_dual_fmac_f32 v17, v157, v96
	s_wait_loadcnt_dscnt 0x601
	v_dual_add_f32 v9, v9, v33 :: v_dual_mul_f32 v13, v167, v107
	v_dual_fma_f32 v33, v156, v96, -v41 :: v_dual_add_f32 v7, v7, v15
	v_mul_f32_e32 v15, v169, v109
	s_delay_alu instid0(VALU_DEP_3) | instskip(NEXT) | instid1(VALU_DEP_3)
	v_dual_add_f32 v9, v9, v35 :: v_dual_fmac_f32 v19, v159, v98
	v_dual_fma_f32 v35, v158, v98, -v43 :: v_dual_add_f32 v7, v7, v17
	v_fmac_f32_e32 v21, v161, v100
	s_wait_loadcnt_dscnt 0x500
	s_delay_alu instid0(VALU_DEP_3) | instskip(SKIP_3) | instid1(VALU_DEP_3)
	v_dual_add_f32 v9, v9, v33 :: v_dual_mul_f32 v17, v171, v111
	v_dual_mul_f32 v23, v162, v103 :: v_dual_mul_f32 v25, v164, v105
	v_dual_mul_f32 v31, v163, v103 :: v_dual_mul_f32 v11, v165, v105
	v_dual_fma_f32 v33, v160, v100, -v45 :: v_dual_add_f32 v7, v7, v19
	v_dual_add_f32 v9, v9, v35 :: v_dual_fmac_f32 v23, v163, v102
	s_delay_alu instid0(VALU_DEP_3) | instskip(NEXT) | instid1(VALU_DEP_3)
	v_dual_mul_f32 v19, v173, v113 :: v_dual_fma_f32 v31, v162, v102, -v31
	v_dual_add_f32 v7, v7, v21 :: v_dual_fmac_f32 v25, v165, v104
	s_delay_alu instid0(VALU_DEP_3) | instskip(SKIP_2) | instid1(VALU_DEP_3)
	v_dual_add_f32 v9, v9, v33 :: v_dual_fma_f32 v11, v164, v104, -v11
	v_dual_mul_f32 v27, v166, v107 :: v_dual_mul_f32 v29, v168, v109
	s_wait_loadcnt 0x4
	v_dual_add_f32 v7, v7, v23 :: v_dual_mov_b32 v88, v117
	s_delay_alu instid0(VALU_DEP_2) | instskip(NEXT) | instid1(VALU_DEP_2)
	v_dual_add_f32 v9, v9, v31 :: v_dual_fmac_f32 v27, v167, v106
	v_dual_fma_f32 v13, v166, v106, -v13 :: v_dual_add_f32 v7, v7, v25
	v_dual_mul_f32 v185, v170, v111 :: v_dual_mul_f32 v187, v172, v113
	s_delay_alu instid0(VALU_DEP_3) | instskip(NEXT) | instid1(VALU_DEP_3)
	v_dual_add_f32 v9, v9, v11 :: v_dual_fma_f32 v11, v168, v108, -v15
	v_dual_fmac_f32 v29, v169, v108 :: v_dual_add_f32 v7, v7, v27
	v_pk_mul_f32 v[86:87], v[130:131], v[114:115] op_sel:[1,1] op_sel_hi:[0,1]
	s_delay_alu instid0(VALU_DEP_3) | instskip(SKIP_2) | instid1(VALU_DEP_2)
	v_dual_add_f32 v9, v9, v13 :: v_dual_fmac_f32 v185, v171, v110
	s_wait_loadcnt 0x3
	v_dual_mov_b32 v92, v121 :: v_dual_fma_f32 v184, v170, v110, -v17
	v_dual_add_f32 v95, v7, v29 :: v_dual_add_f32 v94, v9, v11
	v_fmac_f32_e32 v187, v173, v112
	v_pk_fma_f32 v[96:97], v[130:131], v[114:115], v[86:87] op_sel_hi:[1,0,1]
	v_fma_f32 v186, v172, v112, -v19
	v_pk_mul_f32 v[88:89], v[176:177], v[88:89] op_sel_hi:[1,0]
	v_pk_add_f32 v[94:95], v[94:95], v[184:185]
	v_pk_fma_f32 v[86:87], v[130:131], v[114:115], v[86:87] neg_lo:[0,0,1] neg_hi:[0,0,1]
	v_pk_mul_f32 v[90:91], v[134:135], v[118:119] op_sel:[1,1] op_sel_hi:[0,1]
	v_mov_b32_e32 v87, v97
	v_pk_fma_f32 v[96:97], v[132:133], v[116:117], v[88:89] op_sel_hi:[1,0,1]
	v_pk_add_f32 v[94:95], v[94:95], v[186:187]
	v_pk_fma_f32 v[88:89], v[132:133], v[116:117], v[88:89] neg_lo:[0,0,1] neg_hi:[0,0,1]
	v_pk_fma_f32 v[100:101], v[134:135], v[118:119], v[90:91] op_sel_hi:[1,0,1]
	v_pk_mul_f32 v[92:93], v[178:179], v[92:93] op_sel_hi:[1,0]
	v_mov_b32_e32 v89, v97
	v_pk_add_f32 v[86:87], v[94:95], v[86:87]
	s_wait_loadcnt 0x2
	v_pk_mul_f32 v[98:99], v[138:139], v[122:123] op_sel:[1,1] op_sel_hi:[0,1]
	v_mov_b32_e32 v94, v125
	v_pk_fma_f32 v[90:91], v[134:135], v[118:119], v[90:91] neg_lo:[0,0,1] neg_hi:[0,0,1]
	v_pk_fma_f32 v[96:97], v[136:137], v[120:121], v[92:93] op_sel_hi:[1,0,1]
	v_mov_b32_e32 v91, v101
	v_pk_add_f32 v[86:87], v[86:87], v[88:89]
	v_pk_fma_f32 v[88:89], v[138:139], v[122:123], v[98:99] op_sel_hi:[1,0,1]
	v_pk_mul_f32 v[94:95], v[180:181], v[94:95] op_sel_hi:[1,0]
	v_pk_fma_f32 v[92:93], v[136:137], v[120:121], v[92:93] neg_lo:[0,0,1] neg_hi:[0,0,1]
	v_mov_b32_e32 v93, v97
	v_pk_add_f32 v[86:87], v[86:87], v[90:91]
	v_pk_fma_f32 v[96:97], v[138:139], v[122:123], v[98:99] neg_lo:[0,0,1] neg_hi:[0,0,1]
	v_mov_b32_e32 v97, v89
	v_pk_fma_f32 v[88:89], v[140:141], v[124:125], v[94:95] op_sel_hi:[1,0,1]
	s_wait_loadcnt 0x1
	v_pk_mul_f32 v[90:91], v[142:143], v[126:127] op_sel:[1,1] op_sel_hi:[0,1]
	v_pk_add_f32 v[86:87], v[86:87], v[92:93]
	v_mov_b32_e32 v88, v129
	v_pk_fma_f32 v[94:95], v[140:141], v[124:125], v[94:95] neg_lo:[0,0,1] neg_hi:[0,0,1]
	s_delay_alu instid0(VALU_DEP_4)
	v_pk_fma_f32 v[92:93], v[142:143], v[126:127], v[90:91] op_sel_hi:[1,0,1]
	v_mov_b32_e32 v95, v89
	v_pk_add_f32 v[86:87], v[86:87], v[96:97]
	v_pk_mul_f32 v[88:89], v[182:183], v[88:89] op_sel_hi:[1,0]
	v_pk_fma_f32 v[90:91], v[142:143], v[126:127], v[90:91] neg_lo:[0,0,1] neg_hi:[0,0,1]
	v_mov_b32_e32 v91, v93
	s_delay_alu instid0(VALU_DEP_4) | instskip(NEXT) | instid1(VALU_DEP_4)
	v_pk_add_f32 v[86:87], v[86:87], v[94:95]
	v_pk_fma_f32 v[92:93], v[144:145], v[128:129], v[88:89] op_sel_hi:[1,0,1]
	v_pk_fma_f32 v[88:89], v[144:145], v[128:129], v[88:89] neg_lo:[0,0,1] neg_hi:[0,0,1]
	s_delay_alu instid0(VALU_DEP_3) | instskip(NEXT) | instid1(VALU_DEP_3)
	v_pk_add_f32 v[86:87], v[86:87], v[90:91]
	v_mov_b32_e32 v89, v93
	s_delay_alu instid0(VALU_DEP_1) | instskip(SKIP_1) | instid1(VALU_DEP_1)
	v_pk_add_f32 v[86:87], v[86:87], v[88:89]
	s_wait_loadcnt 0x0
	v_pk_add_f32 v[86:87], v[174:175], v[86:87] neg_lo:[0,1] neg_hi:[0,1]
	scratch_store_b64 off, v[86:87], off offset:152
	s_wait_xcnt 0x0
	v_cmpx_lt_u32_e32 18, v0
	s_cbranch_execz .LBB105_229
; %bb.228:
	scratch_load_b64 v[86:87], off, off offset:144
	v_mov_b64_e32 v[88:89], 0
	scratch_store_b64 off, v[88:89], off offset:144
	s_wait_loadcnt 0x0
	ds_store_b64 v1, v[86:87]
.LBB105_229:
	s_wait_xcnt 0x0
	s_or_b32 exec_lo, exec_lo, s0
	s_wait_storecnt_dscnt 0x0
	s_barrier_signal -1
	s_barrier_wait -1
	s_clause 0xc
	scratch_load_b128 v[86:89], off, off offset:152
	scratch_load_b128 v[90:93], off, off offset:168
	scratch_load_b128 v[94:97], off, off offset:184
	scratch_load_b128 v[98:101], off, off offset:200
	scratch_load_b128 v[102:105], off, off offset:216
	scratch_load_b128 v[106:109], off, off offset:232
	scratch_load_b128 v[110:113], off, off offset:248
	scratch_load_b128 v[114:117], off, off offset:264
	scratch_load_b128 v[118:121], off, off offset:280
	scratch_load_b128 v[122:125], off, off offset:296
	scratch_load_b128 v[126:129], off, off offset:312
	scratch_load_b64 v[174:175], off, off offset:328
	scratch_load_b64 v[176:177], off, off offset:144
	v_mov_b32_e32 v7, 0
	ds_load_2addr_b64 v[130:133], v7 offset0:75 offset1:76
	ds_load_2addr_b64 v[134:137], v7 offset0:77 offset1:78
	;; [unrolled: 1-line block ×11, first 2 shown]
	ds_load_b64 v[178:179], v7 offset:664
	s_mov_b32 s0, exec_lo
	s_wait_dscnt 0xb
	v_dual_mov_b32 v180, v133 :: v_dual_mov_b32 v181, v132
	s_wait_dscnt 0x8
	v_dual_mov_b32 v182, v137 :: v_dual_mov_b32 v187, v144
	v_dual_mov_b32 v183, v136 :: v_dual_mov_b32 v184, v141
	;; [unrolled: 1-line block ×3, first 2 shown]
	s_wait_loadcnt_dscnt 0xc07
	v_dual_mul_f32 v9, v146, v87 :: v_dual_mul_f32 v35, v147, v87
	v_dual_mul_f32 v37, v149, v89 :: v_dual_mul_f32 v11, v148, v89
	s_wait_loadcnt_dscnt 0xb06
	v_mul_f32_e32 v13, v150, v91
	s_wait_loadcnt_dscnt 0x904
	v_dual_mul_f32 v47, v159, v99 :: v_dual_fma_f32 v35, v146, v86, -v35
	v_dual_fmac_f32 v9, v147, v86 :: v_dual_mul_f32 v49, v161, v101
	v_dual_mul_f32 v39, v151, v91 :: v_dual_mul_f32 v41, v153, v93
	v_dual_fmac_f32 v11, v149, v88 :: v_dual_fma_f32 v37, v148, v88, -v37
	s_delay_alu instid0(VALU_DEP_3) | instskip(SKIP_3) | instid1(VALU_DEP_3)
	v_dual_add_f32 v9, 0, v9 :: v_dual_add_f32 v35, 0, v35
	v_dual_mul_f32 v15, v152, v93 :: v_dual_mul_f32 v17, v154, v95
	s_wait_loadcnt_dscnt 0x803
	v_dual_mul_f32 v51, v163, v103 :: v_dual_fma_f32 v39, v150, v90, -v39
	v_dual_fmac_f32 v13, v151, v90 :: v_dual_add_f32 v9, v9, v11
	s_delay_alu instid0(VALU_DEP_3) | instskip(SKIP_2) | instid1(VALU_DEP_3)
	v_dual_add_f32 v11, v35, v37 :: v_dual_fmac_f32 v15, v153, v92
	v_dual_mul_f32 v43, v155, v95 :: v_dual_mul_f32 v45, v157, v97
	v_dual_mul_f32 v35, v165, v105 :: v_dual_fma_f32 v37, v152, v92, -v41
	v_dual_add_f32 v9, v9, v13 :: v_dual_add_f32 v11, v11, v39
	v_dual_mul_f32 v19, v156, v97 :: v_dual_mul_f32 v21, v158, v99
	s_wait_loadcnt_dscnt 0x701
	v_dual_mul_f32 v13, v171, v107 :: v_dual_fma_f32 v39, v154, v94, -v43
	s_delay_alu instid0(VALU_DEP_3) | instskip(NEXT) | instid1(VALU_DEP_3)
	v_dual_fmac_f32 v17, v155, v94 :: v_dual_add_f32 v9, v9, v15
	v_dual_add_f32 v11, v11, v37 :: v_dual_fmac_f32 v19, v157, v96
	v_dual_mul_f32 v15, v173, v109 :: v_dual_fma_f32 v37, v156, v96, -v45
	s_delay_alu instid0(VALU_DEP_2) | instskip(SKIP_3) | instid1(VALU_DEP_3)
	v_dual_add_f32 v9, v9, v17 :: v_dual_add_f32 v11, v11, v39
	v_dual_mul_f32 v23, v160, v101 :: v_dual_mul_f32 v25, v162, v103
	s_wait_loadcnt 0x6
	v_dual_mul_f32 v17, v167, v111 :: v_dual_fma_f32 v39, v158, v98, -v47
	v_dual_fmac_f32 v21, v159, v98 :: v_dual_add_f32 v9, v9, v19
	s_delay_alu instid0(VALU_DEP_3) | instskip(SKIP_1) | instid1(VALU_DEP_2)
	v_dual_add_f32 v11, v11, v37 :: v_dual_fmac_f32 v23, v161, v100
	v_dual_mul_f32 v19, v169, v113 :: v_dual_fma_f32 v37, v160, v100, -v49
	v_dual_add_f32 v9, v9, v21 :: v_dual_add_f32 v11, v11, v39
	v_dual_mul_f32 v27, v164, v105 :: v_dual_mul_f32 v29, v170, v107
	s_wait_loadcnt 0x5
	v_dual_mul_f32 v21, v131, v115 :: v_dual_fma_f32 v39, v162, v102, -v51
	s_delay_alu instid0(VALU_DEP_3) | instskip(SKIP_2) | instid1(VALU_DEP_3)
	v_dual_fmac_f32 v25, v163, v102 :: v_dual_add_f32 v9, v9, v23
	v_dual_add_f32 v11, v11, v37 :: v_dual_mov_b32 v86, v117
	v_fmac_f32_e32 v27, v165, v104
	v_dual_fma_f32 v23, v164, v104, -v35 :: v_dual_add_f32 v9, v9, v25
	s_delay_alu instid0(VALU_DEP_3) | instskip(SKIP_1) | instid1(VALU_DEP_3)
	v_dual_add_f32 v11, v11, v39 :: v_dual_mul_f32 v31, v172, v109
	v_dual_mul_f32 v33, v166, v111 :: v_dual_fmac_f32 v29, v171, v106
	v_dual_add_f32 v9, v9, v27 :: v_dual_fma_f32 v13, v170, v106, -v13
	s_wait_loadcnt 0x4
	s_delay_alu instid0(VALU_DEP_3) | instskip(SKIP_3) | instid1(VALU_DEP_4)
	v_dual_add_f32 v11, v11, v23 :: v_dual_mov_b32 v90, v121
	v_fma_f32 v15, v172, v108, -v15
	v_fmac_f32_e32 v31, v173, v108
	v_dual_add_f32 v9, v9, v29 :: v_dual_fmac_f32 v33, v167, v110
	v_add_f32_e32 v11, v11, v13
	v_dual_mul_f32 v189, v168, v113 :: v_dual_mul_f32 v191, v130, v115
	s_delay_alu instid0(VALU_DEP_3) | instskip(NEXT) | instid1(VALU_DEP_2)
	v_dual_fma_f32 v13, v166, v110, -v17 :: v_dual_add_f32 v9, v9, v31
	v_dual_add_f32 v11, v11, v15 :: v_dual_fmac_f32 v189, v169, v112
	v_fma_f32 v188, v168, v112, -v19
	v_pk_mul_f32 v[86:87], v[180:181], v[86:87] op_sel_hi:[1,0]
	s_delay_alu instid0(VALU_DEP_4)
	v_add_f32_e32 v95, v9, v33
	s_wait_loadcnt 0x3
	v_dual_add_f32 v94, v11, v13 :: v_dual_mov_b32 v96, v125
	v_pk_mul_f32 v[88:89], v[134:135], v[118:119] op_sel:[1,1] op_sel_hi:[0,1]
	v_dual_fmac_f32 v191, v131, v114 :: v_dual_fma_f32 v190, v130, v114, -v21
	v_pk_fma_f32 v[98:99], v[132:133], v[116:117], v[86:87] op_sel_hi:[1,0,1]
	s_delay_alu instid0(VALU_DEP_4)
	v_pk_add_f32 v[94:95], v[94:95], v[188:189]
	v_pk_fma_f32 v[86:87], v[132:133], v[116:117], v[86:87] neg_lo:[0,0,1] neg_hi:[0,0,1]
	v_pk_fma_f32 v[100:101], v[134:135], v[118:119], v[88:89] op_sel_hi:[1,0,1]
	v_pk_mul_f32 v[90:91], v[182:183], v[90:91] op_sel_hi:[1,0]
	v_mov_b32_e32 v87, v99
	v_pk_add_f32 v[94:95], v[94:95], v[190:191]
	v_pk_fma_f32 v[88:89], v[134:135], v[118:119], v[88:89] neg_lo:[0,0,1] neg_hi:[0,0,1]
	v_pk_mul_f32 v[92:93], v[138:139], v[122:123] op_sel:[1,1] op_sel_hi:[0,1]
	v_mov_b32_e32 v89, v101
	v_pk_fma_f32 v[100:101], v[136:137], v[120:121], v[90:91] op_sel_hi:[1,0,1]
	v_pk_add_f32 v[86:87], v[94:95], v[86:87]
	v_pk_fma_f32 v[90:91], v[136:137], v[120:121], v[90:91] neg_lo:[0,0,1] neg_hi:[0,0,1]
	v_pk_fma_f32 v[94:95], v[138:139], v[122:123], v[92:93] op_sel_hi:[1,0,1]
	v_pk_mul_f32 v[96:97], v[184:185], v[96:97] op_sel_hi:[1,0]
	v_mov_b32_e32 v91, v101
	v_pk_add_f32 v[86:87], v[86:87], v[88:89]
	v_pk_fma_f32 v[92:93], v[138:139], v[122:123], v[92:93] neg_lo:[0,0,1] neg_hi:[0,0,1]
	s_wait_loadcnt 0x2
	v_pk_mul_f32 v[98:99], v[142:143], v[126:127] op_sel:[1,1] op_sel_hi:[0,1]
	v_dual_mov_b32 v88, v129 :: v_dual_mov_b32 v93, v95
	v_pk_fma_f32 v[94:95], v[140:141], v[124:125], v[96:97] op_sel_hi:[1,0,1]
	v_pk_add_f32 v[86:87], v[86:87], v[90:91]
	v_pk_fma_f32 v[96:97], v[140:141], v[124:125], v[96:97] neg_lo:[0,0,1] neg_hi:[0,0,1]
	v_pk_fma_f32 v[90:91], v[142:143], v[126:127], v[98:99] op_sel_hi:[1,0,1]
	v_pk_mul_f32 v[88:89], v[186:187], v[88:89] op_sel_hi:[1,0]
	v_mov_b32_e32 v97, v95
	v_pk_add_f32 v[86:87], v[86:87], v[92:93]
	v_pk_fma_f32 v[92:93], v[142:143], v[126:127], v[98:99] neg_lo:[0,0,1] neg_hi:[0,0,1]
	v_mov_b32_e32 v93, v91
	v_pk_fma_f32 v[90:91], v[144:145], v[128:129], v[88:89] op_sel_hi:[1,0,1]
	s_wait_loadcnt_dscnt 0x100
	v_pk_mul_f32 v[94:95], v[178:179], v[174:175] op_sel:[1,1] op_sel_hi:[0,1]
	v_pk_add_f32 v[86:87], v[86:87], v[96:97]
	v_pk_fma_f32 v[88:89], v[144:145], v[128:129], v[88:89] neg_lo:[0,0,1] neg_hi:[0,0,1]
	v_mov_b32_e32 v89, v91
	s_delay_alu instid0(VALU_DEP_4) | instskip(NEXT) | instid1(VALU_DEP_4)
	v_pk_fma_f32 v[90:91], v[178:179], v[174:175], v[94:95] op_sel_hi:[1,0,1]
	v_pk_add_f32 v[86:87], v[86:87], v[92:93]
	v_pk_fma_f32 v[92:93], v[178:179], v[174:175], v[94:95] neg_lo:[0,0,1] neg_hi:[0,0,1]
	s_delay_alu instid0(VALU_DEP_3) | instskip(NEXT) | instid1(VALU_DEP_3)
	v_mov_b32_e32 v93, v91
	v_pk_add_f32 v[86:87], v[86:87], v[88:89]
	s_delay_alu instid0(VALU_DEP_1) | instskip(SKIP_1) | instid1(VALU_DEP_1)
	v_pk_add_f32 v[86:87], v[86:87], v[92:93]
	s_wait_loadcnt 0x0
	v_pk_add_f32 v[86:87], v[176:177], v[86:87] neg_lo:[0,1] neg_hi:[0,1]
	scratch_store_b64 off, v[86:87], off offset:144
	s_wait_xcnt 0x0
	v_cmpx_lt_u32_e32 17, v0
	s_cbranch_execz .LBB105_231
; %bb.230:
	scratch_load_b64 v[86:87], off, off offset:136
	v_mov_b64_e32 v[88:89], 0
	scratch_store_b64 off, v[88:89], off offset:136
	s_wait_loadcnt 0x0
	ds_store_b64 v1, v[86:87]
.LBB105_231:
	s_wait_xcnt 0x0
	s_or_b32 exec_lo, exec_lo, s0
	s_wait_storecnt_dscnt 0x0
	s_barrier_signal -1
	s_barrier_wait -1
	s_clause 0xc
	scratch_load_b128 v[86:89], off, off offset:144
	scratch_load_b128 v[90:93], off, off offset:160
	;; [unrolled: 1-line block ×12, first 2 shown]
	scratch_load_b64 v[182:183], off, off offset:136
	ds_load_b128 v[134:137], v7 offset:608
	ds_load_b128 v[138:141], v7 offset:624
	;; [unrolled: 1-line block ×12, first 2 shown]
	s_mov_b32 s0, exec_lo
	s_wait_dscnt 0xb
	v_dual_mov_b32 v184, v137 :: v_dual_mov_b32 v185, v136
	s_wait_dscnt 0xa
	v_dual_mov_b32 v186, v141 :: v_dual_mov_b32 v187, v140
	;; [unrolled: 2-line block ×4, first 2 shown]
	s_wait_loadcnt_dscnt 0xc07
	v_dual_mul_f32 v7, v150, v87 :: v_dual_mul_f32 v9, v152, v89
	v_dual_mul_f32 v35, v151, v87 :: v_dual_mul_f32 v37, v153, v89
	s_wait_loadcnt_dscnt 0xb06
	v_dual_mul_f32 v11, v154, v91 :: v_dual_mul_f32 v13, v156, v93
	s_delay_alu instid0(VALU_DEP_3) | instskip(SKIP_3) | instid1(VALU_DEP_3)
	v_dual_fmac_f32 v7, v151, v86 :: v_dual_fmac_f32 v9, v153, v88
	s_wait_loadcnt_dscnt 0x904
	v_dual_fma_f32 v35, v150, v86, -v35 :: v_dual_mul_f32 v47, v163, v99
	v_dual_mul_f32 v39, v155, v91 :: v_dual_mul_f32 v41, v157, v93
	v_dual_fma_f32 v37, v152, v88, -v37 :: v_dual_add_f32 v7, 0, v7
	s_delay_alu instid0(VALU_DEP_3) | instskip(SKIP_1) | instid1(VALU_DEP_3)
	v_dual_add_f32 v35, 0, v35 :: v_dual_mul_f32 v49, v165, v101
	v_dual_fmac_f32 v11, v155, v90 :: v_dual_fmac_f32 v13, v157, v92
	v_dual_fma_f32 v39, v154, v90, -v39 :: v_dual_add_f32 v7, v7, v9
	s_delay_alu instid0(VALU_DEP_3) | instskip(SKIP_2) | instid1(VALU_DEP_4)
	v_dual_add_f32 v9, v35, v37 :: v_dual_fma_f32 v37, v156, v92, -v41
	v_dual_mul_f32 v15, v158, v95 :: v_dual_mul_f32 v17, v160, v97
	v_dual_mul_f32 v43, v159, v95 :: v_dual_mul_f32 v45, v161, v97
	v_add_f32_e32 v7, v7, v11
	s_delay_alu instid0(VALU_DEP_3) | instskip(NEXT) | instid1(VALU_DEP_3)
	v_dual_add_f32 v9, v9, v39 :: v_dual_fmac_f32 v15, v159, v94
	v_fma_f32 v39, v158, v94, -v43
	v_dual_mul_f32 v19, v162, v99 :: v_dual_mul_f32 v21, v164, v101
	s_delay_alu instid0(VALU_DEP_4) | instskip(SKIP_2) | instid1(VALU_DEP_2)
	v_dual_add_f32 v7, v7, v13 :: v_dual_fmac_f32 v17, v161, v96
	s_wait_loadcnt_dscnt 0x702
	v_dual_add_f32 v9, v9, v37 :: v_dual_mul_f32 v13, v171, v107
	v_dual_fma_f32 v37, v160, v96, -v45 :: v_dual_add_f32 v7, v7, v15
	v_mul_f32_e32 v15, v173, v109
	s_delay_alu instid0(VALU_DEP_3) | instskip(NEXT) | instid1(VALU_DEP_3)
	v_dual_add_f32 v9, v9, v39 :: v_dual_fmac_f32 v19, v163, v98
	v_dual_fma_f32 v39, v162, v98, -v47 :: v_dual_add_f32 v7, v7, v17
	v_fmac_f32_e32 v21, v165, v100
	s_wait_loadcnt_dscnt 0x601
	s_delay_alu instid0(VALU_DEP_3) | instskip(SKIP_3) | instid1(VALU_DEP_3)
	v_dual_add_f32 v9, v9, v37 :: v_dual_mul_f32 v17, v175, v111
	v_dual_mul_f32 v23, v166, v103 :: v_dual_mul_f32 v25, v168, v105
	v_dual_mul_f32 v35, v167, v103 :: v_dual_mul_f32 v11, v169, v105
	v_dual_fma_f32 v37, v164, v100, -v49 :: v_dual_add_f32 v7, v7, v19
	v_dual_add_f32 v9, v9, v39 :: v_dual_fmac_f32 v23, v167, v102
	s_delay_alu instid0(VALU_DEP_3) | instskip(NEXT) | instid1(VALU_DEP_3)
	v_dual_mul_f32 v19, v177, v113 :: v_dual_fma_f32 v35, v166, v102, -v35
	v_dual_add_f32 v7, v7, v21 :: v_dual_fmac_f32 v25, v169, v104
	s_wait_loadcnt_dscnt 0x500
	s_delay_alu instid0(VALU_DEP_3) | instskip(SKIP_1) | instid1(VALU_DEP_3)
	v_dual_add_f32 v9, v9, v37 :: v_dual_mul_f32 v21, v179, v115
	v_dual_mul_f32 v27, v170, v107 :: v_dual_mul_f32 v29, v172, v109
	v_dual_fma_f32 v11, v168, v104, -v11 :: v_dual_add_f32 v7, v7, v23
	s_delay_alu instid0(VALU_DEP_2) | instskip(SKIP_1) | instid1(VALU_DEP_2)
	v_dual_add_f32 v9, v9, v35 :: v_dual_fmac_f32 v27, v171, v106
	v_dual_mul_f32 v23, v181, v117 :: v_dual_fma_f32 v13, v170, v106, -v13
	v_dual_add_f32 v7, v7, v25 :: v_dual_add_f32 v9, v9, v11
	v_dual_mul_f32 v31, v174, v111 :: v_dual_mul_f32 v33, v176, v113
	v_dual_fmac_f32 v29, v173, v108 :: v_dual_fma_f32 v11, v172, v108, -v15
	s_delay_alu instid0(VALU_DEP_3) | instskip(SKIP_1) | instid1(VALU_DEP_3)
	v_dual_add_f32 v7, v7, v27 :: v_dual_add_f32 v9, v9, v13
	s_wait_loadcnt 0x4
	v_dual_mov_b32 v88, v121 :: v_dual_fmac_f32 v31, v175, v110
	s_delay_alu instid0(VALU_DEP_2) | instskip(NEXT) | instid1(VALU_DEP_3)
	v_dual_fma_f32 v13, v174, v110, -v17 :: v_dual_add_f32 v7, v7, v29
	v_dual_add_f32 v9, v9, v11 :: v_dual_fma_f32 v11, v176, v112, -v19
	v_dual_mul_f32 v193, v178, v115 :: v_dual_mul_f32 v195, v180, v117
	s_delay_alu instid0(VALU_DEP_3) | instskip(NEXT) | instid1(VALU_DEP_2)
	v_dual_fmac_f32 v33, v177, v112 :: v_dual_add_f32 v7, v7, v31
	v_dual_add_f32 v9, v9, v13 :: v_dual_fmac_f32 v193, v179, v114
	v_pk_mul_f32 v[86:87], v[134:135], v[118:119] op_sel:[1,1] op_sel_hi:[0,1]
	s_wait_loadcnt 0x3
	v_dual_mov_b32 v92, v125 :: v_dual_fma_f32 v192, v178, v114, -v21
	s_delay_alu instid0(VALU_DEP_3)
	v_dual_add_f32 v95, v7, v33 :: v_dual_add_f32 v94, v9, v11
	v_fmac_f32_e32 v195, v181, v116
	v_pk_fma_f32 v[96:97], v[134:135], v[118:119], v[86:87] op_sel_hi:[1,0,1]
	v_fma_f32 v194, v180, v116, -v23
	v_pk_mul_f32 v[88:89], v[184:185], v[88:89] op_sel_hi:[1,0]
	v_pk_add_f32 v[94:95], v[94:95], v[192:193]
	v_pk_fma_f32 v[86:87], v[134:135], v[118:119], v[86:87] neg_lo:[0,0,1] neg_hi:[0,0,1]
	v_pk_mul_f32 v[90:91], v[138:139], v[122:123] op_sel:[1,1] op_sel_hi:[0,1]
	v_mov_b32_e32 v87, v97
	v_pk_fma_f32 v[96:97], v[136:137], v[120:121], v[88:89] op_sel_hi:[1,0,1]
	v_pk_add_f32 v[94:95], v[94:95], v[194:195]
	v_pk_fma_f32 v[88:89], v[136:137], v[120:121], v[88:89] neg_lo:[0,0,1] neg_hi:[0,0,1]
	v_pk_fma_f32 v[100:101], v[138:139], v[122:123], v[90:91] op_sel_hi:[1,0,1]
	v_pk_mul_f32 v[92:93], v[186:187], v[92:93] op_sel_hi:[1,0]
	v_mov_b32_e32 v89, v97
	v_pk_add_f32 v[86:87], v[94:95], v[86:87]
	s_wait_loadcnt 0x2
	v_pk_mul_f32 v[98:99], v[142:143], v[126:127] op_sel:[1,1] op_sel_hi:[0,1]
	v_mov_b32_e32 v94, v129
	v_pk_fma_f32 v[90:91], v[138:139], v[122:123], v[90:91] neg_lo:[0,0,1] neg_hi:[0,0,1]
	v_pk_fma_f32 v[96:97], v[140:141], v[124:125], v[92:93] op_sel_hi:[1,0,1]
	v_mov_b32_e32 v91, v101
	v_pk_add_f32 v[86:87], v[86:87], v[88:89]
	v_pk_fma_f32 v[88:89], v[142:143], v[126:127], v[98:99] op_sel_hi:[1,0,1]
	v_pk_mul_f32 v[94:95], v[188:189], v[94:95] op_sel_hi:[1,0]
	v_pk_fma_f32 v[92:93], v[140:141], v[124:125], v[92:93] neg_lo:[0,0,1] neg_hi:[0,0,1]
	v_mov_b32_e32 v93, v97
	v_pk_add_f32 v[86:87], v[86:87], v[90:91]
	v_pk_fma_f32 v[96:97], v[142:143], v[126:127], v[98:99] neg_lo:[0,0,1] neg_hi:[0,0,1]
	v_mov_b32_e32 v97, v89
	v_pk_fma_f32 v[88:89], v[144:145], v[128:129], v[94:95] op_sel_hi:[1,0,1]
	s_wait_loadcnt 0x1
	v_pk_mul_f32 v[90:91], v[146:147], v[130:131] op_sel:[1,1] op_sel_hi:[0,1]
	v_pk_add_f32 v[86:87], v[86:87], v[92:93]
	v_mov_b32_e32 v88, v133
	v_pk_fma_f32 v[94:95], v[144:145], v[128:129], v[94:95] neg_lo:[0,0,1] neg_hi:[0,0,1]
	s_delay_alu instid0(VALU_DEP_4)
	v_pk_fma_f32 v[92:93], v[146:147], v[130:131], v[90:91] op_sel_hi:[1,0,1]
	v_mov_b32_e32 v95, v89
	v_pk_add_f32 v[86:87], v[86:87], v[96:97]
	v_pk_mul_f32 v[88:89], v[190:191], v[88:89] op_sel_hi:[1,0]
	v_pk_fma_f32 v[90:91], v[146:147], v[130:131], v[90:91] neg_lo:[0,0,1] neg_hi:[0,0,1]
	v_mov_b32_e32 v91, v93
	s_delay_alu instid0(VALU_DEP_4) | instskip(NEXT) | instid1(VALU_DEP_4)
	v_pk_add_f32 v[86:87], v[86:87], v[94:95]
	v_pk_fma_f32 v[92:93], v[148:149], v[132:133], v[88:89] op_sel_hi:[1,0,1]
	v_pk_fma_f32 v[88:89], v[148:149], v[132:133], v[88:89] neg_lo:[0,0,1] neg_hi:[0,0,1]
	s_delay_alu instid0(VALU_DEP_3) | instskip(NEXT) | instid1(VALU_DEP_3)
	v_pk_add_f32 v[86:87], v[86:87], v[90:91]
	v_mov_b32_e32 v89, v93
	s_delay_alu instid0(VALU_DEP_1) | instskip(SKIP_1) | instid1(VALU_DEP_1)
	v_pk_add_f32 v[86:87], v[86:87], v[88:89]
	s_wait_loadcnt 0x0
	v_pk_add_f32 v[86:87], v[182:183], v[86:87] neg_lo:[0,1] neg_hi:[0,1]
	scratch_store_b64 off, v[86:87], off offset:136
	s_wait_xcnt 0x0
	v_cmpx_lt_u32_e32 16, v0
	s_cbranch_execz .LBB105_233
; %bb.232:
	scratch_load_b64 v[86:87], off, off offset:128
	v_mov_b64_e32 v[88:89], 0
	scratch_store_b64 off, v[88:89], off offset:128
	s_wait_loadcnt 0x0
	ds_store_b64 v1, v[86:87]
.LBB105_233:
	s_wait_xcnt 0x0
	s_or_b32 exec_lo, exec_lo, s0
	s_wait_storecnt_dscnt 0x0
	s_barrier_signal -1
	s_barrier_wait -1
	s_clause 0xd
	scratch_load_b128 v[86:89], off, off offset:136
	scratch_load_b128 v[90:93], off, off offset:152
	;; [unrolled: 1-line block ×12, first 2 shown]
	scratch_load_b64 v[182:183], off, off offset:328
	scratch_load_b64 v[184:185], off, off offset:128
	v_mov_b32_e32 v7, 0
	ds_load_2addr_b64 v[134:137], v7 offset0:75 offset1:76
	ds_load_2addr_b64 v[138:141], v7 offset0:77 offset1:78
	;; [unrolled: 1-line block ×12, first 2 shown]
	ds_load_b64 v[186:187], v7 offset:664
	s_mov_b32 s0, exec_lo
	s_wait_dscnt 0xc
	v_dual_mov_b32 v188, v137 :: v_dual_mov_b32 v189, v136
	s_wait_dscnt 0x9
	v_dual_mov_b32 v190, v141 :: v_dual_mov_b32 v195, v148
	v_dual_mov_b32 v191, v140 :: v_dual_mov_b32 v192, v145
	;; [unrolled: 1-line block ×3, first 2 shown]
	s_wait_loadcnt_dscnt 0xd08
	v_dual_mul_f32 v9, v150, v87 :: v_dual_mul_f32 v39, v151, v87
	v_dual_mul_f32 v41, v153, v89 :: v_dual_mul_f32 v11, v152, v89
	s_wait_loadcnt_dscnt 0xc07
	v_mul_f32_e32 v13, v154, v91
	s_wait_loadcnt_dscnt 0xa05
	v_dual_mul_f32 v51, v163, v99 :: v_dual_fma_f32 v39, v150, v86, -v39
	v_dual_fmac_f32 v9, v151, v86 :: v_dual_mul_f32 v53, v165, v101
	v_dual_mul_f32 v43, v155, v91 :: v_dual_mul_f32 v45, v157, v93
	v_dual_fmac_f32 v11, v153, v88 :: v_dual_fma_f32 v41, v152, v88, -v41
	s_delay_alu instid0(VALU_DEP_3) | instskip(SKIP_3) | instid1(VALU_DEP_3)
	v_dual_add_f32 v9, 0, v9 :: v_dual_add_f32 v39, 0, v39
	v_dual_mul_f32 v15, v156, v93 :: v_dual_mul_f32 v17, v158, v95
	s_wait_loadcnt_dscnt 0x904
	v_dual_mul_f32 v55, v167, v103 :: v_dual_fma_f32 v43, v154, v90, -v43
	v_dual_fmac_f32 v13, v155, v90 :: v_dual_add_f32 v9, v9, v11
	s_delay_alu instid0(VALU_DEP_3) | instskip(SKIP_2) | instid1(VALU_DEP_3)
	v_dual_add_f32 v11, v39, v41 :: v_dual_fmac_f32 v15, v157, v92
	v_dual_mul_f32 v47, v159, v95 :: v_dual_mul_f32 v49, v161, v97
	v_dual_mul_f32 v39, v169, v105 :: v_dual_fma_f32 v41, v156, v92, -v45
	v_dual_add_f32 v9, v9, v13 :: v_dual_add_f32 v11, v11, v43
	v_dual_mul_f32 v19, v160, v97 :: v_dual_mul_f32 v21, v162, v99
	s_wait_loadcnt_dscnt 0x803
	v_dual_mul_f32 v13, v171, v107 :: v_dual_fma_f32 v43, v158, v94, -v47
	s_delay_alu instid0(VALU_DEP_3) | instskip(NEXT) | instid1(VALU_DEP_3)
	v_dual_fmac_f32 v17, v159, v94 :: v_dual_add_f32 v9, v9, v15
	v_dual_add_f32 v11, v11, v41 :: v_dual_fmac_f32 v19, v161, v96
	v_dual_mul_f32 v15, v173, v109 :: v_dual_fma_f32 v41, v160, v96, -v49
	s_delay_alu instid0(VALU_DEP_2) | instskip(SKIP_3) | instid1(VALU_DEP_3)
	v_dual_add_f32 v9, v9, v17 :: v_dual_add_f32 v11, v11, v43
	v_dual_mul_f32 v23, v164, v101 :: v_dual_mul_f32 v25, v166, v103
	s_wait_loadcnt_dscnt 0x702
	v_dual_mul_f32 v17, v175, v111 :: v_dual_fma_f32 v43, v162, v98, -v51
	v_dual_fmac_f32 v21, v163, v98 :: v_dual_add_f32 v9, v9, v19
	s_delay_alu instid0(VALU_DEP_3) | instskip(SKIP_1) | instid1(VALU_DEP_2)
	v_dual_add_f32 v11, v11, v41 :: v_dual_fmac_f32 v23, v165, v100
	v_dual_mul_f32 v19, v177, v113 :: v_dual_fma_f32 v41, v164, v100, -v53
	v_dual_add_f32 v9, v9, v21 :: v_dual_add_f32 v11, v11, v43
	v_dual_mul_f32 v27, v168, v105 :: v_dual_mul_f32 v29, v170, v107
	s_wait_loadcnt_dscnt 0x601
	v_dual_mul_f32 v21, v179, v115 :: v_dual_fma_f32 v43, v166, v102, -v55
	s_delay_alu instid0(VALU_DEP_3) | instskip(NEXT) | instid1(VALU_DEP_3)
	v_dual_fmac_f32 v25, v167, v102 :: v_dual_add_f32 v9, v9, v23
	v_dual_add_f32 v11, v11, v41 :: v_dual_fmac_f32 v27, v169, v104
	v_dual_mul_f32 v23, v181, v117 :: v_dual_fma_f32 v39, v168, v104, -v39
	s_delay_alu instid0(VALU_DEP_2) | instskip(SKIP_3) | instid1(VALU_DEP_3)
	v_dual_add_f32 v9, v9, v25 :: v_dual_add_f32 v11, v11, v43
	v_dual_mul_f32 v31, v172, v109 :: v_dual_mul_f32 v33, v174, v111
	s_wait_loadcnt 0x5
	v_dual_mul_f32 v25, v135, v119 :: v_dual_fma_f32 v13, v170, v106, -v13
	v_dual_fmac_f32 v29, v171, v106 :: v_dual_add_f32 v9, v9, v27
	v_dual_add_f32 v11, v11, v39 :: v_dual_mov_b32 v86, v121
	v_fmac_f32_e32 v31, v173, v108
	s_delay_alu instid0(VALU_DEP_3) | instskip(NEXT) | instid1(VALU_DEP_3)
	v_dual_fma_f32 v15, v172, v108, -v15 :: v_dual_add_f32 v9, v9, v29
	v_add_f32_e32 v11, v11, v13
	v_dual_mul_f32 v35, v176, v113 :: v_dual_mul_f32 v37, v178, v115
	s_delay_alu instid0(VALU_DEP_3) | instskip(NEXT) | instid1(VALU_DEP_3)
	v_dual_fmac_f32 v33, v175, v110 :: v_dual_add_f32 v9, v9, v31
	v_dual_fma_f32 v13, v174, v110, -v17 :: v_dual_add_f32 v11, v11, v15
	s_wait_loadcnt 0x4
	v_dual_mov_b32 v90, v125 :: v_dual_fma_f32 v15, v176, v112, -v19
	v_fmac_f32_e32 v35, v177, v112
	v_dual_add_f32 v9, v9, v33 :: v_dual_fmac_f32 v37, v179, v114
	v_add_f32_e32 v11, v11, v13
	v_dual_mul_f32 v197, v180, v117 :: v_dual_mul_f32 v199, v134, v119
	s_delay_alu instid0(VALU_DEP_3) | instskip(NEXT) | instid1(VALU_DEP_2)
	v_dual_fma_f32 v13, v178, v114, -v21 :: v_dual_add_f32 v9, v9, v35
	v_dual_add_f32 v11, v11, v15 :: v_dual_fmac_f32 v197, v181, v116
	v_fma_f32 v196, v180, v116, -v23
	v_pk_mul_f32 v[86:87], v[188:189], v[86:87] op_sel_hi:[1,0]
	s_delay_alu instid0(VALU_DEP_4)
	v_add_f32_e32 v95, v9, v37
	s_wait_loadcnt 0x3
	v_dual_add_f32 v94, v11, v13 :: v_dual_mov_b32 v96, v129
	v_pk_mul_f32 v[88:89], v[138:139], v[122:123] op_sel:[1,1] op_sel_hi:[0,1]
	v_dual_fmac_f32 v199, v135, v118 :: v_dual_fma_f32 v198, v134, v118, -v25
	v_pk_fma_f32 v[98:99], v[136:137], v[120:121], v[86:87] op_sel_hi:[1,0,1]
	s_delay_alu instid0(VALU_DEP_4)
	v_pk_add_f32 v[94:95], v[94:95], v[196:197]
	v_pk_fma_f32 v[86:87], v[136:137], v[120:121], v[86:87] neg_lo:[0,0,1] neg_hi:[0,0,1]
	v_pk_fma_f32 v[100:101], v[138:139], v[122:123], v[88:89] op_sel_hi:[1,0,1]
	v_pk_mul_f32 v[90:91], v[190:191], v[90:91] op_sel_hi:[1,0]
	v_mov_b32_e32 v87, v99
	v_pk_add_f32 v[94:95], v[94:95], v[198:199]
	v_pk_fma_f32 v[88:89], v[138:139], v[122:123], v[88:89] neg_lo:[0,0,1] neg_hi:[0,0,1]
	v_pk_mul_f32 v[92:93], v[142:143], v[126:127] op_sel:[1,1] op_sel_hi:[0,1]
	v_mov_b32_e32 v89, v101
	v_pk_fma_f32 v[100:101], v[140:141], v[124:125], v[90:91] op_sel_hi:[1,0,1]
	v_pk_add_f32 v[86:87], v[94:95], v[86:87]
	v_pk_fma_f32 v[90:91], v[140:141], v[124:125], v[90:91] neg_lo:[0,0,1] neg_hi:[0,0,1]
	v_pk_fma_f32 v[94:95], v[142:143], v[126:127], v[92:93] op_sel_hi:[1,0,1]
	v_pk_mul_f32 v[96:97], v[192:193], v[96:97] op_sel_hi:[1,0]
	v_mov_b32_e32 v91, v101
	v_pk_add_f32 v[86:87], v[86:87], v[88:89]
	v_pk_fma_f32 v[92:93], v[142:143], v[126:127], v[92:93] neg_lo:[0,0,1] neg_hi:[0,0,1]
	s_wait_loadcnt 0x2
	v_pk_mul_f32 v[98:99], v[146:147], v[130:131] op_sel:[1,1] op_sel_hi:[0,1]
	v_dual_mov_b32 v88, v133 :: v_dual_mov_b32 v93, v95
	v_pk_fma_f32 v[94:95], v[144:145], v[128:129], v[96:97] op_sel_hi:[1,0,1]
	v_pk_add_f32 v[86:87], v[86:87], v[90:91]
	v_pk_fma_f32 v[96:97], v[144:145], v[128:129], v[96:97] neg_lo:[0,0,1] neg_hi:[0,0,1]
	v_pk_fma_f32 v[90:91], v[146:147], v[130:131], v[98:99] op_sel_hi:[1,0,1]
	v_pk_mul_f32 v[88:89], v[194:195], v[88:89] op_sel_hi:[1,0]
	v_mov_b32_e32 v97, v95
	v_pk_add_f32 v[86:87], v[86:87], v[92:93]
	v_pk_fma_f32 v[92:93], v[146:147], v[130:131], v[98:99] neg_lo:[0,0,1] neg_hi:[0,0,1]
	v_mov_b32_e32 v93, v91
	v_pk_fma_f32 v[90:91], v[148:149], v[132:133], v[88:89] op_sel_hi:[1,0,1]
	s_wait_loadcnt_dscnt 0x100
	v_pk_mul_f32 v[94:95], v[186:187], v[182:183] op_sel:[1,1] op_sel_hi:[0,1]
	v_pk_add_f32 v[86:87], v[86:87], v[96:97]
	v_pk_fma_f32 v[88:89], v[148:149], v[132:133], v[88:89] neg_lo:[0,0,1] neg_hi:[0,0,1]
	v_mov_b32_e32 v89, v91
	s_delay_alu instid0(VALU_DEP_4) | instskip(NEXT) | instid1(VALU_DEP_4)
	v_pk_fma_f32 v[90:91], v[186:187], v[182:183], v[94:95] op_sel_hi:[1,0,1]
	v_pk_add_f32 v[86:87], v[86:87], v[92:93]
	v_pk_fma_f32 v[92:93], v[186:187], v[182:183], v[94:95] neg_lo:[0,0,1] neg_hi:[0,0,1]
	s_delay_alu instid0(VALU_DEP_3) | instskip(NEXT) | instid1(VALU_DEP_3)
	v_mov_b32_e32 v93, v91
	v_pk_add_f32 v[86:87], v[86:87], v[88:89]
	s_delay_alu instid0(VALU_DEP_1) | instskip(SKIP_1) | instid1(VALU_DEP_1)
	v_pk_add_f32 v[86:87], v[86:87], v[92:93]
	s_wait_loadcnt 0x0
	v_pk_add_f32 v[86:87], v[184:185], v[86:87] neg_lo:[0,1] neg_hi:[0,1]
	scratch_store_b64 off, v[86:87], off offset:128
	s_wait_xcnt 0x0
	v_cmpx_lt_u32_e32 15, v0
	s_cbranch_execz .LBB105_235
; %bb.234:
	scratch_load_b64 v[86:87], off, off offset:120
	v_mov_b64_e32 v[88:89], 0
	scratch_store_b64 off, v[88:89], off offset:120
	s_wait_loadcnt 0x0
	ds_store_b64 v1, v[86:87]
.LBB105_235:
	s_wait_xcnt 0x0
	s_or_b32 exec_lo, exec_lo, s0
	s_wait_storecnt_dscnt 0x0
	s_barrier_signal -1
	s_barrier_wait -1
	s_clause 0xd
	scratch_load_b128 v[86:89], off, off offset:128
	scratch_load_b128 v[90:93], off, off offset:144
	;; [unrolled: 1-line block ×13, first 2 shown]
	scratch_load_b64 v[190:191], off, off offset:120
	ds_load_b128 v[138:141], v7 offset:608
	ds_load_b128 v[142:145], v7 offset:624
	;; [unrolled: 1-line block ×13, first 2 shown]
	s_mov_b32 s0, exec_lo
	s_wait_dscnt 0xc
	v_dual_mov_b32 v192, v141 :: v_dual_mov_b32 v193, v140
	s_wait_dscnt 0xb
	v_dual_mov_b32 v194, v145 :: v_dual_mov_b32 v195, v144
	;; [unrolled: 2-line block ×4, first 2 shown]
	s_wait_loadcnt_dscnt 0xd08
	v_dual_mul_f32 v7, v154, v87 :: v_dual_mul_f32 v9, v156, v89
	v_dual_mul_f32 v39, v155, v87 :: v_dual_mul_f32 v41, v157, v89
	s_wait_loadcnt_dscnt 0xc07
	v_dual_mul_f32 v11, v158, v91 :: v_dual_mul_f32 v13, v160, v93
	s_delay_alu instid0(VALU_DEP_3) | instskip(SKIP_3) | instid1(VALU_DEP_3)
	v_dual_fmac_f32 v7, v155, v86 :: v_dual_fmac_f32 v9, v157, v88
	s_wait_loadcnt_dscnt 0xa05
	v_dual_fma_f32 v39, v154, v86, -v39 :: v_dual_mul_f32 v51, v167, v99
	v_dual_mul_f32 v43, v159, v91 :: v_dual_mul_f32 v45, v161, v93
	v_dual_fma_f32 v41, v156, v88, -v41 :: v_dual_add_f32 v7, 0, v7
	s_delay_alu instid0(VALU_DEP_3) | instskip(SKIP_1) | instid1(VALU_DEP_3)
	v_dual_add_f32 v39, 0, v39 :: v_dual_mul_f32 v53, v169, v101
	v_dual_fmac_f32 v11, v159, v90 :: v_dual_fmac_f32 v13, v161, v92
	v_dual_fma_f32 v43, v158, v90, -v43 :: v_dual_add_f32 v7, v7, v9
	s_delay_alu instid0(VALU_DEP_3) | instskip(SKIP_2) | instid1(VALU_DEP_4)
	v_dual_add_f32 v9, v39, v41 :: v_dual_fma_f32 v41, v160, v92, -v45
	v_dual_mul_f32 v15, v162, v95 :: v_dual_mul_f32 v17, v164, v97
	v_dual_mul_f32 v47, v163, v95 :: v_dual_mul_f32 v49, v165, v97
	v_add_f32_e32 v7, v7, v11
	s_delay_alu instid0(VALU_DEP_3) | instskip(NEXT) | instid1(VALU_DEP_3)
	v_dual_add_f32 v9, v9, v43 :: v_dual_fmac_f32 v15, v163, v94
	v_fma_f32 v43, v162, v94, -v47
	v_dual_mul_f32 v19, v166, v99 :: v_dual_mul_f32 v21, v168, v101
	s_delay_alu instid0(VALU_DEP_4) | instskip(SKIP_2) | instid1(VALU_DEP_2)
	v_dual_add_f32 v7, v7, v13 :: v_dual_fmac_f32 v17, v165, v96
	s_wait_loadcnt_dscnt 0x802
	v_dual_add_f32 v9, v9, v41 :: v_dual_mul_f32 v13, v179, v107
	v_dual_fma_f32 v41, v164, v96, -v49 :: v_dual_add_f32 v7, v7, v15
	v_mul_f32_e32 v15, v181, v109
	s_delay_alu instid0(VALU_DEP_3) | instskip(NEXT) | instid1(VALU_DEP_3)
	v_dual_add_f32 v9, v9, v43 :: v_dual_fmac_f32 v19, v167, v98
	v_dual_fma_f32 v43, v166, v98, -v51 :: v_dual_add_f32 v7, v7, v17
	v_fmac_f32_e32 v21, v169, v100
	s_wait_loadcnt_dscnt 0x701
	s_delay_alu instid0(VALU_DEP_3) | instskip(SKIP_3) | instid1(VALU_DEP_3)
	v_dual_add_f32 v9, v9, v41 :: v_dual_mul_f32 v17, v183, v111
	v_dual_mul_f32 v23, v174, v103 :: v_dual_mul_f32 v25, v176, v105
	v_dual_mul_f32 v39, v175, v103 :: v_dual_mul_f32 v11, v177, v105
	v_dual_fma_f32 v41, v168, v100, -v53 :: v_dual_add_f32 v7, v7, v19
	v_dual_add_f32 v9, v9, v43 :: v_dual_fmac_f32 v23, v175, v102
	s_delay_alu instid0(VALU_DEP_3) | instskip(NEXT) | instid1(VALU_DEP_3)
	v_dual_mul_f32 v19, v185, v113 :: v_dual_fma_f32 v39, v174, v102, -v39
	v_dual_add_f32 v7, v7, v21 :: v_dual_fmac_f32 v25, v177, v104
	s_wait_loadcnt_dscnt 0x600
	s_delay_alu instid0(VALU_DEP_3) | instskip(SKIP_1) | instid1(VALU_DEP_3)
	v_dual_add_f32 v9, v9, v41 :: v_dual_mul_f32 v21, v187, v115
	v_dual_mul_f32 v27, v178, v107 :: v_dual_mul_f32 v29, v180, v109
	v_dual_fma_f32 v11, v176, v104, -v11 :: v_dual_add_f32 v7, v7, v23
	s_delay_alu instid0(VALU_DEP_2) | instskip(SKIP_1) | instid1(VALU_DEP_2)
	v_dual_add_f32 v9, v9, v39 :: v_dual_fmac_f32 v27, v179, v106
	v_dual_mul_f32 v23, v189, v117 :: v_dual_fma_f32 v13, v178, v106, -v13
	v_dual_add_f32 v7, v7, v25 :: v_dual_add_f32 v9, v9, v11
	v_dual_mul_f32 v31, v182, v111 :: v_dual_mul_f32 v33, v184, v113
	s_wait_loadcnt 0x5
	v_dual_mul_f32 v11, v171, v119 :: v_dual_fmac_f32 v29, v181, v108
	s_delay_alu instid0(VALU_DEP_3) | instskip(NEXT) | instid1(VALU_DEP_3)
	v_dual_fma_f32 v15, v180, v108, -v15 :: v_dual_add_f32 v7, v7, v27
	v_dual_add_f32 v9, v9, v13 :: v_dual_fmac_f32 v31, v183, v110
	v_dual_mul_f32 v13, v173, v121 :: v_dual_fma_f32 v17, v182, v110, -v17
	s_delay_alu instid0(VALU_DEP_2) | instskip(SKIP_2) | instid1(VALU_DEP_3)
	v_dual_add_f32 v7, v7, v29 :: v_dual_add_f32 v9, v9, v15
	v_dual_mul_f32 v35, v186, v115 :: v_dual_mul_f32 v37, v188, v117
	v_dual_fmac_f32 v33, v185, v112 :: v_dual_fma_f32 v15, v184, v112, -v19
	v_dual_add_f32 v7, v7, v31 :: v_dual_add_f32 v9, v9, v17
	s_wait_loadcnt 0x4
	s_delay_alu instid0(VALU_DEP_3) | instskip(NEXT) | instid1(VALU_DEP_2)
	v_dual_mov_b32 v88, v125 :: v_dual_fmac_f32 v35, v187, v114
	v_dual_fma_f32 v17, v186, v114, -v21 :: v_dual_add_f32 v7, v7, v33
	s_delay_alu instid0(VALU_DEP_3) | instskip(SKIP_1) | instid1(VALU_DEP_3)
	v_dual_add_f32 v9, v9, v15 :: v_dual_fma_f32 v15, v188, v116, -v23
	v_dual_mul_f32 v201, v170, v119 :: v_dual_mul_f32 v203, v172, v121
	v_dual_fmac_f32 v37, v189, v116 :: v_dual_add_f32 v7, v7, v35
	s_delay_alu instid0(VALU_DEP_2) | instskip(SKIP_3) | instid1(VALU_DEP_3)
	v_dual_add_f32 v9, v9, v17 :: v_dual_fmac_f32 v201, v171, v118
	v_pk_mul_f32 v[86:87], v[138:139], v[122:123] op_sel:[1,1] op_sel_hi:[0,1]
	s_wait_loadcnt 0x3
	v_dual_mov_b32 v92, v129 :: v_dual_fma_f32 v200, v170, v118, -v11
	v_dual_add_f32 v95, v7, v37 :: v_dual_add_f32 v94, v9, v15
	v_dual_fmac_f32 v203, v173, v120 :: v_dual_fma_f32 v202, v172, v120, -v13
	v_pk_fma_f32 v[96:97], v[138:139], v[122:123], v[86:87] op_sel_hi:[1,0,1]
	v_pk_mul_f32 v[88:89], v[192:193], v[88:89] op_sel_hi:[1,0]
	s_delay_alu instid0(VALU_DEP_4)
	v_pk_add_f32 v[94:95], v[94:95], v[200:201]
	v_pk_fma_f32 v[86:87], v[138:139], v[122:123], v[86:87] neg_lo:[0,0,1] neg_hi:[0,0,1]
	v_pk_mul_f32 v[90:91], v[142:143], v[126:127] op_sel:[1,1] op_sel_hi:[0,1]
	v_mov_b32_e32 v87, v97
	v_pk_fma_f32 v[96:97], v[140:141], v[124:125], v[88:89] op_sel_hi:[1,0,1]
	v_pk_add_f32 v[94:95], v[94:95], v[202:203]
	v_pk_fma_f32 v[88:89], v[140:141], v[124:125], v[88:89] neg_lo:[0,0,1] neg_hi:[0,0,1]
	v_pk_fma_f32 v[100:101], v[142:143], v[126:127], v[90:91] op_sel_hi:[1,0,1]
	v_pk_mul_f32 v[92:93], v[194:195], v[92:93] op_sel_hi:[1,0]
	v_mov_b32_e32 v89, v97
	v_pk_add_f32 v[86:87], v[94:95], v[86:87]
	s_wait_loadcnt 0x2
	v_pk_mul_f32 v[98:99], v[146:147], v[130:131] op_sel:[1,1] op_sel_hi:[0,1]
	v_mov_b32_e32 v94, v133
	v_pk_fma_f32 v[90:91], v[142:143], v[126:127], v[90:91] neg_lo:[0,0,1] neg_hi:[0,0,1]
	v_mov_b32_e32 v91, v101
	v_pk_fma_f32 v[96:97], v[144:145], v[128:129], v[92:93] op_sel_hi:[1,0,1]
	v_pk_add_f32 v[86:87], v[86:87], v[88:89]
	v_pk_fma_f32 v[88:89], v[146:147], v[130:131], v[98:99] op_sel_hi:[1,0,1]
	v_pk_mul_f32 v[94:95], v[196:197], v[94:95] op_sel_hi:[1,0]
	v_pk_fma_f32 v[92:93], v[144:145], v[128:129], v[92:93] neg_lo:[0,0,1] neg_hi:[0,0,1]
	v_mov_b32_e32 v93, v97
	v_pk_add_f32 v[86:87], v[86:87], v[90:91]
	v_pk_fma_f32 v[96:97], v[146:147], v[130:131], v[98:99] neg_lo:[0,0,1] neg_hi:[0,0,1]
	v_mov_b32_e32 v97, v89
	v_pk_fma_f32 v[88:89], v[148:149], v[132:133], v[94:95] op_sel_hi:[1,0,1]
	s_wait_loadcnt 0x1
	v_pk_mul_f32 v[90:91], v[150:151], v[134:135] op_sel:[1,1] op_sel_hi:[0,1]
	v_pk_add_f32 v[86:87], v[86:87], v[92:93]
	v_mov_b32_e32 v88, v137
	v_pk_fma_f32 v[94:95], v[148:149], v[132:133], v[94:95] neg_lo:[0,0,1] neg_hi:[0,0,1]
	v_mov_b32_e32 v95, v89
	v_pk_fma_f32 v[92:93], v[150:151], v[134:135], v[90:91] op_sel_hi:[1,0,1]
	v_pk_add_f32 v[86:87], v[86:87], v[96:97]
	v_pk_mul_f32 v[88:89], v[198:199], v[88:89] op_sel_hi:[1,0]
	v_pk_fma_f32 v[90:91], v[150:151], v[134:135], v[90:91] neg_lo:[0,0,1] neg_hi:[0,0,1]
	s_delay_alu instid0(VALU_DEP_4) | instskip(NEXT) | instid1(VALU_DEP_4)
	v_mov_b32_e32 v91, v93
	v_pk_add_f32 v[86:87], v[86:87], v[94:95]
	s_delay_alu instid0(VALU_DEP_4) | instskip(SKIP_1) | instid1(VALU_DEP_2)
	v_pk_fma_f32 v[92:93], v[152:153], v[136:137], v[88:89] op_sel_hi:[1,0,1]
	v_pk_fma_f32 v[88:89], v[152:153], v[136:137], v[88:89] neg_lo:[0,0,1] neg_hi:[0,0,1]
	v_mov_b32_e32 v89, v93
	s_delay_alu instid0(VALU_DEP_4) | instskip(NEXT) | instid1(VALU_DEP_1)
	v_pk_add_f32 v[86:87], v[86:87], v[90:91]
	v_pk_add_f32 v[86:87], v[86:87], v[88:89]
	s_wait_loadcnt 0x0
	s_delay_alu instid0(VALU_DEP_1)
	v_pk_add_f32 v[86:87], v[190:191], v[86:87] neg_lo:[0,1] neg_hi:[0,1]
	scratch_store_b64 off, v[86:87], off offset:120
	s_wait_xcnt 0x0
	v_cmpx_lt_u32_e32 14, v0
	s_cbranch_execz .LBB105_237
; %bb.236:
	scratch_load_b64 v[86:87], off, off offset:112
	v_mov_b64_e32 v[88:89], 0
	scratch_store_b64 off, v[88:89], off offset:112
	s_wait_loadcnt 0x0
	ds_store_b64 v1, v[86:87]
.LBB105_237:
	s_wait_xcnt 0x0
	s_or_b32 exec_lo, exec_lo, s0
	s_wait_storecnt_dscnt 0x0
	s_barrier_signal -1
	s_barrier_wait -1
	s_clause 0xe
	scratch_load_b128 v[86:89], off, off offset:120
	scratch_load_b128 v[90:93], off, off offset:136
	;; [unrolled: 1-line block ×13, first 2 shown]
	scratch_load_b64 v[190:191], off, off offset:328
	scratch_load_b64 v[192:193], off, off offset:112
	v_mov_b32_e32 v7, 0
	ds_load_2addr_b64 v[138:141], v7 offset0:75 offset1:76
	ds_load_2addr_b64 v[142:145], v7 offset0:77 offset1:78
	;; [unrolled: 1-line block ×13, first 2 shown]
	ds_load_b64 v[194:195], v7 offset:664
	s_mov_b32 s0, exec_lo
	s_wait_dscnt 0xd
	v_dual_mov_b32 v196, v141 :: v_dual_mov_b32 v197, v140
	s_wait_dscnt 0xa
	v_dual_mov_b32 v198, v145 :: v_dual_mov_b32 v203, v152
	v_dual_mov_b32 v199, v144 :: v_dual_mov_b32 v200, v149
	;; [unrolled: 1-line block ×3, first 2 shown]
	s_wait_loadcnt_dscnt 0xe09
	v_dual_mul_f32 v9, v154, v87 :: v_dual_mul_f32 v43, v155, v87
	v_dual_mul_f32 v45, v157, v89 :: v_dual_mul_f32 v11, v156, v89
	s_wait_loadcnt_dscnt 0xd08
	v_mul_f32_e32 v13, v158, v91
	s_wait_loadcnt_dscnt 0xb05
	v_dual_mul_f32 v55, v171, v99 :: v_dual_fma_f32 v43, v154, v86, -v43
	v_dual_fmac_f32 v9, v155, v86 :: v_dual_mul_f32 v57, v173, v101
	v_dual_mul_f32 v47, v159, v91 :: v_dual_mul_f32 v49, v161, v93
	v_dual_fmac_f32 v11, v157, v88 :: v_dual_fma_f32 v45, v156, v88, -v45
	s_delay_alu instid0(VALU_DEP_3) | instskip(SKIP_3) | instid1(VALU_DEP_3)
	v_dual_add_f32 v9, 0, v9 :: v_dual_add_f32 v43, 0, v43
	v_dual_mul_f32 v15, v160, v93 :: v_dual_mul_f32 v17, v162, v95
	s_wait_loadcnt_dscnt 0xa04
	v_dual_mul_f32 v59, v175, v103 :: v_dual_fma_f32 v47, v158, v90, -v47
	v_dual_fmac_f32 v13, v159, v90 :: v_dual_add_f32 v9, v9, v11
	s_delay_alu instid0(VALU_DEP_3) | instskip(SKIP_2) | instid1(VALU_DEP_3)
	v_dual_add_f32 v11, v43, v45 :: v_dual_fmac_f32 v15, v161, v92
	v_dual_mul_f32 v51, v163, v95 :: v_dual_mul_f32 v53, v165, v97
	v_dual_mul_f32 v43, v177, v105 :: v_dual_fma_f32 v45, v160, v92, -v49
	v_dual_add_f32 v9, v9, v13 :: v_dual_add_f32 v11, v11, v47
	v_dual_mul_f32 v19, v164, v97 :: v_dual_mul_f32 v21, v170, v99
	s_wait_loadcnt_dscnt 0x903
	v_dual_mul_f32 v13, v179, v107 :: v_dual_fma_f32 v47, v162, v94, -v51
	s_delay_alu instid0(VALU_DEP_3) | instskip(NEXT) | instid1(VALU_DEP_3)
	v_dual_fmac_f32 v17, v163, v94 :: v_dual_add_f32 v9, v9, v15
	v_dual_add_f32 v11, v11, v45 :: v_dual_fmac_f32 v19, v165, v96
	v_dual_mul_f32 v15, v181, v109 :: v_dual_fma_f32 v45, v164, v96, -v53
	s_delay_alu instid0(VALU_DEP_2) | instskip(SKIP_3) | instid1(VALU_DEP_3)
	v_dual_add_f32 v9, v9, v17 :: v_dual_add_f32 v11, v11, v47
	v_dual_mul_f32 v23, v172, v101 :: v_dual_mul_f32 v25, v174, v103
	s_wait_loadcnt_dscnt 0x802
	v_dual_mul_f32 v17, v183, v111 :: v_dual_fma_f32 v47, v170, v98, -v55
	v_dual_fmac_f32 v21, v171, v98 :: v_dual_add_f32 v9, v9, v19
	s_delay_alu instid0(VALU_DEP_3) | instskip(SKIP_1) | instid1(VALU_DEP_2)
	v_dual_add_f32 v11, v11, v45 :: v_dual_fmac_f32 v23, v173, v100
	v_dual_mul_f32 v19, v185, v113 :: v_dual_fma_f32 v45, v172, v100, -v57
	v_dual_add_f32 v9, v9, v21 :: v_dual_add_f32 v11, v11, v47
	v_dual_mul_f32 v27, v176, v105 :: v_dual_mul_f32 v29, v178, v107
	s_wait_loadcnt_dscnt 0x701
	v_dual_mul_f32 v21, v187, v115 :: v_dual_fma_f32 v47, v174, v102, -v59
	s_delay_alu instid0(VALU_DEP_3) | instskip(NEXT) | instid1(VALU_DEP_3)
	v_dual_fmac_f32 v25, v175, v102 :: v_dual_add_f32 v9, v9, v23
	v_dual_add_f32 v11, v11, v45 :: v_dual_fmac_f32 v27, v177, v104
	v_dual_mul_f32 v23, v189, v117 :: v_dual_fma_f32 v43, v176, v104, -v43
	s_delay_alu instid0(VALU_DEP_2) | instskip(SKIP_3) | instid1(VALU_DEP_3)
	v_dual_add_f32 v9, v9, v25 :: v_dual_add_f32 v11, v11, v47
	v_dual_mul_f32 v31, v180, v109 :: v_dual_mul_f32 v33, v182, v111
	s_wait_loadcnt 0x6
	v_dual_mul_f32 v25, v167, v119 :: v_dual_fma_f32 v13, v178, v106, -v13
	v_dual_fmac_f32 v29, v179, v106 :: v_dual_add_f32 v9, v9, v27
	v_dual_add_f32 v11, v11, v43 :: v_dual_mul_f32 v27, v169, v121
	v_fmac_f32_e32 v31, v181, v108
	s_delay_alu instid0(VALU_DEP_3) | instskip(NEXT) | instid1(VALU_DEP_3)
	v_dual_fma_f32 v15, v180, v108, -v15 :: v_dual_add_f32 v9, v9, v29
	v_add_f32_e32 v11, v11, v13
	v_dual_mul_f32 v35, v184, v113 :: v_dual_mul_f32 v37, v186, v115
	s_wait_loadcnt 0x5
	v_dual_mul_f32 v13, v139, v123 :: v_dual_fma_f32 v17, v182, v110, -v17
	v_dual_fmac_f32 v33, v183, v110 :: v_dual_add_f32 v9, v9, v31
	v_dual_add_f32 v11, v11, v15 :: v_dual_mov_b32 v86, v125
	v_fmac_f32_e32 v35, v185, v112
	s_delay_alu instid0(VALU_DEP_3) | instskip(NEXT) | instid1(VALU_DEP_3)
	v_dual_fma_f32 v15, v184, v112, -v19 :: v_dual_add_f32 v9, v9, v33
	v_add_f32_e32 v11, v11, v17
	v_dual_mul_f32 v39, v188, v117 :: v_dual_mul_f32 v41, v166, v119
	s_delay_alu instid0(VALU_DEP_3) | instskip(NEXT) | instid1(VALU_DEP_3)
	v_dual_fmac_f32 v37, v187, v114 :: v_dual_add_f32 v9, v9, v35
	v_dual_fma_f32 v17, v186, v114, -v21 :: v_dual_add_f32 v11, v11, v15
	s_wait_loadcnt 0x4
	v_dual_mov_b32 v90, v129 :: v_dual_fma_f32 v15, v188, v116, -v23
	v_fmac_f32_e32 v39, v189, v116
	v_dual_add_f32 v9, v9, v37 :: v_dual_fmac_f32 v41, v167, v118
	v_add_f32_e32 v11, v11, v17
	v_dual_mul_f32 v205, v168, v121 :: v_dual_mul_f32 v207, v138, v123
	s_delay_alu instid0(VALU_DEP_3) | instskip(NEXT) | instid1(VALU_DEP_2)
	v_dual_fma_f32 v17, v166, v118, -v25 :: v_dual_add_f32 v9, v9, v39
	v_dual_add_f32 v11, v11, v15 :: v_dual_fmac_f32 v205, v169, v120
	v_fma_f32 v204, v168, v120, -v27
	v_pk_mul_f32 v[86:87], v[196:197], v[86:87] op_sel_hi:[1,0]
	s_delay_alu instid0(VALU_DEP_4)
	v_add_f32_e32 v95, v9, v41
	s_wait_loadcnt 0x3
	v_dual_add_f32 v94, v11, v17 :: v_dual_mov_b32 v96, v133
	v_pk_mul_f32 v[88:89], v[142:143], v[126:127] op_sel:[1,1] op_sel_hi:[0,1]
	v_dual_fmac_f32 v207, v139, v122 :: v_dual_fma_f32 v206, v138, v122, -v13
	v_pk_fma_f32 v[98:99], v[140:141], v[124:125], v[86:87] op_sel_hi:[1,0,1]
	s_delay_alu instid0(VALU_DEP_4)
	v_pk_add_f32 v[94:95], v[94:95], v[204:205]
	v_pk_fma_f32 v[86:87], v[140:141], v[124:125], v[86:87] neg_lo:[0,0,1] neg_hi:[0,0,1]
	v_pk_fma_f32 v[100:101], v[142:143], v[126:127], v[88:89] op_sel_hi:[1,0,1]
	v_pk_mul_f32 v[90:91], v[198:199], v[90:91] op_sel_hi:[1,0]
	v_mov_b32_e32 v87, v99
	v_pk_add_f32 v[94:95], v[94:95], v[206:207]
	v_pk_fma_f32 v[88:89], v[142:143], v[126:127], v[88:89] neg_lo:[0,0,1] neg_hi:[0,0,1]
	v_pk_mul_f32 v[92:93], v[146:147], v[130:131] op_sel:[1,1] op_sel_hi:[0,1]
	v_mov_b32_e32 v89, v101
	v_pk_fma_f32 v[100:101], v[144:145], v[128:129], v[90:91] op_sel_hi:[1,0,1]
	v_pk_add_f32 v[86:87], v[94:95], v[86:87]
	v_pk_fma_f32 v[90:91], v[144:145], v[128:129], v[90:91] neg_lo:[0,0,1] neg_hi:[0,0,1]
	v_pk_fma_f32 v[94:95], v[146:147], v[130:131], v[92:93] op_sel_hi:[1,0,1]
	v_pk_mul_f32 v[96:97], v[200:201], v[96:97] op_sel_hi:[1,0]
	v_mov_b32_e32 v91, v101
	v_pk_add_f32 v[86:87], v[86:87], v[88:89]
	v_pk_fma_f32 v[92:93], v[146:147], v[130:131], v[92:93] neg_lo:[0,0,1] neg_hi:[0,0,1]
	s_wait_loadcnt 0x2
	v_pk_mul_f32 v[98:99], v[150:151], v[134:135] op_sel:[1,1] op_sel_hi:[0,1]
	v_dual_mov_b32 v88, v137 :: v_dual_mov_b32 v93, v95
	v_pk_fma_f32 v[94:95], v[148:149], v[132:133], v[96:97] op_sel_hi:[1,0,1]
	v_pk_add_f32 v[86:87], v[86:87], v[90:91]
	v_pk_fma_f32 v[96:97], v[148:149], v[132:133], v[96:97] neg_lo:[0,0,1] neg_hi:[0,0,1]
	v_pk_fma_f32 v[90:91], v[150:151], v[134:135], v[98:99] op_sel_hi:[1,0,1]
	v_pk_mul_f32 v[88:89], v[202:203], v[88:89] op_sel_hi:[1,0]
	v_mov_b32_e32 v97, v95
	v_pk_add_f32 v[86:87], v[86:87], v[92:93]
	v_pk_fma_f32 v[92:93], v[150:151], v[134:135], v[98:99] neg_lo:[0,0,1] neg_hi:[0,0,1]
	v_mov_b32_e32 v93, v91
	v_pk_fma_f32 v[90:91], v[152:153], v[136:137], v[88:89] op_sel_hi:[1,0,1]
	s_wait_loadcnt_dscnt 0x100
	v_pk_mul_f32 v[94:95], v[194:195], v[190:191] op_sel:[1,1] op_sel_hi:[0,1]
	v_pk_add_f32 v[86:87], v[86:87], v[96:97]
	v_pk_fma_f32 v[88:89], v[152:153], v[136:137], v[88:89] neg_lo:[0,0,1] neg_hi:[0,0,1]
	v_mov_b32_e32 v89, v91
	s_delay_alu instid0(VALU_DEP_4) | instskip(NEXT) | instid1(VALU_DEP_4)
	v_pk_fma_f32 v[90:91], v[194:195], v[190:191], v[94:95] op_sel_hi:[1,0,1]
	v_pk_add_f32 v[86:87], v[86:87], v[92:93]
	v_pk_fma_f32 v[92:93], v[194:195], v[190:191], v[94:95] neg_lo:[0,0,1] neg_hi:[0,0,1]
	s_delay_alu instid0(VALU_DEP_3) | instskip(NEXT) | instid1(VALU_DEP_3)
	v_mov_b32_e32 v93, v91
	v_pk_add_f32 v[86:87], v[86:87], v[88:89]
	s_delay_alu instid0(VALU_DEP_1) | instskip(SKIP_1) | instid1(VALU_DEP_1)
	v_pk_add_f32 v[86:87], v[86:87], v[92:93]
	s_wait_loadcnt 0x0
	v_pk_add_f32 v[86:87], v[192:193], v[86:87] neg_lo:[0,1] neg_hi:[0,1]
	scratch_store_b64 off, v[86:87], off offset:112
	s_wait_xcnt 0x0
	v_cmpx_lt_u32_e32 13, v0
	s_cbranch_execz .LBB105_239
; %bb.238:
	scratch_load_b64 v[86:87], off, off offset:104
	v_mov_b64_e32 v[88:89], 0
	scratch_store_b64 off, v[88:89], off offset:104
	s_wait_loadcnt 0x0
	ds_store_b64 v1, v[86:87]
.LBB105_239:
	s_wait_xcnt 0x0
	s_or_b32 exec_lo, exec_lo, s0
	s_wait_storecnt_dscnt 0x0
	s_barrier_signal -1
	s_barrier_wait -1
	s_clause 0xe
	scratch_load_b128 v[86:89], off, off offset:112
	scratch_load_b128 v[90:93], off, off offset:128
	;; [unrolled: 1-line block ×14, first 2 shown]
	scratch_load_b64 v[198:199], off, off offset:104
	ds_load_b128 v[142:145], v7 offset:608
	ds_load_b128 v[146:149], v7 offset:624
	;; [unrolled: 1-line block ×14, first 2 shown]
	s_mov_b32 s0, exec_lo
	s_wait_dscnt 0xd
	v_dual_mov_b32 v200, v145 :: v_dual_mov_b32 v201, v144
	s_wait_dscnt 0xc
	v_dual_mov_b32 v202, v149 :: v_dual_mov_b32 v203, v148
	s_wait_dscnt 0xb
	v_dual_mov_b32 v204, v153 :: v_dual_mov_b32 v205, v152
	s_wait_dscnt 0xa
	v_dual_mov_b32 v206, v157 :: v_dual_mov_b32 v207, v156
	s_wait_loadcnt_dscnt 0xe09
	v_dual_mul_f32 v7, v158, v87 :: v_dual_mul_f32 v9, v160, v89
	v_dual_mul_f32 v43, v159, v87 :: v_dual_mul_f32 v45, v161, v89
	s_wait_loadcnt_dscnt 0xd08
	v_dual_mul_f32 v11, v162, v91 :: v_dual_mul_f32 v13, v164, v93
	s_delay_alu instid0(VALU_DEP_3) | instskip(SKIP_3) | instid1(VALU_DEP_3)
	v_dual_fmac_f32 v7, v159, v86 :: v_dual_fmac_f32 v9, v161, v88
	s_wait_loadcnt_dscnt 0xb06
	v_dual_fma_f32 v43, v158, v86, -v43 :: v_dual_mul_f32 v55, v171, v99
	v_dual_mul_f32 v47, v163, v91 :: v_dual_mul_f32 v49, v165, v93
	v_dual_fma_f32 v45, v160, v88, -v45 :: v_dual_add_f32 v7, 0, v7
	s_delay_alu instid0(VALU_DEP_3) | instskip(SKIP_1) | instid1(VALU_DEP_3)
	v_dual_add_f32 v43, 0, v43 :: v_dual_mul_f32 v57, v173, v101
	v_dual_fmac_f32 v11, v163, v90 :: v_dual_fmac_f32 v13, v165, v92
	v_dual_fma_f32 v47, v162, v90, -v47 :: v_dual_add_f32 v7, v7, v9
	s_delay_alu instid0(VALU_DEP_3) | instskip(SKIP_2) | instid1(VALU_DEP_4)
	v_dual_add_f32 v9, v43, v45 :: v_dual_fma_f32 v45, v164, v92, -v49
	v_dual_mul_f32 v15, v166, v95 :: v_dual_mul_f32 v17, v168, v97
	v_dual_mul_f32 v51, v167, v95 :: v_dual_mul_f32 v53, v169, v97
	v_add_f32_e32 v7, v7, v11
	s_delay_alu instid0(VALU_DEP_3) | instskip(NEXT) | instid1(VALU_DEP_3)
	v_dual_add_f32 v9, v9, v47 :: v_dual_fmac_f32 v15, v167, v94
	v_fma_f32 v47, v166, v94, -v51
	v_dual_mul_f32 v19, v170, v99 :: v_dual_mul_f32 v21, v172, v101
	s_delay_alu instid0(VALU_DEP_4) | instskip(SKIP_2) | instid1(VALU_DEP_2)
	v_dual_add_f32 v7, v7, v13 :: v_dual_fmac_f32 v17, v169, v96
	s_wait_loadcnt_dscnt 0x904
	v_dual_add_f32 v9, v9, v45 :: v_dual_mul_f32 v13, v179, v107
	v_dual_fma_f32 v45, v168, v96, -v53 :: v_dual_add_f32 v7, v7, v15
	v_mul_f32_e32 v15, v181, v109
	s_delay_alu instid0(VALU_DEP_3) | instskip(NEXT) | instid1(VALU_DEP_3)
	v_dual_add_f32 v9, v9, v47 :: v_dual_fmac_f32 v19, v171, v98
	v_dual_fma_f32 v47, v170, v98, -v55 :: v_dual_add_f32 v7, v7, v17
	v_fmac_f32_e32 v21, v173, v100
	s_wait_loadcnt_dscnt 0x803
	s_delay_alu instid0(VALU_DEP_3) | instskip(SKIP_3) | instid1(VALU_DEP_3)
	v_dual_add_f32 v9, v9, v45 :: v_dual_mul_f32 v17, v183, v111
	v_dual_mul_f32 v23, v174, v103 :: v_dual_mul_f32 v25, v176, v105
	v_dual_mul_f32 v43, v175, v103 :: v_dual_mul_f32 v11, v177, v105
	v_dual_fma_f32 v45, v172, v100, -v57 :: v_dual_add_f32 v7, v7, v19
	v_dual_add_f32 v9, v9, v47 :: v_dual_fmac_f32 v23, v175, v102
	s_delay_alu instid0(VALU_DEP_3) | instskip(NEXT) | instid1(VALU_DEP_3)
	v_dual_mul_f32 v19, v185, v113 :: v_dual_fma_f32 v43, v174, v102, -v43
	v_dual_add_f32 v7, v7, v21 :: v_dual_fmac_f32 v25, v177, v104
	s_wait_loadcnt_dscnt 0x702
	s_delay_alu instid0(VALU_DEP_3) | instskip(SKIP_1) | instid1(VALU_DEP_3)
	v_dual_add_f32 v9, v9, v45 :: v_dual_mul_f32 v21, v187, v115
	v_dual_mul_f32 v27, v178, v107 :: v_dual_mul_f32 v29, v180, v109
	v_dual_fma_f32 v11, v176, v104, -v11 :: v_dual_add_f32 v7, v7, v23
	s_delay_alu instid0(VALU_DEP_2) | instskip(SKIP_1) | instid1(VALU_DEP_2)
	v_dual_add_f32 v9, v9, v43 :: v_dual_fmac_f32 v27, v179, v106
	v_dual_mul_f32 v23, v189, v117 :: v_dual_fma_f32 v13, v178, v106, -v13
	v_dual_add_f32 v7, v7, v25 :: v_dual_add_f32 v9, v9, v11
	v_dual_mul_f32 v31, v182, v111 :: v_dual_mul_f32 v33, v184, v113
	s_wait_loadcnt_dscnt 0x601
	v_dual_mul_f32 v11, v191, v119 :: v_dual_fmac_f32 v29, v181, v108
	s_delay_alu instid0(VALU_DEP_3) | instskip(NEXT) | instid1(VALU_DEP_3)
	v_dual_fma_f32 v15, v180, v108, -v15 :: v_dual_add_f32 v7, v7, v27
	v_dual_add_f32 v9, v9, v13 :: v_dual_fmac_f32 v31, v183, v110
	v_dual_mul_f32 v13, v193, v121 :: v_dual_fma_f32 v17, v182, v110, -v17
	s_delay_alu instid0(VALU_DEP_2) | instskip(SKIP_3) | instid1(VALU_DEP_3)
	v_dual_add_f32 v7, v7, v29 :: v_dual_add_f32 v9, v9, v15
	v_dual_mul_f32 v35, v186, v115 :: v_dual_mul_f32 v37, v188, v117
	s_wait_loadcnt_dscnt 0x500
	v_dual_mul_f32 v15, v195, v123 :: v_dual_fmac_f32 v33, v185, v112
	v_dual_fma_f32 v19, v184, v112, -v19 :: v_dual_add_f32 v7, v7, v31
	s_delay_alu instid0(VALU_DEP_3) | instskip(SKIP_1) | instid1(VALU_DEP_2)
	v_dual_add_f32 v9, v9, v17 :: v_dual_fmac_f32 v35, v187, v114
	v_dual_mul_f32 v17, v197, v125 :: v_dual_fma_f32 v21, v186, v114, -v21
	v_dual_add_f32 v7, v7, v33 :: v_dual_add_f32 v9, v9, v19
	v_dual_mul_f32 v39, v190, v119 :: v_dual_mul_f32 v41, v192, v121
	v_dual_fmac_f32 v37, v189, v116 :: v_dual_fma_f32 v19, v188, v116, -v23
	s_delay_alu instid0(VALU_DEP_3) | instskip(SKIP_1) | instid1(VALU_DEP_3)
	v_dual_add_f32 v7, v7, v35 :: v_dual_add_f32 v9, v9, v21
	s_wait_loadcnt 0x4
	v_dual_mov_b32 v88, v129 :: v_dual_fmac_f32 v39, v191, v118
	s_delay_alu instid0(VALU_DEP_2) | instskip(NEXT) | instid1(VALU_DEP_3)
	v_dual_fma_f32 v11, v190, v118, -v11 :: v_dual_add_f32 v7, v7, v37
	v_dual_add_f32 v9, v9, v19 :: v_dual_fma_f32 v13, v192, v120, -v13
	v_dual_mul_f32 v209, v194, v123 :: v_dual_mul_f32 v211, v196, v125
	s_delay_alu instid0(VALU_DEP_3) | instskip(NEXT) | instid1(VALU_DEP_2)
	v_dual_fmac_f32 v41, v193, v120 :: v_dual_add_f32 v7, v7, v39
	v_dual_add_f32 v9, v9, v11 :: v_dual_fmac_f32 v209, v195, v122
	v_pk_mul_f32 v[86:87], v[142:143], v[126:127] op_sel:[1,1] op_sel_hi:[0,1]
	s_wait_loadcnt 0x3
	v_dual_mov_b32 v92, v133 :: v_dual_fma_f32 v208, v194, v122, -v15
	v_dual_add_f32 v95, v7, v41 :: v_dual_fmac_f32 v211, v197, v124
	v_dual_add_f32 v94, v9, v13 :: v_dual_fma_f32 v210, v196, v124, -v17
	v_pk_fma_f32 v[96:97], v[142:143], v[126:127], v[86:87] op_sel_hi:[1,0,1]
	v_pk_mul_f32 v[88:89], v[200:201], v[88:89] op_sel_hi:[1,0]
	v_pk_fma_f32 v[86:87], v[142:143], v[126:127], v[86:87] neg_lo:[0,0,1] neg_hi:[0,0,1]
	s_delay_alu instid0(VALU_DEP_4)
	v_pk_add_f32 v[94:95], v[94:95], v[208:209]
	v_pk_mul_f32 v[90:91], v[146:147], v[130:131] op_sel:[1,1] op_sel_hi:[0,1]
	v_mov_b32_e32 v87, v97
	v_pk_fma_f32 v[96:97], v[144:145], v[128:129], v[88:89] op_sel_hi:[1,0,1]
	v_pk_fma_f32 v[88:89], v[144:145], v[128:129], v[88:89] neg_lo:[0,0,1] neg_hi:[0,0,1]
	v_pk_add_f32 v[94:95], v[94:95], v[210:211]
	v_pk_fma_f32 v[100:101], v[146:147], v[130:131], v[90:91] op_sel_hi:[1,0,1]
	v_pk_mul_f32 v[92:93], v[202:203], v[92:93] op_sel_hi:[1,0]
	v_mov_b32_e32 v89, v97
	s_wait_loadcnt 0x2
	v_pk_mul_f32 v[98:99], v[150:151], v[134:135] op_sel:[1,1] op_sel_hi:[0,1]
	v_pk_add_f32 v[86:87], v[94:95], v[86:87]
	v_mov_b32_e32 v94, v137
	v_pk_fma_f32 v[90:91], v[146:147], v[130:131], v[90:91] neg_lo:[0,0,1] neg_hi:[0,0,1]
	v_mov_b32_e32 v91, v101
	v_pk_fma_f32 v[96:97], v[148:149], v[132:133], v[92:93] op_sel_hi:[1,0,1]
	v_pk_add_f32 v[86:87], v[86:87], v[88:89]
	v_pk_fma_f32 v[88:89], v[150:151], v[134:135], v[98:99] op_sel_hi:[1,0,1]
	v_pk_mul_f32 v[94:95], v[204:205], v[94:95] op_sel_hi:[1,0]
	v_pk_fma_f32 v[92:93], v[148:149], v[132:133], v[92:93] neg_lo:[0,0,1] neg_hi:[0,0,1]
	v_mov_b32_e32 v93, v97
	v_pk_add_f32 v[86:87], v[86:87], v[90:91]
	v_pk_fma_f32 v[96:97], v[150:151], v[134:135], v[98:99] neg_lo:[0,0,1] neg_hi:[0,0,1]
	v_mov_b32_e32 v97, v89
	v_pk_fma_f32 v[88:89], v[152:153], v[136:137], v[94:95] op_sel_hi:[1,0,1]
	s_wait_loadcnt 0x1
	v_pk_mul_f32 v[90:91], v[154:155], v[138:139] op_sel:[1,1] op_sel_hi:[0,1]
	v_pk_add_f32 v[86:87], v[86:87], v[92:93]
	v_mov_b32_e32 v88, v141
	v_pk_fma_f32 v[94:95], v[152:153], v[136:137], v[94:95] neg_lo:[0,0,1] neg_hi:[0,0,1]
	v_mov_b32_e32 v95, v89
	v_pk_fma_f32 v[92:93], v[154:155], v[138:139], v[90:91] op_sel_hi:[1,0,1]
	v_pk_add_f32 v[86:87], v[86:87], v[96:97]
	v_pk_mul_f32 v[88:89], v[206:207], v[88:89] op_sel_hi:[1,0]
	v_pk_fma_f32 v[90:91], v[154:155], v[138:139], v[90:91] neg_lo:[0,0,1] neg_hi:[0,0,1]
	s_delay_alu instid0(VALU_DEP_4) | instskip(NEXT) | instid1(VALU_DEP_4)
	v_mov_b32_e32 v91, v93
	v_pk_add_f32 v[86:87], v[86:87], v[94:95]
	s_delay_alu instid0(VALU_DEP_4) | instskip(SKIP_1) | instid1(VALU_DEP_2)
	v_pk_fma_f32 v[92:93], v[156:157], v[140:141], v[88:89] op_sel_hi:[1,0,1]
	v_pk_fma_f32 v[88:89], v[156:157], v[140:141], v[88:89] neg_lo:[0,0,1] neg_hi:[0,0,1]
	v_mov_b32_e32 v89, v93
	s_delay_alu instid0(VALU_DEP_4) | instskip(NEXT) | instid1(VALU_DEP_1)
	v_pk_add_f32 v[86:87], v[86:87], v[90:91]
	v_pk_add_f32 v[86:87], v[86:87], v[88:89]
	s_wait_loadcnt 0x0
	s_delay_alu instid0(VALU_DEP_1)
	v_pk_add_f32 v[86:87], v[198:199], v[86:87] neg_lo:[0,1] neg_hi:[0,1]
	scratch_store_b64 off, v[86:87], off offset:104
	s_wait_xcnt 0x0
	v_cmpx_lt_u32_e32 12, v0
	s_cbranch_execz .LBB105_241
; %bb.240:
	scratch_load_b64 v[86:87], off, off offset:96
	v_mov_b64_e32 v[88:89], 0
	scratch_store_b64 off, v[88:89], off offset:96
	s_wait_loadcnt 0x0
	ds_store_b64 v1, v[86:87]
.LBB105_241:
	s_wait_xcnt 0x0
	s_or_b32 exec_lo, exec_lo, s0
	s_wait_storecnt_dscnt 0x0
	s_barrier_signal -1
	s_barrier_wait -1
	s_clause 0xf
	scratch_load_b128 v[86:89], off, off offset:104
	scratch_load_b128 v[90:93], off, off offset:120
	;; [unrolled: 1-line block ×14, first 2 shown]
	scratch_load_b64 v[198:199], off, off offset:328
	scratch_load_b64 v[200:201], off, off offset:96
	v_mov_b32_e32 v7, 0
	ds_load_2addr_b64 v[142:145], v7 offset0:75 offset1:76
	ds_load_2addr_b64 v[146:149], v7 offset0:77 offset1:78
	;; [unrolled: 1-line block ×14, first 2 shown]
	ds_load_b64 v[202:203], v7 offset:664
	s_mov_b32 s0, exec_lo
	s_wait_dscnt 0xe
	v_dual_mov_b32 v204, v145 :: v_dual_mov_b32 v205, v144
	s_wait_dscnt 0xb
	v_dual_mov_b32 v206, v149 :: v_dual_mov_b32 v211, v156
	v_dual_mov_b32 v207, v148 :: v_dual_mov_b32 v208, v153
	;; [unrolled: 1-line block ×3, first 2 shown]
	s_wait_loadcnt_dscnt 0xf0a
	v_dual_mul_f32 v9, v158, v87 :: v_dual_mul_f32 v47, v159, v87
	v_dual_mul_f32 v49, v161, v89 :: v_dual_mul_f32 v11, v160, v89
	s_wait_loadcnt_dscnt 0xe09
	v_mul_f32_e32 v13, v162, v91
	s_wait_loadcnt_dscnt 0xc07
	v_dual_mul_f32 v59, v171, v99 :: v_dual_fma_f32 v47, v158, v86, -v47
	v_dual_fmac_f32 v9, v159, v86 :: v_dual_mul_f32 v61, v173, v101
	v_dual_mul_f32 v51, v163, v91 :: v_dual_mul_f32 v53, v165, v93
	v_dual_fmac_f32 v11, v161, v88 :: v_dual_fma_f32 v49, v160, v88, -v49
	s_delay_alu instid0(VALU_DEP_3) | instskip(SKIP_3) | instid1(VALU_DEP_3)
	v_dual_add_f32 v9, 0, v9 :: v_dual_add_f32 v47, 0, v47
	v_dual_mul_f32 v15, v164, v93 :: v_dual_mul_f32 v17, v166, v95
	s_wait_loadcnt_dscnt 0xb06
	v_dual_mul_f32 v63, v175, v103 :: v_dual_fma_f32 v51, v162, v90, -v51
	v_dual_fmac_f32 v13, v163, v90 :: v_dual_add_f32 v9, v9, v11
	s_delay_alu instid0(VALU_DEP_3) | instskip(SKIP_2) | instid1(VALU_DEP_3)
	v_dual_add_f32 v11, v47, v49 :: v_dual_fmac_f32 v15, v165, v92
	v_dual_mul_f32 v55, v167, v95 :: v_dual_mul_f32 v57, v169, v97
	v_dual_mul_f32 v47, v177, v105 :: v_dual_fma_f32 v49, v164, v92, -v53
	v_dual_add_f32 v9, v9, v13 :: v_dual_add_f32 v11, v11, v51
	v_dual_mul_f32 v19, v168, v97 :: v_dual_mul_f32 v21, v170, v99
	s_wait_loadcnt_dscnt 0xa05
	v_dual_mul_f32 v13, v179, v107 :: v_dual_fma_f32 v51, v166, v94, -v55
	s_delay_alu instid0(VALU_DEP_3) | instskip(NEXT) | instid1(VALU_DEP_3)
	v_dual_fmac_f32 v17, v167, v94 :: v_dual_add_f32 v9, v9, v15
	v_dual_add_f32 v11, v11, v49 :: v_dual_fmac_f32 v19, v169, v96
	v_dual_mul_f32 v15, v181, v109 :: v_dual_fma_f32 v49, v168, v96, -v57
	s_delay_alu instid0(VALU_DEP_2) | instskip(SKIP_3) | instid1(VALU_DEP_3)
	v_dual_add_f32 v9, v9, v17 :: v_dual_add_f32 v11, v11, v51
	v_dual_mul_f32 v23, v172, v101 :: v_dual_mul_f32 v25, v174, v103
	s_wait_loadcnt_dscnt 0x904
	v_dual_mul_f32 v17, v183, v111 :: v_dual_fma_f32 v51, v170, v98, -v59
	v_dual_fmac_f32 v21, v171, v98 :: v_dual_add_f32 v9, v9, v19
	s_delay_alu instid0(VALU_DEP_3) | instskip(SKIP_1) | instid1(VALU_DEP_2)
	v_dual_add_f32 v11, v11, v49 :: v_dual_fmac_f32 v23, v173, v100
	v_dual_mul_f32 v19, v185, v113 :: v_dual_fma_f32 v49, v172, v100, -v61
	v_dual_add_f32 v9, v9, v21 :: v_dual_add_f32 v11, v11, v51
	v_dual_mul_f32 v27, v176, v105 :: v_dual_mul_f32 v29, v178, v107
	s_wait_loadcnt_dscnt 0x803
	v_dual_mul_f32 v21, v187, v115 :: v_dual_fma_f32 v51, v174, v102, -v63
	s_delay_alu instid0(VALU_DEP_3) | instskip(NEXT) | instid1(VALU_DEP_3)
	v_dual_fmac_f32 v25, v175, v102 :: v_dual_add_f32 v9, v9, v23
	v_dual_add_f32 v11, v11, v49 :: v_dual_fmac_f32 v27, v177, v104
	v_dual_mul_f32 v23, v189, v117 :: v_dual_fma_f32 v47, v176, v104, -v47
	s_delay_alu instid0(VALU_DEP_2) | instskip(SKIP_3) | instid1(VALU_DEP_3)
	v_dual_add_f32 v9, v9, v25 :: v_dual_add_f32 v11, v11, v51
	v_dual_mul_f32 v31, v180, v109 :: v_dual_mul_f32 v33, v182, v111
	s_wait_loadcnt_dscnt 0x702
	v_dual_mul_f32 v25, v191, v119 :: v_dual_fma_f32 v13, v178, v106, -v13
	v_dual_fmac_f32 v29, v179, v106 :: v_dual_add_f32 v9, v9, v27
	v_dual_add_f32 v11, v11, v47 :: v_dual_mul_f32 v27, v193, v121
	v_fmac_f32_e32 v31, v181, v108
	s_delay_alu instid0(VALU_DEP_3) | instskip(NEXT) | instid1(VALU_DEP_3)
	v_dual_fma_f32 v15, v180, v108, -v15 :: v_dual_add_f32 v9, v9, v29
	v_add_f32_e32 v11, v11, v13
	v_dual_mul_f32 v35, v184, v113 :: v_dual_mul_f32 v37, v186, v115
	s_wait_loadcnt_dscnt 0x601
	v_dual_mul_f32 v13, v195, v123 :: v_dual_fma_f32 v17, v182, v110, -v17
	v_dual_fmac_f32 v33, v183, v110 :: v_dual_add_f32 v9, v9, v31
	v_dual_add_f32 v11, v11, v15 :: v_dual_mul_f32 v15, v197, v125
	v_fmac_f32_e32 v35, v185, v112
	s_delay_alu instid0(VALU_DEP_3) | instskip(NEXT) | instid1(VALU_DEP_3)
	v_dual_fma_f32 v19, v184, v112, -v19 :: v_dual_add_f32 v9, v9, v33
	v_add_f32_e32 v11, v11, v17
	v_dual_mul_f32 v39, v188, v117 :: v_dual_mul_f32 v41, v190, v119
	s_wait_loadcnt 0x5
	v_dual_mul_f32 v17, v143, v127 :: v_dual_fma_f32 v21, v186, v114, -v21
	v_dual_fmac_f32 v37, v187, v114 :: v_dual_add_f32 v9, v9, v35
	v_dual_add_f32 v11, v11, v19 :: v_dual_mov_b32 v86, v129
	v_fmac_f32_e32 v39, v189, v116
	s_delay_alu instid0(VALU_DEP_3) | instskip(NEXT) | instid1(VALU_DEP_3)
	v_dual_fma_f32 v19, v188, v116, -v23 :: v_dual_add_f32 v9, v9, v37
	v_add_f32_e32 v11, v11, v21
	v_dual_mul_f32 v43, v192, v121 :: v_dual_mul_f32 v45, v194, v123
	s_delay_alu instid0(VALU_DEP_3) | instskip(NEXT) | instid1(VALU_DEP_3)
	v_dual_fmac_f32 v41, v191, v118 :: v_dual_add_f32 v9, v9, v39
	v_dual_fma_f32 v21, v190, v118, -v25 :: v_dual_add_f32 v11, v11, v19
	s_wait_loadcnt 0x4
	v_dual_mov_b32 v90, v133 :: v_dual_fma_f32 v19, v192, v120, -v27
	v_fmac_f32_e32 v43, v193, v120
	v_dual_add_f32 v9, v9, v41 :: v_dual_fmac_f32 v45, v195, v122
	v_add_f32_e32 v11, v11, v21
	v_dual_mul_f32 v213, v196, v125 :: v_dual_mul_f32 v215, v142, v127
	s_delay_alu instid0(VALU_DEP_3) | instskip(NEXT) | instid1(VALU_DEP_2)
	v_dual_fma_f32 v13, v194, v122, -v13 :: v_dual_add_f32 v9, v9, v43
	v_dual_add_f32 v11, v11, v19 :: v_dual_fmac_f32 v213, v197, v124
	v_fma_f32 v212, v196, v124, -v15
	v_pk_mul_f32 v[86:87], v[204:205], v[86:87] op_sel_hi:[1,0]
	s_delay_alu instid0(VALU_DEP_4)
	v_add_f32_e32 v95, v9, v45
	s_wait_loadcnt 0x3
	v_dual_add_f32 v94, v11, v13 :: v_dual_mov_b32 v96, v137
	v_pk_mul_f32 v[88:89], v[146:147], v[130:131] op_sel:[1,1] op_sel_hi:[0,1]
	v_dual_fmac_f32 v215, v143, v126 :: v_dual_fma_f32 v214, v142, v126, -v17
	v_pk_fma_f32 v[98:99], v[144:145], v[128:129], v[86:87] op_sel_hi:[1,0,1]
	s_delay_alu instid0(VALU_DEP_4)
	v_pk_add_f32 v[94:95], v[94:95], v[212:213]
	v_pk_fma_f32 v[86:87], v[144:145], v[128:129], v[86:87] neg_lo:[0,0,1] neg_hi:[0,0,1]
	v_pk_fma_f32 v[100:101], v[146:147], v[130:131], v[88:89] op_sel_hi:[1,0,1]
	v_pk_mul_f32 v[90:91], v[206:207], v[90:91] op_sel_hi:[1,0]
	v_mov_b32_e32 v87, v99
	v_pk_add_f32 v[94:95], v[94:95], v[214:215]
	v_pk_fma_f32 v[88:89], v[146:147], v[130:131], v[88:89] neg_lo:[0,0,1] neg_hi:[0,0,1]
	v_pk_mul_f32 v[92:93], v[150:151], v[134:135] op_sel:[1,1] op_sel_hi:[0,1]
	v_mov_b32_e32 v89, v101
	v_pk_fma_f32 v[100:101], v[148:149], v[132:133], v[90:91] op_sel_hi:[1,0,1]
	v_pk_add_f32 v[86:87], v[94:95], v[86:87]
	v_pk_fma_f32 v[90:91], v[148:149], v[132:133], v[90:91] neg_lo:[0,0,1] neg_hi:[0,0,1]
	v_pk_fma_f32 v[94:95], v[150:151], v[134:135], v[92:93] op_sel_hi:[1,0,1]
	v_pk_mul_f32 v[96:97], v[208:209], v[96:97] op_sel_hi:[1,0]
	v_mov_b32_e32 v91, v101
	v_pk_add_f32 v[86:87], v[86:87], v[88:89]
	v_pk_fma_f32 v[92:93], v[150:151], v[134:135], v[92:93] neg_lo:[0,0,1] neg_hi:[0,0,1]
	s_wait_loadcnt 0x2
	v_pk_mul_f32 v[98:99], v[154:155], v[138:139] op_sel:[1,1] op_sel_hi:[0,1]
	v_dual_mov_b32 v88, v141 :: v_dual_mov_b32 v93, v95
	v_pk_fma_f32 v[94:95], v[152:153], v[136:137], v[96:97] op_sel_hi:[1,0,1]
	v_pk_add_f32 v[86:87], v[86:87], v[90:91]
	v_pk_fma_f32 v[96:97], v[152:153], v[136:137], v[96:97] neg_lo:[0,0,1] neg_hi:[0,0,1]
	v_pk_fma_f32 v[90:91], v[154:155], v[138:139], v[98:99] op_sel_hi:[1,0,1]
	v_pk_mul_f32 v[88:89], v[210:211], v[88:89] op_sel_hi:[1,0]
	v_mov_b32_e32 v97, v95
	v_pk_add_f32 v[86:87], v[86:87], v[92:93]
	v_pk_fma_f32 v[92:93], v[154:155], v[138:139], v[98:99] neg_lo:[0,0,1] neg_hi:[0,0,1]
	v_mov_b32_e32 v93, v91
	v_pk_fma_f32 v[90:91], v[156:157], v[140:141], v[88:89] op_sel_hi:[1,0,1]
	s_wait_loadcnt_dscnt 0x100
	v_pk_mul_f32 v[94:95], v[202:203], v[198:199] op_sel:[1,1] op_sel_hi:[0,1]
	v_pk_add_f32 v[86:87], v[86:87], v[96:97]
	v_pk_fma_f32 v[88:89], v[156:157], v[140:141], v[88:89] neg_lo:[0,0,1] neg_hi:[0,0,1]
	v_mov_b32_e32 v89, v91
	s_delay_alu instid0(VALU_DEP_4) | instskip(NEXT) | instid1(VALU_DEP_4)
	v_pk_fma_f32 v[90:91], v[202:203], v[198:199], v[94:95] op_sel_hi:[1,0,1]
	v_pk_add_f32 v[86:87], v[86:87], v[92:93]
	v_pk_fma_f32 v[92:93], v[202:203], v[198:199], v[94:95] neg_lo:[0,0,1] neg_hi:[0,0,1]
	s_delay_alu instid0(VALU_DEP_3) | instskip(NEXT) | instid1(VALU_DEP_3)
	v_mov_b32_e32 v93, v91
	v_pk_add_f32 v[86:87], v[86:87], v[88:89]
	s_delay_alu instid0(VALU_DEP_1) | instskip(SKIP_1) | instid1(VALU_DEP_1)
	v_pk_add_f32 v[86:87], v[86:87], v[92:93]
	s_wait_loadcnt 0x0
	v_pk_add_f32 v[86:87], v[200:201], v[86:87] neg_lo:[0,1] neg_hi:[0,1]
	scratch_store_b64 off, v[86:87], off offset:96
	s_wait_xcnt 0x0
	v_cmpx_lt_u32_e32 11, v0
	s_cbranch_execz .LBB105_243
; %bb.242:
	scratch_load_b64 v[86:87], off, off offset:88
	v_mov_b64_e32 v[88:89], 0
	scratch_store_b64 off, v[88:89], off offset:88
	s_wait_loadcnt 0x0
	ds_store_b64 v1, v[86:87]
.LBB105_243:
	s_wait_xcnt 0x0
	s_or_b32 exec_lo, exec_lo, s0
	s_wait_storecnt_dscnt 0x0
	s_barrier_signal -1
	s_barrier_wait -1
	s_clause 0xf
	scratch_load_b128 v[86:89], off, off offset:96
	scratch_load_b128 v[90:93], off, off offset:112
	;; [unrolled: 1-line block ×15, first 2 shown]
	scratch_load_b64 v[206:207], off, off offset:88
	ds_load_b128 v[146:149], v7 offset:608
	ds_load_b128 v[150:153], v7 offset:624
	ds_load_b128 v[154:157], v7 offset:640
	ds_load_b128 v[158:161], v7 offset:656
	ds_load_b128 v[162:165], v7 offset:432
	ds_load_b128 v[166:169], v7 offset:448
	ds_load_b128 v[170:173], v7 offset:592
	ds_load_b128 v[174:177], v7 offset:464
	ds_load_b128 v[178:181], v7 offset:480
	ds_load_b128 v[182:185], v7 offset:496
	ds_load_b128 v[186:189], v7 offset:512
	ds_load_b128 v[190:193], v7 offset:528
	ds_load_b128 v[194:197], v7 offset:544
	ds_load_b128 v[198:201], v7 offset:560
	ds_load_b128 v[202:205], v7 offset:576
	s_mov_b32 s0, exec_lo
	s_wait_dscnt 0xe
	v_dual_mov_b32 v208, v149 :: v_dual_mov_b32 v209, v148
	s_wait_dscnt 0xd
	v_dual_mov_b32 v210, v153 :: v_dual_mov_b32 v211, v152
	;; [unrolled: 2-line block ×4, first 2 shown]
	s_wait_loadcnt_dscnt 0xf0a
	v_dual_mul_f32 v7, v162, v87 :: v_dual_mul_f32 v9, v164, v89
	v_dual_mul_f32 v47, v163, v87 :: v_dual_mul_f32 v49, v165, v89
	s_wait_loadcnt_dscnt 0xe09
	v_dual_mul_f32 v11, v166, v91 :: v_dual_mul_f32 v13, v168, v93
	s_delay_alu instid0(VALU_DEP_3) | instskip(SKIP_3) | instid1(VALU_DEP_3)
	v_dual_fmac_f32 v7, v163, v86 :: v_dual_fmac_f32 v9, v165, v88
	s_wait_loadcnt_dscnt 0xc06
	v_dual_fma_f32 v47, v162, v86, -v47 :: v_dual_mul_f32 v59, v179, v99
	v_dual_mul_f32 v51, v167, v91 :: v_dual_mul_f32 v53, v169, v93
	v_dual_fma_f32 v49, v164, v88, -v49 :: v_dual_add_f32 v7, 0, v7
	s_delay_alu instid0(VALU_DEP_3) | instskip(SKIP_1) | instid1(VALU_DEP_3)
	v_dual_add_f32 v47, 0, v47 :: v_dual_mul_f32 v61, v181, v101
	v_dual_fmac_f32 v11, v167, v90 :: v_dual_fmac_f32 v13, v169, v92
	v_dual_fma_f32 v51, v166, v90, -v51 :: v_dual_add_f32 v7, v7, v9
	s_delay_alu instid0(VALU_DEP_3) | instskip(SKIP_2) | instid1(VALU_DEP_4)
	v_dual_add_f32 v9, v47, v49 :: v_dual_fma_f32 v49, v168, v92, -v53
	v_dual_mul_f32 v15, v174, v95 :: v_dual_mul_f32 v17, v176, v97
	v_dual_mul_f32 v55, v175, v95 :: v_dual_mul_f32 v57, v177, v97
	v_add_f32_e32 v7, v7, v11
	s_delay_alu instid0(VALU_DEP_3) | instskip(NEXT) | instid1(VALU_DEP_3)
	v_dual_add_f32 v9, v9, v51 :: v_dual_fmac_f32 v15, v175, v94
	v_fma_f32 v51, v174, v94, -v55
	v_dual_mul_f32 v19, v178, v99 :: v_dual_mul_f32 v21, v180, v101
	s_delay_alu instid0(VALU_DEP_4) | instskip(SKIP_2) | instid1(VALU_DEP_2)
	v_dual_add_f32 v7, v7, v13 :: v_dual_fmac_f32 v17, v177, v96
	s_wait_loadcnt_dscnt 0xa04
	v_dual_add_f32 v9, v9, v49 :: v_dual_mul_f32 v13, v187, v107
	v_dual_fma_f32 v49, v176, v96, -v57 :: v_dual_add_f32 v7, v7, v15
	v_mul_f32_e32 v15, v189, v109
	s_delay_alu instid0(VALU_DEP_3) | instskip(NEXT) | instid1(VALU_DEP_3)
	v_dual_add_f32 v9, v9, v51 :: v_dual_fmac_f32 v19, v179, v98
	v_dual_fma_f32 v51, v178, v98, -v59 :: v_dual_add_f32 v7, v7, v17
	v_fmac_f32_e32 v21, v181, v100
	s_wait_loadcnt_dscnt 0x903
	s_delay_alu instid0(VALU_DEP_3) | instskip(SKIP_3) | instid1(VALU_DEP_3)
	v_dual_add_f32 v9, v9, v49 :: v_dual_mul_f32 v17, v191, v111
	v_dual_mul_f32 v23, v182, v103 :: v_dual_mul_f32 v25, v184, v105
	v_dual_mul_f32 v47, v183, v103 :: v_dual_mul_f32 v11, v185, v105
	v_dual_fma_f32 v49, v180, v100, -v61 :: v_dual_add_f32 v7, v7, v19
	v_dual_add_f32 v9, v9, v51 :: v_dual_fmac_f32 v23, v183, v102
	s_delay_alu instid0(VALU_DEP_3) | instskip(NEXT) | instid1(VALU_DEP_3)
	v_dual_mul_f32 v19, v193, v113 :: v_dual_fma_f32 v47, v182, v102, -v47
	v_dual_add_f32 v7, v7, v21 :: v_dual_fmac_f32 v25, v185, v104
	s_wait_loadcnt_dscnt 0x802
	s_delay_alu instid0(VALU_DEP_3) | instskip(SKIP_1) | instid1(VALU_DEP_3)
	v_dual_add_f32 v9, v9, v49 :: v_dual_mul_f32 v21, v195, v115
	v_dual_mul_f32 v27, v186, v107 :: v_dual_mul_f32 v29, v188, v109
	v_dual_fma_f32 v11, v184, v104, -v11 :: v_dual_add_f32 v7, v7, v23
	s_delay_alu instid0(VALU_DEP_2) | instskip(SKIP_1) | instid1(VALU_DEP_2)
	v_dual_add_f32 v9, v9, v47 :: v_dual_fmac_f32 v27, v187, v106
	v_dual_mul_f32 v23, v197, v117 :: v_dual_fma_f32 v13, v186, v106, -v13
	v_dual_add_f32 v7, v7, v25 :: v_dual_add_f32 v9, v9, v11
	v_dual_mul_f32 v31, v190, v111 :: v_dual_mul_f32 v33, v192, v113
	s_wait_loadcnt_dscnt 0x701
	v_dual_mul_f32 v11, v199, v119 :: v_dual_fmac_f32 v29, v189, v108
	s_delay_alu instid0(VALU_DEP_3) | instskip(NEXT) | instid1(VALU_DEP_3)
	v_dual_fma_f32 v15, v188, v108, -v15 :: v_dual_add_f32 v7, v7, v27
	v_dual_add_f32 v9, v9, v13 :: v_dual_fmac_f32 v31, v191, v110
	v_dual_mul_f32 v13, v201, v121 :: v_dual_fma_f32 v17, v190, v110, -v17
	s_delay_alu instid0(VALU_DEP_2) | instskip(SKIP_3) | instid1(VALU_DEP_3)
	v_dual_add_f32 v7, v7, v29 :: v_dual_add_f32 v9, v9, v15
	v_dual_mul_f32 v35, v194, v115 :: v_dual_mul_f32 v37, v196, v117
	s_wait_loadcnt_dscnt 0x600
	v_dual_mul_f32 v15, v203, v123 :: v_dual_fmac_f32 v33, v193, v112
	v_dual_fma_f32 v19, v192, v112, -v19 :: v_dual_add_f32 v7, v7, v31
	s_delay_alu instid0(VALU_DEP_3) | instskip(SKIP_1) | instid1(VALU_DEP_2)
	v_dual_add_f32 v9, v9, v17 :: v_dual_fmac_f32 v35, v195, v114
	v_dual_mul_f32 v17, v205, v125 :: v_dual_fma_f32 v21, v194, v114, -v21
	v_dual_add_f32 v7, v7, v33 :: v_dual_add_f32 v9, v9, v19
	v_dual_mul_f32 v39, v198, v119 :: v_dual_mul_f32 v41, v200, v121
	s_wait_loadcnt 0x5
	v_dual_mul_f32 v19, v171, v127 :: v_dual_fmac_f32 v37, v197, v116
	s_delay_alu instid0(VALU_DEP_3) | instskip(NEXT) | instid1(VALU_DEP_3)
	v_dual_fma_f32 v23, v196, v116, -v23 :: v_dual_add_f32 v7, v7, v35
	v_dual_add_f32 v9, v9, v21 :: v_dual_fmac_f32 v39, v199, v118
	v_dual_mul_f32 v21, v173, v129 :: v_dual_fma_f32 v11, v198, v118, -v11
	s_delay_alu instid0(VALU_DEP_2) | instskip(SKIP_1) | instid1(VALU_DEP_2)
	v_dual_add_f32 v7, v7, v37 :: v_dual_add_f32 v9, v9, v23
	v_dual_mul_f32 v43, v202, v123 :: v_dual_mul_f32 v45, v204, v125
	v_dual_fmac_f32 v41, v201, v120 :: v_dual_add_f32 v7, v7, v39
	s_delay_alu instid0(VALU_DEP_3) | instskip(SKIP_1) | instid1(VALU_DEP_3)
	v_dual_fma_f32 v13, v200, v120, -v13 :: v_dual_add_f32 v9, v9, v11
	s_wait_loadcnt 0x4
	v_dual_mov_b32 v88, v133 :: v_dual_fmac_f32 v43, v203, v122
	s_delay_alu instid0(VALU_DEP_3) | instskip(NEXT) | instid1(VALU_DEP_3)
	v_dual_fma_f32 v11, v202, v122, -v15 :: v_dual_add_f32 v7, v7, v41
	v_dual_add_f32 v9, v9, v13 :: v_dual_fma_f32 v13, v204, v124, -v17
	v_dual_mul_f32 v217, v170, v127 :: v_dual_mul_f32 v219, v172, v129
	s_delay_alu instid0(VALU_DEP_3) | instskip(NEXT) | instid1(VALU_DEP_2)
	v_dual_fmac_f32 v45, v205, v124 :: v_dual_add_f32 v7, v7, v43
	v_dual_add_f32 v9, v9, v11 :: v_dual_fmac_f32 v217, v171, v126
	v_pk_mul_f32 v[86:87], v[146:147], v[130:131] op_sel:[1,1] op_sel_hi:[0,1]
	s_wait_loadcnt 0x3
	v_dual_mov_b32 v92, v137 :: v_dual_fma_f32 v216, v170, v126, -v19
	v_dual_add_f32 v95, v7, v45 :: v_dual_fmac_f32 v219, v173, v128
	v_dual_add_f32 v94, v9, v13 :: v_dual_fma_f32 v218, v172, v128, -v21
	v_pk_fma_f32 v[96:97], v[146:147], v[130:131], v[86:87] op_sel_hi:[1,0,1]
	v_pk_mul_f32 v[88:89], v[208:209], v[88:89] op_sel_hi:[1,0]
	v_pk_fma_f32 v[86:87], v[146:147], v[130:131], v[86:87] neg_lo:[0,0,1] neg_hi:[0,0,1]
	s_delay_alu instid0(VALU_DEP_4)
	v_pk_add_f32 v[94:95], v[94:95], v[216:217]
	v_pk_mul_f32 v[90:91], v[150:151], v[134:135] op_sel:[1,1] op_sel_hi:[0,1]
	v_mov_b32_e32 v87, v97
	v_pk_fma_f32 v[96:97], v[148:149], v[132:133], v[88:89] op_sel_hi:[1,0,1]
	v_pk_fma_f32 v[88:89], v[148:149], v[132:133], v[88:89] neg_lo:[0,0,1] neg_hi:[0,0,1]
	v_pk_add_f32 v[94:95], v[94:95], v[218:219]
	v_pk_fma_f32 v[100:101], v[150:151], v[134:135], v[90:91] op_sel_hi:[1,0,1]
	v_pk_mul_f32 v[92:93], v[210:211], v[92:93] op_sel_hi:[1,0]
	v_mov_b32_e32 v89, v97
	s_wait_loadcnt 0x2
	v_pk_mul_f32 v[98:99], v[154:155], v[138:139] op_sel:[1,1] op_sel_hi:[0,1]
	v_pk_add_f32 v[86:87], v[94:95], v[86:87]
	v_mov_b32_e32 v94, v141
	v_pk_fma_f32 v[90:91], v[150:151], v[134:135], v[90:91] neg_lo:[0,0,1] neg_hi:[0,0,1]
	v_mov_b32_e32 v91, v101
	v_pk_fma_f32 v[96:97], v[152:153], v[136:137], v[92:93] op_sel_hi:[1,0,1]
	v_pk_add_f32 v[86:87], v[86:87], v[88:89]
	v_pk_fma_f32 v[88:89], v[154:155], v[138:139], v[98:99] op_sel_hi:[1,0,1]
	v_pk_mul_f32 v[94:95], v[212:213], v[94:95] op_sel_hi:[1,0]
	v_pk_fma_f32 v[92:93], v[152:153], v[136:137], v[92:93] neg_lo:[0,0,1] neg_hi:[0,0,1]
	v_mov_b32_e32 v93, v97
	v_pk_add_f32 v[86:87], v[86:87], v[90:91]
	v_pk_fma_f32 v[96:97], v[154:155], v[138:139], v[98:99] neg_lo:[0,0,1] neg_hi:[0,0,1]
	v_mov_b32_e32 v97, v89
	v_pk_fma_f32 v[88:89], v[156:157], v[140:141], v[94:95] op_sel_hi:[1,0,1]
	s_wait_loadcnt 0x1
	v_pk_mul_f32 v[90:91], v[158:159], v[142:143] op_sel:[1,1] op_sel_hi:[0,1]
	v_pk_add_f32 v[86:87], v[86:87], v[92:93]
	v_mov_b32_e32 v88, v145
	v_pk_fma_f32 v[94:95], v[156:157], v[140:141], v[94:95] neg_lo:[0,0,1] neg_hi:[0,0,1]
	v_mov_b32_e32 v95, v89
	v_pk_fma_f32 v[92:93], v[158:159], v[142:143], v[90:91] op_sel_hi:[1,0,1]
	v_pk_add_f32 v[86:87], v[86:87], v[96:97]
	v_pk_mul_f32 v[88:89], v[214:215], v[88:89] op_sel_hi:[1,0]
	v_pk_fma_f32 v[90:91], v[158:159], v[142:143], v[90:91] neg_lo:[0,0,1] neg_hi:[0,0,1]
	s_delay_alu instid0(VALU_DEP_4) | instskip(NEXT) | instid1(VALU_DEP_4)
	v_mov_b32_e32 v91, v93
	v_pk_add_f32 v[86:87], v[86:87], v[94:95]
	s_delay_alu instid0(VALU_DEP_4) | instskip(SKIP_1) | instid1(VALU_DEP_2)
	v_pk_fma_f32 v[92:93], v[160:161], v[144:145], v[88:89] op_sel_hi:[1,0,1]
	v_pk_fma_f32 v[88:89], v[160:161], v[144:145], v[88:89] neg_lo:[0,0,1] neg_hi:[0,0,1]
	v_mov_b32_e32 v89, v93
	s_delay_alu instid0(VALU_DEP_4) | instskip(NEXT) | instid1(VALU_DEP_1)
	v_pk_add_f32 v[86:87], v[86:87], v[90:91]
	v_pk_add_f32 v[86:87], v[86:87], v[88:89]
	s_wait_loadcnt 0x0
	s_delay_alu instid0(VALU_DEP_1)
	v_pk_add_f32 v[86:87], v[206:207], v[86:87] neg_lo:[0,1] neg_hi:[0,1]
	scratch_store_b64 off, v[86:87], off offset:88
	s_wait_xcnt 0x0
	v_cmpx_lt_u32_e32 10, v0
	s_cbranch_execz .LBB105_245
; %bb.244:
	scratch_load_b64 v[86:87], off, off offset:80
	v_mov_b64_e32 v[88:89], 0
	scratch_store_b64 off, v[88:89], off offset:80
	s_wait_loadcnt 0x0
	ds_store_b64 v1, v[86:87]
.LBB105_245:
	s_wait_xcnt 0x0
	s_or_b32 exec_lo, exec_lo, s0
	s_wait_storecnt_dscnt 0x0
	s_barrier_signal -1
	s_barrier_wait -1
	s_clause 0x10
	scratch_load_b128 v[86:89], off, off offset:88
	scratch_load_b128 v[90:93], off, off offset:104
	;; [unrolled: 1-line block ×15, first 2 shown]
	scratch_load_b64 v[206:207], off, off offset:328
	scratch_load_b64 v[208:209], off, off offset:80
	v_mov_b32_e32 v7, 0
	ds_load_2addr_b64 v[146:149], v7 offset0:75 offset1:76
	ds_load_2addr_b64 v[150:153], v7 offset0:77 offset1:78
	;; [unrolled: 1-line block ×15, first 2 shown]
	ds_load_b64 v[210:211], v7 offset:664
	s_mov_b32 s0, exec_lo
	s_wait_dscnt 0xf
	v_dual_mov_b32 v212, v149 :: v_dual_mov_b32 v213, v148
	s_wait_dscnt 0xc
	v_dual_mov_b32 v214, v153 :: v_dual_mov_b32 v219, v160
	v_dual_mov_b32 v215, v152 :: v_dual_mov_b32 v216, v157
	;; [unrolled: 1-line block ×3, first 2 shown]
	s_wait_loadcnt_dscnt 0x100b
	v_dual_mul_f32 v9, v162, v87 :: v_dual_mul_f32 v51, v163, v87
	v_dual_mul_f32 v53, v165, v89 :: v_dual_mul_f32 v11, v164, v89
	s_wait_loadcnt_dscnt 0xf09
	v_mul_f32_e32 v13, v170, v91
	s_wait_loadcnt_dscnt 0xd07
	v_dual_mul_f32 v63, v179, v99 :: v_dual_fma_f32 v51, v162, v86, -v51
	v_dual_fmac_f32 v9, v163, v86 :: v_dual_mul_f32 v65, v181, v101
	v_dual_mul_f32 v55, v171, v91 :: v_dual_mul_f32 v57, v173, v93
	v_dual_fmac_f32 v11, v165, v88 :: v_dual_fma_f32 v53, v164, v88, -v53
	s_delay_alu instid0(VALU_DEP_3) | instskip(SKIP_3) | instid1(VALU_DEP_3)
	v_dual_add_f32 v9, 0, v9 :: v_dual_add_f32 v51, 0, v51
	v_dual_mul_f32 v15, v172, v93 :: v_dual_mul_f32 v17, v174, v95
	s_wait_loadcnt_dscnt 0xc06
	v_dual_mul_f32 v67, v183, v103 :: v_dual_fma_f32 v55, v170, v90, -v55
	v_dual_fmac_f32 v13, v171, v90 :: v_dual_add_f32 v9, v9, v11
	s_delay_alu instid0(VALU_DEP_3) | instskip(SKIP_2) | instid1(VALU_DEP_3)
	v_dual_add_f32 v11, v51, v53 :: v_dual_fmac_f32 v15, v173, v92
	v_dual_mul_f32 v59, v175, v95 :: v_dual_mul_f32 v61, v177, v97
	v_dual_mul_f32 v51, v185, v105 :: v_dual_fma_f32 v53, v172, v92, -v57
	v_dual_add_f32 v9, v9, v13 :: v_dual_add_f32 v11, v11, v55
	v_dual_mul_f32 v19, v176, v97 :: v_dual_mul_f32 v21, v178, v99
	s_wait_loadcnt_dscnt 0xb05
	v_dual_mul_f32 v13, v187, v107 :: v_dual_fma_f32 v55, v174, v94, -v59
	s_delay_alu instid0(VALU_DEP_3) | instskip(NEXT) | instid1(VALU_DEP_3)
	v_dual_fmac_f32 v17, v175, v94 :: v_dual_add_f32 v9, v9, v15
	v_dual_add_f32 v11, v11, v53 :: v_dual_fmac_f32 v19, v177, v96
	v_dual_mul_f32 v15, v189, v109 :: v_dual_fma_f32 v53, v176, v96, -v61
	s_delay_alu instid0(VALU_DEP_2) | instskip(SKIP_3) | instid1(VALU_DEP_3)
	v_dual_add_f32 v9, v9, v17 :: v_dual_add_f32 v11, v11, v55
	v_dual_mul_f32 v23, v180, v101 :: v_dual_mul_f32 v25, v182, v103
	s_wait_loadcnt_dscnt 0xa04
	v_dual_mul_f32 v17, v191, v111 :: v_dual_fma_f32 v55, v178, v98, -v63
	v_dual_fmac_f32 v21, v179, v98 :: v_dual_add_f32 v9, v9, v19
	s_delay_alu instid0(VALU_DEP_3) | instskip(SKIP_1) | instid1(VALU_DEP_2)
	v_dual_add_f32 v11, v11, v53 :: v_dual_fmac_f32 v23, v181, v100
	v_dual_mul_f32 v19, v193, v113 :: v_dual_fma_f32 v53, v180, v100, -v65
	v_dual_add_f32 v9, v9, v21 :: v_dual_add_f32 v11, v11, v55
	v_dual_mul_f32 v27, v184, v105 :: v_dual_mul_f32 v29, v186, v107
	s_wait_loadcnt_dscnt 0x903
	v_dual_mul_f32 v21, v195, v115 :: v_dual_fma_f32 v55, v182, v102, -v67
	s_delay_alu instid0(VALU_DEP_3) | instskip(NEXT) | instid1(VALU_DEP_3)
	v_dual_fmac_f32 v25, v183, v102 :: v_dual_add_f32 v9, v9, v23
	v_dual_add_f32 v11, v11, v53 :: v_dual_fmac_f32 v27, v185, v104
	v_dual_mul_f32 v23, v197, v117 :: v_dual_fma_f32 v51, v184, v104, -v51
	s_delay_alu instid0(VALU_DEP_2) | instskip(SKIP_3) | instid1(VALU_DEP_3)
	v_dual_add_f32 v9, v9, v25 :: v_dual_add_f32 v11, v11, v55
	v_dual_mul_f32 v31, v188, v109 :: v_dual_mul_f32 v33, v190, v111
	s_wait_loadcnt_dscnt 0x802
	v_dual_mul_f32 v25, v199, v119 :: v_dual_fma_f32 v13, v186, v106, -v13
	v_dual_fmac_f32 v29, v187, v106 :: v_dual_add_f32 v9, v9, v27
	v_dual_add_f32 v11, v11, v51 :: v_dual_mul_f32 v27, v201, v121
	v_fmac_f32_e32 v31, v189, v108
	s_delay_alu instid0(VALU_DEP_3) | instskip(NEXT) | instid1(VALU_DEP_3)
	v_dual_fma_f32 v15, v188, v108, -v15 :: v_dual_add_f32 v9, v9, v29
	v_add_f32_e32 v11, v11, v13
	v_dual_mul_f32 v35, v192, v113 :: v_dual_mul_f32 v37, v194, v115
	s_wait_loadcnt_dscnt 0x701
	v_dual_mul_f32 v13, v203, v123 :: v_dual_fma_f32 v17, v190, v110, -v17
	v_dual_fmac_f32 v33, v191, v110 :: v_dual_add_f32 v9, v9, v31
	v_dual_add_f32 v11, v11, v15 :: v_dual_mul_f32 v15, v205, v125
	v_fmac_f32_e32 v35, v193, v112
	s_delay_alu instid0(VALU_DEP_3) | instskip(NEXT) | instid1(VALU_DEP_3)
	v_dual_fma_f32 v19, v192, v112, -v19 :: v_dual_add_f32 v9, v9, v33
	v_add_f32_e32 v11, v11, v17
	v_dual_mul_f32 v39, v196, v117 :: v_dual_mul_f32 v41, v198, v119
	s_wait_loadcnt 0x6
	v_dual_mul_f32 v17, v167, v127 :: v_dual_fma_f32 v21, v194, v114, -v21
	v_dual_fmac_f32 v37, v195, v114 :: v_dual_add_f32 v9, v9, v35
	v_dual_add_f32 v11, v11, v19 :: v_dual_mul_f32 v19, v169, v129
	v_fmac_f32_e32 v39, v197, v116
	s_delay_alu instid0(VALU_DEP_3) | instskip(NEXT) | instid1(VALU_DEP_3)
	v_dual_fma_f32 v23, v196, v116, -v23 :: v_dual_add_f32 v9, v9, v37
	v_add_f32_e32 v11, v11, v21
	v_dual_mul_f32 v43, v200, v121 :: v_dual_mul_f32 v45, v202, v123
	s_wait_loadcnt 0x5
	v_dual_mul_f32 v21, v147, v131 :: v_dual_fma_f32 v25, v198, v118, -v25
	v_dual_fmac_f32 v41, v199, v118 :: v_dual_add_f32 v9, v9, v39
	v_dual_add_f32 v11, v11, v23 :: v_dual_mov_b32 v86, v133
	v_fmac_f32_e32 v43, v201, v120
	s_delay_alu instid0(VALU_DEP_3) | instskip(NEXT) | instid1(VALU_DEP_3)
	v_dual_fma_f32 v23, v200, v120, -v27 :: v_dual_add_f32 v9, v9, v41
	v_add_f32_e32 v11, v11, v25
	v_dual_mul_f32 v47, v204, v125 :: v_dual_mul_f32 v49, v166, v127
	s_delay_alu instid0(VALU_DEP_3) | instskip(NEXT) | instid1(VALU_DEP_3)
	v_dual_fmac_f32 v45, v203, v122 :: v_dual_add_f32 v9, v9, v43
	v_dual_fma_f32 v13, v202, v122, -v13 :: v_dual_add_f32 v11, v11, v23
	s_wait_loadcnt 0x4
	v_dual_mov_b32 v90, v137 :: v_dual_fma_f32 v15, v204, v124, -v15
	v_fmac_f32_e32 v47, v205, v124
	v_dual_add_f32 v9, v9, v45 :: v_dual_fmac_f32 v49, v167, v126
	v_add_f32_e32 v11, v11, v13
	v_dual_mul_f32 v221, v168, v129 :: v_dual_mul_f32 v223, v146, v131
	s_delay_alu instid0(VALU_DEP_3) | instskip(NEXT) | instid1(VALU_DEP_2)
	v_dual_fma_f32 v13, v166, v126, -v17 :: v_dual_add_f32 v9, v9, v47
	v_dual_add_f32 v11, v11, v15 :: v_dual_fmac_f32 v221, v169, v128
	v_fma_f32 v220, v168, v128, -v19
	v_pk_mul_f32 v[86:87], v[212:213], v[86:87] op_sel_hi:[1,0]
	s_delay_alu instid0(VALU_DEP_4)
	v_add_f32_e32 v95, v9, v49
	s_wait_loadcnt 0x3
	v_dual_add_f32 v94, v11, v13 :: v_dual_mov_b32 v96, v141
	v_pk_mul_f32 v[88:89], v[150:151], v[134:135] op_sel:[1,1] op_sel_hi:[0,1]
	v_dual_fmac_f32 v223, v147, v130 :: v_dual_fma_f32 v222, v146, v130, -v21
	v_pk_fma_f32 v[98:99], v[148:149], v[132:133], v[86:87] op_sel_hi:[1,0,1]
	s_delay_alu instid0(VALU_DEP_4)
	v_pk_add_f32 v[94:95], v[94:95], v[220:221]
	v_pk_fma_f32 v[86:87], v[148:149], v[132:133], v[86:87] neg_lo:[0,0,1] neg_hi:[0,0,1]
	v_pk_fma_f32 v[100:101], v[150:151], v[134:135], v[88:89] op_sel_hi:[1,0,1]
	v_pk_mul_f32 v[90:91], v[214:215], v[90:91] op_sel_hi:[1,0]
	v_mov_b32_e32 v87, v99
	v_pk_add_f32 v[94:95], v[94:95], v[222:223]
	v_pk_fma_f32 v[88:89], v[150:151], v[134:135], v[88:89] neg_lo:[0,0,1] neg_hi:[0,0,1]
	v_pk_mul_f32 v[92:93], v[154:155], v[138:139] op_sel:[1,1] op_sel_hi:[0,1]
	v_mov_b32_e32 v89, v101
	v_pk_fma_f32 v[100:101], v[152:153], v[136:137], v[90:91] op_sel_hi:[1,0,1]
	v_pk_add_f32 v[86:87], v[94:95], v[86:87]
	v_pk_fma_f32 v[90:91], v[152:153], v[136:137], v[90:91] neg_lo:[0,0,1] neg_hi:[0,0,1]
	v_pk_fma_f32 v[94:95], v[154:155], v[138:139], v[92:93] op_sel_hi:[1,0,1]
	v_pk_mul_f32 v[96:97], v[216:217], v[96:97] op_sel_hi:[1,0]
	v_mov_b32_e32 v91, v101
	v_pk_add_f32 v[86:87], v[86:87], v[88:89]
	v_pk_fma_f32 v[92:93], v[154:155], v[138:139], v[92:93] neg_lo:[0,0,1] neg_hi:[0,0,1]
	s_wait_loadcnt 0x2
	v_pk_mul_f32 v[98:99], v[158:159], v[142:143] op_sel:[1,1] op_sel_hi:[0,1]
	v_dual_mov_b32 v88, v145 :: v_dual_mov_b32 v93, v95
	v_pk_fma_f32 v[94:95], v[156:157], v[140:141], v[96:97] op_sel_hi:[1,0,1]
	v_pk_add_f32 v[86:87], v[86:87], v[90:91]
	v_pk_fma_f32 v[96:97], v[156:157], v[140:141], v[96:97] neg_lo:[0,0,1] neg_hi:[0,0,1]
	v_pk_fma_f32 v[90:91], v[158:159], v[142:143], v[98:99] op_sel_hi:[1,0,1]
	v_pk_mul_f32 v[88:89], v[218:219], v[88:89] op_sel_hi:[1,0]
	v_mov_b32_e32 v97, v95
	v_pk_add_f32 v[86:87], v[86:87], v[92:93]
	v_pk_fma_f32 v[92:93], v[158:159], v[142:143], v[98:99] neg_lo:[0,0,1] neg_hi:[0,0,1]
	v_mov_b32_e32 v93, v91
	v_pk_fma_f32 v[90:91], v[160:161], v[144:145], v[88:89] op_sel_hi:[1,0,1]
	s_wait_loadcnt_dscnt 0x100
	v_pk_mul_f32 v[94:95], v[210:211], v[206:207] op_sel:[1,1] op_sel_hi:[0,1]
	v_pk_add_f32 v[86:87], v[86:87], v[96:97]
	v_pk_fma_f32 v[88:89], v[160:161], v[144:145], v[88:89] neg_lo:[0,0,1] neg_hi:[0,0,1]
	v_mov_b32_e32 v89, v91
	s_delay_alu instid0(VALU_DEP_4) | instskip(NEXT) | instid1(VALU_DEP_4)
	v_pk_fma_f32 v[90:91], v[210:211], v[206:207], v[94:95] op_sel_hi:[1,0,1]
	v_pk_add_f32 v[86:87], v[86:87], v[92:93]
	v_pk_fma_f32 v[92:93], v[210:211], v[206:207], v[94:95] neg_lo:[0,0,1] neg_hi:[0,0,1]
	s_delay_alu instid0(VALU_DEP_3) | instskip(NEXT) | instid1(VALU_DEP_3)
	v_mov_b32_e32 v93, v91
	v_pk_add_f32 v[86:87], v[86:87], v[88:89]
	s_delay_alu instid0(VALU_DEP_1) | instskip(SKIP_1) | instid1(VALU_DEP_1)
	v_pk_add_f32 v[86:87], v[86:87], v[92:93]
	s_wait_loadcnt 0x0
	v_pk_add_f32 v[86:87], v[208:209], v[86:87] neg_lo:[0,1] neg_hi:[0,1]
	scratch_store_b64 off, v[86:87], off offset:80
	s_wait_xcnt 0x0
	v_cmpx_lt_u32_e32 9, v0
	s_cbranch_execz .LBB105_247
; %bb.246:
	scratch_load_b64 v[86:87], off, off offset:72
	v_mov_b64_e32 v[88:89], 0
	scratch_store_b64 off, v[88:89], off offset:72
	s_wait_loadcnt 0x0
	ds_store_b64 v1, v[86:87]
.LBB105_247:
	s_wait_xcnt 0x0
	s_or_b32 exec_lo, exec_lo, s0
	s_wait_storecnt_dscnt 0x0
	s_barrier_signal -1
	s_barrier_wait -1
	s_clause 0x10
	scratch_load_b128 v[86:89], off, off offset:80
	scratch_load_b128 v[90:93], off, off offset:96
	;; [unrolled: 1-line block ×16, first 2 shown]
	scratch_load_b64 v[214:215], off, off offset:72
	ds_load_b128 v[150:153], v7 offset:608
	ds_load_b128 v[154:157], v7 offset:624
	ds_load_b128 v[158:161], v7 offset:640
	ds_load_b128 v[162:165], v7 offset:656
	ds_load_b128 v[166:169], v7 offset:416
	ds_load_b128 v[170:173], v7 offset:432
	ds_load_b128 v[174:177], v7 offset:448
	ds_load_b128 v[178:181], v7 offset:464
	ds_load_b128 v[182:185], v7 offset:480
	ds_load_b128 v[186:189], v7 offset:496
	ds_load_b128 v[190:193], v7 offset:512
	ds_load_b128 v[194:197], v7 offset:528
	ds_load_b128 v[198:201], v7 offset:544
	ds_load_b128 v[202:205], v7 offset:560
	ds_load_b128 v[206:209], v7 offset:576
	ds_load_b128 v[210:213], v7 offset:592
	s_mov_b32 s0, exec_lo
	s_wait_dscnt 0xf
	v_dual_mov_b32 v216, v153 :: v_dual_mov_b32 v217, v152
	s_wait_dscnt 0xe
	v_dual_mov_b32 v218, v157 :: v_dual_mov_b32 v219, v156
	;; [unrolled: 2-line block ×4, first 2 shown]
	s_wait_loadcnt_dscnt 0x100b
	v_dual_mul_f32 v7, v166, v87 :: v_dual_mul_f32 v9, v168, v89
	v_dual_mul_f32 v51, v167, v87 :: v_dual_mul_f32 v53, v169, v89
	s_wait_loadcnt_dscnt 0xf0a
	v_dual_mul_f32 v11, v170, v91 :: v_dual_mul_f32 v13, v172, v93
	s_delay_alu instid0(VALU_DEP_3) | instskip(SKIP_3) | instid1(VALU_DEP_3)
	v_dual_fmac_f32 v7, v167, v86 :: v_dual_fmac_f32 v9, v169, v88
	s_wait_loadcnt_dscnt 0xd08
	v_dual_fma_f32 v51, v166, v86, -v51 :: v_dual_mul_f32 v63, v179, v99
	v_dual_mul_f32 v55, v171, v91 :: v_dual_mul_f32 v57, v173, v93
	v_dual_fma_f32 v53, v168, v88, -v53 :: v_dual_add_f32 v7, 0, v7
	s_delay_alu instid0(VALU_DEP_3) | instskip(SKIP_1) | instid1(VALU_DEP_3)
	v_dual_add_f32 v51, 0, v51 :: v_dual_mul_f32 v65, v181, v101
	v_dual_fmac_f32 v11, v171, v90 :: v_dual_fmac_f32 v13, v173, v92
	v_dual_fma_f32 v55, v170, v90, -v55 :: v_dual_add_f32 v7, v7, v9
	s_delay_alu instid0(VALU_DEP_3) | instskip(SKIP_2) | instid1(VALU_DEP_4)
	v_dual_add_f32 v9, v51, v53 :: v_dual_fma_f32 v53, v172, v92, -v57
	v_dual_mul_f32 v15, v174, v95 :: v_dual_mul_f32 v17, v176, v97
	v_dual_mul_f32 v59, v175, v95 :: v_dual_mul_f32 v61, v177, v97
	v_add_f32_e32 v7, v7, v11
	s_delay_alu instid0(VALU_DEP_3) | instskip(NEXT) | instid1(VALU_DEP_3)
	v_dual_add_f32 v9, v9, v55 :: v_dual_fmac_f32 v15, v175, v94
	v_fma_f32 v55, v174, v94, -v59
	v_dual_mul_f32 v19, v178, v99 :: v_dual_mul_f32 v21, v180, v101
	s_delay_alu instid0(VALU_DEP_4) | instskip(SKIP_2) | instid1(VALU_DEP_2)
	v_dual_add_f32 v7, v7, v13 :: v_dual_fmac_f32 v17, v177, v96
	s_wait_loadcnt_dscnt 0xb06
	v_dual_add_f32 v9, v9, v53 :: v_dual_mul_f32 v13, v187, v107
	v_dual_fma_f32 v53, v176, v96, -v61 :: v_dual_add_f32 v7, v7, v15
	v_mul_f32_e32 v15, v189, v109
	s_delay_alu instid0(VALU_DEP_3) | instskip(NEXT) | instid1(VALU_DEP_3)
	v_dual_add_f32 v9, v9, v55 :: v_dual_fmac_f32 v19, v179, v98
	v_dual_fma_f32 v55, v178, v98, -v63 :: v_dual_add_f32 v7, v7, v17
	v_fmac_f32_e32 v21, v181, v100
	s_wait_loadcnt_dscnt 0xa05
	s_delay_alu instid0(VALU_DEP_3) | instskip(SKIP_3) | instid1(VALU_DEP_3)
	v_dual_add_f32 v9, v9, v53 :: v_dual_mul_f32 v17, v191, v111
	v_dual_mul_f32 v23, v182, v103 :: v_dual_mul_f32 v25, v184, v105
	v_dual_mul_f32 v51, v183, v103 :: v_dual_mul_f32 v11, v185, v105
	v_dual_fma_f32 v53, v180, v100, -v65 :: v_dual_add_f32 v7, v7, v19
	v_dual_add_f32 v9, v9, v55 :: v_dual_fmac_f32 v23, v183, v102
	s_delay_alu instid0(VALU_DEP_3) | instskip(NEXT) | instid1(VALU_DEP_3)
	v_dual_mul_f32 v19, v193, v113 :: v_dual_fma_f32 v51, v182, v102, -v51
	v_dual_add_f32 v7, v7, v21 :: v_dual_fmac_f32 v25, v185, v104
	s_wait_loadcnt_dscnt 0x904
	s_delay_alu instid0(VALU_DEP_3) | instskip(SKIP_1) | instid1(VALU_DEP_3)
	v_dual_add_f32 v9, v9, v53 :: v_dual_mul_f32 v21, v195, v115
	v_dual_mul_f32 v27, v186, v107 :: v_dual_mul_f32 v29, v188, v109
	v_dual_fma_f32 v11, v184, v104, -v11 :: v_dual_add_f32 v7, v7, v23
	s_delay_alu instid0(VALU_DEP_2) | instskip(SKIP_1) | instid1(VALU_DEP_2)
	v_dual_add_f32 v9, v9, v51 :: v_dual_fmac_f32 v27, v187, v106
	v_dual_mul_f32 v23, v197, v117 :: v_dual_fma_f32 v13, v186, v106, -v13
	v_dual_add_f32 v7, v7, v25 :: v_dual_add_f32 v9, v9, v11
	v_dual_mul_f32 v31, v190, v111 :: v_dual_mul_f32 v33, v192, v113
	s_wait_loadcnt_dscnt 0x803
	v_dual_mul_f32 v11, v199, v119 :: v_dual_fmac_f32 v29, v189, v108
	s_delay_alu instid0(VALU_DEP_3) | instskip(NEXT) | instid1(VALU_DEP_3)
	v_dual_fma_f32 v15, v188, v108, -v15 :: v_dual_add_f32 v7, v7, v27
	v_dual_add_f32 v9, v9, v13 :: v_dual_fmac_f32 v31, v191, v110
	v_dual_mul_f32 v13, v201, v121 :: v_dual_fma_f32 v17, v190, v110, -v17
	s_delay_alu instid0(VALU_DEP_2) | instskip(SKIP_3) | instid1(VALU_DEP_3)
	v_dual_add_f32 v7, v7, v29 :: v_dual_add_f32 v9, v9, v15
	v_dual_mul_f32 v35, v194, v115 :: v_dual_mul_f32 v37, v196, v117
	s_wait_loadcnt_dscnt 0x702
	v_dual_mul_f32 v15, v203, v123 :: v_dual_fmac_f32 v33, v193, v112
	v_dual_fma_f32 v19, v192, v112, -v19 :: v_dual_add_f32 v7, v7, v31
	s_delay_alu instid0(VALU_DEP_3) | instskip(SKIP_1) | instid1(VALU_DEP_2)
	v_dual_add_f32 v9, v9, v17 :: v_dual_fmac_f32 v35, v195, v114
	v_dual_mul_f32 v17, v205, v125 :: v_dual_fma_f32 v21, v194, v114, -v21
	v_dual_add_f32 v7, v7, v33 :: v_dual_add_f32 v9, v9, v19
	v_dual_mul_f32 v39, v198, v119 :: v_dual_mul_f32 v41, v200, v121
	s_wait_loadcnt_dscnt 0x601
	v_dual_mul_f32 v19, v207, v127 :: v_dual_fmac_f32 v37, v197, v116
	s_delay_alu instid0(VALU_DEP_3) | instskip(NEXT) | instid1(VALU_DEP_3)
	v_dual_fma_f32 v23, v196, v116, -v23 :: v_dual_add_f32 v7, v7, v35
	v_dual_add_f32 v9, v9, v21 :: v_dual_fmac_f32 v39, v199, v118
	v_dual_mul_f32 v21, v209, v129 :: v_dual_fma_f32 v11, v198, v118, -v11
	s_delay_alu instid0(VALU_DEP_2) | instskip(SKIP_3) | instid1(VALU_DEP_3)
	v_dual_add_f32 v7, v7, v37 :: v_dual_add_f32 v9, v9, v23
	v_dual_mul_f32 v43, v202, v123 :: v_dual_mul_f32 v45, v204, v125
	s_wait_loadcnt_dscnt 0x500
	v_dual_mul_f32 v23, v211, v131 :: v_dual_fmac_f32 v41, v201, v120
	v_dual_fma_f32 v13, v200, v120, -v13 :: v_dual_add_f32 v7, v7, v39
	s_delay_alu instid0(VALU_DEP_3) | instskip(SKIP_1) | instid1(VALU_DEP_3)
	v_dual_add_f32 v9, v9, v11 :: v_dual_fmac_f32 v43, v203, v122
	v_dual_mul_f32 v11, v213, v133 :: v_dual_fma_f32 v15, v202, v122, -v15
	v_dual_add_f32 v7, v7, v41 :: v_dual_fmac_f32 v45, v205, v124
	s_delay_alu instid0(VALU_DEP_3) | instskip(SKIP_2) | instid1(VALU_DEP_3)
	v_dual_add_f32 v9, v9, v13 :: v_dual_fma_f32 v13, v204, v124, -v17
	v_dual_mul_f32 v47, v206, v127 :: v_dual_mul_f32 v49, v208, v129
	s_wait_loadcnt 0x4
	v_dual_add_f32 v7, v7, v43 :: v_dual_mov_b32 v88, v137
	s_delay_alu instid0(VALU_DEP_2) | instskip(NEXT) | instid1(VALU_DEP_2)
	v_dual_add_f32 v9, v9, v15 :: v_dual_fmac_f32 v47, v207, v126
	v_dual_fma_f32 v15, v206, v126, -v19 :: v_dual_add_f32 v7, v7, v45
	v_dual_mul_f32 v225, v210, v131 :: v_dual_mul_f32 v227, v212, v133
	s_delay_alu instid0(VALU_DEP_3) | instskip(NEXT) | instid1(VALU_DEP_3)
	v_dual_add_f32 v9, v9, v13 :: v_dual_fma_f32 v13, v208, v128, -v21
	v_dual_fmac_f32 v49, v209, v128 :: v_dual_add_f32 v7, v7, v47
	v_pk_mul_f32 v[86:87], v[150:151], v[134:135] op_sel:[1,1] op_sel_hi:[0,1]
	s_delay_alu instid0(VALU_DEP_3) | instskip(SKIP_3) | instid1(VALU_DEP_3)
	v_dual_add_f32 v9, v9, v15 :: v_dual_fmac_f32 v225, v211, v130
	s_wait_loadcnt 0x3
	v_dual_mov_b32 v92, v141 :: v_dual_fma_f32 v224, v210, v130, -v23
	v_dual_add_f32 v95, v7, v49 :: v_dual_fmac_f32 v227, v213, v132
	v_dual_add_f32 v94, v9, v13 :: v_dual_fma_f32 v226, v212, v132, -v11
	v_pk_fma_f32 v[96:97], v[150:151], v[134:135], v[86:87] op_sel_hi:[1,0,1]
	v_pk_mul_f32 v[88:89], v[216:217], v[88:89] op_sel_hi:[1,0]
	v_pk_fma_f32 v[86:87], v[150:151], v[134:135], v[86:87] neg_lo:[0,0,1] neg_hi:[0,0,1]
	s_delay_alu instid0(VALU_DEP_4)
	v_pk_add_f32 v[94:95], v[94:95], v[224:225]
	v_pk_mul_f32 v[90:91], v[154:155], v[138:139] op_sel:[1,1] op_sel_hi:[0,1]
	v_mov_b32_e32 v87, v97
	v_pk_fma_f32 v[96:97], v[152:153], v[136:137], v[88:89] op_sel_hi:[1,0,1]
	v_pk_fma_f32 v[88:89], v[152:153], v[136:137], v[88:89] neg_lo:[0,0,1] neg_hi:[0,0,1]
	v_pk_add_f32 v[94:95], v[94:95], v[226:227]
	v_pk_fma_f32 v[100:101], v[154:155], v[138:139], v[90:91] op_sel_hi:[1,0,1]
	v_pk_mul_f32 v[92:93], v[218:219], v[92:93] op_sel_hi:[1,0]
	v_mov_b32_e32 v89, v97
	s_wait_loadcnt 0x2
	v_pk_mul_f32 v[98:99], v[158:159], v[142:143] op_sel:[1,1] op_sel_hi:[0,1]
	v_pk_add_f32 v[86:87], v[94:95], v[86:87]
	v_mov_b32_e32 v94, v145
	v_pk_fma_f32 v[90:91], v[154:155], v[138:139], v[90:91] neg_lo:[0,0,1] neg_hi:[0,0,1]
	v_mov_b32_e32 v91, v101
	v_pk_fma_f32 v[96:97], v[156:157], v[140:141], v[92:93] op_sel_hi:[1,0,1]
	v_pk_add_f32 v[86:87], v[86:87], v[88:89]
	v_pk_fma_f32 v[88:89], v[158:159], v[142:143], v[98:99] op_sel_hi:[1,0,1]
	v_pk_mul_f32 v[94:95], v[220:221], v[94:95] op_sel_hi:[1,0]
	v_pk_fma_f32 v[92:93], v[156:157], v[140:141], v[92:93] neg_lo:[0,0,1] neg_hi:[0,0,1]
	v_mov_b32_e32 v93, v97
	v_pk_add_f32 v[86:87], v[86:87], v[90:91]
	v_pk_fma_f32 v[96:97], v[158:159], v[142:143], v[98:99] neg_lo:[0,0,1] neg_hi:[0,0,1]
	v_mov_b32_e32 v97, v89
	v_pk_fma_f32 v[88:89], v[160:161], v[144:145], v[94:95] op_sel_hi:[1,0,1]
	s_wait_loadcnt 0x1
	v_pk_mul_f32 v[90:91], v[162:163], v[146:147] op_sel:[1,1] op_sel_hi:[0,1]
	v_pk_add_f32 v[86:87], v[86:87], v[92:93]
	v_mov_b32_e32 v88, v149
	v_pk_fma_f32 v[94:95], v[160:161], v[144:145], v[94:95] neg_lo:[0,0,1] neg_hi:[0,0,1]
	v_mov_b32_e32 v95, v89
	v_pk_fma_f32 v[92:93], v[162:163], v[146:147], v[90:91] op_sel_hi:[1,0,1]
	v_pk_add_f32 v[86:87], v[86:87], v[96:97]
	v_pk_mul_f32 v[88:89], v[222:223], v[88:89] op_sel_hi:[1,0]
	v_pk_fma_f32 v[90:91], v[162:163], v[146:147], v[90:91] neg_lo:[0,0,1] neg_hi:[0,0,1]
	s_delay_alu instid0(VALU_DEP_4) | instskip(NEXT) | instid1(VALU_DEP_4)
	v_mov_b32_e32 v91, v93
	v_pk_add_f32 v[86:87], v[86:87], v[94:95]
	s_delay_alu instid0(VALU_DEP_4) | instskip(SKIP_1) | instid1(VALU_DEP_2)
	v_pk_fma_f32 v[92:93], v[164:165], v[148:149], v[88:89] op_sel_hi:[1,0,1]
	v_pk_fma_f32 v[88:89], v[164:165], v[148:149], v[88:89] neg_lo:[0,0,1] neg_hi:[0,0,1]
	v_mov_b32_e32 v89, v93
	s_delay_alu instid0(VALU_DEP_4) | instskip(NEXT) | instid1(VALU_DEP_1)
	v_pk_add_f32 v[86:87], v[86:87], v[90:91]
	v_pk_add_f32 v[86:87], v[86:87], v[88:89]
	s_wait_loadcnt 0x0
	s_delay_alu instid0(VALU_DEP_1)
	v_pk_add_f32 v[86:87], v[214:215], v[86:87] neg_lo:[0,1] neg_hi:[0,1]
	scratch_store_b64 off, v[86:87], off offset:72
	s_wait_xcnt 0x0
	v_cmpx_lt_u32_e32 8, v0
	s_cbranch_execz .LBB105_249
; %bb.248:
	scratch_load_b64 v[86:87], off, off offset:64
	v_mov_b64_e32 v[88:89], 0
	scratch_store_b64 off, v[88:89], off offset:64
	s_wait_loadcnt 0x0
	ds_store_b64 v1, v[86:87]
.LBB105_249:
	s_wait_xcnt 0x0
	s_or_b32 exec_lo, exec_lo, s0
	s_wait_storecnt_dscnt 0x0
	s_barrier_signal -1
	s_barrier_wait -1
	s_clause 0x11
	scratch_load_b128 v[86:89], off, off offset:72
	scratch_load_b128 v[90:93], off, off offset:88
	;; [unrolled: 1-line block ×16, first 2 shown]
	scratch_load_b64 v[214:215], off, off offset:328
	scratch_load_b64 v[216:217], off, off offset:64
	v_mov_b32_e32 v7, 0
	ds_load_2addr_b64 v[150:153], v7 offset0:75 offset1:76
	ds_load_2addr_b64 v[154:157], v7 offset0:77 offset1:78
	;; [unrolled: 1-line block ×16, first 2 shown]
	ds_load_b64 v[218:219], v7 offset:664
	s_mov_b32 s0, exec_lo
	s_wait_dscnt 0x10
	v_dual_mov_b32 v220, v153 :: v_dual_mov_b32 v221, v152
	s_wait_dscnt 0xd
	v_dual_mov_b32 v222, v157 :: v_dual_mov_b32 v227, v164
	v_dual_mov_b32 v223, v156 :: v_dual_mov_b32 v224, v161
	;; [unrolled: 1-line block ×3, first 2 shown]
	s_wait_loadcnt_dscnt 0x110c
	v_dual_mul_f32 v9, v166, v87 :: v_dual_mul_f32 v55, v167, v87
	v_dual_mul_f32 v57, v169, v89 :: v_dual_mul_f32 v11, v168, v89
	s_wait_loadcnt_dscnt 0x100b
	v_mul_f32_e32 v13, v170, v91
	s_wait_loadcnt_dscnt 0xe09
	v_dual_mul_f32 v67, v179, v99 :: v_dual_fma_f32 v55, v166, v86, -v55
	v_dual_fmac_f32 v9, v167, v86 :: v_dual_mul_f32 v69, v181, v101
	v_dual_mul_f32 v59, v171, v91 :: v_dual_mul_f32 v61, v173, v93
	v_dual_fmac_f32 v11, v169, v88 :: v_dual_fma_f32 v57, v168, v88, -v57
	s_delay_alu instid0(VALU_DEP_3) | instskip(SKIP_3) | instid1(VALU_DEP_3)
	v_dual_add_f32 v9, 0, v9 :: v_dual_add_f32 v55, 0, v55
	v_dual_mul_f32 v15, v172, v93 :: v_dual_mul_f32 v17, v174, v95
	s_wait_loadcnt_dscnt 0xd08
	v_dual_mul_f32 v71, v183, v103 :: v_dual_fma_f32 v59, v170, v90, -v59
	v_dual_fmac_f32 v13, v171, v90 :: v_dual_add_f32 v9, v9, v11
	s_delay_alu instid0(VALU_DEP_3) | instskip(SKIP_2) | instid1(VALU_DEP_3)
	v_dual_add_f32 v11, v55, v57 :: v_dual_fmac_f32 v15, v173, v92
	v_dual_mul_f32 v63, v175, v95 :: v_dual_mul_f32 v65, v177, v97
	v_dual_mul_f32 v55, v185, v105 :: v_dual_fma_f32 v57, v172, v92, -v61
	v_dual_add_f32 v9, v9, v13 :: v_dual_add_f32 v11, v11, v59
	v_dual_mul_f32 v19, v176, v97 :: v_dual_mul_f32 v21, v178, v99
	s_wait_loadcnt_dscnt 0xc07
	v_dual_mul_f32 v13, v187, v107 :: v_dual_fma_f32 v59, v174, v94, -v63
	s_delay_alu instid0(VALU_DEP_3) | instskip(NEXT) | instid1(VALU_DEP_3)
	v_dual_fmac_f32 v17, v175, v94 :: v_dual_add_f32 v9, v9, v15
	v_dual_add_f32 v11, v11, v57 :: v_dual_fmac_f32 v19, v177, v96
	v_dual_mul_f32 v15, v189, v109 :: v_dual_fma_f32 v57, v176, v96, -v65
	s_delay_alu instid0(VALU_DEP_2) | instskip(SKIP_3) | instid1(VALU_DEP_3)
	v_dual_add_f32 v9, v9, v17 :: v_dual_add_f32 v11, v11, v59
	v_dual_mul_f32 v23, v180, v101 :: v_dual_mul_f32 v25, v182, v103
	s_wait_loadcnt_dscnt 0xb06
	v_dual_mul_f32 v17, v191, v111 :: v_dual_fma_f32 v59, v178, v98, -v67
	v_dual_fmac_f32 v21, v179, v98 :: v_dual_add_f32 v9, v9, v19
	s_delay_alu instid0(VALU_DEP_3) | instskip(SKIP_1) | instid1(VALU_DEP_2)
	v_dual_add_f32 v11, v11, v57 :: v_dual_fmac_f32 v23, v181, v100
	v_dual_mul_f32 v19, v193, v113 :: v_dual_fma_f32 v57, v180, v100, -v69
	v_dual_add_f32 v9, v9, v21 :: v_dual_add_f32 v11, v11, v59
	v_dual_mul_f32 v27, v184, v105 :: v_dual_mul_f32 v29, v186, v107
	s_wait_loadcnt_dscnt 0xa05
	v_dual_mul_f32 v21, v195, v115 :: v_dual_fma_f32 v59, v182, v102, -v71
	s_delay_alu instid0(VALU_DEP_3) | instskip(NEXT) | instid1(VALU_DEP_3)
	v_dual_fmac_f32 v25, v183, v102 :: v_dual_add_f32 v9, v9, v23
	v_dual_add_f32 v11, v11, v57 :: v_dual_fmac_f32 v27, v185, v104
	v_dual_mul_f32 v23, v197, v117 :: v_dual_fma_f32 v55, v184, v104, -v55
	s_delay_alu instid0(VALU_DEP_2) | instskip(SKIP_3) | instid1(VALU_DEP_3)
	v_dual_add_f32 v9, v9, v25 :: v_dual_add_f32 v11, v11, v59
	v_dual_mul_f32 v31, v188, v109 :: v_dual_mul_f32 v33, v190, v111
	s_wait_loadcnt_dscnt 0x904
	v_dual_mul_f32 v25, v199, v119 :: v_dual_fma_f32 v13, v186, v106, -v13
	v_dual_fmac_f32 v29, v187, v106 :: v_dual_add_f32 v9, v9, v27
	v_dual_add_f32 v11, v11, v55 :: v_dual_mul_f32 v27, v201, v121
	v_fmac_f32_e32 v31, v189, v108
	s_delay_alu instid0(VALU_DEP_3) | instskip(NEXT) | instid1(VALU_DEP_3)
	v_dual_fma_f32 v15, v188, v108, -v15 :: v_dual_add_f32 v9, v9, v29
	v_add_f32_e32 v11, v11, v13
	v_dual_mul_f32 v35, v192, v113 :: v_dual_mul_f32 v37, v194, v115
	s_wait_loadcnt_dscnt 0x803
	v_dual_mul_f32 v13, v203, v123 :: v_dual_fma_f32 v17, v190, v110, -v17
	v_dual_fmac_f32 v33, v191, v110 :: v_dual_add_f32 v9, v9, v31
	v_dual_add_f32 v11, v11, v15 :: v_dual_mul_f32 v15, v205, v125
	v_fmac_f32_e32 v35, v193, v112
	s_delay_alu instid0(VALU_DEP_3) | instskip(NEXT) | instid1(VALU_DEP_3)
	v_dual_fma_f32 v19, v192, v112, -v19 :: v_dual_add_f32 v9, v9, v33
	v_add_f32_e32 v11, v11, v17
	;; [unrolled: 9-line block ×4, first 2 shown]
	v_dual_mul_f32 v47, v204, v125 :: v_dual_mul_f32 v49, v206, v127
	s_wait_loadcnt 0x5
	v_dual_mul_f32 v25, v151, v135 :: v_dual_fma_f32 v13, v202, v122, -v13
	v_dual_fmac_f32 v45, v203, v122 :: v_dual_add_f32 v9, v9, v43
	v_dual_add_f32 v11, v11, v27 :: v_dual_mov_b32 v86, v137
	v_fmac_f32_e32 v47, v205, v124
	s_delay_alu instid0(VALU_DEP_3) | instskip(NEXT) | instid1(VALU_DEP_3)
	v_dual_fma_f32 v15, v204, v124, -v15 :: v_dual_add_f32 v9, v9, v45
	v_add_f32_e32 v11, v11, v13
	v_dual_mul_f32 v51, v208, v129 :: v_dual_mul_f32 v53, v210, v131
	s_delay_alu instid0(VALU_DEP_3) | instskip(NEXT) | instid1(VALU_DEP_3)
	v_dual_fmac_f32 v49, v207, v126 :: v_dual_add_f32 v9, v9, v47
	v_dual_fma_f32 v13, v206, v126, -v17 :: v_dual_add_f32 v11, v11, v15
	s_wait_loadcnt 0x4
	v_dual_mov_b32 v90, v141 :: v_dual_fma_f32 v15, v208, v128, -v19
	v_fmac_f32_e32 v51, v209, v128
	v_dual_add_f32 v9, v9, v49 :: v_dual_fmac_f32 v53, v211, v130
	v_add_f32_e32 v11, v11, v13
	v_dual_mul_f32 v229, v212, v133 :: v_dual_mul_f32 v231, v150, v135
	s_delay_alu instid0(VALU_DEP_3) | instskip(NEXT) | instid1(VALU_DEP_2)
	v_dual_fma_f32 v13, v210, v130, -v21 :: v_dual_add_f32 v9, v9, v51
	v_dual_add_f32 v11, v11, v15 :: v_dual_fmac_f32 v229, v213, v132
	v_fma_f32 v228, v212, v132, -v23
	v_pk_mul_f32 v[86:87], v[220:221], v[86:87] op_sel_hi:[1,0]
	s_delay_alu instid0(VALU_DEP_4)
	v_add_f32_e32 v95, v9, v53
	s_wait_loadcnt 0x3
	v_dual_add_f32 v94, v11, v13 :: v_dual_mov_b32 v96, v145
	v_pk_mul_f32 v[88:89], v[154:155], v[138:139] op_sel:[1,1] op_sel_hi:[0,1]
	v_dual_fmac_f32 v231, v151, v134 :: v_dual_fma_f32 v230, v150, v134, -v25
	v_pk_fma_f32 v[98:99], v[152:153], v[136:137], v[86:87] op_sel_hi:[1,0,1]
	s_delay_alu instid0(VALU_DEP_4)
	v_pk_add_f32 v[94:95], v[94:95], v[228:229]
	v_pk_fma_f32 v[86:87], v[152:153], v[136:137], v[86:87] neg_lo:[0,0,1] neg_hi:[0,0,1]
	v_pk_fma_f32 v[100:101], v[154:155], v[138:139], v[88:89] op_sel_hi:[1,0,1]
	v_pk_mul_f32 v[90:91], v[222:223], v[90:91] op_sel_hi:[1,0]
	v_mov_b32_e32 v87, v99
	v_pk_add_f32 v[94:95], v[94:95], v[230:231]
	v_pk_fma_f32 v[88:89], v[154:155], v[138:139], v[88:89] neg_lo:[0,0,1] neg_hi:[0,0,1]
	v_pk_mul_f32 v[92:93], v[158:159], v[142:143] op_sel:[1,1] op_sel_hi:[0,1]
	v_mov_b32_e32 v89, v101
	v_pk_fma_f32 v[100:101], v[156:157], v[140:141], v[90:91] op_sel_hi:[1,0,1]
	v_pk_add_f32 v[86:87], v[94:95], v[86:87]
	v_pk_fma_f32 v[90:91], v[156:157], v[140:141], v[90:91] neg_lo:[0,0,1] neg_hi:[0,0,1]
	v_pk_fma_f32 v[94:95], v[158:159], v[142:143], v[92:93] op_sel_hi:[1,0,1]
	v_pk_mul_f32 v[96:97], v[224:225], v[96:97] op_sel_hi:[1,0]
	v_mov_b32_e32 v91, v101
	v_pk_add_f32 v[86:87], v[86:87], v[88:89]
	v_pk_fma_f32 v[92:93], v[158:159], v[142:143], v[92:93] neg_lo:[0,0,1] neg_hi:[0,0,1]
	s_wait_loadcnt 0x2
	v_pk_mul_f32 v[98:99], v[162:163], v[146:147] op_sel:[1,1] op_sel_hi:[0,1]
	v_dual_mov_b32 v88, v149 :: v_dual_mov_b32 v93, v95
	v_pk_fma_f32 v[94:95], v[160:161], v[144:145], v[96:97] op_sel_hi:[1,0,1]
	v_pk_add_f32 v[86:87], v[86:87], v[90:91]
	v_pk_fma_f32 v[96:97], v[160:161], v[144:145], v[96:97] neg_lo:[0,0,1] neg_hi:[0,0,1]
	v_pk_fma_f32 v[90:91], v[162:163], v[146:147], v[98:99] op_sel_hi:[1,0,1]
	v_pk_mul_f32 v[88:89], v[226:227], v[88:89] op_sel_hi:[1,0]
	v_mov_b32_e32 v97, v95
	v_pk_add_f32 v[86:87], v[86:87], v[92:93]
	v_pk_fma_f32 v[92:93], v[162:163], v[146:147], v[98:99] neg_lo:[0,0,1] neg_hi:[0,0,1]
	v_mov_b32_e32 v93, v91
	v_pk_fma_f32 v[90:91], v[164:165], v[148:149], v[88:89] op_sel_hi:[1,0,1]
	s_wait_loadcnt_dscnt 0x100
	v_pk_mul_f32 v[94:95], v[218:219], v[214:215] op_sel:[1,1] op_sel_hi:[0,1]
	v_pk_add_f32 v[86:87], v[86:87], v[96:97]
	v_pk_fma_f32 v[88:89], v[164:165], v[148:149], v[88:89] neg_lo:[0,0,1] neg_hi:[0,0,1]
	v_mov_b32_e32 v89, v91
	s_delay_alu instid0(VALU_DEP_4) | instskip(NEXT) | instid1(VALU_DEP_4)
	v_pk_fma_f32 v[90:91], v[218:219], v[214:215], v[94:95] op_sel_hi:[1,0,1]
	v_pk_add_f32 v[86:87], v[86:87], v[92:93]
	v_pk_fma_f32 v[92:93], v[218:219], v[214:215], v[94:95] neg_lo:[0,0,1] neg_hi:[0,0,1]
	s_delay_alu instid0(VALU_DEP_3) | instskip(NEXT) | instid1(VALU_DEP_3)
	v_mov_b32_e32 v93, v91
	v_pk_add_f32 v[86:87], v[86:87], v[88:89]
	s_delay_alu instid0(VALU_DEP_1) | instskip(SKIP_1) | instid1(VALU_DEP_1)
	v_pk_add_f32 v[86:87], v[86:87], v[92:93]
	s_wait_loadcnt 0x0
	v_pk_add_f32 v[86:87], v[216:217], v[86:87] neg_lo:[0,1] neg_hi:[0,1]
	scratch_store_b64 off, v[86:87], off offset:64
	s_wait_xcnt 0x0
	v_cmpx_lt_u32_e32 7, v0
	s_cbranch_execz .LBB105_251
; %bb.250:
	scratch_load_b64 v[86:87], off, off offset:56
	v_mov_b64_e32 v[88:89], 0
	scratch_store_b64 off, v[88:89], off offset:56
	s_wait_loadcnt 0x0
	ds_store_b64 v1, v[86:87]
.LBB105_251:
	s_wait_xcnt 0x0
	s_or_b32 exec_lo, exec_lo, s0
	s_wait_storecnt_dscnt 0x0
	s_barrier_signal -1
	s_barrier_wait -1
	s_clause 0x11
	scratch_load_b128 v[86:89], off, off offset:64
	scratch_load_b128 v[90:93], off, off offset:80
	;; [unrolled: 1-line block ×17, first 2 shown]
	scratch_load_b64 v[222:223], off, off offset:56
	ds_load_b128 v[154:157], v7 offset:608
	ds_load_b128 v[158:161], v7 offset:624
	;; [unrolled: 1-line block ×17, first 2 shown]
	s_mov_b32 s0, exec_lo
	s_wait_dscnt 0x10
	v_dual_mov_b32 v224, v157 :: v_dual_mov_b32 v225, v156
	s_wait_dscnt 0xf
	v_dual_mov_b32 v226, v161 :: v_dual_mov_b32 v227, v160
	;; [unrolled: 2-line block ×4, first 2 shown]
	s_wait_loadcnt_dscnt 0x110b
	v_dual_mul_f32 v7, v174, v87 :: v_dual_mul_f32 v9, v176, v89
	v_dual_mul_f32 v55, v175, v87 :: v_dual_mul_f32 v57, v177, v89
	s_wait_loadcnt_dscnt 0x100a
	v_dual_mul_f32 v11, v178, v91 :: v_dual_mul_f32 v13, v180, v93
	s_delay_alu instid0(VALU_DEP_3) | instskip(SKIP_3) | instid1(VALU_DEP_3)
	v_dual_fmac_f32 v7, v175, v86 :: v_dual_fmac_f32 v9, v177, v88
	s_wait_loadcnt_dscnt 0xe08
	v_dual_fma_f32 v55, v174, v86, -v55 :: v_dual_mul_f32 v67, v187, v99
	v_dual_mul_f32 v59, v179, v91 :: v_dual_mul_f32 v61, v181, v93
	v_dual_fma_f32 v57, v176, v88, -v57 :: v_dual_add_f32 v7, 0, v7
	s_delay_alu instid0(VALU_DEP_3) | instskip(SKIP_1) | instid1(VALU_DEP_3)
	v_dual_add_f32 v55, 0, v55 :: v_dual_mul_f32 v69, v189, v101
	v_dual_fmac_f32 v11, v179, v90 :: v_dual_fmac_f32 v13, v181, v92
	v_dual_fma_f32 v59, v178, v90, -v59 :: v_dual_add_f32 v7, v7, v9
	s_delay_alu instid0(VALU_DEP_3) | instskip(SKIP_2) | instid1(VALU_DEP_4)
	v_dual_add_f32 v9, v55, v57 :: v_dual_fma_f32 v57, v180, v92, -v61
	v_dual_mul_f32 v15, v182, v95 :: v_dual_mul_f32 v17, v184, v97
	v_dual_mul_f32 v63, v183, v95 :: v_dual_mul_f32 v65, v185, v97
	v_add_f32_e32 v7, v7, v11
	s_delay_alu instid0(VALU_DEP_3) | instskip(NEXT) | instid1(VALU_DEP_3)
	v_dual_add_f32 v9, v9, v59 :: v_dual_fmac_f32 v15, v183, v94
	v_fma_f32 v59, v182, v94, -v63
	v_dual_mul_f32 v19, v186, v99 :: v_dual_mul_f32 v21, v188, v101
	s_delay_alu instid0(VALU_DEP_4) | instskip(SKIP_2) | instid1(VALU_DEP_2)
	v_dual_add_f32 v7, v7, v13 :: v_dual_fmac_f32 v17, v185, v96
	s_wait_loadcnt_dscnt 0xc06
	v_dual_add_f32 v9, v9, v57 :: v_dual_mul_f32 v13, v195, v107
	v_dual_fma_f32 v57, v184, v96, -v65 :: v_dual_add_f32 v7, v7, v15
	v_mul_f32_e32 v15, v197, v109
	s_delay_alu instid0(VALU_DEP_3) | instskip(NEXT) | instid1(VALU_DEP_3)
	v_dual_add_f32 v9, v9, v59 :: v_dual_fmac_f32 v19, v187, v98
	v_dual_fma_f32 v59, v186, v98, -v67 :: v_dual_add_f32 v7, v7, v17
	v_fmac_f32_e32 v21, v189, v100
	s_wait_loadcnt_dscnt 0xb05
	s_delay_alu instid0(VALU_DEP_3) | instskip(SKIP_3) | instid1(VALU_DEP_3)
	v_dual_add_f32 v9, v9, v57 :: v_dual_mul_f32 v17, v199, v111
	v_dual_mul_f32 v23, v190, v103 :: v_dual_mul_f32 v25, v192, v105
	v_dual_mul_f32 v55, v191, v103 :: v_dual_mul_f32 v11, v193, v105
	v_dual_fma_f32 v57, v188, v100, -v69 :: v_dual_add_f32 v7, v7, v19
	v_dual_add_f32 v9, v9, v59 :: v_dual_fmac_f32 v23, v191, v102
	s_delay_alu instid0(VALU_DEP_3) | instskip(NEXT) | instid1(VALU_DEP_3)
	v_dual_mul_f32 v19, v201, v113 :: v_dual_fma_f32 v55, v190, v102, -v55
	v_dual_add_f32 v7, v7, v21 :: v_dual_fmac_f32 v25, v193, v104
	s_wait_loadcnt_dscnt 0xa04
	s_delay_alu instid0(VALU_DEP_3) | instskip(SKIP_1) | instid1(VALU_DEP_3)
	v_dual_add_f32 v9, v9, v57 :: v_dual_mul_f32 v21, v203, v115
	v_dual_mul_f32 v27, v194, v107 :: v_dual_mul_f32 v29, v196, v109
	v_dual_fma_f32 v11, v192, v104, -v11 :: v_dual_add_f32 v7, v7, v23
	s_delay_alu instid0(VALU_DEP_2) | instskip(SKIP_1) | instid1(VALU_DEP_2)
	v_dual_add_f32 v9, v9, v55 :: v_dual_fmac_f32 v27, v195, v106
	v_dual_mul_f32 v23, v205, v117 :: v_dual_fma_f32 v13, v194, v106, -v13
	v_dual_add_f32 v7, v7, v25 :: v_dual_add_f32 v9, v9, v11
	v_dual_mul_f32 v31, v198, v111 :: v_dual_mul_f32 v33, v200, v113
	s_wait_loadcnt_dscnt 0x903
	v_dual_mul_f32 v11, v207, v119 :: v_dual_fmac_f32 v29, v197, v108
	s_delay_alu instid0(VALU_DEP_3) | instskip(NEXT) | instid1(VALU_DEP_3)
	v_dual_fma_f32 v15, v196, v108, -v15 :: v_dual_add_f32 v7, v7, v27
	v_dual_add_f32 v9, v9, v13 :: v_dual_fmac_f32 v31, v199, v110
	v_dual_mul_f32 v13, v209, v121 :: v_dual_fma_f32 v17, v198, v110, -v17
	s_delay_alu instid0(VALU_DEP_2) | instskip(SKIP_3) | instid1(VALU_DEP_3)
	v_dual_add_f32 v7, v7, v29 :: v_dual_add_f32 v9, v9, v15
	v_dual_mul_f32 v35, v202, v115 :: v_dual_mul_f32 v37, v204, v117
	s_wait_loadcnt_dscnt 0x802
	v_dual_mul_f32 v15, v211, v123 :: v_dual_fmac_f32 v33, v201, v112
	v_dual_fma_f32 v19, v200, v112, -v19 :: v_dual_add_f32 v7, v7, v31
	s_delay_alu instid0(VALU_DEP_3) | instskip(SKIP_1) | instid1(VALU_DEP_2)
	v_dual_add_f32 v9, v9, v17 :: v_dual_fmac_f32 v35, v203, v114
	v_dual_mul_f32 v17, v213, v125 :: v_dual_fma_f32 v21, v202, v114, -v21
	v_dual_add_f32 v7, v7, v33 :: v_dual_add_f32 v9, v9, v19
	v_dual_mul_f32 v39, v206, v119 :: v_dual_mul_f32 v41, v208, v121
	s_wait_loadcnt_dscnt 0x701
	v_dual_mul_f32 v19, v215, v127 :: v_dual_fmac_f32 v37, v205, v116
	s_delay_alu instid0(VALU_DEP_3) | instskip(NEXT) | instid1(VALU_DEP_3)
	v_dual_fma_f32 v23, v204, v116, -v23 :: v_dual_add_f32 v7, v7, v35
	v_dual_add_f32 v9, v9, v21 :: v_dual_fmac_f32 v39, v207, v118
	v_dual_mul_f32 v21, v217, v129 :: v_dual_fma_f32 v11, v206, v118, -v11
	s_delay_alu instid0(VALU_DEP_2) | instskip(SKIP_3) | instid1(VALU_DEP_3)
	v_dual_add_f32 v7, v7, v37 :: v_dual_add_f32 v9, v9, v23
	v_dual_mul_f32 v43, v210, v123 :: v_dual_mul_f32 v45, v212, v125
	s_wait_loadcnt_dscnt 0x600
	v_dual_mul_f32 v23, v219, v131 :: v_dual_fmac_f32 v41, v209, v120
	v_dual_fma_f32 v13, v208, v120, -v13 :: v_dual_add_f32 v7, v7, v39
	s_delay_alu instid0(VALU_DEP_3) | instskip(SKIP_1) | instid1(VALU_DEP_3)
	v_dual_add_f32 v9, v9, v11 :: v_dual_fmac_f32 v43, v211, v122
	v_dual_mul_f32 v11, v221, v133 :: v_dual_fma_f32 v15, v210, v122, -v15
	v_dual_add_f32 v7, v7, v41 :: v_dual_fmac_f32 v45, v213, v124
	s_wait_loadcnt 0x5
	s_delay_alu instid0(VALU_DEP_3) | instskip(SKIP_1) | instid1(VALU_DEP_3)
	v_dual_add_f32 v9, v9, v13 :: v_dual_mul_f32 v13, v171, v135
	v_dual_mul_f32 v47, v214, v127 :: v_dual_mul_f32 v49, v216, v129
	v_dual_fma_f32 v17, v212, v124, -v17 :: v_dual_add_f32 v7, v7, v43
	s_delay_alu instid0(VALU_DEP_2) | instskip(SKIP_1) | instid1(VALU_DEP_3)
	v_dual_add_f32 v9, v9, v15 :: v_dual_fmac_f32 v47, v215, v126
	v_dual_mul_f32 v15, v173, v137 :: v_dual_fma_f32 v19, v214, v126, -v19
	v_dual_add_f32 v7, v7, v45 :: v_dual_fmac_f32 v49, v217, v128
	s_delay_alu instid0(VALU_DEP_3) | instskip(SKIP_2) | instid1(VALU_DEP_3)
	v_dual_add_f32 v9, v9, v17 :: v_dual_fma_f32 v17, v216, v128, -v21
	v_dual_mul_f32 v51, v218, v131 :: v_dual_mul_f32 v53, v220, v133
	s_wait_loadcnt 0x4
	v_dual_add_f32 v7, v7, v47 :: v_dual_mov_b32 v88, v141
	s_delay_alu instid0(VALU_DEP_2) | instskip(NEXT) | instid1(VALU_DEP_2)
	v_dual_add_f32 v9, v9, v19 :: v_dual_fmac_f32 v51, v219, v130
	v_dual_fma_f32 v19, v218, v130, -v23 :: v_dual_add_f32 v7, v7, v49
	v_dual_mul_f32 v233, v170, v135 :: v_dual_mul_f32 v235, v172, v137
	s_delay_alu instid0(VALU_DEP_3) | instskip(NEXT) | instid1(VALU_DEP_3)
	v_dual_add_f32 v9, v9, v17 :: v_dual_fma_f32 v11, v220, v132, -v11
	v_dual_fmac_f32 v53, v221, v132 :: v_dual_add_f32 v7, v7, v51
	v_pk_mul_f32 v[86:87], v[154:155], v[138:139] op_sel:[1,1] op_sel_hi:[0,1]
	s_delay_alu instid0(VALU_DEP_3) | instskip(SKIP_2) | instid1(VALU_DEP_2)
	v_dual_add_f32 v9, v9, v19 :: v_dual_fmac_f32 v233, v171, v134
	s_wait_loadcnt 0x3
	v_dual_mov_b32 v92, v145 :: v_dual_fma_f32 v232, v170, v134, -v13
	v_dual_add_f32 v95, v7, v53 :: v_dual_add_f32 v94, v9, v11
	v_fmac_f32_e32 v235, v173, v136
	v_pk_fma_f32 v[96:97], v[154:155], v[138:139], v[86:87] op_sel_hi:[1,0,1]
	v_fma_f32 v234, v172, v136, -v15
	v_pk_mul_f32 v[88:89], v[224:225], v[88:89] op_sel_hi:[1,0]
	v_pk_add_f32 v[94:95], v[94:95], v[232:233]
	v_pk_fma_f32 v[86:87], v[154:155], v[138:139], v[86:87] neg_lo:[0,0,1] neg_hi:[0,0,1]
	v_pk_mul_f32 v[90:91], v[158:159], v[142:143] op_sel:[1,1] op_sel_hi:[0,1]
	v_mov_b32_e32 v87, v97
	v_pk_fma_f32 v[96:97], v[156:157], v[140:141], v[88:89] op_sel_hi:[1,0,1]
	v_pk_add_f32 v[94:95], v[94:95], v[234:235]
	v_pk_fma_f32 v[88:89], v[156:157], v[140:141], v[88:89] neg_lo:[0,0,1] neg_hi:[0,0,1]
	v_pk_fma_f32 v[100:101], v[158:159], v[142:143], v[90:91] op_sel_hi:[1,0,1]
	v_pk_mul_f32 v[92:93], v[226:227], v[92:93] op_sel_hi:[1,0]
	v_mov_b32_e32 v89, v97
	v_pk_add_f32 v[86:87], v[94:95], v[86:87]
	s_wait_loadcnt 0x2
	v_pk_mul_f32 v[98:99], v[162:163], v[146:147] op_sel:[1,1] op_sel_hi:[0,1]
	v_mov_b32_e32 v94, v149
	v_pk_fma_f32 v[90:91], v[158:159], v[142:143], v[90:91] neg_lo:[0,0,1] neg_hi:[0,0,1]
	v_pk_fma_f32 v[96:97], v[160:161], v[144:145], v[92:93] op_sel_hi:[1,0,1]
	v_mov_b32_e32 v91, v101
	v_pk_add_f32 v[86:87], v[86:87], v[88:89]
	v_pk_fma_f32 v[88:89], v[162:163], v[146:147], v[98:99] op_sel_hi:[1,0,1]
	v_pk_mul_f32 v[94:95], v[228:229], v[94:95] op_sel_hi:[1,0]
	v_pk_fma_f32 v[92:93], v[160:161], v[144:145], v[92:93] neg_lo:[0,0,1] neg_hi:[0,0,1]
	v_mov_b32_e32 v93, v97
	v_pk_add_f32 v[86:87], v[86:87], v[90:91]
	v_pk_fma_f32 v[96:97], v[162:163], v[146:147], v[98:99] neg_lo:[0,0,1] neg_hi:[0,0,1]
	v_mov_b32_e32 v97, v89
	v_pk_fma_f32 v[88:89], v[164:165], v[148:149], v[94:95] op_sel_hi:[1,0,1]
	s_wait_loadcnt 0x1
	v_pk_mul_f32 v[90:91], v[166:167], v[150:151] op_sel:[1,1] op_sel_hi:[0,1]
	v_pk_add_f32 v[86:87], v[86:87], v[92:93]
	v_mov_b32_e32 v88, v153
	v_pk_fma_f32 v[94:95], v[164:165], v[148:149], v[94:95] neg_lo:[0,0,1] neg_hi:[0,0,1]
	s_delay_alu instid0(VALU_DEP_4)
	v_pk_fma_f32 v[92:93], v[166:167], v[150:151], v[90:91] op_sel_hi:[1,0,1]
	v_mov_b32_e32 v95, v89
	v_pk_add_f32 v[86:87], v[86:87], v[96:97]
	v_pk_mul_f32 v[88:89], v[230:231], v[88:89] op_sel_hi:[1,0]
	v_pk_fma_f32 v[90:91], v[166:167], v[150:151], v[90:91] neg_lo:[0,0,1] neg_hi:[0,0,1]
	v_mov_b32_e32 v91, v93
	s_delay_alu instid0(VALU_DEP_4) | instskip(NEXT) | instid1(VALU_DEP_4)
	v_pk_add_f32 v[86:87], v[86:87], v[94:95]
	v_pk_fma_f32 v[92:93], v[168:169], v[152:153], v[88:89] op_sel_hi:[1,0,1]
	v_pk_fma_f32 v[88:89], v[168:169], v[152:153], v[88:89] neg_lo:[0,0,1] neg_hi:[0,0,1]
	s_delay_alu instid0(VALU_DEP_3) | instskip(NEXT) | instid1(VALU_DEP_3)
	v_pk_add_f32 v[86:87], v[86:87], v[90:91]
	v_mov_b32_e32 v89, v93
	s_delay_alu instid0(VALU_DEP_1) | instskip(SKIP_1) | instid1(VALU_DEP_1)
	v_pk_add_f32 v[86:87], v[86:87], v[88:89]
	s_wait_loadcnt 0x0
	v_pk_add_f32 v[86:87], v[222:223], v[86:87] neg_lo:[0,1] neg_hi:[0,1]
	scratch_store_b64 off, v[86:87], off offset:56
	s_wait_xcnt 0x0
	v_cmpx_lt_u32_e32 6, v0
	s_cbranch_execz .LBB105_253
; %bb.252:
	scratch_load_b64 v[86:87], off, off offset:48
	v_mov_b64_e32 v[88:89], 0
	scratch_store_b64 off, v[88:89], off offset:48
	s_wait_loadcnt 0x0
	ds_store_b64 v1, v[86:87]
.LBB105_253:
	s_wait_xcnt 0x0
	s_or_b32 exec_lo, exec_lo, s0
	s_wait_storecnt_dscnt 0x0
	s_barrier_signal -1
	s_barrier_wait -1
	s_clause 0x12
	scratch_load_b128 v[86:89], off, off offset:56
	scratch_load_b128 v[90:93], off, off offset:72
	;; [unrolled: 1-line block ×17, first 2 shown]
	scratch_load_b64 v[222:223], off, off offset:328
	scratch_load_b64 v[224:225], off, off offset:48
	v_mov_b32_e32 v7, 0
	ds_load_2addr_b64 v[154:157], v7 offset0:75 offset1:76
	ds_load_2addr_b64 v[158:161], v7 offset0:77 offset1:78
	;; [unrolled: 1-line block ×17, first 2 shown]
	ds_load_b64 v[226:227], v7 offset:664
	s_mov_b32 s0, exec_lo
	s_wait_dscnt 0x11
	v_dual_mov_b32 v228, v157 :: v_dual_mov_b32 v229, v156
	s_wait_dscnt 0x10
	v_dual_mov_b32 v230, v161 :: v_dual_mov_b32 v231, v160
	;; [unrolled: 2-line block ×3, first 2 shown]
	v_dual_mov_b32 v233, v164 :: v_dual_mov_b32 v234, v173
	s_wait_loadcnt_dscnt 0x120c
	v_dual_mul_f32 v9, v174, v87 :: v_dual_mul_f32 v59, v175, v87
	v_dual_mul_f32 v61, v177, v89 :: v_dual_mul_f32 v11, v176, v89
	s_wait_loadcnt_dscnt 0x110b
	v_mul_f32_e32 v13, v178, v91
	s_wait_loadcnt_dscnt 0xf09
	v_dual_mul_f32 v71, v187, v99 :: v_dual_fma_f32 v59, v174, v86, -v59
	v_dual_fmac_f32 v9, v175, v86 :: v_dual_mul_f32 v73, v189, v101
	v_dual_mul_f32 v63, v179, v91 :: v_dual_mul_f32 v65, v181, v93
	v_dual_fmac_f32 v11, v177, v88 :: v_dual_fma_f32 v61, v176, v88, -v61
	s_delay_alu instid0(VALU_DEP_3) | instskip(SKIP_3) | instid1(VALU_DEP_3)
	v_dual_add_f32 v9, 0, v9 :: v_dual_add_f32 v59, 0, v59
	v_dual_mul_f32 v15, v180, v93 :: v_dual_mul_f32 v17, v182, v95
	s_wait_loadcnt_dscnt 0xe08
	v_dual_mul_f32 v75, v191, v103 :: v_dual_fma_f32 v63, v178, v90, -v63
	v_dual_fmac_f32 v13, v179, v90 :: v_dual_add_f32 v9, v9, v11
	s_delay_alu instid0(VALU_DEP_3) | instskip(SKIP_2) | instid1(VALU_DEP_3)
	v_dual_add_f32 v11, v59, v61 :: v_dual_fmac_f32 v15, v181, v92
	v_dual_mul_f32 v67, v183, v95 :: v_dual_mul_f32 v69, v185, v97
	v_dual_mul_f32 v59, v193, v105 :: v_dual_fma_f32 v61, v180, v92, -v65
	v_dual_add_f32 v9, v9, v13 :: v_dual_add_f32 v11, v11, v63
	v_dual_mul_f32 v19, v184, v97 :: v_dual_mul_f32 v21, v186, v99
	s_wait_loadcnt_dscnt 0xd07
	v_dual_mul_f32 v13, v195, v107 :: v_dual_fma_f32 v63, v182, v94, -v67
	s_delay_alu instid0(VALU_DEP_3) | instskip(NEXT) | instid1(VALU_DEP_3)
	v_dual_fmac_f32 v17, v183, v94 :: v_dual_add_f32 v9, v9, v15
	v_dual_add_f32 v11, v11, v61 :: v_dual_fmac_f32 v19, v185, v96
	v_dual_mul_f32 v15, v197, v109 :: v_dual_fma_f32 v61, v184, v96, -v69
	s_delay_alu instid0(VALU_DEP_2) | instskip(SKIP_3) | instid1(VALU_DEP_3)
	v_dual_add_f32 v9, v9, v17 :: v_dual_add_f32 v11, v11, v63
	v_dual_mul_f32 v23, v188, v101 :: v_dual_mul_f32 v25, v190, v103
	s_wait_loadcnt_dscnt 0xc06
	v_dual_mul_f32 v17, v199, v111 :: v_dual_fma_f32 v63, v186, v98, -v71
	v_dual_fmac_f32 v21, v187, v98 :: v_dual_add_f32 v9, v9, v19
	s_delay_alu instid0(VALU_DEP_3) | instskip(SKIP_1) | instid1(VALU_DEP_2)
	v_dual_add_f32 v11, v11, v61 :: v_dual_fmac_f32 v23, v189, v100
	v_dual_mul_f32 v19, v201, v113 :: v_dual_fma_f32 v61, v188, v100, -v73
	v_dual_add_f32 v9, v9, v21 :: v_dual_add_f32 v11, v11, v63
	v_dual_mul_f32 v27, v192, v105 :: v_dual_mul_f32 v29, v194, v107
	s_wait_loadcnt_dscnt 0xb05
	v_dual_mul_f32 v21, v203, v115 :: v_dual_fma_f32 v63, v190, v102, -v75
	s_delay_alu instid0(VALU_DEP_3) | instskip(NEXT) | instid1(VALU_DEP_3)
	v_dual_fmac_f32 v25, v191, v102 :: v_dual_add_f32 v9, v9, v23
	v_dual_add_f32 v11, v11, v61 :: v_dual_fmac_f32 v27, v193, v104
	v_dual_mul_f32 v23, v205, v117 :: v_dual_fma_f32 v59, v192, v104, -v59
	s_delay_alu instid0(VALU_DEP_2) | instskip(SKIP_3) | instid1(VALU_DEP_3)
	v_dual_add_f32 v9, v9, v25 :: v_dual_add_f32 v11, v11, v63
	v_dual_mul_f32 v31, v196, v109 :: v_dual_mul_f32 v33, v198, v111
	s_wait_loadcnt_dscnt 0xa04
	v_dual_mul_f32 v25, v207, v119 :: v_dual_fma_f32 v13, v194, v106, -v13
	v_dual_fmac_f32 v29, v195, v106 :: v_dual_add_f32 v9, v9, v27
	v_dual_add_f32 v11, v11, v59 :: v_dual_mul_f32 v27, v209, v121
	v_fmac_f32_e32 v31, v197, v108
	s_delay_alu instid0(VALU_DEP_3) | instskip(NEXT) | instid1(VALU_DEP_3)
	v_dual_fma_f32 v15, v196, v108, -v15 :: v_dual_add_f32 v9, v9, v29
	v_add_f32_e32 v11, v11, v13
	v_dual_mul_f32 v35, v200, v113 :: v_dual_mul_f32 v37, v202, v115
	s_wait_loadcnt_dscnt 0x903
	v_dual_mul_f32 v13, v211, v123 :: v_dual_fma_f32 v17, v198, v110, -v17
	v_dual_fmac_f32 v33, v199, v110 :: v_dual_add_f32 v9, v9, v31
	v_dual_add_f32 v11, v11, v15 :: v_dual_mul_f32 v15, v213, v125
	v_fmac_f32_e32 v35, v201, v112
	s_delay_alu instid0(VALU_DEP_3) | instskip(NEXT) | instid1(VALU_DEP_3)
	v_dual_fma_f32 v19, v200, v112, -v19 :: v_dual_add_f32 v9, v9, v33
	v_add_f32_e32 v11, v11, v17
	;; [unrolled: 9-line block ×4, first 2 shown]
	v_dual_mul_f32 v47, v212, v125 :: v_dual_mul_f32 v49, v214, v127
	s_wait_loadcnt 0x6
	v_dual_mul_f32 v25, v167, v135 :: v_dual_fma_f32 v13, v210, v122, -v13
	v_dual_fmac_f32 v45, v211, v122 :: v_dual_add_f32 v9, v9, v43
	v_dual_add_f32 v11, v11, v27 :: v_dual_mul_f32 v27, v169, v137
	v_fmac_f32_e32 v47, v213, v124
	s_delay_alu instid0(VALU_DEP_3) | instskip(NEXT) | instid1(VALU_DEP_3)
	v_dual_fma_f32 v15, v212, v124, -v15 :: v_dual_add_f32 v9, v9, v45
	v_add_f32_e32 v11, v11, v13
	v_dual_mul_f32 v51, v216, v129 :: v_dual_mul_f32 v53, v218, v131
	s_wait_loadcnt 0x5
	v_dual_mul_f32 v13, v155, v139 :: v_dual_fma_f32 v17, v214, v126, -v17
	v_dual_fmac_f32 v49, v215, v126 :: v_dual_add_f32 v9, v9, v47
	v_dual_add_f32 v11, v11, v15 :: v_dual_mov_b32 v86, v141
	v_fmac_f32_e32 v51, v217, v128
	s_delay_alu instid0(VALU_DEP_3) | instskip(NEXT) | instid1(VALU_DEP_3)
	v_dual_fma_f32 v15, v216, v128, -v19 :: v_dual_add_f32 v9, v9, v49
	v_add_f32_e32 v11, v11, v17
	v_dual_mul_f32 v55, v220, v133 :: v_dual_mul_f32 v57, v166, v135
	s_delay_alu instid0(VALU_DEP_3) | instskip(NEXT) | instid1(VALU_DEP_3)
	v_dual_fmac_f32 v53, v219, v130 :: v_dual_add_f32 v9, v9, v51
	v_dual_fma_f32 v17, v218, v130, -v21 :: v_dual_add_f32 v11, v11, v15
	s_wait_loadcnt 0x4
	v_dual_mov_b32 v90, v145 :: v_dual_fma_f32 v15, v220, v132, -v23
	v_fmac_f32_e32 v55, v221, v132
	v_dual_add_f32 v9, v9, v53 :: v_dual_fmac_f32 v57, v167, v134
	v_add_f32_e32 v11, v11, v17
	v_dual_mul_f32 v237, v168, v137 :: v_dual_mul_f32 v239, v154, v139
	s_delay_alu instid0(VALU_DEP_3) | instskip(NEXT) | instid1(VALU_DEP_2)
	v_dual_fma_f32 v17, v166, v134, -v25 :: v_dual_add_f32 v9, v9, v55
	v_dual_add_f32 v11, v11, v15 :: v_dual_fmac_f32 v237, v169, v136
	v_fma_f32 v236, v168, v136, -v27
	v_pk_mul_f32 v[86:87], v[228:229], v[86:87] op_sel_hi:[1,0]
	s_delay_alu instid0(VALU_DEP_4)
	v_add_f32_e32 v95, v9, v57
	s_wait_loadcnt 0x3
	v_dual_add_f32 v94, v11, v17 :: v_dual_mov_b32 v96, v149
	v_pk_mul_f32 v[88:89], v[158:159], v[142:143] op_sel:[1,1] op_sel_hi:[0,1]
	v_dual_fmac_f32 v239, v155, v138 :: v_dual_fma_f32 v238, v154, v138, -v13
	v_pk_fma_f32 v[98:99], v[156:157], v[140:141], v[86:87] op_sel_hi:[1,0,1]
	s_delay_alu instid0(VALU_DEP_4)
	v_pk_add_f32 v[94:95], v[94:95], v[236:237]
	v_pk_fma_f32 v[86:87], v[156:157], v[140:141], v[86:87] neg_lo:[0,0,1] neg_hi:[0,0,1]
	v_pk_fma_f32 v[100:101], v[158:159], v[142:143], v[88:89] op_sel_hi:[1,0,1]
	v_pk_mul_f32 v[90:91], v[230:231], v[90:91] op_sel_hi:[1,0]
	v_mov_b32_e32 v87, v99
	v_pk_add_f32 v[94:95], v[94:95], v[238:239]
	v_pk_fma_f32 v[88:89], v[158:159], v[142:143], v[88:89] neg_lo:[0,0,1] neg_hi:[0,0,1]
	v_pk_mul_f32 v[92:93], v[162:163], v[146:147] op_sel:[1,1] op_sel_hi:[0,1]
	v_mov_b32_e32 v89, v101
	v_pk_fma_f32 v[100:101], v[160:161], v[144:145], v[90:91] op_sel_hi:[1,0,1]
	v_pk_add_f32 v[86:87], v[94:95], v[86:87]
	v_pk_fma_f32 v[90:91], v[160:161], v[144:145], v[90:91] neg_lo:[0,0,1] neg_hi:[0,0,1]
	v_pk_fma_f32 v[94:95], v[162:163], v[146:147], v[92:93] op_sel_hi:[1,0,1]
	v_pk_mul_f32 v[96:97], v[232:233], v[96:97] op_sel_hi:[1,0]
	v_mov_b32_e32 v91, v101
	v_pk_add_f32 v[86:87], v[86:87], v[88:89]
	v_pk_fma_f32 v[92:93], v[162:163], v[146:147], v[92:93] neg_lo:[0,0,1] neg_hi:[0,0,1]
	s_wait_loadcnt 0x2
	v_pk_mul_f32 v[98:99], v[170:171], v[150:151] op_sel:[1,1] op_sel_hi:[0,1]
	v_dual_mov_b32 v88, v153 :: v_dual_mov_b32 v93, v95
	v_pk_fma_f32 v[94:95], v[164:165], v[148:149], v[96:97] op_sel_hi:[1,0,1]
	v_pk_add_f32 v[86:87], v[86:87], v[90:91]
	v_pk_fma_f32 v[96:97], v[164:165], v[148:149], v[96:97] neg_lo:[0,0,1] neg_hi:[0,0,1]
	v_pk_fma_f32 v[90:91], v[170:171], v[150:151], v[98:99] op_sel_hi:[1,0,1]
	v_pk_mul_f32 v[88:89], v[234:235], v[88:89] op_sel_hi:[1,0]
	v_mov_b32_e32 v97, v95
	v_pk_add_f32 v[86:87], v[86:87], v[92:93]
	v_pk_fma_f32 v[92:93], v[170:171], v[150:151], v[98:99] neg_lo:[0,0,1] neg_hi:[0,0,1]
	v_mov_b32_e32 v93, v91
	v_pk_fma_f32 v[90:91], v[172:173], v[152:153], v[88:89] op_sel_hi:[1,0,1]
	s_wait_loadcnt_dscnt 0x100
	v_pk_mul_f32 v[94:95], v[226:227], v[222:223] op_sel:[1,1] op_sel_hi:[0,1]
	v_pk_add_f32 v[86:87], v[86:87], v[96:97]
	v_pk_fma_f32 v[88:89], v[172:173], v[152:153], v[88:89] neg_lo:[0,0,1] neg_hi:[0,0,1]
	v_mov_b32_e32 v89, v91
	s_delay_alu instid0(VALU_DEP_4) | instskip(NEXT) | instid1(VALU_DEP_4)
	v_pk_fma_f32 v[90:91], v[226:227], v[222:223], v[94:95] op_sel_hi:[1,0,1]
	v_pk_add_f32 v[86:87], v[86:87], v[92:93]
	v_pk_fma_f32 v[92:93], v[226:227], v[222:223], v[94:95] neg_lo:[0,0,1] neg_hi:[0,0,1]
	s_delay_alu instid0(VALU_DEP_3) | instskip(NEXT) | instid1(VALU_DEP_3)
	v_mov_b32_e32 v93, v91
	v_pk_add_f32 v[86:87], v[86:87], v[88:89]
	s_delay_alu instid0(VALU_DEP_1) | instskip(SKIP_1) | instid1(VALU_DEP_1)
	v_pk_add_f32 v[86:87], v[86:87], v[92:93]
	s_wait_loadcnt 0x0
	v_pk_add_f32 v[86:87], v[224:225], v[86:87] neg_lo:[0,1] neg_hi:[0,1]
	scratch_store_b64 off, v[86:87], off offset:48
	s_wait_xcnt 0x0
	v_cmpx_lt_u32_e32 5, v0
	s_cbranch_execz .LBB105_255
; %bb.254:
	scratch_load_b64 v[86:87], off, off offset:40
	v_mov_b64_e32 v[88:89], 0
	scratch_store_b64 off, v[88:89], off offset:40
	s_wait_loadcnt 0x0
	ds_store_b64 v1, v[86:87]
.LBB105_255:
	s_wait_xcnt 0x0
	s_or_b32 exec_lo, exec_lo, s0
	s_wait_storecnt_dscnt 0x0
	s_barrier_signal -1
	s_barrier_wait -1
	s_clause 0x12
	scratch_load_b128 v[86:89], off, off offset:48
	scratch_load_b128 v[90:93], off, off offset:64
	;; [unrolled: 1-line block ×18, first 2 shown]
	scratch_load_b64 v[230:231], off, off offset:40
	ds_load_b128 v[158:161], v7 offset:608
	ds_load_b128 v[162:165], v7 offset:624
	;; [unrolled: 1-line block ×18, first 2 shown]
	s_mov_b32 s0, exec_lo
	s_wait_dscnt 0x11
	v_dual_mov_b32 v232, v161 :: v_dual_mov_b32 v233, v160
	s_wait_dscnt 0x10
	v_dual_mov_b32 v234, v165 :: v_dual_mov_b32 v235, v164
	;; [unrolled: 2-line block ×4, first 2 shown]
	s_wait_loadcnt_dscnt 0x120d
	v_dual_mul_f32 v7, v174, v87 :: v_dual_mul_f32 v9, v176, v89
	v_dual_mul_f32 v59, v175, v87 :: v_dual_mul_f32 v61, v177, v89
	s_wait_loadcnt_dscnt 0x110c
	v_dual_mul_f32 v11, v178, v91 :: v_dual_mul_f32 v13, v180, v93
	s_delay_alu instid0(VALU_DEP_3) | instskip(SKIP_3) | instid1(VALU_DEP_3)
	v_dual_fmac_f32 v7, v175, v86 :: v_dual_fmac_f32 v9, v177, v88
	s_wait_loadcnt_dscnt 0xf0a
	v_dual_fma_f32 v59, v174, v86, -v59 :: v_dual_mul_f32 v71, v187, v99
	v_dual_mul_f32 v63, v179, v91 :: v_dual_mul_f32 v65, v181, v93
	v_dual_fma_f32 v61, v176, v88, -v61 :: v_dual_add_f32 v7, 0, v7
	s_delay_alu instid0(VALU_DEP_3) | instskip(SKIP_1) | instid1(VALU_DEP_3)
	v_dual_add_f32 v59, 0, v59 :: v_dual_mul_f32 v73, v189, v101
	v_dual_fmac_f32 v11, v179, v90 :: v_dual_fmac_f32 v13, v181, v92
	v_dual_fma_f32 v63, v178, v90, -v63 :: v_dual_add_f32 v7, v7, v9
	s_delay_alu instid0(VALU_DEP_3) | instskip(SKIP_2) | instid1(VALU_DEP_4)
	v_dual_add_f32 v9, v59, v61 :: v_dual_fma_f32 v61, v180, v92, -v65
	v_dual_mul_f32 v15, v182, v95 :: v_dual_mul_f32 v17, v184, v97
	v_dual_mul_f32 v67, v183, v95 :: v_dual_mul_f32 v69, v185, v97
	v_add_f32_e32 v7, v7, v11
	s_delay_alu instid0(VALU_DEP_3) | instskip(NEXT) | instid1(VALU_DEP_3)
	v_dual_add_f32 v9, v9, v63 :: v_dual_fmac_f32 v15, v183, v94
	v_fma_f32 v63, v182, v94, -v67
	v_dual_mul_f32 v19, v186, v99 :: v_dual_mul_f32 v21, v188, v101
	s_delay_alu instid0(VALU_DEP_4) | instskip(SKIP_2) | instid1(VALU_DEP_2)
	v_dual_add_f32 v7, v7, v13 :: v_dual_fmac_f32 v17, v185, v96
	s_wait_loadcnt_dscnt 0xd08
	v_dual_add_f32 v9, v9, v61 :: v_dual_mul_f32 v13, v195, v107
	v_dual_fma_f32 v61, v184, v96, -v69 :: v_dual_add_f32 v7, v7, v15
	v_mul_f32_e32 v15, v197, v109
	s_delay_alu instid0(VALU_DEP_3) | instskip(NEXT) | instid1(VALU_DEP_3)
	v_dual_add_f32 v9, v9, v63 :: v_dual_fmac_f32 v19, v187, v98
	v_dual_fma_f32 v63, v186, v98, -v71 :: v_dual_add_f32 v7, v7, v17
	v_fmac_f32_e32 v21, v189, v100
	s_wait_loadcnt_dscnt 0xc07
	s_delay_alu instid0(VALU_DEP_3) | instskip(SKIP_3) | instid1(VALU_DEP_3)
	v_dual_add_f32 v9, v9, v61 :: v_dual_mul_f32 v17, v199, v111
	v_dual_mul_f32 v23, v190, v103 :: v_dual_mul_f32 v25, v192, v105
	v_dual_mul_f32 v59, v191, v103 :: v_dual_mul_f32 v11, v193, v105
	v_dual_fma_f32 v61, v188, v100, -v73 :: v_dual_add_f32 v7, v7, v19
	v_dual_add_f32 v9, v9, v63 :: v_dual_fmac_f32 v23, v191, v102
	s_delay_alu instid0(VALU_DEP_3) | instskip(NEXT) | instid1(VALU_DEP_3)
	v_dual_mul_f32 v19, v201, v113 :: v_dual_fma_f32 v59, v190, v102, -v59
	v_dual_add_f32 v7, v7, v21 :: v_dual_fmac_f32 v25, v193, v104
	s_wait_loadcnt_dscnt 0xb06
	s_delay_alu instid0(VALU_DEP_3) | instskip(SKIP_1) | instid1(VALU_DEP_3)
	v_dual_add_f32 v9, v9, v61 :: v_dual_mul_f32 v21, v203, v115
	v_dual_mul_f32 v27, v194, v107 :: v_dual_mul_f32 v29, v196, v109
	v_dual_fma_f32 v11, v192, v104, -v11 :: v_dual_add_f32 v7, v7, v23
	s_delay_alu instid0(VALU_DEP_2) | instskip(SKIP_1) | instid1(VALU_DEP_2)
	v_dual_add_f32 v9, v9, v59 :: v_dual_fmac_f32 v27, v195, v106
	v_dual_mul_f32 v23, v205, v117 :: v_dual_fma_f32 v13, v194, v106, -v13
	v_dual_add_f32 v7, v7, v25 :: v_dual_add_f32 v9, v9, v11
	v_dual_mul_f32 v31, v198, v111 :: v_dual_mul_f32 v33, v200, v113
	s_wait_loadcnt_dscnt 0xa05
	v_dual_mul_f32 v11, v207, v119 :: v_dual_fmac_f32 v29, v197, v108
	s_delay_alu instid0(VALU_DEP_3) | instskip(NEXT) | instid1(VALU_DEP_3)
	v_dual_fma_f32 v15, v196, v108, -v15 :: v_dual_add_f32 v7, v7, v27
	v_dual_add_f32 v9, v9, v13 :: v_dual_fmac_f32 v31, v199, v110
	v_dual_mul_f32 v13, v209, v121 :: v_dual_fma_f32 v17, v198, v110, -v17
	s_delay_alu instid0(VALU_DEP_2) | instskip(SKIP_3) | instid1(VALU_DEP_3)
	v_dual_add_f32 v7, v7, v29 :: v_dual_add_f32 v9, v9, v15
	v_dual_mul_f32 v35, v202, v115 :: v_dual_mul_f32 v37, v204, v117
	s_wait_loadcnt_dscnt 0x904
	v_dual_mul_f32 v15, v211, v123 :: v_dual_fmac_f32 v33, v201, v112
	v_dual_fma_f32 v19, v200, v112, -v19 :: v_dual_add_f32 v7, v7, v31
	s_delay_alu instid0(VALU_DEP_3) | instskip(SKIP_1) | instid1(VALU_DEP_2)
	v_dual_add_f32 v9, v9, v17 :: v_dual_fmac_f32 v35, v203, v114
	v_dual_mul_f32 v17, v213, v125 :: v_dual_fma_f32 v21, v202, v114, -v21
	v_dual_add_f32 v7, v7, v33 :: v_dual_add_f32 v9, v9, v19
	v_dual_mul_f32 v39, v206, v119 :: v_dual_mul_f32 v41, v208, v121
	s_wait_loadcnt_dscnt 0x803
	v_dual_mul_f32 v19, v215, v127 :: v_dual_fmac_f32 v37, v205, v116
	s_delay_alu instid0(VALU_DEP_3) | instskip(NEXT) | instid1(VALU_DEP_3)
	v_dual_fma_f32 v23, v204, v116, -v23 :: v_dual_add_f32 v7, v7, v35
	v_dual_add_f32 v9, v9, v21 :: v_dual_fmac_f32 v39, v207, v118
	v_dual_mul_f32 v21, v217, v129 :: v_dual_fma_f32 v11, v206, v118, -v11
	s_delay_alu instid0(VALU_DEP_2) | instskip(SKIP_3) | instid1(VALU_DEP_3)
	v_dual_add_f32 v7, v7, v37 :: v_dual_add_f32 v9, v9, v23
	v_dual_mul_f32 v43, v210, v123 :: v_dual_mul_f32 v45, v212, v125
	s_wait_loadcnt_dscnt 0x702
	v_dual_mul_f32 v23, v219, v131 :: v_dual_fmac_f32 v41, v209, v120
	v_dual_fma_f32 v13, v208, v120, -v13 :: v_dual_add_f32 v7, v7, v39
	s_delay_alu instid0(VALU_DEP_3) | instskip(SKIP_1) | instid1(VALU_DEP_3)
	v_dual_add_f32 v9, v9, v11 :: v_dual_fmac_f32 v43, v211, v122
	v_dual_mul_f32 v11, v221, v133 :: v_dual_fma_f32 v15, v210, v122, -v15
	v_dual_add_f32 v7, v7, v41 :: v_dual_fmac_f32 v45, v213, v124
	s_wait_loadcnt_dscnt 0x601
	s_delay_alu instid0(VALU_DEP_3) | instskip(SKIP_1) | instid1(VALU_DEP_3)
	v_dual_add_f32 v9, v9, v13 :: v_dual_mul_f32 v13, v223, v135
	v_dual_mul_f32 v47, v214, v127 :: v_dual_mul_f32 v49, v216, v129
	v_dual_fma_f32 v17, v212, v124, -v17 :: v_dual_add_f32 v7, v7, v43
	s_delay_alu instid0(VALU_DEP_2) | instskip(SKIP_1) | instid1(VALU_DEP_3)
	v_dual_add_f32 v9, v9, v15 :: v_dual_fmac_f32 v47, v215, v126
	v_dual_mul_f32 v15, v225, v137 :: v_dual_fma_f32 v19, v214, v126, -v19
	v_dual_add_f32 v7, v7, v45 :: v_dual_fmac_f32 v49, v217, v128
	s_wait_loadcnt_dscnt 0x500
	s_delay_alu instid0(VALU_DEP_3) | instskip(SKIP_1) | instid1(VALU_DEP_3)
	v_dual_add_f32 v9, v9, v17 :: v_dual_mul_f32 v17, v227, v139
	v_dual_mul_f32 v51, v218, v131 :: v_dual_mul_f32 v53, v220, v133
	v_dual_fma_f32 v21, v216, v128, -v21 :: v_dual_add_f32 v7, v7, v47
	s_delay_alu instid0(VALU_DEP_2) | instskip(SKIP_1) | instid1(VALU_DEP_3)
	v_dual_add_f32 v9, v9, v19 :: v_dual_fmac_f32 v51, v219, v130
	v_dual_mul_f32 v19, v229, v141 :: v_dual_fma_f32 v23, v218, v130, -v23
	v_dual_add_f32 v7, v7, v49 :: v_dual_fmac_f32 v53, v221, v132
	s_delay_alu instid0(VALU_DEP_3) | instskip(SKIP_2) | instid1(VALU_DEP_3)
	v_dual_add_f32 v9, v9, v21 :: v_dual_fma_f32 v11, v220, v132, -v11
	v_dual_mul_f32 v55, v222, v135 :: v_dual_mul_f32 v57, v224, v137
	s_wait_loadcnt 0x4
	v_dual_add_f32 v7, v7, v51 :: v_dual_mov_b32 v88, v145
	s_delay_alu instid0(VALU_DEP_2) | instskip(NEXT) | instid1(VALU_DEP_2)
	v_dual_add_f32 v9, v9, v23 :: v_dual_fmac_f32 v55, v223, v134
	v_dual_fma_f32 v13, v222, v134, -v13 :: v_dual_add_f32 v7, v7, v53
	v_dual_mul_f32 v241, v226, v139 :: v_dual_mul_f32 v243, v228, v141
	s_delay_alu instid0(VALU_DEP_3) | instskip(NEXT) | instid1(VALU_DEP_3)
	v_dual_add_f32 v9, v9, v11 :: v_dual_fma_f32 v11, v224, v136, -v15
	v_dual_fmac_f32 v57, v225, v136 :: v_dual_add_f32 v7, v7, v55
	v_pk_mul_f32 v[86:87], v[158:159], v[142:143] op_sel:[1,1] op_sel_hi:[0,1]
	s_delay_alu instid0(VALU_DEP_3) | instskip(SKIP_2) | instid1(VALU_DEP_2)
	v_dual_add_f32 v9, v9, v13 :: v_dual_fmac_f32 v241, v227, v138
	s_wait_loadcnt 0x3
	v_dual_mov_b32 v92, v149 :: v_dual_fma_f32 v240, v226, v138, -v17
	v_dual_add_f32 v95, v7, v57 :: v_dual_add_f32 v94, v9, v11
	v_fmac_f32_e32 v243, v229, v140
	v_pk_fma_f32 v[96:97], v[158:159], v[142:143], v[86:87] op_sel_hi:[1,0,1]
	v_fma_f32 v242, v228, v140, -v19
	v_pk_mul_f32 v[88:89], v[232:233], v[88:89] op_sel_hi:[1,0]
	v_pk_add_f32 v[94:95], v[94:95], v[240:241]
	v_pk_fma_f32 v[86:87], v[158:159], v[142:143], v[86:87] neg_lo:[0,0,1] neg_hi:[0,0,1]
	v_pk_mul_f32 v[90:91], v[162:163], v[146:147] op_sel:[1,1] op_sel_hi:[0,1]
	v_mov_b32_e32 v87, v97
	v_pk_fma_f32 v[96:97], v[160:161], v[144:145], v[88:89] op_sel_hi:[1,0,1]
	v_pk_add_f32 v[94:95], v[94:95], v[242:243]
	v_pk_fma_f32 v[88:89], v[160:161], v[144:145], v[88:89] neg_lo:[0,0,1] neg_hi:[0,0,1]
	v_pk_fma_f32 v[100:101], v[162:163], v[146:147], v[90:91] op_sel_hi:[1,0,1]
	v_pk_mul_f32 v[92:93], v[234:235], v[92:93] op_sel_hi:[1,0]
	v_mov_b32_e32 v89, v97
	v_pk_add_f32 v[86:87], v[94:95], v[86:87]
	s_wait_loadcnt 0x2
	v_pk_mul_f32 v[98:99], v[166:167], v[150:151] op_sel:[1,1] op_sel_hi:[0,1]
	v_mov_b32_e32 v94, v153
	v_pk_fma_f32 v[90:91], v[162:163], v[146:147], v[90:91] neg_lo:[0,0,1] neg_hi:[0,0,1]
	v_pk_fma_f32 v[96:97], v[164:165], v[148:149], v[92:93] op_sel_hi:[1,0,1]
	v_mov_b32_e32 v91, v101
	v_pk_add_f32 v[86:87], v[86:87], v[88:89]
	v_pk_fma_f32 v[88:89], v[166:167], v[150:151], v[98:99] op_sel_hi:[1,0,1]
	v_pk_mul_f32 v[94:95], v[236:237], v[94:95] op_sel_hi:[1,0]
	v_pk_fma_f32 v[92:93], v[164:165], v[148:149], v[92:93] neg_lo:[0,0,1] neg_hi:[0,0,1]
	v_mov_b32_e32 v93, v97
	v_pk_add_f32 v[86:87], v[86:87], v[90:91]
	v_pk_fma_f32 v[96:97], v[166:167], v[150:151], v[98:99] neg_lo:[0,0,1] neg_hi:[0,0,1]
	v_mov_b32_e32 v97, v89
	v_pk_fma_f32 v[88:89], v[168:169], v[152:153], v[94:95] op_sel_hi:[1,0,1]
	s_wait_loadcnt 0x1
	v_pk_mul_f32 v[90:91], v[170:171], v[154:155] op_sel:[1,1] op_sel_hi:[0,1]
	v_pk_add_f32 v[86:87], v[86:87], v[92:93]
	v_mov_b32_e32 v88, v157
	v_pk_fma_f32 v[94:95], v[168:169], v[152:153], v[94:95] neg_lo:[0,0,1] neg_hi:[0,0,1]
	s_delay_alu instid0(VALU_DEP_4)
	v_pk_fma_f32 v[92:93], v[170:171], v[154:155], v[90:91] op_sel_hi:[1,0,1]
	v_mov_b32_e32 v95, v89
	v_pk_add_f32 v[86:87], v[86:87], v[96:97]
	v_pk_mul_f32 v[88:89], v[238:239], v[88:89] op_sel_hi:[1,0]
	v_pk_fma_f32 v[90:91], v[170:171], v[154:155], v[90:91] neg_lo:[0,0,1] neg_hi:[0,0,1]
	v_mov_b32_e32 v91, v93
	s_delay_alu instid0(VALU_DEP_4) | instskip(NEXT) | instid1(VALU_DEP_4)
	v_pk_add_f32 v[86:87], v[86:87], v[94:95]
	v_pk_fma_f32 v[92:93], v[172:173], v[156:157], v[88:89] op_sel_hi:[1,0,1]
	v_pk_fma_f32 v[88:89], v[172:173], v[156:157], v[88:89] neg_lo:[0,0,1] neg_hi:[0,0,1]
	s_delay_alu instid0(VALU_DEP_3) | instskip(NEXT) | instid1(VALU_DEP_3)
	v_pk_add_f32 v[86:87], v[86:87], v[90:91]
	v_mov_b32_e32 v89, v93
	s_delay_alu instid0(VALU_DEP_1) | instskip(SKIP_1) | instid1(VALU_DEP_1)
	v_pk_add_f32 v[86:87], v[86:87], v[88:89]
	s_wait_loadcnt 0x0
	v_pk_add_f32 v[86:87], v[230:231], v[86:87] neg_lo:[0,1] neg_hi:[0,1]
	scratch_store_b64 off, v[86:87], off offset:40
	s_wait_xcnt 0x0
	v_cmpx_lt_u32_e32 4, v0
	s_cbranch_execz .LBB105_257
; %bb.256:
	scratch_load_b64 v[86:87], off, off offset:32
	v_mov_b64_e32 v[88:89], 0
	scratch_store_b64 off, v[88:89], off offset:32
	s_wait_loadcnt 0x0
	ds_store_b64 v1, v[86:87]
.LBB105_257:
	s_wait_xcnt 0x0
	s_or_b32 exec_lo, exec_lo, s0
	s_wait_storecnt_dscnt 0x0
	s_barrier_signal -1
	s_barrier_wait -1
	s_clause 0x13
	scratch_load_b128 v[86:89], off, off offset:40
	scratch_load_b128 v[90:93], off, off offset:56
	;; [unrolled: 1-line block ×18, first 2 shown]
	scratch_load_b64 v[230:231], off, off offset:328
	scratch_load_b64 v[232:233], off, off offset:32
	v_mov_b32_e32 v7, 0
	ds_load_2addr_b64 v[158:161], v7 offset0:75 offset1:76
	ds_load_2addr_b64 v[162:165], v7 offset0:77 offset1:78
	;; [unrolled: 1-line block ×18, first 2 shown]
	ds_load_b64 v[234:235], v7 offset:664
	s_mov_b32 s0, exec_lo
	s_wait_dscnt 0x12
	v_dual_mov_b32 v236, v161 :: v_dual_mov_b32 v237, v160
	s_wait_dscnt 0x11
	v_dual_mov_b32 v238, v165 :: v_dual_mov_b32 v239, v164
	;; [unrolled: 2-line block ×3, first 2 shown]
	v_dual_mov_b32 v241, v168 :: v_dual_mov_b32 v242, v181
	s_wait_loadcnt 0x13
	v_dual_mul_f32 v9, v170, v87 :: v_dual_mul_f32 v63, v171, v87
	v_dual_mul_f32 v65, v173, v89 :: v_dual_mul_f32 v11, v172, v89
	s_wait_loadcnt 0x12
	v_mul_f32_e32 v13, v174, v91
	s_wait_loadcnt_dscnt 0x100b
	v_dual_mul_f32 v75, v187, v99 :: v_dual_fma_f32 v63, v170, v86, -v63
	v_dual_fmac_f32 v9, v171, v86 :: v_dual_mul_f32 v77, v189, v101
	v_dual_mul_f32 v67, v175, v91 :: v_dual_mul_f32 v69, v177, v93
	v_dual_fmac_f32 v11, v173, v88 :: v_dual_fma_f32 v65, v172, v88, -v65
	s_delay_alu instid0(VALU_DEP_3) | instskip(SKIP_3) | instid1(VALU_DEP_3)
	v_dual_add_f32 v9, 0, v9 :: v_dual_add_f32 v63, 0, v63
	v_dual_mul_f32 v15, v176, v93 :: v_dual_mul_f32 v17, v182, v95
	s_wait_loadcnt_dscnt 0xf0a
	v_dual_mul_f32 v79, v191, v103 :: v_dual_fma_f32 v67, v174, v90, -v67
	v_dual_fmac_f32 v13, v175, v90 :: v_dual_add_f32 v9, v9, v11
	s_delay_alu instid0(VALU_DEP_3) | instskip(SKIP_2) | instid1(VALU_DEP_3)
	v_dual_add_f32 v11, v63, v65 :: v_dual_fmac_f32 v15, v177, v92
	v_dual_mul_f32 v71, v183, v95 :: v_dual_mul_f32 v73, v185, v97
	v_dual_mul_f32 v63, v193, v105 :: v_dual_fma_f32 v65, v176, v92, -v69
	v_dual_add_f32 v9, v9, v13 :: v_dual_add_f32 v11, v11, v67
	v_dual_mul_f32 v19, v184, v97 :: v_dual_mul_f32 v21, v186, v99
	s_wait_loadcnt_dscnt 0xe09
	v_dual_mul_f32 v13, v195, v107 :: v_dual_fma_f32 v67, v182, v94, -v71
	s_delay_alu instid0(VALU_DEP_3) | instskip(NEXT) | instid1(VALU_DEP_3)
	v_dual_fmac_f32 v17, v183, v94 :: v_dual_add_f32 v9, v9, v15
	v_dual_add_f32 v11, v11, v65 :: v_dual_fmac_f32 v19, v185, v96
	v_dual_mul_f32 v15, v197, v109 :: v_dual_fma_f32 v65, v184, v96, -v73
	s_delay_alu instid0(VALU_DEP_2) | instskip(SKIP_3) | instid1(VALU_DEP_3)
	v_dual_add_f32 v9, v9, v17 :: v_dual_add_f32 v11, v11, v67
	v_dual_mul_f32 v23, v188, v101 :: v_dual_mul_f32 v25, v190, v103
	s_wait_loadcnt_dscnt 0xd08
	v_dual_mul_f32 v17, v199, v111 :: v_dual_fma_f32 v67, v186, v98, -v75
	v_dual_fmac_f32 v21, v187, v98 :: v_dual_add_f32 v9, v9, v19
	s_delay_alu instid0(VALU_DEP_3) | instskip(SKIP_1) | instid1(VALU_DEP_2)
	v_dual_add_f32 v11, v11, v65 :: v_dual_fmac_f32 v23, v189, v100
	v_dual_mul_f32 v19, v201, v113 :: v_dual_fma_f32 v65, v188, v100, -v77
	v_dual_add_f32 v9, v9, v21 :: v_dual_add_f32 v11, v11, v67
	v_dual_mul_f32 v27, v192, v105 :: v_dual_mul_f32 v29, v194, v107
	s_wait_loadcnt_dscnt 0xc07
	v_dual_mul_f32 v21, v203, v115 :: v_dual_fma_f32 v67, v190, v102, -v79
	s_delay_alu instid0(VALU_DEP_3) | instskip(NEXT) | instid1(VALU_DEP_3)
	v_dual_fmac_f32 v25, v191, v102 :: v_dual_add_f32 v9, v9, v23
	v_dual_add_f32 v11, v11, v65 :: v_dual_fmac_f32 v27, v193, v104
	v_dual_mul_f32 v23, v205, v117 :: v_dual_fma_f32 v63, v192, v104, -v63
	s_delay_alu instid0(VALU_DEP_2) | instskip(SKIP_3) | instid1(VALU_DEP_3)
	v_dual_add_f32 v9, v9, v25 :: v_dual_add_f32 v11, v11, v67
	v_dual_mul_f32 v31, v196, v109 :: v_dual_mul_f32 v33, v198, v111
	s_wait_loadcnt_dscnt 0xb06
	v_dual_mul_f32 v25, v207, v119 :: v_dual_fma_f32 v13, v194, v106, -v13
	v_dual_fmac_f32 v29, v195, v106 :: v_dual_add_f32 v9, v9, v27
	v_dual_add_f32 v11, v11, v63 :: v_dual_mul_f32 v27, v209, v121
	v_fmac_f32_e32 v31, v197, v108
	s_delay_alu instid0(VALU_DEP_3) | instskip(NEXT) | instid1(VALU_DEP_3)
	v_dual_fma_f32 v15, v196, v108, -v15 :: v_dual_add_f32 v9, v9, v29
	v_add_f32_e32 v11, v11, v13
	v_dual_mul_f32 v35, v200, v113 :: v_dual_mul_f32 v37, v202, v115
	s_wait_loadcnt_dscnt 0xa05
	v_dual_mul_f32 v13, v211, v123 :: v_dual_fma_f32 v17, v198, v110, -v17
	v_dual_fmac_f32 v33, v199, v110 :: v_dual_add_f32 v9, v9, v31
	v_dual_add_f32 v11, v11, v15 :: v_dual_mul_f32 v15, v213, v125
	v_fmac_f32_e32 v35, v201, v112
	s_delay_alu instid0(VALU_DEP_3) | instskip(NEXT) | instid1(VALU_DEP_3)
	v_dual_fma_f32 v19, v200, v112, -v19 :: v_dual_add_f32 v9, v9, v33
	v_add_f32_e32 v11, v11, v17
	;; [unrolled: 9-line block ×6, first 2 shown]
	v_dual_mul_f32 v55, v220, v133 :: v_dual_mul_f32 v57, v222, v135
	s_wait_loadcnt 0x5
	v_dual_mul_f32 v17, v159, v143 :: v_dual_fma_f32 v21, v218, v130, -v21
	v_dual_fmac_f32 v53, v219, v130 :: v_dual_add_f32 v9, v9, v51
	v_dual_add_f32 v11, v11, v19 :: v_dual_mov_b32 v86, v145
	v_fmac_f32_e32 v55, v221, v132
	s_delay_alu instid0(VALU_DEP_3) | instskip(NEXT) | instid1(VALU_DEP_3)
	v_dual_fma_f32 v19, v220, v132, -v23 :: v_dual_add_f32 v9, v9, v53
	v_add_f32_e32 v11, v11, v21
	v_dual_mul_f32 v59, v224, v137 :: v_dual_mul_f32 v61, v226, v139
	s_delay_alu instid0(VALU_DEP_3) | instskip(NEXT) | instid1(VALU_DEP_3)
	v_dual_fmac_f32 v57, v223, v134 :: v_dual_add_f32 v9, v9, v55
	v_dual_fma_f32 v21, v222, v134, -v25 :: v_dual_add_f32 v11, v11, v19
	s_wait_loadcnt 0x4
	v_dual_mov_b32 v90, v149 :: v_dual_fma_f32 v19, v224, v136, -v27
	v_fmac_f32_e32 v59, v225, v136
	v_dual_add_f32 v9, v9, v57 :: v_dual_fmac_f32 v61, v227, v138
	v_add_f32_e32 v11, v11, v21
	v_dual_mul_f32 v245, v228, v141 :: v_dual_mul_f32 v247, v158, v143
	s_delay_alu instid0(VALU_DEP_3) | instskip(NEXT) | instid1(VALU_DEP_2)
	v_dual_fma_f32 v13, v226, v138, -v13 :: v_dual_add_f32 v9, v9, v59
	v_dual_add_f32 v11, v11, v19 :: v_dual_fmac_f32 v245, v229, v140
	v_fma_f32 v244, v228, v140, -v15
	v_pk_mul_f32 v[86:87], v[236:237], v[86:87] op_sel_hi:[1,0]
	s_delay_alu instid0(VALU_DEP_4)
	v_add_f32_e32 v95, v9, v61
	s_wait_loadcnt 0x3
	v_dual_add_f32 v94, v11, v13 :: v_dual_mov_b32 v96, v153
	v_pk_mul_f32 v[88:89], v[162:163], v[146:147] op_sel:[1,1] op_sel_hi:[0,1]
	v_dual_fmac_f32 v247, v159, v142 :: v_dual_fma_f32 v246, v158, v142, -v17
	v_pk_fma_f32 v[98:99], v[160:161], v[144:145], v[86:87] op_sel_hi:[1,0,1]
	s_delay_alu instid0(VALU_DEP_4)
	v_pk_add_f32 v[94:95], v[94:95], v[244:245]
	v_pk_fma_f32 v[86:87], v[160:161], v[144:145], v[86:87] neg_lo:[0,0,1] neg_hi:[0,0,1]
	v_pk_fma_f32 v[100:101], v[162:163], v[146:147], v[88:89] op_sel_hi:[1,0,1]
	v_pk_mul_f32 v[90:91], v[238:239], v[90:91] op_sel_hi:[1,0]
	v_mov_b32_e32 v87, v99
	v_pk_add_f32 v[94:95], v[94:95], v[246:247]
	v_pk_fma_f32 v[88:89], v[162:163], v[146:147], v[88:89] neg_lo:[0,0,1] neg_hi:[0,0,1]
	v_pk_mul_f32 v[92:93], v[166:167], v[150:151] op_sel:[1,1] op_sel_hi:[0,1]
	v_mov_b32_e32 v89, v101
	v_pk_fma_f32 v[100:101], v[164:165], v[148:149], v[90:91] op_sel_hi:[1,0,1]
	v_pk_add_f32 v[86:87], v[94:95], v[86:87]
	v_pk_fma_f32 v[90:91], v[164:165], v[148:149], v[90:91] neg_lo:[0,0,1] neg_hi:[0,0,1]
	v_pk_fma_f32 v[94:95], v[166:167], v[150:151], v[92:93] op_sel_hi:[1,0,1]
	v_pk_mul_f32 v[96:97], v[240:241], v[96:97] op_sel_hi:[1,0]
	v_mov_b32_e32 v91, v101
	v_pk_add_f32 v[86:87], v[86:87], v[88:89]
	v_pk_fma_f32 v[92:93], v[166:167], v[150:151], v[92:93] neg_lo:[0,0,1] neg_hi:[0,0,1]
	s_wait_loadcnt 0x2
	v_pk_mul_f32 v[98:99], v[178:179], v[154:155] op_sel:[1,1] op_sel_hi:[0,1]
	v_dual_mov_b32 v88, v157 :: v_dual_mov_b32 v93, v95
	v_pk_fma_f32 v[94:95], v[168:169], v[152:153], v[96:97] op_sel_hi:[1,0,1]
	v_pk_add_f32 v[86:87], v[86:87], v[90:91]
	v_pk_fma_f32 v[96:97], v[168:169], v[152:153], v[96:97] neg_lo:[0,0,1] neg_hi:[0,0,1]
	v_pk_fma_f32 v[90:91], v[178:179], v[154:155], v[98:99] op_sel_hi:[1,0,1]
	v_pk_mul_f32 v[88:89], v[242:243], v[88:89] op_sel_hi:[1,0]
	v_mov_b32_e32 v97, v95
	v_pk_add_f32 v[86:87], v[86:87], v[92:93]
	v_pk_fma_f32 v[92:93], v[178:179], v[154:155], v[98:99] neg_lo:[0,0,1] neg_hi:[0,0,1]
	v_mov_b32_e32 v93, v91
	v_pk_fma_f32 v[90:91], v[180:181], v[156:157], v[88:89] op_sel_hi:[1,0,1]
	s_wait_loadcnt_dscnt 0x100
	v_pk_mul_f32 v[94:95], v[234:235], v[230:231] op_sel:[1,1] op_sel_hi:[0,1]
	v_pk_add_f32 v[86:87], v[86:87], v[96:97]
	v_pk_fma_f32 v[88:89], v[180:181], v[156:157], v[88:89] neg_lo:[0,0,1] neg_hi:[0,0,1]
	v_mov_b32_e32 v89, v91
	s_delay_alu instid0(VALU_DEP_4) | instskip(NEXT) | instid1(VALU_DEP_4)
	v_pk_fma_f32 v[90:91], v[234:235], v[230:231], v[94:95] op_sel_hi:[1,0,1]
	v_pk_add_f32 v[86:87], v[86:87], v[92:93]
	v_pk_fma_f32 v[92:93], v[234:235], v[230:231], v[94:95] neg_lo:[0,0,1] neg_hi:[0,0,1]
	s_delay_alu instid0(VALU_DEP_3) | instskip(NEXT) | instid1(VALU_DEP_3)
	v_mov_b32_e32 v93, v91
	v_pk_add_f32 v[86:87], v[86:87], v[88:89]
	s_delay_alu instid0(VALU_DEP_1) | instskip(SKIP_1) | instid1(VALU_DEP_1)
	v_pk_add_f32 v[86:87], v[86:87], v[92:93]
	s_wait_loadcnt 0x0
	v_pk_add_f32 v[86:87], v[232:233], v[86:87] neg_lo:[0,1] neg_hi:[0,1]
	scratch_store_b64 off, v[86:87], off offset:32
	s_wait_xcnt 0x0
	v_cmpx_lt_u32_e32 3, v0
	s_cbranch_execz .LBB105_259
; %bb.258:
	scratch_load_b64 v[86:87], off, off offset:24
	v_mov_b64_e32 v[88:89], 0
	scratch_store_b64 off, v[88:89], off offset:24
	s_wait_loadcnt 0x0
	ds_store_b64 v1, v[86:87]
.LBB105_259:
	s_wait_xcnt 0x0
	s_or_b32 exec_lo, exec_lo, s0
	s_wait_storecnt_dscnt 0x0
	s_barrier_signal -1
	s_barrier_wait -1
	s_clause 0x13
	scratch_load_b128 v[86:89], off, off offset:32
	scratch_load_b128 v[90:93], off, off offset:48
	;; [unrolled: 1-line block ×19, first 2 shown]
	scratch_load_b64 v[238:239], off, off offset:24
	ds_load_b128 v[162:165], v7 offset:608
	ds_load_b128 v[166:169], v7 offset:624
	;; [unrolled: 1-line block ×19, first 2 shown]
	s_mov_b32 s0, exec_lo
	s_wait_dscnt 0x12
	v_dual_mov_b32 v240, v165 :: v_dual_mov_b32 v241, v164
	s_wait_dscnt 0x11
	v_dual_mov_b32 v242, v169 :: v_dual_mov_b32 v243, v168
	;; [unrolled: 2-line block ×4, first 2 shown]
	s_wait_loadcnt_dscnt 0x130d
	v_dual_mul_f32 v7, v182, v87 :: v_dual_mul_f32 v9, v184, v89
	v_dual_mul_f32 v63, v183, v87 :: v_dual_mul_f32 v65, v185, v89
	s_wait_loadcnt_dscnt 0x120c
	v_dual_mul_f32 v11, v186, v91 :: v_dual_mul_f32 v13, v188, v93
	s_delay_alu instid0(VALU_DEP_3) | instskip(SKIP_3) | instid1(VALU_DEP_3)
	v_dual_fmac_f32 v7, v183, v86 :: v_dual_fmac_f32 v9, v185, v88
	s_wait_loadcnt_dscnt 0x100a
	v_dual_fma_f32 v63, v182, v86, -v63 :: v_dual_mul_f32 v75, v195, v99
	v_dual_mul_f32 v67, v187, v91 :: v_dual_mul_f32 v69, v189, v93
	v_dual_fma_f32 v65, v184, v88, -v65 :: v_dual_add_f32 v7, 0, v7
	s_delay_alu instid0(VALU_DEP_3) | instskip(SKIP_1) | instid1(VALU_DEP_3)
	v_dual_add_f32 v63, 0, v63 :: v_dual_mul_f32 v77, v197, v101
	v_dual_fmac_f32 v11, v187, v90 :: v_dual_fmac_f32 v13, v189, v92
	v_dual_fma_f32 v67, v186, v90, -v67 :: v_dual_add_f32 v7, v7, v9
	s_delay_alu instid0(VALU_DEP_3) | instskip(SKIP_2) | instid1(VALU_DEP_4)
	v_dual_add_f32 v9, v63, v65 :: v_dual_fma_f32 v65, v188, v92, -v69
	v_dual_mul_f32 v15, v190, v95 :: v_dual_mul_f32 v17, v192, v97
	v_dual_mul_f32 v71, v191, v95 :: v_dual_mul_f32 v73, v193, v97
	v_add_f32_e32 v7, v7, v11
	s_delay_alu instid0(VALU_DEP_3) | instskip(NEXT) | instid1(VALU_DEP_3)
	v_dual_add_f32 v9, v9, v67 :: v_dual_fmac_f32 v15, v191, v94
	v_fma_f32 v67, v190, v94, -v71
	v_dual_mul_f32 v19, v194, v99 :: v_dual_mul_f32 v21, v196, v101
	s_delay_alu instid0(VALU_DEP_4) | instskip(SKIP_2) | instid1(VALU_DEP_2)
	v_dual_add_f32 v7, v7, v13 :: v_dual_fmac_f32 v17, v193, v96
	s_wait_loadcnt_dscnt 0xe08
	v_dual_add_f32 v9, v9, v65 :: v_dual_mul_f32 v13, v203, v107
	v_dual_fma_f32 v65, v192, v96, -v73 :: v_dual_add_f32 v7, v7, v15
	v_mul_f32_e32 v15, v205, v109
	s_delay_alu instid0(VALU_DEP_3) | instskip(NEXT) | instid1(VALU_DEP_3)
	v_dual_add_f32 v9, v9, v67 :: v_dual_fmac_f32 v19, v195, v98
	v_dual_fma_f32 v67, v194, v98, -v75 :: v_dual_add_f32 v7, v7, v17
	v_fmac_f32_e32 v21, v197, v100
	s_wait_loadcnt_dscnt 0xd07
	s_delay_alu instid0(VALU_DEP_3) | instskip(SKIP_3) | instid1(VALU_DEP_3)
	v_dual_add_f32 v9, v9, v65 :: v_dual_mul_f32 v17, v207, v111
	v_dual_mul_f32 v23, v198, v103 :: v_dual_mul_f32 v25, v200, v105
	v_dual_mul_f32 v63, v199, v103 :: v_dual_mul_f32 v11, v201, v105
	v_dual_fma_f32 v65, v196, v100, -v77 :: v_dual_add_f32 v7, v7, v19
	v_dual_add_f32 v9, v9, v67 :: v_dual_fmac_f32 v23, v199, v102
	s_delay_alu instid0(VALU_DEP_3) | instskip(NEXT) | instid1(VALU_DEP_3)
	v_dual_mul_f32 v19, v209, v113 :: v_dual_fma_f32 v63, v198, v102, -v63
	v_dual_add_f32 v7, v7, v21 :: v_dual_fmac_f32 v25, v201, v104
	s_wait_loadcnt_dscnt 0xc06
	s_delay_alu instid0(VALU_DEP_3) | instskip(SKIP_1) | instid1(VALU_DEP_3)
	v_dual_add_f32 v9, v9, v65 :: v_dual_mul_f32 v21, v211, v115
	v_dual_mul_f32 v27, v202, v107 :: v_dual_mul_f32 v29, v204, v109
	v_dual_fma_f32 v11, v200, v104, -v11 :: v_dual_add_f32 v7, v7, v23
	s_delay_alu instid0(VALU_DEP_2) | instskip(SKIP_1) | instid1(VALU_DEP_2)
	v_dual_add_f32 v9, v9, v63 :: v_dual_fmac_f32 v27, v203, v106
	v_dual_mul_f32 v23, v213, v117 :: v_dual_fma_f32 v13, v202, v106, -v13
	v_dual_add_f32 v7, v7, v25 :: v_dual_add_f32 v9, v9, v11
	v_dual_mul_f32 v31, v206, v111 :: v_dual_mul_f32 v33, v208, v113
	s_wait_loadcnt_dscnt 0xb05
	v_dual_mul_f32 v11, v215, v119 :: v_dual_fmac_f32 v29, v205, v108
	s_delay_alu instid0(VALU_DEP_3) | instskip(NEXT) | instid1(VALU_DEP_3)
	v_dual_fma_f32 v15, v204, v108, -v15 :: v_dual_add_f32 v7, v7, v27
	v_dual_add_f32 v9, v9, v13 :: v_dual_fmac_f32 v31, v207, v110
	v_dual_mul_f32 v13, v217, v121 :: v_dual_fma_f32 v17, v206, v110, -v17
	s_delay_alu instid0(VALU_DEP_2) | instskip(SKIP_3) | instid1(VALU_DEP_3)
	v_dual_add_f32 v7, v7, v29 :: v_dual_add_f32 v9, v9, v15
	v_dual_mul_f32 v35, v210, v115 :: v_dual_mul_f32 v37, v212, v117
	s_wait_loadcnt_dscnt 0xa04
	v_dual_mul_f32 v15, v219, v123 :: v_dual_fmac_f32 v33, v209, v112
	v_dual_fma_f32 v19, v208, v112, -v19 :: v_dual_add_f32 v7, v7, v31
	s_delay_alu instid0(VALU_DEP_3) | instskip(SKIP_1) | instid1(VALU_DEP_2)
	v_dual_add_f32 v9, v9, v17 :: v_dual_fmac_f32 v35, v211, v114
	v_dual_mul_f32 v17, v221, v125 :: v_dual_fma_f32 v21, v210, v114, -v21
	v_dual_add_f32 v7, v7, v33 :: v_dual_add_f32 v9, v9, v19
	v_dual_mul_f32 v39, v214, v119 :: v_dual_mul_f32 v41, v216, v121
	s_wait_loadcnt_dscnt 0x903
	v_dual_mul_f32 v19, v223, v127 :: v_dual_fmac_f32 v37, v213, v116
	s_delay_alu instid0(VALU_DEP_3) | instskip(NEXT) | instid1(VALU_DEP_3)
	v_dual_fma_f32 v23, v212, v116, -v23 :: v_dual_add_f32 v7, v7, v35
	v_dual_add_f32 v9, v9, v21 :: v_dual_fmac_f32 v39, v215, v118
	v_dual_mul_f32 v21, v225, v129 :: v_dual_fma_f32 v11, v214, v118, -v11
	s_delay_alu instid0(VALU_DEP_2) | instskip(SKIP_3) | instid1(VALU_DEP_3)
	v_dual_add_f32 v7, v7, v37 :: v_dual_add_f32 v9, v9, v23
	v_dual_mul_f32 v43, v218, v123 :: v_dual_mul_f32 v45, v220, v125
	s_wait_loadcnt_dscnt 0x802
	v_dual_mul_f32 v23, v227, v131 :: v_dual_fmac_f32 v41, v217, v120
	v_dual_fma_f32 v13, v216, v120, -v13 :: v_dual_add_f32 v7, v7, v39
	s_delay_alu instid0(VALU_DEP_3) | instskip(SKIP_1) | instid1(VALU_DEP_3)
	v_dual_add_f32 v9, v9, v11 :: v_dual_fmac_f32 v43, v219, v122
	v_dual_mul_f32 v11, v229, v133 :: v_dual_fma_f32 v15, v218, v122, -v15
	v_dual_add_f32 v7, v7, v41 :: v_dual_fmac_f32 v45, v221, v124
	s_wait_loadcnt_dscnt 0x701
	s_delay_alu instid0(VALU_DEP_3) | instskip(SKIP_1) | instid1(VALU_DEP_3)
	v_dual_add_f32 v9, v9, v13 :: v_dual_mul_f32 v13, v231, v135
	v_dual_mul_f32 v47, v222, v127 :: v_dual_mul_f32 v49, v224, v129
	v_dual_fma_f32 v17, v220, v124, -v17 :: v_dual_add_f32 v7, v7, v43
	s_delay_alu instid0(VALU_DEP_2) | instskip(SKIP_1) | instid1(VALU_DEP_3)
	v_dual_add_f32 v9, v9, v15 :: v_dual_fmac_f32 v47, v223, v126
	v_dual_mul_f32 v15, v233, v137 :: v_dual_fma_f32 v19, v222, v126, -v19
	v_dual_add_f32 v7, v7, v45 :: v_dual_fmac_f32 v49, v225, v128
	s_wait_loadcnt_dscnt 0x600
	s_delay_alu instid0(VALU_DEP_3) | instskip(SKIP_1) | instid1(VALU_DEP_3)
	v_dual_add_f32 v9, v9, v17 :: v_dual_mul_f32 v17, v235, v139
	v_dual_mul_f32 v51, v226, v131 :: v_dual_mul_f32 v53, v228, v133
	v_dual_fma_f32 v21, v224, v128, -v21 :: v_dual_add_f32 v7, v7, v47
	s_delay_alu instid0(VALU_DEP_2) | instskip(SKIP_1) | instid1(VALU_DEP_3)
	v_dual_add_f32 v9, v9, v19 :: v_dual_fmac_f32 v51, v227, v130
	v_dual_mul_f32 v19, v237, v141 :: v_dual_fma_f32 v23, v226, v130, -v23
	v_dual_add_f32 v7, v7, v49 :: v_dual_fmac_f32 v53, v229, v132
	s_wait_loadcnt 0x5
	s_delay_alu instid0(VALU_DEP_3) | instskip(SKIP_1) | instid1(VALU_DEP_3)
	v_dual_add_f32 v9, v9, v21 :: v_dual_mul_f32 v21, v171, v143
	v_dual_mul_f32 v55, v230, v135 :: v_dual_mul_f32 v57, v232, v137
	v_dual_fma_f32 v11, v228, v132, -v11 :: v_dual_add_f32 v7, v7, v51
	s_delay_alu instid0(VALU_DEP_2) | instskip(SKIP_1) | instid1(VALU_DEP_2)
	v_dual_add_f32 v9, v9, v23 :: v_dual_fmac_f32 v55, v231, v134
	v_dual_mul_f32 v23, v173, v145 :: v_dual_fma_f32 v13, v230, v134, -v13
	v_dual_add_f32 v7, v7, v53 :: v_dual_add_f32 v9, v9, v11
	v_dual_mul_f32 v59, v234, v139 :: v_dual_mul_f32 v61, v236, v141
	v_dual_fmac_f32 v57, v233, v136 :: v_dual_fma_f32 v11, v232, v136, -v15
	s_delay_alu instid0(VALU_DEP_3) | instskip(SKIP_1) | instid1(VALU_DEP_3)
	v_dual_add_f32 v7, v7, v55 :: v_dual_add_f32 v9, v9, v13
	s_wait_loadcnt 0x4
	v_dual_mov_b32 v88, v149 :: v_dual_fmac_f32 v59, v235, v138
	s_delay_alu instid0(VALU_DEP_2) | instskip(NEXT) | instid1(VALU_DEP_3)
	v_dual_fma_f32 v13, v234, v138, -v17 :: v_dual_add_f32 v7, v7, v57
	v_dual_add_f32 v9, v9, v11 :: v_dual_fma_f32 v11, v236, v140, -v19
	v_dual_mul_f32 v249, v170, v143 :: v_dual_mul_f32 v251, v172, v145
	s_delay_alu instid0(VALU_DEP_3) | instskip(NEXT) | instid1(VALU_DEP_2)
	v_dual_fmac_f32 v61, v237, v140 :: v_dual_add_f32 v7, v7, v59
	v_dual_add_f32 v9, v9, v13 :: v_dual_fmac_f32 v249, v171, v142
	v_pk_mul_f32 v[86:87], v[162:163], v[146:147] op_sel:[1,1] op_sel_hi:[0,1]
	s_wait_loadcnt 0x3
	v_dual_mov_b32 v92, v153 :: v_dual_fma_f32 v248, v170, v142, -v21
	s_delay_alu instid0(VALU_DEP_3)
	v_dual_add_f32 v95, v7, v61 :: v_dual_add_f32 v94, v9, v11
	v_fmac_f32_e32 v251, v173, v144
	v_pk_fma_f32 v[96:97], v[162:163], v[146:147], v[86:87] op_sel_hi:[1,0,1]
	v_fma_f32 v250, v172, v144, -v23
	v_pk_mul_f32 v[88:89], v[240:241], v[88:89] op_sel_hi:[1,0]
	v_pk_add_f32 v[94:95], v[94:95], v[248:249]
	v_pk_fma_f32 v[86:87], v[162:163], v[146:147], v[86:87] neg_lo:[0,0,1] neg_hi:[0,0,1]
	v_pk_mul_f32 v[90:91], v[166:167], v[150:151] op_sel:[1,1] op_sel_hi:[0,1]
	v_mov_b32_e32 v87, v97
	v_pk_fma_f32 v[96:97], v[164:165], v[148:149], v[88:89] op_sel_hi:[1,0,1]
	v_pk_add_f32 v[94:95], v[94:95], v[250:251]
	v_pk_fma_f32 v[88:89], v[164:165], v[148:149], v[88:89] neg_lo:[0,0,1] neg_hi:[0,0,1]
	v_pk_fma_f32 v[100:101], v[166:167], v[150:151], v[90:91] op_sel_hi:[1,0,1]
	v_pk_mul_f32 v[92:93], v[242:243], v[92:93] op_sel_hi:[1,0]
	v_mov_b32_e32 v89, v97
	v_pk_add_f32 v[86:87], v[94:95], v[86:87]
	s_wait_loadcnt 0x2
	v_pk_mul_f32 v[98:99], v[174:175], v[154:155] op_sel:[1,1] op_sel_hi:[0,1]
	v_mov_b32_e32 v94, v157
	v_pk_fma_f32 v[90:91], v[166:167], v[150:151], v[90:91] neg_lo:[0,0,1] neg_hi:[0,0,1]
	v_pk_fma_f32 v[96:97], v[168:169], v[152:153], v[92:93] op_sel_hi:[1,0,1]
	v_mov_b32_e32 v91, v101
	v_pk_add_f32 v[86:87], v[86:87], v[88:89]
	v_pk_fma_f32 v[88:89], v[174:175], v[154:155], v[98:99] op_sel_hi:[1,0,1]
	v_pk_mul_f32 v[94:95], v[244:245], v[94:95] op_sel_hi:[1,0]
	v_pk_fma_f32 v[92:93], v[168:169], v[152:153], v[92:93] neg_lo:[0,0,1] neg_hi:[0,0,1]
	v_mov_b32_e32 v93, v97
	v_pk_add_f32 v[86:87], v[86:87], v[90:91]
	v_pk_fma_f32 v[96:97], v[174:175], v[154:155], v[98:99] neg_lo:[0,0,1] neg_hi:[0,0,1]
	v_mov_b32_e32 v97, v89
	v_pk_fma_f32 v[88:89], v[176:177], v[156:157], v[94:95] op_sel_hi:[1,0,1]
	s_wait_loadcnt 0x1
	v_pk_mul_f32 v[90:91], v[178:179], v[158:159] op_sel:[1,1] op_sel_hi:[0,1]
	v_pk_add_f32 v[86:87], v[86:87], v[92:93]
	v_mov_b32_e32 v88, v161
	v_pk_fma_f32 v[94:95], v[176:177], v[156:157], v[94:95] neg_lo:[0,0,1] neg_hi:[0,0,1]
	s_delay_alu instid0(VALU_DEP_4)
	v_pk_fma_f32 v[92:93], v[178:179], v[158:159], v[90:91] op_sel_hi:[1,0,1]
	v_mov_b32_e32 v95, v89
	v_pk_add_f32 v[86:87], v[86:87], v[96:97]
	v_pk_mul_f32 v[88:89], v[246:247], v[88:89] op_sel_hi:[1,0]
	v_pk_fma_f32 v[90:91], v[178:179], v[158:159], v[90:91] neg_lo:[0,0,1] neg_hi:[0,0,1]
	v_mov_b32_e32 v91, v93
	s_delay_alu instid0(VALU_DEP_4) | instskip(NEXT) | instid1(VALU_DEP_4)
	v_pk_add_f32 v[86:87], v[86:87], v[94:95]
	v_pk_fma_f32 v[92:93], v[180:181], v[160:161], v[88:89] op_sel_hi:[1,0,1]
	v_pk_fma_f32 v[88:89], v[180:181], v[160:161], v[88:89] neg_lo:[0,0,1] neg_hi:[0,0,1]
	s_delay_alu instid0(VALU_DEP_3) | instskip(NEXT) | instid1(VALU_DEP_3)
	v_pk_add_f32 v[86:87], v[86:87], v[90:91]
	v_mov_b32_e32 v89, v93
	s_delay_alu instid0(VALU_DEP_1) | instskip(SKIP_1) | instid1(VALU_DEP_1)
	v_pk_add_f32 v[86:87], v[86:87], v[88:89]
	s_wait_loadcnt 0x0
	v_pk_add_f32 v[86:87], v[238:239], v[86:87] neg_lo:[0,1] neg_hi:[0,1]
	scratch_store_b64 off, v[86:87], off offset:24
	s_wait_xcnt 0x0
	v_cmpx_lt_u32_e32 2, v0
	s_cbranch_execz .LBB105_261
; %bb.260:
	scratch_load_b64 v[86:87], off, off offset:16
	v_mov_b64_e32 v[88:89], 0
	scratch_store_b64 off, v[88:89], off offset:16
	s_wait_loadcnt 0x0
	ds_store_b64 v1, v[86:87]
.LBB105_261:
	s_wait_xcnt 0x0
	s_or_b32 exec_lo, exec_lo, s0
	s_wait_storecnt_dscnt 0x0
	s_barrier_signal -1
	s_barrier_wait -1
	s_clause 0x14
	scratch_load_b128 v[86:89], off, off offset:24
	scratch_load_b128 v[90:93], off, off offset:40
	;; [unrolled: 1-line block ×19, first 2 shown]
	scratch_load_b64 v[238:239], off, off offset:328
	scratch_load_b64 v[240:241], off, off offset:16
	v_mov_b32_e32 v65, 0
	ds_load_2addr_b64 v[162:165], v65 offset0:75 offset1:76
	ds_load_2addr_b64 v[166:169], v65 offset0:73 offset1:74
	;; [unrolled: 1-line block ×19, first 2 shown]
	ds_load_b64 v[242:243], v65 offset:664
	s_wait_dscnt 0x13
	v_dual_mov_b32 v244, v165 :: v_dual_mov_b32 v245, v164
	s_wait_dscnt 0x11
	v_dual_mov_b32 v246, v173 :: v_dual_mov_b32 v247, v172
	s_wait_dscnt 0x10
	v_dual_mov_b32 v248, v177 :: v_dual_mov_b32 v249, v176
	s_wait_dscnt 0xd
	v_dual_mov_b32 v250, v189 :: v_dual_mov_b32 v251, v188
	s_mov_b32 s0, exec_lo
	s_wait_loadcnt 0x14
	v_dual_mul_f32 v7, v178, v87 :: v_dual_mul_f32 v67, v179, v87
	v_dual_mul_f32 v69, v181, v89 :: v_dual_mul_f32 v9, v180, v89
	s_wait_loadcnt 0x13
	v_mul_f32_e32 v11, v182, v91
	s_wait_loadcnt_dscnt 0x110b
	v_dual_mul_f32 v79, v195, v99 :: v_dual_fma_f32 v67, v178, v86, -v67
	v_dual_fmac_f32 v7, v179, v86 :: v_dual_mul_f32 v81, v197, v101
	v_dual_mul_f32 v71, v183, v91 :: v_dual_mul_f32 v73, v185, v93
	s_delay_alu instid0(VALU_DEP_2) | instskip(NEXT) | instid1(VALU_DEP_4)
	v_dual_fmac_f32 v9, v181, v88 :: v_dual_add_f32 v7, 0, v7
	v_dual_fma_f32 v69, v180, v88, -v69 :: v_dual_add_f32 v67, 0, v67
	v_dual_mul_f32 v13, v184, v93 :: v_dual_mul_f32 v15, v190, v95
	s_wait_loadcnt_dscnt 0x100a
	v_dual_mul_f32 v83, v199, v103 :: v_dual_fma_f32 v71, v182, v90, -v71
	v_fmac_f32_e32 v11, v183, v90
	s_delay_alu instid0(VALU_DEP_3) | instskip(SKIP_2) | instid1(VALU_DEP_3)
	v_dual_add_f32 v7, v7, v9 :: v_dual_fmac_f32 v13, v185, v92
	v_dual_add_f32 v9, v67, v69 :: v_dual_fma_f32 v69, v184, v92, -v73
	v_dual_mul_f32 v75, v191, v95 :: v_dual_mul_f32 v77, v193, v97
	v_dual_mul_f32 v67, v201, v105 :: v_dual_add_f32 v7, v7, v11
	s_delay_alu instid0(VALU_DEP_3) | instskip(SKIP_2) | instid1(VALU_DEP_2)
	v_dual_add_f32 v9, v9, v71 :: v_dual_fmac_f32 v15, v191, v94
	v_dual_mul_f32 v17, v192, v97 :: v_dual_mul_f32 v19, v194, v99
	s_wait_loadcnt_dscnt 0xf09
	v_dual_mul_f32 v11, v203, v107 :: v_dual_add_f32 v9, v9, v69
	v_dual_fma_f32 v71, v190, v94, -v75 :: v_dual_add_f32 v7, v7, v13
	s_delay_alu instid0(VALU_DEP_3) | instskip(SKIP_1) | instid1(VALU_DEP_3)
	v_fmac_f32_e32 v17, v193, v96
	v_dual_mul_f32 v13, v205, v109 :: v_dual_fma_f32 v69, v192, v96, -v77
	v_dual_add_f32 v9, v9, v71 :: v_dual_fmac_f32 v19, v195, v98
	s_delay_alu instid0(VALU_DEP_4) | instskip(SKIP_2) | instid1(VALU_DEP_3)
	v_dual_add_f32 v7, v7, v15 :: v_dual_fma_f32 v71, v194, v98, -v79
	v_dual_mul_f32 v21, v196, v101 :: v_dual_mul_f32 v23, v198, v103
	s_wait_loadcnt_dscnt 0xe08
	v_dual_mul_f32 v15, v207, v111 :: v_dual_add_f32 v9, v9, v69
	s_delay_alu instid0(VALU_DEP_2) | instskip(SKIP_1) | instid1(VALU_DEP_3)
	v_dual_add_f32 v7, v7, v17 :: v_dual_fmac_f32 v21, v197, v100
	v_dual_mul_f32 v17, v209, v113 :: v_dual_fma_f32 v69, v196, v100, -v81
	v_dual_add_f32 v9, v9, v71 :: v_dual_fmac_f32 v23, v199, v102
	s_delay_alu instid0(VALU_DEP_3) | instskip(SKIP_2) | instid1(VALU_DEP_3)
	v_dual_add_f32 v7, v7, v19 :: v_dual_fma_f32 v71, v198, v102, -v83
	v_dual_mul_f32 v25, v200, v105 :: v_dual_mul_f32 v27, v202, v107
	s_wait_loadcnt_dscnt 0xd07
	v_dual_mul_f32 v19, v211, v115 :: v_dual_add_f32 v9, v9, v69
	s_delay_alu instid0(VALU_DEP_2) | instskip(SKIP_1) | instid1(VALU_DEP_3)
	v_dual_add_f32 v7, v7, v21 :: v_dual_fmac_f32 v25, v201, v104
	v_dual_mul_f32 v21, v213, v117 :: v_dual_fma_f32 v67, v200, v104, -v67
	v_dual_add_f32 v9, v9, v71 :: v_dual_fmac_f32 v27, v203, v106
	s_delay_alu instid0(VALU_DEP_3) | instskip(SKIP_1) | instid1(VALU_DEP_2)
	v_dual_add_f32 v7, v7, v23 :: v_dual_fma_f32 v11, v202, v106, -v11
	v_dual_mul_f32 v29, v204, v109 :: v_dual_mul_f32 v31, v206, v111
	v_dual_add_f32 v9, v9, v67 :: v_dual_add_f32 v7, v7, v25
	v_fma_f32 v13, v204, v108, -v13
	s_delay_alu instid0(VALU_DEP_3) | instskip(SKIP_1) | instid1(VALU_DEP_4)
	v_dual_fmac_f32 v29, v205, v108 :: v_dual_mul_f32 v33, v208, v113
	v_mul_f32_e32 v35, v210, v115
	v_add_f32_e32 v7, v7, v27
	v_add_f32_e32 v9, v9, v11
	s_wait_loadcnt_dscnt 0xb05
	v_dual_mul_f32 v11, v219, v123 :: v_dual_fma_f32 v15, v206, v110, -v15
	v_fmac_f32_e32 v31, v207, v110
	v_dual_add_f32 v7, v7, v29 :: v_dual_fmac_f32 v33, v209, v112
	v_add_f32_e32 v9, v9, v13
	v_dual_mul_f32 v13, v221, v125 :: v_dual_fma_f32 v17, v208, v112, -v17
	s_delay_alu instid0(VALU_DEP_3) | instskip(NEXT) | instid1(VALU_DEP_3)
	v_dual_add_f32 v7, v7, v31 :: v_dual_fma_f32 v19, v210, v114, -v19
	v_dual_add_f32 v9, v9, v15 :: v_dual_fmac_f32 v35, v211, v114
	v_dual_mul_f32 v37, v212, v117 :: v_dual_mul_f32 v39, v214, v119
	s_wait_loadcnt_dscnt 0xa04
	s_delay_alu instid0(VALU_DEP_2) | instskip(NEXT) | instid1(VALU_DEP_2)
	v_dual_mul_f32 v15, v223, v127 :: v_dual_add_f32 v9, v9, v17
	v_dual_add_f32 v7, v7, v33 :: v_dual_fmac_f32 v37, v213, v116
	v_dual_mul_f32 v23, v215, v119 :: v_dual_mul_f32 v25, v217, v121
	v_dual_mul_f32 v17, v225, v129 :: v_dual_fma_f32 v21, v212, v116, -v21
	s_delay_alu instid0(VALU_DEP_2) | instskip(SKIP_3) | instid1(VALU_DEP_2)
	v_dual_add_f32 v7, v7, v35 :: v_dual_fma_f32 v23, v214, v118, -v23
	v_dual_add_f32 v9, v9, v19 :: v_dual_fmac_f32 v39, v215, v118
	v_dual_mul_f32 v41, v216, v121 :: v_dual_mul_f32 v43, v218, v123
	s_wait_loadcnt_dscnt 0x903
	v_dual_mul_f32 v19, v227, v131 :: v_dual_add_f32 v9, v9, v21
	s_delay_alu instid0(VALU_DEP_2) | instskip(SKIP_1) | instid1(VALU_DEP_3)
	v_dual_add_f32 v7, v7, v37 :: v_dual_fmac_f32 v41, v217, v120
	v_dual_mul_f32 v21, v229, v133 :: v_dual_fma_f32 v25, v216, v120, -v25
	v_dual_add_f32 v9, v9, v23 :: v_dual_fmac_f32 v43, v219, v122
	s_delay_alu instid0(VALU_DEP_3) | instskip(SKIP_2) | instid1(VALU_DEP_3)
	v_dual_add_f32 v7, v7, v39 :: v_dual_fma_f32 v11, v218, v122, -v11
	v_dual_mul_f32 v45, v220, v125 :: v_dual_mul_f32 v47, v222, v127
	s_wait_loadcnt_dscnt 0x802
	v_dual_mul_f32 v23, v231, v135 :: v_dual_add_f32 v9, v9, v25
	s_delay_alu instid0(VALU_DEP_2) | instskip(SKIP_1) | instid1(VALU_DEP_3)
	v_dual_add_f32 v7, v7, v41 :: v_dual_fmac_f32 v45, v221, v124
	v_dual_mul_f32 v25, v233, v137 :: v_dual_fma_f32 v13, v220, v124, -v13
	v_dual_add_f32 v9, v9, v11 :: v_dual_fmac_f32 v47, v223, v126
	s_delay_alu instid0(VALU_DEP_3) | instskip(SKIP_2) | instid1(VALU_DEP_3)
	v_dual_add_f32 v7, v7, v43 :: v_dual_fma_f32 v15, v222, v126, -v15
	;; [unrolled: 9-line block ×3, first 2 shown]
	v_dual_mul_f32 v53, v228, v133 :: v_dual_mul_f32 v55, v230, v135
	s_wait_loadcnt 0x6
	v_dual_mul_f32 v15, v167, v143 :: v_dual_add_f32 v9, v9, v17
	s_delay_alu instid0(VALU_DEP_2) | instskip(SKIP_1) | instid1(VALU_DEP_3)
	v_dual_add_f32 v7, v7, v49 :: v_dual_fmac_f32 v53, v229, v132
	v_dual_mul_f32 v17, v169, v145 :: v_dual_fma_f32 v21, v228, v132, -v21
	v_dual_add_f32 v9, v9, v19 :: v_dual_fmac_f32 v55, v231, v134
	s_delay_alu instid0(VALU_DEP_3) | instskip(SKIP_2) | instid1(VALU_DEP_3)
	v_dual_add_f32 v7, v7, v51 :: v_dual_fma_f32 v23, v230, v134, -v23
	v_dual_mul_f32 v57, v232, v137 :: v_dual_mul_f32 v59, v234, v139
	s_wait_loadcnt 0x5
	v_dual_mul_f32 v19, v163, v147 :: v_dual_add_f32 v9, v9, v21
	s_delay_alu instid0(VALU_DEP_3) | instskip(NEXT) | instid1(VALU_DEP_3)
	v_dual_add_f32 v7, v7, v53 :: v_dual_mov_b32 v86, v149
	v_fmac_f32_e32 v57, v233, v136
	s_delay_alu instid0(VALU_DEP_3) | instskip(NEXT) | instid1(VALU_DEP_3)
	v_dual_fma_f32 v21, v232, v136, -v25 :: v_dual_add_f32 v9, v9, v23
	v_dual_add_f32 v7, v7, v55 :: v_dual_mul_f32 v61, v236, v141
	v_dual_mul_f32 v63, v166, v143 :: v_dual_fmac_f32 v59, v235, v138
	s_delay_alu instid0(VALU_DEP_3) | instskip(SKIP_1) | instid1(VALU_DEP_3)
	v_dual_add_f32 v9, v9, v21 :: v_dual_fma_f32 v11, v234, v138, -v11
	s_wait_loadcnt 0x4
	v_dual_add_f32 v7, v7, v57 :: v_dual_mov_b32 v90, v153
	v_fma_f32 v13, v236, v140, -v13
	v_fmac_f32_e32 v61, v237, v140
	v_dual_add_f32 v9, v9, v11 :: v_dual_fmac_f32 v63, v167, v142
	s_delay_alu instid0(VALU_DEP_4) | instskip(SKIP_1) | instid1(VALU_DEP_3)
	v_dual_add_f32 v7, v7, v59 :: v_dual_mul_f32 v253, v168, v145
	v_mul_f32_e32 v255, v162, v147
	v_dual_fma_f32 v11, v166, v142, -v15 :: v_dual_add_f32 v9, v9, v13
	s_delay_alu instid0(VALU_DEP_3) | instskip(NEXT) | instid1(VALU_DEP_4)
	v_dual_fma_f32 v252, v168, v144, -v17 :: v_dual_add_f32 v7, v7, v61
	v_fmac_f32_e32 v253, v169, v144
	v_pk_mul_f32 v[86:87], v[244:245], v[86:87] op_sel_hi:[1,0]
	s_delay_alu instid0(VALU_DEP_4) | instskip(NEXT) | instid1(VALU_DEP_4)
	v_dual_add_f32 v94, v9, v11 :: v_dual_fmac_f32 v255, v163, v146
	v_add_f32_e32 v95, v7, v63
	v_pk_mul_f32 v[88:89], v[170:171], v[150:151] op_sel:[1,1] op_sel_hi:[0,1]
	s_wait_loadcnt 0x3
	v_dual_mov_b32 v96, v157 :: v_dual_fma_f32 v254, v162, v146, -v19
	v_pk_fma_f32 v[98:99], v[164:165], v[148:149], v[86:87] op_sel_hi:[1,0,1]
	v_pk_add_f32 v[94:95], v[94:95], v[252:253]
	v_pk_fma_f32 v[86:87], v[164:165], v[148:149], v[86:87] neg_lo:[0,0,1] neg_hi:[0,0,1]
	v_pk_fma_f32 v[100:101], v[170:171], v[150:151], v[88:89] op_sel_hi:[1,0,1]
	v_pk_mul_f32 v[90:91], v[246:247], v[90:91] op_sel_hi:[1,0]
	v_mov_b32_e32 v87, v99
	v_pk_add_f32 v[94:95], v[94:95], v[254:255]
	v_pk_fma_f32 v[88:89], v[170:171], v[150:151], v[88:89] neg_lo:[0,0,1] neg_hi:[0,0,1]
	v_pk_mul_f32 v[92:93], v[174:175], v[154:155] op_sel:[1,1] op_sel_hi:[0,1]
	v_mov_b32_e32 v89, v101
	v_pk_fma_f32 v[100:101], v[172:173], v[152:153], v[90:91] op_sel_hi:[1,0,1]
	v_pk_add_f32 v[86:87], v[94:95], v[86:87]
	v_pk_fma_f32 v[90:91], v[172:173], v[152:153], v[90:91] neg_lo:[0,0,1] neg_hi:[0,0,1]
	v_pk_fma_f32 v[94:95], v[174:175], v[154:155], v[92:93] op_sel_hi:[1,0,1]
	v_pk_mul_f32 v[96:97], v[248:249], v[96:97] op_sel_hi:[1,0]
	v_mov_b32_e32 v91, v101
	v_pk_add_f32 v[86:87], v[86:87], v[88:89]
	v_pk_fma_f32 v[92:93], v[174:175], v[154:155], v[92:93] neg_lo:[0,0,1] neg_hi:[0,0,1]
	s_wait_loadcnt 0x2
	v_pk_mul_f32 v[98:99], v[186:187], v[158:159] op_sel:[1,1] op_sel_hi:[0,1]
	v_dual_mov_b32 v88, v161 :: v_dual_mov_b32 v93, v95
	v_pk_fma_f32 v[94:95], v[176:177], v[156:157], v[96:97] op_sel_hi:[1,0,1]
	v_pk_add_f32 v[86:87], v[86:87], v[90:91]
	v_pk_fma_f32 v[96:97], v[176:177], v[156:157], v[96:97] neg_lo:[0,0,1] neg_hi:[0,0,1]
	v_pk_fma_f32 v[90:91], v[186:187], v[158:159], v[98:99] op_sel_hi:[1,0,1]
	v_pk_mul_f32 v[88:89], v[250:251], v[88:89] op_sel_hi:[1,0]
	v_mov_b32_e32 v97, v95
	v_pk_add_f32 v[86:87], v[86:87], v[92:93]
	v_pk_fma_f32 v[92:93], v[186:187], v[158:159], v[98:99] neg_lo:[0,0,1] neg_hi:[0,0,1]
	v_mov_b32_e32 v93, v91
	v_pk_fma_f32 v[90:91], v[188:189], v[160:161], v[88:89] op_sel_hi:[1,0,1]
	s_wait_loadcnt_dscnt 0x100
	v_pk_mul_f32 v[94:95], v[242:243], v[238:239] op_sel:[1,1] op_sel_hi:[0,1]
	v_pk_add_f32 v[86:87], v[86:87], v[96:97]
	v_pk_fma_f32 v[88:89], v[188:189], v[160:161], v[88:89] neg_lo:[0,0,1] neg_hi:[0,0,1]
	v_mov_b32_e32 v89, v91
	s_delay_alu instid0(VALU_DEP_4) | instskip(NEXT) | instid1(VALU_DEP_4)
	v_pk_fma_f32 v[90:91], v[242:243], v[238:239], v[94:95] op_sel_hi:[1,0,1]
	v_pk_add_f32 v[86:87], v[86:87], v[92:93]
	v_pk_fma_f32 v[92:93], v[242:243], v[238:239], v[94:95] neg_lo:[0,0,1] neg_hi:[0,0,1]
	s_delay_alu instid0(VALU_DEP_3) | instskip(NEXT) | instid1(VALU_DEP_3)
	v_mov_b32_e32 v93, v91
	v_pk_add_f32 v[86:87], v[86:87], v[88:89]
	s_delay_alu instid0(VALU_DEP_1) | instskip(SKIP_1) | instid1(VALU_DEP_1)
	v_pk_add_f32 v[86:87], v[86:87], v[92:93]
	s_wait_loadcnt 0x0
	v_pk_add_f32 v[86:87], v[240:241], v[86:87] neg_lo:[0,1] neg_hi:[0,1]
	scratch_store_b64 off, v[86:87], off offset:16
	s_wait_xcnt 0x0
	v_cmpx_lt_u32_e32 1, v0
	s_cbranch_execz .LBB105_263
; %bb.262:
	scratch_load_b64 v[86:87], off, off offset:8
	v_mov_b64_e32 v[88:89], 0
	scratch_store_b64 off, v[88:89], off offset:8
	s_wait_loadcnt 0x0
	ds_store_b64 v1, v[86:87]
.LBB105_263:
	s_wait_xcnt 0x0
	s_or_b32 exec_lo, exec_lo, s0
	s_wait_storecnt_dscnt 0x0
	s_barrier_signal -1
	s_barrier_wait -1
	s_clause 0x14
	scratch_load_b128 v[86:89], off, off offset:16
	scratch_load_b128 v[90:93], off, off offset:32
	;; [unrolled: 1-line block ×20, first 2 shown]
	scratch_load_b64 v[246:247], off, off offset:8
	ds_load_b128 v[166:169], v65 offset:608
	ds_load_b128 v[170:173], v65 offset:624
	;; [unrolled: 1-line block ×20, first 2 shown]
	s_wait_dscnt 0x13
	v_dual_mov_b32 v248, v169 :: v_dual_ashrrev_i32 v63, 31, v62
	s_wait_dscnt 0x12
	v_dual_mov_b32 v249, v168 :: v_dual_mov_b32 v250, v173
	v_dual_ashrrev_i32 v7, 31, v6 :: v_dual_ashrrev_i32 v9, 31, v8
	v_dual_ashrrev_i32 v11, 31, v10 :: v_dual_ashrrev_i32 v13, 31, v12
	;; [unrolled: 1-line block ×14, first 2 shown]
	s_mov_b32 s0, exec_lo
	s_wait_loadcnt_dscnt 0x1411
	v_dual_mul_f32 v65, v174, v87 :: v_dual_mul_f32 v67, v176, v89
	v_dual_mul_f32 v69, v175, v87 :: v_dual_mul_f32 v71, v177, v89
	s_delay_alu instid0(VALU_DEP_2) | instskip(NEXT) | instid1(VALU_DEP_2)
	v_dual_mov_b32 v251, v172 :: v_dual_fmac_f32 v65, v175, v86
	v_dual_fmac_f32 v67, v177, v88 :: v_dual_fma_f32 v69, v174, v86, -v69
	s_wait_dscnt 0x7
	s_delay_alu instid0(VALU_DEP_3)
	v_dual_fma_f32 v71, v176, v88, -v71 :: v_dual_mov_b32 v86, v217
	s_wait_loadcnt_dscnt 0x1306
	v_dual_mov_b32 v89, v220 :: v_dual_mul_f32 v73, v178, v91
	v_dual_mul_f32 v75, v180, v93 :: v_dual_mul_f32 v77, v179, v91
	s_wait_loadcnt 0x11
	v_dual_mul_f32 v83, v184, v97 :: v_dual_mul_f32 v85, v186, v99
	v_dual_add_f32 v65, 0, v65 :: v_dual_mul_f32 v99, v187, v99
	v_add_f32_e32 v69, 0, v69
	v_dual_mul_f32 v79, v181, v93 :: v_dual_mul_f32 v81, v182, v95
	v_dual_fmac_f32 v73, v179, v90 :: v_dual_fmac_f32 v75, v181, v92
	s_delay_alu instid0(VALU_DEP_2)
	v_dual_fma_f32 v77, v178, v90, -v77 :: v_dual_fma_f32 v79, v180, v92, -v79
	s_wait_loadcnt 0xc
	v_dual_add_f32 v65, v65, v67 :: v_dual_mul_f32 v178, v208, v121
	v_add_f32_e32 v69, v69, v71
	s_wait_loadcnt 0xb
	v_dual_mul_f32 v67, v189, v101 :: v_dual_mul_f32 v71, v210, v123
	v_dual_mul_f32 v174, v192, v105 :: v_dual_mul_f32 v91, v183, v95
	s_delay_alu instid0(VALU_DEP_2) | instskip(SKIP_4) | instid1(VALU_DEP_2)
	v_dual_add_f32 v65, v65, v73 :: v_dual_fma_f32 v67, v188, v100, -v67
	s_wait_loadcnt_dscnt 0xa05
	v_dual_mul_f32 v73, v222, v127 :: v_dual_add_f32 v69, v69, v77
	v_dual_mul_f32 v93, v185, v97 :: v_dual_mul_f32 v95, v194, v107
	v_dual_fmac_f32 v81, v183, v94 :: v_dual_fmac_f32 v83, v185, v96
	v_dual_fma_f32 v91, v182, v94, -v91 :: v_dual_fma_f32 v93, v184, v96, -v93
	s_wait_loadcnt_dscnt 0x904
	v_dual_add_f32 v65, v65, v75 :: v_dual_mul_f32 v75, v228, v133
	v_dual_add_f32 v69, v69, v79 :: v_dual_mul_f32 v90, v188, v101
	v_mul_f32_e32 v92, v190, v103
	s_wait_loadcnt_dscnt 0x803
	s_delay_alu instid0(VALU_DEP_3) | instskip(NEXT) | instid1(VALU_DEP_3)
	v_dual_mul_f32 v79, v230, v135 :: v_dual_add_f32 v65, v65, v81
	v_dual_mul_f32 v101, v232, v137 :: v_dual_add_f32 v69, v69, v91
	v_dual_fmac_f32 v85, v187, v98 :: v_dual_fmac_f32 v90, v189, v100
	v_dual_fma_f32 v98, v186, v98, -v99 :: v_dual_mul_f32 v99, v212, v125
	s_wait_loadcnt_dscnt 0x601
	v_dual_add_f32 v65, v65, v83 :: v_dual_mul_f32 v83, v240, v145
	v_dual_mul_f32 v180, v238, v143 :: v_dual_add_f32 v69, v69, v93
	s_wait_loadcnt_dscnt 0x500
	v_dual_mul_f32 v93, v244, v149 :: v_dual_mul_f32 v91, v242, v147
	s_delay_alu instid0(VALU_DEP_3) | instskip(NEXT) | instid1(VALU_DEP_3)
	v_dual_add_f32 v65, v65, v85 :: v_dual_mul_f32 v85, v191, v103
	v_add_f32_e32 v69, v69, v98
	v_dual_mul_f32 v98, v193, v105 :: v_dual_mul_f32 v103, v195, v107
	s_delay_alu instid0(VALU_DEP_3) | instskip(SKIP_1) | instid1(VALU_DEP_4)
	v_add_f32_e32 v65, v65, v90
	v_dual_mul_f32 v90, v197, v109 :: v_dual_fmac_f32 v92, v191, v102
	v_dual_add_f32 v67, v69, v67 :: v_dual_fma_f32 v85, v190, v102, -v85
	v_dual_mul_f32 v69, v199, v111 :: v_dual_fmac_f32 v174, v193, v104
	v_dual_fma_f32 v98, v192, v104, -v98 :: v_dual_mul_f32 v102, v201, v113
	s_delay_alu instid0(VALU_DEP_3)
	v_dual_add_f32 v65, v65, v92 :: v_dual_add_f32 v67, v67, v85
	v_dual_mul_f32 v94, v196, v109 :: v_dual_mul_f32 v96, v198, v111
	v_dual_mul_f32 v104, v203, v115 :: v_dual_mul_f32 v85, v205, v117
	v_fmac_f32_e32 v95, v195, v106
	v_fma_f32 v92, v194, v106, -v103
	v_dual_add_f32 v65, v65, v174 :: v_dual_fma_f32 v90, v196, v108, -v90
	v_dual_add_f32 v67, v67, v98 :: v_dual_fmac_f32 v94, v197, v108
	v_mul_f32_e32 v98, v207, v119
	s_delay_alu instid0(VALU_DEP_3) | instskip(NEXT) | instid1(VALU_DEP_3)
	v_dual_add_f32 v65, v65, v95 :: v_dual_mul_f32 v97, v200, v113
	v_dual_mul_f32 v175, v202, v115 :: v_dual_add_f32 v67, v67, v92
	v_dual_mul_f32 v92, v209, v121 :: v_dual_fmac_f32 v96, v199, v110
	v_fma_f32 v69, v198, v110, -v69
	s_delay_alu instid0(VALU_DEP_4) | instskip(NEXT) | instid1(VALU_DEP_4)
	v_dual_add_f32 v65, v65, v94 :: v_dual_fma_f32 v94, v200, v112, -v102
	v_dual_add_f32 v67, v67, v90 :: v_dual_fmac_f32 v97, v201, v112
	s_delay_alu instid0(VALU_DEP_2) | instskip(SKIP_1) | instid1(VALU_DEP_3)
	v_dual_mul_f32 v90, v211, v123 :: v_dual_add_f32 v65, v65, v96
	v_dual_mul_f32 v176, v204, v117 :: v_dual_mul_f32 v177, v206, v119
	v_add_f32_e32 v67, v67, v69
	v_dual_mul_f32 v69, v213, v125 :: v_dual_fmac_f32 v175, v203, v114
	s_delay_alu instid0(VALU_DEP_4) | instskip(NEXT) | instid1(VALU_DEP_3)
	v_dual_fma_f32 v95, v202, v114, -v104 :: v_dual_add_f32 v65, v65, v97
	v_dual_add_f32 v67, v67, v94 :: v_dual_fmac_f32 v176, v205, v116
	v_dual_mul_f32 v94, v223, v127 :: v_dual_fma_f32 v85, v204, v116, -v85
	s_delay_alu instid0(VALU_DEP_3) | instskip(NEXT) | instid1(VALU_DEP_3)
	v_dual_add_f32 v65, v65, v175 :: v_dual_fmac_f32 v177, v207, v118
	v_dual_add_f32 v67, v67, v95 :: v_dual_mul_f32 v95, v225, v129
	s_delay_alu instid0(VALU_DEP_2) | instskip(NEXT) | instid1(VALU_DEP_2)
	v_dual_fma_f32 v96, v206, v118, -v98 :: v_dual_add_f32 v65, v65, v176
	v_dual_fmac_f32 v178, v209, v120 :: v_dual_add_f32 v67, v67, v85
	v_dual_mul_f32 v85, v227, v131 :: v_dual_fma_f32 v92, v208, v120, -v92
	s_delay_alu instid0(VALU_DEP_3) | instskip(NEXT) | instid1(VALU_DEP_3)
	v_dual_add_f32 v65, v65, v177 :: v_dual_fmac_f32 v71, v211, v122
	v_dual_add_f32 v67, v67, v96 :: v_dual_mul_f32 v96, v229, v133
	v_fma_f32 v90, v210, v122, -v90
	s_delay_alu instid0(VALU_DEP_3) | instskip(SKIP_1) | instid1(VALU_DEP_4)
	v_add_f32_e32 v65, v65, v178
	v_dual_fmac_f32 v99, v213, v124 :: v_dual_fma_f32 v69, v212, v124, -v69
	v_add_f32_e32 v67, v67, v92
	v_mul_f32_e32 v92, v231, v135
	s_delay_alu instid0(VALU_DEP_4) | instskip(NEXT) | instid1(VALU_DEP_3)
	v_dual_add_f32 v65, v65, v71 :: v_dual_mul_f32 v77, v224, v129
	v_dual_mul_f32 v100, v226, v131 :: v_dual_add_f32 v67, v67, v90
	v_dual_mul_f32 v71, v233, v137 :: v_dual_fmac_f32 v73, v223, v126
	s_delay_alu instid0(VALU_DEP_3) | instskip(NEXT) | instid1(VALU_DEP_3)
	v_dual_fma_f32 v90, v222, v126, -v94 :: v_dual_add_f32 v65, v65, v99
	v_dual_add_f32 v67, v67, v69 :: v_dual_fmac_f32 v77, v225, v128
	v_dual_mul_f32 v69, v235, v139 :: v_dual_fma_f32 v94, v224, v128, -v95
	s_delay_alu instid0(VALU_DEP_2) | instskip(SKIP_1) | instid1(VALU_DEP_2)
	v_dual_add_f32 v65, v65, v73 :: v_dual_add_f32 v67, v67, v90
	v_dual_mul_f32 v73, v237, v141 :: v_dual_fmac_f32 v100, v227, v130
	v_dual_fma_f32 v85, v226, v130, -v85 :: v_dual_add_f32 v65, v65, v77
	s_delay_alu instid0(VALU_DEP_3) | instskip(SKIP_1) | instid1(VALU_DEP_2)
	v_dual_add_f32 v67, v67, v94 :: v_dual_fmac_f32 v75, v229, v132
	v_dual_mul_f32 v77, v239, v143 :: v_dual_fma_f32 v90, v228, v132, -v96
	v_dual_add_f32 v65, v65, v100 :: v_dual_add_f32 v67, v67, v85
	v_dual_mul_f32 v85, v241, v145 :: v_dual_fmac_f32 v79, v231, v134
	s_delay_alu instid0(VALU_DEP_2) | instskip(NEXT) | instid1(VALU_DEP_3)
	v_dual_fma_f32 v92, v230, v134, -v92 :: v_dual_add_f32 v65, v65, v75
	v_dual_add_f32 v67, v67, v90 :: v_dual_fmac_f32 v101, v233, v136
	v_dual_mul_f32 v81, v234, v139 :: v_dual_mul_f32 v179, v236, v141
	v_dual_mul_f32 v75, v243, v147 :: v_dual_fma_f32 v71, v232, v136, -v71
	s_delay_alu instid0(VALU_DEP_3) | instskip(NEXT) | instid1(VALU_DEP_3)
	v_dual_add_f32 v65, v65, v79 :: v_dual_add_f32 v67, v67, v92
	v_dual_mul_f32 v79, v245, v149 :: v_dual_fmac_f32 v81, v235, v138
	s_delay_alu instid0(VALU_DEP_2) | instskip(NEXT) | instid1(VALU_DEP_3)
	v_dual_fma_f32 v69, v234, v138, -v69 :: v_dual_add_f32 v65, v65, v101
	v_dual_add_f32 v67, v67, v71 :: v_dual_fmac_f32 v179, v237, v140
	s_wait_loadcnt 0x4
	v_dual_fma_f32 v71, v236, v140, -v73 :: v_dual_mov_b32 v96, v153
	s_delay_alu instid0(VALU_DEP_3) | instskip(NEXT) | instid1(VALU_DEP_3)
	v_add_f32_e32 v65, v65, v81
	v_add_f32_e32 v67, v67, v69
	v_dual_fmac_f32 v180, v239, v142 :: v_dual_fma_f32 v69, v238, v142, -v77
	v_fmac_f32_e32 v83, v241, v144
	s_delay_alu instid0(VALU_DEP_4) | instskip(NEXT) | instid1(VALU_DEP_4)
	v_add_f32_e32 v65, v65, v179
	v_dual_add_f32 v67, v67, v71 :: v_dual_fma_f32 v71, v240, v144, -v85
	v_pk_mul_f32 v[94:95], v[166:167], v[150:151] op_sel:[1,1] op_sel_hi:[0,1]
	s_wait_loadcnt 0x3
	v_dual_mov_b32 v100, v157 :: v_dual_fmac_f32 v91, v243, v146
	s_delay_alu instid0(VALU_DEP_3) | instskip(SKIP_2) | instid1(VALU_DEP_3)
	v_dual_add_f32 v65, v65, v180 :: v_dual_add_f32 v67, v67, v69
	v_dual_fma_f32 v90, v242, v146, -v75 :: v_dual_fmac_f32 v93, v245, v148
	v_pk_fma_f32 v[104:105], v[166:167], v[150:151], v[94:95] op_sel_hi:[1,0,1]
	v_add_f32_e32 v103, v65, v83
	s_delay_alu instid0(VALU_DEP_4) | instskip(SKIP_3) | instid1(VALU_DEP_4)
	v_dual_add_f32 v102, v67, v71 :: v_dual_fma_f32 v92, v244, v148, -v79
	v_pk_mul_f32 v[96:97], v[248:249], v[96:97] op_sel_hi:[1,0]
	v_pk_fma_f32 v[94:95], v[166:167], v[150:151], v[94:95] neg_lo:[0,0,1] neg_hi:[0,0,1]
	v_pk_mul_f32 v[98:99], v[170:171], v[154:155] op_sel:[1,1] op_sel_hi:[0,1]
	v_pk_add_f32 v[90:91], v[102:103], v[90:91]
	v_mov_b32_e32 v95, v105
	v_pk_fma_f32 v[104:105], v[168:169], v[152:153], v[96:97] op_sel_hi:[1,0,1]
	v_pk_fma_f32 v[96:97], v[168:169], v[152:153], v[96:97] neg_lo:[0,0,1] neg_hi:[0,0,1]
	v_pk_mul_f32 v[100:101], v[250:251], v[100:101] op_sel_hi:[1,0]
	v_pk_add_f32 v[90:91], v[90:91], v[92:93]
	v_pk_fma_f32 v[92:93], v[170:171], v[154:155], v[98:99] op_sel_hi:[1,0,1]
	s_wait_loadcnt 0x2
	v_dual_mov_b32 v97, v105 :: v_dual_mov_b32 v92, v161
	v_dual_mov_b32 v87, v216 :: v_dual_mov_b32 v88, v221
	v_pk_add_f32 v[90:91], v[90:91], v[94:95]
	v_pk_fma_f32 v[94:95], v[170:171], v[154:155], v[98:99] neg_lo:[0,0,1] neg_hi:[0,0,1]
	v_pk_mul_f32 v[102:103], v[214:215], v[158:159] op_sel:[1,1] op_sel_hi:[0,1]
	v_pk_fma_f32 v[98:99], v[172:173], v[156:157], v[100:101] op_sel_hi:[1,0,1]
	v_mov_b32_e32 v95, v93
	v_pk_add_f32 v[90:91], v[90:91], v[96:97]
	v_pk_mul_f32 v[86:87], v[86:87], v[92:93] op_sel_hi:[1,0]
	v_pk_fma_f32 v[92:93], v[172:173], v[156:157], v[100:101] neg_lo:[0,0,1] neg_hi:[0,0,1]
	v_pk_fma_f32 v[96:97], v[214:215], v[158:159], v[102:103] op_sel_hi:[1,0,1]
	v_mov_b32_e32 v93, v99
	v_pk_add_f32 v[90:91], v[90:91], v[94:95]
	v_pk_fma_f32 v[98:99], v[214:215], v[158:159], v[102:103] neg_lo:[0,0,1] neg_hi:[0,0,1]
	s_wait_loadcnt 0x1
	v_pk_mul_f32 v[94:95], v[218:219], v[162:163] op_sel:[1,1] op_sel_hi:[0,1]
	v_mov_b32_e32 v99, v97
	v_pk_fma_f32 v[96:97], v[216:217], v[160:161], v[86:87] op_sel_hi:[1,0,1]
	v_pk_add_f32 v[90:91], v[90:91], v[92:93]
	v_mov_b32_e32 v92, v165
	v_pk_fma_f32 v[86:87], v[216:217], v[160:161], v[86:87] neg_lo:[0,0,1] neg_hi:[0,0,1]
	v_pk_fma_f32 v[100:101], v[218:219], v[162:163], v[94:95] op_sel_hi:[1,0,1]
	v_dual_mov_b32 v87, v97 :: v_dual_ashrrev_i32 v65, 31, v64
	v_pk_add_f32 v[90:91], v[90:91], v[98:99]
	v_pk_mul_f32 v[88:89], v[88:89], v[92:93] op_sel_hi:[1,0]
	v_pk_fma_f32 v[92:93], v[218:219], v[162:163], v[94:95] neg_lo:[0,0,1] neg_hi:[0,0,1]
	v_dual_mov_b32 v93, v101 :: v_dual_ashrrev_i32 v67, 31, v66
	s_delay_alu instid0(VALU_DEP_4) | instskip(NEXT) | instid1(VALU_DEP_4)
	v_pk_add_f32 v[86:87], v[90:91], v[86:87]
	v_pk_fma_f32 v[90:91], v[220:221], v[164:165], v[88:89] op_sel_hi:[1,0,1]
	v_pk_fma_f32 v[88:89], v[220:221], v[164:165], v[88:89] neg_lo:[0,0,1] neg_hi:[0,0,1]
	v_dual_ashrrev_i32 v69, 31, v68 :: v_dual_ashrrev_i32 v71, 31, v70
	v_ashrrev_i32_e32 v73, 31, v72
	v_pk_add_f32 v[86:87], v[86:87], v[92:93]
	v_dual_mov_b32 v89, v91 :: v_dual_ashrrev_i32 v75, 31, v74
	v_dual_ashrrev_i32 v77, 31, v76 :: v_dual_ashrrev_i32 v79, 31, v78
	v_ashrrev_i32_e32 v81, 31, v80
	s_delay_alu instid0(VALU_DEP_3) | instskip(SKIP_2) | instid1(VALU_DEP_2)
	v_pk_add_f32 v[86:87], v[86:87], v[88:89]
	v_dual_ashrrev_i32 v83, 31, v82 :: v_dual_ashrrev_i32 v85, 31, v84
	s_wait_loadcnt 0x0
	v_pk_add_f32 v[86:87], v[246:247], v[86:87] neg_lo:[0,1] neg_hi:[0,1]
	scratch_store_b64 off, v[86:87], off offset:8
	s_wait_xcnt 0x0
	v_cmpx_ne_u32_e32 0, v0
	s_cbranch_execz .LBB105_265
; %bb.264:
	scratch_load_b64 v[86:87], off, off
	v_mov_b64_e32 v[88:89], 0
	scratch_store_b64 off, v[88:89], off
	s_wait_loadcnt 0x0
	ds_store_b64 v1, v[86:87]
.LBB105_265:
	s_wait_xcnt 0x0
	s_or_b32 exec_lo, exec_lo, s0
	s_wait_storecnt_dscnt 0x0
	s_barrier_signal -1
	s_barrier_wait -1
	s_clause 0x7
	scratch_load_b128 v[90:93], off, off offset:8
	scratch_load_b128 v[98:101], off, off offset:24
	;; [unrolled: 1-line block ×8, first 2 shown]
	v_mov_b32_e32 v0, 0
	s_clause 0x3
	scratch_load_b128 v[154:157], off, off offset:136
	scratch_load_b128 v[162:165], off, off offset:152
	;; [unrolled: 1-line block ×4, first 2 shown]
	ds_load_2addr_b64 v[86:89], v0 offset0:43 offset1:44
	s_clause 0x4
	scratch_load_b128 v[186:189], off, off offset:200
	scratch_load_b128 v[194:197], off, off offset:216
	scratch_load_b128 v[202:205], off, off offset:232
	scratch_load_b128 v[210:213], off, off offset:248
	scratch_load_b128 v[218:221], off, off offset:264
	s_and_b32 vcc_lo, exec_lo, s12
	s_wait_loadcnt_dscnt 0x1000
	v_dual_mul_f32 v1, v86, v91 :: v_dual_mul_f32 v94, v88, v93
	s_delay_alu instid0(VALU_DEP_1) | instskip(NEXT) | instid1(VALU_DEP_1)
	v_dual_fmac_f32 v1, v87, v90 :: v_dual_fmac_f32 v94, v89, v92
	v_add_f32_e32 v1, 0, v1
	s_delay_alu instid0(VALU_DEP_1) | instskip(SKIP_3) | instid1(VALU_DEP_1)
	v_add_f32_e32 v1, v1, v94
	ds_load_2addr_b64 v[94:97], v0 offset0:45 offset1:46
	s_wait_loadcnt_dscnt 0xf00
	v_mul_f32_e32 v102, v94, v99
	v_fmac_f32_e32 v102, v95, v98
	s_delay_alu instid0(VALU_DEP_1) | instskip(NEXT) | instid1(VALU_DEP_1)
	v_dual_add_f32 v1, v1, v102 :: v_dual_mul_f32 v102, v96, v101
	v_fmac_f32_e32 v102, v97, v100
	s_delay_alu instid0(VALU_DEP_1) | instskip(SKIP_3) | instid1(VALU_DEP_1)
	v_add_f32_e32 v1, v1, v102
	ds_load_2addr_b64 v[102:105], v0 offset0:47 offset1:48
	s_wait_loadcnt_dscnt 0xe00
	v_mul_f32_e32 v110, v102, v107
	v_fmac_f32_e32 v110, v103, v106
	s_delay_alu instid0(VALU_DEP_1) | instskip(NEXT) | instid1(VALU_DEP_1)
	v_dual_add_f32 v1, v1, v110 :: v_dual_mul_f32 v110, v104, v109
	v_fmac_f32_e32 v110, v105, v108
	;; [unrolled: 9-line block ×14, first 2 shown]
	s_delay_alu instid0(VALU_DEP_1) | instskip(SKIP_3) | instid1(VALU_DEP_1)
	v_add_f32_e32 v1, v1, v206
	ds_load_2addr_b64 v[206:209], v0 offset0:73 offset1:74
	s_wait_loadcnt_dscnt 0x100
	v_dual_mul_f32 v214, v206, v211 :: v_dual_mul_f32 v237, v208, v213
	v_dual_fmac_f32 v214, v207, v210 :: v_dual_fmac_f32 v237, v209, v212
	s_delay_alu instid0(VALU_DEP_1)
	v_dual_add_f32 v235, v1, v214 :: v_dual_mul_f32 v1, v87, v91
	ds_load_2addr_b64 v[214:217], v0 offset0:75 offset1:76
	s_clause 0x3
	scratch_load_b128 v[222:225], off, off offset:280
	scratch_load_b128 v[226:229], off, off offset:296
	;; [unrolled: 1-line block ×3, first 2 shown]
	scratch_load_b64 v[240:241], off, off offset:328
	v_dual_fma_f32 v1, v86, v90, -v1 :: v_dual_mul_f32 v86, v89, v93
	s_delay_alu instid0(VALU_DEP_1) | instskip(NEXT) | instid1(VALU_DEP_1)
	v_dual_add_f32 v1, 0, v1 :: v_dual_fma_f32 v86, v88, v92, -v86
	v_dual_add_f32 v1, v1, v86 :: v_dual_mul_f32 v86, v95, v99
	s_wait_loadcnt_dscnt 0x400
	v_mul_f32_e32 v239, v214, v219
	s_delay_alu instid0(VALU_DEP_2) | instskip(NEXT) | instid1(VALU_DEP_2)
	v_fma_f32 v86, v94, v98, -v86
	v_fmac_f32_e32 v239, v215, v218
	s_delay_alu instid0(VALU_DEP_2) | instskip(SKIP_1) | instid1(VALU_DEP_1)
	v_add_f32_e32 v1, v1, v86
	v_mul_f32_e32 v86, v97, v101
	v_fma_f32 v86, v96, v100, -v86
	s_delay_alu instid0(VALU_DEP_1) | instskip(NEXT) | instid1(VALU_DEP_1)
	v_dual_add_f32 v1, v1, v86 :: v_dual_mul_f32 v86, v103, v107
	v_dual_mov_b32 v103, v216 :: v_dual_fma_f32 v86, v102, v106, -v86
	v_mov_b32_e32 v102, v217
	s_delay_alu instid0(VALU_DEP_2) | instskip(SKIP_1) | instid1(VALU_DEP_1)
	v_add_f32_e32 v1, v1, v86
	v_mul_f32_e32 v86, v105, v109
	v_dual_fma_f32 v86, v104, v108, -v86 :: v_dual_mov_b32 v104, v221
	s_delay_alu instid0(VALU_DEP_1) | instskip(NEXT) | instid1(VALU_DEP_2)
	v_dual_add_f32 v1, v1, v86 :: v_dual_mul_f32 v86, v111, v115
	v_pk_mul_f32 v[102:103], v[102:103], v[104:105] op_sel_hi:[1,0]
	s_delay_alu instid0(VALU_DEP_2) | instskip(NEXT) | instid1(VALU_DEP_2)
	v_fma_f32 v86, v110, v114, -v86
	v_pk_fma_f32 v[104:105], v[216:217], v[220:221], v[102:103] neg_lo:[0,0,1] neg_hi:[0,0,1]
	v_pk_fma_f32 v[102:103], v[216:217], v[220:221], v[102:103] op_sel_hi:[1,0,1]
	s_delay_alu instid0(VALU_DEP_3) | instskip(NEXT) | instid1(VALU_DEP_2)
	v_add_f32_e32 v1, v1, v86
	v_dual_mul_f32 v86, v113, v117 :: v_dual_mov_b32 v105, v103
	s_delay_alu instid0(VALU_DEP_1) | instskip(NEXT) | instid1(VALU_DEP_1)
	v_fma_f32 v86, v112, v116, -v86
	v_dual_add_f32 v1, v1, v86 :: v_dual_mul_f32 v86, v119, v123
	s_delay_alu instid0(VALU_DEP_1) | instskip(NEXT) | instid1(VALU_DEP_1)
	v_fma_f32 v86, v118, v122, -v86
	v_add_f32_e32 v1, v1, v86
	v_mul_f32_e32 v86, v121, v125
	s_delay_alu instid0(VALU_DEP_1) | instskip(NEXT) | instid1(VALU_DEP_1)
	v_fma_f32 v86, v120, v124, -v86
	v_dual_add_f32 v1, v1, v86 :: v_dual_mul_f32 v86, v127, v131
	s_delay_alu instid0(VALU_DEP_1) | instskip(NEXT) | instid1(VALU_DEP_1)
	v_fma_f32 v86, v126, v130, -v86
	v_add_f32_e32 v1, v1, v86
	v_mul_f32_e32 v86, v129, v133
	;; [unrolled: 7-line block ×11, first 2 shown]
	s_delay_alu instid0(VALU_DEP_1) | instskip(NEXT) | instid1(VALU_DEP_1)
	v_fma_f32 v86, v200, v204, -v86
	v_dual_add_f32 v1, v1, v86 :: v_dual_mul_f32 v86, v207, v211
	s_delay_alu instid0(VALU_DEP_1) | instskip(NEXT) | instid1(VALU_DEP_1)
	v_fma_f32 v86, v206, v210, -v86
	v_add_f32_e32 v234, v1, v86
	ds_load_2addr_b64 v[86:89], v0 offset0:77 offset1:78
	ds_load_2addr_b64 v[90:93], v0 offset0:79 offset1:80
	;; [unrolled: 1-line block ×3, first 2 shown]
	ds_load_b64 v[98:99], v0 offset:664
	v_mul_f32_e32 v1, v209, v213
	s_delay_alu instid0(VALU_DEP_1) | instskip(NEXT) | instid1(VALU_DEP_1)
	v_dual_fma_f32 v236, v208, v212, -v1 :: v_dual_mul_f32 v1, v215, v219
	v_pk_add_f32 v[100:101], v[234:235], v[236:237]
	s_delay_alu instid0(VALU_DEP_2) | instskip(NEXT) | instid1(VALU_DEP_1)
	v_fma_f32 v238, v214, v218, -v1
	v_pk_add_f32 v[100:101], v[100:101], v[238:239]
	s_wait_loadcnt_dscnt 0x303
	v_pk_mul_f32 v[102:103], v[86:87], v[222:223] op_sel:[1,1] op_sel_hi:[0,1]
	s_delay_alu instid0(VALU_DEP_2) | instskip(NEXT) | instid1(VALU_DEP_2)
	v_pk_add_f32 v[100:101], v[100:101], v[104:105]
	v_pk_fma_f32 v[104:105], v[86:87], v[222:223], v[102:103] neg_lo:[0,0,1] neg_hi:[0,0,1]
	v_pk_fma_f32 v[86:87], v[86:87], v[222:223], v[102:103] op_sel_hi:[1,0,1]
	s_delay_alu instid0(VALU_DEP_1) | instskip(NEXT) | instid1(VALU_DEP_1)
	v_dual_mov_b32 v102, v225 :: v_dual_mov_b32 v105, v87
	v_pk_add_f32 v[86:87], v[100:101], v[104:105]
	v_dual_mov_b32 v100, v89 :: v_dual_mov_b32 v101, v88
	s_delay_alu instid0(VALU_DEP_1) | instskip(NEXT) | instid1(VALU_DEP_1)
	v_pk_mul_f32 v[100:101], v[100:101], v[102:103] op_sel_hi:[1,0]
	v_pk_fma_f32 v[102:103], v[88:89], v[224:225], v[100:101] neg_lo:[0,0,1] neg_hi:[0,0,1]
	v_pk_fma_f32 v[88:89], v[88:89], v[224:225], v[100:101] op_sel_hi:[1,0,1]
	s_delay_alu instid0(VALU_DEP_1) | instskip(SKIP_2) | instid1(VALU_DEP_2)
	v_mov_b32_e32 v103, v89
	s_wait_loadcnt_dscnt 0x202
	v_pk_mul_f32 v[88:89], v[90:91], v[226:227] op_sel:[1,1] op_sel_hi:[0,1]
	v_pk_add_f32 v[86:87], v[86:87], v[102:103]
	s_delay_alu instid0(VALU_DEP_2) | instskip(SKIP_2) | instid1(VALU_DEP_2)
	v_pk_fma_f32 v[100:101], v[90:91], v[226:227], v[88:89] neg_lo:[0,0,1] neg_hi:[0,0,1]
	v_pk_fma_f32 v[88:89], v[90:91], v[226:227], v[88:89] op_sel_hi:[1,0,1]
	v_dual_mov_b32 v88, v93 :: v_dual_mov_b32 v90, v229
	v_dual_mov_b32 v101, v89 :: v_dual_mov_b32 v89, v92
	s_delay_alu instid0(VALU_DEP_1) | instskip(NEXT) | instid1(VALU_DEP_2)
	v_pk_add_f32 v[86:87], v[86:87], v[100:101]
	v_pk_mul_f32 v[88:89], v[88:89], v[90:91] op_sel_hi:[1,0]
	s_delay_alu instid0(VALU_DEP_1) | instskip(SKIP_1) | instid1(VALU_DEP_1)
	v_pk_fma_f32 v[90:91], v[92:93], v[228:229], v[88:89] neg_lo:[0,0,1] neg_hi:[0,0,1]
	v_pk_fma_f32 v[88:89], v[92:93], v[228:229], v[88:89] op_sel_hi:[1,0,1]
	v_mov_b32_e32 v91, v89
	s_wait_loadcnt_dscnt 0x101
	v_pk_mul_f32 v[88:89], v[94:95], v[230:231] op_sel:[1,1] op_sel_hi:[0,1]
	s_delay_alu instid0(VALU_DEP_2) | instskip(NEXT) | instid1(VALU_DEP_2)
	v_pk_add_f32 v[86:87], v[86:87], v[90:91]
	v_pk_fma_f32 v[90:91], v[94:95], v[230:231], v[88:89] neg_lo:[0,0,1] neg_hi:[0,0,1]
	v_pk_fma_f32 v[88:89], v[94:95], v[230:231], v[88:89] op_sel_hi:[1,0,1]
	s_delay_alu instid0(VALU_DEP_1) | instskip(SKIP_1) | instid1(VALU_DEP_2)
	v_dual_mov_b32 v88, v97 :: v_dual_mov_b32 v91, v89
	v_mov_b32_e32 v89, v96
	v_pk_add_f32 v[86:87], v[86:87], v[90:91]
	v_mov_b32_e32 v90, v233
	s_delay_alu instid0(VALU_DEP_1) | instskip(NEXT) | instid1(VALU_DEP_1)
	v_pk_mul_f32 v[88:89], v[88:89], v[90:91] op_sel_hi:[1,0]
	v_pk_fma_f32 v[90:91], v[96:97], v[232:233], v[88:89] neg_lo:[0,0,1] neg_hi:[0,0,1]
	v_pk_fma_f32 v[88:89], v[96:97], v[232:233], v[88:89] op_sel_hi:[1,0,1]
	s_delay_alu instid0(VALU_DEP_1) | instskip(SKIP_2) | instid1(VALU_DEP_2)
	v_mov_b32_e32 v91, v89
	s_wait_loadcnt_dscnt 0x0
	v_pk_mul_f32 v[88:89], v[98:99], v[240:241] op_sel:[1,1] op_sel_hi:[0,1]
	v_pk_add_f32 v[86:87], v[86:87], v[90:91]
	s_delay_alu instid0(VALU_DEP_2) | instskip(SKIP_1) | instid1(VALU_DEP_1)
	v_pk_fma_f32 v[90:91], v[98:99], v[240:241], v[88:89] neg_lo:[0,0,1] neg_hi:[0,0,1]
	v_pk_fma_f32 v[88:89], v[98:99], v[240:241], v[88:89] op_sel_hi:[1,0,1]
	v_mov_b32_e32 v91, v89
	scratch_load_b64 v[88:89], off, off
	v_pk_add_f32 v[86:87], v[86:87], v[90:91]
	s_wait_loadcnt 0x0
	s_delay_alu instid0(VALU_DEP_1)
	v_pk_add_f32 v[86:87], v[88:89], v[86:87] neg_lo:[0,1] neg_hi:[0,1]
	scratch_store_b64 off, v[86:87], off
	s_cbranch_vccz .LBB105_348
; %bb.266:
	global_load_b32 v0, v0, s[8:9] offset:160
	s_wait_loadcnt 0x0
	v_cmp_ne_u32_e32 vcc_lo, 41, v0
	s_cbranch_vccz .LBB105_268
; %bb.267:
	s_wait_xcnt 0x0
	v_lshlrev_b32_e32 v0, 3, v0
	s_delay_alu instid0(VALU_DEP_1)
	v_mov_b32_e32 v88, v0
	scratch_load_b64 v[0:1], v88, off offset:-8
	scratch_load_b64 v[86:87], off, off offset:320
	s_wait_loadcnt 0x1
	scratch_store_b64 off, v[0:1], off offset:320
	s_wait_loadcnt 0x0
	scratch_store_b64 v88, v[86:87], off offset:-8
.LBB105_268:
	s_wait_xcnt 0x0
	v_mov_b32_e32 v0, 0
	global_load_b32 v1, v0, s[8:9] offset:156
	s_wait_loadcnt 0x0
	v_cmp_eq_u32_e32 vcc_lo, 40, v1
	s_cbranch_vccnz .LBB105_270
; %bb.269:
	v_lshlrev_b32_e32 v1, 3, v1
	scratch_load_b64 v[86:87], v1, off offset:-8
	scratch_load_b64 v[88:89], off, off offset:312
	s_wait_loadcnt 0x1
	scratch_store_b64 off, v[86:87], off offset:312
	s_wait_loadcnt 0x0
	scratch_store_b64 v1, v[88:89], off offset:-8
.LBB105_270:
	global_load_b32 v0, v0, s[8:9] offset:152
	s_wait_loadcnt 0x0
	v_cmp_eq_u32_e32 vcc_lo, 39, v0
	s_cbranch_vccnz .LBB105_272
; %bb.271:
	s_wait_xcnt 0x0
	v_lshlrev_b32_e32 v0, 3, v0
	s_delay_alu instid0(VALU_DEP_1)
	v_mov_b32_e32 v88, v0
	scratch_load_b64 v[0:1], v88, off offset:-8
	scratch_load_b64 v[86:87], off, off offset:304
	s_wait_loadcnt 0x1
	scratch_store_b64 off, v[0:1], off offset:304
	s_wait_loadcnt 0x0
	scratch_store_b64 v88, v[86:87], off offset:-8
.LBB105_272:
	s_wait_xcnt 0x0
	v_mov_b32_e32 v0, 0
	global_load_b32 v1, v0, s[8:9] offset:148
	s_wait_loadcnt 0x0
	v_cmp_eq_u32_e32 vcc_lo, 38, v1
	s_cbranch_vccnz .LBB105_274
; %bb.273:
	v_lshlrev_b32_e32 v1, 3, v1
	scratch_load_b64 v[86:87], v1, off offset:-8
	scratch_load_b64 v[88:89], off, off offset:296
	s_wait_loadcnt 0x1
	scratch_store_b64 off, v[86:87], off offset:296
	s_wait_loadcnt 0x0
	scratch_store_b64 v1, v[88:89], off offset:-8
.LBB105_274:
	global_load_b32 v0, v0, s[8:9] offset:144
	s_wait_loadcnt 0x0
	v_cmp_eq_u32_e32 vcc_lo, 37, v0
	s_cbranch_vccnz .LBB105_276
; %bb.275:
	s_wait_xcnt 0x0
	v_lshlrev_b32_e32 v0, 3, v0
	s_delay_alu instid0(VALU_DEP_1)
	v_mov_b32_e32 v88, v0
	scratch_load_b64 v[0:1], v88, off offset:-8
	scratch_load_b64 v[86:87], off, off offset:288
	s_wait_loadcnt 0x1
	scratch_store_b64 off, v[0:1], off offset:288
	s_wait_loadcnt 0x0
	scratch_store_b64 v88, v[86:87], off offset:-8
.LBB105_276:
	;; [unrolled: 31-line block ×19, first 2 shown]
	s_wait_xcnt 0x0
	v_mov_b32_e32 v0, 0
	global_load_b32 v1, v0, s[8:9] offset:4
	s_wait_loadcnt 0x0
	v_cmp_eq_u32_e32 vcc_lo, 2, v1
	s_cbranch_vccnz .LBB105_346
; %bb.345:
	v_lshlrev_b32_e32 v1, 3, v1
	scratch_load_b64 v[86:87], v1, off offset:-8
	scratch_load_b64 v[88:89], off, off offset:8
	s_wait_loadcnt 0x1
	scratch_store_b64 off, v[86:87], off offset:8
	s_wait_loadcnt 0x0
	scratch_store_b64 v1, v[88:89], off offset:-8
.LBB105_346:
	global_load_b32 v0, v0, s[8:9]
	scratch_load_b64 v[86:87], off, off
	s_wait_loadcnt 0x1
	v_cmp_eq_u32_e32 vcc_lo, 1, v0
	s_cbranch_vccnz .LBB105_348
; %bb.347:
	s_wait_xcnt 0x1
	v_lshlrev_b32_e32 v0, 3, v0
	s_delay_alu instid0(VALU_DEP_1)
	v_mov_b32_e32 v88, v0
	scratch_load_b64 v[0:1], v88, off offset:-8
	s_wait_loadcnt 0x0
	scratch_store_b64 off, v[0:1], off
	scratch_store_b64 v88, v[86:87], off offset:-8
	scratch_load_b64 v[86:87], off, off
.LBB105_348:
	s_wait_loadcnt 0x0
	flat_store_b64 v[2:3], v[86:87]
	scratch_load_b64 v[2:3], off, off offset:8
	v_lshl_add_u64 v[124:125], v[6:7], 3, s[2:3]
	v_lshl_add_u64 v[122:123], v[8:9], 3, s[2:3]
	;; [unrolled: 1-line block ×40, first 2 shown]
	s_wait_loadcnt 0x0
	flat_store_b64 v[4:5], v[2:3]
	scratch_load_b64 v[2:3], off, off offset:16
	s_wait_loadcnt 0x0
	flat_store_b64 v[124:125], v[2:3]
	scratch_load_b64 v[2:3], off, off offset:24
	;; [unrolled: 3-line block ×40, first 2 shown]
	s_wait_loadcnt 0x0
	flat_store_b64 v[0:1], v[2:3]
	s_sendmsg sendmsg(MSG_DEALLOC_VGPRS)
	s_endpgm
	.section	.rodata,"a",@progbits
	.p2align	6, 0x0
	.amdhsa_kernel _ZN9rocsolver6v33100L18getri_kernel_smallILi42E19rocblas_complex_numIfEPKPS3_EEvT1_iilPiilS8_bb
		.amdhsa_group_segment_fixed_size 676
		.amdhsa_private_segment_fixed_size 352
		.amdhsa_kernarg_size 60
		.amdhsa_user_sgpr_count 2
		.amdhsa_user_sgpr_dispatch_ptr 0
		.amdhsa_user_sgpr_queue_ptr 0
		.amdhsa_user_sgpr_kernarg_segment_ptr 1
		.amdhsa_user_sgpr_dispatch_id 0
		.amdhsa_user_sgpr_kernarg_preload_length 0
		.amdhsa_user_sgpr_kernarg_preload_offset 0
		.amdhsa_user_sgpr_private_segment_size 0
		.amdhsa_wavefront_size32 1
		.amdhsa_uses_dynamic_stack 0
		.amdhsa_enable_private_segment 1
		.amdhsa_system_sgpr_workgroup_id_x 1
		.amdhsa_system_sgpr_workgroup_id_y 0
		.amdhsa_system_sgpr_workgroup_id_z 0
		.amdhsa_system_sgpr_workgroup_info 0
		.amdhsa_system_vgpr_workitem_id 0
		.amdhsa_next_free_vgpr 256
		.amdhsa_next_free_sgpr 19
		.amdhsa_named_barrier_count 0
		.amdhsa_reserve_vcc 1
		.amdhsa_float_round_mode_32 0
		.amdhsa_float_round_mode_16_64 0
		.amdhsa_float_denorm_mode_32 3
		.amdhsa_float_denorm_mode_16_64 3
		.amdhsa_fp16_overflow 0
		.amdhsa_memory_ordered 1
		.amdhsa_forward_progress 1
		.amdhsa_inst_pref_size 255
		.amdhsa_round_robin_scheduling 0
		.amdhsa_exception_fp_ieee_invalid_op 0
		.amdhsa_exception_fp_denorm_src 0
		.amdhsa_exception_fp_ieee_div_zero 0
		.amdhsa_exception_fp_ieee_overflow 0
		.amdhsa_exception_fp_ieee_underflow 0
		.amdhsa_exception_fp_ieee_inexact 0
		.amdhsa_exception_int_div_zero 0
	.end_amdhsa_kernel
	.section	.text._ZN9rocsolver6v33100L18getri_kernel_smallILi42E19rocblas_complex_numIfEPKPS3_EEvT1_iilPiilS8_bb,"axG",@progbits,_ZN9rocsolver6v33100L18getri_kernel_smallILi42E19rocblas_complex_numIfEPKPS3_EEvT1_iilPiilS8_bb,comdat
.Lfunc_end105:
	.size	_ZN9rocsolver6v33100L18getri_kernel_smallILi42E19rocblas_complex_numIfEPKPS3_EEvT1_iilPiilS8_bb, .Lfunc_end105-_ZN9rocsolver6v33100L18getri_kernel_smallILi42E19rocblas_complex_numIfEPKPS3_EEvT1_iilPiilS8_bb
                                        ; -- End function
	.set _ZN9rocsolver6v33100L18getri_kernel_smallILi42E19rocblas_complex_numIfEPKPS3_EEvT1_iilPiilS8_bb.num_vgpr, 256
	.set _ZN9rocsolver6v33100L18getri_kernel_smallILi42E19rocblas_complex_numIfEPKPS3_EEvT1_iilPiilS8_bb.num_agpr, 0
	.set _ZN9rocsolver6v33100L18getri_kernel_smallILi42E19rocblas_complex_numIfEPKPS3_EEvT1_iilPiilS8_bb.numbered_sgpr, 19
	.set _ZN9rocsolver6v33100L18getri_kernel_smallILi42E19rocblas_complex_numIfEPKPS3_EEvT1_iilPiilS8_bb.num_named_barrier, 0
	.set _ZN9rocsolver6v33100L18getri_kernel_smallILi42E19rocblas_complex_numIfEPKPS3_EEvT1_iilPiilS8_bb.private_seg_size, 352
	.set _ZN9rocsolver6v33100L18getri_kernel_smallILi42E19rocblas_complex_numIfEPKPS3_EEvT1_iilPiilS8_bb.uses_vcc, 1
	.set _ZN9rocsolver6v33100L18getri_kernel_smallILi42E19rocblas_complex_numIfEPKPS3_EEvT1_iilPiilS8_bb.uses_flat_scratch, 1
	.set _ZN9rocsolver6v33100L18getri_kernel_smallILi42E19rocblas_complex_numIfEPKPS3_EEvT1_iilPiilS8_bb.has_dyn_sized_stack, 0
	.set _ZN9rocsolver6v33100L18getri_kernel_smallILi42E19rocblas_complex_numIfEPKPS3_EEvT1_iilPiilS8_bb.has_recursion, 0
	.set _ZN9rocsolver6v33100L18getri_kernel_smallILi42E19rocblas_complex_numIfEPKPS3_EEvT1_iilPiilS8_bb.has_indirect_call, 0
	.section	.AMDGPU.csdata,"",@progbits
; Kernel info:
; codeLenInByte = 69524
; TotalNumSgprs: 21
; NumVgprs: 256
; ScratchSize: 352
; MemoryBound: 0
; FloatMode: 240
; IeeeMode: 1
; LDSByteSize: 676 bytes/workgroup (compile time only)
; SGPRBlocks: 0
; VGPRBlocks: 15
; NumSGPRsForWavesPerEU: 21
; NumVGPRsForWavesPerEU: 256
; NamedBarCnt: 0
; Occupancy: 4
; WaveLimiterHint : 1
; COMPUTE_PGM_RSRC2:SCRATCH_EN: 1
; COMPUTE_PGM_RSRC2:USER_SGPR: 2
; COMPUTE_PGM_RSRC2:TRAP_HANDLER: 0
; COMPUTE_PGM_RSRC2:TGID_X_EN: 1
; COMPUTE_PGM_RSRC2:TGID_Y_EN: 0
; COMPUTE_PGM_RSRC2:TGID_Z_EN: 0
; COMPUTE_PGM_RSRC2:TIDIG_COMP_CNT: 0
	.section	.text._ZN9rocsolver6v33100L18getri_kernel_smallILi43E19rocblas_complex_numIfEPKPS3_EEvT1_iilPiilS8_bb,"axG",@progbits,_ZN9rocsolver6v33100L18getri_kernel_smallILi43E19rocblas_complex_numIfEPKPS3_EEvT1_iilPiilS8_bb,comdat
	.globl	_ZN9rocsolver6v33100L18getri_kernel_smallILi43E19rocblas_complex_numIfEPKPS3_EEvT1_iilPiilS8_bb ; -- Begin function _ZN9rocsolver6v33100L18getri_kernel_smallILi43E19rocblas_complex_numIfEPKPS3_EEvT1_iilPiilS8_bb
	.p2align	8
	.type	_ZN9rocsolver6v33100L18getri_kernel_smallILi43E19rocblas_complex_numIfEPKPS3_EEvT1_iilPiilS8_bb,@function
_ZN9rocsolver6v33100L18getri_kernel_smallILi43E19rocblas_complex_numIfEPKPS3_EEvT1_iilPiilS8_bb: ; @_ZN9rocsolver6v33100L18getri_kernel_smallILi43E19rocblas_complex_numIfEPKPS3_EEvT1_iilPiilS8_bb
; %bb.0:
	s_mov_b32 s2, exec_lo
	v_cmpx_gt_u32_e32 43, v0
	s_cbranch_execz .LBB106_186
; %bb.1:
	s_clause 0x1
	s_load_b32 s13, s[0:1], 0x38
	s_load_b64 s[2:3], s[0:1], 0x0
	s_getreg_b32 s6, hwreg(HW_REG_IB_STS2, 6, 4)
	s_wait_kmcnt 0x0
	s_bitcmp1_b32 s13, 8
	s_cselect_b32 s12, -1, 0
	s_bfe_u32 s4, ttmp6, 0x4000c
	s_and_b32 s5, ttmp6, 15
	s_add_co_i32 s4, s4, 1
	s_delay_alu instid0(SALU_CYCLE_1) | instskip(NEXT) | instid1(SALU_CYCLE_1)
	s_mul_i32 s4, ttmp9, s4
	s_add_co_i32 s5, s5, s4
	s_cmp_eq_u32 s6, 0
	s_cselect_b32 s10, ttmp9, s5
	s_load_b128 s[4:7], s[0:1], 0x28
	s_ashr_i32 s11, s10, 31
	s_delay_alu instid0(SALU_CYCLE_1) | instskip(NEXT) | instid1(SALU_CYCLE_1)
	s_lshl_b64 s[8:9], s[10:11], 3
	s_add_nc_u64 s[2:3], s[2:3], s[8:9]
	s_bfe_u32 s8, s13, 0x10008
	s_load_b64 s[2:3], s[2:3], 0x0
	s_cmp_eq_u32 s8, 0
                                        ; implicit-def: $sgpr8_sgpr9
	s_cbranch_scc1 .LBB106_3
; %bb.2:
	s_load_b96 s[16:18], s[0:1], 0x18
	s_wait_kmcnt 0x0
	s_mul_u64 s[4:5], s[4:5], s[10:11]
	s_delay_alu instid0(SALU_CYCLE_1) | instskip(SKIP_4) | instid1(SALU_CYCLE_1)
	s_lshl_b64 s[4:5], s[4:5], 2
	s_ashr_i32 s9, s18, 31
	s_mov_b32 s8, s18
	s_add_nc_u64 s[4:5], s[16:17], s[4:5]
	s_lshl_b64 s[8:9], s[8:9], 2
	s_add_nc_u64 s[8:9], s[4:5], s[8:9]
.LBB106_3:
	s_wait_kmcnt 0x0
	s_clause 0x1
	s_load_b64 s[4:5], s[0:1], 0x8
	s_load_b32 s13, s[0:1], 0x38
	v_dual_mov_b32 v89, 0 :: v_dual_lshlrev_b32 v88, 3, v0
	s_wait_kmcnt 0x0
	s_ashr_i32 s1, s4, 31
	s_mov_b32 s0, s4
	s_delay_alu instid0(SALU_CYCLE_1) | instskip(NEXT) | instid1(SALU_CYCLE_1)
	s_lshl_b64 s[0:1], s[0:1], 3
	s_add_nc_u64 s[2:3], s[2:3], s[0:1]
	s_ashr_i32 s1, s5, 31
	flat_load_b64 v[6:7], v0, s[2:3] scale_offset
	v_add_nc_u64_e32 v[2:3], s[2:3], v[88:89]
	s_mov_b32 s0, s5
	s_bitcmp0_b32 s13, 0
	s_delay_alu instid0(VALU_DEP_1)
	v_lshl_add_u64 v[4:5], s[0:1], 3, v[2:3]
	s_mov_b32 s1, -1
	s_wait_loadcnt_dscnt 0x0
	scratch_store_b64 off, v[6:7], off
	flat_load_b64 v[8:9], v[4:5]
	s_wait_xcnt 0x1
	v_add3_u32 v6, s5, s5, v0
	s_wait_loadcnt_dscnt 0x0
	scratch_store_b64 off, v[8:9], off offset:8
	flat_load_b64 v[10:11], v6, s[2:3] scale_offset
	s_wait_xcnt 0x1
	v_add_nc_u32_e32 v8, s5, v6
	s_wait_loadcnt_dscnt 0x0
	scratch_store_b64 off, v[10:11], off offset:16
	flat_load_b64 v[12:13], v8, s[2:3] scale_offset
	s_wait_xcnt 0x1
	v_add_nc_u32_e32 v10, s5, v8
	;; [unrolled: 5-line block ×40, first 2 shown]
	s_wait_loadcnt_dscnt 0x0
	scratch_store_b64 off, v[90:91], off offset:328
	flat_load_b64 v[90:91], v86, s[2:3] scale_offset
	s_wait_loadcnt_dscnt 0x0
	scratch_store_b64 off, v[90:91], off offset:336
	s_cbranch_scc1 .LBB106_184
; %bb.4:
	v_cmp_eq_u32_e64 s0, 0, v0
	s_wait_xcnt 0x0
	s_and_saveexec_b32 s1, s0
; %bb.5:
	v_mov_b32_e32 v1, 0
	ds_store_b32 v1, v1 offset:344
; %bb.6:
	s_or_b32 exec_lo, exec_lo, s1
	s_wait_storecnt_dscnt 0x0
	s_barrier_signal -1
	s_barrier_wait -1
	scratch_load_b64 v[90:91], v0, off scale_offset
	s_wait_loadcnt 0x0
	v_cmp_eq_f32_e32 vcc_lo, 0, v90
	v_cmp_eq_f32_e64 s1, 0, v91
	s_and_b32 s1, vcc_lo, s1
	s_delay_alu instid0(SALU_CYCLE_1)
	s_and_saveexec_b32 s4, s1
	s_cbranch_execz .LBB106_10
; %bb.7:
	v_mov_b32_e32 v1, 0
	s_mov_b32 s5, 0
	ds_load_b32 v7, v1 offset:344
	s_wait_dscnt 0x0
	v_readfirstlane_b32 s1, v7
	v_add_nc_u32_e32 v7, 1, v0
	s_cmp_eq_u32 s1, 0
	s_delay_alu instid0(VALU_DEP_1) | instskip(SKIP_1) | instid1(SALU_CYCLE_1)
	v_cmp_gt_i32_e32 vcc_lo, s1, v7
	s_cselect_b32 s13, -1, 0
	s_or_b32 s13, s13, vcc_lo
	s_delay_alu instid0(SALU_CYCLE_1)
	s_and_b32 exec_lo, exec_lo, s13
	s_cbranch_execz .LBB106_10
; %bb.8:
	v_mov_b32_e32 v9, s1
.LBB106_9:                              ; =>This Inner Loop Header: Depth=1
	ds_cmpstore_rtn_b32 v9, v1, v7, v9 offset:344
	s_wait_dscnt 0x0
	v_cmp_ne_u32_e32 vcc_lo, 0, v9
	v_cmp_le_i32_e64 s1, v9, v7
	s_and_b32 s1, vcc_lo, s1
	s_delay_alu instid0(SALU_CYCLE_1) | instskip(NEXT) | instid1(SALU_CYCLE_1)
	s_and_b32 s1, exec_lo, s1
	s_or_b32 s5, s1, s5
	s_delay_alu instid0(SALU_CYCLE_1)
	s_and_not1_b32 exec_lo, exec_lo, s5
	s_cbranch_execnz .LBB106_9
.LBB106_10:
	s_or_b32 exec_lo, exec_lo, s4
	v_mov_b32_e32 v1, 0
	s_barrier_signal -1
	s_barrier_wait -1
	ds_load_b32 v7, v1 offset:344
	s_and_saveexec_b32 s1, s0
	s_cbranch_execz .LBB106_12
; %bb.11:
	s_lshl_b64 s[4:5], s[10:11], 2
	s_delay_alu instid0(SALU_CYCLE_1)
	s_add_nc_u64 s[4:5], s[6:7], s[4:5]
	s_wait_dscnt 0x0
	global_store_b32 v1, v7, s[4:5]
.LBB106_12:
	s_wait_xcnt 0x0
	s_or_b32 exec_lo, exec_lo, s1
	s_wait_dscnt 0x0
	v_cmp_ne_u32_e32 vcc_lo, 0, v7
	s_mov_b32 s1, 0
	s_cbranch_vccnz .LBB106_184
; %bb.13:
	v_lshl_add_u32 v7, v0, 3, 0
                                        ; implicit-def: $vgpr93
                                        ; implicit-def: $vgpr94
	scratch_load_b64 v[90:91], v7, off
	s_wait_loadcnt 0x0
	v_cmp_ngt_f32_e64 s1, |v90|, |v91|
	s_wait_xcnt 0x0
	s_and_saveexec_b32 s4, s1
	s_delay_alu instid0(SALU_CYCLE_1)
	s_xor_b32 s1, exec_lo, s4
	s_cbranch_execz .LBB106_15
; %bb.14:
	v_div_scale_f32 v1, null, v91, v91, v90
	v_div_scale_f32 v13, vcc_lo, v90, v91, v90
	s_delay_alu instid0(VALU_DEP_2) | instskip(SKIP_1) | instid1(TRANS32_DEP_1)
	v_rcp_f32_e32 v9, v1
	v_nop
	v_fma_f32 v11, -v1, v9, 1.0
	s_delay_alu instid0(VALU_DEP_1) | instskip(NEXT) | instid1(VALU_DEP_1)
	v_fmac_f32_e32 v9, v11, v9
	v_mul_f32_e32 v11, v13, v9
	s_delay_alu instid0(VALU_DEP_1) | instskip(NEXT) | instid1(VALU_DEP_1)
	v_fma_f32 v15, -v1, v11, v13
	v_fmac_f32_e32 v11, v15, v9
	s_delay_alu instid0(VALU_DEP_1) | instskip(NEXT) | instid1(VALU_DEP_1)
	v_fma_f32 v1, -v1, v11, v13
	v_div_fmas_f32 v1, v1, v9, v11
	s_delay_alu instid0(VALU_DEP_1) | instskip(NEXT) | instid1(VALU_DEP_1)
	v_div_fixup_f32 v1, v1, v91, v90
	v_fmac_f32_e32 v91, v90, v1
	s_delay_alu instid0(VALU_DEP_1) | instskip(NEXT) | instid1(VALU_DEP_1)
	v_div_scale_f32 v9, null, v91, v91, -1.0
	v_rcp_f32_e32 v11, v9
	v_nop
	s_delay_alu instid0(TRANS32_DEP_1) | instskip(NEXT) | instid1(VALU_DEP_1)
	v_fma_f32 v13, -v9, v11, 1.0
	v_fmac_f32_e32 v11, v13, v11
	v_div_scale_f32 v13, vcc_lo, -1.0, v91, -1.0
	s_delay_alu instid0(VALU_DEP_1) | instskip(NEXT) | instid1(VALU_DEP_1)
	v_mul_f32_e32 v15, v13, v11
	v_fma_f32 v17, -v9, v15, v13
	s_delay_alu instid0(VALU_DEP_1) | instskip(NEXT) | instid1(VALU_DEP_1)
	v_fmac_f32_e32 v15, v17, v11
	v_fma_f32 v9, -v9, v15, v13
	s_delay_alu instid0(VALU_DEP_1) | instskip(NEXT) | instid1(VALU_DEP_1)
	v_div_fmas_f32 v9, v9, v11, v15
	v_div_fixup_f32 v93, v9, v91, -1.0
                                        ; implicit-def: $vgpr90_vgpr91
	s_delay_alu instid0(VALU_DEP_1) | instskip(NEXT) | instid1(VALU_DEP_1)
	v_mul_f32_e32 v94, v1, v93
	v_xor_b32_e32 v92, 0x80000000, v94
.LBB106_15:
	s_and_not1_saveexec_b32 s1, s1
	s_cbranch_execz .LBB106_17
; %bb.16:
	v_div_scale_f32 v1, null, v90, v90, v91
	v_div_scale_f32 v13, vcc_lo, v91, v90, v91
	s_delay_alu instid0(VALU_DEP_2) | instskip(SKIP_1) | instid1(TRANS32_DEP_1)
	v_rcp_f32_e32 v9, v1
	v_nop
	v_fma_f32 v11, -v1, v9, 1.0
	s_delay_alu instid0(VALU_DEP_1) | instskip(NEXT) | instid1(VALU_DEP_1)
	v_fmac_f32_e32 v9, v11, v9
	v_mul_f32_e32 v11, v13, v9
	s_delay_alu instid0(VALU_DEP_1) | instskip(NEXT) | instid1(VALU_DEP_1)
	v_fma_f32 v15, -v1, v11, v13
	v_fmac_f32_e32 v11, v15, v9
	s_delay_alu instid0(VALU_DEP_1) | instskip(NEXT) | instid1(VALU_DEP_1)
	v_fma_f32 v1, -v1, v11, v13
	v_div_fmas_f32 v1, v1, v9, v11
	s_delay_alu instid0(VALU_DEP_1) | instskip(NEXT) | instid1(VALU_DEP_1)
	v_div_fixup_f32 v1, v1, v90, v91
	v_fmac_f32_e32 v90, v91, v1
	s_delay_alu instid0(VALU_DEP_1) | instskip(SKIP_1) | instid1(VALU_DEP_2)
	v_div_scale_f32 v9, null, v90, v90, 1.0
	v_div_scale_f32 v15, vcc_lo, 1.0, v90, 1.0
	v_rcp_f32_e32 v11, v9
	v_nop
	s_delay_alu instid0(TRANS32_DEP_1) | instskip(NEXT) | instid1(VALU_DEP_1)
	v_fma_f32 v13, -v9, v11, 1.0
	v_fmac_f32_e32 v11, v13, v11
	s_delay_alu instid0(VALU_DEP_1) | instskip(NEXT) | instid1(VALU_DEP_1)
	v_mul_f32_e32 v13, v15, v11
	v_fma_f32 v17, -v9, v13, v15
	s_delay_alu instid0(VALU_DEP_1) | instskip(NEXT) | instid1(VALU_DEP_1)
	v_fmac_f32_e32 v13, v17, v11
	v_fma_f32 v9, -v9, v13, v15
	s_delay_alu instid0(VALU_DEP_1) | instskip(NEXT) | instid1(VALU_DEP_1)
	v_div_fmas_f32 v9, v9, v11, v13
	v_div_fixup_f32 v92, v9, v90, 1.0
	s_delay_alu instid0(VALU_DEP_1)
	v_xor_b32_e32 v94, 0x80000000, v92
	v_mul_f32_e64 v93, v1, -v92
.LBB106_17:
	s_or_b32 exec_lo, exec_lo, s1
	scratch_store_b64 v7, v[92:93], off
	scratch_load_b64 v[90:91], off, off offset:8
	v_xor_b32_e32 v95, 0x80000000, v93
	v_add_nc_u32_e32 v1, 0x160, v88
	s_wait_loadcnt 0x0
	ds_store_2addr_b64 v88, v[94:95], v[90:91] offset1:44
	s_wait_storecnt_dscnt 0x0
	s_barrier_signal -1
	s_barrier_wait -1
	s_wait_xcnt 0x0
	s_and_saveexec_b32 s1, s0
	s_cbranch_execz .LBB106_19
; %bb.18:
	scratch_load_b64 v[90:91], v7, off
	ds_load_b64 v[92:93], v1
	s_wait_loadcnt_dscnt 0x0
	v_pk_mul_f32 v[96:97], v[92:93], v[90:91] op_sel:[1,1] op_sel_hi:[0,1]
	s_delay_alu instid0(VALU_DEP_1) | instskip(SKIP_2) | instid1(VALU_DEP_3)
	v_pk_fma_f32 v[98:99], v[92:93], v[90:91], v[96:97] op_sel_hi:[1,0,1]
	v_mov_b32_e32 v9, 0
	v_pk_fma_f32 v[90:91], v[92:93], v[90:91], v[96:97] neg_lo:[0,0,1] neg_hi:[0,0,1]
	v_mov_b32_e32 v91, v99
	ds_load_b64 v[94:95], v9 offset:8
	v_pk_add_f32 v[90:91], v[90:91], 0 op_sel_hi:[1,0]
	s_wait_dscnt 0x0
	s_delay_alu instid0(VALU_DEP_1) | instskip(NEXT) | instid1(VALU_DEP_1)
	v_pk_mul_f32 v[92:93], v[90:91], v[94:95] op_sel:[1,1] op_sel_hi:[0,1]
	v_pk_fma_f32 v[96:97], v[90:91], v[94:95], v[92:93] op_sel_hi:[1,0,1]
	v_pk_fma_f32 v[90:91], v[90:91], v[94:95], v[92:93] neg_lo:[0,0,1] neg_hi:[0,0,1]
	s_delay_alu instid0(VALU_DEP_2)
	v_mov_b32_e32 v91, v97
	scratch_store_b64 off, v[90:91], off offset:8
.LBB106_19:
	s_wait_xcnt 0x0
	s_or_b32 exec_lo, exec_lo, s1
	s_wait_storecnt 0x0
	s_barrier_signal -1
	s_barrier_wait -1
	scratch_load_b64 v[90:91], off, off offset:16
	s_mov_b32 s1, exec_lo
	s_wait_loadcnt 0x0
	ds_store_b64 v1, v[90:91]
	s_wait_dscnt 0x0
	s_barrier_signal -1
	s_barrier_wait -1
	v_cmpx_gt_u32_e32 2, v0
	s_cbranch_execz .LBB106_23
; %bb.20:
	scratch_load_b64 v[90:91], v7, off
	ds_load_b64 v[92:93], v1
	s_wait_loadcnt_dscnt 0x0
	v_pk_mul_f32 v[94:95], v[92:93], v[90:91] op_sel:[1,1] op_sel_hi:[0,1]
	s_delay_alu instid0(VALU_DEP_1) | instskip(SKIP_1) | instid1(VALU_DEP_2)
	v_pk_fma_f32 v[96:97], v[92:93], v[90:91], v[94:95] op_sel_hi:[1,0,1]
	v_pk_fma_f32 v[90:91], v[92:93], v[90:91], v[94:95] neg_lo:[0,0,1] neg_hi:[0,0,1]
	v_mov_b32_e32 v91, v97
	s_delay_alu instid0(VALU_DEP_1)
	v_pk_add_f32 v[90:91], v[90:91], 0 op_sel_hi:[1,0]
	s_and_saveexec_b32 s4, s0
	s_cbranch_execz .LBB106_22
; %bb.21:
	scratch_load_b64 v[92:93], off, off offset:8
	v_mov_b32_e32 v7, 0
	ds_load_b64 v[94:95], v7 offset:360
	s_wait_loadcnt_dscnt 0x0
	v_pk_mul_f32 v[96:97], v[94:95], v[92:93] op_sel:[1,1] op_sel_hi:[0,1]
	s_delay_alu instid0(VALU_DEP_1) | instskip(SKIP_1) | instid1(VALU_DEP_2)
	v_pk_fma_f32 v[98:99], v[94:95], v[92:93], v[96:97] op_sel_hi:[1,0,1]
	v_pk_fma_f32 v[92:93], v[94:95], v[92:93], v[96:97] neg_lo:[0,0,1] neg_hi:[0,0,1]
	v_mov_b32_e32 v93, v99
	s_delay_alu instid0(VALU_DEP_1)
	v_pk_add_f32 v[90:91], v[90:91], v[92:93]
.LBB106_22:
	s_or_b32 exec_lo, exec_lo, s4
	v_mov_b32_e32 v7, 0
	ds_load_b64 v[92:93], v7 offset:16
	s_wait_dscnt 0x0
	v_pk_mul_f32 v[94:95], v[90:91], v[92:93] op_sel:[1,1] op_sel_hi:[0,1]
	s_delay_alu instid0(VALU_DEP_1) | instskip(SKIP_1) | instid1(VALU_DEP_2)
	v_pk_fma_f32 v[96:97], v[90:91], v[92:93], v[94:95] op_sel_hi:[1,0,1]
	v_pk_fma_f32 v[90:91], v[90:91], v[92:93], v[94:95] neg_lo:[0,0,1] neg_hi:[0,0,1]
	v_mov_b32_e32 v91, v97
	scratch_store_b64 off, v[90:91], off offset:16
.LBB106_23:
	s_wait_xcnt 0x0
	s_or_b32 exec_lo, exec_lo, s1
	s_wait_storecnt 0x0
	s_barrier_signal -1
	s_barrier_wait -1
	scratch_load_b64 v[90:91], off, off offset:24
	v_add_nc_u32_e32 v7, -1, v0
	s_mov_b32 s0, exec_lo
	s_wait_loadcnt 0x0
	ds_store_b64 v1, v[90:91]
	s_wait_dscnt 0x0
	s_barrier_signal -1
	s_barrier_wait -1
	v_cmpx_gt_u32_e32 3, v0
	s_cbranch_execz .LBB106_27
; %bb.24:
	v_dual_mov_b32 v90, 0 :: v_dual_add_nc_u32 v9, -1, v0
	v_add_nc_u32_e32 v11, 0x160, v88
	v_mov_b32_e32 v13, v88
	s_mov_b32 s1, 0
	s_delay_alu instid0(VALU_DEP_3)
	v_mov_b32_e32 v91, v90
.LBB106_25:                             ; =>This Inner Loop Header: Depth=1
	scratch_load_b64 v[92:93], v13, off
	ds_load_b64 v[94:95], v11
	s_wait_xcnt 0x0
	v_dual_add_nc_u32 v11, 8, v11 :: v_dual_add_nc_u32 v13, 8, v13
	s_wait_loadcnt_dscnt 0x0
	v_pk_mul_f32 v[96:97], v[94:95], v[92:93] op_sel:[1,1] op_sel_hi:[0,1]
	s_delay_alu instid0(VALU_DEP_1) | instskip(SKIP_2) | instid1(VALU_DEP_3)
	v_pk_fma_f32 v[98:99], v[94:95], v[92:93], v[96:97] op_sel_hi:[1,0,1]
	v_add_nc_u32_e32 v9, 1, v9
	v_pk_fma_f32 v[92:93], v[94:95], v[92:93], v[96:97] neg_lo:[0,0,1] neg_hi:[0,0,1]
	v_mov_b32_e32 v93, v99
	s_delay_alu instid0(VALU_DEP_3) | instskip(NEXT) | instid1(VALU_DEP_2)
	v_cmp_lt_u32_e32 vcc_lo, 1, v9
	v_pk_add_f32 v[90:91], v[90:91], v[92:93]
	s_or_b32 s1, vcc_lo, s1
	s_delay_alu instid0(SALU_CYCLE_1)
	s_and_not1_b32 exec_lo, exec_lo, s1
	s_cbranch_execnz .LBB106_25
; %bb.26:
	s_or_b32 exec_lo, exec_lo, s1
	v_mov_b32_e32 v9, 0
	ds_load_b64 v[92:93], v9 offset:24
	s_wait_dscnt 0x0
	v_pk_mul_f32 v[94:95], v[90:91], v[92:93] op_sel:[1,1] op_sel_hi:[0,1]
	s_delay_alu instid0(VALU_DEP_1) | instskip(SKIP_1) | instid1(VALU_DEP_2)
	v_pk_fma_f32 v[96:97], v[90:91], v[92:93], v[94:95] op_sel_hi:[1,0,1]
	v_pk_fma_f32 v[90:91], v[90:91], v[92:93], v[94:95] neg_lo:[0,0,1] neg_hi:[0,0,1]
	v_mov_b32_e32 v91, v97
	scratch_store_b64 off, v[90:91], off offset:24
.LBB106_27:
	s_wait_xcnt 0x0
	s_or_b32 exec_lo, exec_lo, s0
	s_wait_storecnt 0x0
	s_barrier_signal -1
	s_barrier_wait -1
	scratch_load_b64 v[90:91], off, off offset:32
	s_mov_b32 s0, exec_lo
	s_wait_loadcnt 0x0
	ds_store_b64 v1, v[90:91]
	s_wait_dscnt 0x0
	s_barrier_signal -1
	s_barrier_wait -1
	v_cmpx_gt_u32_e32 4, v0
	s_cbranch_execz .LBB106_31
; %bb.28:
	v_dual_mov_b32 v90, 0 :: v_dual_add_nc_u32 v9, -1, v0
	v_add_nc_u32_e32 v11, 0x160, v88
	v_mov_b32_e32 v13, v88
	s_mov_b32 s1, 0
	s_delay_alu instid0(VALU_DEP_3)
	v_mov_b32_e32 v91, v90
.LBB106_29:                             ; =>This Inner Loop Header: Depth=1
	scratch_load_b64 v[92:93], v13, off
	ds_load_b64 v[94:95], v11
	s_wait_xcnt 0x0
	v_dual_add_nc_u32 v11, 8, v11 :: v_dual_add_nc_u32 v13, 8, v13
	s_wait_loadcnt_dscnt 0x0
	v_pk_mul_f32 v[96:97], v[94:95], v[92:93] op_sel:[1,1] op_sel_hi:[0,1]
	s_delay_alu instid0(VALU_DEP_1) | instskip(SKIP_2) | instid1(VALU_DEP_3)
	v_pk_fma_f32 v[98:99], v[94:95], v[92:93], v[96:97] op_sel_hi:[1,0,1]
	v_add_nc_u32_e32 v9, 1, v9
	v_pk_fma_f32 v[92:93], v[94:95], v[92:93], v[96:97] neg_lo:[0,0,1] neg_hi:[0,0,1]
	v_mov_b32_e32 v93, v99
	s_delay_alu instid0(VALU_DEP_3) | instskip(NEXT) | instid1(VALU_DEP_2)
	v_cmp_lt_u32_e32 vcc_lo, 2, v9
	v_pk_add_f32 v[90:91], v[90:91], v[92:93]
	s_or_b32 s1, vcc_lo, s1
	s_delay_alu instid0(SALU_CYCLE_1)
	s_and_not1_b32 exec_lo, exec_lo, s1
	s_cbranch_execnz .LBB106_29
; %bb.30:
	s_or_b32 exec_lo, exec_lo, s1
	v_mov_b32_e32 v9, 0
	ds_load_b64 v[92:93], v9 offset:32
	s_wait_dscnt 0x0
	v_pk_mul_f32 v[94:95], v[90:91], v[92:93] op_sel:[1,1] op_sel_hi:[0,1]
	s_delay_alu instid0(VALU_DEP_1) | instskip(SKIP_1) | instid1(VALU_DEP_2)
	v_pk_fma_f32 v[96:97], v[90:91], v[92:93], v[94:95] op_sel_hi:[1,0,1]
	v_pk_fma_f32 v[90:91], v[90:91], v[92:93], v[94:95] neg_lo:[0,0,1] neg_hi:[0,0,1]
	v_mov_b32_e32 v91, v97
	scratch_store_b64 off, v[90:91], off offset:32
.LBB106_31:
	s_wait_xcnt 0x0
	s_or_b32 exec_lo, exec_lo, s0
	s_wait_storecnt 0x0
	s_barrier_signal -1
	s_barrier_wait -1
	scratch_load_b64 v[90:91], off, off offset:40
	;; [unrolled: 52-line block ×19, first 2 shown]
	s_mov_b32 s0, exec_lo
	s_wait_loadcnt 0x0
	ds_store_b64 v1, v[90:91]
	s_wait_dscnt 0x0
	s_barrier_signal -1
	s_barrier_wait -1
	v_cmpx_gt_u32_e32 22, v0
	s_cbranch_execz .LBB106_103
; %bb.100:
	v_dual_mov_b32 v90, 0 :: v_dual_add_nc_u32 v9, -1, v0
	v_add_nc_u32_e32 v11, 0x160, v88
	v_mov_b32_e32 v13, v88
	s_mov_b32 s1, 0
	s_delay_alu instid0(VALU_DEP_3)
	v_mov_b32_e32 v91, v90
.LBB106_101:                            ; =>This Inner Loop Header: Depth=1
	scratch_load_b64 v[92:93], v13, off
	ds_load_b64 v[94:95], v11
	s_wait_xcnt 0x0
	v_dual_add_nc_u32 v11, 8, v11 :: v_dual_add_nc_u32 v13, 8, v13
	s_wait_loadcnt_dscnt 0x0
	v_pk_mul_f32 v[96:97], v[94:95], v[92:93] op_sel:[1,1] op_sel_hi:[0,1]
	s_delay_alu instid0(VALU_DEP_1) | instskip(SKIP_2) | instid1(VALU_DEP_3)
	v_pk_fma_f32 v[98:99], v[94:95], v[92:93], v[96:97] op_sel_hi:[1,0,1]
	v_add_nc_u32_e32 v9, 1, v9
	v_pk_fma_f32 v[92:93], v[94:95], v[92:93], v[96:97] neg_lo:[0,0,1] neg_hi:[0,0,1]
	v_mov_b32_e32 v93, v99
	s_delay_alu instid0(VALU_DEP_3) | instskip(NEXT) | instid1(VALU_DEP_2)
	v_cmp_lt_u32_e32 vcc_lo, 20, v9
	v_pk_add_f32 v[90:91], v[90:91], v[92:93]
	s_or_b32 s1, vcc_lo, s1
	s_delay_alu instid0(SALU_CYCLE_1)
	s_and_not1_b32 exec_lo, exec_lo, s1
	s_cbranch_execnz .LBB106_101
; %bb.102:
	s_or_b32 exec_lo, exec_lo, s1
	v_mov_b32_e32 v9, 0
	ds_load_b64 v[92:93], v9 offset:176
	s_wait_dscnt 0x0
	v_pk_mul_f32 v[94:95], v[90:91], v[92:93] op_sel:[1,1] op_sel_hi:[0,1]
	s_delay_alu instid0(VALU_DEP_1) | instskip(SKIP_1) | instid1(VALU_DEP_2)
	v_pk_fma_f32 v[96:97], v[90:91], v[92:93], v[94:95] op_sel_hi:[1,0,1]
	v_pk_fma_f32 v[90:91], v[90:91], v[92:93], v[94:95] neg_lo:[0,0,1] neg_hi:[0,0,1]
	v_mov_b32_e32 v91, v97
	scratch_store_b64 off, v[90:91], off offset:176
.LBB106_103:
	s_wait_xcnt 0x0
	s_or_b32 exec_lo, exec_lo, s0
	s_wait_storecnt 0x0
	s_barrier_signal -1
	s_barrier_wait -1
	scratch_load_b64 v[90:91], off, off offset:184
	s_mov_b32 s0, exec_lo
	s_wait_loadcnt 0x0
	ds_store_b64 v1, v[90:91]
	s_wait_dscnt 0x0
	s_barrier_signal -1
	s_barrier_wait -1
	v_cmpx_gt_u32_e32 23, v0
	s_cbranch_execz .LBB106_107
; %bb.104:
	v_dual_mov_b32 v90, 0 :: v_dual_add_nc_u32 v9, -1, v0
	v_add_nc_u32_e32 v11, 0x160, v88
	v_mov_b32_e32 v13, v88
	s_mov_b32 s1, 0
	s_delay_alu instid0(VALU_DEP_3)
	v_mov_b32_e32 v91, v90
.LBB106_105:                            ; =>This Inner Loop Header: Depth=1
	scratch_load_b64 v[92:93], v13, off
	ds_load_b64 v[94:95], v11
	s_wait_xcnt 0x0
	v_dual_add_nc_u32 v11, 8, v11 :: v_dual_add_nc_u32 v13, 8, v13
	s_wait_loadcnt_dscnt 0x0
	v_pk_mul_f32 v[96:97], v[94:95], v[92:93] op_sel:[1,1] op_sel_hi:[0,1]
	s_delay_alu instid0(VALU_DEP_1) | instskip(SKIP_2) | instid1(VALU_DEP_3)
	v_pk_fma_f32 v[98:99], v[94:95], v[92:93], v[96:97] op_sel_hi:[1,0,1]
	v_add_nc_u32_e32 v9, 1, v9
	v_pk_fma_f32 v[92:93], v[94:95], v[92:93], v[96:97] neg_lo:[0,0,1] neg_hi:[0,0,1]
	v_mov_b32_e32 v93, v99
	s_delay_alu instid0(VALU_DEP_3) | instskip(NEXT) | instid1(VALU_DEP_2)
	v_cmp_lt_u32_e32 vcc_lo, 21, v9
	v_pk_add_f32 v[90:91], v[90:91], v[92:93]
	s_or_b32 s1, vcc_lo, s1
	s_delay_alu instid0(SALU_CYCLE_1)
	s_and_not1_b32 exec_lo, exec_lo, s1
	s_cbranch_execnz .LBB106_105
; %bb.106:
	s_or_b32 exec_lo, exec_lo, s1
	v_mov_b32_e32 v9, 0
	ds_load_b64 v[92:93], v9 offset:184
	s_wait_dscnt 0x0
	v_pk_mul_f32 v[94:95], v[90:91], v[92:93] op_sel:[1,1] op_sel_hi:[0,1]
	s_delay_alu instid0(VALU_DEP_1) | instskip(SKIP_1) | instid1(VALU_DEP_2)
	v_pk_fma_f32 v[96:97], v[90:91], v[92:93], v[94:95] op_sel_hi:[1,0,1]
	v_pk_fma_f32 v[90:91], v[90:91], v[92:93], v[94:95] neg_lo:[0,0,1] neg_hi:[0,0,1]
	v_mov_b32_e32 v91, v97
	scratch_store_b64 off, v[90:91], off offset:184
.LBB106_107:
	s_wait_xcnt 0x0
	s_or_b32 exec_lo, exec_lo, s0
	s_wait_storecnt 0x0
	s_barrier_signal -1
	s_barrier_wait -1
	scratch_load_b64 v[90:91], off, off offset:192
	;; [unrolled: 52-line block ×20, first 2 shown]
	s_mov_b32 s0, exec_lo
	s_wait_loadcnt 0x0
	ds_store_b64 v1, v[90:91]
	s_wait_dscnt 0x0
	s_barrier_signal -1
	s_barrier_wait -1
	v_cmpx_ne_u32_e32 42, v0
	s_cbranch_execz .LBB106_183
; %bb.180:
	v_dual_mov_b32 v90, 0 :: v_dual_mov_b32 v9, v88
	s_mov_b32 s1, 0
	s_delay_alu instid0(VALU_DEP_1)
	v_mov_b32_e32 v91, v90
.LBB106_181:                            ; =>This Inner Loop Header: Depth=1
	scratch_load_b64 v[88:89], v9, off
	ds_load_b64 v[92:93], v1
	v_add_nc_u32_e32 v1, 8, v1
	s_wait_xcnt 0x0
	v_add_nc_u32_e32 v9, 8, v9
	s_wait_loadcnt_dscnt 0x0
	v_pk_mul_f32 v[94:95], v[92:93], v[88:89] op_sel:[1,1] op_sel_hi:[0,1]
	s_delay_alu instid0(VALU_DEP_1) | instskip(SKIP_2) | instid1(VALU_DEP_3)
	v_pk_fma_f32 v[96:97], v[92:93], v[88:89], v[94:95] op_sel_hi:[1,0,1]
	v_add_nc_u32_e32 v7, 1, v7
	v_pk_fma_f32 v[88:89], v[92:93], v[88:89], v[94:95] neg_lo:[0,0,1] neg_hi:[0,0,1]
	v_mov_b32_e32 v89, v97
	s_delay_alu instid0(VALU_DEP_3) | instskip(NEXT) | instid1(VALU_DEP_2)
	v_cmp_lt_u32_e32 vcc_lo, 40, v7
	v_pk_add_f32 v[90:91], v[90:91], v[88:89]
	s_or_b32 s1, vcc_lo, s1
	s_delay_alu instid0(SALU_CYCLE_1)
	s_and_not1_b32 exec_lo, exec_lo, s1
	s_cbranch_execnz .LBB106_181
; %bb.182:
	s_or_b32 exec_lo, exec_lo, s1
	v_mov_b32_e32 v1, 0
	ds_load_b64 v[88:89], v1 offset:336
	s_wait_dscnt 0x0
	v_pk_mul_f32 v[92:93], v[90:91], v[88:89] op_sel:[1,1] op_sel_hi:[0,1]
	s_delay_alu instid0(VALU_DEP_1) | instskip(SKIP_1) | instid1(VALU_DEP_2)
	v_pk_fma_f32 v[94:95], v[90:91], v[88:89], v[92:93] op_sel_hi:[1,0,1]
	v_pk_fma_f32 v[88:89], v[90:91], v[88:89], v[92:93] neg_lo:[0,0,1] neg_hi:[0,0,1]
	v_mov_b32_e32 v89, v95
	scratch_store_b64 off, v[88:89], off offset:336
.LBB106_183:
	s_wait_xcnt 0x0
	s_or_b32 exec_lo, exec_lo, s0
	s_mov_b32 s1, -1
	s_wait_storecnt 0x0
	s_barrier_signal -1
	s_barrier_wait -1
.LBB106_184:
	s_and_b32 vcc_lo, exec_lo, s1
	s_cbranch_vccz .LBB106_186
; %bb.185:
	v_mov_b32_e32 v1, 0
	s_lshl_b64 s[0:1], s[10:11], 2
	s_delay_alu instid0(SALU_CYCLE_1)
	s_add_nc_u64 s[0:1], s[6:7], s[0:1]
	global_load_b32 v1, v1, s[0:1]
	s_wait_loadcnt 0x0
	v_cmp_ne_u32_e32 vcc_lo, 0, v1
	s_cbranch_vccz .LBB106_187
.LBB106_186:
	s_sendmsg sendmsg(MSG_DEALLOC_VGPRS)
	s_endpgm
.LBB106_187:
	s_wait_xcnt 0x0
	v_lshl_add_u32 v1, v0, 3, 0x160
	s_mov_b32 s0, exec_lo
	v_cmpx_eq_u32_e32 42, v0
	s_cbranch_execz .LBB106_189
; %bb.188:
	scratch_load_b64 v[88:89], off, off offset:328
	v_mov_b64_e32 v[90:91], 0
	scratch_store_b64 off, v[90:91], off offset:328
	s_wait_loadcnt 0x0
	ds_store_b64 v1, v[88:89]
.LBB106_189:
	s_wait_xcnt 0x0
	s_or_b32 exec_lo, exec_lo, s0
	s_wait_storecnt_dscnt 0x0
	s_barrier_signal -1
	s_barrier_wait -1
	s_clause 0x1
	scratch_load_b64 v[88:89], off, off offset:336
	scratch_load_b64 v[90:91], off, off offset:328
	v_mov_b32_e32 v7, 0
	s_mov_b32 s0, exec_lo
	ds_load_b64 v[92:93], v7 offset:688
	s_wait_loadcnt_dscnt 0x100
	v_pk_mul_f32 v[94:95], v[92:93], v[88:89] op_sel:[1,1] op_sel_hi:[0,1]
	s_delay_alu instid0(VALU_DEP_1) | instskip(SKIP_1) | instid1(VALU_DEP_2)
	v_pk_fma_f32 v[96:97], v[92:93], v[88:89], v[94:95] op_sel_hi:[1,0,1]
	v_pk_fma_f32 v[88:89], v[92:93], v[88:89], v[94:95] neg_lo:[0,0,1] neg_hi:[0,0,1]
	v_mov_b32_e32 v89, v97
	s_delay_alu instid0(VALU_DEP_1) | instskip(SKIP_1) | instid1(VALU_DEP_1)
	v_pk_add_f32 v[88:89], v[88:89], 0 op_sel_hi:[1,0]
	s_wait_loadcnt 0x0
	v_pk_add_f32 v[88:89], v[90:91], v[88:89] neg_lo:[0,1] neg_hi:[0,1]
	scratch_store_b64 off, v[88:89], off offset:328
	s_wait_xcnt 0x0
	v_cmpx_lt_u32_e32 40, v0
	s_cbranch_execz .LBB106_191
; %bb.190:
	scratch_load_b64 v[88:89], off, off offset:320
	v_mov_b64_e32 v[90:91], 0
	scratch_store_b64 off, v[90:91], off offset:320
	s_wait_loadcnt 0x0
	ds_store_b64 v1, v[88:89]
.LBB106_191:
	s_wait_xcnt 0x0
	s_or_b32 exec_lo, exec_lo, s0
	s_wait_storecnt_dscnt 0x0
	s_barrier_signal -1
	s_barrier_wait -1
	s_clause 0x1
	scratch_load_b128 v[88:91], off, off offset:328
	scratch_load_b64 v[96:97], off, off offset:320
	ds_load_2addr_b64 v[92:95], v7 offset0:85 offset1:86
	s_mov_b32 s0, exec_lo
	s_wait_dscnt 0x0
	v_dual_mov_b32 v98, v95 :: v_dual_mov_b32 v99, v94
	s_wait_loadcnt 0x1
	v_pk_mul_f32 v[100:101], v[92:93], v[88:89] op_sel:[1,1] op_sel_hi:[0,1]
	s_delay_alu instid0(VALU_DEP_1) | instskip(SKIP_2) | instid1(VALU_DEP_3)
	v_pk_fma_f32 v[104:105], v[92:93], v[88:89], v[100:101] op_sel_hi:[1,0,1]
	v_mov_b32_e32 v102, v91
	v_pk_fma_f32 v[88:89], v[92:93], v[88:89], v[100:101] neg_lo:[0,0,1] neg_hi:[0,0,1]
	v_mov_b32_e32 v89, v105
	s_delay_alu instid0(VALU_DEP_3) | instskip(NEXT) | instid1(VALU_DEP_2)
	v_pk_mul_f32 v[98:99], v[98:99], v[102:103] op_sel_hi:[1,0]
	v_pk_add_f32 v[88:89], v[88:89], 0 op_sel_hi:[1,0]
	s_delay_alu instid0(VALU_DEP_2) | instskip(SKIP_1) | instid1(VALU_DEP_2)
	v_pk_fma_f32 v[92:93], v[94:95], v[90:91], v[98:99] op_sel_hi:[1,0,1]
	v_pk_fma_f32 v[90:91], v[94:95], v[90:91], v[98:99] neg_lo:[0,0,1] neg_hi:[0,0,1]
	v_mov_b32_e32 v91, v93
	s_delay_alu instid0(VALU_DEP_1) | instskip(SKIP_1) | instid1(VALU_DEP_1)
	v_pk_add_f32 v[88:89], v[88:89], v[90:91]
	s_wait_loadcnt 0x0
	v_pk_add_f32 v[88:89], v[96:97], v[88:89] neg_lo:[0,1] neg_hi:[0,1]
	scratch_store_b64 off, v[88:89], off offset:320
	s_wait_xcnt 0x0
	v_cmpx_lt_u32_e32 39, v0
	s_cbranch_execz .LBB106_193
; %bb.192:
	scratch_load_b64 v[88:89], off, off offset:312
	v_mov_b64_e32 v[90:91], 0
	scratch_store_b64 off, v[90:91], off offset:312
	s_wait_loadcnt 0x0
	ds_store_b64 v1, v[88:89]
.LBB106_193:
	s_wait_xcnt 0x0
	s_or_b32 exec_lo, exec_lo, s0
	s_wait_storecnt_dscnt 0x0
	s_barrier_signal -1
	s_barrier_wait -1
	s_clause 0x2
	scratch_load_b128 v[88:91], off, off offset:320
	scratch_load_b64 v[96:97], off, off offset:336
	scratch_load_b64 v[98:99], off, off offset:312
	v_mov_b32_e32 v7, 0
	ds_load_b128 v[92:95], v7 offset:672
	ds_load_b64 v[100:101], v7 offset:688
	s_mov_b32 s0, exec_lo
	s_wait_dscnt 0x1
	v_dual_mov_b32 v102, v95 :: v_dual_mov_b32 v103, v94
	s_wait_loadcnt 0x2
	v_mov_b32_e32 v106, v91
	v_pk_mul_f32 v[104:105], v[92:93], v[88:89] op_sel:[1,1] op_sel_hi:[0,1]
	s_delay_alu instid0(VALU_DEP_2) | instskip(NEXT) | instid1(VALU_DEP_2)
	v_pk_mul_f32 v[102:103], v[102:103], v[106:107] op_sel_hi:[1,0]
	v_pk_fma_f32 v[108:109], v[92:93], v[88:89], v[104:105] op_sel_hi:[1,0,1]
	v_pk_fma_f32 v[88:89], v[92:93], v[88:89], v[104:105] neg_lo:[0,0,1] neg_hi:[0,0,1]
	s_wait_loadcnt_dscnt 0x100
	v_pk_mul_f32 v[104:105], v[100:101], v[96:97] op_sel:[1,1] op_sel_hi:[0,1]
	v_pk_fma_f32 v[92:93], v[94:95], v[90:91], v[102:103] op_sel_hi:[1,0,1]
	v_mov_b32_e32 v89, v109
	v_pk_fma_f32 v[90:91], v[94:95], v[90:91], v[102:103] neg_lo:[0,0,1] neg_hi:[0,0,1]
	s_delay_alu instid0(VALU_DEP_4) | instskip(NEXT) | instid1(VALU_DEP_4)
	v_pk_fma_f32 v[94:95], v[100:101], v[96:97], v[104:105] neg_lo:[0,0,1] neg_hi:[0,0,1]
	v_mov_b32_e32 v91, v93
	s_delay_alu instid0(VALU_DEP_4) | instskip(SKIP_1) | instid1(VALU_DEP_2)
	v_pk_add_f32 v[88:89], v[88:89], 0 op_sel_hi:[1,0]
	v_pk_fma_f32 v[92:93], v[100:101], v[96:97], v[104:105] op_sel_hi:[1,0,1]
	v_pk_add_f32 v[88:89], v[88:89], v[90:91]
	s_delay_alu instid0(VALU_DEP_2) | instskip(NEXT) | instid1(VALU_DEP_1)
	v_mov_b32_e32 v95, v93
	v_pk_add_f32 v[88:89], v[88:89], v[94:95]
	s_wait_loadcnt 0x0
	s_delay_alu instid0(VALU_DEP_1)
	v_pk_add_f32 v[88:89], v[98:99], v[88:89] neg_lo:[0,1] neg_hi:[0,1]
	scratch_store_b64 off, v[88:89], off offset:312
	s_wait_xcnt 0x0
	v_cmpx_lt_u32_e32 38, v0
	s_cbranch_execz .LBB106_195
; %bb.194:
	scratch_load_b64 v[88:89], off, off offset:304
	v_mov_b64_e32 v[90:91], 0
	scratch_store_b64 off, v[90:91], off offset:304
	s_wait_loadcnt 0x0
	ds_store_b64 v1, v[88:89]
.LBB106_195:
	s_wait_xcnt 0x0
	s_or_b32 exec_lo, exec_lo, s0
	s_wait_storecnt_dscnt 0x0
	s_barrier_signal -1
	s_barrier_wait -1
	s_clause 0x2
	scratch_load_b128 v[88:91], off, off offset:312
	scratch_load_b128 v[92:95], off, off offset:328
	scratch_load_b64 v[104:105], off, off offset:304
	ds_load_2addr_b64 v[96:99], v7 offset0:83 offset1:84
	ds_load_2addr_b64 v[100:103], v7 offset0:85 offset1:86
	s_mov_b32 s0, exec_lo
	s_wait_dscnt 0x1
	v_dual_mov_b32 v106, v99 :: v_dual_mov_b32 v107, v98
	s_wait_loadcnt_dscnt 0x200
	v_dual_mov_b32 v112, v103 :: v_dual_mov_b32 v110, v91
	v_pk_mul_f32 v[108:109], v[96:97], v[88:89] op_sel:[1,1] op_sel_hi:[0,1]
	s_delay_alu instid0(VALU_DEP_2) | instskip(NEXT) | instid1(VALU_DEP_2)
	v_pk_mul_f32 v[106:107], v[106:107], v[110:111] op_sel_hi:[1,0]
	v_pk_fma_f32 v[114:115], v[96:97], v[88:89], v[108:109] op_sel_hi:[1,0,1]
	v_pk_fma_f32 v[88:89], v[96:97], v[88:89], v[108:109] neg_lo:[0,0,1] neg_hi:[0,0,1]
	v_mov_b32_e32 v113, v102
	s_wait_loadcnt 0x1
	v_pk_mul_f32 v[110:111], v[100:101], v[92:93] op_sel:[1,1] op_sel_hi:[0,1]
	v_pk_fma_f32 v[96:97], v[98:99], v[90:91], v[106:107] op_sel_hi:[1,0,1]
	v_dual_mov_b32 v89, v115 :: v_dual_mov_b32 v96, v95
	v_pk_fma_f32 v[90:91], v[98:99], v[90:91], v[106:107] neg_lo:[0,0,1] neg_hi:[0,0,1]
	s_delay_alu instid0(VALU_DEP_4) | instskip(NEXT) | instid1(VALU_DEP_4)
	v_pk_fma_f32 v[108:109], v[100:101], v[92:93], v[110:111] op_sel_hi:[1,0,1]
	v_mov_b32_e32 v91, v97
	s_delay_alu instid0(VALU_DEP_4) | instskip(SKIP_2) | instid1(VALU_DEP_3)
	v_pk_add_f32 v[88:89], v[88:89], 0 op_sel_hi:[1,0]
	v_pk_mul_f32 v[96:97], v[112:113], v[96:97] op_sel_hi:[1,0]
	v_pk_fma_f32 v[92:93], v[100:101], v[92:93], v[110:111] neg_lo:[0,0,1] neg_hi:[0,0,1]
	v_pk_add_f32 v[88:89], v[88:89], v[90:91]
	s_delay_alu instid0(VALU_DEP_3) | instskip(SKIP_2) | instid1(VALU_DEP_3)
	v_pk_fma_f32 v[90:91], v[102:103], v[94:95], v[96:97] op_sel_hi:[1,0,1]
	v_mov_b32_e32 v93, v109
	v_pk_fma_f32 v[94:95], v[102:103], v[94:95], v[96:97] neg_lo:[0,0,1] neg_hi:[0,0,1]
	v_mov_b32_e32 v95, v91
	s_delay_alu instid0(VALU_DEP_3) | instskip(NEXT) | instid1(VALU_DEP_1)
	v_pk_add_f32 v[88:89], v[88:89], v[92:93]
	v_pk_add_f32 v[88:89], v[88:89], v[94:95]
	s_wait_loadcnt 0x0
	s_delay_alu instid0(VALU_DEP_1)
	v_pk_add_f32 v[88:89], v[104:105], v[88:89] neg_lo:[0,1] neg_hi:[0,1]
	scratch_store_b64 off, v[88:89], off offset:304
	s_wait_xcnt 0x0
	v_cmpx_lt_u32_e32 37, v0
	s_cbranch_execz .LBB106_197
; %bb.196:
	scratch_load_b64 v[88:89], off, off offset:296
	v_mov_b64_e32 v[90:91], 0
	scratch_store_b64 off, v[90:91], off offset:296
	s_wait_loadcnt 0x0
	ds_store_b64 v1, v[88:89]
.LBB106_197:
	s_wait_xcnt 0x0
	s_or_b32 exec_lo, exec_lo, s0
	s_wait_storecnt_dscnt 0x0
	s_barrier_signal -1
	s_barrier_wait -1
	s_clause 0x3
	scratch_load_b128 v[88:91], off, off offset:304
	scratch_load_b128 v[92:95], off, off offset:320
	scratch_load_b64 v[104:105], off, off offset:336
	scratch_load_b64 v[106:107], off, off offset:296
	v_mov_b32_e32 v7, 0
	ds_load_b128 v[96:99], v7 offset:656
	ds_load_b128 v[100:103], v7 offset:672
	s_mov_b32 s0, exec_lo
	s_wait_dscnt 0x1
	v_dual_mov_b32 v108, v99 :: v_dual_mov_b32 v109, v98
	ds_load_b64 v[114:115], v7 offset:688
	s_wait_dscnt 0x1
	v_dual_mov_b32 v116, v103 :: v_dual_mov_b32 v117, v102
	s_wait_loadcnt 0x3
	v_pk_mul_f32 v[110:111], v[96:97], v[88:89] op_sel:[1,1] op_sel_hi:[0,1]
	v_mov_b32_e32 v112, v91
	s_delay_alu instid0(VALU_DEP_2) | instskip(NEXT) | instid1(VALU_DEP_2)
	v_pk_fma_f32 v[118:119], v[96:97], v[88:89], v[110:111] op_sel_hi:[1,0,1]
	v_pk_mul_f32 v[108:109], v[108:109], v[112:113] op_sel_hi:[1,0]
	v_pk_fma_f32 v[88:89], v[96:97], v[88:89], v[110:111] neg_lo:[0,0,1] neg_hi:[0,0,1]
	s_wait_loadcnt 0x2
	v_pk_mul_f32 v[112:113], v[100:101], v[92:93] op_sel:[1,1] op_sel_hi:[0,1]
	v_dual_mov_b32 v118, v95 :: v_dual_mov_b32 v89, v119
	v_pk_fma_f32 v[96:97], v[98:99], v[90:91], v[108:109] op_sel_hi:[1,0,1]
	v_pk_fma_f32 v[90:91], v[98:99], v[90:91], v[108:109] neg_lo:[0,0,1] neg_hi:[0,0,1]
	s_delay_alu instid0(VALU_DEP_4) | instskip(NEXT) | instid1(VALU_DEP_4)
	v_pk_fma_f32 v[110:111], v[100:101], v[92:93], v[112:113] op_sel_hi:[1,0,1]
	v_pk_mul_f32 v[116:117], v[116:117], v[118:119] op_sel_hi:[1,0]
	v_pk_add_f32 v[88:89], v[88:89], 0 op_sel_hi:[1,0]
	v_mov_b32_e32 v91, v97
	v_pk_fma_f32 v[92:93], v[100:101], v[92:93], v[112:113] neg_lo:[0,0,1] neg_hi:[0,0,1]
	v_mov_b32_e32 v93, v111
	v_pk_fma_f32 v[96:97], v[102:103], v[94:95], v[116:117] op_sel_hi:[1,0,1]
	v_pk_fma_f32 v[94:95], v[102:103], v[94:95], v[116:117] neg_lo:[0,0,1] neg_hi:[0,0,1]
	v_pk_add_f32 v[88:89], v[88:89], v[90:91]
	s_wait_loadcnt_dscnt 0x100
	v_pk_mul_f32 v[90:91], v[114:115], v[104:105] op_sel:[1,1] op_sel_hi:[0,1]
	s_delay_alu instid0(VALU_DEP_2) | instskip(NEXT) | instid1(VALU_DEP_2)
	v_pk_add_f32 v[88:89], v[88:89], v[92:93]
	v_pk_fma_f32 v[92:93], v[114:115], v[104:105], v[90:91] op_sel_hi:[1,0,1]
	v_mov_b32_e32 v95, v97
	v_pk_fma_f32 v[90:91], v[114:115], v[104:105], v[90:91] neg_lo:[0,0,1] neg_hi:[0,0,1]
	s_delay_alu instid0(VALU_DEP_3) | instskip(NEXT) | instid1(VALU_DEP_3)
	v_mov_b32_e32 v91, v93
	v_pk_add_f32 v[88:89], v[88:89], v[94:95]
	s_delay_alu instid0(VALU_DEP_1) | instskip(SKIP_1) | instid1(VALU_DEP_1)
	v_pk_add_f32 v[88:89], v[88:89], v[90:91]
	s_wait_loadcnt 0x0
	v_pk_add_f32 v[88:89], v[106:107], v[88:89] neg_lo:[0,1] neg_hi:[0,1]
	scratch_store_b64 off, v[88:89], off offset:296
	s_wait_xcnt 0x0
	v_cmpx_lt_u32_e32 36, v0
	s_cbranch_execz .LBB106_199
; %bb.198:
	scratch_load_b64 v[88:89], off, off offset:288
	v_mov_b64_e32 v[90:91], 0
	scratch_store_b64 off, v[90:91], off offset:288
	s_wait_loadcnt 0x0
	ds_store_b64 v1, v[88:89]
.LBB106_199:
	s_wait_xcnt 0x0
	s_or_b32 exec_lo, exec_lo, s0
	s_wait_storecnt_dscnt 0x0
	s_barrier_signal -1
	s_barrier_wait -1
	s_clause 0x3
	scratch_load_b128 v[88:91], off, off offset:296
	scratch_load_b128 v[92:95], off, off offset:312
	;; [unrolled: 1-line block ×3, first 2 shown]
	scratch_load_b64 v[112:113], off, off offset:288
	ds_load_2addr_b64 v[100:103], v7 offset0:81 offset1:82
	ds_load_2addr_b64 v[104:107], v7 offset0:83 offset1:84
	;; [unrolled: 1-line block ×3, first 2 shown]
	s_mov_b32 s0, exec_lo
	s_wait_dscnt 0x2
	v_dual_mov_b32 v114, v103 :: v_dual_mov_b32 v115, v102
	s_wait_dscnt 0x1
	v_dual_mov_b32 v116, v107 :: v_dual_mov_b32 v117, v106
	;; [unrolled: 2-line block ×3, first 2 shown]
	s_wait_loadcnt 0x3
	v_pk_mul_f32 v[118:119], v[100:101], v[88:89] op_sel:[1,1] op_sel_hi:[0,1]
	v_mov_b32_e32 v120, v91
	s_delay_alu instid0(VALU_DEP_2) | instskip(NEXT) | instid1(VALU_DEP_2)
	v_pk_fma_f32 v[124:125], v[100:101], v[88:89], v[118:119] op_sel_hi:[1,0,1]
	v_pk_mul_f32 v[114:115], v[114:115], v[120:121] op_sel_hi:[1,0]
	v_pk_fma_f32 v[88:89], v[100:101], v[88:89], v[118:119] neg_lo:[0,0,1] neg_hi:[0,0,1]
	s_wait_loadcnt 0x2
	v_pk_mul_f32 v[120:121], v[104:105], v[92:93] op_sel:[1,1] op_sel_hi:[0,1]
	v_mov_b32_e32 v124, v95
	v_pk_fma_f32 v[100:101], v[102:103], v[90:91], v[114:115] op_sel_hi:[1,0,1]
	v_mov_b32_e32 v89, v125
	v_pk_fma_f32 v[90:91], v[102:103], v[90:91], v[114:115] neg_lo:[0,0,1] neg_hi:[0,0,1]
	v_pk_fma_f32 v[118:119], v[104:105], v[92:93], v[120:121] op_sel_hi:[1,0,1]
	v_pk_mul_f32 v[116:117], v[116:117], v[124:125] op_sel_hi:[1,0]
	v_mov_b32_e32 v91, v101
	v_pk_add_f32 v[88:89], v[88:89], 0 op_sel_hi:[1,0]
	v_pk_fma_f32 v[92:93], v[104:105], v[92:93], v[120:121] neg_lo:[0,0,1] neg_hi:[0,0,1]
	s_wait_loadcnt 0x1
	v_pk_mul_f32 v[100:101], v[108:109], v[96:97] op_sel:[1,1] op_sel_hi:[0,1]
	v_mov_b32_e32 v93, v119
	v_pk_fma_f32 v[102:103], v[106:107], v[94:95], v[116:117] op_sel_hi:[1,0,1]
	v_pk_add_f32 v[88:89], v[88:89], v[90:91]
	v_mov_b32_e32 v90, v99
	v_pk_fma_f32 v[94:95], v[106:107], v[94:95], v[116:117] neg_lo:[0,0,1] neg_hi:[0,0,1]
	v_pk_fma_f32 v[104:105], v[108:109], v[96:97], v[100:101] op_sel_hi:[1,0,1]
	v_mov_b32_e32 v95, v103
	v_pk_add_f32 v[88:89], v[88:89], v[92:93]
	v_pk_mul_f32 v[90:91], v[122:123], v[90:91] op_sel_hi:[1,0]
	v_pk_fma_f32 v[92:93], v[108:109], v[96:97], v[100:101] neg_lo:[0,0,1] neg_hi:[0,0,1]
	v_mov_b32_e32 v93, v105
	s_delay_alu instid0(VALU_DEP_4) | instskip(NEXT) | instid1(VALU_DEP_4)
	v_pk_add_f32 v[88:89], v[88:89], v[94:95]
	v_pk_fma_f32 v[94:95], v[110:111], v[98:99], v[90:91] op_sel_hi:[1,0,1]
	v_pk_fma_f32 v[90:91], v[110:111], v[98:99], v[90:91] neg_lo:[0,0,1] neg_hi:[0,0,1]
	s_delay_alu instid0(VALU_DEP_3) | instskip(NEXT) | instid1(VALU_DEP_3)
	v_pk_add_f32 v[88:89], v[88:89], v[92:93]
	v_mov_b32_e32 v91, v95
	s_delay_alu instid0(VALU_DEP_1) | instskip(SKIP_1) | instid1(VALU_DEP_1)
	v_pk_add_f32 v[88:89], v[88:89], v[90:91]
	s_wait_loadcnt 0x0
	v_pk_add_f32 v[88:89], v[112:113], v[88:89] neg_lo:[0,1] neg_hi:[0,1]
	scratch_store_b64 off, v[88:89], off offset:288
	s_wait_xcnt 0x0
	v_cmpx_lt_u32_e32 35, v0
	s_cbranch_execz .LBB106_201
; %bb.200:
	scratch_load_b64 v[88:89], off, off offset:280
	v_mov_b64_e32 v[90:91], 0
	scratch_store_b64 off, v[90:91], off offset:280
	s_wait_loadcnt 0x0
	ds_store_b64 v1, v[88:89]
.LBB106_201:
	s_wait_xcnt 0x0
	s_or_b32 exec_lo, exec_lo, s0
	s_wait_storecnt_dscnt 0x0
	s_barrier_signal -1
	s_barrier_wait -1
	s_clause 0x4
	scratch_load_b128 v[88:91], off, off offset:288
	scratch_load_b128 v[92:95], off, off offset:304
	;; [unrolled: 1-line block ×3, first 2 shown]
	scratch_load_b64 v[112:113], off, off offset:336
	scratch_load_b64 v[114:115], off, off offset:280
	v_mov_b32_e32 v7, 0
	ds_load_b128 v[100:103], v7 offset:640
	ds_load_b128 v[104:107], v7 offset:656
	;; [unrolled: 1-line block ×3, first 2 shown]
	ds_load_b64 v[116:117], v7 offset:688
	s_mov_b32 s0, exec_lo
	s_wait_dscnt 0x3
	v_dual_mov_b32 v118, v103 :: v_dual_mov_b32 v119, v102
	s_wait_dscnt 0x2
	v_dual_mov_b32 v120, v107 :: v_dual_mov_b32 v121, v106
	;; [unrolled: 2-line block ×3, first 2 shown]
	s_wait_loadcnt 0x4
	v_pk_mul_f32 v[122:123], v[100:101], v[88:89] op_sel:[1,1] op_sel_hi:[0,1]
	v_mov_b32_e32 v124, v91
	s_wait_loadcnt 0x3
	v_pk_mul_f32 v[128:129], v[104:105], v[92:93] op_sel:[1,1] op_sel_hi:[0,1]
	s_wait_loadcnt 0x2
	v_pk_mul_f32 v[132:133], v[108:109], v[96:97] op_sel:[1,1] op_sel_hi:[0,1]
	v_pk_fma_f32 v[130:131], v[100:101], v[88:89], v[122:123] op_sel_hi:[1,0,1]
	v_pk_mul_f32 v[118:119], v[118:119], v[124:125] op_sel_hi:[1,0]
	v_pk_fma_f32 v[88:89], v[100:101], v[88:89], v[122:123] neg_lo:[0,0,1] neg_hi:[0,0,1]
	v_mov_b32_e32 v124, v95
	v_pk_fma_f32 v[122:123], v[104:105], v[92:93], v[128:129] op_sel_hi:[1,0,1]
	v_mov_b32_e32 v89, v131
	v_pk_fma_f32 v[100:101], v[102:103], v[90:91], v[118:119] op_sel_hi:[1,0,1]
	v_pk_fma_f32 v[90:91], v[102:103], v[90:91], v[118:119] neg_lo:[0,0,1] neg_hi:[0,0,1]
	v_pk_mul_f32 v[120:121], v[120:121], v[124:125] op_sel_hi:[1,0]
	v_pk_fma_f32 v[92:93], v[104:105], v[92:93], v[128:129] neg_lo:[0,0,1] neg_hi:[0,0,1]
	v_pk_add_f32 v[88:89], v[88:89], 0 op_sel_hi:[1,0]
	v_dual_mov_b32 v91, v101 :: v_dual_mov_b32 v100, v99
	s_delay_alu instid0(VALU_DEP_4) | instskip(SKIP_2) | instid1(VALU_DEP_4)
	v_pk_fma_f32 v[102:103], v[106:107], v[94:95], v[120:121] op_sel_hi:[1,0,1]
	v_mov_b32_e32 v93, v123
	v_pk_fma_f32 v[94:95], v[106:107], v[94:95], v[120:121] neg_lo:[0,0,1] neg_hi:[0,0,1]
	v_pk_add_f32 v[88:89], v[88:89], v[90:91]
	v_pk_fma_f32 v[90:91], v[108:109], v[96:97], v[132:133] op_sel_hi:[1,0,1]
	v_pk_mul_f32 v[100:101], v[126:127], v[100:101] op_sel_hi:[1,0]
	v_mov_b32_e32 v95, v103
	s_delay_alu instid0(VALU_DEP_4)
	v_pk_add_f32 v[88:89], v[88:89], v[92:93]
	v_pk_fma_f32 v[92:93], v[108:109], v[96:97], v[132:133] neg_lo:[0,0,1] neg_hi:[0,0,1]
	v_mov_b32_e32 v93, v91
	v_pk_fma_f32 v[90:91], v[110:111], v[98:99], v[100:101] op_sel_hi:[1,0,1]
	v_pk_fma_f32 v[96:97], v[110:111], v[98:99], v[100:101] neg_lo:[0,0,1] neg_hi:[0,0,1]
	v_pk_add_f32 v[88:89], v[88:89], v[94:95]
	s_wait_loadcnt_dscnt 0x100
	v_pk_mul_f32 v[94:95], v[116:117], v[112:113] op_sel:[1,1] op_sel_hi:[0,1]
	v_mov_b32_e32 v97, v91
	s_delay_alu instid0(VALU_DEP_3) | instskip(NEXT) | instid1(VALU_DEP_3)
	v_pk_add_f32 v[88:89], v[88:89], v[92:93]
	v_pk_fma_f32 v[90:91], v[116:117], v[112:113], v[94:95] op_sel_hi:[1,0,1]
	v_pk_fma_f32 v[92:93], v[116:117], v[112:113], v[94:95] neg_lo:[0,0,1] neg_hi:[0,0,1]
	s_delay_alu instid0(VALU_DEP_3) | instskip(NEXT) | instid1(VALU_DEP_3)
	v_pk_add_f32 v[88:89], v[88:89], v[96:97]
	v_mov_b32_e32 v93, v91
	s_delay_alu instid0(VALU_DEP_1) | instskip(SKIP_1) | instid1(VALU_DEP_1)
	v_pk_add_f32 v[88:89], v[88:89], v[92:93]
	s_wait_loadcnt 0x0
	v_pk_add_f32 v[88:89], v[114:115], v[88:89] neg_lo:[0,1] neg_hi:[0,1]
	scratch_store_b64 off, v[88:89], off offset:280
	s_wait_xcnt 0x0
	v_cmpx_lt_u32_e32 34, v0
	s_cbranch_execz .LBB106_203
; %bb.202:
	scratch_load_b64 v[88:89], off, off offset:272
	v_mov_b64_e32 v[90:91], 0
	scratch_store_b64 off, v[90:91], off offset:272
	s_wait_loadcnt 0x0
	ds_store_b64 v1, v[88:89]
.LBB106_203:
	s_wait_xcnt 0x0
	s_or_b32 exec_lo, exec_lo, s0
	s_wait_storecnt_dscnt 0x0
	s_barrier_signal -1
	s_barrier_wait -1
	s_clause 0x4
	scratch_load_b128 v[88:91], off, off offset:280
	scratch_load_b128 v[92:95], off, off offset:296
	;; [unrolled: 1-line block ×4, first 2 shown]
	scratch_load_b64 v[120:121], off, off offset:272
	ds_load_2addr_b64 v[104:107], v7 offset0:79 offset1:80
	ds_load_2addr_b64 v[108:111], v7 offset0:81 offset1:82
	;; [unrolled: 1-line block ×4, first 2 shown]
	s_mov_b32 s0, exec_lo
	s_wait_dscnt 0x3
	v_dual_mov_b32 v122, v107 :: v_dual_mov_b32 v123, v106
	s_wait_dscnt 0x2
	v_dual_mov_b32 v124, v111 :: v_dual_mov_b32 v125, v110
	;; [unrolled: 2-line block ×3, first 2 shown]
	v_dual_mov_b32 v127, v114 :: v_dual_mov_b32 v132, v119
	s_wait_loadcnt 0x4
	v_mov_b32_e32 v130, v91
	v_pk_mul_f32 v[128:129], v[104:105], v[88:89] op_sel:[1,1] op_sel_hi:[0,1]
	s_wait_loadcnt 0x3
	v_pk_mul_f32 v[134:135], v[108:109], v[92:93] op_sel:[1,1] op_sel_hi:[0,1]
	s_wait_loadcnt 0x2
	v_pk_mul_f32 v[138:139], v[112:113], v[96:97] op_sel:[1,1] op_sel_hi:[0,1]
	v_pk_mul_f32 v[122:123], v[122:123], v[130:131] op_sel_hi:[1,0]
	v_pk_fma_f32 v[136:137], v[104:105], v[88:89], v[128:129] op_sel_hi:[1,0,1]
	v_pk_fma_f32 v[88:89], v[104:105], v[88:89], v[128:129] neg_lo:[0,0,1] neg_hi:[0,0,1]
	v_mov_b32_e32 v130, v95
	v_pk_fma_f32 v[128:129], v[108:109], v[92:93], v[134:135] op_sel_hi:[1,0,1]
	v_pk_fma_f32 v[104:105], v[106:107], v[90:91], v[122:123] op_sel_hi:[1,0,1]
	v_mov_b32_e32 v89, v137
	v_pk_fma_f32 v[90:91], v[106:107], v[90:91], v[122:123] neg_lo:[0,0,1] neg_hi:[0,0,1]
	v_pk_mul_f32 v[124:125], v[124:125], v[130:131] op_sel_hi:[1,0]
	s_delay_alu instid0(VALU_DEP_4) | instskip(NEXT) | instid1(VALU_DEP_4)
	v_dual_mov_b32 v104, v99 :: v_dual_mov_b32 v91, v105
	v_pk_add_f32 v[88:89], v[88:89], 0 op_sel_hi:[1,0]
	v_pk_fma_f32 v[92:93], v[108:109], v[92:93], v[134:135] neg_lo:[0,0,1] neg_hi:[0,0,1]
	v_mov_b32_e32 v93, v129
	v_pk_fma_f32 v[106:107], v[110:111], v[94:95], v[124:125] op_sel_hi:[1,0,1]
	v_pk_mul_f32 v[104:105], v[126:127], v[104:105] op_sel_hi:[1,0]
	v_pk_add_f32 v[88:89], v[88:89], v[90:91]
	v_pk_fma_f32 v[90:91], v[112:113], v[96:97], v[138:139] op_sel_hi:[1,0,1]
	v_pk_fma_f32 v[94:95], v[110:111], v[94:95], v[124:125] neg_lo:[0,0,1] neg_hi:[0,0,1]
	v_mov_b32_e32 v95, v107
	v_pk_fma_f32 v[96:97], v[112:113], v[96:97], v[138:139] neg_lo:[0,0,1] neg_hi:[0,0,1]
	v_pk_add_f32 v[88:89], v[88:89], v[92:93]
	v_mov_b32_e32 v97, v91
	v_pk_fma_f32 v[90:91], v[114:115], v[98:99], v[104:105] op_sel_hi:[1,0,1]
	s_wait_loadcnt 0x1
	v_pk_mul_f32 v[92:93], v[116:117], v[100:101] op_sel:[1,1] op_sel_hi:[0,1]
	v_mov_b32_e32 v90, v103
	v_pk_add_f32 v[88:89], v[88:89], v[94:95]
	v_pk_fma_f32 v[98:99], v[114:115], v[98:99], v[104:105] neg_lo:[0,0,1] neg_hi:[0,0,1]
	v_mov_b32_e32 v99, v91
	v_pk_fma_f32 v[94:95], v[116:117], v[100:101], v[92:93] op_sel_hi:[1,0,1]
	v_pk_mul_f32 v[90:91], v[132:133], v[90:91] op_sel_hi:[1,0]
	v_pk_add_f32 v[88:89], v[88:89], v[96:97]
	v_pk_fma_f32 v[92:93], v[116:117], v[100:101], v[92:93] neg_lo:[0,0,1] neg_hi:[0,0,1]
	s_delay_alu instid0(VALU_DEP_4) | instskip(NEXT) | instid1(VALU_DEP_4)
	v_mov_b32_e32 v93, v95
	v_pk_fma_f32 v[94:95], v[118:119], v[102:103], v[90:91] op_sel_hi:[1,0,1]
	s_delay_alu instid0(VALU_DEP_4) | instskip(SKIP_1) | instid1(VALU_DEP_3)
	v_pk_add_f32 v[88:89], v[88:89], v[98:99]
	v_pk_fma_f32 v[90:91], v[118:119], v[102:103], v[90:91] neg_lo:[0,0,1] neg_hi:[0,0,1]
	v_mov_b32_e32 v91, v95
	s_delay_alu instid0(VALU_DEP_3) | instskip(NEXT) | instid1(VALU_DEP_1)
	v_pk_add_f32 v[88:89], v[88:89], v[92:93]
	v_pk_add_f32 v[88:89], v[88:89], v[90:91]
	s_wait_loadcnt 0x0
	s_delay_alu instid0(VALU_DEP_1)
	v_pk_add_f32 v[88:89], v[120:121], v[88:89] neg_lo:[0,1] neg_hi:[0,1]
	scratch_store_b64 off, v[88:89], off offset:272
	s_wait_xcnt 0x0
	v_cmpx_lt_u32_e32 33, v0
	s_cbranch_execz .LBB106_205
; %bb.204:
	scratch_load_b64 v[88:89], off, off offset:264
	v_mov_b64_e32 v[90:91], 0
	scratch_store_b64 off, v[90:91], off offset:264
	s_wait_loadcnt 0x0
	ds_store_b64 v1, v[88:89]
.LBB106_205:
	s_wait_xcnt 0x0
	s_or_b32 exec_lo, exec_lo, s0
	s_wait_storecnt_dscnt 0x0
	s_barrier_signal -1
	s_barrier_wait -1
	s_clause 0x5
	scratch_load_b128 v[88:91], off, off offset:272
	scratch_load_b128 v[92:95], off, off offset:288
	;; [unrolled: 1-line block ×4, first 2 shown]
	scratch_load_b64 v[120:121], off, off offset:336
	scratch_load_b64 v[122:123], off, off offset:264
	v_mov_b32_e32 v7, 0
	ds_load_b128 v[104:107], v7 offset:624
	ds_load_b128 v[108:111], v7 offset:640
	;; [unrolled: 1-line block ×4, first 2 shown]
	ds_load_b64 v[124:125], v7 offset:688
	s_mov_b32 s0, exec_lo
	s_wait_dscnt 0x4
	v_dual_mov_b32 v126, v107 :: v_dual_mov_b32 v127, v106
	s_wait_dscnt 0x1
	v_dual_mov_b32 v128, v111 :: v_dual_mov_b32 v133, v118
	v_dual_mov_b32 v129, v110 :: v_dual_mov_b32 v130, v115
	;; [unrolled: 1-line block ×3, first 2 shown]
	s_wait_loadcnt 0x5
	v_dual_mov_b32 v134, v91 :: v_dual_mul_f32 v135, v104, v89
	v_mul_f32_e32 v9, v105, v89
	s_wait_loadcnt 0x4
	v_pk_mul_f32 v[136:137], v[108:109], v[92:93] op_sel:[1,1] op_sel_hi:[0,1]
	v_mov_b32_e32 v138, v95
	s_wait_loadcnt 0x3
	v_pk_mul_f32 v[140:141], v[112:113], v[96:97] op_sel:[1,1] op_sel_hi:[0,1]
	v_pk_mul_f32 v[126:127], v[126:127], v[134:135] op_sel_hi:[1,0]
	v_dual_fmac_f32 v135, v105, v88 :: v_dual_fma_f32 v134, v104, v88, -v9
	v_mov_b32_e32 v88, v99
	v_pk_fma_f32 v[142:143], v[108:109], v[92:93], v[136:137] op_sel_hi:[1,0,1]
	s_delay_alu instid0(VALU_DEP_4)
	v_pk_fma_f32 v[104:105], v[106:107], v[90:91], v[126:127] op_sel_hi:[1,0,1]
	v_pk_fma_f32 v[90:91], v[106:107], v[90:91], v[126:127] neg_lo:[0,0,1] neg_hi:[0,0,1]
	v_pk_mul_f32 v[128:129], v[128:129], v[138:139] op_sel_hi:[1,0]
	v_pk_add_f32 v[134:135], v[134:135], 0 op_sel_hi:[1,0]
	v_pk_fma_f32 v[92:93], v[108:109], v[92:93], v[136:137] neg_lo:[0,0,1] neg_hi:[0,0,1]
	v_dual_mov_b32 v91, v105 :: v_dual_mov_b32 v93, v143
	s_delay_alu instid0(VALU_DEP_4) | instskip(SKIP_2) | instid1(VALU_DEP_4)
	v_pk_fma_f32 v[106:107], v[110:111], v[94:95], v[128:129] op_sel_hi:[1,0,1]
	v_pk_fma_f32 v[94:95], v[110:111], v[94:95], v[128:129] neg_lo:[0,0,1] neg_hi:[0,0,1]
	v_pk_fma_f32 v[108:109], v[112:113], v[96:97], v[140:141] op_sel_hi:[1,0,1]
	v_pk_add_f32 v[90:91], v[134:135], v[90:91]
	v_pk_mul_f32 v[88:89], v[130:131], v[88:89] op_sel_hi:[1,0]
	v_mov_b32_e32 v95, v107
	v_pk_fma_f32 v[96:97], v[112:113], v[96:97], v[140:141] neg_lo:[0,0,1] neg_hi:[0,0,1]
	s_wait_loadcnt 0x2
	v_pk_mul_f32 v[104:105], v[116:117], v[100:101] op_sel:[1,1] op_sel_hi:[0,1]
	v_pk_add_f32 v[90:91], v[90:91], v[92:93]
	v_mov_b32_e32 v92, v103
	v_pk_fma_f32 v[106:107], v[114:115], v[98:99], v[88:89] op_sel_hi:[1,0,1]
	v_mov_b32_e32 v97, v109
	v_pk_fma_f32 v[88:89], v[114:115], v[98:99], v[88:89] neg_lo:[0,0,1] neg_hi:[0,0,1]
	v_pk_add_f32 v[90:91], v[90:91], v[94:95]
	v_pk_fma_f32 v[94:95], v[116:117], v[100:101], v[104:105] op_sel_hi:[1,0,1]
	v_pk_mul_f32 v[92:93], v[132:133], v[92:93] op_sel_hi:[1,0]
	v_mov_b32_e32 v89, v107
	s_delay_alu instid0(VALU_DEP_4)
	v_pk_add_f32 v[90:91], v[90:91], v[96:97]
	v_pk_fma_f32 v[96:97], v[116:117], v[100:101], v[104:105] neg_lo:[0,0,1] neg_hi:[0,0,1]
	v_mov_b32_e32 v97, v95
	v_pk_fma_f32 v[94:95], v[118:119], v[102:103], v[92:93] op_sel_hi:[1,0,1]
	v_pk_fma_f32 v[92:93], v[118:119], v[102:103], v[92:93] neg_lo:[0,0,1] neg_hi:[0,0,1]
	v_pk_add_f32 v[88:89], v[90:91], v[88:89]
	s_wait_loadcnt_dscnt 0x100
	v_pk_mul_f32 v[90:91], v[124:125], v[120:121] op_sel:[1,1] op_sel_hi:[0,1]
	v_mov_b32_e32 v93, v95
	s_delay_alu instid0(VALU_DEP_3) | instskip(NEXT) | instid1(VALU_DEP_3)
	v_pk_add_f32 v[88:89], v[88:89], v[96:97]
	v_pk_fma_f32 v[94:95], v[124:125], v[120:121], v[90:91] op_sel_hi:[1,0,1]
	v_pk_fma_f32 v[90:91], v[124:125], v[120:121], v[90:91] neg_lo:[0,0,1] neg_hi:[0,0,1]
	s_delay_alu instid0(VALU_DEP_3) | instskip(NEXT) | instid1(VALU_DEP_3)
	v_pk_add_f32 v[88:89], v[88:89], v[92:93]
	v_mov_b32_e32 v91, v95
	s_delay_alu instid0(VALU_DEP_1) | instskip(SKIP_1) | instid1(VALU_DEP_1)
	v_pk_add_f32 v[88:89], v[88:89], v[90:91]
	s_wait_loadcnt 0x0
	v_pk_add_f32 v[88:89], v[122:123], v[88:89] neg_lo:[0,1] neg_hi:[0,1]
	scratch_store_b64 off, v[88:89], off offset:264
	s_wait_xcnt 0x0
	v_cmpx_lt_u32_e32 32, v0
	s_cbranch_execz .LBB106_207
; %bb.206:
	scratch_load_b64 v[88:89], off, off offset:256
	v_mov_b64_e32 v[90:91], 0
	scratch_store_b64 off, v[90:91], off offset:256
	s_wait_loadcnt 0x0
	ds_store_b64 v1, v[88:89]
.LBB106_207:
	s_wait_xcnt 0x0
	s_or_b32 exec_lo, exec_lo, s0
	s_wait_storecnt_dscnt 0x0
	s_barrier_signal -1
	s_barrier_wait -1
	s_clause 0x5
	scratch_load_b128 v[88:91], off, off offset:264
	scratch_load_b128 v[92:95], off, off offset:280
	;; [unrolled: 1-line block ×5, first 2 shown]
	scratch_load_b64 v[128:129], off, off offset:256
	ds_load_2addr_b64 v[108:111], v7 offset0:79 offset1:80
	ds_load_2addr_b64 v[112:115], v7 offset0:81 offset1:82
	ds_load_2addr_b64 v[116:119], v7 offset0:83 offset1:84
	ds_load_2addr_b64 v[120:123], v7 offset0:85 offset1:86
	ds_load_2addr_b64 v[124:127], v7 offset0:77 offset1:78
	s_mov_b32 s0, exec_lo
	s_wait_dscnt 0x4
	v_dual_mov_b32 v130, v111 :: v_dual_mov_b32 v131, v110
	s_wait_dscnt 0x3
	v_dual_mov_b32 v132, v115 :: v_dual_mov_b32 v133, v114
	;; [unrolled: 2-line block ×4, first 2 shown]
	s_wait_loadcnt_dscnt 0x500
	v_dual_mul_f32 v139, v124, v89 :: v_dual_mul_f32 v141, v126, v91
	v_dual_mul_f32 v7, v125, v89 :: v_dual_mul_f32 v9, v127, v91
	s_wait_loadcnt 0x4
	v_pk_mul_f32 v[142:143], v[108:109], v[92:93] op_sel:[1,1] op_sel_hi:[0,1]
	s_wait_loadcnt 0x3
	v_dual_mov_b32 v144, v95 :: v_dual_mov_b32 v148, v99
	v_dual_fmac_f32 v139, v125, v88 :: v_dual_fmac_f32 v141, v127, v90
	v_dual_fma_f32 v138, v124, v88, -v7 :: v_dual_fma_f32 v140, v126, v90, -v9
	v_pk_fma_f32 v[88:89], v[108:109], v[92:93], v[142:143] op_sel_hi:[1,0,1]
	s_delay_alu instid0(VALU_DEP_4) | instskip(SKIP_1) | instid1(VALU_DEP_4)
	v_pk_mul_f32 v[90:91], v[130:131], v[144:145] op_sel_hi:[1,0]
	v_pk_fma_f32 v[92:93], v[108:109], v[92:93], v[142:143] neg_lo:[0,0,1] neg_hi:[0,0,1]
	v_pk_add_f32 v[124:125], v[138:139], 0 op_sel_hi:[1,0]
	v_pk_mul_f32 v[146:147], v[112:113], v[96:97] op_sel:[1,1] op_sel_hi:[0,1]
	v_mov_b32_e32 v93, v89
	v_pk_fma_f32 v[88:89], v[110:111], v[94:95], v[90:91] op_sel_hi:[1,0,1]
	v_pk_fma_f32 v[90:91], v[110:111], v[94:95], v[90:91] neg_lo:[0,0,1] neg_hi:[0,0,1]
	v_pk_add_f32 v[108:109], v[124:125], v[140:141]
	v_pk_fma_f32 v[124:125], v[112:113], v[96:97], v[146:147] op_sel_hi:[1,0,1]
	v_pk_mul_f32 v[130:131], v[132:133], v[148:149] op_sel_hi:[1,0]
	v_mov_b32_e32 v91, v89
	s_wait_loadcnt 0x2
	v_pk_mul_f32 v[126:127], v[116:117], v[100:101] op_sel:[1,1] op_sel_hi:[0,1]
	v_pk_add_f32 v[88:89], v[108:109], v[92:93]
	v_mov_b32_e32 v92, v103
	v_pk_fma_f32 v[94:95], v[112:113], v[96:97], v[146:147] neg_lo:[0,0,1] neg_hi:[0,0,1]
	v_mov_b32_e32 v95, v125
	v_pk_fma_f32 v[96:97], v[114:115], v[98:99], v[130:131] op_sel_hi:[1,0,1]
	v_pk_add_f32 v[88:89], v[88:89], v[90:91]
	v_pk_fma_f32 v[90:91], v[116:117], v[100:101], v[126:127] op_sel_hi:[1,0,1]
	v_pk_mul_f32 v[92:93], v[134:135], v[92:93] op_sel_hi:[1,0]
	v_pk_fma_f32 v[98:99], v[114:115], v[98:99], v[130:131] neg_lo:[0,0,1] neg_hi:[0,0,1]
	v_mov_b32_e32 v99, v97
	v_pk_add_f32 v[88:89], v[88:89], v[94:95]
	v_pk_fma_f32 v[96:97], v[116:117], v[100:101], v[126:127] neg_lo:[0,0,1] neg_hi:[0,0,1]
	v_mov_b32_e32 v97, v91
	v_pk_fma_f32 v[90:91], v[118:119], v[102:103], v[92:93] op_sel_hi:[1,0,1]
	s_wait_loadcnt 0x1
	v_pk_mul_f32 v[94:95], v[120:121], v[104:105] op_sel:[1,1] op_sel_hi:[0,1]
	v_pk_add_f32 v[88:89], v[88:89], v[98:99]
	v_mov_b32_e32 v90, v107
	v_pk_fma_f32 v[92:93], v[118:119], v[102:103], v[92:93] neg_lo:[0,0,1] neg_hi:[0,0,1]
	v_mov_b32_e32 v93, v91
	v_pk_fma_f32 v[98:99], v[120:121], v[104:105], v[94:95] op_sel_hi:[1,0,1]
	v_pk_add_f32 v[88:89], v[88:89], v[96:97]
	v_pk_mul_f32 v[90:91], v[136:137], v[90:91] op_sel_hi:[1,0]
	v_pk_fma_f32 v[94:95], v[120:121], v[104:105], v[94:95] neg_lo:[0,0,1] neg_hi:[0,0,1]
	s_delay_alu instid0(VALU_DEP_3) | instskip(NEXT) | instid1(VALU_DEP_3)
	v_pk_add_f32 v[88:89], v[88:89], v[92:93]
	v_pk_fma_f32 v[92:93], v[122:123], v[106:107], v[90:91] op_sel_hi:[1,0,1]
	v_mov_b32_e32 v95, v99
	v_pk_fma_f32 v[90:91], v[122:123], v[106:107], v[90:91] neg_lo:[0,0,1] neg_hi:[0,0,1]
	s_delay_alu instid0(VALU_DEP_3) | instskip(NEXT) | instid1(VALU_DEP_3)
	v_mov_b32_e32 v91, v93
	v_pk_add_f32 v[88:89], v[88:89], v[94:95]
	s_delay_alu instid0(VALU_DEP_1) | instskip(SKIP_1) | instid1(VALU_DEP_1)
	v_pk_add_f32 v[88:89], v[88:89], v[90:91]
	s_wait_loadcnt 0x0
	v_pk_add_f32 v[88:89], v[128:129], v[88:89] neg_lo:[0,1] neg_hi:[0,1]
	scratch_store_b64 off, v[88:89], off offset:256
	s_wait_xcnt 0x0
	v_cmpx_lt_u32_e32 31, v0
	s_cbranch_execz .LBB106_209
; %bb.208:
	scratch_load_b64 v[88:89], off, off offset:248
	v_mov_b64_e32 v[90:91], 0
	scratch_store_b64 off, v[90:91], off offset:248
	s_wait_loadcnt 0x0
	ds_store_b64 v1, v[88:89]
.LBB106_209:
	s_wait_xcnt 0x0
	s_or_b32 exec_lo, exec_lo, s0
	s_wait_storecnt_dscnt 0x0
	s_barrier_signal -1
	s_barrier_wait -1
	s_clause 0x6
	scratch_load_b128 v[88:91], off, off offset:256
	scratch_load_b128 v[92:95], off, off offset:272
	;; [unrolled: 1-line block ×5, first 2 shown]
	scratch_load_b64 v[128:129], off, off offset:336
	scratch_load_b64 v[130:131], off, off offset:248
	v_mov_b32_e32 v7, 0
	ds_load_b128 v[108:111], v7 offset:624
	ds_load_b128 v[112:115], v7 offset:640
	;; [unrolled: 1-line block ×5, first 2 shown]
	ds_load_b64 v[132:133], v7 offset:688
	s_mov_b32 s0, exec_lo
	s_wait_dscnt 0x5
	v_dual_mov_b32 v134, v111 :: v_dual_mov_b32 v135, v110
	s_wait_dscnt 0x2
	v_dual_mov_b32 v136, v115 :: v_dual_mov_b32 v141, v122
	v_dual_mov_b32 v137, v114 :: v_dual_mov_b32 v138, v119
	v_dual_mov_b32 v139, v118 :: v_dual_mov_b32 v140, v123
	s_wait_loadcnt_dscnt 0x601
	v_dual_mul_f32 v9, v124, v89 :: v_dual_mul_f32 v11, v125, v89
	v_dual_mul_f32 v13, v127, v91 :: v_dual_mul_f32 v143, v126, v91
	s_wait_loadcnt 0x5
	v_dual_mul_f32 v145, v108, v93 :: v_dual_mul_f32 v15, v109, v93
	s_wait_loadcnt 0x4
	v_dual_mov_b32 v144, v95 :: v_dual_mov_b32 v148, v99
	v_dual_fmac_f32 v9, v125, v88 :: v_dual_fma_f32 v11, v124, v88, -v11
	v_dual_fma_f32 v142, v126, v90, -v13 :: v_dual_fmac_f32 v143, v127, v90
	s_delay_alu instid0(VALU_DEP_3) | instskip(NEXT) | instid1(VALU_DEP_3)
	v_pk_mul_f32 v[88:89], v[134:135], v[144:145] op_sel_hi:[1,0]
	v_dual_add_f32 v91, 0, v9 :: v_dual_add_f32 v90, 0, v11
	s_wait_loadcnt 0x3
	v_mov_b32_e32 v124, v103
	v_pk_mul_f32 v[146:147], v[112:113], v[96:97] op_sel:[1,1] op_sel_hi:[0,1]
	v_dual_fmac_f32 v145, v109, v92 :: v_dual_fma_f32 v144, v108, v92, -v15
	v_pk_fma_f32 v[92:93], v[110:111], v[94:95], v[88:89] op_sel_hi:[1,0,1]
	v_pk_add_f32 v[90:91], v[90:91], v[142:143]
	v_pk_fma_f32 v[88:89], v[110:111], v[94:95], v[88:89] neg_lo:[0,0,1] neg_hi:[0,0,1]
	v_pk_fma_f32 v[108:109], v[112:113], v[96:97], v[146:147] op_sel_hi:[1,0,1]
	v_pk_mul_f32 v[126:127], v[136:137], v[148:149] op_sel_hi:[1,0]
	v_mov_b32_e32 v89, v93
	v_pk_add_f32 v[90:91], v[90:91], v[144:145]
	v_pk_fma_f32 v[94:95], v[112:113], v[96:97], v[146:147] neg_lo:[0,0,1] neg_hi:[0,0,1]
	v_pk_mul_f32 v[150:151], v[116:117], v[100:101] op_sel:[1,1] op_sel_hi:[0,1]
	v_mov_b32_e32 v95, v109
	v_pk_fma_f32 v[96:97], v[114:115], v[98:99], v[126:127] op_sel_hi:[1,0,1]
	v_pk_add_f32 v[88:89], v[90:91], v[88:89]
	v_pk_fma_f32 v[98:99], v[114:115], v[98:99], v[126:127] neg_lo:[0,0,1] neg_hi:[0,0,1]
	v_pk_fma_f32 v[90:91], v[116:117], v[100:101], v[150:151] op_sel_hi:[1,0,1]
	v_pk_mul_f32 v[108:109], v[138:139], v[124:125] op_sel_hi:[1,0]
	s_wait_loadcnt 0x2
	v_dual_mov_b32 v99, v97 :: v_dual_mov_b32 v90, v107
	v_pk_add_f32 v[88:89], v[88:89], v[94:95]
	v_pk_fma_f32 v[94:95], v[116:117], v[100:101], v[150:151] neg_lo:[0,0,1] neg_hi:[0,0,1]
	v_pk_mul_f32 v[92:93], v[120:121], v[104:105] op_sel:[1,1] op_sel_hi:[0,1]
	v_pk_fma_f32 v[96:97], v[118:119], v[102:103], v[108:109] op_sel_hi:[1,0,1]
	v_mov_b32_e32 v95, v91
	v_pk_add_f32 v[88:89], v[88:89], v[98:99]
	v_pk_fma_f32 v[100:101], v[118:119], v[102:103], v[108:109] neg_lo:[0,0,1] neg_hi:[0,0,1]
	v_pk_fma_f32 v[98:99], v[120:121], v[104:105], v[92:93] op_sel_hi:[1,0,1]
	v_pk_mul_f32 v[90:91], v[140:141], v[90:91] op_sel_hi:[1,0]
	v_mov_b32_e32 v101, v97
	v_pk_add_f32 v[88:89], v[88:89], v[94:95]
	v_pk_fma_f32 v[92:93], v[120:121], v[104:105], v[92:93] neg_lo:[0,0,1] neg_hi:[0,0,1]
	s_wait_loadcnt_dscnt 0x100
	v_pk_mul_f32 v[96:97], v[132:133], v[128:129] op_sel:[1,1] op_sel_hi:[0,1]
	v_pk_fma_f32 v[94:95], v[122:123], v[106:107], v[90:91] op_sel_hi:[1,0,1]
	v_mov_b32_e32 v93, v99
	v_pk_add_f32 v[88:89], v[88:89], v[100:101]
	v_pk_fma_f32 v[90:91], v[122:123], v[106:107], v[90:91] neg_lo:[0,0,1] neg_hi:[0,0,1]
	s_delay_alu instid0(VALU_DEP_4) | instskip(SKIP_1) | instid1(VALU_DEP_4)
	v_mov_b32_e32 v91, v95
	v_pk_fma_f32 v[94:95], v[132:133], v[128:129], v[96:97] neg_lo:[0,0,1] neg_hi:[0,0,1]
	v_pk_add_f32 v[88:89], v[88:89], v[92:93]
	v_pk_fma_f32 v[92:93], v[132:133], v[128:129], v[96:97] op_sel_hi:[1,0,1]
	s_delay_alu instid0(VALU_DEP_2) | instskip(NEXT) | instid1(VALU_DEP_2)
	v_pk_add_f32 v[88:89], v[88:89], v[90:91]
	v_mov_b32_e32 v95, v93
	s_delay_alu instid0(VALU_DEP_1) | instskip(SKIP_1) | instid1(VALU_DEP_1)
	v_pk_add_f32 v[88:89], v[88:89], v[94:95]
	s_wait_loadcnt 0x0
	v_pk_add_f32 v[88:89], v[130:131], v[88:89] neg_lo:[0,1] neg_hi:[0,1]
	scratch_store_b64 off, v[88:89], off offset:248
	s_wait_xcnt 0x0
	v_cmpx_lt_u32_e32 30, v0
	s_cbranch_execz .LBB106_211
; %bb.210:
	scratch_load_b64 v[88:89], off, off offset:240
	v_mov_b64_e32 v[90:91], 0
	scratch_store_b64 off, v[90:91], off offset:240
	s_wait_loadcnt 0x0
	ds_store_b64 v1, v[88:89]
.LBB106_211:
	s_wait_xcnt 0x0
	s_or_b32 exec_lo, exec_lo, s0
	s_wait_storecnt_dscnt 0x0
	s_barrier_signal -1
	s_barrier_wait -1
	s_clause 0x6
	scratch_load_b128 v[88:91], off, off offset:248
	scratch_load_b128 v[92:95], off, off offset:264
	;; [unrolled: 1-line block ×6, first 2 shown]
	scratch_load_b64 v[136:137], off, off offset:240
	ds_load_2addr_b64 v[112:115], v7 offset0:79 offset1:80
	ds_load_2addr_b64 v[116:119], v7 offset0:81 offset1:82
	;; [unrolled: 1-line block ×6, first 2 shown]
	s_mov_b32 s0, exec_lo
	s_wait_dscnt 0x5
	v_dual_mov_b32 v138, v115 :: v_dual_mov_b32 v139, v114
	s_wait_dscnt 0x4
	v_dual_mov_b32 v140, v119 :: v_dual_mov_b32 v141, v118
	;; [unrolled: 2-line block ×4, first 2 shown]
	s_wait_loadcnt_dscnt 0x601
	v_dual_mul_f32 v7, v128, v89 :: v_dual_mul_f32 v9, v130, v91
	v_dual_mul_f32 v11, v129, v89 :: v_dual_mul_f32 v13, v131, v91
	s_wait_loadcnt 0x4
	s_delay_alu instid0(VALU_DEP_2)
	v_dual_mov_b32 v152, v99 :: v_dual_fmac_f32 v7, v129, v88
	s_wait_dscnt 0x0
	v_dual_mul_f32 v147, v132, v93 :: v_dual_mul_f32 v149, v134, v95
	v_dual_fma_f32 v11, v128, v88, -v11 :: v_dual_fmac_f32 v9, v131, v90
	v_dual_mul_f32 v15, v133, v93 :: v_dual_mul_f32 v17, v135, v95
	v_dual_fma_f32 v13, v130, v90, -v13 :: v_dual_add_f32 v7, 0, v7
	s_wait_loadcnt 0x3
	s_delay_alu instid0(VALU_DEP_3) | instskip(SKIP_3) | instid1(VALU_DEP_4)
	v_dual_add_f32 v11, 0, v11 :: v_dual_mov_b32 v90, v103
	v_pk_mul_f32 v[150:151], v[112:113], v[96:97] op_sel:[1,1] op_sel_hi:[0,1]
	v_pk_mul_f32 v[88:89], v[116:117], v[100:101] op_sel:[1,1] op_sel_hi:[0,1]
	v_dual_fmac_f32 v147, v133, v92 :: v_dual_add_f32 v93, v7, v9
	v_dual_fma_f32 v146, v132, v92, -v15 :: v_dual_add_f32 v92, v11, v13
	v_fmac_f32_e32 v149, v135, v94
	v_fma_f32 v148, v134, v94, -v17
	v_pk_fma_f32 v[94:95], v[112:113], v[96:97], v[150:151] op_sel_hi:[1,0,1]
	v_pk_mul_f32 v[128:129], v[138:139], v[152:153] op_sel_hi:[1,0]
	v_pk_add_f32 v[92:93], v[92:93], v[146:147]
	v_pk_fma_f32 v[96:97], v[112:113], v[96:97], v[150:151] neg_lo:[0,0,1] neg_hi:[0,0,1]
	v_pk_fma_f32 v[112:113], v[116:117], v[100:101], v[88:89] op_sel_hi:[1,0,1]
	v_pk_fma_f32 v[88:89], v[116:117], v[100:101], v[88:89] neg_lo:[0,0,1] neg_hi:[0,0,1]
	v_mov_b32_e32 v97, v95
	v_pk_fma_f32 v[94:95], v[114:115], v[98:99], v[128:129] op_sel_hi:[1,0,1]
	v_pk_fma_f32 v[98:99], v[114:115], v[98:99], v[128:129] neg_lo:[0,0,1] neg_hi:[0,0,1]
	v_mov_b32_e32 v89, v113
	v_pk_add_f32 v[92:93], v[92:93], v[148:149]
	v_pk_mul_f32 v[90:91], v[140:141], v[90:91] op_sel_hi:[1,0]
	s_wait_loadcnt 0x2
	v_dual_mov_b32 v99, v95 :: v_dual_mov_b32 v94, v107
	v_pk_mul_f32 v[130:131], v[120:121], v[104:105] op_sel:[1,1] op_sel_hi:[0,1]
	v_pk_add_f32 v[92:93], v[92:93], v[96:97]
	v_pk_fma_f32 v[96:97], v[118:119], v[102:103], v[90:91] op_sel_hi:[1,0,1]
	v_pk_fma_f32 v[90:91], v[118:119], v[102:103], v[90:91] neg_lo:[0,0,1] neg_hi:[0,0,1]
	v_pk_mul_f32 v[94:95], v[142:143], v[94:95] op_sel_hi:[1,0]
	s_delay_alu instid0(VALU_DEP_4) | instskip(SKIP_3) | instid1(VALU_DEP_4)
	v_pk_add_f32 v[92:93], v[92:93], v[98:99]
	v_pk_fma_f32 v[98:99], v[120:121], v[104:105], v[130:131] op_sel_hi:[1,0,1]
	v_mov_b32_e32 v91, v97
	v_pk_fma_f32 v[96:97], v[120:121], v[104:105], v[130:131] neg_lo:[0,0,1] neg_hi:[0,0,1]
	v_pk_add_f32 v[88:89], v[92:93], v[88:89]
	s_wait_loadcnt 0x1
	v_pk_mul_f32 v[92:93], v[124:125], v[108:109] op_sel:[1,1] op_sel_hi:[0,1]
	v_mov_b32_e32 v97, v99
	v_pk_fma_f32 v[98:99], v[122:123], v[106:107], v[94:95] op_sel_hi:[1,0,1]
	v_pk_fma_f32 v[94:95], v[122:123], v[106:107], v[94:95] neg_lo:[0,0,1] neg_hi:[0,0,1]
	v_pk_add_f32 v[88:89], v[88:89], v[90:91]
	v_mov_b32_e32 v90, v111
	v_pk_fma_f32 v[100:101], v[124:125], v[108:109], v[92:93] op_sel_hi:[1,0,1]
	v_mov_b32_e32 v95, v99
	v_pk_fma_f32 v[92:93], v[124:125], v[108:109], v[92:93] neg_lo:[0,0,1] neg_hi:[0,0,1]
	v_pk_add_f32 v[88:89], v[88:89], v[96:97]
	v_pk_mul_f32 v[90:91], v[144:145], v[90:91] op_sel_hi:[1,0]
	s_delay_alu instid0(VALU_DEP_2) | instskip(NEXT) | instid1(VALU_DEP_2)
	v_pk_add_f32 v[88:89], v[88:89], v[94:95]
	v_pk_fma_f32 v[94:95], v[126:127], v[110:111], v[90:91] op_sel_hi:[1,0,1]
	v_mov_b32_e32 v93, v101
	v_pk_fma_f32 v[90:91], v[126:127], v[110:111], v[90:91] neg_lo:[0,0,1] neg_hi:[0,0,1]
	s_delay_alu instid0(VALU_DEP_3) | instskip(NEXT) | instid1(VALU_DEP_3)
	v_mov_b32_e32 v91, v95
	v_pk_add_f32 v[88:89], v[88:89], v[92:93]
	s_delay_alu instid0(VALU_DEP_1) | instskip(SKIP_1) | instid1(VALU_DEP_1)
	v_pk_add_f32 v[88:89], v[88:89], v[90:91]
	s_wait_loadcnt 0x0
	v_pk_add_f32 v[88:89], v[136:137], v[88:89] neg_lo:[0,1] neg_hi:[0,1]
	scratch_store_b64 off, v[88:89], off offset:240
	s_wait_xcnt 0x0
	v_cmpx_lt_u32_e32 29, v0
	s_cbranch_execz .LBB106_213
; %bb.212:
	scratch_load_b64 v[88:89], off, off offset:232
	v_mov_b64_e32 v[90:91], 0
	scratch_store_b64 off, v[90:91], off offset:232
	s_wait_loadcnt 0x0
	ds_store_b64 v1, v[88:89]
.LBB106_213:
	s_wait_xcnt 0x0
	s_or_b32 exec_lo, exec_lo, s0
	s_wait_storecnt_dscnt 0x0
	s_barrier_signal -1
	s_barrier_wait -1
	s_clause 0x7
	scratch_load_b128 v[88:91], off, off offset:240
	scratch_load_b128 v[92:95], off, off offset:256
	;; [unrolled: 1-line block ×6, first 2 shown]
	scratch_load_b64 v[136:137], off, off offset:336
	scratch_load_b64 v[138:139], off, off offset:232
	v_mov_b32_e32 v7, 0
	ds_load_b128 v[112:115], v7 offset:624
	ds_load_b128 v[116:119], v7 offset:640
	;; [unrolled: 1-line block ×6, first 2 shown]
	ds_load_b64 v[140:141], v7 offset:688
	s_mov_b32 s0, exec_lo
	s_wait_dscnt 0x6
	v_dual_mov_b32 v142, v115 :: v_dual_mov_b32 v143, v114
	s_wait_dscnt 0x3
	v_dual_mov_b32 v144, v119 :: v_dual_mov_b32 v149, v126
	v_dual_mov_b32 v145, v118 :: v_dual_mov_b32 v146, v123
	;; [unrolled: 1-line block ×3, first 2 shown]
	s_wait_loadcnt_dscnt 0x702
	v_dual_mul_f32 v9, v128, v89 :: v_dual_mul_f32 v15, v129, v89
	v_dual_mul_f32 v17, v131, v91 :: v_dual_mul_f32 v11, v130, v91
	s_wait_loadcnt_dscnt 0x601
	s_delay_alu instid0(VALU_DEP_2) | instskip(NEXT) | instid1(VALU_DEP_3)
	v_dual_mul_f32 v13, v132, v93 :: v_dual_fmac_f32 v9, v129, v88
	v_dual_fma_f32 v15, v128, v88, -v15 :: v_dual_mul_f32 v19, v133, v93
	v_mul_f32_e32 v21, v135, v95
	s_wait_loadcnt 0x4
	v_dual_mov_b32 v88, v103 :: v_dual_fma_f32 v17, v130, v90, -v17
	v_dual_fmac_f32 v11, v131, v90 :: v_dual_add_f32 v9, 0, v9
	v_dual_add_f32 v15, 0, v15 :: v_dual_fmac_f32 v13, v133, v92
	v_dual_mul_f32 v151, v134, v95 :: v_dual_mul_f32 v153, v112, v97
	v_dual_mul_f32 v23, v113, v97 :: v_dual_mov_b32 v152, v99
	s_delay_alu instid0(VALU_DEP_4) | instskip(NEXT) | instid1(VALU_DEP_4)
	v_dual_fma_f32 v19, v132, v92, -v19 :: v_dual_add_f32 v9, v9, v11
	v_dual_add_f32 v11, v15, v17 :: v_dual_fma_f32 v150, v134, v94, -v21
	s_delay_alu instid0(VALU_DEP_4) | instskip(NEXT) | instid1(VALU_DEP_4)
	v_fmac_f32_e32 v151, v135, v94
	v_pk_mul_f32 v[92:93], v[142:143], v[152:153] op_sel_hi:[1,0]
	s_delay_alu instid0(VALU_DEP_3)
	v_dual_add_f32 v95, v9, v13 :: v_dual_add_f32 v94, v11, v19
	v_fmac_f32_e32 v153, v113, v96
	v_pk_mul_f32 v[154:155], v[116:117], v[100:101] op_sel:[1,1] op_sel_hi:[0,1]
	s_wait_loadcnt 0x3
	v_dual_mov_b32 v128, v107 :: v_dual_fma_f32 v152, v112, v96, -v23
	v_pk_fma_f32 v[96:97], v[114:115], v[98:99], v[92:93] op_sel_hi:[1,0,1]
	v_pk_add_f32 v[94:95], v[94:95], v[150:151]
	v_pk_fma_f32 v[92:93], v[114:115], v[98:99], v[92:93] neg_lo:[0,0,1] neg_hi:[0,0,1]
	v_pk_fma_f32 v[112:113], v[116:117], v[100:101], v[154:155] op_sel_hi:[1,0,1]
	v_pk_mul_f32 v[88:89], v[144:145], v[88:89] op_sel_hi:[1,0]
	v_mov_b32_e32 v93, v97
	v_pk_add_f32 v[94:95], v[94:95], v[152:153]
	v_pk_fma_f32 v[98:99], v[116:117], v[100:101], v[154:155] neg_lo:[0,0,1] neg_hi:[0,0,1]
	v_pk_mul_f32 v[90:91], v[120:121], v[104:105] op_sel:[1,1] op_sel_hi:[0,1]
	v_mov_b32_e32 v99, v113
	v_pk_fma_f32 v[100:101], v[118:119], v[102:103], v[88:89] op_sel_hi:[1,0,1]
	v_pk_add_f32 v[92:93], v[94:95], v[92:93]
	v_pk_fma_f32 v[88:89], v[118:119], v[102:103], v[88:89] neg_lo:[0,0,1] neg_hi:[0,0,1]
	v_pk_fma_f32 v[94:95], v[120:121], v[104:105], v[90:91] op_sel_hi:[1,0,1]
	v_pk_mul_f32 v[112:113], v[146:147], v[128:129] op_sel_hi:[1,0]
	s_wait_loadcnt 0x2
	v_dual_mov_b32 v89, v101 :: v_dual_mov_b32 v94, v111
	v_pk_add_f32 v[92:93], v[92:93], v[98:99]
	v_pk_fma_f32 v[90:91], v[120:121], v[104:105], v[90:91] neg_lo:[0,0,1] neg_hi:[0,0,1]
	v_pk_mul_f32 v[96:97], v[124:125], v[108:109] op_sel:[1,1] op_sel_hi:[0,1]
	v_pk_fma_f32 v[98:99], v[122:123], v[106:107], v[112:113] op_sel_hi:[1,0,1]
	v_mov_b32_e32 v91, v95
	v_pk_add_f32 v[88:89], v[92:93], v[88:89]
	v_pk_fma_f32 v[100:101], v[122:123], v[106:107], v[112:113] neg_lo:[0,0,1] neg_hi:[0,0,1]
	v_pk_fma_f32 v[92:93], v[124:125], v[108:109], v[96:97] op_sel_hi:[1,0,1]
	v_pk_mul_f32 v[94:95], v[148:149], v[94:95] op_sel_hi:[1,0]
	v_mov_b32_e32 v101, v99
	v_pk_add_f32 v[88:89], v[88:89], v[90:91]
	v_pk_fma_f32 v[90:91], v[124:125], v[108:109], v[96:97] neg_lo:[0,0,1] neg_hi:[0,0,1]
	v_mov_b32_e32 v91, v93
	v_pk_fma_f32 v[92:93], v[126:127], v[110:111], v[94:95] op_sel_hi:[1,0,1]
	s_wait_loadcnt_dscnt 0x100
	v_pk_mul_f32 v[96:97], v[140:141], v[136:137] op_sel:[1,1] op_sel_hi:[0,1]
	v_pk_add_f32 v[88:89], v[88:89], v[100:101]
	v_pk_fma_f32 v[94:95], v[126:127], v[110:111], v[94:95] neg_lo:[0,0,1] neg_hi:[0,0,1]
	v_mov_b32_e32 v95, v93
	s_delay_alu instid0(VALU_DEP_4) | instskip(NEXT) | instid1(VALU_DEP_4)
	v_pk_fma_f32 v[92:93], v[140:141], v[136:137], v[96:97] neg_lo:[0,0,1] neg_hi:[0,0,1]
	v_pk_add_f32 v[88:89], v[88:89], v[90:91]
	v_pk_fma_f32 v[90:91], v[140:141], v[136:137], v[96:97] op_sel_hi:[1,0,1]
	s_delay_alu instid0(VALU_DEP_2) | instskip(NEXT) | instid1(VALU_DEP_2)
	v_pk_add_f32 v[88:89], v[88:89], v[94:95]
	v_mov_b32_e32 v93, v91
	s_delay_alu instid0(VALU_DEP_1) | instskip(SKIP_1) | instid1(VALU_DEP_1)
	v_pk_add_f32 v[88:89], v[88:89], v[92:93]
	s_wait_loadcnt 0x0
	v_pk_add_f32 v[88:89], v[138:139], v[88:89] neg_lo:[0,1] neg_hi:[0,1]
	scratch_store_b64 off, v[88:89], off offset:232
	s_wait_xcnt 0x0
	v_cmpx_lt_u32_e32 28, v0
	s_cbranch_execz .LBB106_215
; %bb.214:
	scratch_load_b64 v[88:89], off, off offset:224
	v_mov_b64_e32 v[90:91], 0
	scratch_store_b64 off, v[90:91], off offset:224
	s_wait_loadcnt 0x0
	ds_store_b64 v1, v[88:89]
.LBB106_215:
	s_wait_xcnt 0x0
	s_or_b32 exec_lo, exec_lo, s0
	s_wait_storecnt_dscnt 0x0
	s_barrier_signal -1
	s_barrier_wait -1
	s_clause 0x7
	scratch_load_b128 v[88:91], off, off offset:232
	scratch_load_b128 v[92:95], off, off offset:248
	;; [unrolled: 1-line block ×7, first 2 shown]
	scratch_load_b64 v[144:145], off, off offset:224
	ds_load_2addr_b64 v[116:119], v7 offset0:79 offset1:80
	ds_load_2addr_b64 v[120:123], v7 offset0:81 offset1:82
	;; [unrolled: 1-line block ×7, first 2 shown]
	s_mov_b32 s0, exec_lo
	s_wait_dscnt 0x6
	v_dual_mov_b32 v146, v119 :: v_dual_mov_b32 v147, v118
	s_wait_dscnt 0x5
	v_dual_mov_b32 v148, v123 :: v_dual_mov_b32 v149, v122
	;; [unrolled: 2-line block ×4, first 2 shown]
	s_wait_loadcnt_dscnt 0x702
	v_dual_mul_f32 v7, v132, v89 :: v_dual_mul_f32 v9, v134, v91
	v_dual_mul_f32 v15, v133, v89 :: v_dual_mul_f32 v17, v135, v91
	s_wait_loadcnt_dscnt 0x601
	v_dual_mul_f32 v11, v136, v93 :: v_dual_mul_f32 v13, v138, v95
	s_delay_alu instid0(VALU_DEP_3) | instskip(NEXT) | instid1(VALU_DEP_3)
	v_dual_fmac_f32 v7, v133, v88 :: v_dual_fmac_f32 v9, v135, v90
	v_dual_fma_f32 v15, v132, v88, -v15 :: v_dual_fma_f32 v17, v134, v90, -v17
	v_dual_mul_f32 v19, v137, v93 :: v_dual_mul_f32 v21, v139, v95
	s_wait_loadcnt 0x4
	s_delay_alu instid0(VALU_DEP_3) | instskip(NEXT) | instid1(VALU_DEP_3)
	v_dual_add_f32 v7, 0, v7 :: v_dual_mov_b32 v90, v103
	v_dual_add_f32 v15, 0, v15 :: v_dual_fmac_f32 v11, v137, v92
	s_delay_alu instid0(VALU_DEP_2) | instskip(SKIP_2) | instid1(VALU_DEP_3)
	v_dual_fma_f32 v19, v136, v92, -v19 :: v_dual_add_f32 v7, v7, v9
	s_wait_dscnt 0x0
	v_dual_mul_f32 v155, v140, v97 :: v_dual_mul_f32 v157, v142, v99
	v_dual_add_f32 v9, v15, v17 :: v_dual_fma_f32 v15, v138, v94, -v21
	v_dual_mul_f32 v23, v141, v97 :: v_dual_mul_f32 v25, v143, v99
	s_delay_alu instid0(VALU_DEP_2) | instskip(NEXT) | instid1(VALU_DEP_4)
	v_dual_fmac_f32 v13, v139, v94 :: v_dual_add_f32 v9, v9, v19
	v_dual_add_f32 v7, v7, v11 :: v_dual_fmac_f32 v155, v141, v96
	v_pk_mul_f32 v[88:89], v[116:117], v[100:101] op_sel:[1,1] op_sel_hi:[0,1]
	s_wait_loadcnt 0x3
	v_pk_mul_f32 v[92:93], v[120:121], v[104:105] op_sel:[1,1] op_sel_hi:[0,1]
	v_dual_mov_b32 v94, v107 :: v_dual_fma_f32 v154, v140, v96, -v23
	v_dual_add_f32 v97, v7, v13 :: v_dual_add_f32 v96, v9, v15
	v_fmac_f32_e32 v157, v143, v98
	v_fma_f32 v156, v142, v98, -v25
	v_pk_fma_f32 v[98:99], v[116:117], v[100:101], v[88:89] op_sel_hi:[1,0,1]
	v_pk_mul_f32 v[90:91], v[146:147], v[90:91] op_sel_hi:[1,0]
	v_pk_add_f32 v[96:97], v[96:97], v[154:155]
	v_pk_fma_f32 v[88:89], v[116:117], v[100:101], v[88:89] neg_lo:[0,0,1] neg_hi:[0,0,1]
	v_pk_fma_f32 v[100:101], v[120:121], v[104:105], v[92:93] op_sel_hi:[1,0,1]
	v_pk_fma_f32 v[92:93], v[120:121], v[104:105], v[92:93] neg_lo:[0,0,1] neg_hi:[0,0,1]
	v_mov_b32_e32 v89, v99
	v_pk_fma_f32 v[98:99], v[118:119], v[102:103], v[90:91] op_sel_hi:[1,0,1]
	v_pk_fma_f32 v[90:91], v[118:119], v[102:103], v[90:91] neg_lo:[0,0,1] neg_hi:[0,0,1]
	v_mov_b32_e32 v93, v101
	v_pk_add_f32 v[96:97], v[96:97], v[156:157]
	v_pk_mul_f32 v[94:95], v[148:149], v[94:95] op_sel_hi:[1,0]
	v_mov_b32_e32 v91, v99
	s_wait_loadcnt 0x2
	v_pk_mul_f32 v[132:133], v[124:125], v[108:109] op_sel:[1,1] op_sel_hi:[0,1]
	v_pk_add_f32 v[88:89], v[96:97], v[88:89]
	v_mov_b32_e32 v96, v111
	v_pk_fma_f32 v[98:99], v[122:123], v[106:107], v[94:95] op_sel_hi:[1,0,1]
	v_pk_fma_f32 v[94:95], v[122:123], v[106:107], v[94:95] neg_lo:[0,0,1] neg_hi:[0,0,1]
	s_delay_alu instid0(VALU_DEP_4)
	v_pk_add_f32 v[88:89], v[88:89], v[90:91]
	v_pk_fma_f32 v[90:91], v[124:125], v[108:109], v[132:133] op_sel_hi:[1,0,1]
	v_pk_mul_f32 v[96:97], v[150:151], v[96:97] op_sel_hi:[1,0]
	v_mov_b32_e32 v95, v99
	v_pk_fma_f32 v[98:99], v[124:125], v[108:109], v[132:133] neg_lo:[0,0,1] neg_hi:[0,0,1]
	v_pk_add_f32 v[88:89], v[88:89], v[92:93]
	v_mov_b32_e32 v99, v91
	v_pk_fma_f32 v[90:91], v[126:127], v[110:111], v[96:97] op_sel_hi:[1,0,1]
	s_wait_loadcnt 0x1
	v_pk_mul_f32 v[92:93], v[128:129], v[112:113] op_sel:[1,1] op_sel_hi:[0,1]
	v_mov_b32_e32 v90, v115
	v_pk_add_f32 v[88:89], v[88:89], v[94:95]
	v_pk_fma_f32 v[96:97], v[126:127], v[110:111], v[96:97] neg_lo:[0,0,1] neg_hi:[0,0,1]
	v_mov_b32_e32 v97, v91
	v_pk_fma_f32 v[94:95], v[128:129], v[112:113], v[92:93] op_sel_hi:[1,0,1]
	v_pk_mul_f32 v[90:91], v[152:153], v[90:91] op_sel_hi:[1,0]
	v_pk_add_f32 v[88:89], v[88:89], v[98:99]
	v_pk_fma_f32 v[92:93], v[128:129], v[112:113], v[92:93] neg_lo:[0,0,1] neg_hi:[0,0,1]
	s_delay_alu instid0(VALU_DEP_4) | instskip(NEXT) | instid1(VALU_DEP_4)
	v_mov_b32_e32 v93, v95
	v_pk_fma_f32 v[94:95], v[130:131], v[114:115], v[90:91] op_sel_hi:[1,0,1]
	s_delay_alu instid0(VALU_DEP_4) | instskip(SKIP_1) | instid1(VALU_DEP_3)
	v_pk_add_f32 v[88:89], v[88:89], v[96:97]
	v_pk_fma_f32 v[90:91], v[130:131], v[114:115], v[90:91] neg_lo:[0,0,1] neg_hi:[0,0,1]
	v_mov_b32_e32 v91, v95
	s_delay_alu instid0(VALU_DEP_3) | instskip(NEXT) | instid1(VALU_DEP_1)
	v_pk_add_f32 v[88:89], v[88:89], v[92:93]
	v_pk_add_f32 v[88:89], v[88:89], v[90:91]
	s_wait_loadcnt 0x0
	s_delay_alu instid0(VALU_DEP_1)
	v_pk_add_f32 v[88:89], v[144:145], v[88:89] neg_lo:[0,1] neg_hi:[0,1]
	scratch_store_b64 off, v[88:89], off offset:224
	s_wait_xcnt 0x0
	v_cmpx_lt_u32_e32 27, v0
	s_cbranch_execz .LBB106_217
; %bb.216:
	scratch_load_b64 v[88:89], off, off offset:216
	v_mov_b64_e32 v[90:91], 0
	scratch_store_b64 off, v[90:91], off offset:216
	s_wait_loadcnt 0x0
	ds_store_b64 v1, v[88:89]
.LBB106_217:
	s_wait_xcnt 0x0
	s_or_b32 exec_lo, exec_lo, s0
	s_wait_storecnt_dscnt 0x0
	s_barrier_signal -1
	s_barrier_wait -1
	s_clause 0x8
	scratch_load_b128 v[88:91], off, off offset:224
	scratch_load_b128 v[92:95], off, off offset:240
	;; [unrolled: 1-line block ×7, first 2 shown]
	scratch_load_b64 v[144:145], off, off offset:336
	scratch_load_b64 v[146:147], off, off offset:216
	v_mov_b32_e32 v7, 0
	ds_load_b128 v[116:119], v7 offset:624
	ds_load_b128 v[120:123], v7 offset:640
	;; [unrolled: 1-line block ×7, first 2 shown]
	ds_load_b64 v[148:149], v7 offset:688
	s_mov_b32 s0, exec_lo
	s_wait_dscnt 0x7
	v_dual_mov_b32 v150, v119 :: v_dual_mov_b32 v151, v118
	s_wait_dscnt 0x4
	v_dual_mov_b32 v152, v123 :: v_dual_mov_b32 v157, v130
	v_dual_mov_b32 v153, v122 :: v_dual_mov_b32 v154, v127
	;; [unrolled: 1-line block ×3, first 2 shown]
	s_wait_loadcnt_dscnt 0x803
	v_dual_mul_f32 v9, v132, v89 :: v_dual_mul_f32 v19, v133, v89
	v_dual_mul_f32 v21, v135, v91 :: v_dual_mul_f32 v11, v134, v91
	s_wait_loadcnt_dscnt 0x702
	v_mul_f32_e32 v13, v136, v93
	s_wait_loadcnt 0x5
	v_dual_mul_f32 v31, v117, v101 :: v_dual_fma_f32 v19, v132, v88, -v19
	v_dual_fmac_f32 v9, v133, v88 :: v_dual_mov_b32 v88, v103
	v_dual_mul_f32 v23, v137, v93 :: v_dual_mul_f32 v25, v139, v95
	v_dual_fmac_f32 v11, v135, v90 :: v_dual_fma_f32 v21, v134, v90, -v21
	s_delay_alu instid0(VALU_DEP_3) | instskip(SKIP_3) | instid1(VALU_DEP_3)
	v_dual_add_f32 v9, 0, v9 :: v_dual_add_f32 v19, 0, v19
	s_wait_dscnt 0x1
	v_dual_mul_f32 v15, v138, v95 :: v_dual_mul_f32 v17, v140, v97
	v_dual_fmac_f32 v13, v137, v92 :: v_dual_fma_f32 v23, v136, v92, -v23
	v_dual_add_f32 v9, v9, v11 :: v_dual_add_f32 v11, v19, v21
	v_dual_mul_f32 v27, v141, v97 :: v_dual_mul_f32 v29, v143, v99
	s_wait_loadcnt 0x4
	v_dual_mov_b32 v92, v107 :: v_dual_fma_f32 v19, v138, v94, -v25
	s_delay_alu instid0(VALU_DEP_3) | instskip(SKIP_2) | instid1(VALU_DEP_3)
	v_dual_fmac_f32 v15, v139, v94 :: v_dual_add_f32 v9, v9, v13
	v_dual_add_f32 v11, v11, v23 :: v_dual_fmac_f32 v17, v141, v96
	v_dual_mul_f32 v159, v142, v99 :: v_dual_mul_f32 v161, v116, v101
	v_dual_fma_f32 v13, v140, v96, -v27 :: v_dual_add_f32 v9, v9, v15
	s_delay_alu instid0(VALU_DEP_3) | instskip(NEXT) | instid1(VALU_DEP_3)
	v_dual_add_f32 v11, v11, v19 :: v_dual_fma_f32 v158, v142, v98, -v29
	v_fmac_f32_e32 v159, v143, v98
	v_pk_mul_f32 v[88:89], v[150:151], v[88:89] op_sel_hi:[1,0]
	s_delay_alu instid0(VALU_DEP_4) | instskip(NEXT) | instid1(VALU_DEP_4)
	v_add_f32_e32 v97, v9, v17
	v_dual_add_f32 v96, v11, v13 :: v_dual_fmac_f32 v161, v117, v100
	v_pk_mul_f32 v[90:91], v[120:121], v[104:105] op_sel:[1,1] op_sel_hi:[0,1]
	s_wait_loadcnt 0x3
	v_dual_mov_b32 v98, v111 :: v_dual_fma_f32 v160, v116, v100, -v31
	v_pk_fma_f32 v[100:101], v[118:119], v[102:103], v[88:89] op_sel_hi:[1,0,1]
	v_pk_add_f32 v[96:97], v[96:97], v[158:159]
	v_pk_fma_f32 v[88:89], v[118:119], v[102:103], v[88:89] neg_lo:[0,0,1] neg_hi:[0,0,1]
	v_pk_fma_f32 v[116:117], v[120:121], v[104:105], v[90:91] op_sel_hi:[1,0,1]
	v_pk_mul_f32 v[92:93], v[152:153], v[92:93] op_sel_hi:[1,0]
	v_mov_b32_e32 v89, v101
	v_pk_add_f32 v[96:97], v[96:97], v[160:161]
	v_pk_fma_f32 v[90:91], v[120:121], v[104:105], v[90:91] neg_lo:[0,0,1] neg_hi:[0,0,1]
	v_pk_mul_f32 v[94:95], v[124:125], v[108:109] op_sel:[1,1] op_sel_hi:[0,1]
	v_mov_b32_e32 v91, v117
	v_pk_fma_f32 v[102:103], v[122:123], v[106:107], v[92:93] op_sel_hi:[1,0,1]
	v_pk_add_f32 v[88:89], v[96:97], v[88:89]
	v_pk_fma_f32 v[92:93], v[122:123], v[106:107], v[92:93] neg_lo:[0,0,1] neg_hi:[0,0,1]
	v_pk_fma_f32 v[96:97], v[124:125], v[108:109], v[94:95] op_sel_hi:[1,0,1]
	v_pk_mul_f32 v[98:99], v[154:155], v[98:99] op_sel_hi:[1,0]
	v_mov_b32_e32 v93, v103
	v_pk_add_f32 v[88:89], v[88:89], v[90:91]
	v_pk_fma_f32 v[94:95], v[124:125], v[108:109], v[94:95] neg_lo:[0,0,1] neg_hi:[0,0,1]
	s_wait_loadcnt 0x2
	v_pk_mul_f32 v[100:101], v[128:129], v[112:113] op_sel:[1,1] op_sel_hi:[0,1]
	v_dual_mov_b32 v90, v115 :: v_dual_mov_b32 v95, v97
	v_pk_fma_f32 v[96:97], v[126:127], v[110:111], v[98:99] op_sel_hi:[1,0,1]
	v_pk_add_f32 v[88:89], v[88:89], v[92:93]
	v_pk_fma_f32 v[98:99], v[126:127], v[110:111], v[98:99] neg_lo:[0,0,1] neg_hi:[0,0,1]
	v_pk_fma_f32 v[92:93], v[128:129], v[112:113], v[100:101] op_sel_hi:[1,0,1]
	v_pk_mul_f32 v[90:91], v[156:157], v[90:91] op_sel_hi:[1,0]
	v_mov_b32_e32 v99, v97
	v_pk_add_f32 v[88:89], v[88:89], v[94:95]
	v_pk_fma_f32 v[94:95], v[128:129], v[112:113], v[100:101] neg_lo:[0,0,1] neg_hi:[0,0,1]
	v_mov_b32_e32 v95, v93
	v_pk_fma_f32 v[92:93], v[130:131], v[114:115], v[90:91] op_sel_hi:[1,0,1]
	s_wait_loadcnt_dscnt 0x100
	v_pk_mul_f32 v[96:97], v[148:149], v[144:145] op_sel:[1,1] op_sel_hi:[0,1]
	v_pk_add_f32 v[88:89], v[88:89], v[98:99]
	v_pk_fma_f32 v[90:91], v[130:131], v[114:115], v[90:91] neg_lo:[0,0,1] neg_hi:[0,0,1]
	v_mov_b32_e32 v91, v93
	s_delay_alu instid0(VALU_DEP_4) | instskip(NEXT) | instid1(VALU_DEP_4)
	v_pk_fma_f32 v[92:93], v[148:149], v[144:145], v[96:97] op_sel_hi:[1,0,1]
	v_pk_add_f32 v[88:89], v[88:89], v[94:95]
	v_pk_fma_f32 v[94:95], v[148:149], v[144:145], v[96:97] neg_lo:[0,0,1] neg_hi:[0,0,1]
	s_delay_alu instid0(VALU_DEP_3) | instskip(NEXT) | instid1(VALU_DEP_3)
	v_mov_b32_e32 v95, v93
	v_pk_add_f32 v[88:89], v[88:89], v[90:91]
	s_delay_alu instid0(VALU_DEP_1) | instskip(SKIP_1) | instid1(VALU_DEP_1)
	v_pk_add_f32 v[88:89], v[88:89], v[94:95]
	s_wait_loadcnt 0x0
	v_pk_add_f32 v[88:89], v[146:147], v[88:89] neg_lo:[0,1] neg_hi:[0,1]
	scratch_store_b64 off, v[88:89], off offset:216
	s_wait_xcnt 0x0
	v_cmpx_lt_u32_e32 26, v0
	s_cbranch_execz .LBB106_219
; %bb.218:
	scratch_load_b64 v[88:89], off, off offset:208
	v_mov_b64_e32 v[90:91], 0
	scratch_store_b64 off, v[90:91], off offset:208
	s_wait_loadcnt 0x0
	ds_store_b64 v1, v[88:89]
.LBB106_219:
	s_wait_xcnt 0x0
	s_or_b32 exec_lo, exec_lo, s0
	s_wait_storecnt_dscnt 0x0
	s_barrier_signal -1
	s_barrier_wait -1
	s_clause 0x8
	scratch_load_b128 v[88:91], off, off offset:216
	scratch_load_b128 v[92:95], off, off offset:232
	;; [unrolled: 1-line block ×8, first 2 shown]
	scratch_load_b64 v[152:153], off, off offset:208
	ds_load_2addr_b64 v[120:123], v7 offset0:79 offset1:80
	ds_load_2addr_b64 v[124:127], v7 offset0:81 offset1:82
	;; [unrolled: 1-line block ×8, first 2 shown]
	s_mov_b32 s0, exec_lo
	s_wait_dscnt 0x7
	v_dual_mov_b32 v154, v123 :: v_dual_mov_b32 v155, v122
	s_wait_dscnt 0x6
	v_dual_mov_b32 v156, v127 :: v_dual_mov_b32 v157, v126
	;; [unrolled: 2-line block ×4, first 2 shown]
	s_wait_loadcnt_dscnt 0x803
	v_dual_mul_f32 v7, v136, v89 :: v_dual_mul_f32 v9, v138, v91
	v_dual_mul_f32 v19, v137, v89 :: v_dual_mul_f32 v21, v139, v91
	s_wait_loadcnt_dscnt 0x702
	v_dual_mul_f32 v11, v140, v93 :: v_dual_mul_f32 v13, v142, v95
	s_delay_alu instid0(VALU_DEP_3) | instskip(SKIP_3) | instid1(VALU_DEP_3)
	v_dual_fmac_f32 v7, v137, v88 :: v_dual_fmac_f32 v9, v139, v90
	s_wait_loadcnt_dscnt 0x500
	v_dual_fma_f32 v19, v136, v88, -v19 :: v_dual_mul_f32 v31, v149, v101
	v_dual_mul_f32 v23, v141, v93 :: v_dual_mul_f32 v25, v143, v95
	v_dual_fma_f32 v21, v138, v90, -v21 :: v_dual_add_f32 v7, 0, v7
	s_delay_alu instid0(VALU_DEP_3) | instskip(SKIP_1) | instid1(VALU_DEP_4)
	v_dual_add_f32 v19, 0, v19 :: v_dual_fmac_f32 v11, v141, v92
	v_dual_mul_f32 v15, v144, v97 :: v_dual_mul_f32 v17, v146, v99
	v_dual_mul_f32 v33, v151, v103 :: v_dual_fma_f32 v23, v140, v92, -v23
	s_delay_alu instid0(VALU_DEP_4) | instskip(NEXT) | instid1(VALU_DEP_3)
	v_add_f32_e32 v7, v7, v9
	v_dual_add_f32 v9, v19, v21 :: v_dual_fmac_f32 v15, v145, v96
	v_dual_mul_f32 v27, v145, v97 :: v_dual_mul_f32 v29, v147, v99
	s_delay_alu instid0(VALU_DEP_2) | instskip(NEXT) | instid1(VALU_DEP_4)
	v_dual_fmac_f32 v13, v143, v94 :: v_dual_add_f32 v9, v9, v23
	v_dual_fma_f32 v19, v142, v94, -v25 :: v_dual_add_f32 v7, v7, v11
	s_wait_loadcnt 0x4
	s_delay_alu instid0(VALU_DEP_3) | instskip(SKIP_1) | instid1(VALU_DEP_3)
	v_dual_fma_f32 v11, v144, v96, -v27 :: v_dual_mov_b32 v90, v107
	v_dual_mul_f32 v163, v148, v101 :: v_dual_mul_f32 v165, v150, v103
	v_dual_add_f32 v7, v7, v13 :: v_dual_fma_f32 v13, v146, v98, -v29
	v_dual_add_f32 v9, v9, v19 :: v_dual_fmac_f32 v17, v147, v98
	v_pk_mul_f32 v[88:89], v[120:121], v[104:105] op_sel:[1,1] op_sel_hi:[0,1]
	s_delay_alu instid0(VALU_DEP_3) | instskip(SKIP_1) | instid1(VALU_DEP_3)
	v_dual_add_f32 v7, v7, v15 :: v_dual_fmac_f32 v163, v149, v100
	s_wait_loadcnt 0x3
	v_dual_add_f32 v9, v9, v11 :: v_dual_mov_b32 v94, v111
	s_delay_alu instid0(VALU_DEP_2) | instskip(NEXT) | instid1(VALU_DEP_2)
	v_dual_fma_f32 v162, v148, v100, -v31 :: v_dual_add_f32 v97, v7, v17
	v_dual_fma_f32 v164, v150, v102, -v33 :: v_dual_add_f32 v96, v9, v13
	v_fmac_f32_e32 v165, v151, v102
	v_pk_fma_f32 v[98:99], v[120:121], v[104:105], v[88:89] op_sel_hi:[1,0,1]
	v_pk_mul_f32 v[90:91], v[154:155], v[90:91] op_sel_hi:[1,0]
	v_pk_fma_f32 v[88:89], v[120:121], v[104:105], v[88:89] neg_lo:[0,0,1] neg_hi:[0,0,1]
	v_pk_add_f32 v[96:97], v[96:97], v[162:163]
	v_pk_mul_f32 v[92:93], v[124:125], v[108:109] op_sel:[1,1] op_sel_hi:[0,1]
	v_mov_b32_e32 v89, v99
	v_pk_fma_f32 v[98:99], v[122:123], v[106:107], v[90:91] op_sel_hi:[1,0,1]
	v_pk_fma_f32 v[90:91], v[122:123], v[106:107], v[90:91] neg_lo:[0,0,1] neg_hi:[0,0,1]
	v_pk_add_f32 v[96:97], v[96:97], v[164:165]
	v_pk_fma_f32 v[102:103], v[124:125], v[108:109], v[92:93] op_sel_hi:[1,0,1]
	v_pk_mul_f32 v[94:95], v[156:157], v[94:95] op_sel_hi:[1,0]
	v_mov_b32_e32 v91, v99
	s_wait_loadcnt 0x2
	v_pk_mul_f32 v[100:101], v[128:129], v[112:113] op_sel:[1,1] op_sel_hi:[0,1]
	v_pk_add_f32 v[88:89], v[96:97], v[88:89]
	v_mov_b32_e32 v96, v115
	v_pk_fma_f32 v[92:93], v[124:125], v[108:109], v[92:93] neg_lo:[0,0,1] neg_hi:[0,0,1]
	v_mov_b32_e32 v93, v103
	v_pk_fma_f32 v[98:99], v[126:127], v[110:111], v[94:95] op_sel_hi:[1,0,1]
	v_pk_add_f32 v[88:89], v[88:89], v[90:91]
	v_pk_fma_f32 v[90:91], v[128:129], v[112:113], v[100:101] op_sel_hi:[1,0,1]
	v_pk_mul_f32 v[96:97], v[158:159], v[96:97] op_sel_hi:[1,0]
	v_pk_fma_f32 v[94:95], v[126:127], v[110:111], v[94:95] neg_lo:[0,0,1] neg_hi:[0,0,1]
	v_mov_b32_e32 v95, v99
	v_pk_add_f32 v[88:89], v[88:89], v[92:93]
	v_pk_fma_f32 v[98:99], v[128:129], v[112:113], v[100:101] neg_lo:[0,0,1] neg_hi:[0,0,1]
	v_mov_b32_e32 v99, v91
	v_pk_fma_f32 v[90:91], v[130:131], v[114:115], v[96:97] op_sel_hi:[1,0,1]
	s_wait_loadcnt 0x1
	v_pk_mul_f32 v[92:93], v[132:133], v[116:117] op_sel:[1,1] op_sel_hi:[0,1]
	v_pk_add_f32 v[88:89], v[88:89], v[94:95]
	v_mov_b32_e32 v90, v119
	v_pk_fma_f32 v[96:97], v[130:131], v[114:115], v[96:97] neg_lo:[0,0,1] neg_hi:[0,0,1]
	v_mov_b32_e32 v97, v91
	v_pk_fma_f32 v[94:95], v[132:133], v[116:117], v[92:93] op_sel_hi:[1,0,1]
	v_pk_add_f32 v[88:89], v[88:89], v[98:99]
	v_pk_mul_f32 v[90:91], v[160:161], v[90:91] op_sel_hi:[1,0]
	v_pk_fma_f32 v[92:93], v[132:133], v[116:117], v[92:93] neg_lo:[0,0,1] neg_hi:[0,0,1]
	s_delay_alu instid0(VALU_DEP_4) | instskip(NEXT) | instid1(VALU_DEP_4)
	v_mov_b32_e32 v93, v95
	v_pk_add_f32 v[88:89], v[88:89], v[96:97]
	s_delay_alu instid0(VALU_DEP_4) | instskip(SKIP_1) | instid1(VALU_DEP_2)
	v_pk_fma_f32 v[94:95], v[134:135], v[118:119], v[90:91] op_sel_hi:[1,0,1]
	v_pk_fma_f32 v[90:91], v[134:135], v[118:119], v[90:91] neg_lo:[0,0,1] neg_hi:[0,0,1]
	v_mov_b32_e32 v91, v95
	s_delay_alu instid0(VALU_DEP_4) | instskip(NEXT) | instid1(VALU_DEP_1)
	v_pk_add_f32 v[88:89], v[88:89], v[92:93]
	v_pk_add_f32 v[88:89], v[88:89], v[90:91]
	s_wait_loadcnt 0x0
	s_delay_alu instid0(VALU_DEP_1)
	v_pk_add_f32 v[88:89], v[152:153], v[88:89] neg_lo:[0,1] neg_hi:[0,1]
	scratch_store_b64 off, v[88:89], off offset:208
	s_wait_xcnt 0x0
	v_cmpx_lt_u32_e32 25, v0
	s_cbranch_execz .LBB106_221
; %bb.220:
	scratch_load_b64 v[88:89], off, off offset:200
	v_mov_b64_e32 v[90:91], 0
	scratch_store_b64 off, v[90:91], off offset:200
	s_wait_loadcnt 0x0
	ds_store_b64 v1, v[88:89]
.LBB106_221:
	s_wait_xcnt 0x0
	s_or_b32 exec_lo, exec_lo, s0
	s_wait_storecnt_dscnt 0x0
	s_barrier_signal -1
	s_barrier_wait -1
	s_clause 0x9
	scratch_load_b128 v[88:91], off, off offset:208
	scratch_load_b128 v[92:95], off, off offset:224
	scratch_load_b128 v[96:99], off, off offset:240
	scratch_load_b128 v[100:103], off, off offset:256
	scratch_load_b128 v[104:107], off, off offset:272
	scratch_load_b128 v[108:111], off, off offset:288
	scratch_load_b128 v[112:115], off, off offset:304
	scratch_load_b128 v[116:119], off, off offset:320
	scratch_load_b64 v[152:153], off, off offset:336
	scratch_load_b64 v[154:155], off, off offset:200
	v_mov_b32_e32 v7, 0
	ds_load_b128 v[120:123], v7 offset:624
	ds_load_b128 v[124:127], v7 offset:640
	;; [unrolled: 1-line block ×8, first 2 shown]
	ds_load_b64 v[156:157], v7 offset:688
	s_mov_b32 s0, exec_lo
	s_wait_dscnt 0x8
	v_dual_mov_b32 v158, v123 :: v_dual_mov_b32 v159, v122
	s_wait_dscnt 0x5
	v_dual_mov_b32 v160, v127 :: v_dual_mov_b32 v165, v134
	v_dual_mov_b32 v161, v126 :: v_dual_mov_b32 v162, v131
	;; [unrolled: 1-line block ×3, first 2 shown]
	s_wait_loadcnt_dscnt 0x904
	v_dual_mul_f32 v9, v136, v89 :: v_dual_mul_f32 v23, v137, v89
	v_dual_mul_f32 v25, v139, v91 :: v_dual_mul_f32 v11, v138, v91
	s_wait_loadcnt_dscnt 0x803
	v_mul_f32_e32 v13, v140, v93
	s_wait_loadcnt_dscnt 0x601
	v_dual_mul_f32 v35, v149, v101 :: v_dual_fma_f32 v23, v136, v88, -v23
	v_dual_fmac_f32 v9, v137, v88 :: v_dual_mul_f32 v37, v151, v103
	v_dual_mul_f32 v27, v141, v93 :: v_dual_mul_f32 v29, v143, v95
	v_dual_fmac_f32 v11, v139, v90 :: v_dual_fma_f32 v25, v138, v90, -v25
	s_delay_alu instid0(VALU_DEP_3)
	v_dual_add_f32 v9, 0, v9 :: v_dual_add_f32 v23, 0, v23
	v_dual_mul_f32 v15, v142, v95 :: v_dual_mul_f32 v17, v144, v97
	s_wait_loadcnt 0x5
	v_dual_mul_f32 v39, v121, v105 :: v_dual_fma_f32 v27, v140, v92, -v27
	v_fmac_f32_e32 v13, v141, v92
	v_dual_add_f32 v9, v9, v11 :: v_dual_mov_b32 v88, v107
	v_add_f32_e32 v11, v23, v25
	v_dual_mul_f32 v31, v145, v97 :: v_dual_mul_f32 v33, v147, v99
	v_dual_fmac_f32 v15, v143, v94 :: v_dual_fma_f32 v23, v142, v94, -v29
	s_delay_alu instid0(VALU_DEP_3) | instskip(SKIP_1) | instid1(VALU_DEP_4)
	v_dual_add_f32 v9, v9, v13 :: v_dual_add_f32 v11, v11, v27
	v_dual_mul_f32 v19, v146, v99 :: v_dual_mul_f32 v21, v148, v101
	v_dual_fmac_f32 v17, v145, v96 :: v_dual_fma_f32 v13, v144, v96, -v31
	s_wait_loadcnt 0x4
	s_delay_alu instid0(VALU_DEP_3) | instskip(SKIP_1) | instid1(VALU_DEP_2)
	v_dual_add_f32 v9, v9, v15 :: v_dual_mov_b32 v92, v111
	v_dual_add_f32 v11, v11, v23 :: v_dual_fma_f32 v15, v146, v98, -v33
	v_dual_fmac_f32 v19, v147, v98 :: v_dual_add_f32 v9, v9, v17
	v_dual_mul_f32 v167, v150, v103 :: v_dual_mul_f32 v169, v120, v105
	s_delay_alu instid0(VALU_DEP_3) | instskip(NEXT) | instid1(VALU_DEP_3)
	v_dual_add_f32 v11, v11, v13 :: v_dual_fmac_f32 v21, v149, v100
	v_dual_fma_f32 v13, v148, v100, -v35 :: v_dual_add_f32 v9, v9, v19
	s_delay_alu instid0(VALU_DEP_3) | instskip(NEXT) | instid1(VALU_DEP_3)
	v_fmac_f32_e32 v167, v151, v102
	v_dual_add_f32 v11, v11, v15 :: v_dual_fma_f32 v166, v150, v102, -v37
	v_pk_mul_f32 v[88:89], v[158:159], v[88:89] op_sel_hi:[1,0]
	s_delay_alu instid0(VALU_DEP_4) | instskip(SKIP_1) | instid1(VALU_DEP_4)
	v_add_f32_e32 v97, v9, v21
	v_pk_mul_f32 v[90:91], v[124:125], v[108:109] op_sel:[1,1] op_sel_hi:[0,1]
	v_dual_add_f32 v96, v11, v13 :: v_dual_fmac_f32 v169, v121, v104
	s_wait_loadcnt 0x3
	v_dual_mov_b32 v98, v115 :: v_dual_fma_f32 v168, v120, v104, -v39
	v_pk_fma_f32 v[100:101], v[122:123], v[106:107], v[88:89] op_sel_hi:[1,0,1]
	s_delay_alu instid0(VALU_DEP_3)
	v_pk_add_f32 v[96:97], v[96:97], v[166:167]
	v_pk_fma_f32 v[88:89], v[122:123], v[106:107], v[88:89] neg_lo:[0,0,1] neg_hi:[0,0,1]
	v_pk_fma_f32 v[102:103], v[124:125], v[108:109], v[90:91] op_sel_hi:[1,0,1]
	v_pk_mul_f32 v[92:93], v[160:161], v[92:93] op_sel_hi:[1,0]
	v_mov_b32_e32 v89, v101
	v_pk_add_f32 v[96:97], v[96:97], v[168:169]
	v_pk_fma_f32 v[90:91], v[124:125], v[108:109], v[90:91] neg_lo:[0,0,1] neg_hi:[0,0,1]
	v_pk_mul_f32 v[94:95], v[128:129], v[112:113] op_sel:[1,1] op_sel_hi:[0,1]
	v_mov_b32_e32 v91, v103
	v_pk_fma_f32 v[102:103], v[126:127], v[110:111], v[92:93] op_sel_hi:[1,0,1]
	v_pk_add_f32 v[88:89], v[96:97], v[88:89]
	v_pk_fma_f32 v[92:93], v[126:127], v[110:111], v[92:93] neg_lo:[0,0,1] neg_hi:[0,0,1]
	v_pk_fma_f32 v[96:97], v[128:129], v[112:113], v[94:95] op_sel_hi:[1,0,1]
	v_pk_mul_f32 v[98:99], v[162:163], v[98:99] op_sel_hi:[1,0]
	v_mov_b32_e32 v93, v103
	v_pk_add_f32 v[88:89], v[88:89], v[90:91]
	v_pk_fma_f32 v[94:95], v[128:129], v[112:113], v[94:95] neg_lo:[0,0,1] neg_hi:[0,0,1]
	s_wait_loadcnt 0x2
	v_pk_mul_f32 v[100:101], v[132:133], v[116:117] op_sel:[1,1] op_sel_hi:[0,1]
	v_dual_mov_b32 v90, v119 :: v_dual_mov_b32 v95, v97
	v_pk_fma_f32 v[96:97], v[130:131], v[114:115], v[98:99] op_sel_hi:[1,0,1]
	v_pk_add_f32 v[88:89], v[88:89], v[92:93]
	v_pk_fma_f32 v[98:99], v[130:131], v[114:115], v[98:99] neg_lo:[0,0,1] neg_hi:[0,0,1]
	v_pk_fma_f32 v[92:93], v[132:133], v[116:117], v[100:101] op_sel_hi:[1,0,1]
	v_pk_mul_f32 v[90:91], v[164:165], v[90:91] op_sel_hi:[1,0]
	v_mov_b32_e32 v99, v97
	v_pk_add_f32 v[88:89], v[88:89], v[94:95]
	v_pk_fma_f32 v[94:95], v[132:133], v[116:117], v[100:101] neg_lo:[0,0,1] neg_hi:[0,0,1]
	v_mov_b32_e32 v95, v93
	v_pk_fma_f32 v[92:93], v[134:135], v[118:119], v[90:91] op_sel_hi:[1,0,1]
	s_wait_loadcnt_dscnt 0x100
	v_pk_mul_f32 v[96:97], v[156:157], v[152:153] op_sel:[1,1] op_sel_hi:[0,1]
	v_pk_add_f32 v[88:89], v[88:89], v[98:99]
	v_pk_fma_f32 v[90:91], v[134:135], v[118:119], v[90:91] neg_lo:[0,0,1] neg_hi:[0,0,1]
	v_mov_b32_e32 v91, v93
	s_delay_alu instid0(VALU_DEP_4) | instskip(NEXT) | instid1(VALU_DEP_4)
	v_pk_fma_f32 v[92:93], v[156:157], v[152:153], v[96:97] op_sel_hi:[1,0,1]
	v_pk_add_f32 v[88:89], v[88:89], v[94:95]
	v_pk_fma_f32 v[94:95], v[156:157], v[152:153], v[96:97] neg_lo:[0,0,1] neg_hi:[0,0,1]
	s_delay_alu instid0(VALU_DEP_3) | instskip(NEXT) | instid1(VALU_DEP_3)
	v_mov_b32_e32 v95, v93
	v_pk_add_f32 v[88:89], v[88:89], v[90:91]
	s_delay_alu instid0(VALU_DEP_1) | instskip(SKIP_1) | instid1(VALU_DEP_1)
	v_pk_add_f32 v[88:89], v[88:89], v[94:95]
	s_wait_loadcnt 0x0
	v_pk_add_f32 v[88:89], v[154:155], v[88:89] neg_lo:[0,1] neg_hi:[0,1]
	scratch_store_b64 off, v[88:89], off offset:200
	s_wait_xcnt 0x0
	v_cmpx_lt_u32_e32 24, v0
	s_cbranch_execz .LBB106_223
; %bb.222:
	scratch_load_b64 v[88:89], off, off offset:192
	v_mov_b64_e32 v[90:91], 0
	scratch_store_b64 off, v[90:91], off offset:192
	s_wait_loadcnt 0x0
	ds_store_b64 v1, v[88:89]
.LBB106_223:
	s_wait_xcnt 0x0
	s_or_b32 exec_lo, exec_lo, s0
	s_wait_storecnt_dscnt 0x0
	s_barrier_signal -1
	s_barrier_wait -1
	s_clause 0x9
	scratch_load_b128 v[88:91], off, off offset:200
	scratch_load_b128 v[92:95], off, off offset:216
	scratch_load_b128 v[96:99], off, off offset:232
	scratch_load_b128 v[100:103], off, off offset:248
	scratch_load_b128 v[104:107], off, off offset:264
	scratch_load_b128 v[108:111], off, off offset:280
	scratch_load_b128 v[112:115], off, off offset:296
	scratch_load_b128 v[116:119], off, off offset:312
	scratch_load_b128 v[120:123], off, off offset:328
	scratch_load_b64 v[160:161], off, off offset:192
	ds_load_2addr_b64 v[124:127], v7 offset0:79 offset1:80
	ds_load_2addr_b64 v[128:131], v7 offset0:81 offset1:82
	;; [unrolled: 1-line block ×9, first 2 shown]
	s_mov_b32 s0, exec_lo
	s_wait_dscnt 0x8
	v_dual_mov_b32 v162, v127 :: v_dual_mov_b32 v163, v126
	s_wait_dscnt 0x7
	v_dual_mov_b32 v164, v131 :: v_dual_mov_b32 v165, v130
	;; [unrolled: 2-line block ×4, first 2 shown]
	s_wait_loadcnt_dscnt 0x904
	v_dual_mul_f32 v7, v140, v89 :: v_dual_mul_f32 v9, v142, v91
	v_dual_mul_f32 v23, v141, v89 :: v_dual_mul_f32 v25, v143, v91
	s_wait_loadcnt_dscnt 0x803
	v_dual_mul_f32 v11, v144, v93 :: v_dual_mul_f32 v13, v146, v95
	s_delay_alu instid0(VALU_DEP_3) | instskip(SKIP_3) | instid1(VALU_DEP_3)
	v_dual_fmac_f32 v7, v141, v88 :: v_dual_fmac_f32 v9, v143, v90
	s_wait_loadcnt_dscnt 0x601
	v_dual_fma_f32 v23, v140, v88, -v23 :: v_dual_mul_f32 v35, v153, v101
	v_dual_mul_f32 v27, v145, v93 :: v_dual_mul_f32 v29, v147, v95
	v_dual_fma_f32 v25, v142, v90, -v25 :: v_dual_add_f32 v7, 0, v7
	s_delay_alu instid0(VALU_DEP_3) | instskip(SKIP_1) | instid1(VALU_DEP_4)
	v_dual_add_f32 v23, 0, v23 :: v_dual_fmac_f32 v11, v145, v92
	v_dual_mul_f32 v15, v148, v97 :: v_dual_mul_f32 v17, v150, v99
	v_dual_mul_f32 v37, v155, v103 :: v_dual_fma_f32 v27, v144, v92, -v27
	s_delay_alu instid0(VALU_DEP_4) | instskip(NEXT) | instid1(VALU_DEP_3)
	v_add_f32_e32 v7, v7, v9
	v_dual_add_f32 v9, v23, v25 :: v_dual_fmac_f32 v15, v149, v96
	v_dual_mul_f32 v31, v149, v97 :: v_dual_mul_f32 v33, v151, v99
	s_wait_loadcnt_dscnt 0x500
	v_dual_mul_f32 v23, v157, v105 :: v_dual_fmac_f32 v13, v147, v94
	v_dual_fma_f32 v25, v146, v94, -v29 :: v_dual_add_f32 v7, v7, v11
	s_delay_alu instid0(VALU_DEP_3) | instskip(SKIP_1) | instid1(VALU_DEP_3)
	v_dual_add_f32 v9, v9, v27 :: v_dual_fma_f32 v27, v148, v96, -v31
	v_dual_mul_f32 v19, v152, v101 :: v_dual_mul_f32 v21, v154, v103
	v_add_f32_e32 v7, v7, v13
	s_delay_alu instid0(VALU_DEP_3) | instskip(SKIP_1) | instid1(VALU_DEP_3)
	v_dual_mul_f32 v11, v159, v107 :: v_dual_add_f32 v9, v9, v25
	v_fmac_f32_e32 v17, v151, v98
	v_dual_fma_f32 v13, v150, v98, -v33 :: v_dual_add_f32 v7, v7, v15
	s_wait_loadcnt 0x4
	v_dual_mov_b32 v90, v111 :: v_dual_fmac_f32 v19, v153, v100
	v_dual_add_f32 v9, v9, v27 :: v_dual_fma_f32 v15, v152, v100, -v35
	s_delay_alu instid0(VALU_DEP_3) | instskip(SKIP_1) | instid1(VALU_DEP_3)
	v_add_f32_e32 v7, v7, v17
	v_dual_mul_f32 v171, v156, v105 :: v_dual_mul_f32 v173, v158, v107
	v_dual_add_f32 v9, v9, v13 :: v_dual_fmac_f32 v21, v155, v102
	s_delay_alu instid0(VALU_DEP_3) | instskip(SKIP_2) | instid1(VALU_DEP_3)
	v_dual_fma_f32 v13, v154, v102, -v37 :: v_dual_add_f32 v7, v7, v19
	v_pk_mul_f32 v[88:89], v[124:125], v[108:109] op_sel:[1,1] op_sel_hi:[0,1]
	s_wait_loadcnt 0x3
	v_dual_add_f32 v9, v9, v15 :: v_dual_mov_b32 v94, v115
	s_delay_alu instid0(VALU_DEP_3) | instskip(NEXT) | instid1(VALU_DEP_2)
	v_dual_fmac_f32 v171, v157, v104 :: v_dual_add_f32 v97, v7, v21
	v_dual_fma_f32 v170, v156, v104, -v23 :: v_dual_add_f32 v96, v9, v13
	v_dual_fmac_f32 v173, v159, v106 :: v_dual_fma_f32 v172, v158, v106, -v11
	v_pk_fma_f32 v[98:99], v[124:125], v[108:109], v[88:89] op_sel_hi:[1,0,1]
	v_pk_mul_f32 v[90:91], v[162:163], v[90:91] op_sel_hi:[1,0]
	s_delay_alu instid0(VALU_DEP_4)
	v_pk_add_f32 v[96:97], v[96:97], v[170:171]
	v_pk_fma_f32 v[88:89], v[124:125], v[108:109], v[88:89] neg_lo:[0,0,1] neg_hi:[0,0,1]
	v_pk_mul_f32 v[92:93], v[128:129], v[112:113] op_sel:[1,1] op_sel_hi:[0,1]
	v_mov_b32_e32 v89, v99
	v_pk_fma_f32 v[98:99], v[126:127], v[110:111], v[90:91] op_sel_hi:[1,0,1]
	v_pk_add_f32 v[96:97], v[96:97], v[172:173]
	v_pk_fma_f32 v[90:91], v[126:127], v[110:111], v[90:91] neg_lo:[0,0,1] neg_hi:[0,0,1]
	v_pk_fma_f32 v[102:103], v[128:129], v[112:113], v[92:93] op_sel_hi:[1,0,1]
	v_pk_mul_f32 v[94:95], v[164:165], v[94:95] op_sel_hi:[1,0]
	v_mov_b32_e32 v91, v99
	v_pk_add_f32 v[88:89], v[96:97], v[88:89]
	s_wait_loadcnt 0x2
	v_pk_mul_f32 v[100:101], v[132:133], v[116:117] op_sel:[1,1] op_sel_hi:[0,1]
	v_mov_b32_e32 v96, v119
	v_pk_fma_f32 v[92:93], v[128:129], v[112:113], v[92:93] neg_lo:[0,0,1] neg_hi:[0,0,1]
	v_mov_b32_e32 v93, v103
	v_pk_fma_f32 v[98:99], v[130:131], v[114:115], v[94:95] op_sel_hi:[1,0,1]
	v_pk_add_f32 v[88:89], v[88:89], v[90:91]
	v_pk_fma_f32 v[90:91], v[132:133], v[116:117], v[100:101] op_sel_hi:[1,0,1]
	v_pk_mul_f32 v[96:97], v[166:167], v[96:97] op_sel_hi:[1,0]
	v_pk_fma_f32 v[94:95], v[130:131], v[114:115], v[94:95] neg_lo:[0,0,1] neg_hi:[0,0,1]
	v_mov_b32_e32 v95, v99
	v_pk_add_f32 v[88:89], v[88:89], v[92:93]
	v_pk_fma_f32 v[98:99], v[132:133], v[116:117], v[100:101] neg_lo:[0,0,1] neg_hi:[0,0,1]
	v_mov_b32_e32 v99, v91
	v_pk_fma_f32 v[90:91], v[134:135], v[118:119], v[96:97] op_sel_hi:[1,0,1]
	s_wait_loadcnt 0x1
	v_pk_mul_f32 v[92:93], v[136:137], v[120:121] op_sel:[1,1] op_sel_hi:[0,1]
	v_pk_add_f32 v[88:89], v[88:89], v[94:95]
	v_mov_b32_e32 v90, v123
	v_pk_fma_f32 v[96:97], v[134:135], v[118:119], v[96:97] neg_lo:[0,0,1] neg_hi:[0,0,1]
	v_mov_b32_e32 v97, v91
	v_pk_fma_f32 v[94:95], v[136:137], v[120:121], v[92:93] op_sel_hi:[1,0,1]
	v_pk_add_f32 v[88:89], v[88:89], v[98:99]
	v_pk_mul_f32 v[90:91], v[168:169], v[90:91] op_sel_hi:[1,0]
	v_pk_fma_f32 v[92:93], v[136:137], v[120:121], v[92:93] neg_lo:[0,0,1] neg_hi:[0,0,1]
	s_delay_alu instid0(VALU_DEP_4) | instskip(NEXT) | instid1(VALU_DEP_4)
	v_mov_b32_e32 v93, v95
	v_pk_add_f32 v[88:89], v[88:89], v[96:97]
	s_delay_alu instid0(VALU_DEP_4) | instskip(SKIP_1) | instid1(VALU_DEP_2)
	v_pk_fma_f32 v[94:95], v[138:139], v[122:123], v[90:91] op_sel_hi:[1,0,1]
	v_pk_fma_f32 v[90:91], v[138:139], v[122:123], v[90:91] neg_lo:[0,0,1] neg_hi:[0,0,1]
	v_mov_b32_e32 v91, v95
	s_delay_alu instid0(VALU_DEP_4) | instskip(NEXT) | instid1(VALU_DEP_1)
	v_pk_add_f32 v[88:89], v[88:89], v[92:93]
	v_pk_add_f32 v[88:89], v[88:89], v[90:91]
	s_wait_loadcnt 0x0
	s_delay_alu instid0(VALU_DEP_1)
	v_pk_add_f32 v[88:89], v[160:161], v[88:89] neg_lo:[0,1] neg_hi:[0,1]
	scratch_store_b64 off, v[88:89], off offset:192
	s_wait_xcnt 0x0
	v_cmpx_lt_u32_e32 23, v0
	s_cbranch_execz .LBB106_225
; %bb.224:
	scratch_load_b64 v[88:89], off, off offset:184
	v_mov_b64_e32 v[90:91], 0
	scratch_store_b64 off, v[90:91], off offset:184
	s_wait_loadcnt 0x0
	ds_store_b64 v1, v[88:89]
.LBB106_225:
	s_wait_xcnt 0x0
	s_or_b32 exec_lo, exec_lo, s0
	s_wait_storecnt_dscnt 0x0
	s_barrier_signal -1
	s_barrier_wait -1
	s_clause 0xa
	scratch_load_b128 v[88:91], off, off offset:192
	scratch_load_b128 v[92:95], off, off offset:208
	;; [unrolled: 1-line block ×9, first 2 shown]
	scratch_load_b64 v[160:161], off, off offset:336
	scratch_load_b64 v[162:163], off, off offset:184
	v_mov_b32_e32 v7, 0
	ds_load_b128 v[124:127], v7 offset:624
	ds_load_b128 v[128:131], v7 offset:640
	;; [unrolled: 1-line block ×9, first 2 shown]
	ds_load_b64 v[164:165], v7 offset:688
	s_mov_b32 s0, exec_lo
	s_wait_dscnt 0x9
	v_dual_mov_b32 v166, v127 :: v_dual_mov_b32 v167, v126
	s_wait_dscnt 0x6
	v_dual_mov_b32 v168, v131 :: v_dual_mov_b32 v173, v138
	v_dual_mov_b32 v169, v130 :: v_dual_mov_b32 v170, v135
	;; [unrolled: 1-line block ×3, first 2 shown]
	s_wait_loadcnt_dscnt 0xa05
	v_dual_mul_f32 v9, v140, v89 :: v_dual_mul_f32 v27, v141, v89
	v_dual_mul_f32 v29, v143, v91 :: v_dual_mul_f32 v11, v142, v91
	s_wait_loadcnt_dscnt 0x904
	v_mul_f32_e32 v13, v144, v93
	s_wait_loadcnt_dscnt 0x702
	v_dual_mul_f32 v39, v153, v101 :: v_dual_fma_f32 v27, v140, v88, -v27
	v_dual_fmac_f32 v9, v141, v88 :: v_dual_mul_f32 v41, v155, v103
	v_dual_mul_f32 v31, v145, v93 :: v_dual_mul_f32 v33, v147, v95
	v_dual_fmac_f32 v11, v143, v90 :: v_dual_fma_f32 v29, v142, v90, -v29
	s_delay_alu instid0(VALU_DEP_3) | instskip(SKIP_4) | instid1(VALU_DEP_3)
	v_dual_add_f32 v9, 0, v9 :: v_dual_add_f32 v27, 0, v27
	v_dual_mul_f32 v15, v146, v95 :: v_dual_mul_f32 v17, v148, v97
	s_wait_loadcnt_dscnt 0x601
	v_dual_mul_f32 v43, v157, v105 :: v_dual_fma_f32 v31, v144, v92, -v31
	v_fmac_f32_e32 v13, v145, v92
	v_dual_add_f32 v9, v9, v11 :: v_dual_fmac_f32 v15, v147, v94
	v_add_f32_e32 v11, v27, v29
	v_dual_mul_f32 v35, v149, v97 :: v_dual_mul_f32 v37, v151, v99
	v_dual_mul_f32 v27, v159, v107 :: v_dual_fma_f32 v29, v146, v94, -v33
	s_delay_alu instid0(VALU_DEP_3) | instskip(SKIP_3) | instid1(VALU_DEP_3)
	v_dual_add_f32 v9, v9, v13 :: v_dual_add_f32 v11, v11, v31
	v_dual_mul_f32 v19, v150, v99 :: v_dual_mul_f32 v21, v152, v101
	s_wait_loadcnt 0x5
	v_dual_mul_f32 v13, v125, v109 :: v_dual_fma_f32 v31, v148, v96, -v35
	v_dual_fmac_f32 v17, v149, v96 :: v_dual_add_f32 v11, v11, v29
	v_dual_add_f32 v9, v9, v15 :: v_dual_mov_b32 v88, v111
	v_dual_fmac_f32 v19, v151, v98 :: v_dual_fma_f32 v15, v150, v98, -v37
	s_delay_alu instid0(VALU_DEP_2) | instskip(SKIP_3) | instid1(VALU_DEP_3)
	v_dual_add_f32 v11, v11, v31 :: v_dual_add_f32 v9, v9, v17
	v_dual_mul_f32 v23, v154, v103 :: v_dual_mul_f32 v25, v156, v105
	v_dual_fmac_f32 v21, v153, v100 :: v_dual_fma_f32 v17, v152, v100, -v39
	s_wait_loadcnt 0x4
	v_dual_add_f32 v9, v9, v19 :: v_dual_mov_b32 v92, v115
	v_dual_add_f32 v11, v11, v15 :: v_dual_fma_f32 v15, v154, v102, -v41
	s_delay_alu instid0(VALU_DEP_2) | instskip(SKIP_1) | instid1(VALU_DEP_3)
	v_dual_fmac_f32 v23, v155, v102 :: v_dual_add_f32 v9, v9, v21
	v_dual_mul_f32 v175, v158, v107 :: v_dual_mul_f32 v177, v124, v109
	v_dual_add_f32 v11, v11, v17 :: v_dual_fmac_f32 v25, v157, v104
	s_delay_alu instid0(VALU_DEP_3) | instskip(NEXT) | instid1(VALU_DEP_3)
	v_dual_fma_f32 v17, v156, v104, -v43 :: v_dual_add_f32 v9, v9, v23
	v_fmac_f32_e32 v175, v159, v106
	s_delay_alu instid0(VALU_DEP_3) | instskip(SKIP_1) | instid1(VALU_DEP_4)
	v_dual_add_f32 v11, v11, v15 :: v_dual_fma_f32 v174, v158, v106, -v27
	v_pk_mul_f32 v[88:89], v[166:167], v[88:89] op_sel_hi:[1,0]
	v_add_f32_e32 v97, v9, v25
	v_pk_mul_f32 v[90:91], v[128:129], v[112:113] op_sel:[1,1] op_sel_hi:[0,1]
	s_delay_alu instid0(VALU_DEP_4) | instskip(SKIP_3) | instid1(VALU_DEP_3)
	v_dual_add_f32 v96, v11, v17 :: v_dual_fmac_f32 v177, v125, v108
	s_wait_loadcnt 0x3
	v_dual_mov_b32 v98, v119 :: v_dual_fma_f32 v176, v124, v108, -v13
	v_pk_fma_f32 v[100:101], v[126:127], v[110:111], v[88:89] op_sel_hi:[1,0,1]
	v_pk_add_f32 v[96:97], v[96:97], v[174:175]
	v_pk_fma_f32 v[88:89], v[126:127], v[110:111], v[88:89] neg_lo:[0,0,1] neg_hi:[0,0,1]
	v_pk_fma_f32 v[102:103], v[128:129], v[112:113], v[90:91] op_sel_hi:[1,0,1]
	v_pk_mul_f32 v[92:93], v[168:169], v[92:93] op_sel_hi:[1,0]
	v_mov_b32_e32 v89, v101
	v_pk_add_f32 v[96:97], v[96:97], v[176:177]
	v_pk_fma_f32 v[90:91], v[128:129], v[112:113], v[90:91] neg_lo:[0,0,1] neg_hi:[0,0,1]
	v_pk_mul_f32 v[94:95], v[132:133], v[116:117] op_sel:[1,1] op_sel_hi:[0,1]
	v_mov_b32_e32 v91, v103
	v_pk_fma_f32 v[102:103], v[130:131], v[114:115], v[92:93] op_sel_hi:[1,0,1]
	v_pk_add_f32 v[88:89], v[96:97], v[88:89]
	v_pk_fma_f32 v[92:93], v[130:131], v[114:115], v[92:93] neg_lo:[0,0,1] neg_hi:[0,0,1]
	v_pk_fma_f32 v[96:97], v[132:133], v[116:117], v[94:95] op_sel_hi:[1,0,1]
	v_pk_mul_f32 v[98:99], v[170:171], v[98:99] op_sel_hi:[1,0]
	v_mov_b32_e32 v93, v103
	v_pk_add_f32 v[88:89], v[88:89], v[90:91]
	v_pk_fma_f32 v[94:95], v[132:133], v[116:117], v[94:95] neg_lo:[0,0,1] neg_hi:[0,0,1]
	s_wait_loadcnt 0x2
	v_pk_mul_f32 v[100:101], v[136:137], v[120:121] op_sel:[1,1] op_sel_hi:[0,1]
	v_dual_mov_b32 v90, v123 :: v_dual_mov_b32 v95, v97
	v_pk_fma_f32 v[96:97], v[134:135], v[118:119], v[98:99] op_sel_hi:[1,0,1]
	v_pk_add_f32 v[88:89], v[88:89], v[92:93]
	v_pk_fma_f32 v[98:99], v[134:135], v[118:119], v[98:99] neg_lo:[0,0,1] neg_hi:[0,0,1]
	v_pk_fma_f32 v[92:93], v[136:137], v[120:121], v[100:101] op_sel_hi:[1,0,1]
	v_pk_mul_f32 v[90:91], v[172:173], v[90:91] op_sel_hi:[1,0]
	v_mov_b32_e32 v99, v97
	v_pk_add_f32 v[88:89], v[88:89], v[94:95]
	v_pk_fma_f32 v[94:95], v[136:137], v[120:121], v[100:101] neg_lo:[0,0,1] neg_hi:[0,0,1]
	v_mov_b32_e32 v95, v93
	v_pk_fma_f32 v[92:93], v[138:139], v[122:123], v[90:91] op_sel_hi:[1,0,1]
	s_wait_loadcnt_dscnt 0x100
	v_pk_mul_f32 v[96:97], v[164:165], v[160:161] op_sel:[1,1] op_sel_hi:[0,1]
	v_pk_add_f32 v[88:89], v[88:89], v[98:99]
	v_pk_fma_f32 v[90:91], v[138:139], v[122:123], v[90:91] neg_lo:[0,0,1] neg_hi:[0,0,1]
	v_mov_b32_e32 v91, v93
	s_delay_alu instid0(VALU_DEP_4) | instskip(NEXT) | instid1(VALU_DEP_4)
	v_pk_fma_f32 v[92:93], v[164:165], v[160:161], v[96:97] op_sel_hi:[1,0,1]
	v_pk_add_f32 v[88:89], v[88:89], v[94:95]
	v_pk_fma_f32 v[94:95], v[164:165], v[160:161], v[96:97] neg_lo:[0,0,1] neg_hi:[0,0,1]
	s_delay_alu instid0(VALU_DEP_3) | instskip(NEXT) | instid1(VALU_DEP_3)
	v_mov_b32_e32 v95, v93
	v_pk_add_f32 v[88:89], v[88:89], v[90:91]
	s_delay_alu instid0(VALU_DEP_1) | instskip(SKIP_1) | instid1(VALU_DEP_1)
	v_pk_add_f32 v[88:89], v[88:89], v[94:95]
	s_wait_loadcnt 0x0
	v_pk_add_f32 v[88:89], v[162:163], v[88:89] neg_lo:[0,1] neg_hi:[0,1]
	scratch_store_b64 off, v[88:89], off offset:184
	s_wait_xcnt 0x0
	v_cmpx_lt_u32_e32 22, v0
	s_cbranch_execz .LBB106_227
; %bb.226:
	scratch_load_b64 v[88:89], off, off offset:176
	v_mov_b64_e32 v[90:91], 0
	scratch_store_b64 off, v[90:91], off offset:176
	s_wait_loadcnt 0x0
	ds_store_b64 v1, v[88:89]
.LBB106_227:
	s_wait_xcnt 0x0
	s_or_b32 exec_lo, exec_lo, s0
	s_wait_storecnt_dscnt 0x0
	s_barrier_signal -1
	s_barrier_wait -1
	s_clause 0xa
	scratch_load_b128 v[88:91], off, off offset:184
	scratch_load_b128 v[92:95], off, off offset:200
	;; [unrolled: 1-line block ×10, first 2 shown]
	scratch_load_b64 v[168:169], off, off offset:176
	ds_load_2addr_b64 v[128:131], v7 offset0:79 offset1:80
	ds_load_2addr_b64 v[132:135], v7 offset0:81 offset1:82
	;; [unrolled: 1-line block ×10, first 2 shown]
	s_mov_b32 s0, exec_lo
	s_wait_dscnt 0x9
	v_dual_mov_b32 v170, v131 :: v_dual_mov_b32 v171, v130
	s_wait_dscnt 0x8
	v_dual_mov_b32 v172, v135 :: v_dual_mov_b32 v173, v134
	;; [unrolled: 2-line block ×4, first 2 shown]
	s_wait_loadcnt_dscnt 0xa05
	v_dual_mul_f32 v7, v144, v89 :: v_dual_mul_f32 v9, v146, v91
	v_dual_mul_f32 v27, v145, v89 :: v_dual_mul_f32 v29, v147, v91
	s_wait_loadcnt_dscnt 0x904
	v_dual_mul_f32 v11, v148, v93 :: v_dual_mul_f32 v13, v150, v95
	s_delay_alu instid0(VALU_DEP_3) | instskip(SKIP_3) | instid1(VALU_DEP_3)
	v_dual_fmac_f32 v7, v145, v88 :: v_dual_fmac_f32 v9, v147, v90
	s_wait_loadcnt_dscnt 0x702
	v_dual_fma_f32 v27, v144, v88, -v27 :: v_dual_mul_f32 v39, v157, v101
	v_dual_mul_f32 v31, v149, v93 :: v_dual_mul_f32 v33, v151, v95
	v_dual_fma_f32 v29, v146, v90, -v29 :: v_dual_add_f32 v7, 0, v7
	s_delay_alu instid0(VALU_DEP_3) | instskip(SKIP_1) | instid1(VALU_DEP_4)
	v_dual_add_f32 v27, 0, v27 :: v_dual_fmac_f32 v11, v149, v92
	v_dual_mul_f32 v15, v152, v97 :: v_dual_mul_f32 v17, v154, v99
	v_dual_mul_f32 v41, v159, v103 :: v_dual_fma_f32 v31, v148, v92, -v31
	s_delay_alu instid0(VALU_DEP_4) | instskip(NEXT) | instid1(VALU_DEP_3)
	v_add_f32_e32 v7, v7, v9
	v_dual_add_f32 v9, v27, v29 :: v_dual_fmac_f32 v15, v153, v96
	v_dual_mul_f32 v35, v153, v97 :: v_dual_mul_f32 v37, v155, v99
	s_wait_loadcnt_dscnt 0x601
	v_dual_mul_f32 v27, v161, v105 :: v_dual_fmac_f32 v13, v151, v94
	v_dual_fma_f32 v29, v150, v94, -v33 :: v_dual_add_f32 v7, v7, v11
	s_delay_alu instid0(VALU_DEP_3) | instskip(SKIP_1) | instid1(VALU_DEP_3)
	v_dual_add_f32 v9, v9, v31 :: v_dual_fma_f32 v31, v152, v96, -v35
	v_dual_mul_f32 v19, v156, v101 :: v_dual_mul_f32 v21, v158, v103
	v_add_f32_e32 v7, v7, v13
	s_delay_alu instid0(VALU_DEP_3) | instskip(SKIP_2) | instid1(VALU_DEP_3)
	v_dual_mul_f32 v11, v163, v107 :: v_dual_add_f32 v9, v9, v29
	s_wait_loadcnt_dscnt 0x500
	v_dual_mul_f32 v13, v165, v109 :: v_dual_fmac_f32 v17, v155, v98
	v_dual_fma_f32 v29, v154, v98, -v37 :: v_dual_add_f32 v7, v7, v15
	s_delay_alu instid0(VALU_DEP_3) | instskip(SKIP_1) | instid1(VALU_DEP_3)
	v_dual_add_f32 v9, v9, v31 :: v_dual_fma_f32 v31, v156, v100, -v39
	v_dual_mul_f32 v15, v167, v111 :: v_dual_fmac_f32 v19, v157, v100
	v_dual_add_f32 v7, v7, v17 :: v_dual_fma_f32 v17, v158, v102, -v41
	s_delay_alu instid0(VALU_DEP_3) | instskip(SKIP_1) | instid1(VALU_DEP_3)
	v_dual_add_f32 v9, v9, v29 :: v_dual_fmac_f32 v21, v159, v102
	v_dual_mul_f32 v23, v160, v105 :: v_dual_mul_f32 v25, v162, v107
	v_add_f32_e32 v7, v7, v19
	s_wait_loadcnt 0x4
	s_delay_alu instid0(VALU_DEP_3) | instskip(NEXT) | instid1(VALU_DEP_3)
	v_dual_add_f32 v9, v9, v31 :: v_dual_mov_b32 v90, v115
	v_fmac_f32_e32 v23, v161, v104
	s_delay_alu instid0(VALU_DEP_3) | instskip(NEXT) | instid1(VALU_DEP_3)
	v_dual_fma_f32 v19, v160, v104, -v27 :: v_dual_add_f32 v7, v7, v21
	v_dual_add_f32 v9, v9, v17 :: v_dual_fmac_f32 v25, v163, v106
	v_dual_mul_f32 v179, v164, v109 :: v_dual_mul_f32 v181, v166, v111
	s_delay_alu instid0(VALU_DEP_3) | instskip(SKIP_1) | instid1(VALU_DEP_3)
	v_dual_fma_f32 v11, v162, v106, -v11 :: v_dual_add_f32 v7, v7, v23
	s_wait_loadcnt 0x3
	v_dual_add_f32 v9, v9, v19 :: v_dual_mov_b32 v94, v119
	v_pk_mul_f32 v[88:89], v[128:129], v[112:113] op_sel:[1,1] op_sel_hi:[0,1]
	v_dual_fmac_f32 v179, v165, v108 :: v_dual_fma_f32 v178, v164, v108, -v13
	s_delay_alu instid0(VALU_DEP_3) | instskip(SKIP_1) | instid1(VALU_DEP_4)
	v_dual_add_f32 v97, v7, v25 :: v_dual_add_f32 v96, v9, v11
	v_dual_fmac_f32 v181, v167, v110 :: v_dual_fma_f32 v180, v166, v110, -v15
	v_pk_fma_f32 v[98:99], v[128:129], v[112:113], v[88:89] op_sel_hi:[1,0,1]
	v_pk_mul_f32 v[90:91], v[170:171], v[90:91] op_sel_hi:[1,0]
	s_delay_alu instid0(VALU_DEP_4)
	v_pk_add_f32 v[96:97], v[96:97], v[178:179]
	v_pk_fma_f32 v[88:89], v[128:129], v[112:113], v[88:89] neg_lo:[0,0,1] neg_hi:[0,0,1]
	v_pk_mul_f32 v[92:93], v[132:133], v[116:117] op_sel:[1,1] op_sel_hi:[0,1]
	v_mov_b32_e32 v89, v99
	v_pk_fma_f32 v[98:99], v[130:131], v[114:115], v[90:91] op_sel_hi:[1,0,1]
	v_pk_add_f32 v[96:97], v[96:97], v[180:181]
	v_pk_fma_f32 v[90:91], v[130:131], v[114:115], v[90:91] neg_lo:[0,0,1] neg_hi:[0,0,1]
	v_pk_fma_f32 v[102:103], v[132:133], v[116:117], v[92:93] op_sel_hi:[1,0,1]
	v_pk_mul_f32 v[94:95], v[172:173], v[94:95] op_sel_hi:[1,0]
	v_mov_b32_e32 v91, v99
	v_pk_add_f32 v[88:89], v[96:97], v[88:89]
	s_wait_loadcnt 0x2
	v_pk_mul_f32 v[100:101], v[136:137], v[120:121] op_sel:[1,1] op_sel_hi:[0,1]
	v_mov_b32_e32 v96, v123
	v_pk_fma_f32 v[92:93], v[132:133], v[116:117], v[92:93] neg_lo:[0,0,1] neg_hi:[0,0,1]
	v_mov_b32_e32 v93, v103
	v_pk_fma_f32 v[98:99], v[134:135], v[118:119], v[94:95] op_sel_hi:[1,0,1]
	v_pk_add_f32 v[88:89], v[88:89], v[90:91]
	v_pk_fma_f32 v[90:91], v[136:137], v[120:121], v[100:101] op_sel_hi:[1,0,1]
	v_pk_mul_f32 v[96:97], v[174:175], v[96:97] op_sel_hi:[1,0]
	v_pk_fma_f32 v[94:95], v[134:135], v[118:119], v[94:95] neg_lo:[0,0,1] neg_hi:[0,0,1]
	v_mov_b32_e32 v95, v99
	v_pk_add_f32 v[88:89], v[88:89], v[92:93]
	v_pk_fma_f32 v[98:99], v[136:137], v[120:121], v[100:101] neg_lo:[0,0,1] neg_hi:[0,0,1]
	v_mov_b32_e32 v99, v91
	v_pk_fma_f32 v[90:91], v[138:139], v[122:123], v[96:97] op_sel_hi:[1,0,1]
	s_wait_loadcnt 0x1
	v_pk_mul_f32 v[92:93], v[140:141], v[124:125] op_sel:[1,1] op_sel_hi:[0,1]
	v_pk_add_f32 v[88:89], v[88:89], v[94:95]
	v_mov_b32_e32 v90, v127
	v_pk_fma_f32 v[96:97], v[138:139], v[122:123], v[96:97] neg_lo:[0,0,1] neg_hi:[0,0,1]
	v_mov_b32_e32 v97, v91
	v_pk_fma_f32 v[94:95], v[140:141], v[124:125], v[92:93] op_sel_hi:[1,0,1]
	v_pk_add_f32 v[88:89], v[88:89], v[98:99]
	v_pk_mul_f32 v[90:91], v[176:177], v[90:91] op_sel_hi:[1,0]
	v_pk_fma_f32 v[92:93], v[140:141], v[124:125], v[92:93] neg_lo:[0,0,1] neg_hi:[0,0,1]
	s_delay_alu instid0(VALU_DEP_4) | instskip(NEXT) | instid1(VALU_DEP_4)
	v_mov_b32_e32 v93, v95
	v_pk_add_f32 v[88:89], v[88:89], v[96:97]
	s_delay_alu instid0(VALU_DEP_4) | instskip(SKIP_1) | instid1(VALU_DEP_2)
	v_pk_fma_f32 v[94:95], v[142:143], v[126:127], v[90:91] op_sel_hi:[1,0,1]
	v_pk_fma_f32 v[90:91], v[142:143], v[126:127], v[90:91] neg_lo:[0,0,1] neg_hi:[0,0,1]
	v_mov_b32_e32 v91, v95
	s_delay_alu instid0(VALU_DEP_4) | instskip(NEXT) | instid1(VALU_DEP_1)
	v_pk_add_f32 v[88:89], v[88:89], v[92:93]
	v_pk_add_f32 v[88:89], v[88:89], v[90:91]
	s_wait_loadcnt 0x0
	s_delay_alu instid0(VALU_DEP_1)
	v_pk_add_f32 v[88:89], v[168:169], v[88:89] neg_lo:[0,1] neg_hi:[0,1]
	scratch_store_b64 off, v[88:89], off offset:176
	s_wait_xcnt 0x0
	v_cmpx_lt_u32_e32 21, v0
	s_cbranch_execz .LBB106_229
; %bb.228:
	scratch_load_b64 v[88:89], off, off offset:168
	v_mov_b64_e32 v[90:91], 0
	scratch_store_b64 off, v[90:91], off offset:168
	s_wait_loadcnt 0x0
	ds_store_b64 v1, v[88:89]
.LBB106_229:
	s_wait_xcnt 0x0
	s_or_b32 exec_lo, exec_lo, s0
	s_wait_storecnt_dscnt 0x0
	s_barrier_signal -1
	s_barrier_wait -1
	s_clause 0xb
	scratch_load_b128 v[88:91], off, off offset:176
	scratch_load_b128 v[92:95], off, off offset:192
	;; [unrolled: 1-line block ×10, first 2 shown]
	scratch_load_b64 v[168:169], off, off offset:336
	scratch_load_b64 v[170:171], off, off offset:168
	v_mov_b32_e32 v7, 0
	ds_load_b128 v[128:131], v7 offset:624
	ds_load_b128 v[132:135], v7 offset:640
	;; [unrolled: 1-line block ×10, first 2 shown]
	ds_load_b64 v[172:173], v7 offset:688
	s_mov_b32 s0, exec_lo
	s_wait_dscnt 0xa
	v_dual_mov_b32 v174, v131 :: v_dual_mov_b32 v175, v130
	s_wait_dscnt 0x7
	v_dual_mov_b32 v176, v135 :: v_dual_mov_b32 v181, v142
	v_dual_mov_b32 v177, v134 :: v_dual_mov_b32 v178, v139
	;; [unrolled: 1-line block ×3, first 2 shown]
	s_wait_loadcnt_dscnt 0xb06
	v_dual_mul_f32 v9, v144, v89 :: v_dual_mul_f32 v31, v145, v89
	v_dual_mul_f32 v33, v147, v91 :: v_dual_mul_f32 v11, v146, v91
	s_wait_loadcnt_dscnt 0xa05
	v_mul_f32_e32 v13, v148, v93
	s_wait_loadcnt_dscnt 0x803
	v_dual_mul_f32 v43, v157, v101 :: v_dual_fma_f32 v31, v144, v88, -v31
	v_dual_fmac_f32 v9, v145, v88 :: v_dual_mul_f32 v45, v159, v103
	v_dual_mul_f32 v35, v149, v93 :: v_dual_mul_f32 v37, v151, v95
	v_dual_fmac_f32 v11, v147, v90 :: v_dual_fma_f32 v33, v146, v90, -v33
	s_delay_alu instid0(VALU_DEP_3) | instskip(SKIP_4) | instid1(VALU_DEP_3)
	v_dual_add_f32 v9, 0, v9 :: v_dual_add_f32 v31, 0, v31
	v_dual_mul_f32 v15, v150, v95 :: v_dual_mul_f32 v17, v152, v97
	s_wait_loadcnt_dscnt 0x702
	v_dual_mul_f32 v47, v161, v105 :: v_dual_fma_f32 v35, v148, v92, -v35
	v_fmac_f32_e32 v13, v149, v92
	v_dual_add_f32 v9, v9, v11 :: v_dual_fmac_f32 v15, v151, v94
	v_add_f32_e32 v11, v31, v33
	v_dual_mul_f32 v39, v153, v97 :: v_dual_mul_f32 v41, v155, v99
	v_dual_mul_f32 v31, v163, v107 :: v_dual_fma_f32 v33, v150, v94, -v37
	s_delay_alu instid0(VALU_DEP_3) | instskip(SKIP_3) | instid1(VALU_DEP_3)
	v_dual_add_f32 v9, v9, v13 :: v_dual_add_f32 v11, v11, v35
	v_dual_mul_f32 v19, v154, v99 :: v_dual_mul_f32 v21, v156, v101
	s_wait_loadcnt_dscnt 0x601
	v_dual_mul_f32 v13, v165, v109 :: v_dual_fma_f32 v35, v152, v96, -v39
	v_dual_fmac_f32 v17, v153, v96 :: v_dual_add_f32 v11, v11, v33
	s_delay_alu instid0(VALU_DEP_3) | instskip(SKIP_1) | instid1(VALU_DEP_2)
	v_dual_add_f32 v9, v9, v15 :: v_dual_fmac_f32 v19, v155, v98
	v_dual_mul_f32 v15, v167, v111 :: v_dual_fma_f32 v33, v154, v98, -v41
	v_dual_add_f32 v11, v11, v35 :: v_dual_add_f32 v9, v9, v17
	v_dual_mul_f32 v23, v158, v103 :: v_dual_mul_f32 v25, v160, v105
	s_wait_loadcnt 0x5
	v_dual_mul_f32 v17, v129, v113 :: v_dual_fma_f32 v35, v156, v100, -v43
	s_delay_alu instid0(VALU_DEP_3) | instskip(SKIP_2) | instid1(VALU_DEP_2)
	v_dual_fmac_f32 v21, v157, v100 :: v_dual_add_f32 v11, v11, v33
	v_dual_add_f32 v9, v9, v19 :: v_dual_mov_b32 v88, v115
	v_dual_fmac_f32 v23, v159, v102 :: v_dual_fma_f32 v19, v158, v102, -v45
	v_dual_add_f32 v11, v11, v35 :: v_dual_add_f32 v9, v9, v21
	v_dual_mul_f32 v27, v162, v107 :: v_dual_mul_f32 v29, v164, v109
	v_dual_fmac_f32 v25, v161, v104 :: v_dual_fma_f32 v21, v160, v104, -v47
	s_wait_loadcnt 0x4
	s_delay_alu instid0(VALU_DEP_3) | instskip(SKIP_1) | instid1(VALU_DEP_2)
	v_dual_add_f32 v9, v9, v23 :: v_dual_mov_b32 v92, v119
	v_dual_add_f32 v11, v11, v19 :: v_dual_fma_f32 v19, v162, v106, -v31
	v_dual_fmac_f32 v27, v163, v106 :: v_dual_add_f32 v9, v9, v25
	v_dual_mul_f32 v183, v166, v111 :: v_dual_mul_f32 v185, v128, v113
	s_delay_alu instid0(VALU_DEP_3) | instskip(NEXT) | instid1(VALU_DEP_3)
	v_dual_add_f32 v11, v11, v21 :: v_dual_fmac_f32 v29, v165, v108
	v_dual_fma_f32 v13, v164, v108, -v13 :: v_dual_add_f32 v9, v9, v27
	s_delay_alu instid0(VALU_DEP_3) | instskip(NEXT) | instid1(VALU_DEP_3)
	v_fmac_f32_e32 v183, v167, v110
	v_dual_add_f32 v11, v11, v19 :: v_dual_fma_f32 v182, v166, v110, -v15
	v_pk_mul_f32 v[88:89], v[174:175], v[88:89] op_sel_hi:[1,0]
	s_delay_alu instid0(VALU_DEP_4) | instskip(SKIP_1) | instid1(VALU_DEP_4)
	v_add_f32_e32 v97, v9, v29
	v_pk_mul_f32 v[90:91], v[132:133], v[116:117] op_sel:[1,1] op_sel_hi:[0,1]
	v_dual_add_f32 v96, v11, v13 :: v_dual_fmac_f32 v185, v129, v112
	s_wait_loadcnt 0x3
	v_dual_mov_b32 v98, v123 :: v_dual_fma_f32 v184, v128, v112, -v17
	v_pk_fma_f32 v[100:101], v[130:131], v[114:115], v[88:89] op_sel_hi:[1,0,1]
	s_delay_alu instid0(VALU_DEP_3)
	v_pk_add_f32 v[96:97], v[96:97], v[182:183]
	v_pk_fma_f32 v[88:89], v[130:131], v[114:115], v[88:89] neg_lo:[0,0,1] neg_hi:[0,0,1]
	v_pk_fma_f32 v[102:103], v[132:133], v[116:117], v[90:91] op_sel_hi:[1,0,1]
	v_pk_mul_f32 v[92:93], v[176:177], v[92:93] op_sel_hi:[1,0]
	v_mov_b32_e32 v89, v101
	v_pk_add_f32 v[96:97], v[96:97], v[184:185]
	v_pk_fma_f32 v[90:91], v[132:133], v[116:117], v[90:91] neg_lo:[0,0,1] neg_hi:[0,0,1]
	v_pk_mul_f32 v[94:95], v[136:137], v[120:121] op_sel:[1,1] op_sel_hi:[0,1]
	v_mov_b32_e32 v91, v103
	v_pk_fma_f32 v[102:103], v[134:135], v[118:119], v[92:93] op_sel_hi:[1,0,1]
	v_pk_add_f32 v[88:89], v[96:97], v[88:89]
	v_pk_fma_f32 v[92:93], v[134:135], v[118:119], v[92:93] neg_lo:[0,0,1] neg_hi:[0,0,1]
	v_pk_fma_f32 v[96:97], v[136:137], v[120:121], v[94:95] op_sel_hi:[1,0,1]
	v_pk_mul_f32 v[98:99], v[178:179], v[98:99] op_sel_hi:[1,0]
	v_mov_b32_e32 v93, v103
	v_pk_add_f32 v[88:89], v[88:89], v[90:91]
	v_pk_fma_f32 v[94:95], v[136:137], v[120:121], v[94:95] neg_lo:[0,0,1] neg_hi:[0,0,1]
	s_wait_loadcnt 0x2
	v_pk_mul_f32 v[100:101], v[140:141], v[124:125] op_sel:[1,1] op_sel_hi:[0,1]
	v_dual_mov_b32 v90, v127 :: v_dual_mov_b32 v95, v97
	v_pk_fma_f32 v[96:97], v[138:139], v[122:123], v[98:99] op_sel_hi:[1,0,1]
	v_pk_add_f32 v[88:89], v[88:89], v[92:93]
	v_pk_fma_f32 v[98:99], v[138:139], v[122:123], v[98:99] neg_lo:[0,0,1] neg_hi:[0,0,1]
	v_pk_fma_f32 v[92:93], v[140:141], v[124:125], v[100:101] op_sel_hi:[1,0,1]
	v_pk_mul_f32 v[90:91], v[180:181], v[90:91] op_sel_hi:[1,0]
	v_mov_b32_e32 v99, v97
	v_pk_add_f32 v[88:89], v[88:89], v[94:95]
	v_pk_fma_f32 v[94:95], v[140:141], v[124:125], v[100:101] neg_lo:[0,0,1] neg_hi:[0,0,1]
	v_mov_b32_e32 v95, v93
	v_pk_fma_f32 v[92:93], v[142:143], v[126:127], v[90:91] op_sel_hi:[1,0,1]
	s_wait_loadcnt_dscnt 0x100
	v_pk_mul_f32 v[96:97], v[172:173], v[168:169] op_sel:[1,1] op_sel_hi:[0,1]
	v_pk_add_f32 v[88:89], v[88:89], v[98:99]
	v_pk_fma_f32 v[90:91], v[142:143], v[126:127], v[90:91] neg_lo:[0,0,1] neg_hi:[0,0,1]
	v_mov_b32_e32 v91, v93
	s_delay_alu instid0(VALU_DEP_4) | instskip(NEXT) | instid1(VALU_DEP_4)
	v_pk_fma_f32 v[92:93], v[172:173], v[168:169], v[96:97] op_sel_hi:[1,0,1]
	v_pk_add_f32 v[88:89], v[88:89], v[94:95]
	v_pk_fma_f32 v[94:95], v[172:173], v[168:169], v[96:97] neg_lo:[0,0,1] neg_hi:[0,0,1]
	s_delay_alu instid0(VALU_DEP_3) | instskip(NEXT) | instid1(VALU_DEP_3)
	v_mov_b32_e32 v95, v93
	v_pk_add_f32 v[88:89], v[88:89], v[90:91]
	s_delay_alu instid0(VALU_DEP_1) | instskip(SKIP_1) | instid1(VALU_DEP_1)
	v_pk_add_f32 v[88:89], v[88:89], v[94:95]
	s_wait_loadcnt 0x0
	v_pk_add_f32 v[88:89], v[170:171], v[88:89] neg_lo:[0,1] neg_hi:[0,1]
	scratch_store_b64 off, v[88:89], off offset:168
	s_wait_xcnt 0x0
	v_cmpx_lt_u32_e32 20, v0
	s_cbranch_execz .LBB106_231
; %bb.230:
	scratch_load_b64 v[88:89], off, off offset:160
	v_mov_b64_e32 v[90:91], 0
	scratch_store_b64 off, v[90:91], off offset:160
	s_wait_loadcnt 0x0
	ds_store_b64 v1, v[88:89]
.LBB106_231:
	s_wait_xcnt 0x0
	s_or_b32 exec_lo, exec_lo, s0
	s_wait_storecnt_dscnt 0x0
	s_barrier_signal -1
	s_barrier_wait -1
	s_clause 0xb
	scratch_load_b128 v[88:91], off, off offset:168
	scratch_load_b128 v[92:95], off, off offset:184
	;; [unrolled: 1-line block ×11, first 2 shown]
	scratch_load_b64 v[176:177], off, off offset:160
	ds_load_2addr_b64 v[132:135], v7 offset0:79 offset1:80
	ds_load_2addr_b64 v[136:139], v7 offset0:81 offset1:82
	;; [unrolled: 1-line block ×11, first 2 shown]
	s_mov_b32 s0, exec_lo
	s_wait_dscnt 0xa
	v_dual_mov_b32 v178, v135 :: v_dual_mov_b32 v179, v134
	s_wait_dscnt 0x9
	v_dual_mov_b32 v180, v139 :: v_dual_mov_b32 v181, v138
	;; [unrolled: 2-line block ×4, first 2 shown]
	s_wait_loadcnt_dscnt 0xb06
	v_dual_mul_f32 v7, v148, v89 :: v_dual_mul_f32 v9, v150, v91
	v_dual_mul_f32 v31, v149, v89 :: v_dual_mul_f32 v33, v151, v91
	s_wait_loadcnt_dscnt 0xa05
	v_dual_mul_f32 v11, v152, v93 :: v_dual_mul_f32 v13, v154, v95
	s_delay_alu instid0(VALU_DEP_3) | instskip(SKIP_3) | instid1(VALU_DEP_3)
	v_dual_fmac_f32 v7, v149, v88 :: v_dual_fmac_f32 v9, v151, v90
	s_wait_loadcnt_dscnt 0x803
	v_dual_fma_f32 v31, v148, v88, -v31 :: v_dual_mul_f32 v43, v161, v101
	v_dual_mul_f32 v35, v153, v93 :: v_dual_mul_f32 v37, v155, v95
	v_dual_fma_f32 v33, v150, v90, -v33 :: v_dual_add_f32 v7, 0, v7
	s_delay_alu instid0(VALU_DEP_3) | instskip(SKIP_1) | instid1(VALU_DEP_4)
	v_dual_add_f32 v31, 0, v31 :: v_dual_fmac_f32 v11, v153, v92
	v_dual_mul_f32 v15, v156, v97 :: v_dual_mul_f32 v17, v158, v99
	v_dual_mul_f32 v45, v163, v103 :: v_dual_fma_f32 v35, v152, v92, -v35
	s_delay_alu instid0(VALU_DEP_4) | instskip(NEXT) | instid1(VALU_DEP_3)
	v_add_f32_e32 v7, v7, v9
	v_dual_add_f32 v9, v31, v33 :: v_dual_fmac_f32 v15, v157, v96
	v_dual_mul_f32 v39, v157, v97 :: v_dual_mul_f32 v41, v159, v99
	s_wait_loadcnt_dscnt 0x702
	v_dual_mul_f32 v31, v165, v105 :: v_dual_fmac_f32 v13, v155, v94
	v_dual_fma_f32 v33, v154, v94, -v37 :: v_dual_add_f32 v7, v7, v11
	s_delay_alu instid0(VALU_DEP_3) | instskip(SKIP_1) | instid1(VALU_DEP_3)
	v_dual_add_f32 v9, v9, v35 :: v_dual_fma_f32 v35, v156, v96, -v39
	v_dual_mul_f32 v19, v160, v101 :: v_dual_mul_f32 v21, v162, v103
	v_add_f32_e32 v7, v7, v13
	s_delay_alu instid0(VALU_DEP_3) | instskip(SKIP_2) | instid1(VALU_DEP_3)
	v_dual_mul_f32 v11, v167, v107 :: v_dual_add_f32 v9, v9, v33
	s_wait_loadcnt_dscnt 0x601
	v_dual_mul_f32 v13, v169, v109 :: v_dual_fmac_f32 v17, v159, v98
	v_dual_fma_f32 v33, v158, v98, -v41 :: v_dual_add_f32 v7, v7, v15
	s_delay_alu instid0(VALU_DEP_3) | instskip(SKIP_1) | instid1(VALU_DEP_3)
	v_dual_add_f32 v9, v9, v35 :: v_dual_fma_f32 v35, v160, v100, -v43
	v_dual_mul_f32 v15, v171, v111 :: v_dual_fmac_f32 v19, v161, v100
	v_add_f32_e32 v7, v7, v17
	s_delay_alu instid0(VALU_DEP_3)
	v_dual_add_f32 v9, v9, v33 :: v_dual_fmac_f32 v21, v163, v102
	v_dual_mul_f32 v23, v164, v105 :: v_dual_mul_f32 v25, v166, v107
	s_wait_loadcnt_dscnt 0x500
	v_dual_fma_f32 v33, v162, v102, -v45 :: v_dual_mul_f32 v17, v173, v113
	v_add_f32_e32 v7, v7, v19
	v_dual_add_f32 v9, v9, v35 :: v_dual_fma_f32 v31, v164, v104, -v31
	v_dual_mul_f32 v19, v175, v115 :: v_dual_fmac_f32 v23, v165, v104
	s_delay_alu instid0(VALU_DEP_3) | instskip(NEXT) | instid1(VALU_DEP_3)
	v_dual_add_f32 v7, v7, v21 :: v_dual_fma_f32 v11, v166, v106, -v11
	v_dual_add_f32 v9, v9, v33 :: v_dual_fmac_f32 v25, v167, v106
	v_dual_mul_f32 v27, v168, v109 :: v_dual_mul_f32 v29, v170, v111
	s_delay_alu instid0(VALU_DEP_3) | instskip(SKIP_1) | instid1(VALU_DEP_3)
	v_add_f32_e32 v7, v7, v23
	s_wait_loadcnt 0x4
	v_dual_add_f32 v9, v9, v31 :: v_dual_mov_b32 v90, v119
	s_delay_alu instid0(VALU_DEP_3) | instskip(NEXT) | instid1(VALU_DEP_2)
	v_dual_fmac_f32 v27, v169, v108 :: v_dual_fma_f32 v13, v168, v108, -v13
	v_dual_add_f32 v7, v7, v25 :: v_dual_add_f32 v9, v9, v11
	v_dual_fmac_f32 v29, v171, v110 :: v_dual_mul_f32 v187, v172, v113
	v_mul_f32_e32 v189, v174, v115
	s_delay_alu instid0(VALU_DEP_3) | instskip(SKIP_4) | instid1(VALU_DEP_3)
	v_dual_fma_f32 v11, v170, v110, -v15 :: v_dual_add_f32 v7, v7, v27
	s_wait_loadcnt 0x3
	v_dual_add_f32 v9, v9, v13 :: v_dual_mov_b32 v94, v123
	v_pk_mul_f32 v[88:89], v[132:133], v[116:117] op_sel:[1,1] op_sel_hi:[0,1]
	v_dual_fmac_f32 v187, v173, v112 :: v_dual_fma_f32 v186, v172, v112, -v17
	v_dual_add_f32 v97, v7, v29 :: v_dual_add_f32 v96, v9, v11
	v_dual_fmac_f32 v189, v175, v114 :: v_dual_fma_f32 v188, v174, v114, -v19
	s_delay_alu instid0(VALU_DEP_4) | instskip(SKIP_1) | instid1(VALU_DEP_4)
	v_pk_fma_f32 v[98:99], v[132:133], v[116:117], v[88:89] op_sel_hi:[1,0,1]
	v_pk_mul_f32 v[90:91], v[178:179], v[90:91] op_sel_hi:[1,0]
	v_pk_add_f32 v[96:97], v[96:97], v[186:187]
	v_pk_fma_f32 v[88:89], v[132:133], v[116:117], v[88:89] neg_lo:[0,0,1] neg_hi:[0,0,1]
	v_pk_mul_f32 v[92:93], v[136:137], v[120:121] op_sel:[1,1] op_sel_hi:[0,1]
	v_mov_b32_e32 v89, v99
	v_pk_fma_f32 v[98:99], v[134:135], v[118:119], v[90:91] op_sel_hi:[1,0,1]
	v_pk_add_f32 v[96:97], v[96:97], v[188:189]
	v_pk_fma_f32 v[90:91], v[134:135], v[118:119], v[90:91] neg_lo:[0,0,1] neg_hi:[0,0,1]
	v_pk_fma_f32 v[102:103], v[136:137], v[120:121], v[92:93] op_sel_hi:[1,0,1]
	v_pk_mul_f32 v[94:95], v[180:181], v[94:95] op_sel_hi:[1,0]
	v_mov_b32_e32 v91, v99
	v_pk_add_f32 v[88:89], v[96:97], v[88:89]
	s_wait_loadcnt 0x2
	v_pk_mul_f32 v[100:101], v[140:141], v[124:125] op_sel:[1,1] op_sel_hi:[0,1]
	v_mov_b32_e32 v96, v127
	v_pk_fma_f32 v[92:93], v[136:137], v[120:121], v[92:93] neg_lo:[0,0,1] neg_hi:[0,0,1]
	v_mov_b32_e32 v93, v103
	v_pk_fma_f32 v[98:99], v[138:139], v[122:123], v[94:95] op_sel_hi:[1,0,1]
	v_pk_add_f32 v[88:89], v[88:89], v[90:91]
	v_pk_fma_f32 v[90:91], v[140:141], v[124:125], v[100:101] op_sel_hi:[1,0,1]
	v_pk_mul_f32 v[96:97], v[182:183], v[96:97] op_sel_hi:[1,0]
	v_pk_fma_f32 v[94:95], v[138:139], v[122:123], v[94:95] neg_lo:[0,0,1] neg_hi:[0,0,1]
	v_mov_b32_e32 v95, v99
	v_pk_add_f32 v[88:89], v[88:89], v[92:93]
	v_pk_fma_f32 v[98:99], v[140:141], v[124:125], v[100:101] neg_lo:[0,0,1] neg_hi:[0,0,1]
	v_mov_b32_e32 v99, v91
	v_pk_fma_f32 v[90:91], v[142:143], v[126:127], v[96:97] op_sel_hi:[1,0,1]
	s_wait_loadcnt 0x1
	v_pk_mul_f32 v[92:93], v[144:145], v[128:129] op_sel:[1,1] op_sel_hi:[0,1]
	v_pk_add_f32 v[88:89], v[88:89], v[94:95]
	v_mov_b32_e32 v90, v131
	v_pk_fma_f32 v[96:97], v[142:143], v[126:127], v[96:97] neg_lo:[0,0,1] neg_hi:[0,0,1]
	v_mov_b32_e32 v97, v91
	v_pk_fma_f32 v[94:95], v[144:145], v[128:129], v[92:93] op_sel_hi:[1,0,1]
	v_pk_add_f32 v[88:89], v[88:89], v[98:99]
	v_pk_mul_f32 v[90:91], v[184:185], v[90:91] op_sel_hi:[1,0]
	v_pk_fma_f32 v[92:93], v[144:145], v[128:129], v[92:93] neg_lo:[0,0,1] neg_hi:[0,0,1]
	s_delay_alu instid0(VALU_DEP_4) | instskip(NEXT) | instid1(VALU_DEP_4)
	v_mov_b32_e32 v93, v95
	v_pk_add_f32 v[88:89], v[88:89], v[96:97]
	s_delay_alu instid0(VALU_DEP_4) | instskip(SKIP_1) | instid1(VALU_DEP_2)
	v_pk_fma_f32 v[94:95], v[146:147], v[130:131], v[90:91] op_sel_hi:[1,0,1]
	v_pk_fma_f32 v[90:91], v[146:147], v[130:131], v[90:91] neg_lo:[0,0,1] neg_hi:[0,0,1]
	v_mov_b32_e32 v91, v95
	s_delay_alu instid0(VALU_DEP_4) | instskip(NEXT) | instid1(VALU_DEP_1)
	v_pk_add_f32 v[88:89], v[88:89], v[92:93]
	v_pk_add_f32 v[88:89], v[88:89], v[90:91]
	s_wait_loadcnt 0x0
	s_delay_alu instid0(VALU_DEP_1)
	v_pk_add_f32 v[88:89], v[176:177], v[88:89] neg_lo:[0,1] neg_hi:[0,1]
	scratch_store_b64 off, v[88:89], off offset:160
	s_wait_xcnt 0x0
	v_cmpx_lt_u32_e32 19, v0
	s_cbranch_execz .LBB106_233
; %bb.232:
	scratch_load_b64 v[88:89], off, off offset:152
	v_mov_b64_e32 v[90:91], 0
	scratch_store_b64 off, v[90:91], off offset:152
	s_wait_loadcnt 0x0
	ds_store_b64 v1, v[88:89]
.LBB106_233:
	s_wait_xcnt 0x0
	s_or_b32 exec_lo, exec_lo, s0
	s_wait_storecnt_dscnt 0x0
	s_barrier_signal -1
	s_barrier_wait -1
	s_clause 0xc
	scratch_load_b128 v[88:91], off, off offset:160
	scratch_load_b128 v[92:95], off, off offset:176
	;; [unrolled: 1-line block ×11, first 2 shown]
	scratch_load_b64 v[176:177], off, off offset:336
	scratch_load_b64 v[178:179], off, off offset:152
	v_mov_b32_e32 v7, 0
	ds_load_b128 v[132:135], v7 offset:624
	ds_load_b128 v[136:139], v7 offset:640
	ds_load_b128 v[140:143], v7 offset:656
	ds_load_b128 v[144:147], v7 offset:672
	ds_load_b128 v[148:151], v7 offset:512
	ds_load_b128 v[152:155], v7 offset:528
	ds_load_b128 v[156:159], v7 offset:544
	ds_load_b128 v[160:163], v7 offset:560
	ds_load_b128 v[164:167], v7 offset:576
	ds_load_b128 v[168:171], v7 offset:608
	ds_load_b128 v[172:175], v7 offset:592
	ds_load_b64 v[180:181], v7 offset:688
	s_mov_b32 s0, exec_lo
	s_wait_dscnt 0xb
	v_dual_mov_b32 v182, v135 :: v_dual_mov_b32 v183, v134
	s_wait_dscnt 0x8
	v_dual_mov_b32 v184, v139 :: v_dual_mov_b32 v189, v146
	v_dual_mov_b32 v185, v138 :: v_dual_mov_b32 v186, v143
	;; [unrolled: 1-line block ×3, first 2 shown]
	s_wait_loadcnt_dscnt 0xc07
	v_dual_mul_f32 v9, v148, v89 :: v_dual_mul_f32 v35, v149, v89
	v_dual_mul_f32 v37, v151, v91 :: v_dual_mul_f32 v11, v150, v91
	s_wait_loadcnt_dscnt 0xb06
	v_mul_f32_e32 v13, v152, v93
	s_wait_loadcnt_dscnt 0x904
	v_dual_mul_f32 v47, v161, v101 :: v_dual_fma_f32 v35, v148, v88, -v35
	v_dual_fmac_f32 v9, v149, v88 :: v_dual_mul_f32 v49, v163, v103
	v_dual_mul_f32 v39, v153, v93 :: v_dual_mul_f32 v41, v155, v95
	v_dual_fmac_f32 v11, v151, v90 :: v_dual_fma_f32 v37, v150, v90, -v37
	s_delay_alu instid0(VALU_DEP_3) | instskip(SKIP_4) | instid1(VALU_DEP_3)
	v_dual_add_f32 v9, 0, v9 :: v_dual_add_f32 v35, 0, v35
	v_dual_mul_f32 v15, v154, v95 :: v_dual_mul_f32 v17, v156, v97
	s_wait_loadcnt_dscnt 0x803
	v_dual_mul_f32 v51, v165, v105 :: v_dual_fma_f32 v39, v152, v92, -v39
	v_fmac_f32_e32 v13, v153, v92
	v_dual_add_f32 v9, v9, v11 :: v_dual_fmac_f32 v15, v155, v94
	v_add_f32_e32 v11, v35, v37
	v_dual_mul_f32 v43, v157, v97 :: v_dual_mul_f32 v45, v159, v99
	v_dual_mul_f32 v35, v167, v107 :: v_dual_fma_f32 v37, v154, v94, -v41
	s_delay_alu instid0(VALU_DEP_3) | instskip(SKIP_3) | instid1(VALU_DEP_3)
	v_dual_add_f32 v9, v9, v13 :: v_dual_add_f32 v11, v11, v39
	v_dual_mul_f32 v19, v158, v99 :: v_dual_mul_f32 v21, v160, v101
	s_wait_loadcnt_dscnt 0x701
	v_dual_mul_f32 v13, v173, v109 :: v_dual_fma_f32 v39, v156, v96, -v43
	v_dual_fmac_f32 v17, v157, v96 :: v_dual_add_f32 v11, v11, v37
	s_delay_alu instid0(VALU_DEP_3) | instskip(SKIP_1) | instid1(VALU_DEP_2)
	v_dual_add_f32 v9, v9, v15 :: v_dual_fmac_f32 v19, v159, v98
	v_dual_mul_f32 v15, v175, v111 :: v_dual_fma_f32 v37, v158, v98, -v45
	v_dual_add_f32 v11, v11, v39 :: v_dual_add_f32 v9, v9, v17
	v_dual_mul_f32 v23, v162, v103 :: v_dual_mul_f32 v25, v164, v105
	s_wait_loadcnt 0x6
	v_dual_mul_f32 v17, v169, v113 :: v_dual_fma_f32 v39, v160, v100, -v47
	s_delay_alu instid0(VALU_DEP_3) | instskip(NEXT) | instid1(VALU_DEP_3)
	v_dual_fmac_f32 v21, v161, v100 :: v_dual_add_f32 v11, v11, v37
	v_dual_add_f32 v9, v9, v19 :: v_dual_fmac_f32 v23, v163, v102
	v_dual_mul_f32 v19, v171, v115 :: v_dual_fma_f32 v37, v162, v102, -v49
	s_delay_alu instid0(VALU_DEP_2) | instskip(SKIP_3) | instid1(VALU_DEP_3)
	v_dual_add_f32 v11, v11, v39 :: v_dual_add_f32 v9, v9, v21
	v_dual_mul_f32 v27, v166, v107 :: v_dual_mul_f32 v29, v172, v109
	s_wait_loadcnt 0x5
	v_dual_mul_f32 v21, v133, v117 :: v_dual_fma_f32 v39, v164, v104, -v51
	v_dual_fmac_f32 v25, v165, v104 :: v_dual_add_f32 v11, v11, v37
	v_dual_add_f32 v9, v9, v23 :: v_dual_mov_b32 v88, v119
	v_fmac_f32_e32 v27, v167, v106
	s_delay_alu instid0(VALU_DEP_3) | instskip(NEXT) | instid1(VALU_DEP_3)
	v_dual_fma_f32 v23, v166, v106, -v35 :: v_dual_add_f32 v11, v11, v39
	v_dual_add_f32 v9, v9, v25 :: v_dual_mul_f32 v31, v174, v111
	v_dual_mul_f32 v33, v168, v113 :: v_dual_fmac_f32 v29, v173, v108
	s_delay_alu instid0(VALU_DEP_3) | instskip(SKIP_1) | instid1(VALU_DEP_3)
	v_dual_add_f32 v11, v11, v23 :: v_dual_fma_f32 v13, v172, v108, -v13
	s_wait_loadcnt 0x4
	v_dual_add_f32 v9, v9, v27 :: v_dual_mov_b32 v92, v123
	v_fma_f32 v15, v174, v110, -v15
	v_fmac_f32_e32 v31, v175, v110
	v_dual_add_f32 v11, v11, v13 :: v_dual_fmac_f32 v33, v169, v112
	s_delay_alu instid0(VALU_DEP_4) | instskip(SKIP_1) | instid1(VALU_DEP_3)
	v_dual_add_f32 v9, v9, v29 :: v_dual_mul_f32 v191, v170, v115
	v_mul_f32_e32 v193, v132, v117
	v_dual_fma_f32 v13, v168, v112, -v17 :: v_dual_add_f32 v11, v11, v15
	s_delay_alu instid0(VALU_DEP_3) | instskip(NEXT) | instid1(VALU_DEP_4)
	v_dual_fma_f32 v190, v170, v114, -v19 :: v_dual_add_f32 v9, v9, v31
	v_fmac_f32_e32 v191, v171, v114
	v_pk_mul_f32 v[88:89], v[182:183], v[88:89] op_sel_hi:[1,0]
	s_delay_alu instid0(VALU_DEP_4) | instskip(NEXT) | instid1(VALU_DEP_4)
	v_dual_add_f32 v96, v11, v13 :: v_dual_fmac_f32 v193, v133, v116
	v_add_f32_e32 v97, v9, v33
	v_pk_mul_f32 v[90:91], v[136:137], v[120:121] op_sel:[1,1] op_sel_hi:[0,1]
	s_wait_loadcnt 0x3
	v_dual_mov_b32 v98, v127 :: v_dual_fma_f32 v192, v132, v116, -v21
	v_pk_fma_f32 v[100:101], v[134:135], v[118:119], v[88:89] op_sel_hi:[1,0,1]
	v_pk_add_f32 v[96:97], v[96:97], v[190:191]
	v_pk_fma_f32 v[88:89], v[134:135], v[118:119], v[88:89] neg_lo:[0,0,1] neg_hi:[0,0,1]
	v_pk_fma_f32 v[102:103], v[136:137], v[120:121], v[90:91] op_sel_hi:[1,0,1]
	v_pk_mul_f32 v[92:93], v[184:185], v[92:93] op_sel_hi:[1,0]
	v_mov_b32_e32 v89, v101
	v_pk_add_f32 v[96:97], v[96:97], v[192:193]
	v_pk_fma_f32 v[90:91], v[136:137], v[120:121], v[90:91] neg_lo:[0,0,1] neg_hi:[0,0,1]
	v_pk_mul_f32 v[94:95], v[140:141], v[124:125] op_sel:[1,1] op_sel_hi:[0,1]
	v_mov_b32_e32 v91, v103
	v_pk_fma_f32 v[102:103], v[138:139], v[122:123], v[92:93] op_sel_hi:[1,0,1]
	v_pk_add_f32 v[88:89], v[96:97], v[88:89]
	v_pk_fma_f32 v[92:93], v[138:139], v[122:123], v[92:93] neg_lo:[0,0,1] neg_hi:[0,0,1]
	v_pk_fma_f32 v[96:97], v[140:141], v[124:125], v[94:95] op_sel_hi:[1,0,1]
	v_pk_mul_f32 v[98:99], v[186:187], v[98:99] op_sel_hi:[1,0]
	v_mov_b32_e32 v93, v103
	v_pk_add_f32 v[88:89], v[88:89], v[90:91]
	v_pk_fma_f32 v[94:95], v[140:141], v[124:125], v[94:95] neg_lo:[0,0,1] neg_hi:[0,0,1]
	s_wait_loadcnt 0x2
	v_pk_mul_f32 v[100:101], v[144:145], v[128:129] op_sel:[1,1] op_sel_hi:[0,1]
	v_dual_mov_b32 v90, v131 :: v_dual_mov_b32 v95, v97
	v_pk_fma_f32 v[96:97], v[142:143], v[126:127], v[98:99] op_sel_hi:[1,0,1]
	v_pk_add_f32 v[88:89], v[88:89], v[92:93]
	v_pk_fma_f32 v[98:99], v[142:143], v[126:127], v[98:99] neg_lo:[0,0,1] neg_hi:[0,0,1]
	v_pk_fma_f32 v[92:93], v[144:145], v[128:129], v[100:101] op_sel_hi:[1,0,1]
	v_pk_mul_f32 v[90:91], v[188:189], v[90:91] op_sel_hi:[1,0]
	v_mov_b32_e32 v99, v97
	v_pk_add_f32 v[88:89], v[88:89], v[94:95]
	v_pk_fma_f32 v[94:95], v[144:145], v[128:129], v[100:101] neg_lo:[0,0,1] neg_hi:[0,0,1]
	v_mov_b32_e32 v95, v93
	v_pk_fma_f32 v[92:93], v[146:147], v[130:131], v[90:91] op_sel_hi:[1,0,1]
	s_wait_loadcnt_dscnt 0x100
	v_pk_mul_f32 v[96:97], v[180:181], v[176:177] op_sel:[1,1] op_sel_hi:[0,1]
	v_pk_add_f32 v[88:89], v[88:89], v[98:99]
	v_pk_fma_f32 v[90:91], v[146:147], v[130:131], v[90:91] neg_lo:[0,0,1] neg_hi:[0,0,1]
	v_mov_b32_e32 v91, v93
	s_delay_alu instid0(VALU_DEP_4) | instskip(NEXT) | instid1(VALU_DEP_4)
	v_pk_fma_f32 v[92:93], v[180:181], v[176:177], v[96:97] op_sel_hi:[1,0,1]
	v_pk_add_f32 v[88:89], v[88:89], v[94:95]
	v_pk_fma_f32 v[94:95], v[180:181], v[176:177], v[96:97] neg_lo:[0,0,1] neg_hi:[0,0,1]
	s_delay_alu instid0(VALU_DEP_3) | instskip(NEXT) | instid1(VALU_DEP_3)
	v_mov_b32_e32 v95, v93
	v_pk_add_f32 v[88:89], v[88:89], v[90:91]
	s_delay_alu instid0(VALU_DEP_1) | instskip(SKIP_1) | instid1(VALU_DEP_1)
	v_pk_add_f32 v[88:89], v[88:89], v[94:95]
	s_wait_loadcnt 0x0
	v_pk_add_f32 v[88:89], v[178:179], v[88:89] neg_lo:[0,1] neg_hi:[0,1]
	scratch_store_b64 off, v[88:89], off offset:152
	s_wait_xcnt 0x0
	v_cmpx_lt_u32_e32 18, v0
	s_cbranch_execz .LBB106_235
; %bb.234:
	scratch_load_b64 v[88:89], off, off offset:144
	v_mov_b64_e32 v[90:91], 0
	scratch_store_b64 off, v[90:91], off offset:144
	s_wait_loadcnt 0x0
	ds_store_b64 v1, v[88:89]
.LBB106_235:
	s_wait_xcnt 0x0
	s_or_b32 exec_lo, exec_lo, s0
	s_wait_storecnt_dscnt 0x0
	s_barrier_signal -1
	s_barrier_wait -1
	s_clause 0xc
	scratch_load_b128 v[88:91], off, off offset:152
	scratch_load_b128 v[92:95], off, off offset:168
	scratch_load_b128 v[96:99], off, off offset:184
	scratch_load_b128 v[100:103], off, off offset:200
	scratch_load_b128 v[104:107], off, off offset:216
	scratch_load_b128 v[108:111], off, off offset:232
	scratch_load_b128 v[112:115], off, off offset:248
	scratch_load_b128 v[116:119], off, off offset:264
	scratch_load_b128 v[120:123], off, off offset:280
	scratch_load_b128 v[124:127], off, off offset:296
	scratch_load_b128 v[128:131], off, off offset:312
	scratch_load_b128 v[132:135], off, off offset:328
	scratch_load_b64 v[184:185], off, off offset:144
	ds_load_2addr_b64 v[136:139], v7 offset0:79 offset1:80
	ds_load_2addr_b64 v[140:143], v7 offset0:81 offset1:82
	;; [unrolled: 1-line block ×12, first 2 shown]
	s_mov_b32 s0, exec_lo
	s_wait_dscnt 0xb
	v_dual_mov_b32 v186, v139 :: v_dual_mov_b32 v187, v138
	s_wait_dscnt 0xa
	v_dual_mov_b32 v188, v143 :: v_dual_mov_b32 v189, v142
	;; [unrolled: 2-line block ×4, first 2 shown]
	s_wait_loadcnt_dscnt 0xc07
	v_dual_mul_f32 v7, v152, v89 :: v_dual_mul_f32 v9, v154, v91
	v_dual_mul_f32 v35, v153, v89 :: v_dual_mul_f32 v37, v155, v91
	s_wait_loadcnt_dscnt 0xb06
	v_dual_mul_f32 v11, v156, v93 :: v_dual_mul_f32 v13, v158, v95
	s_delay_alu instid0(VALU_DEP_3) | instskip(SKIP_3) | instid1(VALU_DEP_3)
	v_dual_fmac_f32 v7, v153, v88 :: v_dual_fmac_f32 v9, v155, v90
	s_wait_loadcnt_dscnt 0x904
	v_dual_fma_f32 v35, v152, v88, -v35 :: v_dual_mul_f32 v47, v165, v101
	v_dual_mul_f32 v39, v157, v93 :: v_dual_mul_f32 v41, v159, v95
	v_dual_fma_f32 v37, v154, v90, -v37 :: v_dual_add_f32 v7, 0, v7
	s_delay_alu instid0(VALU_DEP_3) | instskip(SKIP_1) | instid1(VALU_DEP_4)
	v_dual_add_f32 v35, 0, v35 :: v_dual_fmac_f32 v11, v157, v92
	v_dual_mul_f32 v15, v160, v97 :: v_dual_mul_f32 v17, v162, v99
	v_dual_mul_f32 v49, v167, v103 :: v_dual_fma_f32 v39, v156, v92, -v39
	s_delay_alu instid0(VALU_DEP_4) | instskip(NEXT) | instid1(VALU_DEP_3)
	v_add_f32_e32 v7, v7, v9
	v_dual_add_f32 v9, v35, v37 :: v_dual_fmac_f32 v15, v161, v96
	v_dual_mul_f32 v43, v161, v97 :: v_dual_mul_f32 v45, v163, v99
	s_wait_loadcnt_dscnt 0x803
	v_dual_mul_f32 v35, v169, v105 :: v_dual_fmac_f32 v13, v159, v94
	v_dual_fma_f32 v37, v158, v94, -v41 :: v_dual_add_f32 v7, v7, v11
	s_delay_alu instid0(VALU_DEP_3) | instskip(SKIP_1) | instid1(VALU_DEP_3)
	v_dual_add_f32 v9, v9, v39 :: v_dual_fma_f32 v39, v160, v96, -v43
	v_dual_mul_f32 v19, v164, v101 :: v_dual_mul_f32 v21, v166, v103
	v_add_f32_e32 v7, v7, v13
	s_delay_alu instid0(VALU_DEP_3) | instskip(SKIP_2) | instid1(VALU_DEP_3)
	v_dual_mul_f32 v11, v171, v107 :: v_dual_add_f32 v9, v9, v37
	s_wait_loadcnt_dscnt 0x702
	v_dual_mul_f32 v13, v173, v109 :: v_dual_fmac_f32 v17, v163, v98
	v_dual_fma_f32 v37, v162, v98, -v45 :: v_dual_add_f32 v7, v7, v15
	s_delay_alu instid0(VALU_DEP_3) | instskip(SKIP_1) | instid1(VALU_DEP_3)
	v_dual_add_f32 v9, v9, v39 :: v_dual_fma_f32 v39, v164, v100, -v47
	v_dual_mul_f32 v15, v175, v111 :: v_dual_fmac_f32 v19, v165, v100
	v_add_f32_e32 v7, v7, v17
	s_delay_alu instid0(VALU_DEP_3)
	v_dual_add_f32 v9, v9, v37 :: v_dual_fmac_f32 v21, v167, v102
	v_dual_mul_f32 v23, v168, v105 :: v_dual_mul_f32 v25, v170, v107
	s_wait_loadcnt_dscnt 0x601
	v_dual_fma_f32 v37, v166, v102, -v49 :: v_dual_mul_f32 v17, v177, v113
	v_add_f32_e32 v7, v7, v19
	v_dual_add_f32 v9, v9, v39 :: v_dual_fma_f32 v35, v168, v104, -v35
	v_dual_mul_f32 v19, v179, v115 :: v_dual_fmac_f32 v23, v169, v104
	s_delay_alu instid0(VALU_DEP_3) | instskip(NEXT) | instid1(VALU_DEP_3)
	v_dual_add_f32 v7, v7, v21 :: v_dual_fma_f32 v11, v170, v106, -v11
	v_dual_add_f32 v9, v9, v37 :: v_dual_fmac_f32 v25, v171, v106
	v_dual_mul_f32 v27, v172, v109 :: v_dual_mul_f32 v29, v174, v111
	s_wait_loadcnt_dscnt 0x500
	s_delay_alu instid0(VALU_DEP_3) | instskip(NEXT) | instid1(VALU_DEP_3)
	v_dual_mul_f32 v21, v181, v117 :: v_dual_add_f32 v7, v7, v23
	v_dual_add_f32 v9, v9, v35 :: v_dual_fma_f32 v13, v172, v108, -v13
	s_delay_alu instid0(VALU_DEP_3) | instskip(NEXT) | instid1(VALU_DEP_2)
	v_dual_mul_f32 v23, v183, v119 :: v_dual_fmac_f32 v27, v173, v108
	v_dual_add_f32 v7, v7, v25 :: v_dual_add_f32 v9, v9, v11
	v_dual_mul_f32 v31, v176, v113 :: v_dual_mul_f32 v33, v178, v115
	v_dual_fmac_f32 v29, v175, v110 :: v_dual_fma_f32 v11, v174, v110, -v15
	s_delay_alu instid0(VALU_DEP_3) | instskip(SKIP_1) | instid1(VALU_DEP_3)
	v_dual_add_f32 v7, v7, v27 :: v_dual_add_f32 v9, v9, v13
	s_wait_loadcnt 0x4
	v_dual_mov_b32 v90, v123 :: v_dual_fmac_f32 v31, v177, v112
	s_delay_alu instid0(VALU_DEP_2) | instskip(NEXT) | instid1(VALU_DEP_3)
	v_dual_fma_f32 v13, v176, v112, -v17 :: v_dual_add_f32 v7, v7, v29
	v_dual_add_f32 v9, v9, v11 :: v_dual_fmac_f32 v33, v179, v114
	v_dual_mul_f32 v195, v180, v117 :: v_dual_mul_f32 v197, v182, v119
	s_delay_alu instid0(VALU_DEP_3) | instskip(SKIP_1) | instid1(VALU_DEP_3)
	v_dual_fma_f32 v11, v178, v114, -v19 :: v_dual_add_f32 v7, v7, v31
	s_wait_loadcnt 0x3
	v_dual_add_f32 v9, v9, v13 :: v_dual_mov_b32 v94, v127
	v_pk_mul_f32 v[88:89], v[136:137], v[120:121] op_sel:[1,1] op_sel_hi:[0,1]
	v_dual_fmac_f32 v195, v181, v116 :: v_dual_fma_f32 v194, v180, v116, -v21
	s_delay_alu instid0(VALU_DEP_3) | instskip(SKIP_1) | instid1(VALU_DEP_4)
	v_dual_add_f32 v97, v7, v33 :: v_dual_add_f32 v96, v9, v11
	v_dual_fmac_f32 v197, v183, v118 :: v_dual_fma_f32 v196, v182, v118, -v23
	v_pk_fma_f32 v[98:99], v[136:137], v[120:121], v[88:89] op_sel_hi:[1,0,1]
	v_pk_mul_f32 v[90:91], v[186:187], v[90:91] op_sel_hi:[1,0]
	s_delay_alu instid0(VALU_DEP_4)
	v_pk_add_f32 v[96:97], v[96:97], v[194:195]
	v_pk_fma_f32 v[88:89], v[136:137], v[120:121], v[88:89] neg_lo:[0,0,1] neg_hi:[0,0,1]
	v_pk_mul_f32 v[92:93], v[140:141], v[124:125] op_sel:[1,1] op_sel_hi:[0,1]
	v_mov_b32_e32 v89, v99
	v_pk_fma_f32 v[98:99], v[138:139], v[122:123], v[90:91] op_sel_hi:[1,0,1]
	v_pk_add_f32 v[96:97], v[96:97], v[196:197]
	v_pk_fma_f32 v[90:91], v[138:139], v[122:123], v[90:91] neg_lo:[0,0,1] neg_hi:[0,0,1]
	v_pk_fma_f32 v[102:103], v[140:141], v[124:125], v[92:93] op_sel_hi:[1,0,1]
	v_pk_mul_f32 v[94:95], v[188:189], v[94:95] op_sel_hi:[1,0]
	v_mov_b32_e32 v91, v99
	v_pk_add_f32 v[88:89], v[96:97], v[88:89]
	s_wait_loadcnt 0x2
	v_pk_mul_f32 v[100:101], v[144:145], v[128:129] op_sel:[1,1] op_sel_hi:[0,1]
	v_mov_b32_e32 v96, v131
	v_pk_fma_f32 v[92:93], v[140:141], v[124:125], v[92:93] neg_lo:[0,0,1] neg_hi:[0,0,1]
	v_mov_b32_e32 v93, v103
	v_pk_fma_f32 v[98:99], v[142:143], v[126:127], v[94:95] op_sel_hi:[1,0,1]
	v_pk_add_f32 v[88:89], v[88:89], v[90:91]
	v_pk_fma_f32 v[90:91], v[144:145], v[128:129], v[100:101] op_sel_hi:[1,0,1]
	v_pk_mul_f32 v[96:97], v[190:191], v[96:97] op_sel_hi:[1,0]
	v_pk_fma_f32 v[94:95], v[142:143], v[126:127], v[94:95] neg_lo:[0,0,1] neg_hi:[0,0,1]
	v_mov_b32_e32 v95, v99
	v_pk_add_f32 v[88:89], v[88:89], v[92:93]
	v_pk_fma_f32 v[98:99], v[144:145], v[128:129], v[100:101] neg_lo:[0,0,1] neg_hi:[0,0,1]
	v_mov_b32_e32 v99, v91
	v_pk_fma_f32 v[90:91], v[146:147], v[130:131], v[96:97] op_sel_hi:[1,0,1]
	s_wait_loadcnt 0x1
	v_pk_mul_f32 v[92:93], v[148:149], v[132:133] op_sel:[1,1] op_sel_hi:[0,1]
	v_pk_add_f32 v[88:89], v[88:89], v[94:95]
	v_mov_b32_e32 v90, v135
	v_pk_fma_f32 v[96:97], v[146:147], v[130:131], v[96:97] neg_lo:[0,0,1] neg_hi:[0,0,1]
	v_mov_b32_e32 v97, v91
	v_pk_fma_f32 v[94:95], v[148:149], v[132:133], v[92:93] op_sel_hi:[1,0,1]
	v_pk_add_f32 v[88:89], v[88:89], v[98:99]
	v_pk_mul_f32 v[90:91], v[192:193], v[90:91] op_sel_hi:[1,0]
	v_pk_fma_f32 v[92:93], v[148:149], v[132:133], v[92:93] neg_lo:[0,0,1] neg_hi:[0,0,1]
	s_delay_alu instid0(VALU_DEP_4) | instskip(NEXT) | instid1(VALU_DEP_4)
	v_mov_b32_e32 v93, v95
	v_pk_add_f32 v[88:89], v[88:89], v[96:97]
	s_delay_alu instid0(VALU_DEP_4) | instskip(SKIP_1) | instid1(VALU_DEP_2)
	v_pk_fma_f32 v[94:95], v[150:151], v[134:135], v[90:91] op_sel_hi:[1,0,1]
	v_pk_fma_f32 v[90:91], v[150:151], v[134:135], v[90:91] neg_lo:[0,0,1] neg_hi:[0,0,1]
	v_mov_b32_e32 v91, v95
	s_delay_alu instid0(VALU_DEP_4) | instskip(NEXT) | instid1(VALU_DEP_1)
	v_pk_add_f32 v[88:89], v[88:89], v[92:93]
	v_pk_add_f32 v[88:89], v[88:89], v[90:91]
	s_wait_loadcnt 0x0
	s_delay_alu instid0(VALU_DEP_1)
	v_pk_add_f32 v[88:89], v[184:185], v[88:89] neg_lo:[0,1] neg_hi:[0,1]
	scratch_store_b64 off, v[88:89], off offset:144
	s_wait_xcnt 0x0
	v_cmpx_lt_u32_e32 17, v0
	s_cbranch_execz .LBB106_237
; %bb.236:
	scratch_load_b64 v[88:89], off, off offset:136
	v_mov_b64_e32 v[90:91], 0
	scratch_store_b64 off, v[90:91], off offset:136
	s_wait_loadcnt 0x0
	ds_store_b64 v1, v[88:89]
.LBB106_237:
	s_wait_xcnt 0x0
	s_or_b32 exec_lo, exec_lo, s0
	s_wait_storecnt_dscnt 0x0
	s_barrier_signal -1
	s_barrier_wait -1
	s_clause 0xd
	scratch_load_b128 v[88:91], off, off offset:144
	scratch_load_b128 v[92:95], off, off offset:160
	;; [unrolled: 1-line block ×12, first 2 shown]
	scratch_load_b64 v[184:185], off, off offset:336
	scratch_load_b64 v[186:187], off, off offset:136
	v_mov_b32_e32 v7, 0
	ds_load_b128 v[136:139], v7 offset:624
	ds_load_b128 v[140:143], v7 offset:640
	;; [unrolled: 1-line block ×12, first 2 shown]
	ds_load_b64 v[188:189], v7 offset:688
	s_mov_b32 s0, exec_lo
	s_wait_dscnt 0xc
	v_dual_mov_b32 v190, v139 :: v_dual_mov_b32 v191, v138
	s_wait_dscnt 0x9
	v_dual_mov_b32 v192, v143 :: v_dual_mov_b32 v197, v150
	v_dual_mov_b32 v193, v142 :: v_dual_mov_b32 v194, v147
	;; [unrolled: 1-line block ×3, first 2 shown]
	s_wait_loadcnt_dscnt 0xd08
	v_dual_mul_f32 v9, v152, v89 :: v_dual_mul_f32 v39, v153, v89
	v_dual_mul_f32 v41, v155, v91 :: v_dual_mul_f32 v11, v154, v91
	s_wait_loadcnt_dscnt 0xc07
	v_mul_f32_e32 v13, v156, v93
	s_wait_loadcnt_dscnt 0xa05
	v_dual_mul_f32 v51, v165, v101 :: v_dual_fma_f32 v39, v152, v88, -v39
	v_dual_fmac_f32 v9, v153, v88 :: v_dual_mul_f32 v53, v167, v103
	v_dual_mul_f32 v43, v157, v93 :: v_dual_mul_f32 v45, v159, v95
	v_dual_fmac_f32 v11, v155, v90 :: v_dual_fma_f32 v41, v154, v90, -v41
	s_delay_alu instid0(VALU_DEP_3) | instskip(SKIP_4) | instid1(VALU_DEP_3)
	v_dual_add_f32 v9, 0, v9 :: v_dual_add_f32 v39, 0, v39
	v_dual_mul_f32 v15, v158, v95 :: v_dual_mul_f32 v17, v160, v97
	s_wait_loadcnt_dscnt 0x904
	v_dual_mul_f32 v55, v169, v105 :: v_dual_fma_f32 v43, v156, v92, -v43
	v_fmac_f32_e32 v13, v157, v92
	v_dual_add_f32 v9, v9, v11 :: v_dual_fmac_f32 v15, v159, v94
	v_add_f32_e32 v11, v39, v41
	v_dual_mul_f32 v47, v161, v97 :: v_dual_mul_f32 v49, v163, v99
	v_dual_mul_f32 v39, v171, v107 :: v_dual_fma_f32 v41, v158, v94, -v45
	s_delay_alu instid0(VALU_DEP_3) | instskip(SKIP_3) | instid1(VALU_DEP_3)
	v_dual_add_f32 v9, v9, v13 :: v_dual_add_f32 v11, v11, v43
	v_dual_mul_f32 v19, v162, v99 :: v_dual_mul_f32 v21, v164, v101
	s_wait_loadcnt_dscnt 0x803
	v_dual_mul_f32 v13, v173, v109 :: v_dual_fma_f32 v43, v160, v96, -v47
	v_dual_fmac_f32 v17, v161, v96 :: v_dual_add_f32 v11, v11, v41
	s_delay_alu instid0(VALU_DEP_3) | instskip(SKIP_1) | instid1(VALU_DEP_2)
	v_dual_add_f32 v9, v9, v15 :: v_dual_fmac_f32 v19, v163, v98
	v_dual_mul_f32 v15, v175, v111 :: v_dual_fma_f32 v41, v162, v98, -v49
	v_dual_add_f32 v11, v11, v43 :: v_dual_add_f32 v9, v9, v17
	v_dual_mul_f32 v23, v166, v103 :: v_dual_mul_f32 v25, v168, v105
	s_wait_loadcnt_dscnt 0x702
	v_dual_mul_f32 v17, v177, v113 :: v_dual_fma_f32 v43, v164, v100, -v51
	s_delay_alu instid0(VALU_DEP_3) | instskip(NEXT) | instid1(VALU_DEP_3)
	v_dual_fmac_f32 v21, v165, v100 :: v_dual_add_f32 v11, v11, v41
	v_dual_add_f32 v9, v9, v19 :: v_dual_fmac_f32 v23, v167, v102
	v_dual_mul_f32 v19, v179, v115 :: v_dual_fma_f32 v41, v166, v102, -v53
	s_delay_alu instid0(VALU_DEP_2) | instskip(SKIP_3) | instid1(VALU_DEP_3)
	v_dual_add_f32 v11, v11, v43 :: v_dual_add_f32 v9, v9, v21
	v_dual_mul_f32 v27, v170, v107 :: v_dual_mul_f32 v29, v172, v109
	s_wait_loadcnt_dscnt 0x601
	v_dual_mul_f32 v21, v181, v117 :: v_dual_fma_f32 v43, v168, v104, -v55
	v_dual_fmac_f32 v25, v169, v104 :: v_dual_add_f32 v11, v11, v41
	s_delay_alu instid0(VALU_DEP_3) | instskip(SKIP_1) | instid1(VALU_DEP_2)
	v_dual_add_f32 v9, v9, v23 :: v_dual_fmac_f32 v27, v171, v106
	v_dual_mul_f32 v23, v183, v119 :: v_dual_fma_f32 v39, v170, v106, -v39
	v_dual_add_f32 v11, v11, v43 :: v_dual_add_f32 v9, v9, v25
	v_dual_mul_f32 v31, v174, v111 :: v_dual_mul_f32 v33, v176, v113
	s_wait_loadcnt 0x5
	v_dual_mul_f32 v25, v137, v121 :: v_dual_fma_f32 v13, v172, v108, -v13
	s_delay_alu instid0(VALU_DEP_3) | instskip(SKIP_2) | instid1(VALU_DEP_3)
	v_dual_fmac_f32 v29, v173, v108 :: v_dual_add_f32 v11, v11, v39
	v_dual_add_f32 v9, v9, v27 :: v_dual_mov_b32 v88, v123
	v_fmac_f32_e32 v31, v175, v110
	v_dual_fma_f32 v15, v174, v110, -v15 :: v_dual_add_f32 v11, v11, v13
	s_delay_alu instid0(VALU_DEP_3) | instskip(SKIP_1) | instid1(VALU_DEP_3)
	v_dual_add_f32 v9, v9, v29 :: v_dual_mul_f32 v35, v178, v115
	v_dual_mul_f32 v37, v180, v117 :: v_dual_fmac_f32 v33, v177, v112
	v_dual_add_f32 v11, v11, v15 :: v_dual_fma_f32 v13, v176, v112, -v17
	s_wait_loadcnt 0x4
	s_delay_alu instid0(VALU_DEP_3) | instskip(SKIP_3) | instid1(VALU_DEP_4)
	v_dual_add_f32 v9, v9, v31 :: v_dual_mov_b32 v92, v127
	v_fma_f32 v15, v178, v114, -v19
	v_fmac_f32_e32 v35, v179, v114
	v_dual_add_f32 v11, v11, v13 :: v_dual_fmac_f32 v37, v181, v116
	v_dual_add_f32 v9, v9, v33 :: v_dual_mul_f32 v199, v182, v119
	v_mul_f32_e32 v201, v136, v121
	s_delay_alu instid0(VALU_DEP_3) | instskip(NEXT) | instid1(VALU_DEP_3)
	v_dual_fma_f32 v13, v180, v116, -v21 :: v_dual_add_f32 v11, v11, v15
	v_dual_fma_f32 v198, v182, v118, -v23 :: v_dual_add_f32 v9, v9, v35
	s_delay_alu instid0(VALU_DEP_4) | instskip(SKIP_1) | instid1(VALU_DEP_4)
	v_fmac_f32_e32 v199, v183, v118
	v_pk_mul_f32 v[88:89], v[190:191], v[88:89] op_sel_hi:[1,0]
	v_dual_add_f32 v96, v11, v13 :: v_dual_fmac_f32 v201, v137, v120
	s_delay_alu instid0(VALU_DEP_4)
	v_add_f32_e32 v97, v9, v37
	v_pk_mul_f32 v[90:91], v[140:141], v[124:125] op_sel:[1,1] op_sel_hi:[0,1]
	s_wait_loadcnt 0x3
	v_dual_mov_b32 v98, v131 :: v_dual_fma_f32 v200, v136, v120, -v25
	v_pk_fma_f32 v[100:101], v[138:139], v[122:123], v[88:89] op_sel_hi:[1,0,1]
	v_pk_add_f32 v[96:97], v[96:97], v[198:199]
	v_pk_fma_f32 v[88:89], v[138:139], v[122:123], v[88:89] neg_lo:[0,0,1] neg_hi:[0,0,1]
	v_pk_fma_f32 v[102:103], v[140:141], v[124:125], v[90:91] op_sel_hi:[1,0,1]
	v_pk_mul_f32 v[92:93], v[192:193], v[92:93] op_sel_hi:[1,0]
	v_mov_b32_e32 v89, v101
	v_pk_add_f32 v[96:97], v[96:97], v[200:201]
	v_pk_fma_f32 v[90:91], v[140:141], v[124:125], v[90:91] neg_lo:[0,0,1] neg_hi:[0,0,1]
	v_pk_mul_f32 v[94:95], v[144:145], v[128:129] op_sel:[1,1] op_sel_hi:[0,1]
	v_mov_b32_e32 v91, v103
	v_pk_fma_f32 v[102:103], v[142:143], v[126:127], v[92:93] op_sel_hi:[1,0,1]
	v_pk_add_f32 v[88:89], v[96:97], v[88:89]
	v_pk_fma_f32 v[92:93], v[142:143], v[126:127], v[92:93] neg_lo:[0,0,1] neg_hi:[0,0,1]
	v_pk_fma_f32 v[96:97], v[144:145], v[128:129], v[94:95] op_sel_hi:[1,0,1]
	v_pk_mul_f32 v[98:99], v[194:195], v[98:99] op_sel_hi:[1,0]
	v_mov_b32_e32 v93, v103
	v_pk_add_f32 v[88:89], v[88:89], v[90:91]
	v_pk_fma_f32 v[94:95], v[144:145], v[128:129], v[94:95] neg_lo:[0,0,1] neg_hi:[0,0,1]
	s_wait_loadcnt 0x2
	v_pk_mul_f32 v[100:101], v[148:149], v[132:133] op_sel:[1,1] op_sel_hi:[0,1]
	v_dual_mov_b32 v90, v135 :: v_dual_mov_b32 v95, v97
	v_pk_fma_f32 v[96:97], v[146:147], v[130:131], v[98:99] op_sel_hi:[1,0,1]
	v_pk_add_f32 v[88:89], v[88:89], v[92:93]
	v_pk_fma_f32 v[98:99], v[146:147], v[130:131], v[98:99] neg_lo:[0,0,1] neg_hi:[0,0,1]
	v_pk_fma_f32 v[92:93], v[148:149], v[132:133], v[100:101] op_sel_hi:[1,0,1]
	v_pk_mul_f32 v[90:91], v[196:197], v[90:91] op_sel_hi:[1,0]
	v_mov_b32_e32 v99, v97
	v_pk_add_f32 v[88:89], v[88:89], v[94:95]
	v_pk_fma_f32 v[94:95], v[148:149], v[132:133], v[100:101] neg_lo:[0,0,1] neg_hi:[0,0,1]
	v_mov_b32_e32 v95, v93
	v_pk_fma_f32 v[92:93], v[150:151], v[134:135], v[90:91] op_sel_hi:[1,0,1]
	s_wait_loadcnt_dscnt 0x100
	v_pk_mul_f32 v[96:97], v[188:189], v[184:185] op_sel:[1,1] op_sel_hi:[0,1]
	v_pk_add_f32 v[88:89], v[88:89], v[98:99]
	v_pk_fma_f32 v[90:91], v[150:151], v[134:135], v[90:91] neg_lo:[0,0,1] neg_hi:[0,0,1]
	v_mov_b32_e32 v91, v93
	s_delay_alu instid0(VALU_DEP_4) | instskip(NEXT) | instid1(VALU_DEP_4)
	v_pk_fma_f32 v[92:93], v[188:189], v[184:185], v[96:97] op_sel_hi:[1,0,1]
	v_pk_add_f32 v[88:89], v[88:89], v[94:95]
	v_pk_fma_f32 v[94:95], v[188:189], v[184:185], v[96:97] neg_lo:[0,0,1] neg_hi:[0,0,1]
	s_delay_alu instid0(VALU_DEP_3) | instskip(NEXT) | instid1(VALU_DEP_3)
	v_mov_b32_e32 v95, v93
	v_pk_add_f32 v[88:89], v[88:89], v[90:91]
	s_delay_alu instid0(VALU_DEP_1) | instskip(SKIP_1) | instid1(VALU_DEP_1)
	v_pk_add_f32 v[88:89], v[88:89], v[94:95]
	s_wait_loadcnt 0x0
	v_pk_add_f32 v[88:89], v[186:187], v[88:89] neg_lo:[0,1] neg_hi:[0,1]
	scratch_store_b64 off, v[88:89], off offset:136
	s_wait_xcnt 0x0
	v_cmpx_lt_u32_e32 16, v0
	s_cbranch_execz .LBB106_239
; %bb.238:
	scratch_load_b64 v[88:89], off, off offset:128
	v_mov_b64_e32 v[90:91], 0
	scratch_store_b64 off, v[90:91], off offset:128
	s_wait_loadcnt 0x0
	ds_store_b64 v1, v[88:89]
.LBB106_239:
	s_wait_xcnt 0x0
	s_or_b32 exec_lo, exec_lo, s0
	s_wait_storecnt_dscnt 0x0
	s_barrier_signal -1
	s_barrier_wait -1
	s_clause 0xd
	scratch_load_b128 v[88:91], off, off offset:136
	scratch_load_b128 v[92:95], off, off offset:152
	;; [unrolled: 1-line block ×13, first 2 shown]
	scratch_load_b64 v[192:193], off, off offset:128
	ds_load_2addr_b64 v[140:143], v7 offset0:79 offset1:80
	ds_load_2addr_b64 v[144:147], v7 offset0:81 offset1:82
	;; [unrolled: 1-line block ×13, first 2 shown]
	s_mov_b32 s0, exec_lo
	s_wait_dscnt 0xc
	v_dual_mov_b32 v194, v143 :: v_dual_mov_b32 v195, v142
	s_wait_dscnt 0xb
	v_dual_mov_b32 v196, v147 :: v_dual_mov_b32 v197, v146
	;; [unrolled: 2-line block ×4, first 2 shown]
	s_wait_loadcnt_dscnt 0xd08
	v_dual_mul_f32 v7, v156, v89 :: v_dual_mul_f32 v9, v158, v91
	v_dual_mul_f32 v39, v157, v89 :: v_dual_mul_f32 v41, v159, v91
	s_wait_loadcnt_dscnt 0xc07
	v_dual_mul_f32 v11, v160, v93 :: v_dual_mul_f32 v13, v162, v95
	s_delay_alu instid0(VALU_DEP_3) | instskip(SKIP_3) | instid1(VALU_DEP_3)
	v_dual_fmac_f32 v7, v157, v88 :: v_dual_fmac_f32 v9, v159, v90
	s_wait_loadcnt_dscnt 0xa05
	v_dual_fma_f32 v39, v156, v88, -v39 :: v_dual_mul_f32 v51, v169, v101
	v_dual_mul_f32 v43, v161, v93 :: v_dual_mul_f32 v45, v163, v95
	v_dual_fma_f32 v41, v158, v90, -v41 :: v_dual_add_f32 v7, 0, v7
	s_delay_alu instid0(VALU_DEP_3) | instskip(SKIP_1) | instid1(VALU_DEP_4)
	v_dual_add_f32 v39, 0, v39 :: v_dual_fmac_f32 v11, v161, v92
	v_dual_mul_f32 v15, v164, v97 :: v_dual_mul_f32 v17, v166, v99
	v_dual_mul_f32 v53, v171, v103 :: v_dual_fma_f32 v43, v160, v92, -v43
	s_delay_alu instid0(VALU_DEP_4) | instskip(NEXT) | instid1(VALU_DEP_3)
	v_add_f32_e32 v7, v7, v9
	v_dual_add_f32 v9, v39, v41 :: v_dual_fmac_f32 v15, v165, v96
	v_dual_mul_f32 v47, v165, v97 :: v_dual_mul_f32 v49, v167, v99
	s_wait_loadcnt_dscnt 0x903
	v_dual_mul_f32 v39, v177, v105 :: v_dual_fmac_f32 v13, v163, v94
	v_dual_fma_f32 v41, v162, v94, -v45 :: v_dual_add_f32 v7, v7, v11
	s_delay_alu instid0(VALU_DEP_3) | instskip(SKIP_1) | instid1(VALU_DEP_3)
	v_dual_add_f32 v9, v9, v43 :: v_dual_fma_f32 v43, v164, v96, -v47
	v_dual_mul_f32 v19, v168, v101 :: v_dual_mul_f32 v21, v170, v103
	v_add_f32_e32 v7, v7, v13
	s_delay_alu instid0(VALU_DEP_3) | instskip(SKIP_2) | instid1(VALU_DEP_3)
	v_dual_mul_f32 v11, v179, v107 :: v_dual_add_f32 v9, v9, v41
	s_wait_loadcnt_dscnt 0x802
	v_dual_mul_f32 v13, v181, v109 :: v_dual_fmac_f32 v17, v167, v98
	v_dual_fma_f32 v41, v166, v98, -v49 :: v_dual_add_f32 v7, v7, v15
	s_delay_alu instid0(VALU_DEP_3) | instskip(SKIP_1) | instid1(VALU_DEP_3)
	v_dual_add_f32 v9, v9, v43 :: v_dual_fma_f32 v43, v168, v100, -v51
	v_dual_mul_f32 v15, v183, v111 :: v_dual_fmac_f32 v19, v169, v100
	v_add_f32_e32 v7, v7, v17
	s_delay_alu instid0(VALU_DEP_3)
	v_dual_add_f32 v9, v9, v41 :: v_dual_fmac_f32 v21, v171, v102
	v_dual_mul_f32 v23, v176, v105 :: v_dual_mul_f32 v25, v178, v107
	s_wait_loadcnt_dscnt 0x701
	v_dual_fma_f32 v41, v170, v102, -v53 :: v_dual_mul_f32 v17, v185, v113
	v_add_f32_e32 v7, v7, v19
	v_dual_add_f32 v9, v9, v43 :: v_dual_fma_f32 v39, v176, v104, -v39
	v_dual_mul_f32 v19, v187, v115 :: v_dual_fmac_f32 v23, v177, v104
	s_delay_alu instid0(VALU_DEP_3) | instskip(NEXT) | instid1(VALU_DEP_3)
	v_dual_add_f32 v7, v7, v21 :: v_dual_fma_f32 v11, v178, v106, -v11
	v_dual_add_f32 v9, v9, v41 :: v_dual_fmac_f32 v25, v179, v106
	v_dual_mul_f32 v27, v180, v109 :: v_dual_mul_f32 v29, v182, v111
	s_wait_loadcnt_dscnt 0x600
	s_delay_alu instid0(VALU_DEP_3) | instskip(NEXT) | instid1(VALU_DEP_3)
	v_dual_mul_f32 v21, v189, v117 :: v_dual_add_f32 v7, v7, v23
	v_dual_add_f32 v9, v9, v39 :: v_dual_fma_f32 v13, v180, v108, -v13
	s_delay_alu instid0(VALU_DEP_3) | instskip(NEXT) | instid1(VALU_DEP_2)
	v_dual_mul_f32 v23, v191, v119 :: v_dual_fmac_f32 v27, v181, v108
	v_dual_add_f32 v7, v7, v25 :: v_dual_add_f32 v9, v9, v11
	v_dual_mul_f32 v31, v184, v113 :: v_dual_mul_f32 v33, v186, v115
	s_wait_loadcnt 0x5
	v_dual_mul_f32 v11, v173, v121 :: v_dual_fmac_f32 v29, v183, v110
	s_delay_alu instid0(VALU_DEP_3) | instskip(SKIP_2) | instid1(VALU_DEP_2)
	v_dual_fma_f32 v15, v182, v110, -v15 :: v_dual_add_f32 v7, v7, v27
	v_dual_add_f32 v9, v9, v13 :: v_dual_mul_f32 v13, v175, v123
	v_dual_fmac_f32 v31, v185, v112 :: v_dual_fma_f32 v17, v184, v112, -v17
	v_dual_add_f32 v7, v7, v29 :: v_dual_add_f32 v9, v9, v15
	v_dual_mul_f32 v35, v188, v117 :: v_dual_mul_f32 v37, v190, v119
	v_dual_fmac_f32 v33, v187, v114 :: v_dual_fma_f32 v15, v186, v114, -v19
	s_delay_alu instid0(VALU_DEP_3) | instskip(SKIP_1) | instid1(VALU_DEP_3)
	v_dual_add_f32 v7, v7, v31 :: v_dual_add_f32 v9, v9, v17
	s_wait_loadcnt 0x4
	v_dual_mov_b32 v90, v127 :: v_dual_fmac_f32 v35, v189, v116
	s_delay_alu instid0(VALU_DEP_2) | instskip(NEXT) | instid1(VALU_DEP_3)
	v_dual_fma_f32 v17, v188, v116, -v21 :: v_dual_add_f32 v7, v7, v33
	v_dual_add_f32 v9, v9, v15 :: v_dual_fmac_f32 v37, v191, v118
	v_dual_mul_f32 v203, v172, v121 :: v_dual_mul_f32 v205, v174, v123
	s_delay_alu instid0(VALU_DEP_3) | instskip(SKIP_1) | instid1(VALU_DEP_3)
	v_dual_fma_f32 v15, v190, v118, -v23 :: v_dual_add_f32 v7, v7, v35
	s_wait_loadcnt 0x3
	v_dual_add_f32 v9, v9, v17 :: v_dual_mov_b32 v94, v131
	v_pk_mul_f32 v[88:89], v[140:141], v[124:125] op_sel:[1,1] op_sel_hi:[0,1]
	s_delay_alu instid0(VALU_DEP_3) | instskip(NEXT) | instid1(VALU_DEP_3)
	v_dual_fmac_f32 v203, v173, v120 :: v_dual_add_f32 v97, v7, v37
	v_dual_fma_f32 v202, v172, v120, -v11 :: v_dual_add_f32 v96, v9, v15
	v_fmac_f32_e32 v205, v175, v122
	s_delay_alu instid0(VALU_DEP_4)
	v_pk_fma_f32 v[98:99], v[140:141], v[124:125], v[88:89] op_sel_hi:[1,0,1]
	v_fma_f32 v204, v174, v122, -v13
	v_pk_mul_f32 v[90:91], v[194:195], v[90:91] op_sel_hi:[1,0]
	v_pk_add_f32 v[96:97], v[96:97], v[202:203]
	v_pk_fma_f32 v[88:89], v[140:141], v[124:125], v[88:89] neg_lo:[0,0,1] neg_hi:[0,0,1]
	v_pk_mul_f32 v[92:93], v[144:145], v[128:129] op_sel:[1,1] op_sel_hi:[0,1]
	v_mov_b32_e32 v89, v99
	v_pk_fma_f32 v[98:99], v[142:143], v[126:127], v[90:91] op_sel_hi:[1,0,1]
	v_pk_add_f32 v[96:97], v[96:97], v[204:205]
	v_pk_fma_f32 v[90:91], v[142:143], v[126:127], v[90:91] neg_lo:[0,0,1] neg_hi:[0,0,1]
	v_pk_fma_f32 v[102:103], v[144:145], v[128:129], v[92:93] op_sel_hi:[1,0,1]
	v_pk_mul_f32 v[94:95], v[196:197], v[94:95] op_sel_hi:[1,0]
	v_mov_b32_e32 v91, v99
	v_pk_add_f32 v[88:89], v[96:97], v[88:89]
	s_wait_loadcnt 0x2
	v_pk_mul_f32 v[100:101], v[148:149], v[132:133] op_sel:[1,1] op_sel_hi:[0,1]
	v_mov_b32_e32 v96, v135
	v_pk_fma_f32 v[92:93], v[144:145], v[128:129], v[92:93] neg_lo:[0,0,1] neg_hi:[0,0,1]
	v_pk_fma_f32 v[98:99], v[146:147], v[130:131], v[94:95] op_sel_hi:[1,0,1]
	v_mov_b32_e32 v93, v103
	v_pk_add_f32 v[88:89], v[88:89], v[90:91]
	v_pk_fma_f32 v[90:91], v[148:149], v[132:133], v[100:101] op_sel_hi:[1,0,1]
	v_pk_mul_f32 v[96:97], v[198:199], v[96:97] op_sel_hi:[1,0]
	v_pk_fma_f32 v[94:95], v[146:147], v[130:131], v[94:95] neg_lo:[0,0,1] neg_hi:[0,0,1]
	v_mov_b32_e32 v95, v99
	v_pk_add_f32 v[88:89], v[88:89], v[92:93]
	v_pk_fma_f32 v[98:99], v[148:149], v[132:133], v[100:101] neg_lo:[0,0,1] neg_hi:[0,0,1]
	v_mov_b32_e32 v99, v91
	v_pk_fma_f32 v[90:91], v[150:151], v[134:135], v[96:97] op_sel_hi:[1,0,1]
	s_wait_loadcnt 0x1
	v_pk_mul_f32 v[92:93], v[152:153], v[136:137] op_sel:[1,1] op_sel_hi:[0,1]
	v_pk_add_f32 v[88:89], v[88:89], v[94:95]
	v_mov_b32_e32 v90, v139
	v_pk_fma_f32 v[96:97], v[150:151], v[134:135], v[96:97] neg_lo:[0,0,1] neg_hi:[0,0,1]
	s_delay_alu instid0(VALU_DEP_4)
	v_pk_fma_f32 v[94:95], v[152:153], v[136:137], v[92:93] op_sel_hi:[1,0,1]
	v_mov_b32_e32 v97, v91
	v_pk_add_f32 v[88:89], v[88:89], v[98:99]
	v_pk_mul_f32 v[90:91], v[200:201], v[90:91] op_sel_hi:[1,0]
	v_pk_fma_f32 v[92:93], v[152:153], v[136:137], v[92:93] neg_lo:[0,0,1] neg_hi:[0,0,1]
	v_mov_b32_e32 v93, v95
	s_delay_alu instid0(VALU_DEP_4) | instskip(NEXT) | instid1(VALU_DEP_4)
	v_pk_add_f32 v[88:89], v[88:89], v[96:97]
	v_pk_fma_f32 v[94:95], v[154:155], v[138:139], v[90:91] op_sel_hi:[1,0,1]
	v_pk_fma_f32 v[90:91], v[154:155], v[138:139], v[90:91] neg_lo:[0,0,1] neg_hi:[0,0,1]
	s_delay_alu instid0(VALU_DEP_3) | instskip(NEXT) | instid1(VALU_DEP_3)
	v_pk_add_f32 v[88:89], v[88:89], v[92:93]
	v_mov_b32_e32 v91, v95
	s_delay_alu instid0(VALU_DEP_1) | instskip(SKIP_1) | instid1(VALU_DEP_1)
	v_pk_add_f32 v[88:89], v[88:89], v[90:91]
	s_wait_loadcnt 0x0
	v_pk_add_f32 v[88:89], v[192:193], v[88:89] neg_lo:[0,1] neg_hi:[0,1]
	scratch_store_b64 off, v[88:89], off offset:128
	s_wait_xcnt 0x0
	v_cmpx_lt_u32_e32 15, v0
	s_cbranch_execz .LBB106_241
; %bb.240:
	scratch_load_b64 v[88:89], off, off offset:120
	v_mov_b64_e32 v[90:91], 0
	scratch_store_b64 off, v[90:91], off offset:120
	s_wait_loadcnt 0x0
	ds_store_b64 v1, v[88:89]
.LBB106_241:
	s_wait_xcnt 0x0
	s_or_b32 exec_lo, exec_lo, s0
	s_wait_storecnt_dscnt 0x0
	s_barrier_signal -1
	s_barrier_wait -1
	s_clause 0xe
	scratch_load_b128 v[88:91], off, off offset:128
	scratch_load_b128 v[92:95], off, off offset:144
	;; [unrolled: 1-line block ×13, first 2 shown]
	scratch_load_b64 v[192:193], off, off offset:336
	scratch_load_b64 v[194:195], off, off offset:120
	v_mov_b32_e32 v7, 0
	ds_load_b128 v[140:143], v7 offset:624
	ds_load_b128 v[144:147], v7 offset:640
	;; [unrolled: 1-line block ×13, first 2 shown]
	ds_load_b64 v[196:197], v7 offset:688
	s_mov_b32 s0, exec_lo
	s_wait_dscnt 0xd
	v_dual_mov_b32 v198, v143 :: v_dual_mov_b32 v199, v142
	s_wait_dscnt 0xa
	v_dual_mov_b32 v200, v147 :: v_dual_mov_b32 v205, v154
	v_dual_mov_b32 v201, v146 :: v_dual_mov_b32 v202, v151
	;; [unrolled: 1-line block ×3, first 2 shown]
	s_wait_loadcnt_dscnt 0xe09
	v_dual_mul_f32 v9, v156, v89 :: v_dual_mul_f32 v43, v157, v89
	v_dual_mul_f32 v45, v159, v91 :: v_dual_mul_f32 v11, v158, v91
	s_wait_loadcnt_dscnt 0xd08
	v_mul_f32_e32 v13, v160, v93
	s_wait_loadcnt_dscnt 0xb05
	v_dual_mul_f32 v55, v173, v101 :: v_dual_fma_f32 v43, v156, v88, -v43
	v_dual_fmac_f32 v9, v157, v88 :: v_dual_mul_f32 v57, v175, v103
	v_dual_mul_f32 v47, v161, v93 :: v_dual_mul_f32 v49, v163, v95
	v_dual_fmac_f32 v11, v159, v90 :: v_dual_fma_f32 v45, v158, v90, -v45
	s_delay_alu instid0(VALU_DEP_3) | instskip(SKIP_4) | instid1(VALU_DEP_3)
	v_dual_add_f32 v9, 0, v9 :: v_dual_add_f32 v43, 0, v43
	v_dual_mul_f32 v15, v162, v95 :: v_dual_mul_f32 v17, v164, v97
	s_wait_loadcnt_dscnt 0xa04
	v_dual_mul_f32 v59, v177, v105 :: v_dual_fma_f32 v47, v160, v92, -v47
	v_fmac_f32_e32 v13, v161, v92
	v_dual_add_f32 v9, v9, v11 :: v_dual_fmac_f32 v15, v163, v94
	v_add_f32_e32 v11, v43, v45
	v_dual_mul_f32 v51, v165, v97 :: v_dual_mul_f32 v53, v167, v99
	v_dual_mul_f32 v43, v179, v107 :: v_dual_fma_f32 v45, v162, v94, -v49
	s_delay_alu instid0(VALU_DEP_3) | instskip(SKIP_3) | instid1(VALU_DEP_3)
	v_dual_add_f32 v9, v9, v13 :: v_dual_add_f32 v11, v11, v47
	v_dual_mul_f32 v19, v166, v99 :: v_dual_mul_f32 v21, v172, v101
	s_wait_loadcnt_dscnt 0x903
	v_dual_mul_f32 v13, v181, v109 :: v_dual_fma_f32 v47, v164, v96, -v51
	v_dual_fmac_f32 v17, v165, v96 :: v_dual_add_f32 v11, v11, v45
	s_delay_alu instid0(VALU_DEP_3) | instskip(SKIP_1) | instid1(VALU_DEP_2)
	v_dual_add_f32 v9, v9, v15 :: v_dual_fmac_f32 v19, v167, v98
	v_dual_mul_f32 v15, v183, v111 :: v_dual_fma_f32 v45, v166, v98, -v53
	v_dual_add_f32 v11, v11, v47 :: v_dual_add_f32 v9, v9, v17
	v_dual_mul_f32 v23, v174, v103 :: v_dual_mul_f32 v25, v176, v105
	s_wait_loadcnt_dscnt 0x802
	v_dual_mul_f32 v17, v185, v113 :: v_dual_fma_f32 v47, v172, v100, -v55
	s_delay_alu instid0(VALU_DEP_3) | instskip(NEXT) | instid1(VALU_DEP_3)
	v_dual_fmac_f32 v21, v173, v100 :: v_dual_add_f32 v11, v11, v45
	v_dual_add_f32 v9, v9, v19 :: v_dual_fmac_f32 v23, v175, v102
	v_dual_mul_f32 v19, v187, v115 :: v_dual_fma_f32 v45, v174, v102, -v57
	s_delay_alu instid0(VALU_DEP_2) | instskip(SKIP_3) | instid1(VALU_DEP_3)
	v_dual_add_f32 v11, v11, v47 :: v_dual_add_f32 v9, v9, v21
	v_dual_mul_f32 v27, v178, v107 :: v_dual_mul_f32 v29, v180, v109
	s_wait_loadcnt_dscnt 0x701
	v_dual_mul_f32 v21, v189, v117 :: v_dual_fma_f32 v47, v176, v104, -v59
	v_dual_fmac_f32 v25, v177, v104 :: v_dual_add_f32 v11, v11, v45
	s_delay_alu instid0(VALU_DEP_3) | instskip(SKIP_1) | instid1(VALU_DEP_2)
	v_dual_add_f32 v9, v9, v23 :: v_dual_fmac_f32 v27, v179, v106
	v_dual_mul_f32 v23, v191, v119 :: v_dual_fma_f32 v43, v178, v106, -v43
	v_dual_add_f32 v11, v11, v47 :: v_dual_add_f32 v9, v9, v25
	v_dual_mul_f32 v31, v182, v111 :: v_dual_mul_f32 v33, v184, v113
	s_wait_loadcnt 0x6
	v_dual_mul_f32 v25, v169, v121 :: v_dual_fma_f32 v13, v180, v108, -v13
	s_delay_alu instid0(VALU_DEP_3) | instskip(NEXT) | instid1(VALU_DEP_3)
	v_dual_fmac_f32 v29, v181, v108 :: v_dual_add_f32 v11, v11, v43
	v_dual_add_f32 v9, v9, v27 :: v_dual_fmac_f32 v31, v183, v110
	v_dual_mul_f32 v27, v171, v123 :: v_dual_fma_f32 v15, v182, v110, -v15
	s_delay_alu instid0(VALU_DEP_3) | instskip(NEXT) | instid1(VALU_DEP_3)
	v_dual_add_f32 v11, v11, v13 :: v_dual_fmac_f32 v33, v185, v112
	v_dual_add_f32 v9, v9, v29 :: v_dual_fma_f32 v17, v184, v112, -v17
	v_dual_mul_f32 v35, v186, v115 :: v_dual_mul_f32 v37, v188, v117
	s_wait_loadcnt 0x5
	s_delay_alu instid0(VALU_DEP_3) | instskip(NEXT) | instid1(VALU_DEP_3)
	v_dual_mul_f32 v13, v141, v125 :: v_dual_add_f32 v11, v11, v15
	v_dual_add_f32 v9, v9, v31 :: v_dual_mov_b32 v88, v127
	s_delay_alu instid0(VALU_DEP_3) | instskip(NEXT) | instid1(VALU_DEP_3)
	v_fmac_f32_e32 v35, v187, v114
	v_dual_fma_f32 v15, v186, v114, -v19 :: v_dual_add_f32 v11, v11, v17
	s_delay_alu instid0(VALU_DEP_3) | instskip(SKIP_1) | instid1(VALU_DEP_3)
	v_dual_add_f32 v9, v9, v33 :: v_dual_mul_f32 v39, v190, v119
	v_dual_mul_f32 v41, v168, v121 :: v_dual_fmac_f32 v37, v189, v116
	v_dual_add_f32 v11, v11, v15 :: v_dual_fma_f32 v17, v188, v116, -v21
	s_wait_loadcnt 0x4
	s_delay_alu instid0(VALU_DEP_3) | instskip(SKIP_3) | instid1(VALU_DEP_4)
	v_dual_add_f32 v9, v9, v35 :: v_dual_mov_b32 v92, v131
	v_fma_f32 v15, v190, v118, -v23
	v_fmac_f32_e32 v39, v191, v118
	v_dual_add_f32 v11, v11, v17 :: v_dual_fmac_f32 v41, v169, v120
	v_dual_add_f32 v9, v9, v37 :: v_dual_mul_f32 v207, v170, v123
	v_mul_f32_e32 v209, v140, v125
	s_delay_alu instid0(VALU_DEP_3) | instskip(NEXT) | instid1(VALU_DEP_3)
	v_dual_fma_f32 v17, v168, v120, -v25 :: v_dual_add_f32 v11, v11, v15
	v_dual_fma_f32 v206, v170, v122, -v27 :: v_dual_add_f32 v9, v9, v39
	s_delay_alu instid0(VALU_DEP_4) | instskip(SKIP_1) | instid1(VALU_DEP_4)
	v_fmac_f32_e32 v207, v171, v122
	v_pk_mul_f32 v[88:89], v[198:199], v[88:89] op_sel_hi:[1,0]
	v_dual_add_f32 v96, v11, v17 :: v_dual_fmac_f32 v209, v141, v124
	s_delay_alu instid0(VALU_DEP_4)
	v_add_f32_e32 v97, v9, v41
	v_pk_mul_f32 v[90:91], v[144:145], v[128:129] op_sel:[1,1] op_sel_hi:[0,1]
	s_wait_loadcnt 0x3
	v_dual_mov_b32 v98, v135 :: v_dual_fma_f32 v208, v140, v124, -v13
	v_pk_fma_f32 v[100:101], v[142:143], v[126:127], v[88:89] op_sel_hi:[1,0,1]
	v_pk_add_f32 v[96:97], v[96:97], v[206:207]
	v_pk_fma_f32 v[88:89], v[142:143], v[126:127], v[88:89] neg_lo:[0,0,1] neg_hi:[0,0,1]
	v_pk_fma_f32 v[102:103], v[144:145], v[128:129], v[90:91] op_sel_hi:[1,0,1]
	v_pk_mul_f32 v[92:93], v[200:201], v[92:93] op_sel_hi:[1,0]
	v_mov_b32_e32 v89, v101
	v_pk_add_f32 v[96:97], v[96:97], v[208:209]
	v_pk_fma_f32 v[90:91], v[144:145], v[128:129], v[90:91] neg_lo:[0,0,1] neg_hi:[0,0,1]
	v_pk_mul_f32 v[94:95], v[148:149], v[132:133] op_sel:[1,1] op_sel_hi:[0,1]
	v_mov_b32_e32 v91, v103
	v_pk_fma_f32 v[102:103], v[146:147], v[130:131], v[92:93] op_sel_hi:[1,0,1]
	v_pk_add_f32 v[88:89], v[96:97], v[88:89]
	v_pk_fma_f32 v[92:93], v[146:147], v[130:131], v[92:93] neg_lo:[0,0,1] neg_hi:[0,0,1]
	v_pk_fma_f32 v[96:97], v[148:149], v[132:133], v[94:95] op_sel_hi:[1,0,1]
	v_pk_mul_f32 v[98:99], v[202:203], v[98:99] op_sel_hi:[1,0]
	v_mov_b32_e32 v93, v103
	v_pk_add_f32 v[88:89], v[88:89], v[90:91]
	v_pk_fma_f32 v[94:95], v[148:149], v[132:133], v[94:95] neg_lo:[0,0,1] neg_hi:[0,0,1]
	s_wait_loadcnt 0x2
	v_pk_mul_f32 v[100:101], v[152:153], v[136:137] op_sel:[1,1] op_sel_hi:[0,1]
	v_dual_mov_b32 v90, v139 :: v_dual_mov_b32 v95, v97
	v_pk_fma_f32 v[96:97], v[150:151], v[134:135], v[98:99] op_sel_hi:[1,0,1]
	v_pk_add_f32 v[88:89], v[88:89], v[92:93]
	v_pk_fma_f32 v[98:99], v[150:151], v[134:135], v[98:99] neg_lo:[0,0,1] neg_hi:[0,0,1]
	v_pk_fma_f32 v[92:93], v[152:153], v[136:137], v[100:101] op_sel_hi:[1,0,1]
	v_pk_mul_f32 v[90:91], v[204:205], v[90:91] op_sel_hi:[1,0]
	v_mov_b32_e32 v99, v97
	v_pk_add_f32 v[88:89], v[88:89], v[94:95]
	v_pk_fma_f32 v[94:95], v[152:153], v[136:137], v[100:101] neg_lo:[0,0,1] neg_hi:[0,0,1]
	v_mov_b32_e32 v95, v93
	v_pk_fma_f32 v[92:93], v[154:155], v[138:139], v[90:91] op_sel_hi:[1,0,1]
	s_wait_loadcnt_dscnt 0x100
	v_pk_mul_f32 v[96:97], v[196:197], v[192:193] op_sel:[1,1] op_sel_hi:[0,1]
	v_pk_add_f32 v[88:89], v[88:89], v[98:99]
	v_pk_fma_f32 v[90:91], v[154:155], v[138:139], v[90:91] neg_lo:[0,0,1] neg_hi:[0,0,1]
	v_mov_b32_e32 v91, v93
	s_delay_alu instid0(VALU_DEP_4) | instskip(NEXT) | instid1(VALU_DEP_4)
	v_pk_fma_f32 v[92:93], v[196:197], v[192:193], v[96:97] op_sel_hi:[1,0,1]
	v_pk_add_f32 v[88:89], v[88:89], v[94:95]
	v_pk_fma_f32 v[94:95], v[196:197], v[192:193], v[96:97] neg_lo:[0,0,1] neg_hi:[0,0,1]
	s_delay_alu instid0(VALU_DEP_3) | instskip(NEXT) | instid1(VALU_DEP_3)
	v_mov_b32_e32 v95, v93
	v_pk_add_f32 v[88:89], v[88:89], v[90:91]
	s_delay_alu instid0(VALU_DEP_1) | instskip(SKIP_1) | instid1(VALU_DEP_1)
	v_pk_add_f32 v[88:89], v[88:89], v[94:95]
	s_wait_loadcnt 0x0
	v_pk_add_f32 v[88:89], v[194:195], v[88:89] neg_lo:[0,1] neg_hi:[0,1]
	scratch_store_b64 off, v[88:89], off offset:120
	s_wait_xcnt 0x0
	v_cmpx_lt_u32_e32 14, v0
	s_cbranch_execz .LBB106_243
; %bb.242:
	scratch_load_b64 v[88:89], off, off offset:112
	v_mov_b64_e32 v[90:91], 0
	scratch_store_b64 off, v[90:91], off offset:112
	s_wait_loadcnt 0x0
	ds_store_b64 v1, v[88:89]
.LBB106_243:
	s_wait_xcnt 0x0
	s_or_b32 exec_lo, exec_lo, s0
	s_wait_storecnt_dscnt 0x0
	s_barrier_signal -1
	s_barrier_wait -1
	s_clause 0xe
	scratch_load_b128 v[88:91], off, off offset:120
	scratch_load_b128 v[92:95], off, off offset:136
	;; [unrolled: 1-line block ×14, first 2 shown]
	scratch_load_b64 v[200:201], off, off offset:112
	ds_load_2addr_b64 v[144:147], v7 offset0:79 offset1:80
	ds_load_2addr_b64 v[148:151], v7 offset0:81 offset1:82
	;; [unrolled: 1-line block ×14, first 2 shown]
	s_mov_b32 s0, exec_lo
	s_wait_dscnt 0xd
	v_dual_mov_b32 v202, v147 :: v_dual_mov_b32 v203, v146
	s_wait_dscnt 0xc
	v_dual_mov_b32 v204, v151 :: v_dual_mov_b32 v205, v150
	;; [unrolled: 2-line block ×4, first 2 shown]
	s_wait_loadcnt_dscnt 0xe09
	v_dual_mul_f32 v7, v160, v89 :: v_dual_mul_f32 v9, v162, v91
	v_dual_mul_f32 v43, v161, v89 :: v_dual_mul_f32 v45, v163, v91
	s_wait_loadcnt_dscnt 0xd08
	v_dual_mul_f32 v11, v164, v93 :: v_dual_mul_f32 v13, v166, v95
	s_delay_alu instid0(VALU_DEP_3) | instskip(SKIP_3) | instid1(VALU_DEP_3)
	v_dual_fmac_f32 v7, v161, v88 :: v_dual_fmac_f32 v9, v163, v90
	s_wait_loadcnt_dscnt 0xb06
	v_dual_fma_f32 v43, v160, v88, -v43 :: v_dual_mul_f32 v55, v173, v101
	v_dual_mul_f32 v47, v165, v93 :: v_dual_mul_f32 v49, v167, v95
	v_dual_fma_f32 v45, v162, v90, -v45 :: v_dual_add_f32 v7, 0, v7
	s_delay_alu instid0(VALU_DEP_3) | instskip(SKIP_1) | instid1(VALU_DEP_4)
	v_dual_add_f32 v43, 0, v43 :: v_dual_fmac_f32 v11, v165, v92
	v_dual_mul_f32 v15, v168, v97 :: v_dual_mul_f32 v17, v170, v99
	v_dual_mul_f32 v57, v175, v103 :: v_dual_fma_f32 v47, v164, v92, -v47
	s_delay_alu instid0(VALU_DEP_4) | instskip(NEXT) | instid1(VALU_DEP_3)
	v_add_f32_e32 v7, v7, v9
	v_dual_add_f32 v9, v43, v45 :: v_dual_fmac_f32 v15, v169, v96
	v_dual_mul_f32 v51, v169, v97 :: v_dual_mul_f32 v53, v171, v99
	s_wait_loadcnt_dscnt 0xa05
	v_dual_mul_f32 v43, v177, v105 :: v_dual_fmac_f32 v13, v167, v94
	v_dual_fma_f32 v45, v166, v94, -v49 :: v_dual_add_f32 v7, v7, v11
	s_delay_alu instid0(VALU_DEP_3) | instskip(SKIP_1) | instid1(VALU_DEP_3)
	v_dual_add_f32 v9, v9, v47 :: v_dual_fma_f32 v47, v168, v96, -v51
	v_dual_mul_f32 v19, v172, v101 :: v_dual_mul_f32 v21, v174, v103
	v_add_f32_e32 v7, v7, v13
	s_delay_alu instid0(VALU_DEP_3) | instskip(SKIP_2) | instid1(VALU_DEP_3)
	v_dual_mul_f32 v11, v179, v107 :: v_dual_add_f32 v9, v9, v45
	s_wait_loadcnt_dscnt 0x904
	v_dual_mul_f32 v13, v181, v109 :: v_dual_fmac_f32 v17, v171, v98
	v_dual_fma_f32 v45, v170, v98, -v53 :: v_dual_add_f32 v7, v7, v15
	s_delay_alu instid0(VALU_DEP_3) | instskip(SKIP_1) | instid1(VALU_DEP_3)
	v_dual_add_f32 v9, v9, v47 :: v_dual_fma_f32 v47, v172, v100, -v55
	v_dual_mul_f32 v15, v183, v111 :: v_dual_fmac_f32 v19, v173, v100
	v_add_f32_e32 v7, v7, v17
	s_delay_alu instid0(VALU_DEP_3)
	v_dual_add_f32 v9, v9, v45 :: v_dual_fmac_f32 v21, v175, v102
	v_dual_mul_f32 v23, v176, v105 :: v_dual_mul_f32 v25, v178, v107
	s_wait_loadcnt_dscnt 0x803
	v_dual_fma_f32 v45, v174, v102, -v57 :: v_dual_mul_f32 v17, v185, v113
	v_add_f32_e32 v7, v7, v19
	v_dual_add_f32 v9, v9, v47 :: v_dual_fma_f32 v43, v176, v104, -v43
	v_dual_mul_f32 v19, v187, v115 :: v_dual_fmac_f32 v23, v177, v104
	s_delay_alu instid0(VALU_DEP_3) | instskip(NEXT) | instid1(VALU_DEP_3)
	v_dual_add_f32 v7, v7, v21 :: v_dual_fma_f32 v11, v178, v106, -v11
	v_dual_add_f32 v9, v9, v45 :: v_dual_fmac_f32 v25, v179, v106
	v_dual_mul_f32 v27, v180, v109 :: v_dual_mul_f32 v29, v182, v111
	s_wait_loadcnt_dscnt 0x702
	s_delay_alu instid0(VALU_DEP_3) | instskip(NEXT) | instid1(VALU_DEP_3)
	v_dual_mul_f32 v21, v189, v117 :: v_dual_add_f32 v7, v7, v23
	v_dual_add_f32 v9, v9, v43 :: v_dual_fma_f32 v13, v180, v108, -v13
	s_delay_alu instid0(VALU_DEP_3) | instskip(NEXT) | instid1(VALU_DEP_2)
	v_dual_mul_f32 v23, v191, v119 :: v_dual_fmac_f32 v27, v181, v108
	v_dual_add_f32 v7, v7, v25 :: v_dual_add_f32 v9, v9, v11
	v_dual_mul_f32 v31, v184, v113 :: v_dual_mul_f32 v33, v186, v115
	s_wait_loadcnt_dscnt 0x601
	v_dual_mul_f32 v11, v193, v121 :: v_dual_fmac_f32 v29, v183, v110
	s_delay_alu instid0(VALU_DEP_3) | instskip(SKIP_2) | instid1(VALU_DEP_2)
	v_dual_fma_f32 v15, v182, v110, -v15 :: v_dual_add_f32 v7, v7, v27
	v_dual_add_f32 v9, v9, v13 :: v_dual_mul_f32 v13, v195, v123
	v_dual_fmac_f32 v31, v185, v112 :: v_dual_fma_f32 v17, v184, v112, -v17
	v_dual_add_f32 v7, v7, v29 :: v_dual_add_f32 v9, v9, v15
	v_dual_mul_f32 v35, v188, v117 :: v_dual_mul_f32 v37, v190, v119
	s_wait_loadcnt_dscnt 0x500
	v_dual_mul_f32 v15, v197, v125 :: v_dual_fmac_f32 v33, v187, v114
	s_delay_alu instid0(VALU_DEP_3) | instskip(SKIP_2) | instid1(VALU_DEP_2)
	v_dual_fma_f32 v19, v186, v114, -v19 :: v_dual_add_f32 v7, v7, v31
	v_dual_add_f32 v9, v9, v17 :: v_dual_mul_f32 v17, v199, v127
	v_dual_fmac_f32 v35, v189, v116 :: v_dual_fma_f32 v21, v188, v116, -v21
	v_dual_add_f32 v7, v7, v33 :: v_dual_add_f32 v9, v9, v19
	v_dual_mul_f32 v39, v192, v121 :: v_dual_mul_f32 v41, v194, v123
	v_dual_fmac_f32 v37, v191, v118 :: v_dual_fma_f32 v19, v190, v118, -v23
	s_delay_alu instid0(VALU_DEP_3) | instskip(SKIP_1) | instid1(VALU_DEP_3)
	v_dual_add_f32 v7, v7, v35 :: v_dual_add_f32 v9, v9, v21
	s_wait_loadcnt 0x4
	v_dual_mov_b32 v90, v131 :: v_dual_fmac_f32 v39, v193, v120
	s_delay_alu instid0(VALU_DEP_2) | instskip(NEXT) | instid1(VALU_DEP_3)
	v_dual_fma_f32 v11, v192, v120, -v11 :: v_dual_add_f32 v7, v7, v37
	v_dual_add_f32 v9, v9, v19 :: v_dual_fmac_f32 v41, v195, v122
	v_dual_mul_f32 v211, v196, v125 :: v_dual_mul_f32 v213, v198, v127
	s_delay_alu instid0(VALU_DEP_3) | instskip(SKIP_1) | instid1(VALU_DEP_3)
	v_dual_fma_f32 v13, v194, v122, -v13 :: v_dual_add_f32 v7, v7, v39
	s_wait_loadcnt 0x3
	v_dual_add_f32 v9, v9, v11 :: v_dual_mov_b32 v94, v135
	v_pk_mul_f32 v[88:89], v[144:145], v[128:129] op_sel:[1,1] op_sel_hi:[0,1]
	s_delay_alu instid0(VALU_DEP_3) | instskip(NEXT) | instid1(VALU_DEP_3)
	v_dual_fmac_f32 v211, v197, v124 :: v_dual_add_f32 v97, v7, v41
	v_dual_fma_f32 v210, v196, v124, -v15 :: v_dual_add_f32 v96, v9, v13
	v_fmac_f32_e32 v213, v199, v126
	s_delay_alu instid0(VALU_DEP_4)
	v_pk_fma_f32 v[98:99], v[144:145], v[128:129], v[88:89] op_sel_hi:[1,0,1]
	v_fma_f32 v212, v198, v126, -v17
	v_pk_mul_f32 v[90:91], v[202:203], v[90:91] op_sel_hi:[1,0]
	v_pk_add_f32 v[96:97], v[96:97], v[210:211]
	v_pk_fma_f32 v[88:89], v[144:145], v[128:129], v[88:89] neg_lo:[0,0,1] neg_hi:[0,0,1]
	v_pk_mul_f32 v[92:93], v[148:149], v[132:133] op_sel:[1,1] op_sel_hi:[0,1]
	v_mov_b32_e32 v89, v99
	v_pk_fma_f32 v[98:99], v[146:147], v[130:131], v[90:91] op_sel_hi:[1,0,1]
	v_pk_add_f32 v[96:97], v[96:97], v[212:213]
	v_pk_fma_f32 v[90:91], v[146:147], v[130:131], v[90:91] neg_lo:[0,0,1] neg_hi:[0,0,1]
	v_pk_fma_f32 v[102:103], v[148:149], v[132:133], v[92:93] op_sel_hi:[1,0,1]
	v_pk_mul_f32 v[94:95], v[204:205], v[94:95] op_sel_hi:[1,0]
	v_mov_b32_e32 v91, v99
	v_pk_add_f32 v[88:89], v[96:97], v[88:89]
	s_wait_loadcnt 0x2
	v_pk_mul_f32 v[100:101], v[152:153], v[136:137] op_sel:[1,1] op_sel_hi:[0,1]
	v_mov_b32_e32 v96, v139
	v_pk_fma_f32 v[92:93], v[148:149], v[132:133], v[92:93] neg_lo:[0,0,1] neg_hi:[0,0,1]
	v_pk_fma_f32 v[98:99], v[150:151], v[134:135], v[94:95] op_sel_hi:[1,0,1]
	v_mov_b32_e32 v93, v103
	v_pk_add_f32 v[88:89], v[88:89], v[90:91]
	v_pk_fma_f32 v[90:91], v[152:153], v[136:137], v[100:101] op_sel_hi:[1,0,1]
	v_pk_mul_f32 v[96:97], v[206:207], v[96:97] op_sel_hi:[1,0]
	v_pk_fma_f32 v[94:95], v[150:151], v[134:135], v[94:95] neg_lo:[0,0,1] neg_hi:[0,0,1]
	v_mov_b32_e32 v95, v99
	v_pk_add_f32 v[88:89], v[88:89], v[92:93]
	v_pk_fma_f32 v[98:99], v[152:153], v[136:137], v[100:101] neg_lo:[0,0,1] neg_hi:[0,0,1]
	v_mov_b32_e32 v99, v91
	v_pk_fma_f32 v[90:91], v[154:155], v[138:139], v[96:97] op_sel_hi:[1,0,1]
	s_wait_loadcnt 0x1
	v_pk_mul_f32 v[92:93], v[156:157], v[140:141] op_sel:[1,1] op_sel_hi:[0,1]
	v_pk_add_f32 v[88:89], v[88:89], v[94:95]
	v_mov_b32_e32 v90, v143
	v_pk_fma_f32 v[96:97], v[154:155], v[138:139], v[96:97] neg_lo:[0,0,1] neg_hi:[0,0,1]
	s_delay_alu instid0(VALU_DEP_4)
	v_pk_fma_f32 v[94:95], v[156:157], v[140:141], v[92:93] op_sel_hi:[1,0,1]
	v_mov_b32_e32 v97, v91
	v_pk_add_f32 v[88:89], v[88:89], v[98:99]
	v_pk_mul_f32 v[90:91], v[208:209], v[90:91] op_sel_hi:[1,0]
	v_pk_fma_f32 v[92:93], v[156:157], v[140:141], v[92:93] neg_lo:[0,0,1] neg_hi:[0,0,1]
	v_mov_b32_e32 v93, v95
	s_delay_alu instid0(VALU_DEP_4) | instskip(NEXT) | instid1(VALU_DEP_4)
	v_pk_add_f32 v[88:89], v[88:89], v[96:97]
	v_pk_fma_f32 v[94:95], v[158:159], v[142:143], v[90:91] op_sel_hi:[1,0,1]
	v_pk_fma_f32 v[90:91], v[158:159], v[142:143], v[90:91] neg_lo:[0,0,1] neg_hi:[0,0,1]
	s_delay_alu instid0(VALU_DEP_3) | instskip(NEXT) | instid1(VALU_DEP_3)
	v_pk_add_f32 v[88:89], v[88:89], v[92:93]
	v_mov_b32_e32 v91, v95
	s_delay_alu instid0(VALU_DEP_1) | instskip(SKIP_1) | instid1(VALU_DEP_1)
	v_pk_add_f32 v[88:89], v[88:89], v[90:91]
	s_wait_loadcnt 0x0
	v_pk_add_f32 v[88:89], v[200:201], v[88:89] neg_lo:[0,1] neg_hi:[0,1]
	scratch_store_b64 off, v[88:89], off offset:112
	s_wait_xcnt 0x0
	v_cmpx_lt_u32_e32 13, v0
	s_cbranch_execz .LBB106_245
; %bb.244:
	scratch_load_b64 v[88:89], off, off offset:104
	v_mov_b64_e32 v[90:91], 0
	scratch_store_b64 off, v[90:91], off offset:104
	s_wait_loadcnt 0x0
	ds_store_b64 v1, v[88:89]
.LBB106_245:
	s_wait_xcnt 0x0
	s_or_b32 exec_lo, exec_lo, s0
	s_wait_storecnt_dscnt 0x0
	s_barrier_signal -1
	s_barrier_wait -1
	s_clause 0xf
	scratch_load_b128 v[88:91], off, off offset:112
	scratch_load_b128 v[92:95], off, off offset:128
	scratch_load_b128 v[96:99], off, off offset:144
	scratch_load_b128 v[100:103], off, off offset:160
	scratch_load_b128 v[104:107], off, off offset:176
	scratch_load_b128 v[108:111], off, off offset:192
	scratch_load_b128 v[112:115], off, off offset:208
	scratch_load_b128 v[116:119], off, off offset:224
	scratch_load_b128 v[120:123], off, off offset:240
	scratch_load_b128 v[124:127], off, off offset:256
	scratch_load_b128 v[128:131], off, off offset:272
	scratch_load_b128 v[132:135], off, off offset:288
	scratch_load_b128 v[136:139], off, off offset:304
	scratch_load_b128 v[140:143], off, off offset:320
	scratch_load_b64 v[200:201], off, off offset:336
	scratch_load_b64 v[202:203], off, off offset:104
	v_mov_b32_e32 v7, 0
	ds_load_b128 v[144:147], v7 offset:624
	ds_load_b128 v[148:151], v7 offset:640
	;; [unrolled: 1-line block ×14, first 2 shown]
	ds_load_b64 v[204:205], v7 offset:688
	s_mov_b32 s0, exec_lo
	s_wait_dscnt 0xe
	v_dual_mov_b32 v206, v147 :: v_dual_mov_b32 v207, v146
	s_wait_dscnt 0xb
	v_dual_mov_b32 v208, v151 :: v_dual_mov_b32 v213, v158
	v_dual_mov_b32 v209, v150 :: v_dual_mov_b32 v210, v155
	;; [unrolled: 1-line block ×3, first 2 shown]
	s_wait_loadcnt_dscnt 0xf0a
	v_dual_mul_f32 v9, v160, v89 :: v_dual_mul_f32 v47, v161, v89
	v_dual_mul_f32 v49, v163, v91 :: v_dual_mul_f32 v11, v162, v91
	s_wait_loadcnt_dscnt 0xe09
	v_mul_f32_e32 v13, v164, v93
	s_wait_loadcnt_dscnt 0xc07
	v_dual_mul_f32 v59, v173, v101 :: v_dual_fma_f32 v47, v160, v88, -v47
	v_dual_fmac_f32 v9, v161, v88 :: v_dual_mul_f32 v61, v175, v103
	v_dual_mul_f32 v51, v165, v93 :: v_dual_mul_f32 v53, v167, v95
	v_dual_fmac_f32 v11, v163, v90 :: v_dual_fma_f32 v49, v162, v90, -v49
	s_delay_alu instid0(VALU_DEP_3) | instskip(SKIP_4) | instid1(VALU_DEP_3)
	v_dual_add_f32 v9, 0, v9 :: v_dual_add_f32 v47, 0, v47
	v_dual_mul_f32 v15, v166, v95 :: v_dual_mul_f32 v17, v168, v97
	s_wait_loadcnt_dscnt 0xb06
	v_dual_mul_f32 v63, v177, v105 :: v_dual_fma_f32 v51, v164, v92, -v51
	v_fmac_f32_e32 v13, v165, v92
	v_dual_add_f32 v9, v9, v11 :: v_dual_fmac_f32 v15, v167, v94
	v_add_f32_e32 v11, v47, v49
	v_dual_mul_f32 v55, v169, v97 :: v_dual_mul_f32 v57, v171, v99
	v_dual_mul_f32 v47, v179, v107 :: v_dual_fma_f32 v49, v166, v94, -v53
	s_delay_alu instid0(VALU_DEP_3) | instskip(SKIP_3) | instid1(VALU_DEP_3)
	v_dual_add_f32 v9, v9, v13 :: v_dual_add_f32 v11, v11, v51
	v_dual_mul_f32 v19, v170, v99 :: v_dual_mul_f32 v21, v172, v101
	s_wait_loadcnt_dscnt 0xa05
	v_dual_mul_f32 v13, v181, v109 :: v_dual_fma_f32 v51, v168, v96, -v55
	v_dual_fmac_f32 v17, v169, v96 :: v_dual_add_f32 v11, v11, v49
	s_delay_alu instid0(VALU_DEP_3) | instskip(SKIP_1) | instid1(VALU_DEP_2)
	v_dual_add_f32 v9, v9, v15 :: v_dual_fmac_f32 v19, v171, v98
	v_dual_mul_f32 v15, v183, v111 :: v_dual_fma_f32 v49, v170, v98, -v57
	v_dual_add_f32 v11, v11, v51 :: v_dual_add_f32 v9, v9, v17
	v_dual_mul_f32 v23, v174, v103 :: v_dual_mul_f32 v25, v176, v105
	s_wait_loadcnt_dscnt 0x904
	v_dual_mul_f32 v17, v185, v113 :: v_dual_fma_f32 v51, v172, v100, -v59
	s_delay_alu instid0(VALU_DEP_3) | instskip(NEXT) | instid1(VALU_DEP_3)
	v_dual_fmac_f32 v21, v173, v100 :: v_dual_add_f32 v11, v11, v49
	v_dual_add_f32 v9, v9, v19 :: v_dual_fmac_f32 v23, v175, v102
	v_dual_mul_f32 v19, v187, v115 :: v_dual_fma_f32 v49, v174, v102, -v61
	s_delay_alu instid0(VALU_DEP_2) | instskip(SKIP_3) | instid1(VALU_DEP_3)
	v_dual_add_f32 v11, v11, v51 :: v_dual_add_f32 v9, v9, v21
	v_dual_mul_f32 v27, v178, v107 :: v_dual_mul_f32 v29, v180, v109
	s_wait_loadcnt_dscnt 0x803
	v_dual_mul_f32 v21, v189, v117 :: v_dual_fma_f32 v51, v176, v104, -v63
	v_dual_fmac_f32 v25, v177, v104 :: v_dual_add_f32 v11, v11, v49
	s_delay_alu instid0(VALU_DEP_3) | instskip(SKIP_1) | instid1(VALU_DEP_2)
	v_dual_add_f32 v9, v9, v23 :: v_dual_fmac_f32 v27, v179, v106
	v_dual_mul_f32 v23, v191, v119 :: v_dual_fma_f32 v47, v178, v106, -v47
	v_dual_add_f32 v11, v11, v51 :: v_dual_add_f32 v9, v9, v25
	v_dual_mul_f32 v31, v182, v111 :: v_dual_mul_f32 v33, v184, v113
	s_wait_loadcnt_dscnt 0x702
	v_dual_mul_f32 v25, v193, v121 :: v_dual_fma_f32 v13, v180, v108, -v13
	s_delay_alu instid0(VALU_DEP_3) | instskip(NEXT) | instid1(VALU_DEP_3)
	v_dual_fmac_f32 v29, v181, v108 :: v_dual_add_f32 v11, v11, v47
	v_dual_add_f32 v9, v9, v27 :: v_dual_fmac_f32 v31, v183, v110
	v_dual_mul_f32 v27, v195, v123 :: v_dual_fma_f32 v15, v182, v110, -v15
	s_delay_alu instid0(VALU_DEP_3) | instskip(NEXT) | instid1(VALU_DEP_3)
	v_dual_add_f32 v11, v11, v13 :: v_dual_fmac_f32 v33, v185, v112
	v_dual_add_f32 v9, v9, v29 :: v_dual_fma_f32 v17, v184, v112, -v17
	v_dual_mul_f32 v35, v186, v115 :: v_dual_mul_f32 v37, v188, v117
	s_wait_loadcnt_dscnt 0x601
	s_delay_alu instid0(VALU_DEP_3) | instskip(NEXT) | instid1(VALU_DEP_2)
	v_dual_mul_f32 v13, v197, v125 :: v_dual_add_f32 v11, v11, v15
	v_dual_add_f32 v9, v9, v31 :: v_dual_fmac_f32 v35, v187, v114
	v_dual_mul_f32 v15, v199, v127 :: v_dual_fma_f32 v19, v186, v114, -v19
	s_delay_alu instid0(VALU_DEP_3) | instskip(NEXT) | instid1(VALU_DEP_3)
	v_dual_add_f32 v11, v11, v17 :: v_dual_fmac_f32 v37, v189, v116
	v_dual_add_f32 v9, v9, v33 :: v_dual_fma_f32 v21, v188, v116, -v21
	v_dual_mul_f32 v39, v190, v119 :: v_dual_mul_f32 v41, v192, v121
	s_wait_loadcnt 0x5
	s_delay_alu instid0(VALU_DEP_3) | instskip(NEXT) | instid1(VALU_DEP_3)
	v_dual_mul_f32 v17, v145, v129 :: v_dual_add_f32 v11, v11, v19
	v_dual_add_f32 v9, v9, v35 :: v_dual_mov_b32 v88, v131
	s_delay_alu instid0(VALU_DEP_3) | instskip(NEXT) | instid1(VALU_DEP_3)
	v_fmac_f32_e32 v39, v191, v118
	v_dual_fma_f32 v19, v190, v118, -v23 :: v_dual_add_f32 v11, v11, v21
	s_delay_alu instid0(VALU_DEP_3) | instskip(SKIP_1) | instid1(VALU_DEP_3)
	v_dual_add_f32 v9, v9, v37 :: v_dual_mul_f32 v43, v194, v123
	v_dual_mul_f32 v45, v196, v125 :: v_dual_fmac_f32 v41, v193, v120
	v_dual_add_f32 v11, v11, v19 :: v_dual_fma_f32 v21, v192, v120, -v25
	s_wait_loadcnt 0x4
	s_delay_alu instid0(VALU_DEP_3) | instskip(SKIP_3) | instid1(VALU_DEP_4)
	v_dual_add_f32 v9, v9, v39 :: v_dual_mov_b32 v92, v135
	v_fma_f32 v19, v194, v122, -v27
	v_fmac_f32_e32 v43, v195, v122
	v_dual_add_f32 v11, v11, v21 :: v_dual_fmac_f32 v45, v197, v124
	v_dual_add_f32 v9, v9, v41 :: v_dual_mul_f32 v215, v198, v127
	v_mul_f32_e32 v217, v144, v129
	s_delay_alu instid0(VALU_DEP_3) | instskip(NEXT) | instid1(VALU_DEP_3)
	v_dual_fma_f32 v13, v196, v124, -v13 :: v_dual_add_f32 v11, v11, v19
	v_dual_fma_f32 v214, v198, v126, -v15 :: v_dual_add_f32 v9, v9, v43
	s_delay_alu instid0(VALU_DEP_4) | instskip(SKIP_1) | instid1(VALU_DEP_4)
	v_fmac_f32_e32 v215, v199, v126
	v_pk_mul_f32 v[88:89], v[206:207], v[88:89] op_sel_hi:[1,0]
	v_dual_add_f32 v96, v11, v13 :: v_dual_fmac_f32 v217, v145, v128
	s_delay_alu instid0(VALU_DEP_4)
	v_add_f32_e32 v97, v9, v45
	v_pk_mul_f32 v[90:91], v[148:149], v[132:133] op_sel:[1,1] op_sel_hi:[0,1]
	s_wait_loadcnt 0x3
	v_dual_mov_b32 v98, v139 :: v_dual_fma_f32 v216, v144, v128, -v17
	v_pk_fma_f32 v[100:101], v[146:147], v[130:131], v[88:89] op_sel_hi:[1,0,1]
	v_pk_add_f32 v[96:97], v[96:97], v[214:215]
	v_pk_fma_f32 v[88:89], v[146:147], v[130:131], v[88:89] neg_lo:[0,0,1] neg_hi:[0,0,1]
	v_pk_fma_f32 v[102:103], v[148:149], v[132:133], v[90:91] op_sel_hi:[1,0,1]
	v_pk_mul_f32 v[92:93], v[208:209], v[92:93] op_sel_hi:[1,0]
	v_mov_b32_e32 v89, v101
	v_pk_add_f32 v[96:97], v[96:97], v[216:217]
	v_pk_fma_f32 v[90:91], v[148:149], v[132:133], v[90:91] neg_lo:[0,0,1] neg_hi:[0,0,1]
	v_pk_mul_f32 v[94:95], v[152:153], v[136:137] op_sel:[1,1] op_sel_hi:[0,1]
	v_mov_b32_e32 v91, v103
	v_pk_fma_f32 v[102:103], v[150:151], v[134:135], v[92:93] op_sel_hi:[1,0,1]
	v_pk_add_f32 v[88:89], v[96:97], v[88:89]
	v_pk_fma_f32 v[92:93], v[150:151], v[134:135], v[92:93] neg_lo:[0,0,1] neg_hi:[0,0,1]
	v_pk_fma_f32 v[96:97], v[152:153], v[136:137], v[94:95] op_sel_hi:[1,0,1]
	v_pk_mul_f32 v[98:99], v[210:211], v[98:99] op_sel_hi:[1,0]
	v_mov_b32_e32 v93, v103
	v_pk_add_f32 v[88:89], v[88:89], v[90:91]
	v_pk_fma_f32 v[94:95], v[152:153], v[136:137], v[94:95] neg_lo:[0,0,1] neg_hi:[0,0,1]
	s_wait_loadcnt 0x2
	v_pk_mul_f32 v[100:101], v[156:157], v[140:141] op_sel:[1,1] op_sel_hi:[0,1]
	v_dual_mov_b32 v90, v143 :: v_dual_mov_b32 v95, v97
	v_pk_fma_f32 v[96:97], v[154:155], v[138:139], v[98:99] op_sel_hi:[1,0,1]
	v_pk_add_f32 v[88:89], v[88:89], v[92:93]
	v_pk_fma_f32 v[98:99], v[154:155], v[138:139], v[98:99] neg_lo:[0,0,1] neg_hi:[0,0,1]
	v_pk_fma_f32 v[92:93], v[156:157], v[140:141], v[100:101] op_sel_hi:[1,0,1]
	v_pk_mul_f32 v[90:91], v[212:213], v[90:91] op_sel_hi:[1,0]
	v_mov_b32_e32 v99, v97
	v_pk_add_f32 v[88:89], v[88:89], v[94:95]
	v_pk_fma_f32 v[94:95], v[156:157], v[140:141], v[100:101] neg_lo:[0,0,1] neg_hi:[0,0,1]
	v_mov_b32_e32 v95, v93
	v_pk_fma_f32 v[92:93], v[158:159], v[142:143], v[90:91] op_sel_hi:[1,0,1]
	s_wait_loadcnt_dscnt 0x100
	v_pk_mul_f32 v[96:97], v[204:205], v[200:201] op_sel:[1,1] op_sel_hi:[0,1]
	v_pk_add_f32 v[88:89], v[88:89], v[98:99]
	v_pk_fma_f32 v[90:91], v[158:159], v[142:143], v[90:91] neg_lo:[0,0,1] neg_hi:[0,0,1]
	v_mov_b32_e32 v91, v93
	s_delay_alu instid0(VALU_DEP_4) | instskip(NEXT) | instid1(VALU_DEP_4)
	v_pk_fma_f32 v[92:93], v[204:205], v[200:201], v[96:97] op_sel_hi:[1,0,1]
	v_pk_add_f32 v[88:89], v[88:89], v[94:95]
	v_pk_fma_f32 v[94:95], v[204:205], v[200:201], v[96:97] neg_lo:[0,0,1] neg_hi:[0,0,1]
	s_delay_alu instid0(VALU_DEP_3) | instskip(NEXT) | instid1(VALU_DEP_3)
	v_mov_b32_e32 v95, v93
	v_pk_add_f32 v[88:89], v[88:89], v[90:91]
	s_delay_alu instid0(VALU_DEP_1) | instskip(SKIP_1) | instid1(VALU_DEP_1)
	v_pk_add_f32 v[88:89], v[88:89], v[94:95]
	s_wait_loadcnt 0x0
	v_pk_add_f32 v[88:89], v[202:203], v[88:89] neg_lo:[0,1] neg_hi:[0,1]
	scratch_store_b64 off, v[88:89], off offset:104
	s_wait_xcnt 0x0
	v_cmpx_lt_u32_e32 12, v0
	s_cbranch_execz .LBB106_247
; %bb.246:
	scratch_load_b64 v[88:89], off, off offset:96
	v_mov_b64_e32 v[90:91], 0
	scratch_store_b64 off, v[90:91], off offset:96
	s_wait_loadcnt 0x0
	ds_store_b64 v1, v[88:89]
.LBB106_247:
	s_wait_xcnt 0x0
	s_or_b32 exec_lo, exec_lo, s0
	s_wait_storecnt_dscnt 0x0
	s_barrier_signal -1
	s_barrier_wait -1
	s_clause 0xf
	scratch_load_b128 v[88:91], off, off offset:104
	scratch_load_b128 v[92:95], off, off offset:120
	;; [unrolled: 1-line block ×15, first 2 shown]
	scratch_load_b64 v[208:209], off, off offset:96
	ds_load_2addr_b64 v[148:151], v7 offset0:79 offset1:80
	ds_load_2addr_b64 v[152:155], v7 offset0:81 offset1:82
	;; [unrolled: 1-line block ×15, first 2 shown]
	s_mov_b32 s0, exec_lo
	s_wait_dscnt 0xe
	v_dual_mov_b32 v210, v151 :: v_dual_mov_b32 v211, v150
	s_wait_dscnt 0xd
	v_dual_mov_b32 v212, v155 :: v_dual_mov_b32 v213, v154
	s_wait_dscnt 0xc
	v_dual_mov_b32 v214, v159 :: v_dual_mov_b32 v215, v158
	s_wait_dscnt 0xb
	v_dual_mov_b32 v216, v163 :: v_dual_mov_b32 v217, v162
	s_wait_loadcnt_dscnt 0xf0a
	v_dual_mul_f32 v7, v164, v89 :: v_dual_mul_f32 v9, v166, v91
	v_dual_mul_f32 v47, v165, v89 :: v_dual_mul_f32 v49, v167, v91
	s_wait_loadcnt_dscnt 0xe09
	v_dual_mul_f32 v11, v168, v93 :: v_dual_mul_f32 v13, v170, v95
	s_delay_alu instid0(VALU_DEP_3) | instskip(SKIP_3) | instid1(VALU_DEP_3)
	v_dual_fmac_f32 v7, v165, v88 :: v_dual_fmac_f32 v9, v167, v90
	s_wait_loadcnt_dscnt 0xc06
	v_dual_fma_f32 v47, v164, v88, -v47 :: v_dual_mul_f32 v59, v181, v101
	v_dual_mul_f32 v51, v169, v93 :: v_dual_mul_f32 v53, v171, v95
	v_dual_fma_f32 v49, v166, v90, -v49 :: v_dual_add_f32 v7, 0, v7
	s_delay_alu instid0(VALU_DEP_3) | instskip(SKIP_1) | instid1(VALU_DEP_4)
	v_dual_add_f32 v47, 0, v47 :: v_dual_fmac_f32 v11, v169, v92
	v_dual_mul_f32 v15, v176, v97 :: v_dual_mul_f32 v17, v178, v99
	v_dual_mul_f32 v61, v183, v103 :: v_dual_fma_f32 v51, v168, v92, -v51
	s_delay_alu instid0(VALU_DEP_4) | instskip(NEXT) | instid1(VALU_DEP_3)
	v_add_f32_e32 v7, v7, v9
	v_dual_add_f32 v9, v47, v49 :: v_dual_fmac_f32 v15, v177, v96
	v_dual_mul_f32 v55, v177, v97 :: v_dual_mul_f32 v57, v179, v99
	s_wait_loadcnt_dscnt 0xb05
	v_dual_mul_f32 v47, v185, v105 :: v_dual_fmac_f32 v13, v171, v94
	v_dual_fma_f32 v49, v170, v94, -v53 :: v_dual_add_f32 v7, v7, v11
	s_delay_alu instid0(VALU_DEP_3) | instskip(SKIP_1) | instid1(VALU_DEP_3)
	v_dual_add_f32 v9, v9, v51 :: v_dual_fma_f32 v51, v176, v96, -v55
	v_dual_mul_f32 v19, v180, v101 :: v_dual_mul_f32 v21, v182, v103
	v_add_f32_e32 v7, v7, v13
	s_delay_alu instid0(VALU_DEP_3) | instskip(SKIP_2) | instid1(VALU_DEP_3)
	v_dual_mul_f32 v11, v187, v107 :: v_dual_add_f32 v9, v9, v49
	s_wait_loadcnt_dscnt 0xa04
	v_dual_mul_f32 v13, v189, v109 :: v_dual_fmac_f32 v17, v179, v98
	v_dual_fma_f32 v49, v178, v98, -v57 :: v_dual_add_f32 v7, v7, v15
	s_delay_alu instid0(VALU_DEP_3) | instskip(SKIP_1) | instid1(VALU_DEP_3)
	v_dual_add_f32 v9, v9, v51 :: v_dual_fma_f32 v51, v180, v100, -v59
	v_dual_mul_f32 v15, v191, v111 :: v_dual_fmac_f32 v19, v181, v100
	v_add_f32_e32 v7, v7, v17
	s_delay_alu instid0(VALU_DEP_3)
	v_dual_add_f32 v9, v9, v49 :: v_dual_fmac_f32 v21, v183, v102
	v_dual_mul_f32 v23, v184, v105 :: v_dual_mul_f32 v25, v186, v107
	s_wait_loadcnt_dscnt 0x903
	v_dual_fma_f32 v49, v182, v102, -v61 :: v_dual_mul_f32 v17, v193, v113
	v_add_f32_e32 v7, v7, v19
	v_dual_add_f32 v9, v9, v51 :: v_dual_fma_f32 v47, v184, v104, -v47
	v_dual_mul_f32 v19, v195, v115 :: v_dual_fmac_f32 v23, v185, v104
	s_delay_alu instid0(VALU_DEP_3) | instskip(NEXT) | instid1(VALU_DEP_3)
	v_dual_add_f32 v7, v7, v21 :: v_dual_fma_f32 v11, v186, v106, -v11
	v_dual_add_f32 v9, v9, v49 :: v_dual_fmac_f32 v25, v187, v106
	v_dual_mul_f32 v27, v188, v109 :: v_dual_mul_f32 v29, v190, v111
	s_wait_loadcnt_dscnt 0x802
	s_delay_alu instid0(VALU_DEP_3) | instskip(NEXT) | instid1(VALU_DEP_3)
	v_dual_mul_f32 v21, v197, v117 :: v_dual_add_f32 v7, v7, v23
	v_dual_add_f32 v9, v9, v47 :: v_dual_fma_f32 v13, v188, v108, -v13
	s_delay_alu instid0(VALU_DEP_3) | instskip(NEXT) | instid1(VALU_DEP_2)
	v_dual_mul_f32 v23, v199, v119 :: v_dual_fmac_f32 v27, v189, v108
	v_dual_add_f32 v7, v7, v25 :: v_dual_add_f32 v9, v9, v11
	v_dual_mul_f32 v31, v192, v113 :: v_dual_mul_f32 v33, v194, v115
	s_wait_loadcnt_dscnt 0x701
	v_dual_mul_f32 v11, v201, v121 :: v_dual_fmac_f32 v29, v191, v110
	s_delay_alu instid0(VALU_DEP_3) | instskip(SKIP_2) | instid1(VALU_DEP_2)
	v_dual_fma_f32 v15, v190, v110, -v15 :: v_dual_add_f32 v7, v7, v27
	v_dual_add_f32 v9, v9, v13 :: v_dual_mul_f32 v13, v203, v123
	v_dual_fmac_f32 v31, v193, v112 :: v_dual_fma_f32 v17, v192, v112, -v17
	v_dual_add_f32 v7, v7, v29 :: v_dual_add_f32 v9, v9, v15
	v_dual_mul_f32 v35, v196, v117 :: v_dual_mul_f32 v37, v198, v119
	s_wait_loadcnt_dscnt 0x600
	v_dual_mul_f32 v15, v205, v125 :: v_dual_fmac_f32 v33, v195, v114
	s_delay_alu instid0(VALU_DEP_3) | instskip(SKIP_2) | instid1(VALU_DEP_2)
	v_dual_fma_f32 v19, v194, v114, -v19 :: v_dual_add_f32 v7, v7, v31
	v_dual_add_f32 v9, v9, v17 :: v_dual_mul_f32 v17, v207, v127
	v_dual_fmac_f32 v35, v197, v116 :: v_dual_fma_f32 v21, v196, v116, -v21
	v_dual_add_f32 v7, v7, v33 :: v_dual_add_f32 v9, v9, v19
	v_dual_mul_f32 v39, v200, v121 :: v_dual_mul_f32 v41, v202, v123
	s_wait_loadcnt 0x5
	v_dual_mul_f32 v19, v173, v129 :: v_dual_fmac_f32 v37, v199, v118
	s_delay_alu instid0(VALU_DEP_3) | instskip(SKIP_2) | instid1(VALU_DEP_3)
	v_dual_fma_f32 v23, v198, v118, -v23 :: v_dual_add_f32 v7, v7, v35
	v_dual_add_f32 v9, v9, v21 :: v_dual_mul_f32 v21, v175, v131
	v_fmac_f32_e32 v39, v201, v120
	v_dual_fma_f32 v11, v200, v120, -v11 :: v_dual_add_f32 v7, v7, v37
	s_delay_alu instid0(VALU_DEP_3) | instskip(SKIP_1) | instid1(VALU_DEP_3)
	v_dual_add_f32 v9, v9, v23 :: v_dual_mul_f32 v43, v204, v125
	v_dual_mul_f32 v45, v206, v127 :: v_dual_fmac_f32 v41, v203, v122
	v_dual_fma_f32 v13, v202, v122, -v13 :: v_dual_add_f32 v7, v7, v39
	s_wait_loadcnt 0x4
	s_delay_alu instid0(VALU_DEP_3) | instskip(SKIP_1) | instid1(VALU_DEP_3)
	v_dual_add_f32 v9, v9, v11 :: v_dual_mov_b32 v90, v135
	v_fmac_f32_e32 v43, v205, v124
	v_dual_fma_f32 v11, v204, v124, -v15 :: v_dual_add_f32 v7, v7, v41
	s_delay_alu instid0(VALU_DEP_3) | instskip(SKIP_1) | instid1(VALU_DEP_3)
	v_dual_add_f32 v9, v9, v13 :: v_dual_fmac_f32 v45, v207, v126
	v_dual_mul_f32 v219, v172, v129 :: v_dual_mul_f32 v221, v174, v131
	v_dual_fma_f32 v13, v206, v126, -v17 :: v_dual_add_f32 v7, v7, v43
	s_wait_loadcnt 0x3
	s_delay_alu instid0(VALU_DEP_3) | instskip(SKIP_1) | instid1(VALU_DEP_3)
	v_dual_add_f32 v9, v9, v11 :: v_dual_mov_b32 v94, v139
	v_pk_mul_f32 v[88:89], v[148:149], v[132:133] op_sel:[1,1] op_sel_hi:[0,1]
	v_dual_fmac_f32 v219, v173, v128 :: v_dual_add_f32 v97, v7, v45
	s_delay_alu instid0(VALU_DEP_3) | instskip(SKIP_1) | instid1(VALU_DEP_4)
	v_dual_fma_f32 v218, v172, v128, -v19 :: v_dual_add_f32 v96, v9, v13
	v_fmac_f32_e32 v221, v175, v130
	v_pk_fma_f32 v[98:99], v[148:149], v[132:133], v[88:89] op_sel_hi:[1,0,1]
	v_fma_f32 v220, v174, v130, -v21
	v_pk_mul_f32 v[90:91], v[210:211], v[90:91] op_sel_hi:[1,0]
	v_pk_add_f32 v[96:97], v[96:97], v[218:219]
	v_pk_fma_f32 v[88:89], v[148:149], v[132:133], v[88:89] neg_lo:[0,0,1] neg_hi:[0,0,1]
	v_pk_mul_f32 v[92:93], v[152:153], v[136:137] op_sel:[1,1] op_sel_hi:[0,1]
	v_mov_b32_e32 v89, v99
	v_pk_fma_f32 v[98:99], v[150:151], v[134:135], v[90:91] op_sel_hi:[1,0,1]
	v_pk_add_f32 v[96:97], v[96:97], v[220:221]
	v_pk_fma_f32 v[90:91], v[150:151], v[134:135], v[90:91] neg_lo:[0,0,1] neg_hi:[0,0,1]
	v_pk_fma_f32 v[102:103], v[152:153], v[136:137], v[92:93] op_sel_hi:[1,0,1]
	v_pk_mul_f32 v[94:95], v[212:213], v[94:95] op_sel_hi:[1,0]
	v_mov_b32_e32 v91, v99
	v_pk_add_f32 v[88:89], v[96:97], v[88:89]
	s_wait_loadcnt 0x2
	v_pk_mul_f32 v[100:101], v[156:157], v[140:141] op_sel:[1,1] op_sel_hi:[0,1]
	v_mov_b32_e32 v96, v143
	v_pk_fma_f32 v[92:93], v[152:153], v[136:137], v[92:93] neg_lo:[0,0,1] neg_hi:[0,0,1]
	v_pk_fma_f32 v[98:99], v[154:155], v[138:139], v[94:95] op_sel_hi:[1,0,1]
	v_mov_b32_e32 v93, v103
	v_pk_add_f32 v[88:89], v[88:89], v[90:91]
	v_pk_fma_f32 v[90:91], v[156:157], v[140:141], v[100:101] op_sel_hi:[1,0,1]
	v_pk_mul_f32 v[96:97], v[214:215], v[96:97] op_sel_hi:[1,0]
	v_pk_fma_f32 v[94:95], v[154:155], v[138:139], v[94:95] neg_lo:[0,0,1] neg_hi:[0,0,1]
	v_mov_b32_e32 v95, v99
	v_pk_add_f32 v[88:89], v[88:89], v[92:93]
	v_pk_fma_f32 v[98:99], v[156:157], v[140:141], v[100:101] neg_lo:[0,0,1] neg_hi:[0,0,1]
	v_mov_b32_e32 v99, v91
	v_pk_fma_f32 v[90:91], v[158:159], v[142:143], v[96:97] op_sel_hi:[1,0,1]
	s_wait_loadcnt 0x1
	v_pk_mul_f32 v[92:93], v[160:161], v[144:145] op_sel:[1,1] op_sel_hi:[0,1]
	v_pk_add_f32 v[88:89], v[88:89], v[94:95]
	v_mov_b32_e32 v90, v147
	v_pk_fma_f32 v[96:97], v[158:159], v[142:143], v[96:97] neg_lo:[0,0,1] neg_hi:[0,0,1]
	s_delay_alu instid0(VALU_DEP_4)
	v_pk_fma_f32 v[94:95], v[160:161], v[144:145], v[92:93] op_sel_hi:[1,0,1]
	v_mov_b32_e32 v97, v91
	v_pk_add_f32 v[88:89], v[88:89], v[98:99]
	v_pk_mul_f32 v[90:91], v[216:217], v[90:91] op_sel_hi:[1,0]
	v_pk_fma_f32 v[92:93], v[160:161], v[144:145], v[92:93] neg_lo:[0,0,1] neg_hi:[0,0,1]
	v_mov_b32_e32 v93, v95
	s_delay_alu instid0(VALU_DEP_4) | instskip(NEXT) | instid1(VALU_DEP_4)
	v_pk_add_f32 v[88:89], v[88:89], v[96:97]
	v_pk_fma_f32 v[94:95], v[162:163], v[146:147], v[90:91] op_sel_hi:[1,0,1]
	v_pk_fma_f32 v[90:91], v[162:163], v[146:147], v[90:91] neg_lo:[0,0,1] neg_hi:[0,0,1]
	s_delay_alu instid0(VALU_DEP_3) | instskip(NEXT) | instid1(VALU_DEP_3)
	v_pk_add_f32 v[88:89], v[88:89], v[92:93]
	v_mov_b32_e32 v91, v95
	s_delay_alu instid0(VALU_DEP_1) | instskip(SKIP_1) | instid1(VALU_DEP_1)
	v_pk_add_f32 v[88:89], v[88:89], v[90:91]
	s_wait_loadcnt 0x0
	v_pk_add_f32 v[88:89], v[208:209], v[88:89] neg_lo:[0,1] neg_hi:[0,1]
	scratch_store_b64 off, v[88:89], off offset:96
	s_wait_xcnt 0x0
	v_cmpx_lt_u32_e32 11, v0
	s_cbranch_execz .LBB106_249
; %bb.248:
	scratch_load_b64 v[88:89], off, off offset:88
	v_mov_b64_e32 v[90:91], 0
	scratch_store_b64 off, v[90:91], off offset:88
	s_wait_loadcnt 0x0
	ds_store_b64 v1, v[88:89]
.LBB106_249:
	s_wait_xcnt 0x0
	s_or_b32 exec_lo, exec_lo, s0
	s_wait_storecnt_dscnt 0x0
	s_barrier_signal -1
	s_barrier_wait -1
	s_clause 0x10
	scratch_load_b128 v[88:91], off, off offset:96
	scratch_load_b128 v[92:95], off, off offset:112
	;; [unrolled: 1-line block ×15, first 2 shown]
	scratch_load_b64 v[208:209], off, off offset:336
	scratch_load_b64 v[210:211], off, off offset:88
	v_mov_b32_e32 v7, 0
	ds_load_b128 v[148:151], v7 offset:624
	ds_load_b128 v[152:155], v7 offset:640
	;; [unrolled: 1-line block ×15, first 2 shown]
	ds_load_b64 v[212:213], v7 offset:688
	s_mov_b32 s0, exec_lo
	s_wait_dscnt 0xf
	v_dual_mov_b32 v214, v151 :: v_dual_mov_b32 v215, v150
	s_wait_dscnt 0xc
	v_dual_mov_b32 v216, v155 :: v_dual_mov_b32 v221, v162
	v_dual_mov_b32 v217, v154 :: v_dual_mov_b32 v218, v159
	;; [unrolled: 1-line block ×3, first 2 shown]
	s_wait_loadcnt_dscnt 0x100b
	v_dual_mul_f32 v9, v164, v89 :: v_dual_mul_f32 v51, v165, v89
	v_dual_mul_f32 v53, v167, v91 :: v_dual_mul_f32 v11, v166, v91
	s_wait_loadcnt_dscnt 0xf09
	v_mul_f32_e32 v13, v172, v93
	s_wait_loadcnt_dscnt 0xd07
	v_dual_mul_f32 v63, v181, v101 :: v_dual_fma_f32 v51, v164, v88, -v51
	v_dual_fmac_f32 v9, v165, v88 :: v_dual_mul_f32 v65, v183, v103
	v_dual_mul_f32 v55, v173, v93 :: v_dual_mul_f32 v57, v175, v95
	v_dual_fmac_f32 v11, v167, v90 :: v_dual_fma_f32 v53, v166, v90, -v53
	s_delay_alu instid0(VALU_DEP_3) | instskip(SKIP_4) | instid1(VALU_DEP_3)
	v_dual_add_f32 v9, 0, v9 :: v_dual_add_f32 v51, 0, v51
	v_dual_mul_f32 v15, v174, v95 :: v_dual_mul_f32 v17, v176, v97
	s_wait_loadcnt_dscnt 0xc06
	v_dual_mul_f32 v67, v185, v105 :: v_dual_fma_f32 v55, v172, v92, -v55
	v_fmac_f32_e32 v13, v173, v92
	v_dual_add_f32 v9, v9, v11 :: v_dual_fmac_f32 v15, v175, v94
	v_add_f32_e32 v11, v51, v53
	v_dual_mul_f32 v59, v177, v97 :: v_dual_mul_f32 v61, v179, v99
	v_dual_mul_f32 v51, v187, v107 :: v_dual_fma_f32 v53, v174, v94, -v57
	s_delay_alu instid0(VALU_DEP_3) | instskip(SKIP_3) | instid1(VALU_DEP_3)
	v_dual_add_f32 v9, v9, v13 :: v_dual_add_f32 v11, v11, v55
	v_dual_mul_f32 v19, v178, v99 :: v_dual_mul_f32 v21, v180, v101
	s_wait_loadcnt_dscnt 0xb05
	v_dual_mul_f32 v13, v189, v109 :: v_dual_fma_f32 v55, v176, v96, -v59
	v_dual_fmac_f32 v17, v177, v96 :: v_dual_add_f32 v11, v11, v53
	s_delay_alu instid0(VALU_DEP_3) | instskip(SKIP_1) | instid1(VALU_DEP_2)
	v_dual_add_f32 v9, v9, v15 :: v_dual_fmac_f32 v19, v179, v98
	v_dual_mul_f32 v15, v191, v111 :: v_dual_fma_f32 v53, v178, v98, -v61
	v_dual_add_f32 v11, v11, v55 :: v_dual_add_f32 v9, v9, v17
	v_dual_mul_f32 v23, v182, v103 :: v_dual_mul_f32 v25, v184, v105
	s_wait_loadcnt_dscnt 0xa04
	v_dual_mul_f32 v17, v193, v113 :: v_dual_fma_f32 v55, v180, v100, -v63
	s_delay_alu instid0(VALU_DEP_3) | instskip(NEXT) | instid1(VALU_DEP_3)
	v_dual_fmac_f32 v21, v181, v100 :: v_dual_add_f32 v11, v11, v53
	v_dual_add_f32 v9, v9, v19 :: v_dual_fmac_f32 v23, v183, v102
	v_dual_mul_f32 v19, v195, v115 :: v_dual_fma_f32 v53, v182, v102, -v65
	s_delay_alu instid0(VALU_DEP_2) | instskip(SKIP_3) | instid1(VALU_DEP_3)
	v_dual_add_f32 v11, v11, v55 :: v_dual_add_f32 v9, v9, v21
	v_dual_mul_f32 v27, v186, v107 :: v_dual_mul_f32 v29, v188, v109
	s_wait_loadcnt_dscnt 0x903
	v_dual_mul_f32 v21, v197, v117 :: v_dual_fma_f32 v55, v184, v104, -v67
	v_dual_fmac_f32 v25, v185, v104 :: v_dual_add_f32 v11, v11, v53
	s_delay_alu instid0(VALU_DEP_3) | instskip(SKIP_1) | instid1(VALU_DEP_2)
	v_dual_add_f32 v9, v9, v23 :: v_dual_fmac_f32 v27, v187, v106
	v_dual_mul_f32 v23, v199, v119 :: v_dual_fma_f32 v51, v186, v106, -v51
	v_dual_add_f32 v11, v11, v55 :: v_dual_add_f32 v9, v9, v25
	v_dual_mul_f32 v31, v190, v111 :: v_dual_mul_f32 v33, v192, v113
	s_wait_loadcnt_dscnt 0x802
	v_dual_mul_f32 v25, v201, v121 :: v_dual_fma_f32 v13, v188, v108, -v13
	s_delay_alu instid0(VALU_DEP_3) | instskip(NEXT) | instid1(VALU_DEP_3)
	v_dual_fmac_f32 v29, v189, v108 :: v_dual_add_f32 v11, v11, v51
	v_dual_add_f32 v9, v9, v27 :: v_dual_fmac_f32 v31, v191, v110
	v_dual_mul_f32 v27, v203, v123 :: v_dual_fma_f32 v15, v190, v110, -v15
	s_delay_alu instid0(VALU_DEP_3) | instskip(NEXT) | instid1(VALU_DEP_3)
	v_dual_add_f32 v11, v11, v13 :: v_dual_fmac_f32 v33, v193, v112
	v_dual_add_f32 v9, v9, v29 :: v_dual_fma_f32 v17, v192, v112, -v17
	v_dual_mul_f32 v35, v194, v115 :: v_dual_mul_f32 v37, v196, v117
	s_wait_loadcnt_dscnt 0x701
	s_delay_alu instid0(VALU_DEP_3) | instskip(NEXT) | instid1(VALU_DEP_2)
	v_dual_mul_f32 v13, v205, v125 :: v_dual_add_f32 v11, v11, v15
	v_dual_add_f32 v9, v9, v31 :: v_dual_fmac_f32 v35, v195, v114
	v_dual_mul_f32 v15, v207, v127 :: v_dual_fma_f32 v19, v194, v114, -v19
	s_delay_alu instid0(VALU_DEP_3) | instskip(NEXT) | instid1(VALU_DEP_3)
	v_dual_add_f32 v11, v11, v17 :: v_dual_fmac_f32 v37, v197, v116
	v_dual_add_f32 v9, v9, v33 :: v_dual_fma_f32 v21, v196, v116, -v21
	v_dual_mul_f32 v39, v198, v119 :: v_dual_mul_f32 v41, v200, v121
	s_wait_loadcnt 0x6
	s_delay_alu instid0(VALU_DEP_3) | instskip(NEXT) | instid1(VALU_DEP_2)
	v_dual_mul_f32 v17, v169, v129 :: v_dual_add_f32 v11, v11, v19
	v_dual_add_f32 v9, v9, v35 :: v_dual_fmac_f32 v39, v199, v118
	v_dual_mul_f32 v19, v171, v131 :: v_dual_fma_f32 v23, v198, v118, -v23
	s_delay_alu instid0(VALU_DEP_3) | instskip(NEXT) | instid1(VALU_DEP_3)
	v_dual_add_f32 v11, v11, v21 :: v_dual_fmac_f32 v41, v201, v120
	v_dual_add_f32 v9, v9, v37 :: v_dual_fma_f32 v25, v200, v120, -v25
	v_dual_mul_f32 v43, v202, v123 :: v_dual_mul_f32 v45, v204, v125
	s_wait_loadcnt 0x5
	s_delay_alu instid0(VALU_DEP_3) | instskip(NEXT) | instid1(VALU_DEP_3)
	v_dual_mul_f32 v21, v149, v133 :: v_dual_add_f32 v11, v11, v23
	v_dual_add_f32 v9, v9, v39 :: v_dual_mov_b32 v88, v135
	s_delay_alu instid0(VALU_DEP_3) | instskip(NEXT) | instid1(VALU_DEP_3)
	v_fmac_f32_e32 v43, v203, v122
	v_dual_fma_f32 v23, v202, v122, -v27 :: v_dual_add_f32 v11, v11, v25
	s_delay_alu instid0(VALU_DEP_3) | instskip(SKIP_1) | instid1(VALU_DEP_3)
	v_dual_add_f32 v9, v9, v41 :: v_dual_mul_f32 v47, v206, v127
	v_dual_mul_f32 v49, v168, v129 :: v_dual_fmac_f32 v45, v205, v124
	v_dual_add_f32 v11, v11, v23 :: v_dual_fma_f32 v13, v204, v124, -v13
	s_wait_loadcnt 0x4
	s_delay_alu instid0(VALU_DEP_3) | instskip(SKIP_3) | instid1(VALU_DEP_4)
	v_dual_add_f32 v9, v9, v43 :: v_dual_mov_b32 v92, v139
	v_fma_f32 v15, v206, v126, -v15
	v_fmac_f32_e32 v47, v207, v126
	v_dual_add_f32 v11, v11, v13 :: v_dual_fmac_f32 v49, v169, v128
	v_dual_add_f32 v9, v9, v45 :: v_dual_mul_f32 v223, v170, v131
	v_mul_f32_e32 v225, v148, v133
	s_delay_alu instid0(VALU_DEP_3) | instskip(NEXT) | instid1(VALU_DEP_3)
	v_dual_fma_f32 v13, v168, v128, -v17 :: v_dual_add_f32 v11, v11, v15
	v_dual_fma_f32 v222, v170, v130, -v19 :: v_dual_add_f32 v9, v9, v47
	s_delay_alu instid0(VALU_DEP_4) | instskip(SKIP_1) | instid1(VALU_DEP_4)
	v_fmac_f32_e32 v223, v171, v130
	v_pk_mul_f32 v[88:89], v[214:215], v[88:89] op_sel_hi:[1,0]
	v_dual_add_f32 v96, v11, v13 :: v_dual_fmac_f32 v225, v149, v132
	s_delay_alu instid0(VALU_DEP_4)
	v_add_f32_e32 v97, v9, v49
	v_pk_mul_f32 v[90:91], v[152:153], v[136:137] op_sel:[1,1] op_sel_hi:[0,1]
	s_wait_loadcnt 0x3
	v_dual_mov_b32 v98, v143 :: v_dual_fma_f32 v224, v148, v132, -v21
	v_pk_fma_f32 v[100:101], v[150:151], v[134:135], v[88:89] op_sel_hi:[1,0,1]
	v_pk_add_f32 v[96:97], v[96:97], v[222:223]
	v_pk_fma_f32 v[88:89], v[150:151], v[134:135], v[88:89] neg_lo:[0,0,1] neg_hi:[0,0,1]
	v_pk_fma_f32 v[102:103], v[152:153], v[136:137], v[90:91] op_sel_hi:[1,0,1]
	v_pk_mul_f32 v[92:93], v[216:217], v[92:93] op_sel_hi:[1,0]
	v_mov_b32_e32 v89, v101
	v_pk_add_f32 v[96:97], v[96:97], v[224:225]
	v_pk_fma_f32 v[90:91], v[152:153], v[136:137], v[90:91] neg_lo:[0,0,1] neg_hi:[0,0,1]
	v_pk_mul_f32 v[94:95], v[156:157], v[140:141] op_sel:[1,1] op_sel_hi:[0,1]
	v_mov_b32_e32 v91, v103
	v_pk_fma_f32 v[102:103], v[154:155], v[138:139], v[92:93] op_sel_hi:[1,0,1]
	v_pk_add_f32 v[88:89], v[96:97], v[88:89]
	v_pk_fma_f32 v[92:93], v[154:155], v[138:139], v[92:93] neg_lo:[0,0,1] neg_hi:[0,0,1]
	v_pk_fma_f32 v[96:97], v[156:157], v[140:141], v[94:95] op_sel_hi:[1,0,1]
	v_pk_mul_f32 v[98:99], v[218:219], v[98:99] op_sel_hi:[1,0]
	v_mov_b32_e32 v93, v103
	v_pk_add_f32 v[88:89], v[88:89], v[90:91]
	v_pk_fma_f32 v[94:95], v[156:157], v[140:141], v[94:95] neg_lo:[0,0,1] neg_hi:[0,0,1]
	s_wait_loadcnt 0x2
	v_pk_mul_f32 v[100:101], v[160:161], v[144:145] op_sel:[1,1] op_sel_hi:[0,1]
	v_dual_mov_b32 v90, v147 :: v_dual_mov_b32 v95, v97
	v_pk_fma_f32 v[96:97], v[158:159], v[142:143], v[98:99] op_sel_hi:[1,0,1]
	v_pk_add_f32 v[88:89], v[88:89], v[92:93]
	v_pk_fma_f32 v[98:99], v[158:159], v[142:143], v[98:99] neg_lo:[0,0,1] neg_hi:[0,0,1]
	v_pk_fma_f32 v[92:93], v[160:161], v[144:145], v[100:101] op_sel_hi:[1,0,1]
	v_pk_mul_f32 v[90:91], v[220:221], v[90:91] op_sel_hi:[1,0]
	v_mov_b32_e32 v99, v97
	v_pk_add_f32 v[88:89], v[88:89], v[94:95]
	v_pk_fma_f32 v[94:95], v[160:161], v[144:145], v[100:101] neg_lo:[0,0,1] neg_hi:[0,0,1]
	v_mov_b32_e32 v95, v93
	v_pk_fma_f32 v[92:93], v[162:163], v[146:147], v[90:91] op_sel_hi:[1,0,1]
	s_wait_loadcnt_dscnt 0x100
	v_pk_mul_f32 v[96:97], v[212:213], v[208:209] op_sel:[1,1] op_sel_hi:[0,1]
	v_pk_add_f32 v[88:89], v[88:89], v[98:99]
	v_pk_fma_f32 v[90:91], v[162:163], v[146:147], v[90:91] neg_lo:[0,0,1] neg_hi:[0,0,1]
	v_mov_b32_e32 v91, v93
	s_delay_alu instid0(VALU_DEP_4) | instskip(NEXT) | instid1(VALU_DEP_4)
	v_pk_fma_f32 v[92:93], v[212:213], v[208:209], v[96:97] op_sel_hi:[1,0,1]
	v_pk_add_f32 v[88:89], v[88:89], v[94:95]
	v_pk_fma_f32 v[94:95], v[212:213], v[208:209], v[96:97] neg_lo:[0,0,1] neg_hi:[0,0,1]
	s_delay_alu instid0(VALU_DEP_3) | instskip(NEXT) | instid1(VALU_DEP_3)
	v_mov_b32_e32 v95, v93
	v_pk_add_f32 v[88:89], v[88:89], v[90:91]
	s_delay_alu instid0(VALU_DEP_1) | instskip(SKIP_1) | instid1(VALU_DEP_1)
	v_pk_add_f32 v[88:89], v[88:89], v[94:95]
	s_wait_loadcnt 0x0
	v_pk_add_f32 v[88:89], v[210:211], v[88:89] neg_lo:[0,1] neg_hi:[0,1]
	scratch_store_b64 off, v[88:89], off offset:88
	s_wait_xcnt 0x0
	v_cmpx_lt_u32_e32 10, v0
	s_cbranch_execz .LBB106_251
; %bb.250:
	scratch_load_b64 v[88:89], off, off offset:80
	v_mov_b64_e32 v[90:91], 0
	scratch_store_b64 off, v[90:91], off offset:80
	s_wait_loadcnt 0x0
	ds_store_b64 v1, v[88:89]
.LBB106_251:
	s_wait_xcnt 0x0
	s_or_b32 exec_lo, exec_lo, s0
	s_wait_storecnt_dscnt 0x0
	s_barrier_signal -1
	s_barrier_wait -1
	s_clause 0x10
	scratch_load_b128 v[88:91], off, off offset:88
	scratch_load_b128 v[92:95], off, off offset:104
	;; [unrolled: 1-line block ×16, first 2 shown]
	scratch_load_b64 v[216:217], off, off offset:80
	ds_load_2addr_b64 v[152:155], v7 offset0:79 offset1:80
	ds_load_2addr_b64 v[156:159], v7 offset0:81 offset1:82
	;; [unrolled: 1-line block ×16, first 2 shown]
	s_mov_b32 s0, exec_lo
	s_wait_dscnt 0xf
	v_dual_mov_b32 v218, v155 :: v_dual_mov_b32 v219, v154
	s_wait_dscnt 0xe
	v_dual_mov_b32 v220, v159 :: v_dual_mov_b32 v221, v158
	s_wait_dscnt 0xd
	v_dual_mov_b32 v222, v163 :: v_dual_mov_b32 v223, v162
	s_wait_dscnt 0xc
	v_dual_mov_b32 v224, v167 :: v_dual_mov_b32 v225, v166
	s_wait_loadcnt_dscnt 0x100b
	v_dual_mul_f32 v7, v168, v89 :: v_dual_mul_f32 v9, v170, v91
	v_dual_mul_f32 v51, v169, v89 :: v_dual_mul_f32 v53, v171, v91
	s_wait_loadcnt_dscnt 0xf0a
	v_dual_mul_f32 v11, v172, v93 :: v_dual_mul_f32 v13, v174, v95
	s_delay_alu instid0(VALU_DEP_3) | instskip(SKIP_3) | instid1(VALU_DEP_3)
	v_dual_fmac_f32 v7, v169, v88 :: v_dual_fmac_f32 v9, v171, v90
	s_wait_loadcnt_dscnt 0xd08
	v_dual_fma_f32 v51, v168, v88, -v51 :: v_dual_mul_f32 v63, v181, v101
	v_dual_mul_f32 v55, v173, v93 :: v_dual_mul_f32 v57, v175, v95
	v_dual_fma_f32 v53, v170, v90, -v53 :: v_dual_add_f32 v7, 0, v7
	s_delay_alu instid0(VALU_DEP_3) | instskip(SKIP_1) | instid1(VALU_DEP_4)
	v_dual_add_f32 v51, 0, v51 :: v_dual_fmac_f32 v11, v173, v92
	v_dual_mul_f32 v15, v176, v97 :: v_dual_mul_f32 v17, v178, v99
	v_dual_mul_f32 v65, v183, v103 :: v_dual_fma_f32 v55, v172, v92, -v55
	s_delay_alu instid0(VALU_DEP_4) | instskip(NEXT) | instid1(VALU_DEP_3)
	v_add_f32_e32 v7, v7, v9
	v_dual_add_f32 v9, v51, v53 :: v_dual_fmac_f32 v15, v177, v96
	v_dual_mul_f32 v59, v177, v97 :: v_dual_mul_f32 v61, v179, v99
	s_wait_loadcnt_dscnt 0xc07
	v_dual_mul_f32 v51, v185, v105 :: v_dual_fmac_f32 v13, v175, v94
	v_dual_fma_f32 v53, v174, v94, -v57 :: v_dual_add_f32 v7, v7, v11
	s_delay_alu instid0(VALU_DEP_3) | instskip(SKIP_1) | instid1(VALU_DEP_3)
	v_dual_add_f32 v9, v9, v55 :: v_dual_fma_f32 v55, v176, v96, -v59
	v_dual_mul_f32 v19, v180, v101 :: v_dual_mul_f32 v21, v182, v103
	v_add_f32_e32 v7, v7, v13
	s_delay_alu instid0(VALU_DEP_3) | instskip(SKIP_2) | instid1(VALU_DEP_3)
	v_dual_mul_f32 v11, v187, v107 :: v_dual_add_f32 v9, v9, v53
	s_wait_loadcnt_dscnt 0xb06
	v_dual_mul_f32 v13, v189, v109 :: v_dual_fmac_f32 v17, v179, v98
	v_dual_fma_f32 v53, v178, v98, -v61 :: v_dual_add_f32 v7, v7, v15
	s_delay_alu instid0(VALU_DEP_3) | instskip(SKIP_1) | instid1(VALU_DEP_3)
	v_dual_add_f32 v9, v9, v55 :: v_dual_fma_f32 v55, v180, v100, -v63
	v_dual_mul_f32 v15, v191, v111 :: v_dual_fmac_f32 v19, v181, v100
	v_add_f32_e32 v7, v7, v17
	s_delay_alu instid0(VALU_DEP_3)
	v_dual_add_f32 v9, v9, v53 :: v_dual_fmac_f32 v21, v183, v102
	v_dual_mul_f32 v23, v184, v105 :: v_dual_mul_f32 v25, v186, v107
	s_wait_loadcnt_dscnt 0xa05
	v_dual_fma_f32 v53, v182, v102, -v65 :: v_dual_mul_f32 v17, v193, v113
	v_add_f32_e32 v7, v7, v19
	v_dual_add_f32 v9, v9, v55 :: v_dual_fma_f32 v51, v184, v104, -v51
	v_dual_mul_f32 v19, v195, v115 :: v_dual_fmac_f32 v23, v185, v104
	s_delay_alu instid0(VALU_DEP_3) | instskip(NEXT) | instid1(VALU_DEP_3)
	v_dual_add_f32 v7, v7, v21 :: v_dual_fma_f32 v11, v186, v106, -v11
	v_dual_add_f32 v9, v9, v53 :: v_dual_fmac_f32 v25, v187, v106
	v_dual_mul_f32 v27, v188, v109 :: v_dual_mul_f32 v29, v190, v111
	s_wait_loadcnt_dscnt 0x904
	s_delay_alu instid0(VALU_DEP_3) | instskip(NEXT) | instid1(VALU_DEP_3)
	v_dual_mul_f32 v21, v197, v117 :: v_dual_add_f32 v7, v7, v23
	v_dual_add_f32 v9, v9, v51 :: v_dual_fma_f32 v13, v188, v108, -v13
	s_delay_alu instid0(VALU_DEP_3) | instskip(NEXT) | instid1(VALU_DEP_2)
	v_dual_mul_f32 v23, v199, v119 :: v_dual_fmac_f32 v27, v189, v108
	v_dual_add_f32 v7, v7, v25 :: v_dual_add_f32 v9, v9, v11
	v_dual_mul_f32 v31, v192, v113 :: v_dual_mul_f32 v33, v194, v115
	s_wait_loadcnt_dscnt 0x803
	v_dual_mul_f32 v11, v201, v121 :: v_dual_fmac_f32 v29, v191, v110
	s_delay_alu instid0(VALU_DEP_3) | instskip(SKIP_2) | instid1(VALU_DEP_2)
	v_dual_fma_f32 v15, v190, v110, -v15 :: v_dual_add_f32 v7, v7, v27
	v_dual_add_f32 v9, v9, v13 :: v_dual_mul_f32 v13, v203, v123
	v_dual_fmac_f32 v31, v193, v112 :: v_dual_fma_f32 v17, v192, v112, -v17
	v_dual_add_f32 v7, v7, v29 :: v_dual_add_f32 v9, v9, v15
	v_dual_mul_f32 v35, v196, v117 :: v_dual_mul_f32 v37, v198, v119
	s_wait_loadcnt_dscnt 0x702
	v_dual_mul_f32 v15, v205, v125 :: v_dual_fmac_f32 v33, v195, v114
	s_delay_alu instid0(VALU_DEP_3) | instskip(SKIP_2) | instid1(VALU_DEP_2)
	v_dual_fma_f32 v19, v194, v114, -v19 :: v_dual_add_f32 v7, v7, v31
	v_dual_add_f32 v9, v9, v17 :: v_dual_mul_f32 v17, v207, v127
	v_dual_fmac_f32 v35, v197, v116 :: v_dual_fma_f32 v21, v196, v116, -v21
	v_dual_add_f32 v7, v7, v33 :: v_dual_add_f32 v9, v9, v19
	v_dual_mul_f32 v39, v200, v121 :: v_dual_mul_f32 v41, v202, v123
	s_wait_loadcnt_dscnt 0x601
	v_dual_mul_f32 v19, v209, v129 :: v_dual_fmac_f32 v37, v199, v118
	s_delay_alu instid0(VALU_DEP_3) | instskip(SKIP_2) | instid1(VALU_DEP_3)
	v_dual_fma_f32 v23, v198, v118, -v23 :: v_dual_add_f32 v7, v7, v35
	v_dual_add_f32 v9, v9, v21 :: v_dual_mul_f32 v21, v211, v131
	v_fmac_f32_e32 v39, v201, v120
	v_dual_fma_f32 v11, v200, v120, -v11 :: v_dual_add_f32 v7, v7, v37
	s_delay_alu instid0(VALU_DEP_3)
	v_dual_add_f32 v9, v9, v23 :: v_dual_mul_f32 v43, v204, v125
	s_wait_loadcnt_dscnt 0x500
	v_dual_mul_f32 v45, v206, v127 :: v_dual_mul_f32 v23, v213, v133
	v_fmac_f32_e32 v41, v203, v122
	v_dual_fma_f32 v13, v202, v122, -v13 :: v_dual_add_f32 v7, v7, v39
	v_dual_add_f32 v9, v9, v11 :: v_dual_fma_f32 v15, v204, v124, -v15
	v_dual_mul_f32 v11, v215, v135 :: v_dual_fmac_f32 v43, v205, v124
	s_delay_alu instid0(VALU_DEP_3) | instskip(NEXT) | instid1(VALU_DEP_3)
	v_add_f32_e32 v7, v7, v41
	v_dual_add_f32 v9, v9, v13 :: v_dual_fmac_f32 v45, v207, v126
	v_dual_mul_f32 v47, v208, v129 :: v_dual_mul_f32 v49, v210, v131
	s_delay_alu instid0(VALU_DEP_3) | instskip(SKIP_1) | instid1(VALU_DEP_3)
	v_dual_fma_f32 v13, v206, v126, -v17 :: v_dual_add_f32 v7, v7, v43
	s_wait_loadcnt 0x4
	v_dual_add_f32 v9, v9, v15 :: v_dual_mov_b32 v90, v139
	s_delay_alu instid0(VALU_DEP_3) | instskip(NEXT) | instid1(VALU_DEP_3)
	v_fmac_f32_e32 v47, v209, v128
	v_dual_fma_f32 v15, v208, v128, -v19 :: v_dual_add_f32 v7, v7, v45
	s_delay_alu instid0(VALU_DEP_3) | instskip(SKIP_1) | instid1(VALU_DEP_3)
	v_dual_add_f32 v9, v9, v13 :: v_dual_fmac_f32 v49, v211, v130
	v_dual_mul_f32 v227, v212, v133 :: v_dual_mul_f32 v229, v214, v135
	v_dual_fma_f32 v13, v210, v130, -v21 :: v_dual_add_f32 v7, v7, v47
	s_wait_loadcnt 0x3
	s_delay_alu instid0(VALU_DEP_3) | instskip(SKIP_1) | instid1(VALU_DEP_3)
	v_dual_add_f32 v9, v9, v15 :: v_dual_mov_b32 v94, v143
	v_pk_mul_f32 v[88:89], v[152:153], v[136:137] op_sel:[1,1] op_sel_hi:[0,1]
	v_dual_fmac_f32 v227, v213, v132 :: v_dual_add_f32 v97, v7, v49
	s_delay_alu instid0(VALU_DEP_3) | instskip(SKIP_1) | instid1(VALU_DEP_4)
	v_dual_fma_f32 v226, v212, v132, -v23 :: v_dual_add_f32 v96, v9, v13
	v_dual_fmac_f32 v229, v215, v134 :: v_dual_fma_f32 v228, v214, v134, -v11
	v_pk_fma_f32 v[98:99], v[152:153], v[136:137], v[88:89] op_sel_hi:[1,0,1]
	v_pk_mul_f32 v[90:91], v[218:219], v[90:91] op_sel_hi:[1,0]
	s_delay_alu instid0(VALU_DEP_4)
	v_pk_add_f32 v[96:97], v[96:97], v[226:227]
	v_pk_fma_f32 v[88:89], v[152:153], v[136:137], v[88:89] neg_lo:[0,0,1] neg_hi:[0,0,1]
	v_pk_mul_f32 v[92:93], v[156:157], v[140:141] op_sel:[1,1] op_sel_hi:[0,1]
	v_mov_b32_e32 v89, v99
	v_pk_fma_f32 v[98:99], v[154:155], v[138:139], v[90:91] op_sel_hi:[1,0,1]
	v_pk_add_f32 v[96:97], v[96:97], v[228:229]
	v_pk_fma_f32 v[90:91], v[154:155], v[138:139], v[90:91] neg_lo:[0,0,1] neg_hi:[0,0,1]
	v_pk_fma_f32 v[102:103], v[156:157], v[140:141], v[92:93] op_sel_hi:[1,0,1]
	v_pk_mul_f32 v[94:95], v[220:221], v[94:95] op_sel_hi:[1,0]
	v_mov_b32_e32 v91, v99
	v_pk_add_f32 v[88:89], v[96:97], v[88:89]
	s_wait_loadcnt 0x2
	v_pk_mul_f32 v[100:101], v[160:161], v[144:145] op_sel:[1,1] op_sel_hi:[0,1]
	v_mov_b32_e32 v96, v147
	v_pk_fma_f32 v[92:93], v[156:157], v[140:141], v[92:93] neg_lo:[0,0,1] neg_hi:[0,0,1]
	v_mov_b32_e32 v93, v103
	v_pk_fma_f32 v[98:99], v[158:159], v[142:143], v[94:95] op_sel_hi:[1,0,1]
	v_pk_add_f32 v[88:89], v[88:89], v[90:91]
	v_pk_fma_f32 v[90:91], v[160:161], v[144:145], v[100:101] op_sel_hi:[1,0,1]
	v_pk_mul_f32 v[96:97], v[222:223], v[96:97] op_sel_hi:[1,0]
	v_pk_fma_f32 v[94:95], v[158:159], v[142:143], v[94:95] neg_lo:[0,0,1] neg_hi:[0,0,1]
	v_mov_b32_e32 v95, v99
	v_pk_add_f32 v[88:89], v[88:89], v[92:93]
	v_pk_fma_f32 v[98:99], v[160:161], v[144:145], v[100:101] neg_lo:[0,0,1] neg_hi:[0,0,1]
	v_mov_b32_e32 v99, v91
	v_pk_fma_f32 v[90:91], v[162:163], v[146:147], v[96:97] op_sel_hi:[1,0,1]
	s_wait_loadcnt 0x1
	v_pk_mul_f32 v[92:93], v[164:165], v[148:149] op_sel:[1,1] op_sel_hi:[0,1]
	v_pk_add_f32 v[88:89], v[88:89], v[94:95]
	v_mov_b32_e32 v90, v151
	v_pk_fma_f32 v[96:97], v[162:163], v[146:147], v[96:97] neg_lo:[0,0,1] neg_hi:[0,0,1]
	v_mov_b32_e32 v97, v91
	v_pk_fma_f32 v[94:95], v[164:165], v[148:149], v[92:93] op_sel_hi:[1,0,1]
	v_pk_add_f32 v[88:89], v[88:89], v[98:99]
	v_pk_mul_f32 v[90:91], v[224:225], v[90:91] op_sel_hi:[1,0]
	v_pk_fma_f32 v[92:93], v[164:165], v[148:149], v[92:93] neg_lo:[0,0,1] neg_hi:[0,0,1]
	s_delay_alu instid0(VALU_DEP_4) | instskip(NEXT) | instid1(VALU_DEP_4)
	v_mov_b32_e32 v93, v95
	v_pk_add_f32 v[88:89], v[88:89], v[96:97]
	s_delay_alu instid0(VALU_DEP_4) | instskip(SKIP_1) | instid1(VALU_DEP_2)
	v_pk_fma_f32 v[94:95], v[166:167], v[150:151], v[90:91] op_sel_hi:[1,0,1]
	v_pk_fma_f32 v[90:91], v[166:167], v[150:151], v[90:91] neg_lo:[0,0,1] neg_hi:[0,0,1]
	v_mov_b32_e32 v91, v95
	s_delay_alu instid0(VALU_DEP_4) | instskip(NEXT) | instid1(VALU_DEP_1)
	v_pk_add_f32 v[88:89], v[88:89], v[92:93]
	v_pk_add_f32 v[88:89], v[88:89], v[90:91]
	s_wait_loadcnt 0x0
	s_delay_alu instid0(VALU_DEP_1)
	v_pk_add_f32 v[88:89], v[216:217], v[88:89] neg_lo:[0,1] neg_hi:[0,1]
	scratch_store_b64 off, v[88:89], off offset:80
	s_wait_xcnt 0x0
	v_cmpx_lt_u32_e32 9, v0
	s_cbranch_execz .LBB106_253
; %bb.252:
	scratch_load_b64 v[88:89], off, off offset:72
	v_mov_b64_e32 v[90:91], 0
	scratch_store_b64 off, v[90:91], off offset:72
	s_wait_loadcnt 0x0
	ds_store_b64 v1, v[88:89]
.LBB106_253:
	s_wait_xcnt 0x0
	s_or_b32 exec_lo, exec_lo, s0
	s_wait_storecnt_dscnt 0x0
	s_barrier_signal -1
	s_barrier_wait -1
	s_clause 0x11
	scratch_load_b128 v[88:91], off, off offset:80
	scratch_load_b128 v[92:95], off, off offset:96
	;; [unrolled: 1-line block ×16, first 2 shown]
	scratch_load_b64 v[216:217], off, off offset:336
	scratch_load_b64 v[218:219], off, off offset:72
	v_mov_b32_e32 v7, 0
	ds_load_b128 v[152:155], v7 offset:624
	ds_load_b128 v[156:159], v7 offset:640
	;; [unrolled: 1-line block ×16, first 2 shown]
	ds_load_b64 v[220:221], v7 offset:688
	s_mov_b32 s0, exec_lo
	s_wait_dscnt 0x10
	v_dual_mov_b32 v222, v155 :: v_dual_mov_b32 v223, v154
	s_wait_dscnt 0xd
	v_dual_mov_b32 v224, v159 :: v_dual_mov_b32 v229, v166
	v_dual_mov_b32 v225, v158 :: v_dual_mov_b32 v226, v163
	;; [unrolled: 1-line block ×3, first 2 shown]
	s_wait_loadcnt_dscnt 0x110c
	v_dual_mul_f32 v9, v168, v89 :: v_dual_mul_f32 v55, v169, v89
	v_dual_mul_f32 v57, v171, v91 :: v_dual_mul_f32 v11, v170, v91
	s_wait_loadcnt_dscnt 0x100b
	v_mul_f32_e32 v13, v172, v93
	s_wait_loadcnt_dscnt 0xe09
	v_dual_mul_f32 v67, v181, v101 :: v_dual_fma_f32 v55, v168, v88, -v55
	v_dual_fmac_f32 v9, v169, v88 :: v_dual_mul_f32 v69, v183, v103
	v_dual_mul_f32 v59, v173, v93 :: v_dual_mul_f32 v61, v175, v95
	v_dual_fmac_f32 v11, v171, v90 :: v_dual_fma_f32 v57, v170, v90, -v57
	s_delay_alu instid0(VALU_DEP_3) | instskip(SKIP_4) | instid1(VALU_DEP_3)
	v_dual_add_f32 v9, 0, v9 :: v_dual_add_f32 v55, 0, v55
	v_dual_mul_f32 v15, v174, v95 :: v_dual_mul_f32 v17, v176, v97
	s_wait_loadcnt_dscnt 0xd08
	v_dual_mul_f32 v71, v185, v105 :: v_dual_fma_f32 v59, v172, v92, -v59
	v_fmac_f32_e32 v13, v173, v92
	v_dual_add_f32 v9, v9, v11 :: v_dual_fmac_f32 v15, v175, v94
	v_add_f32_e32 v11, v55, v57
	v_dual_mul_f32 v63, v177, v97 :: v_dual_mul_f32 v65, v179, v99
	v_dual_mul_f32 v55, v187, v107 :: v_dual_fma_f32 v57, v174, v94, -v61
	s_delay_alu instid0(VALU_DEP_3) | instskip(SKIP_3) | instid1(VALU_DEP_3)
	v_dual_add_f32 v9, v9, v13 :: v_dual_add_f32 v11, v11, v59
	v_dual_mul_f32 v19, v178, v99 :: v_dual_mul_f32 v21, v180, v101
	s_wait_loadcnt_dscnt 0xc07
	v_dual_mul_f32 v13, v189, v109 :: v_dual_fma_f32 v59, v176, v96, -v63
	v_dual_fmac_f32 v17, v177, v96 :: v_dual_add_f32 v11, v11, v57
	s_delay_alu instid0(VALU_DEP_3) | instskip(SKIP_1) | instid1(VALU_DEP_2)
	v_dual_add_f32 v9, v9, v15 :: v_dual_fmac_f32 v19, v179, v98
	v_dual_mul_f32 v15, v191, v111 :: v_dual_fma_f32 v57, v178, v98, -v65
	v_dual_add_f32 v11, v11, v59 :: v_dual_add_f32 v9, v9, v17
	v_dual_mul_f32 v23, v182, v103 :: v_dual_mul_f32 v25, v184, v105
	s_wait_loadcnt_dscnt 0xb06
	v_dual_mul_f32 v17, v193, v113 :: v_dual_fma_f32 v59, v180, v100, -v67
	s_delay_alu instid0(VALU_DEP_3) | instskip(NEXT) | instid1(VALU_DEP_3)
	v_dual_fmac_f32 v21, v181, v100 :: v_dual_add_f32 v11, v11, v57
	v_dual_add_f32 v9, v9, v19 :: v_dual_fmac_f32 v23, v183, v102
	v_dual_mul_f32 v19, v195, v115 :: v_dual_fma_f32 v57, v182, v102, -v69
	s_delay_alu instid0(VALU_DEP_2) | instskip(SKIP_3) | instid1(VALU_DEP_3)
	v_dual_add_f32 v11, v11, v59 :: v_dual_add_f32 v9, v9, v21
	v_dual_mul_f32 v27, v186, v107 :: v_dual_mul_f32 v29, v188, v109
	s_wait_loadcnt_dscnt 0xa05
	v_dual_mul_f32 v21, v197, v117 :: v_dual_fma_f32 v59, v184, v104, -v71
	v_dual_fmac_f32 v25, v185, v104 :: v_dual_add_f32 v11, v11, v57
	s_delay_alu instid0(VALU_DEP_3) | instskip(SKIP_1) | instid1(VALU_DEP_2)
	v_dual_add_f32 v9, v9, v23 :: v_dual_fmac_f32 v27, v187, v106
	v_dual_mul_f32 v23, v199, v119 :: v_dual_fma_f32 v55, v186, v106, -v55
	v_dual_add_f32 v11, v11, v59 :: v_dual_add_f32 v9, v9, v25
	v_dual_mul_f32 v31, v190, v111 :: v_dual_mul_f32 v33, v192, v113
	s_wait_loadcnt_dscnt 0x904
	v_dual_mul_f32 v25, v201, v121 :: v_dual_fma_f32 v13, v188, v108, -v13
	s_delay_alu instid0(VALU_DEP_3) | instskip(NEXT) | instid1(VALU_DEP_3)
	v_dual_fmac_f32 v29, v189, v108 :: v_dual_add_f32 v11, v11, v55
	v_dual_add_f32 v9, v9, v27 :: v_dual_fmac_f32 v31, v191, v110
	v_dual_mul_f32 v27, v203, v123 :: v_dual_fma_f32 v15, v190, v110, -v15
	s_delay_alu instid0(VALU_DEP_3) | instskip(NEXT) | instid1(VALU_DEP_3)
	v_dual_add_f32 v11, v11, v13 :: v_dual_fmac_f32 v33, v193, v112
	v_dual_add_f32 v9, v9, v29 :: v_dual_fma_f32 v17, v192, v112, -v17
	v_dual_mul_f32 v35, v194, v115 :: v_dual_mul_f32 v37, v196, v117
	s_wait_loadcnt_dscnt 0x803
	s_delay_alu instid0(VALU_DEP_3) | instskip(NEXT) | instid1(VALU_DEP_2)
	v_dual_mul_f32 v13, v205, v125 :: v_dual_add_f32 v11, v11, v15
	v_dual_add_f32 v9, v9, v31 :: v_dual_fmac_f32 v35, v195, v114
	v_dual_mul_f32 v15, v207, v127 :: v_dual_fma_f32 v19, v194, v114, -v19
	s_delay_alu instid0(VALU_DEP_3) | instskip(NEXT) | instid1(VALU_DEP_3)
	v_dual_add_f32 v11, v11, v17 :: v_dual_fmac_f32 v37, v197, v116
	v_dual_add_f32 v9, v9, v33 :: v_dual_fma_f32 v21, v196, v116, -v21
	v_dual_mul_f32 v39, v198, v119 :: v_dual_mul_f32 v41, v200, v121
	s_wait_loadcnt_dscnt 0x702
	s_delay_alu instid0(VALU_DEP_3) | instskip(NEXT) | instid1(VALU_DEP_2)
	v_dual_mul_f32 v17, v209, v129 :: v_dual_add_f32 v11, v11, v19
	;; [unrolled: 9-line block ×3, first 2 shown]
	v_dual_add_f32 v9, v9, v39 :: v_dual_fmac_f32 v43, v203, v122
	v_dual_mul_f32 v23, v215, v135 :: v_dual_fma_f32 v27, v202, v122, -v27
	s_delay_alu instid0(VALU_DEP_3) | instskip(NEXT) | instid1(VALU_DEP_3)
	v_dual_add_f32 v11, v11, v25 :: v_dual_fmac_f32 v45, v205, v124
	v_dual_add_f32 v9, v9, v41 :: v_dual_fma_f32 v13, v204, v124, -v13
	v_dual_mul_f32 v47, v206, v127 :: v_dual_mul_f32 v49, v208, v129
	s_wait_loadcnt 0x5
	s_delay_alu instid0(VALU_DEP_3) | instskip(NEXT) | instid1(VALU_DEP_3)
	v_dual_mul_f32 v25, v153, v137 :: v_dual_add_f32 v11, v11, v27
	v_dual_add_f32 v9, v9, v43 :: v_dual_mov_b32 v88, v139
	s_delay_alu instid0(VALU_DEP_3) | instskip(NEXT) | instid1(VALU_DEP_3)
	v_fmac_f32_e32 v47, v207, v126
	v_dual_fma_f32 v15, v206, v126, -v15 :: v_dual_add_f32 v11, v11, v13
	s_delay_alu instid0(VALU_DEP_3) | instskip(SKIP_1) | instid1(VALU_DEP_3)
	v_dual_add_f32 v9, v9, v45 :: v_dual_mul_f32 v51, v210, v131
	v_dual_mul_f32 v53, v212, v133 :: v_dual_fmac_f32 v49, v209, v128
	v_dual_add_f32 v11, v11, v15 :: v_dual_fma_f32 v13, v208, v128, -v17
	s_wait_loadcnt 0x4
	s_delay_alu instid0(VALU_DEP_3) | instskip(SKIP_3) | instid1(VALU_DEP_4)
	v_dual_add_f32 v9, v9, v47 :: v_dual_mov_b32 v92, v143
	v_fma_f32 v15, v210, v130, -v19
	v_fmac_f32_e32 v51, v211, v130
	v_dual_add_f32 v11, v11, v13 :: v_dual_fmac_f32 v53, v213, v132
	v_dual_add_f32 v9, v9, v49 :: v_dual_mul_f32 v231, v214, v135
	v_mul_f32_e32 v233, v152, v137
	s_delay_alu instid0(VALU_DEP_3) | instskip(NEXT) | instid1(VALU_DEP_3)
	v_dual_fma_f32 v13, v212, v132, -v21 :: v_dual_add_f32 v11, v11, v15
	v_dual_fma_f32 v230, v214, v134, -v23 :: v_dual_add_f32 v9, v9, v51
	s_delay_alu instid0(VALU_DEP_4) | instskip(SKIP_1) | instid1(VALU_DEP_4)
	v_fmac_f32_e32 v231, v215, v134
	v_pk_mul_f32 v[88:89], v[222:223], v[88:89] op_sel_hi:[1,0]
	v_dual_add_f32 v96, v11, v13 :: v_dual_fmac_f32 v233, v153, v136
	s_delay_alu instid0(VALU_DEP_4)
	v_add_f32_e32 v97, v9, v53
	v_pk_mul_f32 v[90:91], v[156:157], v[140:141] op_sel:[1,1] op_sel_hi:[0,1]
	s_wait_loadcnt 0x3
	v_dual_mov_b32 v98, v147 :: v_dual_fma_f32 v232, v152, v136, -v25
	v_pk_fma_f32 v[100:101], v[154:155], v[138:139], v[88:89] op_sel_hi:[1,0,1]
	v_pk_add_f32 v[96:97], v[96:97], v[230:231]
	v_pk_fma_f32 v[88:89], v[154:155], v[138:139], v[88:89] neg_lo:[0,0,1] neg_hi:[0,0,1]
	v_pk_fma_f32 v[102:103], v[156:157], v[140:141], v[90:91] op_sel_hi:[1,0,1]
	v_pk_mul_f32 v[92:93], v[224:225], v[92:93] op_sel_hi:[1,0]
	v_mov_b32_e32 v89, v101
	v_pk_add_f32 v[96:97], v[96:97], v[232:233]
	v_pk_fma_f32 v[90:91], v[156:157], v[140:141], v[90:91] neg_lo:[0,0,1] neg_hi:[0,0,1]
	v_pk_mul_f32 v[94:95], v[160:161], v[144:145] op_sel:[1,1] op_sel_hi:[0,1]
	v_mov_b32_e32 v91, v103
	v_pk_fma_f32 v[102:103], v[158:159], v[142:143], v[92:93] op_sel_hi:[1,0,1]
	v_pk_add_f32 v[88:89], v[96:97], v[88:89]
	v_pk_fma_f32 v[92:93], v[158:159], v[142:143], v[92:93] neg_lo:[0,0,1] neg_hi:[0,0,1]
	v_pk_fma_f32 v[96:97], v[160:161], v[144:145], v[94:95] op_sel_hi:[1,0,1]
	v_pk_mul_f32 v[98:99], v[226:227], v[98:99] op_sel_hi:[1,0]
	v_mov_b32_e32 v93, v103
	v_pk_add_f32 v[88:89], v[88:89], v[90:91]
	v_pk_fma_f32 v[94:95], v[160:161], v[144:145], v[94:95] neg_lo:[0,0,1] neg_hi:[0,0,1]
	s_wait_loadcnt 0x2
	v_pk_mul_f32 v[100:101], v[164:165], v[148:149] op_sel:[1,1] op_sel_hi:[0,1]
	v_dual_mov_b32 v90, v151 :: v_dual_mov_b32 v95, v97
	v_pk_fma_f32 v[96:97], v[162:163], v[146:147], v[98:99] op_sel_hi:[1,0,1]
	v_pk_add_f32 v[88:89], v[88:89], v[92:93]
	v_pk_fma_f32 v[98:99], v[162:163], v[146:147], v[98:99] neg_lo:[0,0,1] neg_hi:[0,0,1]
	v_pk_fma_f32 v[92:93], v[164:165], v[148:149], v[100:101] op_sel_hi:[1,0,1]
	v_pk_mul_f32 v[90:91], v[228:229], v[90:91] op_sel_hi:[1,0]
	v_mov_b32_e32 v99, v97
	v_pk_add_f32 v[88:89], v[88:89], v[94:95]
	v_pk_fma_f32 v[94:95], v[164:165], v[148:149], v[100:101] neg_lo:[0,0,1] neg_hi:[0,0,1]
	v_mov_b32_e32 v95, v93
	v_pk_fma_f32 v[92:93], v[166:167], v[150:151], v[90:91] op_sel_hi:[1,0,1]
	s_wait_loadcnt_dscnt 0x100
	v_pk_mul_f32 v[96:97], v[220:221], v[216:217] op_sel:[1,1] op_sel_hi:[0,1]
	v_pk_add_f32 v[88:89], v[88:89], v[98:99]
	v_pk_fma_f32 v[90:91], v[166:167], v[150:151], v[90:91] neg_lo:[0,0,1] neg_hi:[0,0,1]
	v_mov_b32_e32 v91, v93
	s_delay_alu instid0(VALU_DEP_4) | instskip(NEXT) | instid1(VALU_DEP_4)
	v_pk_fma_f32 v[92:93], v[220:221], v[216:217], v[96:97] op_sel_hi:[1,0,1]
	v_pk_add_f32 v[88:89], v[88:89], v[94:95]
	v_pk_fma_f32 v[94:95], v[220:221], v[216:217], v[96:97] neg_lo:[0,0,1] neg_hi:[0,0,1]
	s_delay_alu instid0(VALU_DEP_3) | instskip(NEXT) | instid1(VALU_DEP_3)
	v_mov_b32_e32 v95, v93
	v_pk_add_f32 v[88:89], v[88:89], v[90:91]
	s_delay_alu instid0(VALU_DEP_1) | instskip(SKIP_1) | instid1(VALU_DEP_1)
	v_pk_add_f32 v[88:89], v[88:89], v[94:95]
	s_wait_loadcnt 0x0
	v_pk_add_f32 v[88:89], v[218:219], v[88:89] neg_lo:[0,1] neg_hi:[0,1]
	scratch_store_b64 off, v[88:89], off offset:72
	s_wait_xcnt 0x0
	v_cmpx_lt_u32_e32 8, v0
	s_cbranch_execz .LBB106_255
; %bb.254:
	scratch_load_b64 v[88:89], off, off offset:64
	v_mov_b64_e32 v[90:91], 0
	scratch_store_b64 off, v[90:91], off offset:64
	s_wait_loadcnt 0x0
	ds_store_b64 v1, v[88:89]
.LBB106_255:
	s_wait_xcnt 0x0
	s_or_b32 exec_lo, exec_lo, s0
	s_wait_storecnt_dscnt 0x0
	s_barrier_signal -1
	s_barrier_wait -1
	s_clause 0x11
	scratch_load_b128 v[88:91], off, off offset:72
	scratch_load_b128 v[92:95], off, off offset:88
	;; [unrolled: 1-line block ×17, first 2 shown]
	scratch_load_b64 v[224:225], off, off offset:64
	ds_load_2addr_b64 v[156:159], v7 offset0:79 offset1:80
	ds_load_2addr_b64 v[160:163], v7 offset0:81 offset1:82
	ds_load_2addr_b64 v[164:167], v7 offset0:83 offset1:84
	ds_load_2addr_b64 v[168:171], v7 offset0:85 offset1:86
	ds_load_2addr_b64 v[172:175], v7 offset0:77 offset1:78
	ds_load_2addr_b64 v[176:179], v7 offset0:53 offset1:54
	ds_load_2addr_b64 v[180:183], v7 offset0:55 offset1:56
	ds_load_2addr_b64 v[184:187], v7 offset0:57 offset1:58
	ds_load_2addr_b64 v[188:191], v7 offset0:59 offset1:60
	ds_load_2addr_b64 v[192:195], v7 offset0:61 offset1:62
	ds_load_2addr_b64 v[196:199], v7 offset0:63 offset1:64
	ds_load_2addr_b64 v[200:203], v7 offset0:65 offset1:66
	ds_load_2addr_b64 v[204:207], v7 offset0:67 offset1:68
	ds_load_2addr_b64 v[208:211], v7 offset0:69 offset1:70
	ds_load_2addr_b64 v[212:215], v7 offset0:71 offset1:72
	ds_load_2addr_b64 v[216:219], v7 offset0:73 offset1:74
	ds_load_2addr_b64 v[220:223], v7 offset0:75 offset1:76
	s_mov_b32 s0, exec_lo
	s_wait_dscnt 0x10
	v_dual_mov_b32 v226, v159 :: v_dual_mov_b32 v227, v158
	s_wait_dscnt 0xf
	v_dual_mov_b32 v228, v163 :: v_dual_mov_b32 v229, v162
	;; [unrolled: 2-line block ×4, first 2 shown]
	s_wait_loadcnt_dscnt 0x110b
	v_dual_mul_f32 v7, v176, v89 :: v_dual_mul_f32 v9, v178, v91
	v_dual_mul_f32 v55, v177, v89 :: v_dual_mul_f32 v57, v179, v91
	s_wait_loadcnt_dscnt 0x100a
	v_dual_mul_f32 v11, v180, v93 :: v_dual_mul_f32 v13, v182, v95
	s_delay_alu instid0(VALU_DEP_3) | instskip(SKIP_3) | instid1(VALU_DEP_3)
	v_dual_fmac_f32 v7, v177, v88 :: v_dual_fmac_f32 v9, v179, v90
	s_wait_loadcnt_dscnt 0xe08
	v_dual_fma_f32 v55, v176, v88, -v55 :: v_dual_mul_f32 v67, v189, v101
	v_dual_mul_f32 v59, v181, v93 :: v_dual_mul_f32 v61, v183, v95
	v_dual_fma_f32 v57, v178, v90, -v57 :: v_dual_add_f32 v7, 0, v7
	s_delay_alu instid0(VALU_DEP_3) | instskip(SKIP_1) | instid1(VALU_DEP_4)
	v_dual_add_f32 v55, 0, v55 :: v_dual_fmac_f32 v11, v181, v92
	v_dual_mul_f32 v15, v184, v97 :: v_dual_mul_f32 v17, v186, v99
	v_dual_mul_f32 v69, v191, v103 :: v_dual_fma_f32 v59, v180, v92, -v59
	s_delay_alu instid0(VALU_DEP_4) | instskip(NEXT) | instid1(VALU_DEP_3)
	v_add_f32_e32 v7, v7, v9
	v_dual_add_f32 v9, v55, v57 :: v_dual_fmac_f32 v15, v185, v96
	v_dual_mul_f32 v63, v185, v97 :: v_dual_mul_f32 v65, v187, v99
	s_wait_loadcnt_dscnt 0xd07
	v_dual_mul_f32 v55, v193, v105 :: v_dual_fmac_f32 v13, v183, v94
	v_dual_fma_f32 v57, v182, v94, -v61 :: v_dual_add_f32 v7, v7, v11
	s_delay_alu instid0(VALU_DEP_3) | instskip(SKIP_1) | instid1(VALU_DEP_3)
	v_dual_add_f32 v9, v9, v59 :: v_dual_fma_f32 v59, v184, v96, -v63
	v_dual_mul_f32 v19, v188, v101 :: v_dual_mul_f32 v21, v190, v103
	v_add_f32_e32 v7, v7, v13
	s_delay_alu instid0(VALU_DEP_3) | instskip(SKIP_2) | instid1(VALU_DEP_3)
	v_dual_mul_f32 v11, v195, v107 :: v_dual_add_f32 v9, v9, v57
	s_wait_loadcnt_dscnt 0xc06
	v_dual_mul_f32 v13, v197, v109 :: v_dual_fmac_f32 v17, v187, v98
	v_dual_fma_f32 v57, v186, v98, -v65 :: v_dual_add_f32 v7, v7, v15
	s_delay_alu instid0(VALU_DEP_3) | instskip(SKIP_1) | instid1(VALU_DEP_3)
	v_dual_add_f32 v9, v9, v59 :: v_dual_fma_f32 v59, v188, v100, -v67
	v_dual_mul_f32 v15, v199, v111 :: v_dual_fmac_f32 v19, v189, v100
	v_add_f32_e32 v7, v7, v17
	s_delay_alu instid0(VALU_DEP_3)
	v_dual_add_f32 v9, v9, v57 :: v_dual_fmac_f32 v21, v191, v102
	v_dual_mul_f32 v23, v192, v105 :: v_dual_mul_f32 v25, v194, v107
	s_wait_loadcnt_dscnt 0xb05
	v_dual_fma_f32 v57, v190, v102, -v69 :: v_dual_mul_f32 v17, v201, v113
	v_add_f32_e32 v7, v7, v19
	v_dual_add_f32 v9, v9, v59 :: v_dual_fma_f32 v55, v192, v104, -v55
	v_dual_mul_f32 v19, v203, v115 :: v_dual_fmac_f32 v23, v193, v104
	s_delay_alu instid0(VALU_DEP_3) | instskip(NEXT) | instid1(VALU_DEP_3)
	v_dual_add_f32 v7, v7, v21 :: v_dual_fma_f32 v11, v194, v106, -v11
	v_dual_add_f32 v9, v9, v57 :: v_dual_fmac_f32 v25, v195, v106
	v_dual_mul_f32 v27, v196, v109 :: v_dual_mul_f32 v29, v198, v111
	s_wait_loadcnt_dscnt 0xa04
	s_delay_alu instid0(VALU_DEP_3) | instskip(NEXT) | instid1(VALU_DEP_3)
	v_dual_mul_f32 v21, v205, v117 :: v_dual_add_f32 v7, v7, v23
	v_dual_add_f32 v9, v9, v55 :: v_dual_fma_f32 v13, v196, v108, -v13
	s_delay_alu instid0(VALU_DEP_3) | instskip(NEXT) | instid1(VALU_DEP_2)
	v_dual_mul_f32 v23, v207, v119 :: v_dual_fmac_f32 v27, v197, v108
	v_dual_add_f32 v7, v7, v25 :: v_dual_add_f32 v9, v9, v11
	v_dual_mul_f32 v31, v200, v113 :: v_dual_mul_f32 v33, v202, v115
	s_wait_loadcnt_dscnt 0x903
	v_dual_mul_f32 v11, v209, v121 :: v_dual_fmac_f32 v29, v199, v110
	s_delay_alu instid0(VALU_DEP_3) | instskip(SKIP_2) | instid1(VALU_DEP_2)
	v_dual_fma_f32 v15, v198, v110, -v15 :: v_dual_add_f32 v7, v7, v27
	v_dual_add_f32 v9, v9, v13 :: v_dual_mul_f32 v13, v211, v123
	v_dual_fmac_f32 v31, v201, v112 :: v_dual_fma_f32 v17, v200, v112, -v17
	v_dual_add_f32 v7, v7, v29 :: v_dual_add_f32 v9, v9, v15
	v_dual_mul_f32 v35, v204, v117 :: v_dual_mul_f32 v37, v206, v119
	s_wait_loadcnt_dscnt 0x802
	v_dual_mul_f32 v15, v213, v125 :: v_dual_fmac_f32 v33, v203, v114
	s_delay_alu instid0(VALU_DEP_3) | instskip(SKIP_2) | instid1(VALU_DEP_2)
	v_dual_fma_f32 v19, v202, v114, -v19 :: v_dual_add_f32 v7, v7, v31
	v_dual_add_f32 v9, v9, v17 :: v_dual_mul_f32 v17, v215, v127
	v_dual_fmac_f32 v35, v205, v116 :: v_dual_fma_f32 v21, v204, v116, -v21
	v_dual_add_f32 v7, v7, v33 :: v_dual_add_f32 v9, v9, v19
	v_dual_mul_f32 v39, v208, v121 :: v_dual_mul_f32 v41, v210, v123
	s_wait_loadcnt_dscnt 0x701
	v_dual_mul_f32 v19, v217, v129 :: v_dual_fmac_f32 v37, v207, v118
	s_delay_alu instid0(VALU_DEP_3) | instskip(SKIP_2) | instid1(VALU_DEP_3)
	v_dual_fma_f32 v23, v206, v118, -v23 :: v_dual_add_f32 v7, v7, v35
	v_dual_add_f32 v9, v9, v21 :: v_dual_mul_f32 v21, v219, v131
	v_fmac_f32_e32 v39, v209, v120
	v_dual_fma_f32 v11, v208, v120, -v11 :: v_dual_add_f32 v7, v7, v37
	s_delay_alu instid0(VALU_DEP_3)
	v_dual_add_f32 v9, v9, v23 :: v_dual_mul_f32 v43, v212, v125
	s_wait_loadcnt_dscnt 0x600
	v_dual_mul_f32 v45, v214, v127 :: v_dual_mul_f32 v23, v221, v133
	v_fmac_f32_e32 v41, v211, v122
	v_dual_fma_f32 v13, v210, v122, -v13 :: v_dual_add_f32 v7, v7, v39
	v_dual_add_f32 v9, v9, v11 :: v_dual_fma_f32 v15, v212, v124, -v15
	v_dual_mul_f32 v11, v223, v135 :: v_dual_fmac_f32 v43, v213, v124
	s_delay_alu instid0(VALU_DEP_3) | instskip(NEXT) | instid1(VALU_DEP_3)
	v_dual_add_f32 v7, v7, v41 :: v_dual_fma_f32 v17, v214, v126, -v17
	v_dual_add_f32 v9, v9, v13 :: v_dual_fmac_f32 v45, v215, v126
	v_dual_mul_f32 v47, v216, v129 :: v_dual_mul_f32 v49, v218, v131
	s_wait_loadcnt 0x5
	s_delay_alu instid0(VALU_DEP_3) | instskip(NEXT) | instid1(VALU_DEP_3)
	v_dual_mul_f32 v13, v173, v137 :: v_dual_add_f32 v7, v7, v43
	v_dual_add_f32 v9, v9, v15 :: v_dual_fma_f32 v19, v216, v128, -v19
	s_delay_alu instid0(VALU_DEP_3) | instskip(NEXT) | instid1(VALU_DEP_3)
	v_dual_mul_f32 v15, v175, v139 :: v_dual_fmac_f32 v47, v217, v128
	v_add_f32_e32 v7, v7, v45
	s_delay_alu instid0(VALU_DEP_3) | instskip(SKIP_1) | instid1(VALU_DEP_3)
	v_dual_add_f32 v9, v9, v17 :: v_dual_fmac_f32 v49, v219, v130
	v_dual_mul_f32 v51, v220, v133 :: v_dual_mul_f32 v53, v222, v135
	v_dual_fma_f32 v17, v218, v130, -v21 :: v_dual_add_f32 v7, v7, v47
	s_wait_loadcnt 0x4
	s_delay_alu instid0(VALU_DEP_3) | instskip(NEXT) | instid1(VALU_DEP_3)
	v_dual_add_f32 v9, v9, v19 :: v_dual_mov_b32 v90, v143
	v_fmac_f32_e32 v51, v221, v132
	s_delay_alu instid0(VALU_DEP_3) | instskip(NEXT) | instid1(VALU_DEP_3)
	v_dual_fma_f32 v19, v220, v132, -v23 :: v_dual_add_f32 v7, v7, v49
	v_dual_add_f32 v9, v9, v17 :: v_dual_fmac_f32 v53, v223, v134
	v_dual_mul_f32 v235, v172, v137 :: v_dual_mul_f32 v237, v174, v139
	s_delay_alu instid0(VALU_DEP_3) | instskip(SKIP_1) | instid1(VALU_DEP_3)
	v_dual_fma_f32 v11, v222, v134, -v11 :: v_dual_add_f32 v7, v7, v51
	s_wait_loadcnt 0x3
	v_dual_add_f32 v9, v9, v19 :: v_dual_mov_b32 v94, v147
	v_pk_mul_f32 v[88:89], v[156:157], v[140:141] op_sel:[1,1] op_sel_hi:[0,1]
	v_dual_fmac_f32 v235, v173, v136 :: v_dual_fma_f32 v234, v172, v136, -v13
	s_delay_alu instid0(VALU_DEP_3) | instskip(SKIP_1) | instid1(VALU_DEP_4)
	v_dual_add_f32 v97, v7, v53 :: v_dual_add_f32 v96, v9, v11
	v_dual_fmac_f32 v237, v175, v138 :: v_dual_fma_f32 v236, v174, v138, -v15
	v_pk_fma_f32 v[98:99], v[156:157], v[140:141], v[88:89] op_sel_hi:[1,0,1]
	v_pk_mul_f32 v[90:91], v[226:227], v[90:91] op_sel_hi:[1,0]
	s_delay_alu instid0(VALU_DEP_4)
	v_pk_add_f32 v[96:97], v[96:97], v[234:235]
	v_pk_fma_f32 v[88:89], v[156:157], v[140:141], v[88:89] neg_lo:[0,0,1] neg_hi:[0,0,1]
	v_pk_mul_f32 v[92:93], v[160:161], v[144:145] op_sel:[1,1] op_sel_hi:[0,1]
	v_mov_b32_e32 v89, v99
	v_pk_fma_f32 v[98:99], v[158:159], v[142:143], v[90:91] op_sel_hi:[1,0,1]
	v_pk_add_f32 v[96:97], v[96:97], v[236:237]
	v_pk_fma_f32 v[90:91], v[158:159], v[142:143], v[90:91] neg_lo:[0,0,1] neg_hi:[0,0,1]
	v_pk_fma_f32 v[102:103], v[160:161], v[144:145], v[92:93] op_sel_hi:[1,0,1]
	v_pk_mul_f32 v[94:95], v[228:229], v[94:95] op_sel_hi:[1,0]
	v_mov_b32_e32 v91, v99
	v_pk_add_f32 v[88:89], v[96:97], v[88:89]
	s_wait_loadcnt 0x2
	v_pk_mul_f32 v[100:101], v[164:165], v[148:149] op_sel:[1,1] op_sel_hi:[0,1]
	v_mov_b32_e32 v96, v151
	v_pk_fma_f32 v[92:93], v[160:161], v[144:145], v[92:93] neg_lo:[0,0,1] neg_hi:[0,0,1]
	v_mov_b32_e32 v93, v103
	v_pk_fma_f32 v[98:99], v[162:163], v[146:147], v[94:95] op_sel_hi:[1,0,1]
	v_pk_add_f32 v[88:89], v[88:89], v[90:91]
	v_pk_fma_f32 v[90:91], v[164:165], v[148:149], v[100:101] op_sel_hi:[1,0,1]
	v_pk_mul_f32 v[96:97], v[230:231], v[96:97] op_sel_hi:[1,0]
	v_pk_fma_f32 v[94:95], v[162:163], v[146:147], v[94:95] neg_lo:[0,0,1] neg_hi:[0,0,1]
	v_mov_b32_e32 v95, v99
	v_pk_add_f32 v[88:89], v[88:89], v[92:93]
	v_pk_fma_f32 v[98:99], v[164:165], v[148:149], v[100:101] neg_lo:[0,0,1] neg_hi:[0,0,1]
	v_mov_b32_e32 v99, v91
	v_pk_fma_f32 v[90:91], v[166:167], v[150:151], v[96:97] op_sel_hi:[1,0,1]
	s_wait_loadcnt 0x1
	v_pk_mul_f32 v[92:93], v[168:169], v[152:153] op_sel:[1,1] op_sel_hi:[0,1]
	v_pk_add_f32 v[88:89], v[88:89], v[94:95]
	v_mov_b32_e32 v90, v155
	v_pk_fma_f32 v[96:97], v[166:167], v[150:151], v[96:97] neg_lo:[0,0,1] neg_hi:[0,0,1]
	v_mov_b32_e32 v97, v91
	v_pk_fma_f32 v[94:95], v[168:169], v[152:153], v[92:93] op_sel_hi:[1,0,1]
	v_pk_add_f32 v[88:89], v[88:89], v[98:99]
	v_pk_mul_f32 v[90:91], v[232:233], v[90:91] op_sel_hi:[1,0]
	v_pk_fma_f32 v[92:93], v[168:169], v[152:153], v[92:93] neg_lo:[0,0,1] neg_hi:[0,0,1]
	s_delay_alu instid0(VALU_DEP_4) | instskip(NEXT) | instid1(VALU_DEP_4)
	v_mov_b32_e32 v93, v95
	v_pk_add_f32 v[88:89], v[88:89], v[96:97]
	s_delay_alu instid0(VALU_DEP_4) | instskip(SKIP_1) | instid1(VALU_DEP_2)
	v_pk_fma_f32 v[94:95], v[170:171], v[154:155], v[90:91] op_sel_hi:[1,0,1]
	v_pk_fma_f32 v[90:91], v[170:171], v[154:155], v[90:91] neg_lo:[0,0,1] neg_hi:[0,0,1]
	v_mov_b32_e32 v91, v95
	s_delay_alu instid0(VALU_DEP_4) | instskip(NEXT) | instid1(VALU_DEP_1)
	v_pk_add_f32 v[88:89], v[88:89], v[92:93]
	v_pk_add_f32 v[88:89], v[88:89], v[90:91]
	s_wait_loadcnt 0x0
	s_delay_alu instid0(VALU_DEP_1)
	v_pk_add_f32 v[88:89], v[224:225], v[88:89] neg_lo:[0,1] neg_hi:[0,1]
	scratch_store_b64 off, v[88:89], off offset:64
	s_wait_xcnt 0x0
	v_cmpx_lt_u32_e32 7, v0
	s_cbranch_execz .LBB106_257
; %bb.256:
	scratch_load_b64 v[88:89], off, off offset:56
	v_mov_b64_e32 v[90:91], 0
	scratch_store_b64 off, v[90:91], off offset:56
	s_wait_loadcnt 0x0
	ds_store_b64 v1, v[88:89]
.LBB106_257:
	s_wait_xcnt 0x0
	s_or_b32 exec_lo, exec_lo, s0
	s_wait_storecnt_dscnt 0x0
	s_barrier_signal -1
	s_barrier_wait -1
	s_clause 0x12
	scratch_load_b128 v[88:91], off, off offset:64
	scratch_load_b128 v[92:95], off, off offset:80
	;; [unrolled: 1-line block ×17, first 2 shown]
	scratch_load_b64 v[224:225], off, off offset:336
	scratch_load_b64 v[226:227], off, off offset:56
	v_mov_b32_e32 v7, 0
	ds_load_b128 v[156:159], v7 offset:624
	ds_load_b128 v[160:163], v7 offset:640
	;; [unrolled: 1-line block ×17, first 2 shown]
	ds_load_b64 v[228:229], v7 offset:688
	s_mov_b32 s0, exec_lo
	s_wait_dscnt 0x11
	v_dual_mov_b32 v230, v159 :: v_dual_mov_b32 v231, v158
	s_wait_dscnt 0x10
	v_dual_mov_b32 v232, v163 :: v_dual_mov_b32 v233, v162
	;; [unrolled: 2-line block ×3, first 2 shown]
	v_dual_mov_b32 v235, v166 :: v_dual_mov_b32 v236, v175
	s_wait_loadcnt_dscnt 0x120c
	v_dual_mul_f32 v9, v176, v89 :: v_dual_mul_f32 v59, v177, v89
	v_dual_mul_f32 v61, v179, v91 :: v_dual_mul_f32 v11, v178, v91
	s_wait_loadcnt_dscnt 0x110b
	v_mul_f32_e32 v13, v180, v93
	s_wait_loadcnt_dscnt 0xf09
	v_dual_mul_f32 v71, v189, v101 :: v_dual_fma_f32 v59, v176, v88, -v59
	v_dual_fmac_f32 v9, v177, v88 :: v_dual_mul_f32 v73, v191, v103
	v_dual_mul_f32 v63, v181, v93 :: v_dual_mul_f32 v65, v183, v95
	v_dual_fmac_f32 v11, v179, v90 :: v_dual_fma_f32 v61, v178, v90, -v61
	s_delay_alu instid0(VALU_DEP_3) | instskip(SKIP_4) | instid1(VALU_DEP_3)
	v_dual_add_f32 v9, 0, v9 :: v_dual_add_f32 v59, 0, v59
	v_dual_mul_f32 v15, v182, v95 :: v_dual_mul_f32 v17, v184, v97
	s_wait_loadcnt_dscnt 0xe08
	v_dual_mul_f32 v75, v193, v105 :: v_dual_fma_f32 v63, v180, v92, -v63
	v_fmac_f32_e32 v13, v181, v92
	v_dual_add_f32 v9, v9, v11 :: v_dual_fmac_f32 v15, v183, v94
	v_add_f32_e32 v11, v59, v61
	v_dual_mul_f32 v67, v185, v97 :: v_dual_mul_f32 v69, v187, v99
	v_dual_mul_f32 v59, v195, v107 :: v_dual_fma_f32 v61, v182, v94, -v65
	s_delay_alu instid0(VALU_DEP_3) | instskip(SKIP_3) | instid1(VALU_DEP_3)
	v_dual_add_f32 v9, v9, v13 :: v_dual_add_f32 v11, v11, v63
	v_dual_mul_f32 v19, v186, v99 :: v_dual_mul_f32 v21, v188, v101
	s_wait_loadcnt_dscnt 0xd07
	v_dual_mul_f32 v13, v197, v109 :: v_dual_fma_f32 v63, v184, v96, -v67
	v_dual_fmac_f32 v17, v185, v96 :: v_dual_add_f32 v11, v11, v61
	s_delay_alu instid0(VALU_DEP_3) | instskip(SKIP_1) | instid1(VALU_DEP_2)
	v_dual_add_f32 v9, v9, v15 :: v_dual_fmac_f32 v19, v187, v98
	v_dual_mul_f32 v15, v199, v111 :: v_dual_fma_f32 v61, v186, v98, -v69
	v_dual_add_f32 v11, v11, v63 :: v_dual_add_f32 v9, v9, v17
	v_dual_mul_f32 v23, v190, v103 :: v_dual_mul_f32 v25, v192, v105
	s_wait_loadcnt_dscnt 0xc06
	v_dual_mul_f32 v17, v201, v113 :: v_dual_fma_f32 v63, v188, v100, -v71
	s_delay_alu instid0(VALU_DEP_3) | instskip(NEXT) | instid1(VALU_DEP_3)
	v_dual_fmac_f32 v21, v189, v100 :: v_dual_add_f32 v11, v11, v61
	v_dual_add_f32 v9, v9, v19 :: v_dual_fmac_f32 v23, v191, v102
	v_dual_mul_f32 v19, v203, v115 :: v_dual_fma_f32 v61, v190, v102, -v73
	s_delay_alu instid0(VALU_DEP_2) | instskip(SKIP_3) | instid1(VALU_DEP_3)
	v_dual_add_f32 v11, v11, v63 :: v_dual_add_f32 v9, v9, v21
	v_dual_mul_f32 v27, v194, v107 :: v_dual_mul_f32 v29, v196, v109
	s_wait_loadcnt_dscnt 0xb05
	v_dual_mul_f32 v21, v205, v117 :: v_dual_fma_f32 v63, v192, v104, -v75
	v_dual_fmac_f32 v25, v193, v104 :: v_dual_add_f32 v11, v11, v61
	s_delay_alu instid0(VALU_DEP_3) | instskip(SKIP_1) | instid1(VALU_DEP_2)
	v_dual_add_f32 v9, v9, v23 :: v_dual_fmac_f32 v27, v195, v106
	v_dual_mul_f32 v23, v207, v119 :: v_dual_fma_f32 v59, v194, v106, -v59
	v_dual_add_f32 v11, v11, v63 :: v_dual_add_f32 v9, v9, v25
	v_dual_mul_f32 v31, v198, v111 :: v_dual_mul_f32 v33, v200, v113
	s_wait_loadcnt_dscnt 0xa04
	v_dual_mul_f32 v25, v209, v121 :: v_dual_fma_f32 v13, v196, v108, -v13
	s_delay_alu instid0(VALU_DEP_3) | instskip(NEXT) | instid1(VALU_DEP_3)
	v_dual_fmac_f32 v29, v197, v108 :: v_dual_add_f32 v11, v11, v59
	v_dual_add_f32 v9, v9, v27 :: v_dual_fmac_f32 v31, v199, v110
	v_dual_mul_f32 v27, v211, v123 :: v_dual_fma_f32 v15, v198, v110, -v15
	s_delay_alu instid0(VALU_DEP_3) | instskip(NEXT) | instid1(VALU_DEP_3)
	v_dual_add_f32 v11, v11, v13 :: v_dual_fmac_f32 v33, v201, v112
	v_dual_add_f32 v9, v9, v29 :: v_dual_fma_f32 v17, v200, v112, -v17
	v_dual_mul_f32 v35, v202, v115 :: v_dual_mul_f32 v37, v204, v117
	s_wait_loadcnt_dscnt 0x903
	s_delay_alu instid0(VALU_DEP_3) | instskip(NEXT) | instid1(VALU_DEP_2)
	v_dual_mul_f32 v13, v213, v125 :: v_dual_add_f32 v11, v11, v15
	v_dual_add_f32 v9, v9, v31 :: v_dual_fmac_f32 v35, v203, v114
	v_dual_mul_f32 v15, v215, v127 :: v_dual_fma_f32 v19, v202, v114, -v19
	s_delay_alu instid0(VALU_DEP_3) | instskip(NEXT) | instid1(VALU_DEP_3)
	v_dual_add_f32 v11, v11, v17 :: v_dual_fmac_f32 v37, v205, v116
	v_dual_add_f32 v9, v9, v33 :: v_dual_fma_f32 v21, v204, v116, -v21
	v_dual_mul_f32 v39, v206, v119 :: v_dual_mul_f32 v41, v208, v121
	s_wait_loadcnt_dscnt 0x802
	s_delay_alu instid0(VALU_DEP_3) | instskip(NEXT) | instid1(VALU_DEP_2)
	v_dual_mul_f32 v17, v217, v129 :: v_dual_add_f32 v11, v11, v19
	;; [unrolled: 9-line block ×3, first 2 shown]
	v_dual_add_f32 v9, v9, v39 :: v_dual_fmac_f32 v43, v211, v122
	v_dual_mul_f32 v23, v223, v135 :: v_dual_fma_f32 v27, v210, v122, -v27
	s_delay_alu instid0(VALU_DEP_3) | instskip(NEXT) | instid1(VALU_DEP_3)
	v_dual_add_f32 v11, v11, v25 :: v_dual_fmac_f32 v45, v213, v124
	v_dual_add_f32 v9, v9, v41 :: v_dual_fma_f32 v13, v212, v124, -v13
	v_dual_mul_f32 v47, v214, v127 :: v_dual_mul_f32 v49, v216, v129
	s_wait_loadcnt 0x6
	s_delay_alu instid0(VALU_DEP_3) | instskip(NEXT) | instid1(VALU_DEP_2)
	v_dual_mul_f32 v25, v169, v137 :: v_dual_add_f32 v11, v11, v27
	v_dual_add_f32 v9, v9, v43 :: v_dual_fmac_f32 v47, v215, v126
	v_dual_mul_f32 v27, v171, v139 :: v_dual_fma_f32 v15, v214, v126, -v15
	s_delay_alu instid0(VALU_DEP_3) | instskip(NEXT) | instid1(VALU_DEP_3)
	v_dual_add_f32 v11, v11, v13 :: v_dual_fmac_f32 v49, v217, v128
	v_dual_add_f32 v9, v9, v45 :: v_dual_fma_f32 v17, v216, v128, -v17
	v_dual_mul_f32 v51, v218, v131 :: v_dual_mul_f32 v53, v220, v133
	s_wait_loadcnt 0x5
	s_delay_alu instid0(VALU_DEP_3) | instskip(NEXT) | instid1(VALU_DEP_3)
	v_dual_mul_f32 v13, v157, v141 :: v_dual_add_f32 v11, v11, v15
	v_dual_add_f32 v9, v9, v47 :: v_dual_mov_b32 v88, v143
	s_delay_alu instid0(VALU_DEP_3) | instskip(NEXT) | instid1(VALU_DEP_3)
	v_fmac_f32_e32 v51, v219, v130
	v_dual_fma_f32 v15, v218, v130, -v19 :: v_dual_add_f32 v11, v11, v17
	s_delay_alu instid0(VALU_DEP_3) | instskip(SKIP_1) | instid1(VALU_DEP_3)
	v_dual_add_f32 v9, v9, v49 :: v_dual_mul_f32 v55, v222, v135
	v_dual_mul_f32 v57, v168, v137 :: v_dual_fmac_f32 v53, v221, v132
	v_dual_add_f32 v11, v11, v15 :: v_dual_fma_f32 v17, v220, v132, -v21
	s_wait_loadcnt 0x4
	s_delay_alu instid0(VALU_DEP_3) | instskip(SKIP_3) | instid1(VALU_DEP_4)
	v_dual_add_f32 v9, v9, v51 :: v_dual_mov_b32 v92, v147
	v_fma_f32 v15, v222, v134, -v23
	v_fmac_f32_e32 v55, v223, v134
	v_dual_add_f32 v11, v11, v17 :: v_dual_fmac_f32 v57, v169, v136
	v_dual_add_f32 v9, v9, v53 :: v_dual_mul_f32 v239, v170, v139
	v_mul_f32_e32 v241, v156, v141
	s_delay_alu instid0(VALU_DEP_3) | instskip(NEXT) | instid1(VALU_DEP_3)
	v_dual_fma_f32 v17, v168, v136, -v25 :: v_dual_add_f32 v11, v11, v15
	v_dual_fma_f32 v238, v170, v138, -v27 :: v_dual_add_f32 v9, v9, v55
	s_delay_alu instid0(VALU_DEP_4) | instskip(SKIP_1) | instid1(VALU_DEP_4)
	v_fmac_f32_e32 v239, v171, v138
	v_pk_mul_f32 v[88:89], v[230:231], v[88:89] op_sel_hi:[1,0]
	v_dual_add_f32 v96, v11, v17 :: v_dual_fmac_f32 v241, v157, v140
	s_delay_alu instid0(VALU_DEP_4)
	v_add_f32_e32 v97, v9, v57
	v_pk_mul_f32 v[90:91], v[160:161], v[144:145] op_sel:[1,1] op_sel_hi:[0,1]
	s_wait_loadcnt 0x3
	v_dual_mov_b32 v98, v151 :: v_dual_fma_f32 v240, v156, v140, -v13
	v_pk_fma_f32 v[100:101], v[158:159], v[142:143], v[88:89] op_sel_hi:[1,0,1]
	v_pk_add_f32 v[96:97], v[96:97], v[238:239]
	v_pk_fma_f32 v[88:89], v[158:159], v[142:143], v[88:89] neg_lo:[0,0,1] neg_hi:[0,0,1]
	v_pk_fma_f32 v[102:103], v[160:161], v[144:145], v[90:91] op_sel_hi:[1,0,1]
	v_pk_mul_f32 v[92:93], v[232:233], v[92:93] op_sel_hi:[1,0]
	v_mov_b32_e32 v89, v101
	v_pk_add_f32 v[96:97], v[96:97], v[240:241]
	v_pk_fma_f32 v[90:91], v[160:161], v[144:145], v[90:91] neg_lo:[0,0,1] neg_hi:[0,0,1]
	v_pk_mul_f32 v[94:95], v[164:165], v[148:149] op_sel:[1,1] op_sel_hi:[0,1]
	v_mov_b32_e32 v91, v103
	v_pk_fma_f32 v[102:103], v[162:163], v[146:147], v[92:93] op_sel_hi:[1,0,1]
	v_pk_add_f32 v[88:89], v[96:97], v[88:89]
	v_pk_fma_f32 v[92:93], v[162:163], v[146:147], v[92:93] neg_lo:[0,0,1] neg_hi:[0,0,1]
	v_pk_fma_f32 v[96:97], v[164:165], v[148:149], v[94:95] op_sel_hi:[1,0,1]
	v_pk_mul_f32 v[98:99], v[234:235], v[98:99] op_sel_hi:[1,0]
	v_mov_b32_e32 v93, v103
	v_pk_add_f32 v[88:89], v[88:89], v[90:91]
	v_pk_fma_f32 v[94:95], v[164:165], v[148:149], v[94:95] neg_lo:[0,0,1] neg_hi:[0,0,1]
	s_wait_loadcnt 0x2
	v_pk_mul_f32 v[100:101], v[172:173], v[152:153] op_sel:[1,1] op_sel_hi:[0,1]
	v_dual_mov_b32 v90, v155 :: v_dual_mov_b32 v95, v97
	v_pk_fma_f32 v[96:97], v[166:167], v[150:151], v[98:99] op_sel_hi:[1,0,1]
	v_pk_add_f32 v[88:89], v[88:89], v[92:93]
	v_pk_fma_f32 v[98:99], v[166:167], v[150:151], v[98:99] neg_lo:[0,0,1] neg_hi:[0,0,1]
	v_pk_fma_f32 v[92:93], v[172:173], v[152:153], v[100:101] op_sel_hi:[1,0,1]
	v_pk_mul_f32 v[90:91], v[236:237], v[90:91] op_sel_hi:[1,0]
	v_mov_b32_e32 v99, v97
	v_pk_add_f32 v[88:89], v[88:89], v[94:95]
	v_pk_fma_f32 v[94:95], v[172:173], v[152:153], v[100:101] neg_lo:[0,0,1] neg_hi:[0,0,1]
	v_mov_b32_e32 v95, v93
	v_pk_fma_f32 v[92:93], v[174:175], v[154:155], v[90:91] op_sel_hi:[1,0,1]
	s_wait_loadcnt_dscnt 0x100
	v_pk_mul_f32 v[96:97], v[228:229], v[224:225] op_sel:[1,1] op_sel_hi:[0,1]
	v_pk_add_f32 v[88:89], v[88:89], v[98:99]
	v_pk_fma_f32 v[90:91], v[174:175], v[154:155], v[90:91] neg_lo:[0,0,1] neg_hi:[0,0,1]
	v_mov_b32_e32 v91, v93
	s_delay_alu instid0(VALU_DEP_4) | instskip(NEXT) | instid1(VALU_DEP_4)
	v_pk_fma_f32 v[92:93], v[228:229], v[224:225], v[96:97] op_sel_hi:[1,0,1]
	v_pk_add_f32 v[88:89], v[88:89], v[94:95]
	v_pk_fma_f32 v[94:95], v[228:229], v[224:225], v[96:97] neg_lo:[0,0,1] neg_hi:[0,0,1]
	s_delay_alu instid0(VALU_DEP_3) | instskip(NEXT) | instid1(VALU_DEP_3)
	v_mov_b32_e32 v95, v93
	v_pk_add_f32 v[88:89], v[88:89], v[90:91]
	s_delay_alu instid0(VALU_DEP_1) | instskip(SKIP_1) | instid1(VALU_DEP_1)
	v_pk_add_f32 v[88:89], v[88:89], v[94:95]
	s_wait_loadcnt 0x0
	v_pk_add_f32 v[88:89], v[226:227], v[88:89] neg_lo:[0,1] neg_hi:[0,1]
	scratch_store_b64 off, v[88:89], off offset:56
	s_wait_xcnt 0x0
	v_cmpx_lt_u32_e32 6, v0
	s_cbranch_execz .LBB106_259
; %bb.258:
	scratch_load_b64 v[88:89], off, off offset:48
	v_mov_b64_e32 v[90:91], 0
	scratch_store_b64 off, v[90:91], off offset:48
	s_wait_loadcnt 0x0
	ds_store_b64 v1, v[88:89]
.LBB106_259:
	s_wait_xcnt 0x0
	s_or_b32 exec_lo, exec_lo, s0
	s_wait_storecnt_dscnt 0x0
	s_barrier_signal -1
	s_barrier_wait -1
	s_clause 0x12
	scratch_load_b128 v[88:91], off, off offset:56
	scratch_load_b128 v[92:95], off, off offset:72
	;; [unrolled: 1-line block ×18, first 2 shown]
	scratch_load_b64 v[232:233], off, off offset:48
	ds_load_2addr_b64 v[160:163], v7 offset0:79 offset1:80
	ds_load_2addr_b64 v[164:167], v7 offset0:81 offset1:82
	;; [unrolled: 1-line block ×18, first 2 shown]
	s_mov_b32 s0, exec_lo
	s_wait_dscnt 0x11
	v_dual_mov_b32 v234, v163 :: v_dual_mov_b32 v235, v162
	s_wait_dscnt 0x10
	v_dual_mov_b32 v236, v167 :: v_dual_mov_b32 v237, v166
	;; [unrolled: 2-line block ×4, first 2 shown]
	s_wait_loadcnt_dscnt 0x120d
	v_dual_mul_f32 v7, v176, v89 :: v_dual_mul_f32 v9, v178, v91
	v_dual_mul_f32 v59, v177, v89 :: v_dual_mul_f32 v61, v179, v91
	s_wait_loadcnt_dscnt 0x110c
	v_dual_mul_f32 v11, v180, v93 :: v_dual_mul_f32 v13, v182, v95
	s_delay_alu instid0(VALU_DEP_3) | instskip(SKIP_3) | instid1(VALU_DEP_3)
	v_dual_fmac_f32 v7, v177, v88 :: v_dual_fmac_f32 v9, v179, v90
	s_wait_loadcnt_dscnt 0xf0a
	v_dual_fma_f32 v59, v176, v88, -v59 :: v_dual_mul_f32 v71, v189, v101
	v_dual_mul_f32 v63, v181, v93 :: v_dual_mul_f32 v65, v183, v95
	v_dual_fma_f32 v61, v178, v90, -v61 :: v_dual_add_f32 v7, 0, v7
	s_delay_alu instid0(VALU_DEP_3) | instskip(SKIP_1) | instid1(VALU_DEP_4)
	v_dual_add_f32 v59, 0, v59 :: v_dual_fmac_f32 v11, v181, v92
	v_dual_mul_f32 v15, v184, v97 :: v_dual_mul_f32 v17, v186, v99
	v_dual_mul_f32 v73, v191, v103 :: v_dual_fma_f32 v63, v180, v92, -v63
	s_delay_alu instid0(VALU_DEP_4) | instskip(NEXT) | instid1(VALU_DEP_3)
	v_add_f32_e32 v7, v7, v9
	v_dual_add_f32 v9, v59, v61 :: v_dual_fmac_f32 v15, v185, v96
	v_dual_mul_f32 v67, v185, v97 :: v_dual_mul_f32 v69, v187, v99
	s_wait_loadcnt_dscnt 0xe09
	v_dual_mul_f32 v59, v193, v105 :: v_dual_fmac_f32 v13, v183, v94
	v_dual_fma_f32 v61, v182, v94, -v65 :: v_dual_add_f32 v7, v7, v11
	s_delay_alu instid0(VALU_DEP_3) | instskip(SKIP_1) | instid1(VALU_DEP_3)
	v_dual_add_f32 v9, v9, v63 :: v_dual_fma_f32 v63, v184, v96, -v67
	v_dual_mul_f32 v19, v188, v101 :: v_dual_mul_f32 v21, v190, v103
	v_add_f32_e32 v7, v7, v13
	s_delay_alu instid0(VALU_DEP_3) | instskip(SKIP_2) | instid1(VALU_DEP_3)
	v_dual_mul_f32 v11, v195, v107 :: v_dual_add_f32 v9, v9, v61
	s_wait_loadcnt_dscnt 0xd08
	v_dual_mul_f32 v13, v197, v109 :: v_dual_fmac_f32 v17, v187, v98
	v_dual_fma_f32 v61, v186, v98, -v69 :: v_dual_add_f32 v7, v7, v15
	s_delay_alu instid0(VALU_DEP_3) | instskip(SKIP_1) | instid1(VALU_DEP_3)
	v_dual_add_f32 v9, v9, v63 :: v_dual_fma_f32 v63, v188, v100, -v71
	v_dual_mul_f32 v15, v199, v111 :: v_dual_fmac_f32 v19, v189, v100
	v_add_f32_e32 v7, v7, v17
	s_delay_alu instid0(VALU_DEP_3)
	v_dual_add_f32 v9, v9, v61 :: v_dual_fmac_f32 v21, v191, v102
	v_dual_mul_f32 v23, v192, v105 :: v_dual_mul_f32 v25, v194, v107
	s_wait_loadcnt_dscnt 0xc07
	v_dual_fma_f32 v61, v190, v102, -v73 :: v_dual_mul_f32 v17, v201, v113
	v_add_f32_e32 v7, v7, v19
	v_dual_add_f32 v9, v9, v63 :: v_dual_fma_f32 v59, v192, v104, -v59
	v_dual_mul_f32 v19, v203, v115 :: v_dual_fmac_f32 v23, v193, v104
	s_delay_alu instid0(VALU_DEP_3) | instskip(NEXT) | instid1(VALU_DEP_3)
	v_dual_add_f32 v7, v7, v21 :: v_dual_fma_f32 v11, v194, v106, -v11
	v_dual_add_f32 v9, v9, v61 :: v_dual_fmac_f32 v25, v195, v106
	v_dual_mul_f32 v27, v196, v109 :: v_dual_mul_f32 v29, v198, v111
	s_wait_loadcnt_dscnt 0xb06
	s_delay_alu instid0(VALU_DEP_3) | instskip(NEXT) | instid1(VALU_DEP_3)
	v_dual_mul_f32 v21, v205, v117 :: v_dual_add_f32 v7, v7, v23
	v_dual_add_f32 v9, v9, v59 :: v_dual_fma_f32 v13, v196, v108, -v13
	s_delay_alu instid0(VALU_DEP_3) | instskip(NEXT) | instid1(VALU_DEP_2)
	v_dual_mul_f32 v23, v207, v119 :: v_dual_fmac_f32 v27, v197, v108
	v_dual_add_f32 v7, v7, v25 :: v_dual_add_f32 v9, v9, v11
	v_dual_mul_f32 v31, v200, v113 :: v_dual_mul_f32 v33, v202, v115
	s_wait_loadcnt_dscnt 0xa05
	v_dual_mul_f32 v11, v209, v121 :: v_dual_fmac_f32 v29, v199, v110
	s_delay_alu instid0(VALU_DEP_3) | instskip(SKIP_2) | instid1(VALU_DEP_2)
	v_dual_fma_f32 v15, v198, v110, -v15 :: v_dual_add_f32 v7, v7, v27
	v_dual_add_f32 v9, v9, v13 :: v_dual_mul_f32 v13, v211, v123
	v_dual_fmac_f32 v31, v201, v112 :: v_dual_fma_f32 v17, v200, v112, -v17
	v_dual_add_f32 v7, v7, v29 :: v_dual_add_f32 v9, v9, v15
	v_dual_mul_f32 v35, v204, v117 :: v_dual_mul_f32 v37, v206, v119
	s_wait_loadcnt_dscnt 0x904
	v_dual_mul_f32 v15, v213, v125 :: v_dual_fmac_f32 v33, v203, v114
	s_delay_alu instid0(VALU_DEP_3) | instskip(SKIP_2) | instid1(VALU_DEP_2)
	v_dual_fma_f32 v19, v202, v114, -v19 :: v_dual_add_f32 v7, v7, v31
	v_dual_add_f32 v9, v9, v17 :: v_dual_mul_f32 v17, v215, v127
	v_dual_fmac_f32 v35, v205, v116 :: v_dual_fma_f32 v21, v204, v116, -v21
	v_dual_add_f32 v7, v7, v33 :: v_dual_add_f32 v9, v9, v19
	v_dual_mul_f32 v39, v208, v121 :: v_dual_mul_f32 v41, v210, v123
	s_wait_loadcnt_dscnt 0x803
	v_dual_mul_f32 v19, v217, v129 :: v_dual_fmac_f32 v37, v207, v118
	s_delay_alu instid0(VALU_DEP_3) | instskip(SKIP_2) | instid1(VALU_DEP_3)
	v_dual_fma_f32 v23, v206, v118, -v23 :: v_dual_add_f32 v7, v7, v35
	v_dual_add_f32 v9, v9, v21 :: v_dual_mul_f32 v21, v219, v131
	v_fmac_f32_e32 v39, v209, v120
	v_dual_fma_f32 v11, v208, v120, -v11 :: v_dual_add_f32 v7, v7, v37
	s_delay_alu instid0(VALU_DEP_3)
	v_dual_add_f32 v9, v9, v23 :: v_dual_mul_f32 v43, v212, v125
	s_wait_loadcnt_dscnt 0x702
	v_dual_mul_f32 v45, v214, v127 :: v_dual_mul_f32 v23, v221, v133
	v_fmac_f32_e32 v41, v211, v122
	v_dual_fma_f32 v13, v210, v122, -v13 :: v_dual_add_f32 v7, v7, v39
	v_dual_add_f32 v9, v9, v11 :: v_dual_fma_f32 v15, v212, v124, -v15
	v_dual_mul_f32 v11, v223, v135 :: v_dual_fmac_f32 v43, v213, v124
	s_delay_alu instid0(VALU_DEP_3) | instskip(NEXT) | instid1(VALU_DEP_3)
	v_dual_add_f32 v7, v7, v41 :: v_dual_fma_f32 v17, v214, v126, -v17
	v_dual_add_f32 v9, v9, v13 :: v_dual_fmac_f32 v45, v215, v126
	v_dual_mul_f32 v47, v216, v129 :: v_dual_mul_f32 v49, v218, v131
	s_wait_loadcnt_dscnt 0x601
	s_delay_alu instid0(VALU_DEP_3) | instskip(NEXT) | instid1(VALU_DEP_3)
	v_dual_mul_f32 v13, v225, v137 :: v_dual_add_f32 v7, v7, v43
	v_dual_add_f32 v9, v9, v15 :: v_dual_fma_f32 v19, v216, v128, -v19
	s_delay_alu instid0(VALU_DEP_3) | instskip(NEXT) | instid1(VALU_DEP_3)
	v_dual_mul_f32 v15, v227, v139 :: v_dual_fmac_f32 v47, v217, v128
	v_dual_add_f32 v7, v7, v45 :: v_dual_fma_f32 v21, v218, v130, -v21
	s_delay_alu instid0(VALU_DEP_3) | instskip(SKIP_2) | instid1(VALU_DEP_3)
	v_dual_add_f32 v9, v9, v17 :: v_dual_fmac_f32 v49, v219, v130
	v_dual_mul_f32 v51, v220, v133 :: v_dual_mul_f32 v53, v222, v135
	s_wait_loadcnt_dscnt 0x500
	v_dual_mul_f32 v17, v229, v141 :: v_dual_add_f32 v7, v7, v47
	s_delay_alu instid0(VALU_DEP_3) | instskip(NEXT) | instid1(VALU_DEP_3)
	v_dual_add_f32 v9, v9, v19 :: v_dual_fma_f32 v23, v220, v132, -v23
	v_dual_mul_f32 v19, v231, v143 :: v_dual_fmac_f32 v51, v221, v132
	s_delay_alu instid0(VALU_DEP_3) | instskip(NEXT) | instid1(VALU_DEP_3)
	v_dual_add_f32 v7, v7, v49 :: v_dual_fma_f32 v11, v222, v134, -v11
	v_dual_add_f32 v9, v9, v21 :: v_dual_fmac_f32 v53, v223, v134
	v_dual_mul_f32 v55, v224, v137 :: v_dual_mul_f32 v57, v226, v139
	s_delay_alu instid0(VALU_DEP_3) | instskip(SKIP_1) | instid1(VALU_DEP_3)
	v_add_f32_e32 v7, v7, v51
	s_wait_loadcnt 0x4
	v_dual_add_f32 v9, v9, v23 :: v_dual_mov_b32 v90, v147
	s_delay_alu instid0(VALU_DEP_3) | instskip(NEXT) | instid1(VALU_DEP_2)
	v_dual_fmac_f32 v55, v225, v136 :: v_dual_fma_f32 v13, v224, v136, -v13
	v_dual_add_f32 v7, v7, v53 :: v_dual_add_f32 v9, v9, v11
	v_dual_fmac_f32 v57, v227, v138 :: v_dual_mul_f32 v243, v228, v141
	v_mul_f32_e32 v245, v230, v143
	s_delay_alu instid0(VALU_DEP_3) | instskip(SKIP_4) | instid1(VALU_DEP_3)
	v_dual_fma_f32 v11, v226, v138, -v15 :: v_dual_add_f32 v7, v7, v55
	s_wait_loadcnt 0x3
	v_dual_add_f32 v9, v9, v13 :: v_dual_mov_b32 v94, v151
	v_pk_mul_f32 v[88:89], v[160:161], v[144:145] op_sel:[1,1] op_sel_hi:[0,1]
	v_dual_fmac_f32 v243, v229, v140 :: v_dual_fma_f32 v242, v228, v140, -v17
	v_dual_add_f32 v97, v7, v57 :: v_dual_add_f32 v96, v9, v11
	v_dual_fmac_f32 v245, v231, v142 :: v_dual_fma_f32 v244, v230, v142, -v19
	s_delay_alu instid0(VALU_DEP_4) | instskip(SKIP_1) | instid1(VALU_DEP_4)
	v_pk_fma_f32 v[98:99], v[160:161], v[144:145], v[88:89] op_sel_hi:[1,0,1]
	v_pk_mul_f32 v[90:91], v[234:235], v[90:91] op_sel_hi:[1,0]
	v_pk_add_f32 v[96:97], v[96:97], v[242:243]
	v_pk_fma_f32 v[88:89], v[160:161], v[144:145], v[88:89] neg_lo:[0,0,1] neg_hi:[0,0,1]
	v_pk_mul_f32 v[92:93], v[164:165], v[148:149] op_sel:[1,1] op_sel_hi:[0,1]
	v_mov_b32_e32 v89, v99
	v_pk_fma_f32 v[98:99], v[162:163], v[146:147], v[90:91] op_sel_hi:[1,0,1]
	v_pk_add_f32 v[96:97], v[96:97], v[244:245]
	v_pk_fma_f32 v[90:91], v[162:163], v[146:147], v[90:91] neg_lo:[0,0,1] neg_hi:[0,0,1]
	v_pk_fma_f32 v[102:103], v[164:165], v[148:149], v[92:93] op_sel_hi:[1,0,1]
	v_pk_mul_f32 v[94:95], v[236:237], v[94:95] op_sel_hi:[1,0]
	v_mov_b32_e32 v91, v99
	v_pk_add_f32 v[88:89], v[96:97], v[88:89]
	s_wait_loadcnt 0x2
	v_pk_mul_f32 v[100:101], v[168:169], v[152:153] op_sel:[1,1] op_sel_hi:[0,1]
	v_mov_b32_e32 v96, v155
	v_pk_fma_f32 v[92:93], v[164:165], v[148:149], v[92:93] neg_lo:[0,0,1] neg_hi:[0,0,1]
	v_mov_b32_e32 v93, v103
	v_pk_fma_f32 v[98:99], v[166:167], v[150:151], v[94:95] op_sel_hi:[1,0,1]
	v_pk_add_f32 v[88:89], v[88:89], v[90:91]
	v_pk_fma_f32 v[90:91], v[168:169], v[152:153], v[100:101] op_sel_hi:[1,0,1]
	v_pk_mul_f32 v[96:97], v[238:239], v[96:97] op_sel_hi:[1,0]
	v_pk_fma_f32 v[94:95], v[166:167], v[150:151], v[94:95] neg_lo:[0,0,1] neg_hi:[0,0,1]
	v_mov_b32_e32 v95, v99
	v_pk_add_f32 v[88:89], v[88:89], v[92:93]
	v_pk_fma_f32 v[98:99], v[168:169], v[152:153], v[100:101] neg_lo:[0,0,1] neg_hi:[0,0,1]
	v_mov_b32_e32 v99, v91
	v_pk_fma_f32 v[90:91], v[170:171], v[154:155], v[96:97] op_sel_hi:[1,0,1]
	s_wait_loadcnt 0x1
	v_pk_mul_f32 v[92:93], v[172:173], v[156:157] op_sel:[1,1] op_sel_hi:[0,1]
	v_pk_add_f32 v[88:89], v[88:89], v[94:95]
	v_mov_b32_e32 v90, v159
	v_pk_fma_f32 v[96:97], v[170:171], v[154:155], v[96:97] neg_lo:[0,0,1] neg_hi:[0,0,1]
	v_mov_b32_e32 v97, v91
	v_pk_fma_f32 v[94:95], v[172:173], v[156:157], v[92:93] op_sel_hi:[1,0,1]
	v_pk_add_f32 v[88:89], v[88:89], v[98:99]
	v_pk_mul_f32 v[90:91], v[240:241], v[90:91] op_sel_hi:[1,0]
	v_pk_fma_f32 v[92:93], v[172:173], v[156:157], v[92:93] neg_lo:[0,0,1] neg_hi:[0,0,1]
	s_delay_alu instid0(VALU_DEP_4) | instskip(NEXT) | instid1(VALU_DEP_4)
	v_mov_b32_e32 v93, v95
	v_pk_add_f32 v[88:89], v[88:89], v[96:97]
	s_delay_alu instid0(VALU_DEP_4) | instskip(SKIP_1) | instid1(VALU_DEP_2)
	v_pk_fma_f32 v[94:95], v[174:175], v[158:159], v[90:91] op_sel_hi:[1,0,1]
	v_pk_fma_f32 v[90:91], v[174:175], v[158:159], v[90:91] neg_lo:[0,0,1] neg_hi:[0,0,1]
	v_mov_b32_e32 v91, v95
	s_delay_alu instid0(VALU_DEP_4) | instskip(NEXT) | instid1(VALU_DEP_1)
	v_pk_add_f32 v[88:89], v[88:89], v[92:93]
	v_pk_add_f32 v[88:89], v[88:89], v[90:91]
	s_wait_loadcnt 0x0
	s_delay_alu instid0(VALU_DEP_1)
	v_pk_add_f32 v[88:89], v[232:233], v[88:89] neg_lo:[0,1] neg_hi:[0,1]
	scratch_store_b64 off, v[88:89], off offset:48
	s_wait_xcnt 0x0
	v_cmpx_lt_u32_e32 5, v0
	s_cbranch_execz .LBB106_261
; %bb.260:
	scratch_load_b64 v[88:89], off, off offset:40
	v_mov_b64_e32 v[90:91], 0
	scratch_store_b64 off, v[90:91], off offset:40
	s_wait_loadcnt 0x0
	ds_store_b64 v1, v[88:89]
.LBB106_261:
	s_wait_xcnt 0x0
	s_or_b32 exec_lo, exec_lo, s0
	s_wait_storecnt_dscnt 0x0
	s_barrier_signal -1
	s_barrier_wait -1
	s_clause 0x13
	scratch_load_b128 v[88:91], off, off offset:48
	scratch_load_b128 v[92:95], off, off offset:64
	;; [unrolled: 1-line block ×18, first 2 shown]
	scratch_load_b64 v[232:233], off, off offset:336
	scratch_load_b64 v[234:235], off, off offset:40
	v_mov_b32_e32 v7, 0
	ds_load_b128 v[160:163], v7 offset:624
	ds_load_b128 v[164:167], v7 offset:640
	;; [unrolled: 1-line block ×18, first 2 shown]
	ds_load_b64 v[236:237], v7 offset:688
	s_mov_b32 s0, exec_lo
	s_wait_dscnt 0x12
	v_dual_mov_b32 v238, v163 :: v_dual_mov_b32 v239, v162
	s_wait_dscnt 0x11
	v_dual_mov_b32 v240, v167 :: v_dual_mov_b32 v241, v166
	;; [unrolled: 2-line block ×3, first 2 shown]
	v_dual_mov_b32 v243, v170 :: v_dual_mov_b32 v244, v183
	s_wait_loadcnt 0x13
	v_dual_mul_f32 v9, v172, v89 :: v_dual_mul_f32 v63, v173, v89
	v_dual_mul_f32 v65, v175, v91 :: v_dual_mul_f32 v11, v174, v91
	s_wait_loadcnt 0x12
	v_mul_f32_e32 v13, v176, v93
	s_wait_loadcnt_dscnt 0x100b
	v_dual_mul_f32 v75, v189, v101 :: v_dual_fma_f32 v63, v172, v88, -v63
	v_dual_fmac_f32 v9, v173, v88 :: v_dual_mul_f32 v77, v191, v103
	v_dual_mul_f32 v67, v177, v93 :: v_dual_mul_f32 v69, v179, v95
	v_dual_fmac_f32 v11, v175, v90 :: v_dual_fma_f32 v65, v174, v90, -v65
	s_delay_alu instid0(VALU_DEP_3) | instskip(SKIP_4) | instid1(VALU_DEP_3)
	v_dual_add_f32 v9, 0, v9 :: v_dual_add_f32 v63, 0, v63
	v_dual_mul_f32 v15, v178, v95 :: v_dual_mul_f32 v17, v184, v97
	s_wait_loadcnt_dscnt 0xf0a
	v_dual_mul_f32 v79, v193, v105 :: v_dual_fma_f32 v67, v176, v92, -v67
	v_fmac_f32_e32 v13, v177, v92
	v_dual_add_f32 v9, v9, v11 :: v_dual_fmac_f32 v15, v179, v94
	v_add_f32_e32 v11, v63, v65
	v_dual_mul_f32 v71, v185, v97 :: v_dual_mul_f32 v73, v187, v99
	v_dual_mul_f32 v63, v195, v107 :: v_dual_fma_f32 v65, v178, v94, -v69
	s_delay_alu instid0(VALU_DEP_3) | instskip(SKIP_3) | instid1(VALU_DEP_3)
	v_dual_add_f32 v9, v9, v13 :: v_dual_add_f32 v11, v11, v67
	v_dual_mul_f32 v19, v186, v99 :: v_dual_mul_f32 v21, v188, v101
	s_wait_loadcnt_dscnt 0xe09
	v_dual_mul_f32 v13, v197, v109 :: v_dual_fma_f32 v67, v184, v96, -v71
	v_dual_fmac_f32 v17, v185, v96 :: v_dual_add_f32 v11, v11, v65
	s_delay_alu instid0(VALU_DEP_3) | instskip(SKIP_1) | instid1(VALU_DEP_2)
	v_dual_add_f32 v9, v9, v15 :: v_dual_fmac_f32 v19, v187, v98
	v_dual_mul_f32 v15, v199, v111 :: v_dual_fma_f32 v65, v186, v98, -v73
	v_dual_add_f32 v11, v11, v67 :: v_dual_add_f32 v9, v9, v17
	v_dual_mul_f32 v23, v190, v103 :: v_dual_mul_f32 v25, v192, v105
	s_wait_loadcnt_dscnt 0xd08
	v_dual_mul_f32 v17, v201, v113 :: v_dual_fma_f32 v67, v188, v100, -v75
	s_delay_alu instid0(VALU_DEP_3) | instskip(NEXT) | instid1(VALU_DEP_3)
	v_dual_fmac_f32 v21, v189, v100 :: v_dual_add_f32 v11, v11, v65
	v_dual_add_f32 v9, v9, v19 :: v_dual_fmac_f32 v23, v191, v102
	v_dual_mul_f32 v19, v203, v115 :: v_dual_fma_f32 v65, v190, v102, -v77
	s_delay_alu instid0(VALU_DEP_2) | instskip(SKIP_3) | instid1(VALU_DEP_3)
	v_dual_add_f32 v11, v11, v67 :: v_dual_add_f32 v9, v9, v21
	v_dual_mul_f32 v27, v194, v107 :: v_dual_mul_f32 v29, v196, v109
	s_wait_loadcnt_dscnt 0xc07
	v_dual_mul_f32 v21, v205, v117 :: v_dual_fma_f32 v67, v192, v104, -v79
	v_dual_fmac_f32 v25, v193, v104 :: v_dual_add_f32 v11, v11, v65
	s_delay_alu instid0(VALU_DEP_3) | instskip(SKIP_1) | instid1(VALU_DEP_2)
	v_dual_add_f32 v9, v9, v23 :: v_dual_fmac_f32 v27, v195, v106
	v_dual_mul_f32 v23, v207, v119 :: v_dual_fma_f32 v63, v194, v106, -v63
	v_dual_add_f32 v11, v11, v67 :: v_dual_add_f32 v9, v9, v25
	v_dual_mul_f32 v31, v198, v111 :: v_dual_mul_f32 v33, v200, v113
	s_wait_loadcnt_dscnt 0xb06
	v_dual_mul_f32 v25, v209, v121 :: v_dual_fma_f32 v13, v196, v108, -v13
	s_delay_alu instid0(VALU_DEP_3) | instskip(NEXT) | instid1(VALU_DEP_3)
	v_dual_fmac_f32 v29, v197, v108 :: v_dual_add_f32 v11, v11, v63
	v_dual_add_f32 v9, v9, v27 :: v_dual_fmac_f32 v31, v199, v110
	v_dual_mul_f32 v27, v211, v123 :: v_dual_fma_f32 v15, v198, v110, -v15
	s_delay_alu instid0(VALU_DEP_3) | instskip(NEXT) | instid1(VALU_DEP_3)
	v_dual_add_f32 v11, v11, v13 :: v_dual_fmac_f32 v33, v201, v112
	v_dual_add_f32 v9, v9, v29 :: v_dual_fma_f32 v17, v200, v112, -v17
	v_dual_mul_f32 v35, v202, v115 :: v_dual_mul_f32 v37, v204, v117
	s_wait_loadcnt_dscnt 0xa05
	s_delay_alu instid0(VALU_DEP_3) | instskip(NEXT) | instid1(VALU_DEP_2)
	v_dual_mul_f32 v13, v213, v125 :: v_dual_add_f32 v11, v11, v15
	v_dual_add_f32 v9, v9, v31 :: v_dual_fmac_f32 v35, v203, v114
	v_dual_mul_f32 v15, v215, v127 :: v_dual_fma_f32 v19, v202, v114, -v19
	s_delay_alu instid0(VALU_DEP_3) | instskip(NEXT) | instid1(VALU_DEP_3)
	v_dual_add_f32 v11, v11, v17 :: v_dual_fmac_f32 v37, v205, v116
	v_dual_add_f32 v9, v9, v33 :: v_dual_fma_f32 v21, v204, v116, -v21
	v_dual_mul_f32 v39, v206, v119 :: v_dual_mul_f32 v41, v208, v121
	s_wait_loadcnt_dscnt 0x904
	s_delay_alu instid0(VALU_DEP_3) | instskip(NEXT) | instid1(VALU_DEP_2)
	v_dual_mul_f32 v17, v217, v129 :: v_dual_add_f32 v11, v11, v19
	;; [unrolled: 9-line block ×5, first 2 shown]
	v_dual_add_f32 v9, v9, v47 :: v_dual_fmac_f32 v51, v219, v130
	v_dual_mul_f32 v15, v231, v143 :: v_dual_fma_f32 v19, v218, v130, -v19
	s_delay_alu instid0(VALU_DEP_3) | instskip(NEXT) | instid1(VALU_DEP_3)
	v_dual_add_f32 v11, v11, v17 :: v_dual_fmac_f32 v53, v221, v132
	v_dual_add_f32 v9, v9, v49 :: v_dual_fma_f32 v21, v220, v132, -v21
	v_dual_mul_f32 v55, v222, v135 :: v_dual_mul_f32 v57, v224, v137
	s_wait_loadcnt 0x5
	s_delay_alu instid0(VALU_DEP_3) | instskip(NEXT) | instid1(VALU_DEP_3)
	v_dual_mul_f32 v17, v161, v145 :: v_dual_add_f32 v11, v11, v19
	v_dual_add_f32 v9, v9, v51 :: v_dual_mov_b32 v88, v147
	s_delay_alu instid0(VALU_DEP_3) | instskip(NEXT) | instid1(VALU_DEP_3)
	v_fmac_f32_e32 v55, v223, v134
	v_dual_fma_f32 v19, v222, v134, -v23 :: v_dual_add_f32 v11, v11, v21
	s_delay_alu instid0(VALU_DEP_3) | instskip(SKIP_1) | instid1(VALU_DEP_3)
	v_dual_add_f32 v9, v9, v53 :: v_dual_mul_f32 v59, v226, v139
	v_dual_mul_f32 v61, v228, v141 :: v_dual_fmac_f32 v57, v225, v136
	v_dual_add_f32 v11, v11, v19 :: v_dual_fma_f32 v21, v224, v136, -v25
	s_wait_loadcnt 0x4
	s_delay_alu instid0(VALU_DEP_3) | instskip(SKIP_3) | instid1(VALU_DEP_4)
	v_dual_add_f32 v9, v9, v55 :: v_dual_mov_b32 v92, v151
	v_fma_f32 v19, v226, v138, -v27
	v_fmac_f32_e32 v59, v227, v138
	v_dual_add_f32 v11, v11, v21 :: v_dual_fmac_f32 v61, v229, v140
	v_dual_add_f32 v9, v9, v57 :: v_dual_mul_f32 v247, v230, v143
	v_mul_f32_e32 v249, v160, v145
	s_delay_alu instid0(VALU_DEP_3) | instskip(NEXT) | instid1(VALU_DEP_3)
	v_dual_fma_f32 v13, v228, v140, -v13 :: v_dual_add_f32 v11, v11, v19
	v_dual_fma_f32 v246, v230, v142, -v15 :: v_dual_add_f32 v9, v9, v59
	s_delay_alu instid0(VALU_DEP_4) | instskip(SKIP_1) | instid1(VALU_DEP_4)
	v_fmac_f32_e32 v247, v231, v142
	v_pk_mul_f32 v[88:89], v[238:239], v[88:89] op_sel_hi:[1,0]
	v_dual_add_f32 v96, v11, v13 :: v_dual_fmac_f32 v249, v161, v144
	s_delay_alu instid0(VALU_DEP_4)
	v_add_f32_e32 v97, v9, v61
	v_pk_mul_f32 v[90:91], v[164:165], v[148:149] op_sel:[1,1] op_sel_hi:[0,1]
	s_wait_loadcnt 0x3
	v_dual_mov_b32 v98, v155 :: v_dual_fma_f32 v248, v160, v144, -v17
	v_pk_fma_f32 v[100:101], v[162:163], v[146:147], v[88:89] op_sel_hi:[1,0,1]
	v_pk_add_f32 v[96:97], v[96:97], v[246:247]
	v_pk_fma_f32 v[88:89], v[162:163], v[146:147], v[88:89] neg_lo:[0,0,1] neg_hi:[0,0,1]
	v_pk_fma_f32 v[102:103], v[164:165], v[148:149], v[90:91] op_sel_hi:[1,0,1]
	v_pk_mul_f32 v[92:93], v[240:241], v[92:93] op_sel_hi:[1,0]
	v_mov_b32_e32 v89, v101
	v_pk_add_f32 v[96:97], v[96:97], v[248:249]
	v_pk_fma_f32 v[90:91], v[164:165], v[148:149], v[90:91] neg_lo:[0,0,1] neg_hi:[0,0,1]
	v_pk_mul_f32 v[94:95], v[168:169], v[152:153] op_sel:[1,1] op_sel_hi:[0,1]
	v_mov_b32_e32 v91, v103
	v_pk_fma_f32 v[102:103], v[166:167], v[150:151], v[92:93] op_sel_hi:[1,0,1]
	v_pk_add_f32 v[88:89], v[96:97], v[88:89]
	v_pk_fma_f32 v[92:93], v[166:167], v[150:151], v[92:93] neg_lo:[0,0,1] neg_hi:[0,0,1]
	v_pk_fma_f32 v[96:97], v[168:169], v[152:153], v[94:95] op_sel_hi:[1,0,1]
	v_pk_mul_f32 v[98:99], v[242:243], v[98:99] op_sel_hi:[1,0]
	v_mov_b32_e32 v93, v103
	v_pk_add_f32 v[88:89], v[88:89], v[90:91]
	v_pk_fma_f32 v[94:95], v[168:169], v[152:153], v[94:95] neg_lo:[0,0,1] neg_hi:[0,0,1]
	s_wait_loadcnt 0x2
	v_pk_mul_f32 v[100:101], v[180:181], v[156:157] op_sel:[1,1] op_sel_hi:[0,1]
	v_dual_mov_b32 v90, v159 :: v_dual_mov_b32 v95, v97
	v_pk_fma_f32 v[96:97], v[170:171], v[154:155], v[98:99] op_sel_hi:[1,0,1]
	v_pk_add_f32 v[88:89], v[88:89], v[92:93]
	v_pk_fma_f32 v[98:99], v[170:171], v[154:155], v[98:99] neg_lo:[0,0,1] neg_hi:[0,0,1]
	v_pk_fma_f32 v[92:93], v[180:181], v[156:157], v[100:101] op_sel_hi:[1,0,1]
	v_pk_mul_f32 v[90:91], v[244:245], v[90:91] op_sel_hi:[1,0]
	v_mov_b32_e32 v99, v97
	v_pk_add_f32 v[88:89], v[88:89], v[94:95]
	v_pk_fma_f32 v[94:95], v[180:181], v[156:157], v[100:101] neg_lo:[0,0,1] neg_hi:[0,0,1]
	v_mov_b32_e32 v95, v93
	v_pk_fma_f32 v[92:93], v[182:183], v[158:159], v[90:91] op_sel_hi:[1,0,1]
	s_wait_loadcnt_dscnt 0x100
	v_pk_mul_f32 v[96:97], v[236:237], v[232:233] op_sel:[1,1] op_sel_hi:[0,1]
	v_pk_add_f32 v[88:89], v[88:89], v[98:99]
	v_pk_fma_f32 v[90:91], v[182:183], v[158:159], v[90:91] neg_lo:[0,0,1] neg_hi:[0,0,1]
	v_mov_b32_e32 v91, v93
	s_delay_alu instid0(VALU_DEP_4) | instskip(NEXT) | instid1(VALU_DEP_4)
	v_pk_fma_f32 v[92:93], v[236:237], v[232:233], v[96:97] op_sel_hi:[1,0,1]
	v_pk_add_f32 v[88:89], v[88:89], v[94:95]
	v_pk_fma_f32 v[94:95], v[236:237], v[232:233], v[96:97] neg_lo:[0,0,1] neg_hi:[0,0,1]
	s_delay_alu instid0(VALU_DEP_3) | instskip(NEXT) | instid1(VALU_DEP_3)
	v_mov_b32_e32 v95, v93
	v_pk_add_f32 v[88:89], v[88:89], v[90:91]
	s_delay_alu instid0(VALU_DEP_1) | instskip(SKIP_1) | instid1(VALU_DEP_1)
	v_pk_add_f32 v[88:89], v[88:89], v[94:95]
	s_wait_loadcnt 0x0
	v_pk_add_f32 v[88:89], v[234:235], v[88:89] neg_lo:[0,1] neg_hi:[0,1]
	scratch_store_b64 off, v[88:89], off offset:40
	s_wait_xcnt 0x0
	v_cmpx_lt_u32_e32 4, v0
	s_cbranch_execz .LBB106_263
; %bb.262:
	scratch_load_b64 v[88:89], off, off offset:32
	v_mov_b64_e32 v[90:91], 0
	scratch_store_b64 off, v[90:91], off offset:32
	s_wait_loadcnt 0x0
	ds_store_b64 v1, v[88:89]
.LBB106_263:
	s_wait_xcnt 0x0
	s_or_b32 exec_lo, exec_lo, s0
	s_wait_storecnt_dscnt 0x0
	s_barrier_signal -1
	s_barrier_wait -1
	s_clause 0x13
	scratch_load_b128 v[88:91], off, off offset:40
	scratch_load_b128 v[92:95], off, off offset:56
	;; [unrolled: 1-line block ×19, first 2 shown]
	scratch_load_b64 v[240:241], off, off offset:32
	ds_load_2addr_b64 v[164:167], v7 offset0:79 offset1:80
	ds_load_2addr_b64 v[168:171], v7 offset0:81 offset1:82
	;; [unrolled: 1-line block ×19, first 2 shown]
	s_mov_b32 s0, exec_lo
	s_wait_dscnt 0x12
	v_dual_mov_b32 v242, v167 :: v_dual_mov_b32 v243, v166
	s_wait_dscnt 0x11
	v_dual_mov_b32 v244, v171 :: v_dual_mov_b32 v245, v170
	;; [unrolled: 2-line block ×4, first 2 shown]
	s_wait_loadcnt_dscnt 0x130d
	v_dual_mul_f32 v7, v184, v89 :: v_dual_mul_f32 v9, v186, v91
	v_dual_mul_f32 v63, v185, v89 :: v_dual_mul_f32 v65, v187, v91
	s_wait_loadcnt_dscnt 0x120c
	v_dual_mul_f32 v11, v188, v93 :: v_dual_mul_f32 v13, v190, v95
	s_delay_alu instid0(VALU_DEP_3) | instskip(SKIP_3) | instid1(VALU_DEP_3)
	v_dual_fmac_f32 v7, v185, v88 :: v_dual_fmac_f32 v9, v187, v90
	s_wait_loadcnt_dscnt 0x100a
	v_dual_fma_f32 v63, v184, v88, -v63 :: v_dual_mul_f32 v75, v197, v101
	v_dual_mul_f32 v67, v189, v93 :: v_dual_mul_f32 v69, v191, v95
	v_dual_fma_f32 v65, v186, v90, -v65 :: v_dual_add_f32 v7, 0, v7
	s_delay_alu instid0(VALU_DEP_3) | instskip(SKIP_1) | instid1(VALU_DEP_4)
	v_dual_add_f32 v63, 0, v63 :: v_dual_fmac_f32 v11, v189, v92
	v_dual_mul_f32 v15, v192, v97 :: v_dual_mul_f32 v17, v194, v99
	v_dual_mul_f32 v77, v199, v103 :: v_dual_fma_f32 v67, v188, v92, -v67
	s_delay_alu instid0(VALU_DEP_4) | instskip(NEXT) | instid1(VALU_DEP_3)
	v_add_f32_e32 v7, v7, v9
	v_dual_add_f32 v9, v63, v65 :: v_dual_fmac_f32 v15, v193, v96
	v_dual_mul_f32 v71, v193, v97 :: v_dual_mul_f32 v73, v195, v99
	s_wait_loadcnt_dscnt 0xf09
	v_dual_mul_f32 v63, v201, v105 :: v_dual_fmac_f32 v13, v191, v94
	v_dual_fma_f32 v65, v190, v94, -v69 :: v_dual_add_f32 v7, v7, v11
	s_delay_alu instid0(VALU_DEP_3) | instskip(SKIP_1) | instid1(VALU_DEP_3)
	v_dual_add_f32 v9, v9, v67 :: v_dual_fma_f32 v67, v192, v96, -v71
	v_dual_mul_f32 v19, v196, v101 :: v_dual_mul_f32 v21, v198, v103
	v_add_f32_e32 v7, v7, v13
	s_delay_alu instid0(VALU_DEP_3) | instskip(SKIP_2) | instid1(VALU_DEP_3)
	v_dual_mul_f32 v11, v203, v107 :: v_dual_add_f32 v9, v9, v65
	s_wait_loadcnt_dscnt 0xe08
	v_dual_mul_f32 v13, v205, v109 :: v_dual_fmac_f32 v17, v195, v98
	v_dual_fma_f32 v65, v194, v98, -v73 :: v_dual_add_f32 v7, v7, v15
	s_delay_alu instid0(VALU_DEP_3) | instskip(SKIP_1) | instid1(VALU_DEP_3)
	v_dual_add_f32 v9, v9, v67 :: v_dual_fma_f32 v67, v196, v100, -v75
	v_dual_mul_f32 v15, v207, v111 :: v_dual_fmac_f32 v19, v197, v100
	v_add_f32_e32 v7, v7, v17
	s_delay_alu instid0(VALU_DEP_3)
	v_dual_add_f32 v9, v9, v65 :: v_dual_fmac_f32 v21, v199, v102
	v_dual_mul_f32 v23, v200, v105 :: v_dual_mul_f32 v25, v202, v107
	s_wait_loadcnt_dscnt 0xd07
	v_dual_fma_f32 v65, v198, v102, -v77 :: v_dual_mul_f32 v17, v209, v113
	v_add_f32_e32 v7, v7, v19
	v_dual_add_f32 v9, v9, v67 :: v_dual_fma_f32 v63, v200, v104, -v63
	v_dual_mul_f32 v19, v211, v115 :: v_dual_fmac_f32 v23, v201, v104
	s_delay_alu instid0(VALU_DEP_3) | instskip(NEXT) | instid1(VALU_DEP_3)
	v_dual_add_f32 v7, v7, v21 :: v_dual_fma_f32 v11, v202, v106, -v11
	v_dual_add_f32 v9, v9, v65 :: v_dual_fmac_f32 v25, v203, v106
	v_dual_mul_f32 v27, v204, v109 :: v_dual_mul_f32 v29, v206, v111
	s_wait_loadcnt_dscnt 0xc06
	s_delay_alu instid0(VALU_DEP_3) | instskip(NEXT) | instid1(VALU_DEP_3)
	v_dual_mul_f32 v21, v213, v117 :: v_dual_add_f32 v7, v7, v23
	v_dual_add_f32 v9, v9, v63 :: v_dual_fma_f32 v13, v204, v108, -v13
	s_delay_alu instid0(VALU_DEP_3) | instskip(NEXT) | instid1(VALU_DEP_2)
	v_dual_mul_f32 v23, v215, v119 :: v_dual_fmac_f32 v27, v205, v108
	v_dual_add_f32 v7, v7, v25 :: v_dual_add_f32 v9, v9, v11
	v_dual_mul_f32 v31, v208, v113 :: v_dual_mul_f32 v33, v210, v115
	s_wait_loadcnt_dscnt 0xb05
	v_dual_mul_f32 v11, v217, v121 :: v_dual_fmac_f32 v29, v207, v110
	s_delay_alu instid0(VALU_DEP_3) | instskip(SKIP_2) | instid1(VALU_DEP_2)
	v_dual_fma_f32 v15, v206, v110, -v15 :: v_dual_add_f32 v7, v7, v27
	v_dual_add_f32 v9, v9, v13 :: v_dual_mul_f32 v13, v219, v123
	v_dual_fmac_f32 v31, v209, v112 :: v_dual_fma_f32 v17, v208, v112, -v17
	v_dual_add_f32 v7, v7, v29 :: v_dual_add_f32 v9, v9, v15
	v_dual_mul_f32 v35, v212, v117 :: v_dual_mul_f32 v37, v214, v119
	s_wait_loadcnt_dscnt 0xa04
	v_dual_mul_f32 v15, v221, v125 :: v_dual_fmac_f32 v33, v211, v114
	s_delay_alu instid0(VALU_DEP_3) | instskip(SKIP_2) | instid1(VALU_DEP_2)
	v_dual_fma_f32 v19, v210, v114, -v19 :: v_dual_add_f32 v7, v7, v31
	v_dual_add_f32 v9, v9, v17 :: v_dual_mul_f32 v17, v223, v127
	v_dual_fmac_f32 v35, v213, v116 :: v_dual_fma_f32 v21, v212, v116, -v21
	v_dual_add_f32 v7, v7, v33 :: v_dual_add_f32 v9, v9, v19
	v_dual_mul_f32 v39, v216, v121 :: v_dual_mul_f32 v41, v218, v123
	s_wait_loadcnt_dscnt 0x903
	v_dual_mul_f32 v19, v225, v129 :: v_dual_fmac_f32 v37, v215, v118
	s_delay_alu instid0(VALU_DEP_3) | instskip(SKIP_2) | instid1(VALU_DEP_3)
	v_dual_fma_f32 v23, v214, v118, -v23 :: v_dual_add_f32 v7, v7, v35
	v_dual_add_f32 v9, v9, v21 :: v_dual_mul_f32 v21, v227, v131
	v_fmac_f32_e32 v39, v217, v120
	v_dual_fma_f32 v11, v216, v120, -v11 :: v_dual_add_f32 v7, v7, v37
	s_delay_alu instid0(VALU_DEP_3)
	v_dual_add_f32 v9, v9, v23 :: v_dual_mul_f32 v43, v220, v125
	s_wait_loadcnt_dscnt 0x802
	v_dual_mul_f32 v45, v222, v127 :: v_dual_mul_f32 v23, v229, v133
	v_fmac_f32_e32 v41, v219, v122
	v_dual_fma_f32 v13, v218, v122, -v13 :: v_dual_add_f32 v7, v7, v39
	v_dual_add_f32 v9, v9, v11 :: v_dual_fma_f32 v15, v220, v124, -v15
	v_dual_mul_f32 v11, v231, v135 :: v_dual_fmac_f32 v43, v221, v124
	s_delay_alu instid0(VALU_DEP_3) | instskip(NEXT) | instid1(VALU_DEP_3)
	v_dual_add_f32 v7, v7, v41 :: v_dual_fma_f32 v17, v222, v126, -v17
	v_dual_add_f32 v9, v9, v13 :: v_dual_fmac_f32 v45, v223, v126
	v_dual_mul_f32 v47, v224, v129 :: v_dual_mul_f32 v49, v226, v131
	s_wait_loadcnt_dscnt 0x701
	s_delay_alu instid0(VALU_DEP_3) | instskip(NEXT) | instid1(VALU_DEP_3)
	v_dual_mul_f32 v13, v233, v137 :: v_dual_add_f32 v7, v7, v43
	v_dual_add_f32 v9, v9, v15 :: v_dual_fma_f32 v19, v224, v128, -v19
	s_delay_alu instid0(VALU_DEP_3) | instskip(NEXT) | instid1(VALU_DEP_3)
	v_dual_mul_f32 v15, v235, v139 :: v_dual_fmac_f32 v47, v225, v128
	v_dual_add_f32 v7, v7, v45 :: v_dual_fma_f32 v21, v226, v130, -v21
	s_delay_alu instid0(VALU_DEP_3) | instskip(SKIP_2) | instid1(VALU_DEP_3)
	v_dual_add_f32 v9, v9, v17 :: v_dual_fmac_f32 v49, v227, v130
	v_dual_mul_f32 v51, v228, v133 :: v_dual_mul_f32 v53, v230, v135
	s_wait_loadcnt_dscnt 0x600
	v_dual_mul_f32 v17, v237, v141 :: v_dual_add_f32 v7, v7, v47
	s_delay_alu instid0(VALU_DEP_3) | instskip(NEXT) | instid1(VALU_DEP_3)
	v_dual_add_f32 v9, v9, v19 :: v_dual_fma_f32 v23, v228, v132, -v23
	v_dual_mul_f32 v19, v239, v143 :: v_dual_fmac_f32 v51, v229, v132
	s_delay_alu instid0(VALU_DEP_3) | instskip(NEXT) | instid1(VALU_DEP_3)
	v_dual_add_f32 v7, v7, v49 :: v_dual_fma_f32 v11, v230, v134, -v11
	v_dual_add_f32 v9, v9, v21 :: v_dual_fmac_f32 v53, v231, v134
	v_dual_mul_f32 v55, v232, v137 :: v_dual_mul_f32 v57, v234, v139
	s_wait_loadcnt 0x5
	s_delay_alu instid0(VALU_DEP_3) | instskip(NEXT) | instid1(VALU_DEP_3)
	v_dual_mul_f32 v21, v173, v145 :: v_dual_add_f32 v7, v7, v51
	v_dual_add_f32 v9, v9, v23 :: v_dual_fma_f32 v13, v232, v136, -v13
	s_delay_alu instid0(VALU_DEP_3) | instskip(NEXT) | instid1(VALU_DEP_2)
	v_dual_mul_f32 v23, v175, v147 :: v_dual_fmac_f32 v55, v233, v136
	v_dual_add_f32 v7, v7, v53 :: v_dual_add_f32 v9, v9, v11
	v_dual_mul_f32 v59, v236, v141 :: v_dual_mul_f32 v61, v238, v143
	v_dual_fmac_f32 v57, v235, v138 :: v_dual_fma_f32 v11, v234, v138, -v15
	s_delay_alu instid0(VALU_DEP_3) | instskip(SKIP_1) | instid1(VALU_DEP_3)
	v_dual_add_f32 v7, v7, v55 :: v_dual_add_f32 v9, v9, v13
	s_wait_loadcnt 0x4
	v_dual_mov_b32 v90, v151 :: v_dual_fmac_f32 v59, v237, v140
	s_delay_alu instid0(VALU_DEP_2) | instskip(NEXT) | instid1(VALU_DEP_3)
	v_dual_fma_f32 v13, v236, v140, -v17 :: v_dual_add_f32 v7, v7, v57
	v_dual_add_f32 v9, v9, v11 :: v_dual_fmac_f32 v61, v239, v142
	v_dual_mul_f32 v251, v172, v145 :: v_dual_mul_f32 v253, v174, v147
	s_delay_alu instid0(VALU_DEP_3) | instskip(SKIP_1) | instid1(VALU_DEP_3)
	v_dual_fma_f32 v11, v238, v142, -v19 :: v_dual_add_f32 v7, v7, v59
	s_wait_loadcnt 0x3
	v_dual_add_f32 v9, v9, v13 :: v_dual_mov_b32 v94, v155
	v_pk_mul_f32 v[88:89], v[164:165], v[148:149] op_sel:[1,1] op_sel_hi:[0,1]
	v_dual_fmac_f32 v251, v173, v144 :: v_dual_fma_f32 v250, v172, v144, -v21
	s_delay_alu instid0(VALU_DEP_3) | instskip(SKIP_1) | instid1(VALU_DEP_4)
	v_dual_add_f32 v97, v7, v61 :: v_dual_add_f32 v96, v9, v11
	v_dual_fmac_f32 v253, v175, v146 :: v_dual_fma_f32 v252, v174, v146, -v23
	v_pk_fma_f32 v[98:99], v[164:165], v[148:149], v[88:89] op_sel_hi:[1,0,1]
	v_pk_mul_f32 v[90:91], v[242:243], v[90:91] op_sel_hi:[1,0]
	s_delay_alu instid0(VALU_DEP_4)
	v_pk_add_f32 v[96:97], v[96:97], v[250:251]
	v_pk_fma_f32 v[88:89], v[164:165], v[148:149], v[88:89] neg_lo:[0,0,1] neg_hi:[0,0,1]
	v_pk_mul_f32 v[92:93], v[168:169], v[152:153] op_sel:[1,1] op_sel_hi:[0,1]
	v_mov_b32_e32 v89, v99
	v_pk_fma_f32 v[98:99], v[166:167], v[150:151], v[90:91] op_sel_hi:[1,0,1]
	v_pk_add_f32 v[96:97], v[96:97], v[252:253]
	v_pk_fma_f32 v[90:91], v[166:167], v[150:151], v[90:91] neg_lo:[0,0,1] neg_hi:[0,0,1]
	v_pk_fma_f32 v[102:103], v[168:169], v[152:153], v[92:93] op_sel_hi:[1,0,1]
	v_pk_mul_f32 v[94:95], v[244:245], v[94:95] op_sel_hi:[1,0]
	v_mov_b32_e32 v91, v99
	v_pk_add_f32 v[88:89], v[96:97], v[88:89]
	s_wait_loadcnt 0x2
	v_pk_mul_f32 v[100:101], v[176:177], v[156:157] op_sel:[1,1] op_sel_hi:[0,1]
	v_mov_b32_e32 v96, v159
	v_pk_fma_f32 v[92:93], v[168:169], v[152:153], v[92:93] neg_lo:[0,0,1] neg_hi:[0,0,1]
	v_mov_b32_e32 v93, v103
	v_pk_fma_f32 v[98:99], v[170:171], v[154:155], v[94:95] op_sel_hi:[1,0,1]
	v_pk_add_f32 v[88:89], v[88:89], v[90:91]
	v_pk_fma_f32 v[90:91], v[176:177], v[156:157], v[100:101] op_sel_hi:[1,0,1]
	v_pk_mul_f32 v[96:97], v[246:247], v[96:97] op_sel_hi:[1,0]
	v_pk_fma_f32 v[94:95], v[170:171], v[154:155], v[94:95] neg_lo:[0,0,1] neg_hi:[0,0,1]
	v_mov_b32_e32 v95, v99
	v_pk_add_f32 v[88:89], v[88:89], v[92:93]
	v_pk_fma_f32 v[98:99], v[176:177], v[156:157], v[100:101] neg_lo:[0,0,1] neg_hi:[0,0,1]
	v_mov_b32_e32 v99, v91
	v_pk_fma_f32 v[90:91], v[178:179], v[158:159], v[96:97] op_sel_hi:[1,0,1]
	s_wait_loadcnt 0x1
	v_pk_mul_f32 v[92:93], v[180:181], v[160:161] op_sel:[1,1] op_sel_hi:[0,1]
	v_pk_add_f32 v[88:89], v[88:89], v[94:95]
	v_mov_b32_e32 v90, v163
	v_pk_fma_f32 v[96:97], v[178:179], v[158:159], v[96:97] neg_lo:[0,0,1] neg_hi:[0,0,1]
	v_mov_b32_e32 v97, v91
	v_pk_fma_f32 v[94:95], v[180:181], v[160:161], v[92:93] op_sel_hi:[1,0,1]
	v_pk_add_f32 v[88:89], v[88:89], v[98:99]
	v_pk_mul_f32 v[90:91], v[248:249], v[90:91] op_sel_hi:[1,0]
	v_pk_fma_f32 v[92:93], v[180:181], v[160:161], v[92:93] neg_lo:[0,0,1] neg_hi:[0,0,1]
	s_delay_alu instid0(VALU_DEP_4) | instskip(NEXT) | instid1(VALU_DEP_4)
	v_mov_b32_e32 v93, v95
	v_pk_add_f32 v[88:89], v[88:89], v[96:97]
	s_delay_alu instid0(VALU_DEP_4) | instskip(SKIP_1) | instid1(VALU_DEP_2)
	v_pk_fma_f32 v[94:95], v[182:183], v[162:163], v[90:91] op_sel_hi:[1,0,1]
	v_pk_fma_f32 v[90:91], v[182:183], v[162:163], v[90:91] neg_lo:[0,0,1] neg_hi:[0,0,1]
	v_mov_b32_e32 v91, v95
	s_delay_alu instid0(VALU_DEP_4) | instskip(NEXT) | instid1(VALU_DEP_1)
	v_pk_add_f32 v[88:89], v[88:89], v[92:93]
	v_pk_add_f32 v[88:89], v[88:89], v[90:91]
	s_wait_loadcnt 0x0
	s_delay_alu instid0(VALU_DEP_1)
	v_pk_add_f32 v[88:89], v[240:241], v[88:89] neg_lo:[0,1] neg_hi:[0,1]
	scratch_store_b64 off, v[88:89], off offset:32
	s_wait_xcnt 0x0
	v_cmpx_lt_u32_e32 3, v0
	s_cbranch_execz .LBB106_265
; %bb.264:
	scratch_load_b64 v[88:89], off, off offset:24
	v_mov_b64_e32 v[90:91], 0
	scratch_store_b64 off, v[90:91], off offset:24
	s_wait_loadcnt 0x0
	ds_store_b64 v1, v[88:89]
.LBB106_265:
	s_wait_xcnt 0x0
	s_or_b32 exec_lo, exec_lo, s0
	s_wait_storecnt_dscnt 0x0
	s_barrier_signal -1
	s_barrier_wait -1
	s_clause 0x14
	scratch_load_b128 v[88:91], off, off offset:32
	scratch_load_b128 v[92:95], off, off offset:48
	;; [unrolled: 1-line block ×19, first 2 shown]
	scratch_load_b64 v[240:241], off, off offset:336
	scratch_load_b64 v[242:243], off, off offset:24
	v_mov_b32_e32 v7, 0
	ds_load_b128 v[164:167], v7 offset:624
	ds_load_b128 v[168:171], v7 offset:608
	ds_load_b128 v[172:175], v7 offset:640
	ds_load_b128 v[176:179], v7 offset:656
	ds_load_b128 v[180:183], v7 offset:384
	ds_load_b128 v[184:187], v7 offset:400
	ds_load_b128 v[188:191], v7 offset:672
	ds_load_b128 v[192:195], v7 offset:416
	ds_load_b128 v[196:199], v7 offset:432
	ds_load_b128 v[200:203], v7 offset:448
	ds_load_b128 v[204:207], v7 offset:464
	ds_load_b128 v[208:211], v7 offset:480
	ds_load_b128 v[212:215], v7 offset:496
	ds_load_b128 v[216:219], v7 offset:512
	ds_load_b128 v[220:223], v7 offset:528
	ds_load_b128 v[224:227], v7 offset:544
	ds_load_b128 v[228:231], v7 offset:560
	ds_load_b128 v[232:235], v7 offset:576
	ds_load_b128 v[236:239], v7 offset:592
	ds_load_b64 v[244:245], v7 offset:688
	s_wait_dscnt 0x13
	v_dual_mov_b32 v246, v167 :: v_dual_mov_b32 v247, v166
	s_wait_dscnt 0x11
	v_dual_mov_b32 v248, v175 :: v_dual_mov_b32 v249, v174
	;; [unrolled: 2-line block ×4, first 2 shown]
	s_mov_b32 s0, exec_lo
	s_wait_loadcnt 0x14
	v_dual_mul_f32 v9, v180, v89 :: v_dual_mul_f32 v11, v182, v91
	s_wait_loadcnt 0x13
	v_dual_mul_f32 v13, v184, v93 :: v_dual_mul_f32 v69, v183, v91
	s_wait_loadcnt_dscnt 0x110b
	v_dual_mul_f32 v71, v185, v93 :: v_dual_mul_f32 v81, v199, v103
	v_dual_mul_f32 v15, v186, v95 :: v_dual_mul_f32 v17, v192, v97
	s_delay_alu instid0(VALU_DEP_3) | instskip(SKIP_4) | instid1(VALU_DEP_2)
	v_dual_fma_f32 v69, v182, v90, -v69 :: v_dual_mul_f32 v73, v187, v95
	v_mul_f32_e32 v75, v193, v97
	v_dual_mul_f32 v67, v181, v89 :: v_dual_fmac_f32 v9, v181, v88
	v_dual_fmac_f32 v13, v185, v92 :: v_dual_fma_f32 v71, v184, v92, -v71
	s_wait_loadcnt 0x6
	v_dual_mul_f32 v255, v170, v147 :: v_dual_fma_f32 v67, v180, v88, -v67
	s_delay_alu instid0(VALU_DEP_3) | instskip(SKIP_2) | instid1(VALU_DEP_3)
	v_dual_fmac_f32 v11, v183, v90 :: v_dual_add_f32 v9, 0, v9
	v_dual_mul_f32 v19, v194, v99 :: v_dual_mul_f32 v21, v196, v101
	s_wait_dscnt 0xa
	v_dual_add_f32 v67, 0, v67 :: v_dual_mul_f32 v83, v201, v105
	s_delay_alu instid0(VALU_DEP_3) | instskip(SKIP_1) | instid1(VALU_DEP_3)
	v_add_f32_e32 v9, v9, v11
	v_dual_mul_f32 v77, v195, v99 :: v_dual_mul_f32 v79, v197, v101
	v_add_f32_e32 v11, v67, v69
	v_dual_mul_f32 v67, v203, v107 :: v_dual_fma_f32 v69, v186, v94, -v73
	s_delay_alu instid0(VALU_DEP_4) | instskip(SKIP_1) | instid1(VALU_DEP_3)
	v_dual_fmac_f32 v15, v187, v94 :: v_dual_add_f32 v9, v9, v13
	s_wait_dscnt 0x9
	v_dual_add_f32 v11, v11, v71 :: v_dual_mul_f32 v13, v205, v109
	v_dual_fmac_f32 v17, v193, v96 :: v_dual_fma_f32 v71, v192, v96, -v75
	s_delay_alu instid0(VALU_DEP_2) | instskip(SKIP_1) | instid1(VALU_DEP_2)
	v_dual_add_f32 v9, v9, v15 :: v_dual_add_f32 v11, v11, v69
	v_dual_mul_f32 v15, v207, v111 :: v_dual_fma_f32 v69, v194, v98, -v77
	v_dual_fmac_f32 v19, v195, v98 :: v_dual_add_f32 v9, v9, v17
	s_wait_dscnt 0x8
	s_delay_alu instid0(VALU_DEP_3) | instskip(SKIP_2) | instid1(VALU_DEP_3)
	v_dual_add_f32 v11, v11, v71 :: v_dual_mul_f32 v17, v209, v113
	v_dual_mul_f32 v23, v198, v103 :: v_dual_mul_f32 v25, v200, v105
	v_dual_fmac_f32 v21, v197, v100 :: v_dual_fma_f32 v71, v196, v100, -v79
	v_dual_add_f32 v9, v9, v19 :: v_dual_add_f32 v11, v11, v69
	v_dual_mul_f32 v19, v211, v115 :: v_dual_fma_f32 v69, v198, v102, -v81
	s_delay_alu instid0(VALU_DEP_2) | instskip(SKIP_1) | instid1(VALU_DEP_3)
	v_dual_fmac_f32 v23, v199, v102 :: v_dual_add_f32 v9, v9, v21
	s_wait_dscnt 0x7
	v_dual_add_f32 v11, v11, v71 :: v_dual_mul_f32 v21, v213, v117
	v_dual_mul_f32 v27, v202, v107 :: v_dual_mul_f32 v29, v204, v109
	v_dual_fmac_f32 v25, v201, v104 :: v_dual_fma_f32 v71, v200, v104, -v83
	s_delay_alu instid0(VALU_DEP_3) | instskip(SKIP_1) | instid1(VALU_DEP_2)
	v_dual_add_f32 v9, v9, v23 :: v_dual_add_f32 v11, v11, v69
	v_dual_mul_f32 v23, v215, v119 :: v_dual_fma_f32 v67, v202, v106, -v67
	v_dual_fmac_f32 v27, v203, v106 :: v_dual_add_f32 v9, v9, v25
	s_wait_dscnt 0x6
	s_delay_alu instid0(VALU_DEP_3) | instskip(SKIP_1) | instid1(VALU_DEP_2)
	v_dual_add_f32 v11, v11, v71 :: v_dual_mul_f32 v25, v217, v121
	v_dual_mul_f32 v31, v206, v111 :: v_dual_mul_f32 v33, v208, v113
	v_dual_fmac_f32 v29, v205, v108 :: v_dual_add_f32 v11, v11, v67
	v_dual_fma_f32 v13, v204, v108, -v13 :: v_dual_add_f32 v9, v9, v27
	v_dual_mul_f32 v27, v219, v123 :: v_dual_fma_f32 v15, v206, v110, -v15
	s_delay_alu instid0(VALU_DEP_4) | instskip(NEXT) | instid1(VALU_DEP_3)
	v_fmac_f32_e32 v31, v207, v110
	v_dual_add_f32 v11, v11, v13 :: v_dual_fmac_f32 v33, v209, v112
	s_delay_alu instid0(VALU_DEP_4) | instskip(SKIP_3) | instid1(VALU_DEP_3)
	v_dual_add_f32 v9, v9, v29 :: v_dual_mul_f32 v35, v210, v115
	v_mul_f32_e32 v37, v212, v117
	s_wait_dscnt 0x5
	v_dual_mul_f32 v13, v221, v125 :: v_dual_fma_f32 v17, v208, v112, -v17
	v_dual_add_f32 v9, v9, v31 :: v_dual_fmac_f32 v35, v211, v114
	v_dual_add_f32 v11, v11, v15 :: v_dual_fma_f32 v19, v210, v114, -v19
	s_delay_alu instid0(VALU_DEP_2) | instskip(SKIP_1) | instid1(VALU_DEP_3)
	v_dual_mul_f32 v15, v223, v127 :: v_dual_add_f32 v9, v9, v33
	v_dual_mul_f32 v39, v214, v119 :: v_dual_mul_f32 v41, v216, v121
	v_dual_add_f32 v11, v11, v17 :: v_dual_fmac_f32 v37, v213, v116
	s_wait_dscnt 0x4
	v_dual_mul_f32 v17, v225, v129 :: v_dual_fma_f32 v21, v212, v116, -v21
	s_delay_alu instid0(VALU_DEP_3) | instskip(NEXT) | instid1(VALU_DEP_3)
	v_dual_add_f32 v9, v9, v35 :: v_dual_fmac_f32 v39, v215, v118
	v_dual_add_f32 v11, v11, v19 :: v_dual_fma_f32 v23, v214, v118, -v23
	s_delay_alu instid0(VALU_DEP_2) | instskip(SKIP_1) | instid1(VALU_DEP_3)
	v_dual_mul_f32 v19, v227, v131 :: v_dual_add_f32 v9, v9, v37
	v_dual_mul_f32 v43, v218, v123 :: v_dual_mul_f32 v45, v220, v125
	v_dual_add_f32 v11, v11, v21 :: v_dual_fmac_f32 v41, v217, v120
	s_wait_dscnt 0x3
	v_dual_mul_f32 v21, v229, v133 :: v_dual_fma_f32 v25, v216, v120, -v25
	s_delay_alu instid0(VALU_DEP_3) | instskip(NEXT) | instid1(VALU_DEP_3)
	;; [unrolled: 9-line block ×4, first 2 shown]
	v_dual_add_f32 v9, v9, v47 :: v_dual_fmac_f32 v51, v227, v130
	v_dual_add_f32 v11, v11, v15 :: v_dual_fma_f32 v19, v226, v130, -v19
	s_delay_alu instid0(VALU_DEP_2) | instskip(SKIP_1) | instid1(VALU_DEP_3)
	v_dual_mul_f32 v15, v239, v143 :: v_dual_add_f32 v9, v9, v49
	v_dual_mul_f32 v55, v230, v135 :: v_dual_mul_f32 v57, v232, v137
	v_dual_add_f32 v11, v11, v17 :: v_dual_fmac_f32 v53, v229, v132
	v_dual_mul_f32 v17, v169, v145 :: v_dual_fma_f32 v21, v228, v132, -v21
	s_delay_alu instid0(VALU_DEP_3) | instskip(NEXT) | instid1(VALU_DEP_3)
	v_dual_add_f32 v9, v9, v51 :: v_dual_fmac_f32 v55, v231, v134
	v_dual_add_f32 v11, v11, v19 :: v_dual_fma_f32 v23, v230, v134, -v23
	s_delay_alu instid0(VALU_DEP_2) | instskip(SKIP_1) | instid1(VALU_DEP_3)
	v_dual_mul_f32 v19, v171, v147 :: v_dual_add_f32 v9, v9, v53
	v_dual_mul_f32 v59, v234, v139 :: v_dual_mul_f32 v61, v236, v141
	v_dual_add_f32 v11, v11, v21 :: v_dual_fmac_f32 v57, v233, v136
	s_wait_loadcnt 0x5
	v_dual_mul_f32 v21, v165, v149 :: v_dual_fma_f32 v25, v232, v136, -v25
	v_dual_add_f32 v9, v9, v55 :: v_dual_mov_b32 v88, v151
	s_delay_alu instid0(VALU_DEP_3) | instskip(NEXT) | instid1(VALU_DEP_2)
	v_dual_add_f32 v11, v11, v23 :: v_dual_fma_f32 v23, v234, v138, -v27
	v_dual_fmac_f32 v59, v235, v138 :: v_dual_add_f32 v9, v9, v57
	v_dual_mul_f32 v63, v238, v143 :: v_dual_mul_f32 v65, v168, v145
	s_delay_alu instid0(VALU_DEP_3) | instskip(NEXT) | instid1(VALU_DEP_3)
	v_dual_add_f32 v11, v11, v25 :: v_dual_fmac_f32 v61, v237, v140
	v_dual_fma_f32 v13, v236, v140, -v13 :: v_dual_add_f32 v9, v9, v59
	s_wait_loadcnt 0x4
	v_mov_b32_e32 v92, v155
	s_delay_alu instid0(VALU_DEP_3) | instskip(SKIP_2) | instid1(VALU_DEP_3)
	v_dual_add_f32 v11, v11, v23 :: v_dual_fma_f32 v15, v238, v142, -v15
	v_dual_fmac_f32 v63, v239, v142 :: v_dual_fmac_f32 v65, v169, v144
	v_add_f32_e32 v9, v9, v61
	v_dual_add_f32 v11, v11, v13 :: v_dual_fma_f32 v13, v168, v144, -v17
	v_pk_mul_f32 v[88:89], v[246:247], v[88:89] op_sel_hi:[1,0]
	s_set_vgpr_msb 64                       ;  msbs: dst=1 src0=0 src1=0 src2=0
	v_dual_mul_f32 v1 /*v257*/, v164, v149 :: v_dual_fma_f32 v0 /*v256*/, v164, v148, -v21
	s_set_vgpr_msb 0                        ;  msbs: dst=0 src0=0 src1=0 src2=0
	v_dual_add_f32 v9, v9, v63 :: v_dual_fmac_f32 v255, v171, v146
	v_dual_add_f32 v11, v11, v15 :: v_dual_fma_f32 v254, v170, v146, -v19
	v_pk_fma_f32 v[100:101], v[166:167], v[150:151], v[88:89] op_sel_hi:[1,0,1]
	s_wait_loadcnt 0x3
	s_delay_alu instid0(VALU_DEP_3) | instskip(NEXT) | instid1(VALU_DEP_3)
	v_dual_add_f32 v97, v9, v65 :: v_dual_mov_b32 v98, v159
	v_add_f32_e32 v96, v11, v13
	v_pk_fma_f32 v[88:89], v[166:167], v[150:151], v[88:89] neg_lo:[0,0,1] neg_hi:[0,0,1]
	v_pk_mul_f32 v[90:91], v[172:173], v[152:153] op_sel:[1,1] op_sel_hi:[0,1]
	s_set_vgpr_msb 64                       ;  msbs: dst=1 src0=0 src1=0 src2=0
	v_fmac_f32_e32 v1 /*v257*/, v165, v148
	s_set_vgpr_msb 0                        ;  msbs: dst=0 src0=0 src1=0 src2=0
	v_mov_b32_e32 v89, v101
	v_pk_add_f32 v[96:97], v[96:97], v[254:255]
	v_pk_mul_f32 v[92:93], v[248:249], v[92:93] op_sel_hi:[1,0]
	v_pk_fma_f32 v[102:103], v[172:173], v[152:153], v[90:91] op_sel_hi:[1,0,1]
	v_pk_fma_f32 v[90:91], v[172:173], v[152:153], v[90:91] neg_lo:[0,0,1] neg_hi:[0,0,1]
	v_pk_mul_f32 v[94:95], v[176:177], v[156:157] op_sel:[1,1] op_sel_hi:[0,1]
	s_set_vgpr_msb 4                        ;  msbs: dst=0 src0=0 src1=1 src2=0
	v_pk_add_f32 v[96:97], v[96:97], v[0:1] /*v[256:257]*/
	s_set_vgpr_msb 0                        ;  msbs: dst=0 src0=0 src1=0 src2=0
	v_pk_mul_f32 v[98:99], v[250:251], v[98:99] op_sel_hi:[1,0]
	v_mov_b32_e32 v91, v103
	v_pk_fma_f32 v[102:103], v[174:175], v[154:155], v[92:93] op_sel_hi:[1,0,1]
	v_pk_fma_f32 v[92:93], v[174:175], v[154:155], v[92:93] neg_lo:[0,0,1] neg_hi:[0,0,1]
	v_pk_add_f32 v[88:89], v[96:97], v[88:89]
	v_pk_fma_f32 v[96:97], v[176:177], v[156:157], v[94:95] op_sel_hi:[1,0,1]
	v_pk_fma_f32 v[94:95], v[176:177], v[156:157], v[94:95] neg_lo:[0,0,1] neg_hi:[0,0,1]
	v_mov_b32_e32 v93, v103
	s_wait_loadcnt 0x2
	v_pk_mul_f32 v[100:101], v[188:189], v[160:161] op_sel:[1,1] op_sel_hi:[0,1]
	v_pk_add_f32 v[88:89], v[88:89], v[90:91]
	v_dual_mov_b32 v90, v163 :: v_dual_mov_b32 v95, v97
	v_pk_fma_f32 v[96:97], v[178:179], v[158:159], v[98:99] op_sel_hi:[1,0,1]
	v_pk_fma_f32 v[98:99], v[178:179], v[158:159], v[98:99] neg_lo:[0,0,1] neg_hi:[0,0,1]
	s_delay_alu instid0(VALU_DEP_4)
	v_pk_add_f32 v[88:89], v[88:89], v[92:93]
	v_pk_fma_f32 v[92:93], v[188:189], v[160:161], v[100:101] op_sel_hi:[1,0,1]
	v_pk_mul_f32 v[90:91], v[252:253], v[90:91] op_sel_hi:[1,0]
	v_mov_b32_e32 v99, v97
	s_wait_loadcnt_dscnt 0x100
	v_pk_mul_f32 v[96:97], v[244:245], v[240:241] op_sel:[1,1] op_sel_hi:[0,1]
	v_pk_add_f32 v[88:89], v[88:89], v[94:95]
	v_pk_fma_f32 v[94:95], v[188:189], v[160:161], v[100:101] neg_lo:[0,0,1] neg_hi:[0,0,1]
	v_mov_b32_e32 v95, v93
	v_pk_fma_f32 v[92:93], v[190:191], v[162:163], v[90:91] op_sel_hi:[1,0,1]
	v_pk_fma_f32 v[90:91], v[190:191], v[162:163], v[90:91] neg_lo:[0,0,1] neg_hi:[0,0,1]
	v_pk_add_f32 v[88:89], v[88:89], v[98:99]
	s_delay_alu instid0(VALU_DEP_3) | instskip(SKIP_1) | instid1(VALU_DEP_3)
	v_mov_b32_e32 v91, v93
	v_pk_fma_f32 v[92:93], v[244:245], v[240:241], v[96:97] op_sel_hi:[1,0,1]
	v_pk_add_f32 v[88:89], v[88:89], v[94:95]
	v_pk_fma_f32 v[94:95], v[244:245], v[240:241], v[96:97] neg_lo:[0,0,1] neg_hi:[0,0,1]
	s_delay_alu instid0(VALU_DEP_3) | instskip(NEXT) | instid1(VALU_DEP_3)
	v_mov_b32_e32 v95, v93
	v_pk_add_f32 v[88:89], v[88:89], v[90:91]
	s_delay_alu instid0(VALU_DEP_1) | instskip(SKIP_1) | instid1(VALU_DEP_1)
	v_pk_add_f32 v[88:89], v[88:89], v[94:95]
	s_wait_loadcnt 0x0
	v_pk_add_f32 v[88:89], v[242:243], v[88:89] neg_lo:[0,1] neg_hi:[0,1]
	scratch_store_b64 off, v[88:89], off offset:24
	s_wait_xcnt 0x0
	v_cmpx_lt_u32_e32 2, v0
	s_cbranch_execz .LBB106_267
; %bb.266:
	scratch_load_b64 v[88:89], off, off offset:16
	v_mov_b64_e32 v[90:91], 0
	scratch_store_b64 off, v[90:91], off offset:16
	s_wait_loadcnt 0x0
	ds_store_b64 v1, v[88:89]
.LBB106_267:
	s_wait_xcnt 0x0
	s_or_b32 exec_lo, exec_lo, s0
	s_wait_storecnt_dscnt 0x0
	s_barrier_signal -1
	s_barrier_wait -1
	s_clause 0x14
	scratch_load_b128 v[88:91], off, off offset:24
	scratch_load_b128 v[92:95], off, off offset:40
	;; [unrolled: 1-line block ×20, first 2 shown]
	scratch_load_b64 v[248:249], off, off offset:16
	ds_load_2addr_b64 v[168:171], v7 offset0:79 offset1:80
	ds_load_2addr_b64 v[172:175], v7 offset0:81 offset1:82
	;; [unrolled: 1-line block ×20, first 2 shown]
	s_wait_dscnt 0x13
	v_dual_mov_b32 v250, v171 :: v_dual_mov_b32 v251, v170
	s_wait_dscnt 0x12
	v_dual_mov_b32 v252, v175 :: v_dual_mov_b32 v253, v174
	;; [unrolled: 2-line block ×3, first 2 shown]
	s_wait_dscnt 0xe
	s_set_vgpr_msb 64                       ;  msbs: dst=1 src0=0 src1=0 src2=0
	v_dual_mov_b32 v0 /*v256*/, v191 :: v_dual_mov_b32 v1 /*v257*/, v190
	s_mov_b32 s0, exec_lo
	s_wait_loadcnt 0x14
	s_set_vgpr_msb 0                        ;  msbs: dst=0 src0=0 src1=0 src2=0
	v_dual_mul_f32 v7, v176, v89 :: v_dual_mul_f32 v9, v178, v91
	v_dual_mul_f32 v67, v177, v89 :: v_dual_mul_f32 v69, v179, v91
	s_wait_loadcnt 0x13
	v_dual_mul_f32 v11, v180, v93 :: v_dual_mul_f32 v13, v182, v95
	s_delay_alu instid0(VALU_DEP_3) | instskip(SKIP_3) | instid1(VALU_DEP_3)
	v_dual_fmac_f32 v7, v177, v88 :: v_dual_fmac_f32 v9, v179, v90
	s_wait_loadcnt_dscnt 0x110c
	v_dual_fma_f32 v67, v176, v88, -v67 :: v_dual_mul_f32 v79, v197, v101
	v_dual_mul_f32 v71, v181, v93 :: v_dual_mul_f32 v73, v183, v95
	v_dual_fma_f32 v69, v178, v90, -v69 :: v_dual_add_f32 v7, 0, v7
	s_delay_alu instid0(VALU_DEP_3) | instskip(SKIP_1) | instid1(VALU_DEP_4)
	v_dual_add_f32 v67, 0, v67 :: v_dual_fmac_f32 v11, v181, v92
	v_dual_mul_f32 v15, v192, v97 :: v_dual_mul_f32 v17, v194, v99
	v_dual_mul_f32 v81, v199, v103 :: v_dual_fma_f32 v71, v180, v92, -v71
	s_delay_alu instid0(VALU_DEP_4) | instskip(NEXT) | instid1(VALU_DEP_3)
	v_add_f32_e32 v7, v7, v9
	v_dual_add_f32 v9, v67, v69 :: v_dual_fmac_f32 v15, v193, v96
	v_dual_mul_f32 v75, v193, v97 :: v_dual_mul_f32 v77, v195, v99
	s_wait_loadcnt_dscnt 0x100b
	v_dual_mul_f32 v67, v201, v105 :: v_dual_fmac_f32 v13, v183, v94
	v_dual_fma_f32 v69, v182, v94, -v73 :: v_dual_add_f32 v7, v7, v11
	s_delay_alu instid0(VALU_DEP_3) | instskip(SKIP_1) | instid1(VALU_DEP_3)
	v_dual_add_f32 v9, v9, v71 :: v_dual_fma_f32 v71, v192, v96, -v75
	v_dual_mul_f32 v19, v196, v101 :: v_dual_mul_f32 v21, v198, v103
	v_add_f32_e32 v7, v7, v13
	s_delay_alu instid0(VALU_DEP_3) | instskip(SKIP_2) | instid1(VALU_DEP_3)
	v_dual_mul_f32 v11, v203, v107 :: v_dual_add_f32 v9, v9, v69
	s_wait_loadcnt_dscnt 0xf0a
	v_dual_mul_f32 v13, v205, v109 :: v_dual_fmac_f32 v17, v195, v98
	v_dual_fma_f32 v69, v194, v98, -v77 :: v_dual_add_f32 v7, v7, v15
	s_delay_alu instid0(VALU_DEP_3) | instskip(SKIP_1) | instid1(VALU_DEP_3)
	v_dual_add_f32 v9, v9, v71 :: v_dual_fma_f32 v71, v196, v100, -v79
	v_dual_mul_f32 v15, v207, v111 :: v_dual_fmac_f32 v19, v197, v100
	v_add_f32_e32 v7, v7, v17
	s_delay_alu instid0(VALU_DEP_3)
	v_dual_add_f32 v9, v9, v69 :: v_dual_fmac_f32 v21, v199, v102
	v_dual_mul_f32 v23, v200, v105 :: v_dual_mul_f32 v25, v202, v107
	s_wait_loadcnt_dscnt 0xe09
	v_dual_fma_f32 v69, v198, v102, -v81 :: v_dual_mul_f32 v17, v209, v113
	v_add_f32_e32 v7, v7, v19
	v_dual_add_f32 v9, v9, v71 :: v_dual_fma_f32 v67, v200, v104, -v67
	v_dual_mul_f32 v19, v211, v115 :: v_dual_fmac_f32 v23, v201, v104
	s_delay_alu instid0(VALU_DEP_3) | instskip(NEXT) | instid1(VALU_DEP_3)
	v_dual_add_f32 v7, v7, v21 :: v_dual_fma_f32 v11, v202, v106, -v11
	v_dual_add_f32 v9, v9, v69 :: v_dual_fmac_f32 v25, v203, v106
	v_dual_mul_f32 v27, v204, v109 :: v_dual_mul_f32 v29, v206, v111
	s_wait_loadcnt_dscnt 0xd08
	s_delay_alu instid0(VALU_DEP_3) | instskip(NEXT) | instid1(VALU_DEP_3)
	v_dual_mul_f32 v21, v213, v117 :: v_dual_add_f32 v7, v7, v23
	v_dual_add_f32 v9, v9, v67 :: v_dual_fma_f32 v13, v204, v108, -v13
	s_delay_alu instid0(VALU_DEP_3) | instskip(NEXT) | instid1(VALU_DEP_2)
	v_dual_mul_f32 v23, v215, v119 :: v_dual_fmac_f32 v27, v205, v108
	v_dual_add_f32 v7, v7, v25 :: v_dual_add_f32 v9, v9, v11
	v_dual_mul_f32 v31, v208, v113 :: v_dual_mul_f32 v33, v210, v115
	s_wait_loadcnt_dscnt 0xc07
	v_dual_mul_f32 v11, v217, v121 :: v_dual_fmac_f32 v29, v207, v110
	s_delay_alu instid0(VALU_DEP_3) | instskip(SKIP_2) | instid1(VALU_DEP_2)
	v_dual_fma_f32 v15, v206, v110, -v15 :: v_dual_add_f32 v7, v7, v27
	v_dual_add_f32 v9, v9, v13 :: v_dual_mul_f32 v13, v219, v123
	v_dual_fmac_f32 v31, v209, v112 :: v_dual_fma_f32 v17, v208, v112, -v17
	v_dual_add_f32 v7, v7, v29 :: v_dual_add_f32 v9, v9, v15
	v_dual_mul_f32 v35, v212, v117 :: v_dual_mul_f32 v37, v214, v119
	s_wait_loadcnt_dscnt 0xb06
	v_dual_mul_f32 v15, v221, v125 :: v_dual_fmac_f32 v33, v211, v114
	s_delay_alu instid0(VALU_DEP_3) | instskip(SKIP_2) | instid1(VALU_DEP_2)
	v_dual_fma_f32 v19, v210, v114, -v19 :: v_dual_add_f32 v7, v7, v31
	v_dual_add_f32 v9, v9, v17 :: v_dual_mul_f32 v17, v223, v127
	v_dual_fmac_f32 v35, v213, v116 :: v_dual_fma_f32 v21, v212, v116, -v21
	v_dual_add_f32 v7, v7, v33 :: v_dual_add_f32 v9, v9, v19
	v_dual_mul_f32 v39, v216, v121 :: v_dual_mul_f32 v41, v218, v123
	s_wait_loadcnt_dscnt 0xa05
	v_dual_mul_f32 v19, v225, v129 :: v_dual_fmac_f32 v37, v215, v118
	s_delay_alu instid0(VALU_DEP_3) | instskip(SKIP_2) | instid1(VALU_DEP_3)
	v_dual_fma_f32 v23, v214, v118, -v23 :: v_dual_add_f32 v7, v7, v35
	v_dual_add_f32 v9, v9, v21 :: v_dual_mul_f32 v21, v227, v131
	v_fmac_f32_e32 v39, v217, v120
	v_dual_fma_f32 v11, v216, v120, -v11 :: v_dual_add_f32 v7, v7, v37
	s_delay_alu instid0(VALU_DEP_3)
	v_dual_add_f32 v9, v9, v23 :: v_dual_mul_f32 v43, v220, v125
	s_wait_loadcnt_dscnt 0x904
	v_dual_mul_f32 v45, v222, v127 :: v_dual_mul_f32 v23, v229, v133
	v_fmac_f32_e32 v41, v219, v122
	v_dual_fma_f32 v13, v218, v122, -v13 :: v_dual_add_f32 v7, v7, v39
	v_dual_add_f32 v9, v9, v11 :: v_dual_fma_f32 v15, v220, v124, -v15
	v_dual_mul_f32 v11, v231, v135 :: v_dual_fmac_f32 v43, v221, v124
	s_delay_alu instid0(VALU_DEP_3) | instskip(NEXT) | instid1(VALU_DEP_3)
	v_dual_add_f32 v7, v7, v41 :: v_dual_fma_f32 v17, v222, v126, -v17
	v_dual_add_f32 v9, v9, v13 :: v_dual_fmac_f32 v45, v223, v126
	v_dual_mul_f32 v47, v224, v129 :: v_dual_mul_f32 v49, v226, v131
	s_wait_loadcnt_dscnt 0x803
	s_delay_alu instid0(VALU_DEP_3) | instskip(NEXT) | instid1(VALU_DEP_3)
	v_dual_mul_f32 v13, v233, v137 :: v_dual_add_f32 v7, v7, v43
	v_dual_add_f32 v9, v9, v15 :: v_dual_fma_f32 v19, v224, v128, -v19
	s_delay_alu instid0(VALU_DEP_3) | instskip(NEXT) | instid1(VALU_DEP_3)
	v_dual_mul_f32 v15, v235, v139 :: v_dual_fmac_f32 v47, v225, v128
	v_dual_add_f32 v7, v7, v45 :: v_dual_fma_f32 v21, v226, v130, -v21
	s_delay_alu instid0(VALU_DEP_3) | instskip(SKIP_2) | instid1(VALU_DEP_3)
	v_dual_add_f32 v9, v9, v17 :: v_dual_fmac_f32 v49, v227, v130
	v_dual_mul_f32 v51, v228, v133 :: v_dual_mul_f32 v53, v230, v135
	s_wait_loadcnt_dscnt 0x702
	v_dual_mul_f32 v17, v237, v141 :: v_dual_add_f32 v7, v7, v47
	s_delay_alu instid0(VALU_DEP_3) | instskip(NEXT) | instid1(VALU_DEP_3)
	v_dual_add_f32 v9, v9, v19 :: v_dual_fma_f32 v23, v228, v132, -v23
	v_dual_mul_f32 v19, v239, v143 :: v_dual_fmac_f32 v51, v229, v132
	s_delay_alu instid0(VALU_DEP_3) | instskip(NEXT) | instid1(VALU_DEP_3)
	v_dual_add_f32 v7, v7, v49 :: v_dual_fma_f32 v11, v230, v134, -v11
	v_dual_add_f32 v9, v9, v21 :: v_dual_fmac_f32 v53, v231, v134
	v_dual_mul_f32 v55, v232, v137 :: v_dual_mul_f32 v57, v234, v139
	s_wait_loadcnt_dscnt 0x601
	s_delay_alu instid0(VALU_DEP_3) | instskip(NEXT) | instid1(VALU_DEP_3)
	v_dual_mul_f32 v21, v241, v145 :: v_dual_add_f32 v7, v7, v51
	v_dual_add_f32 v9, v9, v23 :: v_dual_fma_f32 v13, v232, v136, -v13
	s_delay_alu instid0(VALU_DEP_3) | instskip(NEXT) | instid1(VALU_DEP_2)
	v_dual_mul_f32 v23, v243, v147 :: v_dual_fmac_f32 v55, v233, v136
	v_dual_add_f32 v7, v7, v53 :: v_dual_add_f32 v9, v9, v11
	v_dual_mul_f32 v59, v236, v141 :: v_dual_mul_f32 v61, v238, v143
	s_wait_loadcnt_dscnt 0x500
	v_dual_mul_f32 v11, v245, v149 :: v_dual_fmac_f32 v57, v235, v138
	s_delay_alu instid0(VALU_DEP_3) | instskip(SKIP_2) | instid1(VALU_DEP_2)
	v_dual_fma_f32 v15, v234, v138, -v15 :: v_dual_add_f32 v7, v7, v55
	v_dual_add_f32 v9, v9, v13 :: v_dual_mul_f32 v13, v247, v151
	v_dual_fmac_f32 v59, v237, v140 :: v_dual_fma_f32 v17, v236, v140, -v17
	v_dual_add_f32 v7, v7, v57 :: v_dual_add_f32 v9, v9, v15
	v_dual_mul_f32 v63, v240, v145 :: v_dual_mul_f32 v65, v242, v147
	v_dual_fmac_f32 v61, v239, v142 :: v_dual_fma_f32 v15, v238, v142, -v19
	s_delay_alu instid0(VALU_DEP_3) | instskip(SKIP_1) | instid1(VALU_DEP_3)
	v_dual_add_f32 v7, v7, v59 :: v_dual_add_f32 v9, v9, v17
	s_wait_loadcnt 0x4
	v_dual_mov_b32 v90, v155 :: v_dual_fmac_f32 v63, v241, v144
	s_delay_alu instid0(VALU_DEP_2) | instskip(NEXT) | instid1(VALU_DEP_3)
	v_dual_fma_f32 v17, v240, v144, -v21 :: v_dual_add_f32 v7, v7, v61
	v_dual_add_f32 v9, v9, v15 :: v_dual_fmac_f32 v65, v243, v146
	s_set_vgpr_msb 64                       ;  msbs: dst=1 src0=0 src1=0 src2=0
	v_dual_mul_f32 v3 /*v259*/, v244, v149 :: v_dual_mul_f32 v5 /*v261*/, v246, v151
	s_set_vgpr_msb 0                        ;  msbs: dst=0 src0=0 src1=0 src2=0
	v_dual_fma_f32 v15, v242, v146, -v23 :: v_dual_add_f32 v7, v7, v63
	s_wait_loadcnt 0x3
	v_dual_add_f32 v9, v9, v17 :: v_dual_mov_b32 v94, v159
	v_pk_mul_f32 v[88:89], v[168:169], v[152:153] op_sel:[1,1] op_sel_hi:[0,1]
	s_set_vgpr_msb 64                       ;  msbs: dst=1 src0=0 src1=0 src2=0
	v_dual_fmac_f32 v3 /*v259*/, v245, v148 :: v_dual_fmac_f32 v5 /*v261*/, v247, v150
	v_dual_fma_f32 v2 /*v258*/, v244, v148, -v11 :: v_dual_fma_f32 v4 /*v260*/, v246, v150, -v13
	s_set_vgpr_msb 0                        ;  msbs: dst=0 src0=0 src1=0 src2=0
	v_dual_add_f32 v97, v7, v65 :: v_dual_add_f32 v96, v9, v15
	v_pk_fma_f32 v[98:99], v[168:169], v[152:153], v[88:89] op_sel_hi:[1,0,1]
	v_pk_mul_f32 v[90:91], v[250:251], v[90:91] op_sel_hi:[1,0]
	v_pk_fma_f32 v[88:89], v[168:169], v[152:153], v[88:89] neg_lo:[0,0,1] neg_hi:[0,0,1]
	v_pk_mul_f32 v[92:93], v[172:173], v[156:157] op_sel:[1,1] op_sel_hi:[0,1]
	s_set_vgpr_msb 4                        ;  msbs: dst=0 src0=0 src1=1 src2=0
	v_pk_add_f32 v[96:97], v[96:97], v[2:3] /*v[258:259]*/
	v_mov_b32_e32 v89, v99
	s_set_vgpr_msb 0                        ;  msbs: dst=0 src0=0 src1=0 src2=0
	v_pk_fma_f32 v[98:99], v[170:171], v[154:155], v[90:91] op_sel_hi:[1,0,1]
	v_pk_fma_f32 v[90:91], v[170:171], v[154:155], v[90:91] neg_lo:[0,0,1] neg_hi:[0,0,1]
	v_pk_fma_f32 v[102:103], v[172:173], v[156:157], v[92:93] op_sel_hi:[1,0,1]
	s_set_vgpr_msb 4                        ;  msbs: dst=0 src0=0 src1=1 src2=0
	v_pk_add_f32 v[96:97], v[96:97], v[4:5] /*v[260:261]*/
	s_set_vgpr_msb 0                        ;  msbs: dst=0 src0=0 src1=0 src2=0
	v_pk_mul_f32 v[94:95], v[252:253], v[94:95] op_sel_hi:[1,0]
	v_mov_b32_e32 v91, v99
	s_wait_loadcnt 0x2
	v_pk_mul_f32 v[100:101], v[184:185], v[160:161] op_sel:[1,1] op_sel_hi:[0,1]
	v_pk_fma_f32 v[92:93], v[172:173], v[156:157], v[92:93] neg_lo:[0,0,1] neg_hi:[0,0,1]
	v_pk_add_f32 v[88:89], v[96:97], v[88:89]
	v_dual_mov_b32 v96, v163 :: v_dual_mov_b32 v93, v103
	v_pk_fma_f32 v[98:99], v[174:175], v[158:159], v[94:95] op_sel_hi:[1,0,1]
	v_pk_fma_f32 v[94:95], v[174:175], v[158:159], v[94:95] neg_lo:[0,0,1] neg_hi:[0,0,1]
	s_delay_alu instid0(VALU_DEP_4)
	v_pk_add_f32 v[88:89], v[88:89], v[90:91]
	v_pk_fma_f32 v[90:91], v[184:185], v[160:161], v[100:101] op_sel_hi:[1,0,1]
	v_pk_mul_f32 v[96:97], v[254:255], v[96:97] op_sel_hi:[1,0]
	v_mov_b32_e32 v95, v99
	v_pk_fma_f32 v[98:99], v[184:185], v[160:161], v[100:101] neg_lo:[0,0,1] neg_hi:[0,0,1]
	v_pk_add_f32 v[88:89], v[88:89], v[92:93]
	v_mov_b32_e32 v99, v91
	v_pk_fma_f32 v[90:91], v[186:187], v[162:163], v[96:97] op_sel_hi:[1,0,1]
	s_wait_loadcnt 0x1
	v_pk_mul_f32 v[92:93], v[188:189], v[164:165] op_sel:[1,1] op_sel_hi:[0,1]
	v_mov_b32_e32 v90, v167
	v_pk_add_f32 v[88:89], v[88:89], v[94:95]
	v_pk_fma_f32 v[96:97], v[186:187], v[162:163], v[96:97] neg_lo:[0,0,1] neg_hi:[0,0,1]
	v_mov_b32_e32 v97, v91
	v_pk_fma_f32 v[94:95], v[188:189], v[164:165], v[92:93] op_sel_hi:[1,0,1]
	s_set_vgpr_msb 1                        ;  msbs: dst=0 src0=1 src1=0 src2=0
	v_pk_mul_f32 v[90:91], v[0:1] /*v[256:257]*/, v[90:91] op_sel_hi:[1,0]
	s_set_vgpr_msb 0                        ;  msbs: dst=0 src0=0 src1=0 src2=0
	v_pk_add_f32 v[88:89], v[88:89], v[98:99]
	v_pk_fma_f32 v[92:93], v[188:189], v[164:165], v[92:93] neg_lo:[0,0,1] neg_hi:[0,0,1]
	v_mov_b32_e32 v93, v95
	v_pk_fma_f32 v[94:95], v[190:191], v[166:167], v[90:91] op_sel_hi:[1,0,1]
	s_delay_alu instid0(VALU_DEP_4) | instskip(SKIP_1) | instid1(VALU_DEP_3)
	v_pk_add_f32 v[88:89], v[88:89], v[96:97]
	v_pk_fma_f32 v[90:91], v[190:191], v[166:167], v[90:91] neg_lo:[0,0,1] neg_hi:[0,0,1]
	v_mov_b32_e32 v91, v95
	s_delay_alu instid0(VALU_DEP_3) | instskip(NEXT) | instid1(VALU_DEP_1)
	v_pk_add_f32 v[88:89], v[88:89], v[92:93]
	v_pk_add_f32 v[88:89], v[88:89], v[90:91]
	s_wait_loadcnt 0x0
	s_delay_alu instid0(VALU_DEP_1)
	v_pk_add_f32 v[88:89], v[248:249], v[88:89] neg_lo:[0,1] neg_hi:[0,1]
	scratch_store_b64 off, v[88:89], off offset:16
	s_wait_xcnt 0x0
	v_cmpx_lt_u32_e32 1, v0
	s_cbranch_execz .LBB106_269
; %bb.268:
	scratch_load_b64 v[88:89], off, off offset:8
	v_mov_b64_e32 v[90:91], 0
	scratch_store_b64 off, v[90:91], off offset:8
	s_wait_loadcnt 0x0
	ds_store_b64 v1, v[88:89]
.LBB106_269:
	s_wait_xcnt 0x0
	s_or_b32 exec_lo, exec_lo, s0
	s_wait_storecnt_dscnt 0x0
	s_barrier_signal -1
	s_barrier_wait -1
	s_clause 0x15
	scratch_load_b128 v[90:93], off, off offset:16
	scratch_load_b128 v[94:97], off, off offset:32
	;; [unrolled: 1-line block ×20, first 2 shown]
	scratch_load_b64 v[250:251], off, off offset:336
	scratch_load_b64 v[252:253], off, off offset:8
	v_dual_mov_b32 v88, 0 :: v_dual_ashrrev_i32 v55, 31, v54
	v_dual_ashrrev_i32 v7, 31, v6 :: v_dual_ashrrev_i32 v9, 31, v8
	v_dual_ashrrev_i32 v11, 31, v10 :: v_dual_ashrrev_i32 v13, 31, v12
	ds_load_b128 v[170:173], v88 offset:368
	ds_load_b128 v[174:177], v88 offset:384
	;; [unrolled: 1-line block ×20, first 2 shown]
	v_dual_ashrrev_i32 v15, 31, v14 :: v_dual_ashrrev_i32 v17, 31, v16
	v_dual_ashrrev_i32 v19, 31, v18 :: v_dual_ashrrev_i32 v21, 31, v20
	;; [unrolled: 1-line block ×12, first 2 shown]
	s_mov_b32 s0, exec_lo
	s_wait_loadcnt_dscnt 0x1513
	v_dual_mul_f32 v65, v170, v91 :: v_dual_mul_f32 v67, v172, v93
	v_dual_mul_f32 v69, v171, v91 :: v_dual_mul_f32 v71, v173, v93
	s_wait_loadcnt_dscnt 0x1412
	s_delay_alu instid0(VALU_DEP_2) | instskip(NEXT) | instid1(VALU_DEP_2)
	v_dual_mul_f32 v73, v174, v95 :: v_dual_fmac_f32 v65, v171, v90
	v_dual_fmac_f32 v67, v173, v92 :: v_dual_fma_f32 v69, v170, v90, -v69
	s_wait_dscnt 0xb
	v_dual_fma_f32 v71, v172, v92, -v71 :: v_dual_mov_b32 v92, v205
	v_dual_mul_f32 v75, v176, v97 :: v_dual_mul_f32 v77, v175, v95
	s_wait_loadcnt 0xf
	v_dual_mul_f32 v172, v194, v115 :: v_dual_add_f32 v65, 0, v65
	v_add_f32_e32 v69, 0, v69
	v_dual_mul_f32 v79, v177, v97 :: v_dual_mov_b32 v93, v204
	v_dual_fmac_f32 v73, v175, v94 :: v_dual_fmac_f32 v75, v177, v96
	s_delay_alu instid0(VALU_DEP_2)
	v_dual_fma_f32 v77, v174, v94, -v77 :: v_dual_fma_f32 v79, v176, v96, -v79
	v_add_f32_e32 v65, v65, v67
	s_wait_loadcnt_dscnt 0xd0a
	v_dual_add_f32 v69, v69, v71 :: v_dual_mul_f32 v71, v208, v125
	s_wait_dscnt 0x1
	v_dual_mov_b32 v96, v245 :: v_dual_mul_f32 v81, v178, v99
	v_dual_mul_f32 v83, v180, v101 :: v_dual_mul_f32 v85, v179, v99
	v_dual_mul_f32 v87, v181, v101 :: v_dual_mov_b32 v97, v244
	v_mul_f32_e32 v89, v182, v103
	v_mul_f32_e32 v170, v186, v107
	v_dual_mul_f32 v101, v183, v103 :: v_dual_mul_f32 v103, v185, v105
	s_wait_loadcnt 0xc
	v_dual_mul_f32 v176, v210, v127 :: v_dual_add_f32 v65, v65, v73
	v_dual_add_f32 v69, v69, v77 :: v_dual_fmac_f32 v81, v179, v98
	v_dual_fmac_f32 v83, v181, v100 :: v_dual_fma_f32 v85, v178, v98, -v85
	v_fma_f32 v87, v180, v100, -v87
	v_mul_f32_e32 v100, v184, v105
	v_dual_mul_f32 v105, v188, v109 :: v_dual_fmac_f32 v89, v183, v102
	v_dual_fma_f32 v101, v182, v102, -v101 :: v_dual_fma_f32 v102, v184, v104, -v103
	v_mul_f32_e32 v103, v187, v107
	v_add_f32_e32 v65, v65, v75
	v_add_f32_e32 v69, v69, v79
	v_dual_mul_f32 v75, v189, v109 :: v_dual_fmac_f32 v170, v187, v106
	s_wait_loadcnt 0xb
	v_dual_mul_f32 v79, v216, v133 :: v_dual_fma_f32 v106, v186, v106, -v103
	s_wait_loadcnt 0xa
	v_dual_mul_f32 v107, v218, v135 :: v_dual_add_f32 v65, v65, v81
	v_add_f32_e32 v69, v69, v85
	v_dual_fmac_f32 v105, v189, v108 :: v_dual_fma_f32 v75, v188, v108, -v75
	s_wait_loadcnt 0x9
	s_delay_alu instid0(VALU_DEP_3)
	v_dual_mul_f32 v108, v224, v141 :: v_dual_add_f32 v65, v65, v83
	s_wait_loadcnt 0x8
	v_mul_f32_e32 v83, v226, v143
	v_dual_add_f32 v69, v69, v87 :: v_dual_mul_f32 v87, v228, v145
	s_wait_loadcnt 0x7
	v_dual_fmac_f32 v100, v185, v104 :: v_dual_mul_f32 v109, v230, v147
	v_add_f32_e32 v65, v65, v89
	s_wait_loadcnt 0x5
	v_dual_add_f32 v69, v69, v101 :: v_dual_mul_f32 v103, v202, v155
	v_dual_mul_f32 v101, v236, v153 :: v_dual_mul_f32 v104, v190, v111
	s_delay_alu instid0(VALU_DEP_3) | instskip(NEXT) | instid1(VALU_DEP_3)
	v_dual_mul_f32 v171, v192, v113 :: v_dual_add_f32 v65, v65, v100
	v_dual_add_f32 v69, v69, v102 :: v_dual_mul_f32 v100, v191, v111
	v_dual_mul_f32 v102, v193, v113 :: v_dual_mul_f32 v111, v195, v115
	s_delay_alu instid0(VALU_DEP_3) | instskip(NEXT) | instid1(VALU_DEP_3)
	v_dual_add_f32 v65, v65, v170 :: v_dual_mul_f32 v113, v199, v119
	v_add_f32_e32 v69, v69, v106
	s_delay_alu instid0(VALU_DEP_4) | instskip(NEXT) | instid1(VALU_DEP_3)
	v_dual_fma_f32 v100, v190, v110, -v100 :: v_dual_mul_f32 v173, v196, v117
	v_dual_mul_f32 v174, v198, v119 :: v_dual_add_f32 v65, v65, v105
	s_delay_alu instid0(VALU_DEP_3) | instskip(SKIP_2) | instid1(VALU_DEP_3)
	v_dual_add_f32 v69, v69, v75 :: v_dual_fmac_f32 v172, v195, v114
	v_dual_mul_f32 v106, v197, v117 :: v_dual_fmac_f32 v104, v191, v110
	v_dual_mul_f32 v105, v201, v121 :: v_dual_fma_f32 v102, v192, v112, -v102
	v_dual_add_f32 v69, v69, v100 :: v_dual_fmac_f32 v174, v199, v118
	v_dual_fmac_f32 v171, v193, v112 :: v_dual_mul_f32 v100, v211, v127
	v_mul_f32_e32 v110, v209, v125
	v_dual_add_f32 v65, v65, v104 :: v_dual_fma_f32 v104, v194, v114, -v111
	s_delay_alu instid0(VALU_DEP_4) | instskip(SKIP_2) | instid1(VALU_DEP_2)
	v_dual_add_f32 v69, v69, v102 :: v_dual_fma_f32 v105, v200, v120, -v105
	v_dual_mul_f32 v75, v207, v123 :: v_dual_fma_f32 v106, v196, v116, -v106
	v_dual_mul_f32 v175, v200, v121 :: v_dual_mul_f32 v67, v206, v123
	v_dual_add_f32 v69, v69, v104 :: v_dual_fma_f32 v75, v206, v122, -v75
	v_mul_f32_e32 v104, v215, v131
	v_add_f32_e32 v65, v65, v171
	v_dual_mul_f32 v102, v213, v129 :: v_dual_fma_f32 v111, v198, v118, -v113
	v_fmac_f32_e32 v173, v197, v116
	v_add_f32_e32 v69, v69, v106
	s_delay_alu instid0(VALU_DEP_4) | instskip(SKIP_1) | instid1(VALU_DEP_3)
	v_dual_add_f32 v65, v65, v172 :: v_dual_fmac_f32 v67, v207, v122
	v_dual_fmac_f32 v175, v201, v120 :: v_dual_fmac_f32 v176, v211, v126
	v_add_f32_e32 v69, v69, v111
	s_delay_alu instid0(VALU_DEP_3) | instskip(SKIP_1) | instid1(VALU_DEP_3)
	v_dual_mul_f32 v111, v219, v135 :: v_dual_add_f32 v65, v65, v173
	v_dual_fma_f32 v110, v208, v124, -v110 :: v_dual_mul_f32 v106, v217, v133
	v_add_f32_e32 v69, v69, v105
	v_fmac_f32_e32 v71, v209, v124
	s_delay_alu instid0(VALU_DEP_4) | instskip(SKIP_1) | instid1(VALU_DEP_2)
	v_dual_add_f32 v65, v65, v174 :: v_dual_mul_f32 v73, v212, v129
	v_dual_mul_f32 v77, v214, v131 :: v_dual_mul_f32 v105, v221, v137
	v_dual_fmac_f32 v107, v219, v134 :: v_dual_add_f32 v65, v65, v175
	s_delay_alu instid0(VALU_DEP_3) | instskip(NEXT) | instid1(VALU_DEP_3)
	v_fmac_f32_e32 v73, v213, v128
	v_dual_fmac_f32 v77, v215, v130 :: v_dual_mul_f32 v81, v220, v137
	v_mul_f32_e32 v85, v222, v139
	s_delay_alu instid0(VALU_DEP_4) | instskip(SKIP_3) | instid1(VALU_DEP_3)
	v_add_f32_e32 v65, v65, v67
	v_dual_add_f32 v67, v69, v75 :: v_dual_fma_f32 v75, v210, v126, -v100
	v_dual_fma_f32 v100, v212, v128, -v102 :: v_dual_fma_f32 v102, v214, v130, -v104
	v_mul_f32_e32 v69, v223, v139
	v_add_f32_e32 v67, v67, v110
	v_dual_fmac_f32 v85, v223, v138 :: v_dual_fmac_f32 v108, v225, v140
	v_fmac_f32_e32 v83, v227, v142
	s_delay_alu instid0(VALU_DEP_3) | instskip(SKIP_2) | instid1(VALU_DEP_3)
	v_dual_fma_f32 v69, v222, v138, -v69 :: v_dual_add_f32 v67, v67, v75
	v_dual_mul_f32 v75, v227, v143 :: v_dual_mul_f32 v89, v232, v149
	v_dual_mul_f32 v177, v234, v151 :: v_dual_mov_b32 v94, v241
	v_dual_mov_b32 v95, v240 :: v_dual_add_f32 v67, v67, v100
	v_dual_add_f32 v65, v65, v71 :: v_dual_fma_f32 v100, v216, v132, -v106
	s_delay_alu instid0(VALU_DEP_4) | instskip(NEXT) | instid1(VALU_DEP_2)
	v_dual_mul_f32 v71, v225, v141 :: v_dual_fma_f32 v75, v226, v142, -v75
	v_dual_add_f32 v67, v67, v102 :: v_dual_add_f32 v65, v65, v176
	v_fma_f32 v102, v218, v134, -v111
	s_wait_loadcnt 0x4
	v_dual_fmac_f32 v109, v231, v146 :: v_dual_mov_b32 v106, v161
	s_delay_alu instid0(VALU_DEP_3) | instskip(SKIP_2) | instid1(VALU_DEP_3)
	v_dual_add_f32 v67, v67, v100 :: v_dual_add_f32 v65, v65, v73
	v_fmac_f32_e32 v79, v217, v132
	v_dual_mul_f32 v73, v229, v145 :: v_dual_fma_f32 v100, v220, v136, -v105
	v_dual_add_f32 v67, v67, v102 :: v_dual_add_f32 v65, v65, v77
	v_dual_mul_f32 v77, v231, v147 :: v_dual_fma_f32 v71, v224, v140, -v71
	s_delay_alu instid0(VALU_DEP_2) | instskip(NEXT) | instid1(VALU_DEP_3)
	v_dual_mov_b32 v102, v157 :: v_dual_add_f32 v67, v67, v100
	v_add_f32_e32 v65, v65, v79
	v_mul_f32_e32 v79, v233, v149
	v_fmac_f32_e32 v81, v221, v136
	s_delay_alu instid0(VALU_DEP_4) | instskip(NEXT) | instid1(VALU_DEP_4)
	v_dual_fmac_f32 v89, v233, v148 :: v_dual_add_f32 v67, v67, v69
	v_add_f32_e32 v65, v65, v107
	v_dual_mul_f32 v107, v235, v151 :: v_dual_fmac_f32 v177, v235, v150
	v_mul_f32_e32 v69, v203, v155
	s_delay_alu instid0(VALU_DEP_3) | instskip(SKIP_1) | instid1(VALU_DEP_2)
	v_dual_add_f32 v67, v67, v71 :: v_dual_add_f32 v65, v65, v81
	v_dual_fmac_f32 v87, v229, v144 :: v_dual_fma_f32 v71, v228, v144, -v73
	v_dual_mul_f32 v81, v237, v153 :: v_dual_add_f32 v67, v67, v75
	s_delay_alu instid0(VALU_DEP_3)
	v_add_f32_e32 v65, v65, v85
	v_pk_mul_f32 v[92:93], v[92:93], v[102:103] op_sel_hi:[1,0]
	v_pk_mul_f32 v[104:105], v[238:239], v[158:159] op_sel:[1,1] op_sel_hi:[0,1]
	s_wait_loadcnt 0x3
	v_dual_mov_b32 v112, v165 :: v_dual_fmac_f32 v103, v203, v154
	v_dual_add_f32 v65, v65, v108 :: v_dual_add_f32 v67, v67, v71
	v_fma_f32 v71, v232, v148, -v79
	v_pk_fma_f32 v[114:115], v[204:205], v[156:157], v[92:93] op_sel_hi:[1,0,1]
	s_delay_alu instid0(VALU_DEP_3) | instskip(SKIP_3) | instid1(VALU_DEP_4)
	v_dual_fma_f32 v102, v202, v154, -v69 :: v_dual_add_f32 v65, v65, v83
	v_fma_f32 v73, v230, v146, -v77
	v_pk_fma_f32 v[92:93], v[204:205], v[156:157], v[92:93] neg_lo:[0,0,1] neg_hi:[0,0,1]
	v_pk_mul_f32 v[94:95], v[94:95], v[106:107] op_sel_hi:[1,0]
	v_dual_mov_b32 v93, v115 :: v_dual_add_f32 v65, v65, v87
	s_delay_alu instid0(VALU_DEP_4)
	v_dual_add_f32 v67, v67, v73 :: v_dual_fma_f32 v73, v234, v150, -v107
	ds_load_b64 v[90:91], v88 offset:688
	v_pk_fma_f32 v[106:107], v[240:241], v[160:161], v[94:95] op_sel_hi:[1,0,1]
	v_dual_add_f32 v65, v65, v109 :: v_dual_add_f32 v67, v67, v71
	v_fmac_f32_e32 v101, v237, v152
	v_pk_mul_f32 v[108:109], v[242:243], v[162:163] op_sel:[1,1] op_sel_hi:[0,1]
	v_pk_fma_f32 v[94:95], v[240:241], v[160:161], v[94:95] neg_lo:[0,0,1] neg_hi:[0,0,1]
	s_delay_alu instid0(VALU_DEP_4) | instskip(SKIP_2) | instid1(VALU_DEP_3)
	v_dual_add_f32 v65, v65, v89 :: v_dual_fma_f32 v100, v236, v152, -v81
	v_add_f32_e32 v110, v67, v73
	v_pk_mul_f32 v[96:97], v[96:97], v[112:113] op_sel_hi:[1,0]
	v_dual_mov_b32 v95, v107 :: v_dual_add_f32 v111, v65, v177
	s_wait_dscnt 0x1
	v_dual_mov_b32 v98, v249 :: v_dual_mov_b32 v99, v248
	s_delay_alu instid0(VALU_DEP_3)
	v_pk_fma_f32 v[106:107], v[244:245], v[164:165], v[96:97] op_sel_hi:[1,0,1]
	v_pk_fma_f32 v[96:97], v[244:245], v[164:165], v[96:97] neg_lo:[0,0,1] neg_hi:[0,0,1]
	v_pk_add_f32 v[100:101], v[110:111], v[100:101]
	v_pk_fma_f32 v[110:111], v[238:239], v[158:159], v[104:105] op_sel_hi:[1,0,1]
	v_pk_fma_f32 v[104:105], v[238:239], v[158:159], v[104:105] neg_lo:[0,0,1] neg_hi:[0,0,1]
	v_dual_mov_b32 v97, v107 :: v_dual_ashrrev_i32 v65, 31, v64
	s_delay_alu instid0(VALU_DEP_4) | instskip(NEXT) | instid1(VALU_DEP_4)
	v_pk_add_f32 v[100:101], v[100:101], v[102:103]
	v_mov_b32_e32 v105, v111
	s_wait_loadcnt 0x2
	v_pk_mul_f32 v[102:103], v[246:247], v[166:167] op_sel:[1,1] op_sel_hi:[0,1]
	v_dual_ashrrev_i32 v67, 31, v66 :: v_dual_ashrrev_i32 v69, 31, v68
	v_pk_add_f32 v[92:93], v[100:101], v[92:93]
	v_pk_fma_f32 v[100:101], v[242:243], v[162:163], v[108:109] op_sel_hi:[1,0,1]
	v_dual_mov_b32 v100, v169 :: v_dual_ashrrev_i32 v73, 31, v72
	v_ashrrev_i32_e32 v75, 31, v74
	s_delay_alu instid0(VALU_DEP_4)
	v_pk_add_f32 v[92:93], v[92:93], v[104:105]
	v_pk_fma_f32 v[104:105], v[242:243], v[162:163], v[108:109] neg_lo:[0,0,1] neg_hi:[0,0,1]
	v_mov_b32_e32 v105, v101
	v_pk_mul_f32 v[98:99], v[98:99], v[100:101] op_sel_hi:[1,0]
	v_pk_fma_f32 v[100:101], v[246:247], v[166:167], v[102:103] neg_lo:[0,0,1] neg_hi:[0,0,1]
	v_pk_add_f32 v[92:93], v[92:93], v[94:95]
	v_pk_fma_f32 v[94:95], v[246:247], v[166:167], v[102:103] op_sel_hi:[1,0,1]
	v_dual_ashrrev_i32 v77, 31, v76 :: v_dual_ashrrev_i32 v79, 31, v78
	v_dual_ashrrev_i32 v81, 31, v80 :: v_dual_ashrrev_i32 v83, 31, v82
	s_delay_alu instid0(VALU_DEP_4) | instskip(NEXT) | instid1(VALU_DEP_4)
	v_pk_add_f32 v[92:93], v[92:93], v[104:105]
	v_mov_b32_e32 v101, v95
	v_pk_fma_f32 v[94:95], v[248:249], v[168:169], v[98:99] op_sel_hi:[1,0,1]
	v_pk_fma_f32 v[98:99], v[248:249], v[168:169], v[98:99] neg_lo:[0,0,1] neg_hi:[0,0,1]
	v_dual_ashrrev_i32 v85, 31, v84 :: v_dual_ashrrev_i32 v87, 31, v86
	v_pk_add_f32 v[92:93], v[92:93], v[96:97]
	s_wait_loadcnt_dscnt 0x100
	v_pk_mul_f32 v[96:97], v[90:91], v[250:251] op_sel:[1,1] op_sel_hi:[0,1]
	v_mov_b32_e32 v99, v95
	s_delay_alu instid0(VALU_DEP_3) | instskip(NEXT) | instid1(VALU_DEP_3)
	v_pk_add_f32 v[92:93], v[92:93], v[100:101]
	v_pk_fma_f32 v[94:95], v[90:91], v[250:251], v[96:97] op_sel_hi:[1,0,1]
	v_pk_fma_f32 v[90:91], v[90:91], v[250:251], v[96:97] neg_lo:[0,0,1] neg_hi:[0,0,1]
	v_ashrrev_i32_e32 v71, 31, v70
	s_delay_alu instid0(VALU_DEP_4) | instskip(NEXT) | instid1(VALU_DEP_4)
	v_pk_add_f32 v[92:93], v[92:93], v[98:99]
	v_mov_b32_e32 v91, v95
	s_delay_alu instid0(VALU_DEP_1) | instskip(SKIP_1) | instid1(VALU_DEP_1)
	v_pk_add_f32 v[90:91], v[92:93], v[90:91]
	s_wait_loadcnt 0x0
	v_pk_add_f32 v[90:91], v[252:253], v[90:91] neg_lo:[0,1] neg_hi:[0,1]
	scratch_store_b64 off, v[90:91], off offset:8
	s_wait_xcnt 0x0
	v_cmpx_ne_u32_e32 0, v0
	s_cbranch_execz .LBB106_271
; %bb.270:
	scratch_load_b64 v[90:91], off, off
	v_mov_b64_e32 v[92:93], 0
	scratch_store_b64 off, v[92:93], off
	s_wait_loadcnt 0x0
	ds_store_b64 v1, v[90:91]
.LBB106_271:
	s_wait_xcnt 0x0
	s_or_b32 exec_lo, exec_lo, s0
	s_wait_storecnt_dscnt 0x0
	s_barrier_signal -1
	s_barrier_wait -1
	s_clause 0x10
	scratch_load_b128 v[94:97], off, off offset:8
	scratch_load_b128 v[102:105], off, off offset:24
	;; [unrolled: 1-line block ×17, first 2 shown]
	ds_load_2addr_b64 v[90:93], v88 offset0:45 offset1:46
	ds_load_2addr_b64 v[98:101], v88 offset0:47 offset1:48
	;; [unrolled: 1-line block ×17, first 2 shown]
	s_clause 0x3
	scratch_load_b128 v[226:229], off, off offset:280
	scratch_load_b128 v[230:233], off, off offset:296
	;; [unrolled: 1-line block ×4, first 2 shown]
	s_and_b32 vcc_lo, exec_lo, s12
	s_wait_loadcnt_dscnt 0x1410
	v_dual_mul_f32 v0, v90, v95 :: v_dual_mul_f32 v1, v92, v97
	s_wait_loadcnt_dscnt 0x120e
	v_dual_mul_f32 v243, v218, v223 :: v_dual_mul_f32 v245, v220, v225
	s_delay_alu instid0(VALU_DEP_2) | instskip(NEXT) | instid1(VALU_DEP_2)
	v_dual_mul_f32 v89, v93, v97 :: v_dual_fmac_f32 v0, v91, v94
	v_dual_fmac_f32 v1, v93, v96 :: v_dual_fmac_f32 v243, v219, v222
	s_delay_alu instid0(VALU_DEP_3) | instskip(NEXT) | instid1(VALU_DEP_3)
	v_fmac_f32_e32 v245, v221, v224
	v_fma_f32 v89, v92, v96, -v89
	s_delay_alu instid0(VALU_DEP_4) | instskip(NEXT) | instid1(VALU_DEP_1)
	v_add_f32_e32 v0, 0, v0
	v_dual_add_f32 v0, v0, v1 :: v_dual_mul_f32 v1, v98, v103
	s_delay_alu instid0(VALU_DEP_1) | instskip(NEXT) | instid1(VALU_DEP_1)
	v_fmac_f32_e32 v1, v99, v102
	v_add_f32_e32 v0, v0, v1
	v_mul_f32_e32 v1, v100, v105
	s_delay_alu instid0(VALU_DEP_1) | instskip(SKIP_1) | instid1(VALU_DEP_1)
	v_fmac_f32_e32 v1, v101, v104
	s_wait_loadcnt_dscnt 0x110d
	v_dual_add_f32 v0, v0, v1 :: v_dual_mul_f32 v1, v106, v111
	s_delay_alu instid0(VALU_DEP_1) | instskip(NEXT) | instid1(VALU_DEP_1)
	v_fmac_f32_e32 v1, v107, v110
	v_add_f32_e32 v0, v0, v1
	v_mul_f32_e32 v1, v108, v113
	s_delay_alu instid0(VALU_DEP_1) | instskip(SKIP_1) | instid1(VALU_DEP_1)
	v_fmac_f32_e32 v1, v109, v112
	s_wait_loadcnt_dscnt 0x100c
	;; [unrolled: 8-line block ×14, first 2 shown]
	v_dual_add_f32 v0, v0, v1 :: v_dual_mul_f32 v1, v210, v215
	s_delay_alu instid0(VALU_DEP_1) | instskip(NEXT) | instid1(VALU_DEP_1)
	v_fmac_f32_e32 v1, v211, v214
	v_add_f32_e32 v0, v0, v1
	v_mul_f32_e32 v1, v212, v217
	s_delay_alu instid0(VALU_DEP_1) | instskip(NEXT) | instid1(VALU_DEP_1)
	v_fmac_f32_e32 v1, v213, v216
	v_dual_add_f32 v1, v0, v1 :: v_dual_mul_f32 v0, v91, v95
	s_delay_alu instid0(VALU_DEP_1) | instskip(NEXT) | instid1(VALU_DEP_1)
	v_fma_f32 v0, v90, v94, -v0
	v_add_f32_e32 v0, 0, v0
	s_delay_alu instid0(VALU_DEP_1) | instskip(NEXT) | instid1(VALU_DEP_1)
	v_dual_add_f32 v0, v0, v89 :: v_dual_mul_f32 v89, v99, v103
	v_fma_f32 v89, v98, v102, -v89
	s_delay_alu instid0(VALU_DEP_1) | instskip(SKIP_1) | instid1(VALU_DEP_1)
	v_add_f32_e32 v0, v0, v89
	v_mul_f32_e32 v89, v101, v105
	v_fma_f32 v89, v100, v104, -v89
	ds_load_2addr_b64 v[90:93], v88 offset0:79 offset1:80
	ds_load_2addr_b64 v[94:97], v88 offset0:81 offset1:82
	;; [unrolled: 1-line block ×4, first 2 shown]
	v_dual_add_f32 v0, v0, v89 :: v_dual_mul_f32 v89, v107, v111
	s_delay_alu instid0(VALU_DEP_1) | instskip(NEXT) | instid1(VALU_DEP_1)
	v_fma_f32 v89, v106, v110, -v89
	v_add_f32_e32 v0, v0, v89
	v_mul_f32_e32 v89, v109, v113
	s_delay_alu instid0(VALU_DEP_1) | instskip(NEXT) | instid1(VALU_DEP_1)
	v_fma_f32 v89, v108, v112, -v89
	v_dual_add_f32 v0, v0, v89 :: v_dual_mul_f32 v89, v115, v119
	s_delay_alu instid0(VALU_DEP_1) | instskip(NEXT) | instid1(VALU_DEP_1)
	v_fma_f32 v89, v114, v118, -v89
	v_add_f32_e32 v0, v0, v89
	v_mul_f32_e32 v89, v117, v121
	s_delay_alu instid0(VALU_DEP_1) | instskip(NEXT) | instid1(VALU_DEP_1)
	v_fma_f32 v89, v116, v120, -v89
	;; [unrolled: 7-line block ×14, first 2 shown]
	v_dual_add_f32 v0, v0, v89 :: v_dual_mul_f32 v89, v219, v223
	s_delay_alu instid0(VALU_DEP_1) | instskip(NEXT) | instid1(VALU_DEP_1)
	v_dual_fma_f32 v242, v218, v222, -v89 :: v_dual_mul_f32 v89, v221, v225
	v_fma_f32 v244, v220, v224, -v89
	s_wait_loadcnt_dscnt 0x303
	v_pk_mul_f32 v[88:89], v[90:91], v[226:227] op_sel:[1,1] op_sel_hi:[0,1]
	s_delay_alu instid0(VALU_DEP_1) | instskip(SKIP_2) | instid1(VALU_DEP_2)
	v_pk_fma_f32 v[106:107], v[90:91], v[226:227], v[88:89] neg_lo:[0,0,1] neg_hi:[0,0,1]
	v_pk_fma_f32 v[88:89], v[90:91], v[226:227], v[88:89] op_sel_hi:[1,0,1]
	v_dual_mov_b32 v88, v93 :: v_dual_mov_b32 v90, v229
	v_dual_mov_b32 v107, v89 :: v_dual_mov_b32 v89, v92
	s_delay_alu instid0(VALU_DEP_1) | instskip(NEXT) | instid1(VALU_DEP_1)
	v_pk_mul_f32 v[88:89], v[88:89], v[90:91] op_sel_hi:[1,0]
	v_pk_fma_f32 v[90:91], v[92:93], v[228:229], v[88:89] neg_lo:[0,0,1] neg_hi:[0,0,1]
	v_pk_fma_f32 v[88:89], v[92:93], v[228:229], v[88:89] op_sel_hi:[1,0,1]
	s_delay_alu instid0(VALU_DEP_1) | instskip(SKIP_3) | instid1(VALU_DEP_2)
	v_mov_b32_e32 v91, v89
	v_pk_add_f32 v[0:1], v[0:1], v[242:243]
	s_wait_loadcnt_dscnt 0x202
	v_pk_mul_f32 v[88:89], v[94:95], v[230:231] op_sel:[1,1] op_sel_hi:[0,1]
	v_pk_add_f32 v[0:1], v[0:1], v[244:245]
	s_delay_alu instid0(VALU_DEP_1) | instskip(NEXT) | instid1(VALU_DEP_1)
	v_pk_add_f32 v[0:1], v[0:1], v[106:107]
	v_pk_add_f32 v[0:1], v[0:1], v[90:91]
	s_delay_alu instid0(VALU_DEP_4) | instskip(SKIP_1) | instid1(VALU_DEP_1)
	v_pk_fma_f32 v[90:91], v[94:95], v[230:231], v[88:89] neg_lo:[0,0,1] neg_hi:[0,0,1]
	v_pk_fma_f32 v[88:89], v[94:95], v[230:231], v[88:89] op_sel_hi:[1,0,1]
	v_dual_mov_b32 v88, v97 :: v_dual_mov_b32 v91, v89
	v_mov_b32_e32 v89, v96
	s_delay_alu instid0(VALU_DEP_2) | instskip(SKIP_1) | instid1(VALU_DEP_1)
	v_pk_add_f32 v[0:1], v[0:1], v[90:91]
	v_mov_b32_e32 v90, v233
	v_pk_mul_f32 v[88:89], v[88:89], v[90:91] op_sel_hi:[1,0]
	s_delay_alu instid0(VALU_DEP_1) | instskip(SKIP_1) | instid1(VALU_DEP_1)
	v_pk_fma_f32 v[90:91], v[96:97], v[232:233], v[88:89] neg_lo:[0,0,1] neg_hi:[0,0,1]
	v_pk_fma_f32 v[88:89], v[96:97], v[232:233], v[88:89] op_sel_hi:[1,0,1]
	v_mov_b32_e32 v91, v89
	s_wait_loadcnt_dscnt 0x101
	v_pk_mul_f32 v[88:89], v[98:99], v[234:235] op_sel:[1,1] op_sel_hi:[0,1]
	s_delay_alu instid0(VALU_DEP_2) | instskip(NEXT) | instid1(VALU_DEP_2)
	v_pk_add_f32 v[0:1], v[0:1], v[90:91]
	v_pk_fma_f32 v[90:91], v[98:99], v[234:235], v[88:89] neg_lo:[0,0,1] neg_hi:[0,0,1]
	v_pk_fma_f32 v[88:89], v[98:99], v[234:235], v[88:89] op_sel_hi:[1,0,1]
	s_delay_alu instid0(VALU_DEP_1) | instskip(SKIP_1) | instid1(VALU_DEP_2)
	v_dual_mov_b32 v88, v101 :: v_dual_mov_b32 v91, v89
	v_mov_b32_e32 v89, v100
	v_pk_add_f32 v[0:1], v[0:1], v[90:91]
	v_mov_b32_e32 v90, v237
	s_delay_alu instid0(VALU_DEP_1) | instskip(NEXT) | instid1(VALU_DEP_1)
	v_pk_mul_f32 v[88:89], v[88:89], v[90:91] op_sel_hi:[1,0]
	v_pk_fma_f32 v[90:91], v[100:101], v[236:237], v[88:89] neg_lo:[0,0,1] neg_hi:[0,0,1]
	v_pk_fma_f32 v[88:89], v[100:101], v[236:237], v[88:89] op_sel_hi:[1,0,1]
	s_delay_alu instid0(VALU_DEP_1) | instskip(SKIP_2) | instid1(VALU_DEP_2)
	v_mov_b32_e32 v91, v89
	s_wait_loadcnt_dscnt 0x0
	v_pk_mul_f32 v[88:89], v[102:103], v[238:239] op_sel:[1,1] op_sel_hi:[0,1]
	v_pk_add_f32 v[0:1], v[0:1], v[90:91]
	s_delay_alu instid0(VALU_DEP_2) | instskip(SKIP_1) | instid1(VALU_DEP_1)
	v_pk_fma_f32 v[90:91], v[102:103], v[238:239], v[88:89] neg_lo:[0,0,1] neg_hi:[0,0,1]
	v_pk_fma_f32 v[88:89], v[102:103], v[238:239], v[88:89] op_sel_hi:[1,0,1]
	v_dual_mov_b32 v88, v105 :: v_dual_mov_b32 v91, v89
	v_mov_b32_e32 v89, v104
	s_delay_alu instid0(VALU_DEP_2) | instskip(SKIP_1) | instid1(VALU_DEP_1)
	v_pk_add_f32 v[0:1], v[0:1], v[90:91]
	v_mov_b32_e32 v90, v241
	v_pk_mul_f32 v[88:89], v[88:89], v[90:91] op_sel_hi:[1,0]
	s_delay_alu instid0(VALU_DEP_1) | instskip(SKIP_1) | instid1(VALU_DEP_1)
	v_pk_fma_f32 v[90:91], v[104:105], v[240:241], v[88:89] neg_lo:[0,0,1] neg_hi:[0,0,1]
	v_pk_fma_f32 v[88:89], v[104:105], v[240:241], v[88:89] op_sel_hi:[1,0,1]
	v_mov_b32_e32 v91, v89
	scratch_load_b64 v[88:89], off, off
	v_pk_add_f32 v[0:1], v[0:1], v[90:91]
	s_wait_loadcnt 0x0
	s_delay_alu instid0(VALU_DEP_1)
	v_pk_add_f32 v[88:89], v[88:89], v[0:1] neg_lo:[0,1] neg_hi:[0,1]
	scratch_store_b64 off, v[88:89], off
	s_cbranch_vccz .LBB106_356
; %bb.272:
	v_mov_b32_e32 v0, 0
	global_load_b32 v1, v0, s[8:9] offset:164
	s_wait_loadcnt 0x0
	v_cmp_ne_u32_e32 vcc_lo, 42, v1
	s_cbranch_vccz .LBB106_274
; %bb.273:
	v_lshlrev_b32_e32 v1, 3, v1
	scratch_load_b64 v[88:89], v1, off offset:-8
	scratch_load_b64 v[90:91], off, off offset:328
	s_wait_loadcnt 0x1
	scratch_store_b64 off, v[88:89], off offset:328
	s_wait_loadcnt 0x0
	scratch_store_b64 v1, v[90:91], off offset:-8
.LBB106_274:
	global_load_b32 v0, v0, s[8:9] offset:160
	s_wait_loadcnt 0x0
	v_cmp_eq_u32_e32 vcc_lo, 41, v0
	s_cbranch_vccnz .LBB106_276
; %bb.275:
	s_wait_xcnt 0x0
	v_lshlrev_b32_e32 v0, 3, v0
	s_delay_alu instid0(VALU_DEP_1)
	v_mov_b32_e32 v90, v0
	scratch_load_b64 v[0:1], v90, off offset:-8
	scratch_load_b64 v[88:89], off, off offset:320
	s_wait_loadcnt 0x1
	scratch_store_b64 off, v[0:1], off offset:320
	s_wait_loadcnt 0x0
	scratch_store_b64 v90, v[88:89], off offset:-8
.LBB106_276:
	s_wait_xcnt 0x0
	v_mov_b32_e32 v0, 0
	global_load_b32 v1, v0, s[8:9] offset:156
	s_wait_loadcnt 0x0
	v_cmp_eq_u32_e32 vcc_lo, 40, v1
	s_cbranch_vccnz .LBB106_278
; %bb.277:
	v_lshlrev_b32_e32 v1, 3, v1
	scratch_load_b64 v[88:89], v1, off offset:-8
	scratch_load_b64 v[90:91], off, off offset:312
	s_wait_loadcnt 0x1
	scratch_store_b64 off, v[88:89], off offset:312
	s_wait_loadcnt 0x0
	scratch_store_b64 v1, v[90:91], off offset:-8
.LBB106_278:
	global_load_b32 v0, v0, s[8:9] offset:152
	s_wait_loadcnt 0x0
	v_cmp_eq_u32_e32 vcc_lo, 39, v0
	s_cbranch_vccnz .LBB106_280
; %bb.279:
	s_wait_xcnt 0x0
	v_lshlrev_b32_e32 v0, 3, v0
	s_delay_alu instid0(VALU_DEP_1)
	v_mov_b32_e32 v90, v0
	scratch_load_b64 v[0:1], v90, off offset:-8
	scratch_load_b64 v[88:89], off, off offset:304
	s_wait_loadcnt 0x1
	scratch_store_b64 off, v[0:1], off offset:304
	s_wait_loadcnt 0x0
	scratch_store_b64 v90, v[88:89], off offset:-8
.LBB106_280:
	s_wait_xcnt 0x0
	v_mov_b32_e32 v0, 0
	global_load_b32 v1, v0, s[8:9] offset:148
	s_wait_loadcnt 0x0
	v_cmp_eq_u32_e32 vcc_lo, 38, v1
	s_cbranch_vccnz .LBB106_282
; %bb.281:
	v_lshlrev_b32_e32 v1, 3, v1
	scratch_load_b64 v[88:89], v1, off offset:-8
	scratch_load_b64 v[90:91], off, off offset:296
	s_wait_loadcnt 0x1
	scratch_store_b64 off, v[88:89], off offset:296
	s_wait_loadcnt 0x0
	scratch_store_b64 v1, v[90:91], off offset:-8
.LBB106_282:
	;; [unrolled: 31-line block ×20, first 2 shown]
	global_load_b32 v0, v0, s[8:9]
	scratch_load_b64 v[88:89], off, off
	s_wait_loadcnt 0x1
	v_cmp_eq_u32_e32 vcc_lo, 1, v0
	s_cbranch_vccnz .LBB106_356
; %bb.355:
	s_wait_xcnt 0x1
	v_lshlrev_b32_e32 v0, 3, v0
	s_delay_alu instid0(VALU_DEP_1)
	v_mov_b32_e32 v90, v0
	scratch_load_b64 v[0:1], v90, off offset:-8
	s_wait_loadcnt 0x0
	scratch_store_b64 off, v[0:1], off
	scratch_store_b64 v90, v[88:89], off offset:-8
	scratch_load_b64 v[88:89], off, off
.LBB106_356:
	s_wait_loadcnt 0x0
	flat_store_b64 v[2:3], v[88:89]
	scratch_load_b64 v[2:3], off, off offset:8
	v_lshl_add_u64 v[128:129], v[6:7], 3, s[2:3]
	v_lshl_add_u64 v[126:127], v[8:9], 3, s[2:3]
	;; [unrolled: 1-line block ×41, first 2 shown]
	s_wait_loadcnt 0x0
	flat_store_b64 v[4:5], v[2:3]
	scratch_load_b64 v[2:3], off, off offset:16
	s_wait_loadcnt 0x0
	flat_store_b64 v[128:129], v[2:3]
	scratch_load_b64 v[2:3], off, off offset:24
	;; [unrolled: 3-line block ×41, first 2 shown]
	s_wait_loadcnt 0x0
	flat_store_b64 v[0:1], v[2:3]
	s_sendmsg sendmsg(MSG_DEALLOC_VGPRS)
	s_endpgm
	.section	.rodata,"a",@progbits
	.p2align	6, 0x0
	.amdhsa_kernel _ZN9rocsolver6v33100L18getri_kernel_smallILi43E19rocblas_complex_numIfEPKPS3_EEvT1_iilPiilS8_bb
		.amdhsa_group_segment_fixed_size 696
		.amdhsa_private_segment_fixed_size 352
		.amdhsa_kernarg_size 60
		.amdhsa_user_sgpr_count 2
		.amdhsa_user_sgpr_dispatch_ptr 0
		.amdhsa_user_sgpr_queue_ptr 0
		.amdhsa_user_sgpr_kernarg_segment_ptr 1
		.amdhsa_user_sgpr_dispatch_id 0
		.amdhsa_user_sgpr_kernarg_preload_length 0
		.amdhsa_user_sgpr_kernarg_preload_offset 0
		.amdhsa_user_sgpr_private_segment_size 0
		.amdhsa_wavefront_size32 1
		.amdhsa_uses_dynamic_stack 0
		.amdhsa_enable_private_segment 1
		.amdhsa_system_sgpr_workgroup_id_x 1
		.amdhsa_system_sgpr_workgroup_id_y 0
		.amdhsa_system_sgpr_workgroup_id_z 0
		.amdhsa_system_sgpr_workgroup_info 0
		.amdhsa_system_vgpr_workitem_id 0
		.amdhsa_next_free_vgpr 262
		.amdhsa_next_free_sgpr 19
		.amdhsa_named_barrier_count 0
		.amdhsa_reserve_vcc 1
		.amdhsa_float_round_mode_32 0
		.amdhsa_float_round_mode_16_64 0
		.amdhsa_float_denorm_mode_32 3
		.amdhsa_float_denorm_mode_16_64 3
		.amdhsa_fp16_overflow 0
		.amdhsa_memory_ordered 1
		.amdhsa_forward_progress 1
		.amdhsa_inst_pref_size 255
		.amdhsa_round_robin_scheduling 0
		.amdhsa_exception_fp_ieee_invalid_op 0
		.amdhsa_exception_fp_denorm_src 0
		.amdhsa_exception_fp_ieee_div_zero 0
		.amdhsa_exception_fp_ieee_overflow 0
		.amdhsa_exception_fp_ieee_underflow 0
		.amdhsa_exception_fp_ieee_inexact 0
		.amdhsa_exception_int_div_zero 0
	.end_amdhsa_kernel
	.section	.text._ZN9rocsolver6v33100L18getri_kernel_smallILi43E19rocblas_complex_numIfEPKPS3_EEvT1_iilPiilS8_bb,"axG",@progbits,_ZN9rocsolver6v33100L18getri_kernel_smallILi43E19rocblas_complex_numIfEPKPS3_EEvT1_iilPiilS8_bb,comdat
.Lfunc_end106:
	.size	_ZN9rocsolver6v33100L18getri_kernel_smallILi43E19rocblas_complex_numIfEPKPS3_EEvT1_iilPiilS8_bb, .Lfunc_end106-_ZN9rocsolver6v33100L18getri_kernel_smallILi43E19rocblas_complex_numIfEPKPS3_EEvT1_iilPiilS8_bb
                                        ; -- End function
	.set _ZN9rocsolver6v33100L18getri_kernel_smallILi43E19rocblas_complex_numIfEPKPS3_EEvT1_iilPiilS8_bb.num_vgpr, 262
	.set _ZN9rocsolver6v33100L18getri_kernel_smallILi43E19rocblas_complex_numIfEPKPS3_EEvT1_iilPiilS8_bb.num_agpr, 0
	.set _ZN9rocsolver6v33100L18getri_kernel_smallILi43E19rocblas_complex_numIfEPKPS3_EEvT1_iilPiilS8_bb.numbered_sgpr, 19
	.set _ZN9rocsolver6v33100L18getri_kernel_smallILi43E19rocblas_complex_numIfEPKPS3_EEvT1_iilPiilS8_bb.num_named_barrier, 0
	.set _ZN9rocsolver6v33100L18getri_kernel_smallILi43E19rocblas_complex_numIfEPKPS3_EEvT1_iilPiilS8_bb.private_seg_size, 352
	.set _ZN9rocsolver6v33100L18getri_kernel_smallILi43E19rocblas_complex_numIfEPKPS3_EEvT1_iilPiilS8_bb.uses_vcc, 1
	.set _ZN9rocsolver6v33100L18getri_kernel_smallILi43E19rocblas_complex_numIfEPKPS3_EEvT1_iilPiilS8_bb.uses_flat_scratch, 1
	.set _ZN9rocsolver6v33100L18getri_kernel_smallILi43E19rocblas_complex_numIfEPKPS3_EEvT1_iilPiilS8_bb.has_dyn_sized_stack, 0
	.set _ZN9rocsolver6v33100L18getri_kernel_smallILi43E19rocblas_complex_numIfEPKPS3_EEvT1_iilPiilS8_bb.has_recursion, 0
	.set _ZN9rocsolver6v33100L18getri_kernel_smallILi43E19rocblas_complex_numIfEPKPS3_EEvT1_iilPiilS8_bb.has_indirect_call, 0
	.section	.AMDGPU.csdata,"",@progbits
; Kernel info:
; codeLenInByte = 72232
; TotalNumSgprs: 21
; NumVgprs: 262
; ScratchSize: 352
; MemoryBound: 0
; FloatMode: 240
; IeeeMode: 1
; LDSByteSize: 696 bytes/workgroup (compile time only)
; SGPRBlocks: 0
; VGPRBlocks: 16
; NumSGPRsForWavesPerEU: 21
; NumVGPRsForWavesPerEU: 262
; NamedBarCnt: 0
; Occupancy: 3
; WaveLimiterHint : 1
; COMPUTE_PGM_RSRC2:SCRATCH_EN: 1
; COMPUTE_PGM_RSRC2:USER_SGPR: 2
; COMPUTE_PGM_RSRC2:TRAP_HANDLER: 0
; COMPUTE_PGM_RSRC2:TGID_X_EN: 1
; COMPUTE_PGM_RSRC2:TGID_Y_EN: 0
; COMPUTE_PGM_RSRC2:TGID_Z_EN: 0
; COMPUTE_PGM_RSRC2:TIDIG_COMP_CNT: 0
	.section	.text._ZN9rocsolver6v33100L18getri_kernel_smallILi44E19rocblas_complex_numIfEPKPS3_EEvT1_iilPiilS8_bb,"axG",@progbits,_ZN9rocsolver6v33100L18getri_kernel_smallILi44E19rocblas_complex_numIfEPKPS3_EEvT1_iilPiilS8_bb,comdat
	.globl	_ZN9rocsolver6v33100L18getri_kernel_smallILi44E19rocblas_complex_numIfEPKPS3_EEvT1_iilPiilS8_bb ; -- Begin function _ZN9rocsolver6v33100L18getri_kernel_smallILi44E19rocblas_complex_numIfEPKPS3_EEvT1_iilPiilS8_bb
	.p2align	8
	.type	_ZN9rocsolver6v33100L18getri_kernel_smallILi44E19rocblas_complex_numIfEPKPS3_EEvT1_iilPiilS8_bb,@function
_ZN9rocsolver6v33100L18getri_kernel_smallILi44E19rocblas_complex_numIfEPKPS3_EEvT1_iilPiilS8_bb: ; @_ZN9rocsolver6v33100L18getri_kernel_smallILi44E19rocblas_complex_numIfEPKPS3_EEvT1_iilPiilS8_bb
; %bb.0:
	s_mov_b32 s2, exec_lo
	v_cmpx_gt_u32_e32 44, v0
	s_cbranch_execz .LBB107_190
; %bb.1:
	s_clause 0x1
	s_load_b32 s13, s[0:1], 0x38
	s_load_b64 s[2:3], s[0:1], 0x0
	s_getreg_b32 s6, hwreg(HW_REG_IB_STS2, 6, 4)
	s_wait_kmcnt 0x0
	s_bitcmp1_b32 s13, 8
	s_cselect_b32 s12, -1, 0
	s_bfe_u32 s4, ttmp6, 0x4000c
	s_and_b32 s5, ttmp6, 15
	s_add_co_i32 s4, s4, 1
	s_delay_alu instid0(SALU_CYCLE_1) | instskip(NEXT) | instid1(SALU_CYCLE_1)
	s_mul_i32 s4, ttmp9, s4
	s_add_co_i32 s5, s5, s4
	s_cmp_eq_u32 s6, 0
	s_cselect_b32 s10, ttmp9, s5
	s_load_b128 s[4:7], s[0:1], 0x28
	s_ashr_i32 s11, s10, 31
	s_delay_alu instid0(SALU_CYCLE_1) | instskip(NEXT) | instid1(SALU_CYCLE_1)
	s_lshl_b64 s[8:9], s[10:11], 3
	s_add_nc_u64 s[2:3], s[2:3], s[8:9]
	s_bfe_u32 s8, s13, 0x10008
	s_load_b64 s[2:3], s[2:3], 0x0
	s_cmp_eq_u32 s8, 0
                                        ; implicit-def: $sgpr8_sgpr9
	s_cbranch_scc1 .LBB107_3
; %bb.2:
	s_load_b96 s[16:18], s[0:1], 0x18
	s_wait_kmcnt 0x0
	s_mul_u64 s[4:5], s[4:5], s[10:11]
	s_delay_alu instid0(SALU_CYCLE_1) | instskip(SKIP_4) | instid1(SALU_CYCLE_1)
	s_lshl_b64 s[4:5], s[4:5], 2
	s_ashr_i32 s9, s18, 31
	s_mov_b32 s8, s18
	s_add_nc_u64 s[4:5], s[16:17], s[4:5]
	s_lshl_b64 s[8:9], s[8:9], 2
	s_add_nc_u64 s[8:9], s[4:5], s[8:9]
.LBB107_3:
	s_wait_kmcnt 0x0
	s_clause 0x1
	s_load_b64 s[4:5], s[0:1], 0x8
	s_load_b32 s13, s[0:1], 0x38
	v_dual_mov_b32 v91, 0 :: v_dual_lshlrev_b32 v90, 3, v0
	s_wait_kmcnt 0x0
	s_ashr_i32 s1, s4, 31
	s_mov_b32 s0, s4
	s_delay_alu instid0(SALU_CYCLE_1) | instskip(NEXT) | instid1(SALU_CYCLE_1)
	s_lshl_b64 s[0:1], s[0:1], 3
	s_add_nc_u64 s[2:3], s[2:3], s[0:1]
	s_ashr_i32 s1, s5, 31
	flat_load_b64 v[6:7], v0, s[2:3] scale_offset
	v_add_nc_u64_e32 v[2:3], s[2:3], v[90:91]
	s_mov_b32 s0, s5
	s_bitcmp0_b32 s13, 0
	s_delay_alu instid0(VALU_DEP_1)
	v_lshl_add_u64 v[4:5], s[0:1], 3, v[2:3]
	s_mov_b32 s1, -1
	s_wait_loadcnt_dscnt 0x0
	scratch_store_b64 off, v[6:7], off
	flat_load_b64 v[8:9], v[4:5]
	s_wait_xcnt 0x1
	v_add3_u32 v6, s5, s5, v0
	s_wait_loadcnt_dscnt 0x0
	scratch_store_b64 off, v[8:9], off offset:8
	flat_load_b64 v[10:11], v6, s[2:3] scale_offset
	s_wait_xcnt 0x1
	v_add_nc_u32_e32 v8, s5, v6
	s_wait_loadcnt_dscnt 0x0
	scratch_store_b64 off, v[10:11], off offset:16
	flat_load_b64 v[12:13], v8, s[2:3] scale_offset
	s_wait_xcnt 0x1
	v_add_nc_u32_e32 v10, s5, v8
	;; [unrolled: 5-line block ×41, first 2 shown]
	s_wait_loadcnt_dscnt 0x0
	scratch_store_b64 off, v[92:93], off offset:336
	flat_load_b64 v[92:93], v88, s[2:3] scale_offset
	s_wait_loadcnt_dscnt 0x0
	scratch_store_b64 off, v[92:93], off offset:344
	s_cbranch_scc1 .LBB107_188
; %bb.4:
	v_cmp_eq_u32_e64 s0, 0, v0
	s_wait_xcnt 0x0
	s_and_saveexec_b32 s1, s0
; %bb.5:
	v_mov_b32_e32 v1, 0
	ds_store_b32 v1, v1 offset:704
; %bb.6:
	s_or_b32 exec_lo, exec_lo, s1
	s_wait_storecnt_dscnt 0x0
	s_barrier_signal -1
	s_barrier_wait -1
	scratch_load_b64 v[92:93], v0, off scale_offset
	s_wait_loadcnt 0x0
	v_cmp_eq_f32_e32 vcc_lo, 0, v92
	v_cmp_eq_f32_e64 s1, 0, v93
	s_and_b32 s1, vcc_lo, s1
	s_delay_alu instid0(SALU_CYCLE_1)
	s_and_saveexec_b32 s4, s1
	s_cbranch_execz .LBB107_10
; %bb.7:
	v_mov_b32_e32 v1, 0
	s_mov_b32 s5, 0
	ds_load_b32 v7, v1 offset:704
	s_wait_dscnt 0x0
	v_readfirstlane_b32 s1, v7
	v_add_nc_u32_e32 v7, 1, v0
	s_cmp_eq_u32 s1, 0
	s_delay_alu instid0(VALU_DEP_1) | instskip(SKIP_1) | instid1(SALU_CYCLE_1)
	v_cmp_gt_i32_e32 vcc_lo, s1, v7
	s_cselect_b32 s13, -1, 0
	s_or_b32 s13, s13, vcc_lo
	s_delay_alu instid0(SALU_CYCLE_1)
	s_and_b32 exec_lo, exec_lo, s13
	s_cbranch_execz .LBB107_10
; %bb.8:
	v_mov_b32_e32 v9, s1
.LBB107_9:                              ; =>This Inner Loop Header: Depth=1
	ds_cmpstore_rtn_b32 v9, v1, v7, v9 offset:704
	s_wait_dscnt 0x0
	v_cmp_ne_u32_e32 vcc_lo, 0, v9
	v_cmp_le_i32_e64 s1, v9, v7
	s_and_b32 s1, vcc_lo, s1
	s_delay_alu instid0(SALU_CYCLE_1) | instskip(NEXT) | instid1(SALU_CYCLE_1)
	s_and_b32 s1, exec_lo, s1
	s_or_b32 s5, s1, s5
	s_delay_alu instid0(SALU_CYCLE_1)
	s_and_not1_b32 exec_lo, exec_lo, s5
	s_cbranch_execnz .LBB107_9
.LBB107_10:
	s_or_b32 exec_lo, exec_lo, s4
	v_mov_b32_e32 v1, 0
	s_barrier_signal -1
	s_barrier_wait -1
	ds_load_b32 v7, v1 offset:704
	s_and_saveexec_b32 s1, s0
	s_cbranch_execz .LBB107_12
; %bb.11:
	s_lshl_b64 s[4:5], s[10:11], 2
	s_delay_alu instid0(SALU_CYCLE_1)
	s_add_nc_u64 s[4:5], s[6:7], s[4:5]
	s_wait_dscnt 0x0
	global_store_b32 v1, v7, s[4:5]
.LBB107_12:
	s_wait_xcnt 0x0
	s_or_b32 exec_lo, exec_lo, s1
	s_wait_dscnt 0x0
	v_cmp_ne_u32_e32 vcc_lo, 0, v7
	s_mov_b32 s1, 0
	s_cbranch_vccnz .LBB107_188
; %bb.13:
	v_lshl_add_u32 v7, v0, 3, 0
                                        ; implicit-def: $vgpr95
                                        ; implicit-def: $vgpr96
	scratch_load_b64 v[92:93], v7, off
	s_wait_loadcnt 0x0
	v_cmp_ngt_f32_e64 s1, |v92|, |v93|
	s_wait_xcnt 0x0
	s_and_saveexec_b32 s4, s1
	s_delay_alu instid0(SALU_CYCLE_1)
	s_xor_b32 s1, exec_lo, s4
	s_cbranch_execz .LBB107_15
; %bb.14:
	v_div_scale_f32 v1, null, v93, v93, v92
	v_div_scale_f32 v13, vcc_lo, v92, v93, v92
	s_delay_alu instid0(VALU_DEP_2) | instskip(SKIP_1) | instid1(TRANS32_DEP_1)
	v_rcp_f32_e32 v9, v1
	v_nop
	v_fma_f32 v11, -v1, v9, 1.0
	s_delay_alu instid0(VALU_DEP_1) | instskip(NEXT) | instid1(VALU_DEP_1)
	v_fmac_f32_e32 v9, v11, v9
	v_mul_f32_e32 v11, v13, v9
	s_delay_alu instid0(VALU_DEP_1) | instskip(NEXT) | instid1(VALU_DEP_1)
	v_fma_f32 v15, -v1, v11, v13
	v_fmac_f32_e32 v11, v15, v9
	s_delay_alu instid0(VALU_DEP_1) | instskip(NEXT) | instid1(VALU_DEP_1)
	v_fma_f32 v1, -v1, v11, v13
	v_div_fmas_f32 v1, v1, v9, v11
	s_delay_alu instid0(VALU_DEP_1) | instskip(NEXT) | instid1(VALU_DEP_1)
	v_div_fixup_f32 v1, v1, v93, v92
	v_fmac_f32_e32 v93, v92, v1
	s_delay_alu instid0(VALU_DEP_1) | instskip(NEXT) | instid1(VALU_DEP_1)
	v_div_scale_f32 v9, null, v93, v93, -1.0
	v_rcp_f32_e32 v11, v9
	v_nop
	s_delay_alu instid0(TRANS32_DEP_1) | instskip(NEXT) | instid1(VALU_DEP_1)
	v_fma_f32 v13, -v9, v11, 1.0
	v_fmac_f32_e32 v11, v13, v11
	v_div_scale_f32 v13, vcc_lo, -1.0, v93, -1.0
	s_delay_alu instid0(VALU_DEP_1) | instskip(NEXT) | instid1(VALU_DEP_1)
	v_mul_f32_e32 v15, v13, v11
	v_fma_f32 v17, -v9, v15, v13
	s_delay_alu instid0(VALU_DEP_1) | instskip(NEXT) | instid1(VALU_DEP_1)
	v_fmac_f32_e32 v15, v17, v11
	v_fma_f32 v9, -v9, v15, v13
	s_delay_alu instid0(VALU_DEP_1) | instskip(NEXT) | instid1(VALU_DEP_1)
	v_div_fmas_f32 v9, v9, v11, v15
	v_div_fixup_f32 v95, v9, v93, -1.0
                                        ; implicit-def: $vgpr92_vgpr93
	s_delay_alu instid0(VALU_DEP_1) | instskip(NEXT) | instid1(VALU_DEP_1)
	v_mul_f32_e32 v96, v1, v95
	v_xor_b32_e32 v94, 0x80000000, v96
.LBB107_15:
	s_and_not1_saveexec_b32 s1, s1
	s_cbranch_execz .LBB107_17
; %bb.16:
	v_div_scale_f32 v1, null, v92, v92, v93
	v_div_scale_f32 v13, vcc_lo, v93, v92, v93
	s_delay_alu instid0(VALU_DEP_2) | instskip(SKIP_1) | instid1(TRANS32_DEP_1)
	v_rcp_f32_e32 v9, v1
	v_nop
	v_fma_f32 v11, -v1, v9, 1.0
	s_delay_alu instid0(VALU_DEP_1) | instskip(NEXT) | instid1(VALU_DEP_1)
	v_fmac_f32_e32 v9, v11, v9
	v_mul_f32_e32 v11, v13, v9
	s_delay_alu instid0(VALU_DEP_1) | instskip(NEXT) | instid1(VALU_DEP_1)
	v_fma_f32 v15, -v1, v11, v13
	v_fmac_f32_e32 v11, v15, v9
	s_delay_alu instid0(VALU_DEP_1) | instskip(NEXT) | instid1(VALU_DEP_1)
	v_fma_f32 v1, -v1, v11, v13
	v_div_fmas_f32 v1, v1, v9, v11
	s_delay_alu instid0(VALU_DEP_1) | instskip(NEXT) | instid1(VALU_DEP_1)
	v_div_fixup_f32 v1, v1, v92, v93
	v_fmac_f32_e32 v92, v93, v1
	s_delay_alu instid0(VALU_DEP_1) | instskip(SKIP_1) | instid1(VALU_DEP_2)
	v_div_scale_f32 v9, null, v92, v92, 1.0
	v_div_scale_f32 v15, vcc_lo, 1.0, v92, 1.0
	v_rcp_f32_e32 v11, v9
	v_nop
	s_delay_alu instid0(TRANS32_DEP_1) | instskip(NEXT) | instid1(VALU_DEP_1)
	v_fma_f32 v13, -v9, v11, 1.0
	v_fmac_f32_e32 v11, v13, v11
	s_delay_alu instid0(VALU_DEP_1) | instskip(NEXT) | instid1(VALU_DEP_1)
	v_mul_f32_e32 v13, v15, v11
	v_fma_f32 v17, -v9, v13, v15
	s_delay_alu instid0(VALU_DEP_1) | instskip(NEXT) | instid1(VALU_DEP_1)
	v_fmac_f32_e32 v13, v17, v11
	v_fma_f32 v9, -v9, v13, v15
	s_delay_alu instid0(VALU_DEP_1) | instskip(NEXT) | instid1(VALU_DEP_1)
	v_div_fmas_f32 v9, v9, v11, v13
	v_div_fixup_f32 v94, v9, v92, 1.0
	s_delay_alu instid0(VALU_DEP_1)
	v_xor_b32_e32 v96, 0x80000000, v94
	v_mul_f32_e64 v95, v1, -v94
.LBB107_17:
	s_or_b32 exec_lo, exec_lo, s1
	scratch_store_b64 v7, v[94:95], off
	scratch_load_b64 v[92:93], off, off offset:8
	v_xor_b32_e32 v97, 0x80000000, v95
	v_add_nc_u32_e32 v1, 0x160, v90
	s_wait_loadcnt 0x0
	ds_store_2addr_b64 v90, v[96:97], v[92:93] offset1:44
	s_wait_storecnt_dscnt 0x0
	s_barrier_signal -1
	s_barrier_wait -1
	s_wait_xcnt 0x0
	s_and_saveexec_b32 s1, s0
	s_cbranch_execz .LBB107_19
; %bb.18:
	scratch_load_b64 v[92:93], v7, off
	ds_load_b64 v[94:95], v1
	s_wait_loadcnt_dscnt 0x0
	v_pk_mul_f32 v[98:99], v[94:95], v[92:93] op_sel:[1,1] op_sel_hi:[0,1]
	s_delay_alu instid0(VALU_DEP_1) | instskip(SKIP_2) | instid1(VALU_DEP_3)
	v_pk_fma_f32 v[100:101], v[94:95], v[92:93], v[98:99] op_sel_hi:[1,0,1]
	v_mov_b32_e32 v9, 0
	v_pk_fma_f32 v[92:93], v[94:95], v[92:93], v[98:99] neg_lo:[0,0,1] neg_hi:[0,0,1]
	v_mov_b32_e32 v93, v101
	ds_load_b64 v[96:97], v9 offset:8
	v_pk_add_f32 v[92:93], v[92:93], 0 op_sel_hi:[1,0]
	s_wait_dscnt 0x0
	s_delay_alu instid0(VALU_DEP_1) | instskip(NEXT) | instid1(VALU_DEP_1)
	v_pk_mul_f32 v[94:95], v[92:93], v[96:97] op_sel:[1,1] op_sel_hi:[0,1]
	v_pk_fma_f32 v[98:99], v[92:93], v[96:97], v[94:95] op_sel_hi:[1,0,1]
	v_pk_fma_f32 v[92:93], v[92:93], v[96:97], v[94:95] neg_lo:[0,0,1] neg_hi:[0,0,1]
	s_delay_alu instid0(VALU_DEP_2)
	v_mov_b32_e32 v93, v99
	scratch_store_b64 off, v[92:93], off offset:8
.LBB107_19:
	s_wait_xcnt 0x0
	s_or_b32 exec_lo, exec_lo, s1
	s_wait_storecnt 0x0
	s_barrier_signal -1
	s_barrier_wait -1
	scratch_load_b64 v[92:93], off, off offset:16
	s_mov_b32 s1, exec_lo
	s_wait_loadcnt 0x0
	ds_store_b64 v1, v[92:93]
	s_wait_dscnt 0x0
	s_barrier_signal -1
	s_barrier_wait -1
	v_cmpx_gt_u32_e32 2, v0
	s_cbranch_execz .LBB107_23
; %bb.20:
	scratch_load_b64 v[92:93], v7, off
	ds_load_b64 v[94:95], v1
	s_wait_loadcnt_dscnt 0x0
	v_pk_mul_f32 v[96:97], v[94:95], v[92:93] op_sel:[1,1] op_sel_hi:[0,1]
	s_delay_alu instid0(VALU_DEP_1) | instskip(SKIP_1) | instid1(VALU_DEP_2)
	v_pk_fma_f32 v[98:99], v[94:95], v[92:93], v[96:97] op_sel_hi:[1,0,1]
	v_pk_fma_f32 v[92:93], v[94:95], v[92:93], v[96:97] neg_lo:[0,0,1] neg_hi:[0,0,1]
	v_mov_b32_e32 v93, v99
	s_delay_alu instid0(VALU_DEP_1)
	v_pk_add_f32 v[92:93], v[92:93], 0 op_sel_hi:[1,0]
	s_and_saveexec_b32 s4, s0
	s_cbranch_execz .LBB107_22
; %bb.21:
	scratch_load_b64 v[94:95], off, off offset:8
	v_mov_b32_e32 v7, 0
	ds_load_b64 v[96:97], v7 offset:360
	s_wait_loadcnt_dscnt 0x0
	v_pk_mul_f32 v[98:99], v[96:97], v[94:95] op_sel:[1,1] op_sel_hi:[0,1]
	s_delay_alu instid0(VALU_DEP_1) | instskip(SKIP_1) | instid1(VALU_DEP_2)
	v_pk_fma_f32 v[100:101], v[96:97], v[94:95], v[98:99] op_sel_hi:[1,0,1]
	v_pk_fma_f32 v[94:95], v[96:97], v[94:95], v[98:99] neg_lo:[0,0,1] neg_hi:[0,0,1]
	v_mov_b32_e32 v95, v101
	s_delay_alu instid0(VALU_DEP_1)
	v_pk_add_f32 v[92:93], v[92:93], v[94:95]
.LBB107_22:
	s_or_b32 exec_lo, exec_lo, s4
	v_mov_b32_e32 v7, 0
	ds_load_b64 v[94:95], v7 offset:16
	s_wait_dscnt 0x0
	v_pk_mul_f32 v[96:97], v[92:93], v[94:95] op_sel:[1,1] op_sel_hi:[0,1]
	s_delay_alu instid0(VALU_DEP_1) | instskip(SKIP_1) | instid1(VALU_DEP_2)
	v_pk_fma_f32 v[98:99], v[92:93], v[94:95], v[96:97] op_sel_hi:[1,0,1]
	v_pk_fma_f32 v[92:93], v[92:93], v[94:95], v[96:97] neg_lo:[0,0,1] neg_hi:[0,0,1]
	v_mov_b32_e32 v93, v99
	scratch_store_b64 off, v[92:93], off offset:16
.LBB107_23:
	s_wait_xcnt 0x0
	s_or_b32 exec_lo, exec_lo, s1
	s_wait_storecnt 0x0
	s_barrier_signal -1
	s_barrier_wait -1
	scratch_load_b64 v[92:93], off, off offset:24
	v_add_nc_u32_e32 v7, -1, v0
	s_mov_b32 s0, exec_lo
	s_wait_loadcnt 0x0
	ds_store_b64 v1, v[92:93]
	s_wait_dscnt 0x0
	s_barrier_signal -1
	s_barrier_wait -1
	v_cmpx_gt_u32_e32 3, v0
	s_cbranch_execz .LBB107_27
; %bb.24:
	v_dual_mov_b32 v92, 0 :: v_dual_add_nc_u32 v9, -1, v0
	v_add_nc_u32_e32 v11, 0x160, v90
	v_mov_b32_e32 v13, v90
	s_mov_b32 s1, 0
	s_delay_alu instid0(VALU_DEP_3)
	v_mov_b32_e32 v93, v92
.LBB107_25:                             ; =>This Inner Loop Header: Depth=1
	scratch_load_b64 v[94:95], v13, off
	ds_load_b64 v[96:97], v11
	s_wait_xcnt 0x0
	v_dual_add_nc_u32 v11, 8, v11 :: v_dual_add_nc_u32 v13, 8, v13
	s_wait_loadcnt_dscnt 0x0
	v_pk_mul_f32 v[98:99], v[96:97], v[94:95] op_sel:[1,1] op_sel_hi:[0,1]
	s_delay_alu instid0(VALU_DEP_1) | instskip(SKIP_2) | instid1(VALU_DEP_3)
	v_pk_fma_f32 v[100:101], v[96:97], v[94:95], v[98:99] op_sel_hi:[1,0,1]
	v_add_nc_u32_e32 v9, 1, v9
	v_pk_fma_f32 v[94:95], v[96:97], v[94:95], v[98:99] neg_lo:[0,0,1] neg_hi:[0,0,1]
	v_mov_b32_e32 v95, v101
	s_delay_alu instid0(VALU_DEP_3) | instskip(NEXT) | instid1(VALU_DEP_2)
	v_cmp_lt_u32_e32 vcc_lo, 1, v9
	v_pk_add_f32 v[92:93], v[92:93], v[94:95]
	s_or_b32 s1, vcc_lo, s1
	s_delay_alu instid0(SALU_CYCLE_1)
	s_and_not1_b32 exec_lo, exec_lo, s1
	s_cbranch_execnz .LBB107_25
; %bb.26:
	s_or_b32 exec_lo, exec_lo, s1
	v_mov_b32_e32 v9, 0
	ds_load_b64 v[94:95], v9 offset:24
	s_wait_dscnt 0x0
	v_pk_mul_f32 v[96:97], v[92:93], v[94:95] op_sel:[1,1] op_sel_hi:[0,1]
	s_delay_alu instid0(VALU_DEP_1) | instskip(SKIP_1) | instid1(VALU_DEP_2)
	v_pk_fma_f32 v[98:99], v[92:93], v[94:95], v[96:97] op_sel_hi:[1,0,1]
	v_pk_fma_f32 v[92:93], v[92:93], v[94:95], v[96:97] neg_lo:[0,0,1] neg_hi:[0,0,1]
	v_mov_b32_e32 v93, v99
	scratch_store_b64 off, v[92:93], off offset:24
.LBB107_27:
	s_wait_xcnt 0x0
	s_or_b32 exec_lo, exec_lo, s0
	s_wait_storecnt 0x0
	s_barrier_signal -1
	s_barrier_wait -1
	scratch_load_b64 v[92:93], off, off offset:32
	s_mov_b32 s0, exec_lo
	s_wait_loadcnt 0x0
	ds_store_b64 v1, v[92:93]
	s_wait_dscnt 0x0
	s_barrier_signal -1
	s_barrier_wait -1
	v_cmpx_gt_u32_e32 4, v0
	s_cbranch_execz .LBB107_31
; %bb.28:
	v_dual_mov_b32 v92, 0 :: v_dual_add_nc_u32 v9, -1, v0
	v_add_nc_u32_e32 v11, 0x160, v90
	v_mov_b32_e32 v13, v90
	s_mov_b32 s1, 0
	s_delay_alu instid0(VALU_DEP_3)
	v_mov_b32_e32 v93, v92
.LBB107_29:                             ; =>This Inner Loop Header: Depth=1
	scratch_load_b64 v[94:95], v13, off
	ds_load_b64 v[96:97], v11
	s_wait_xcnt 0x0
	v_dual_add_nc_u32 v11, 8, v11 :: v_dual_add_nc_u32 v13, 8, v13
	s_wait_loadcnt_dscnt 0x0
	v_pk_mul_f32 v[98:99], v[96:97], v[94:95] op_sel:[1,1] op_sel_hi:[0,1]
	s_delay_alu instid0(VALU_DEP_1) | instskip(SKIP_2) | instid1(VALU_DEP_3)
	v_pk_fma_f32 v[100:101], v[96:97], v[94:95], v[98:99] op_sel_hi:[1,0,1]
	v_add_nc_u32_e32 v9, 1, v9
	v_pk_fma_f32 v[94:95], v[96:97], v[94:95], v[98:99] neg_lo:[0,0,1] neg_hi:[0,0,1]
	v_mov_b32_e32 v95, v101
	s_delay_alu instid0(VALU_DEP_3) | instskip(NEXT) | instid1(VALU_DEP_2)
	v_cmp_lt_u32_e32 vcc_lo, 2, v9
	v_pk_add_f32 v[92:93], v[92:93], v[94:95]
	s_or_b32 s1, vcc_lo, s1
	s_delay_alu instid0(SALU_CYCLE_1)
	s_and_not1_b32 exec_lo, exec_lo, s1
	s_cbranch_execnz .LBB107_29
; %bb.30:
	s_or_b32 exec_lo, exec_lo, s1
	v_mov_b32_e32 v9, 0
	ds_load_b64 v[94:95], v9 offset:32
	s_wait_dscnt 0x0
	v_pk_mul_f32 v[96:97], v[92:93], v[94:95] op_sel:[1,1] op_sel_hi:[0,1]
	s_delay_alu instid0(VALU_DEP_1) | instskip(SKIP_1) | instid1(VALU_DEP_2)
	v_pk_fma_f32 v[98:99], v[92:93], v[94:95], v[96:97] op_sel_hi:[1,0,1]
	v_pk_fma_f32 v[92:93], v[92:93], v[94:95], v[96:97] neg_lo:[0,0,1] neg_hi:[0,0,1]
	v_mov_b32_e32 v93, v99
	scratch_store_b64 off, v[92:93], off offset:32
.LBB107_31:
	s_wait_xcnt 0x0
	s_or_b32 exec_lo, exec_lo, s0
	s_wait_storecnt 0x0
	s_barrier_signal -1
	s_barrier_wait -1
	scratch_load_b64 v[92:93], off, off offset:40
	s_mov_b32 s0, exec_lo
	s_wait_loadcnt 0x0
	ds_store_b64 v1, v[92:93]
	s_wait_dscnt 0x0
	s_barrier_signal -1
	s_barrier_wait -1
	v_cmpx_gt_u32_e32 5, v0
	s_cbranch_execz .LBB107_35
; %bb.32:
	v_dual_mov_b32 v92, 0 :: v_dual_add_nc_u32 v9, -1, v0
	v_add_nc_u32_e32 v11, 0x160, v90
	v_mov_b32_e32 v13, v90
	s_mov_b32 s1, 0
	s_delay_alu instid0(VALU_DEP_3)
	v_mov_b32_e32 v93, v92
.LBB107_33:                             ; =>This Inner Loop Header: Depth=1
	scratch_load_b64 v[94:95], v13, off
	ds_load_b64 v[96:97], v11
	s_wait_xcnt 0x0
	v_dual_add_nc_u32 v11, 8, v11 :: v_dual_add_nc_u32 v13, 8, v13
	s_wait_loadcnt_dscnt 0x0
	v_pk_mul_f32 v[98:99], v[96:97], v[94:95] op_sel:[1,1] op_sel_hi:[0,1]
	s_delay_alu instid0(VALU_DEP_1) | instskip(SKIP_2) | instid1(VALU_DEP_3)
	v_pk_fma_f32 v[100:101], v[96:97], v[94:95], v[98:99] op_sel_hi:[1,0,1]
	v_add_nc_u32_e32 v9, 1, v9
	v_pk_fma_f32 v[94:95], v[96:97], v[94:95], v[98:99] neg_lo:[0,0,1] neg_hi:[0,0,1]
	v_mov_b32_e32 v95, v101
	s_delay_alu instid0(VALU_DEP_3) | instskip(NEXT) | instid1(VALU_DEP_2)
	v_cmp_lt_u32_e32 vcc_lo, 3, v9
	v_pk_add_f32 v[92:93], v[92:93], v[94:95]
	s_or_b32 s1, vcc_lo, s1
	s_delay_alu instid0(SALU_CYCLE_1)
	s_and_not1_b32 exec_lo, exec_lo, s1
	s_cbranch_execnz .LBB107_33
; %bb.34:
	s_or_b32 exec_lo, exec_lo, s1
	v_mov_b32_e32 v9, 0
	ds_load_b64 v[94:95], v9 offset:40
	s_wait_dscnt 0x0
	v_pk_mul_f32 v[96:97], v[92:93], v[94:95] op_sel:[1,1] op_sel_hi:[0,1]
	s_delay_alu instid0(VALU_DEP_1) | instskip(SKIP_1) | instid1(VALU_DEP_2)
	v_pk_fma_f32 v[98:99], v[92:93], v[94:95], v[96:97] op_sel_hi:[1,0,1]
	v_pk_fma_f32 v[92:93], v[92:93], v[94:95], v[96:97] neg_lo:[0,0,1] neg_hi:[0,0,1]
	v_mov_b32_e32 v93, v99
	scratch_store_b64 off, v[92:93], off offset:40
.LBB107_35:
	s_wait_xcnt 0x0
	s_or_b32 exec_lo, exec_lo, s0
	s_wait_storecnt 0x0
	s_barrier_signal -1
	s_barrier_wait -1
	scratch_load_b64 v[92:93], off, off offset:48
	s_mov_b32 s0, exec_lo
	s_wait_loadcnt 0x0
	ds_store_b64 v1, v[92:93]
	s_wait_dscnt 0x0
	s_barrier_signal -1
	s_barrier_wait -1
	v_cmpx_gt_u32_e32 6, v0
	s_cbranch_execz .LBB107_39
; %bb.36:
	v_dual_mov_b32 v92, 0 :: v_dual_add_nc_u32 v9, -1, v0
	v_add_nc_u32_e32 v11, 0x160, v90
	v_mov_b32_e32 v13, v90
	s_mov_b32 s1, 0
	s_delay_alu instid0(VALU_DEP_3)
	v_mov_b32_e32 v93, v92
.LBB107_37:                             ; =>This Inner Loop Header: Depth=1
	scratch_load_b64 v[94:95], v13, off
	ds_load_b64 v[96:97], v11
	s_wait_xcnt 0x0
	v_dual_add_nc_u32 v11, 8, v11 :: v_dual_add_nc_u32 v13, 8, v13
	s_wait_loadcnt_dscnt 0x0
	v_pk_mul_f32 v[98:99], v[96:97], v[94:95] op_sel:[1,1] op_sel_hi:[0,1]
	s_delay_alu instid0(VALU_DEP_1) | instskip(SKIP_2) | instid1(VALU_DEP_3)
	v_pk_fma_f32 v[100:101], v[96:97], v[94:95], v[98:99] op_sel_hi:[1,0,1]
	v_add_nc_u32_e32 v9, 1, v9
	v_pk_fma_f32 v[94:95], v[96:97], v[94:95], v[98:99] neg_lo:[0,0,1] neg_hi:[0,0,1]
	v_mov_b32_e32 v95, v101
	s_delay_alu instid0(VALU_DEP_3) | instskip(NEXT) | instid1(VALU_DEP_2)
	v_cmp_lt_u32_e32 vcc_lo, 4, v9
	v_pk_add_f32 v[92:93], v[92:93], v[94:95]
	s_or_b32 s1, vcc_lo, s1
	s_delay_alu instid0(SALU_CYCLE_1)
	s_and_not1_b32 exec_lo, exec_lo, s1
	s_cbranch_execnz .LBB107_37
; %bb.38:
	s_or_b32 exec_lo, exec_lo, s1
	v_mov_b32_e32 v9, 0
	ds_load_b64 v[94:95], v9 offset:48
	s_wait_dscnt 0x0
	v_pk_mul_f32 v[96:97], v[92:93], v[94:95] op_sel:[1,1] op_sel_hi:[0,1]
	s_delay_alu instid0(VALU_DEP_1) | instskip(SKIP_1) | instid1(VALU_DEP_2)
	v_pk_fma_f32 v[98:99], v[92:93], v[94:95], v[96:97] op_sel_hi:[1,0,1]
	v_pk_fma_f32 v[92:93], v[92:93], v[94:95], v[96:97] neg_lo:[0,0,1] neg_hi:[0,0,1]
	v_mov_b32_e32 v93, v99
	scratch_store_b64 off, v[92:93], off offset:48
.LBB107_39:
	s_wait_xcnt 0x0
	s_or_b32 exec_lo, exec_lo, s0
	s_wait_storecnt 0x0
	s_barrier_signal -1
	s_barrier_wait -1
	scratch_load_b64 v[92:93], off, off offset:56
	s_mov_b32 s0, exec_lo
	s_wait_loadcnt 0x0
	ds_store_b64 v1, v[92:93]
	s_wait_dscnt 0x0
	s_barrier_signal -1
	s_barrier_wait -1
	v_cmpx_gt_u32_e32 7, v0
	s_cbranch_execz .LBB107_43
; %bb.40:
	v_dual_mov_b32 v92, 0 :: v_dual_add_nc_u32 v9, -1, v0
	v_add_nc_u32_e32 v11, 0x160, v90
	v_mov_b32_e32 v13, v90
	s_mov_b32 s1, 0
	s_delay_alu instid0(VALU_DEP_3)
	v_mov_b32_e32 v93, v92
.LBB107_41:                             ; =>This Inner Loop Header: Depth=1
	scratch_load_b64 v[94:95], v13, off
	ds_load_b64 v[96:97], v11
	s_wait_xcnt 0x0
	v_dual_add_nc_u32 v11, 8, v11 :: v_dual_add_nc_u32 v13, 8, v13
	s_wait_loadcnt_dscnt 0x0
	v_pk_mul_f32 v[98:99], v[96:97], v[94:95] op_sel:[1,1] op_sel_hi:[0,1]
	s_delay_alu instid0(VALU_DEP_1) | instskip(SKIP_2) | instid1(VALU_DEP_3)
	v_pk_fma_f32 v[100:101], v[96:97], v[94:95], v[98:99] op_sel_hi:[1,0,1]
	v_add_nc_u32_e32 v9, 1, v9
	v_pk_fma_f32 v[94:95], v[96:97], v[94:95], v[98:99] neg_lo:[0,0,1] neg_hi:[0,0,1]
	v_mov_b32_e32 v95, v101
	s_delay_alu instid0(VALU_DEP_3) | instskip(NEXT) | instid1(VALU_DEP_2)
	v_cmp_lt_u32_e32 vcc_lo, 5, v9
	v_pk_add_f32 v[92:93], v[92:93], v[94:95]
	s_or_b32 s1, vcc_lo, s1
	s_delay_alu instid0(SALU_CYCLE_1)
	s_and_not1_b32 exec_lo, exec_lo, s1
	s_cbranch_execnz .LBB107_41
; %bb.42:
	s_or_b32 exec_lo, exec_lo, s1
	v_mov_b32_e32 v9, 0
	ds_load_b64 v[94:95], v9 offset:56
	s_wait_dscnt 0x0
	v_pk_mul_f32 v[96:97], v[92:93], v[94:95] op_sel:[1,1] op_sel_hi:[0,1]
	s_delay_alu instid0(VALU_DEP_1) | instskip(SKIP_1) | instid1(VALU_DEP_2)
	v_pk_fma_f32 v[98:99], v[92:93], v[94:95], v[96:97] op_sel_hi:[1,0,1]
	v_pk_fma_f32 v[92:93], v[92:93], v[94:95], v[96:97] neg_lo:[0,0,1] neg_hi:[0,0,1]
	v_mov_b32_e32 v93, v99
	scratch_store_b64 off, v[92:93], off offset:56
.LBB107_43:
	s_wait_xcnt 0x0
	s_or_b32 exec_lo, exec_lo, s0
	s_wait_storecnt 0x0
	s_barrier_signal -1
	s_barrier_wait -1
	scratch_load_b64 v[92:93], off, off offset:64
	s_mov_b32 s0, exec_lo
	s_wait_loadcnt 0x0
	ds_store_b64 v1, v[92:93]
	s_wait_dscnt 0x0
	s_barrier_signal -1
	s_barrier_wait -1
	v_cmpx_gt_u32_e32 8, v0
	s_cbranch_execz .LBB107_47
; %bb.44:
	v_dual_mov_b32 v92, 0 :: v_dual_add_nc_u32 v9, -1, v0
	v_add_nc_u32_e32 v11, 0x160, v90
	v_mov_b32_e32 v13, v90
	s_mov_b32 s1, 0
	s_delay_alu instid0(VALU_DEP_3)
	v_mov_b32_e32 v93, v92
.LBB107_45:                             ; =>This Inner Loop Header: Depth=1
	scratch_load_b64 v[94:95], v13, off
	ds_load_b64 v[96:97], v11
	s_wait_xcnt 0x0
	v_dual_add_nc_u32 v11, 8, v11 :: v_dual_add_nc_u32 v13, 8, v13
	s_wait_loadcnt_dscnt 0x0
	v_pk_mul_f32 v[98:99], v[96:97], v[94:95] op_sel:[1,1] op_sel_hi:[0,1]
	s_delay_alu instid0(VALU_DEP_1) | instskip(SKIP_2) | instid1(VALU_DEP_3)
	v_pk_fma_f32 v[100:101], v[96:97], v[94:95], v[98:99] op_sel_hi:[1,0,1]
	v_add_nc_u32_e32 v9, 1, v9
	v_pk_fma_f32 v[94:95], v[96:97], v[94:95], v[98:99] neg_lo:[0,0,1] neg_hi:[0,0,1]
	v_mov_b32_e32 v95, v101
	s_delay_alu instid0(VALU_DEP_3) | instskip(NEXT) | instid1(VALU_DEP_2)
	v_cmp_lt_u32_e32 vcc_lo, 6, v9
	v_pk_add_f32 v[92:93], v[92:93], v[94:95]
	s_or_b32 s1, vcc_lo, s1
	s_delay_alu instid0(SALU_CYCLE_1)
	s_and_not1_b32 exec_lo, exec_lo, s1
	s_cbranch_execnz .LBB107_45
; %bb.46:
	s_or_b32 exec_lo, exec_lo, s1
	v_mov_b32_e32 v9, 0
	ds_load_b64 v[94:95], v9 offset:64
	s_wait_dscnt 0x0
	v_pk_mul_f32 v[96:97], v[92:93], v[94:95] op_sel:[1,1] op_sel_hi:[0,1]
	s_delay_alu instid0(VALU_DEP_1) | instskip(SKIP_1) | instid1(VALU_DEP_2)
	v_pk_fma_f32 v[98:99], v[92:93], v[94:95], v[96:97] op_sel_hi:[1,0,1]
	v_pk_fma_f32 v[92:93], v[92:93], v[94:95], v[96:97] neg_lo:[0,0,1] neg_hi:[0,0,1]
	v_mov_b32_e32 v93, v99
	scratch_store_b64 off, v[92:93], off offset:64
.LBB107_47:
	s_wait_xcnt 0x0
	s_or_b32 exec_lo, exec_lo, s0
	s_wait_storecnt 0x0
	s_barrier_signal -1
	s_barrier_wait -1
	scratch_load_b64 v[92:93], off, off offset:72
	s_mov_b32 s0, exec_lo
	s_wait_loadcnt 0x0
	ds_store_b64 v1, v[92:93]
	s_wait_dscnt 0x0
	s_barrier_signal -1
	s_barrier_wait -1
	v_cmpx_gt_u32_e32 9, v0
	s_cbranch_execz .LBB107_51
; %bb.48:
	v_dual_mov_b32 v92, 0 :: v_dual_add_nc_u32 v9, -1, v0
	v_add_nc_u32_e32 v11, 0x160, v90
	v_mov_b32_e32 v13, v90
	s_mov_b32 s1, 0
	s_delay_alu instid0(VALU_DEP_3)
	v_mov_b32_e32 v93, v92
.LBB107_49:                             ; =>This Inner Loop Header: Depth=1
	scratch_load_b64 v[94:95], v13, off
	ds_load_b64 v[96:97], v11
	s_wait_xcnt 0x0
	v_dual_add_nc_u32 v11, 8, v11 :: v_dual_add_nc_u32 v13, 8, v13
	s_wait_loadcnt_dscnt 0x0
	v_pk_mul_f32 v[98:99], v[96:97], v[94:95] op_sel:[1,1] op_sel_hi:[0,1]
	s_delay_alu instid0(VALU_DEP_1) | instskip(SKIP_2) | instid1(VALU_DEP_3)
	v_pk_fma_f32 v[100:101], v[96:97], v[94:95], v[98:99] op_sel_hi:[1,0,1]
	v_add_nc_u32_e32 v9, 1, v9
	v_pk_fma_f32 v[94:95], v[96:97], v[94:95], v[98:99] neg_lo:[0,0,1] neg_hi:[0,0,1]
	v_mov_b32_e32 v95, v101
	s_delay_alu instid0(VALU_DEP_3) | instskip(NEXT) | instid1(VALU_DEP_2)
	v_cmp_lt_u32_e32 vcc_lo, 7, v9
	v_pk_add_f32 v[92:93], v[92:93], v[94:95]
	s_or_b32 s1, vcc_lo, s1
	s_delay_alu instid0(SALU_CYCLE_1)
	s_and_not1_b32 exec_lo, exec_lo, s1
	s_cbranch_execnz .LBB107_49
; %bb.50:
	s_or_b32 exec_lo, exec_lo, s1
	v_mov_b32_e32 v9, 0
	ds_load_b64 v[94:95], v9 offset:72
	s_wait_dscnt 0x0
	v_pk_mul_f32 v[96:97], v[92:93], v[94:95] op_sel:[1,1] op_sel_hi:[0,1]
	s_delay_alu instid0(VALU_DEP_1) | instskip(SKIP_1) | instid1(VALU_DEP_2)
	v_pk_fma_f32 v[98:99], v[92:93], v[94:95], v[96:97] op_sel_hi:[1,0,1]
	v_pk_fma_f32 v[92:93], v[92:93], v[94:95], v[96:97] neg_lo:[0,0,1] neg_hi:[0,0,1]
	v_mov_b32_e32 v93, v99
	scratch_store_b64 off, v[92:93], off offset:72
.LBB107_51:
	s_wait_xcnt 0x0
	s_or_b32 exec_lo, exec_lo, s0
	s_wait_storecnt 0x0
	s_barrier_signal -1
	s_barrier_wait -1
	scratch_load_b64 v[92:93], off, off offset:80
	s_mov_b32 s0, exec_lo
	s_wait_loadcnt 0x0
	ds_store_b64 v1, v[92:93]
	s_wait_dscnt 0x0
	s_barrier_signal -1
	s_barrier_wait -1
	v_cmpx_gt_u32_e32 10, v0
	s_cbranch_execz .LBB107_55
; %bb.52:
	v_dual_mov_b32 v92, 0 :: v_dual_add_nc_u32 v9, -1, v0
	v_add_nc_u32_e32 v11, 0x160, v90
	v_mov_b32_e32 v13, v90
	s_mov_b32 s1, 0
	s_delay_alu instid0(VALU_DEP_3)
	v_mov_b32_e32 v93, v92
.LBB107_53:                             ; =>This Inner Loop Header: Depth=1
	scratch_load_b64 v[94:95], v13, off
	ds_load_b64 v[96:97], v11
	s_wait_xcnt 0x0
	v_dual_add_nc_u32 v11, 8, v11 :: v_dual_add_nc_u32 v13, 8, v13
	s_wait_loadcnt_dscnt 0x0
	v_pk_mul_f32 v[98:99], v[96:97], v[94:95] op_sel:[1,1] op_sel_hi:[0,1]
	s_delay_alu instid0(VALU_DEP_1) | instskip(SKIP_2) | instid1(VALU_DEP_3)
	v_pk_fma_f32 v[100:101], v[96:97], v[94:95], v[98:99] op_sel_hi:[1,0,1]
	v_add_nc_u32_e32 v9, 1, v9
	v_pk_fma_f32 v[94:95], v[96:97], v[94:95], v[98:99] neg_lo:[0,0,1] neg_hi:[0,0,1]
	v_mov_b32_e32 v95, v101
	s_delay_alu instid0(VALU_DEP_3) | instskip(NEXT) | instid1(VALU_DEP_2)
	v_cmp_lt_u32_e32 vcc_lo, 8, v9
	v_pk_add_f32 v[92:93], v[92:93], v[94:95]
	s_or_b32 s1, vcc_lo, s1
	s_delay_alu instid0(SALU_CYCLE_1)
	s_and_not1_b32 exec_lo, exec_lo, s1
	s_cbranch_execnz .LBB107_53
; %bb.54:
	s_or_b32 exec_lo, exec_lo, s1
	v_mov_b32_e32 v9, 0
	ds_load_b64 v[94:95], v9 offset:80
	s_wait_dscnt 0x0
	v_pk_mul_f32 v[96:97], v[92:93], v[94:95] op_sel:[1,1] op_sel_hi:[0,1]
	s_delay_alu instid0(VALU_DEP_1) | instskip(SKIP_1) | instid1(VALU_DEP_2)
	v_pk_fma_f32 v[98:99], v[92:93], v[94:95], v[96:97] op_sel_hi:[1,0,1]
	v_pk_fma_f32 v[92:93], v[92:93], v[94:95], v[96:97] neg_lo:[0,0,1] neg_hi:[0,0,1]
	v_mov_b32_e32 v93, v99
	scratch_store_b64 off, v[92:93], off offset:80
.LBB107_55:
	s_wait_xcnt 0x0
	s_or_b32 exec_lo, exec_lo, s0
	s_wait_storecnt 0x0
	s_barrier_signal -1
	s_barrier_wait -1
	scratch_load_b64 v[92:93], off, off offset:88
	s_mov_b32 s0, exec_lo
	s_wait_loadcnt 0x0
	ds_store_b64 v1, v[92:93]
	s_wait_dscnt 0x0
	s_barrier_signal -1
	s_barrier_wait -1
	v_cmpx_gt_u32_e32 11, v0
	s_cbranch_execz .LBB107_59
; %bb.56:
	v_dual_mov_b32 v92, 0 :: v_dual_add_nc_u32 v9, -1, v0
	v_add_nc_u32_e32 v11, 0x160, v90
	v_mov_b32_e32 v13, v90
	s_mov_b32 s1, 0
	s_delay_alu instid0(VALU_DEP_3)
	v_mov_b32_e32 v93, v92
.LBB107_57:                             ; =>This Inner Loop Header: Depth=1
	scratch_load_b64 v[94:95], v13, off
	ds_load_b64 v[96:97], v11
	s_wait_xcnt 0x0
	v_dual_add_nc_u32 v11, 8, v11 :: v_dual_add_nc_u32 v13, 8, v13
	s_wait_loadcnt_dscnt 0x0
	v_pk_mul_f32 v[98:99], v[96:97], v[94:95] op_sel:[1,1] op_sel_hi:[0,1]
	s_delay_alu instid0(VALU_DEP_1) | instskip(SKIP_2) | instid1(VALU_DEP_3)
	v_pk_fma_f32 v[100:101], v[96:97], v[94:95], v[98:99] op_sel_hi:[1,0,1]
	v_add_nc_u32_e32 v9, 1, v9
	v_pk_fma_f32 v[94:95], v[96:97], v[94:95], v[98:99] neg_lo:[0,0,1] neg_hi:[0,0,1]
	v_mov_b32_e32 v95, v101
	s_delay_alu instid0(VALU_DEP_3) | instskip(NEXT) | instid1(VALU_DEP_2)
	v_cmp_lt_u32_e32 vcc_lo, 9, v9
	v_pk_add_f32 v[92:93], v[92:93], v[94:95]
	s_or_b32 s1, vcc_lo, s1
	s_delay_alu instid0(SALU_CYCLE_1)
	s_and_not1_b32 exec_lo, exec_lo, s1
	s_cbranch_execnz .LBB107_57
; %bb.58:
	s_or_b32 exec_lo, exec_lo, s1
	v_mov_b32_e32 v9, 0
	ds_load_b64 v[94:95], v9 offset:88
	s_wait_dscnt 0x0
	v_pk_mul_f32 v[96:97], v[92:93], v[94:95] op_sel:[1,1] op_sel_hi:[0,1]
	s_delay_alu instid0(VALU_DEP_1) | instskip(SKIP_1) | instid1(VALU_DEP_2)
	v_pk_fma_f32 v[98:99], v[92:93], v[94:95], v[96:97] op_sel_hi:[1,0,1]
	v_pk_fma_f32 v[92:93], v[92:93], v[94:95], v[96:97] neg_lo:[0,0,1] neg_hi:[0,0,1]
	v_mov_b32_e32 v93, v99
	scratch_store_b64 off, v[92:93], off offset:88
.LBB107_59:
	s_wait_xcnt 0x0
	s_or_b32 exec_lo, exec_lo, s0
	s_wait_storecnt 0x0
	s_barrier_signal -1
	s_barrier_wait -1
	scratch_load_b64 v[92:93], off, off offset:96
	s_mov_b32 s0, exec_lo
	s_wait_loadcnt 0x0
	ds_store_b64 v1, v[92:93]
	s_wait_dscnt 0x0
	s_barrier_signal -1
	s_barrier_wait -1
	v_cmpx_gt_u32_e32 12, v0
	s_cbranch_execz .LBB107_63
; %bb.60:
	v_dual_mov_b32 v92, 0 :: v_dual_add_nc_u32 v9, -1, v0
	v_add_nc_u32_e32 v11, 0x160, v90
	v_mov_b32_e32 v13, v90
	s_mov_b32 s1, 0
	s_delay_alu instid0(VALU_DEP_3)
	v_mov_b32_e32 v93, v92
.LBB107_61:                             ; =>This Inner Loop Header: Depth=1
	scratch_load_b64 v[94:95], v13, off
	ds_load_b64 v[96:97], v11
	s_wait_xcnt 0x0
	v_dual_add_nc_u32 v11, 8, v11 :: v_dual_add_nc_u32 v13, 8, v13
	s_wait_loadcnt_dscnt 0x0
	v_pk_mul_f32 v[98:99], v[96:97], v[94:95] op_sel:[1,1] op_sel_hi:[0,1]
	s_delay_alu instid0(VALU_DEP_1) | instskip(SKIP_2) | instid1(VALU_DEP_3)
	v_pk_fma_f32 v[100:101], v[96:97], v[94:95], v[98:99] op_sel_hi:[1,0,1]
	v_add_nc_u32_e32 v9, 1, v9
	v_pk_fma_f32 v[94:95], v[96:97], v[94:95], v[98:99] neg_lo:[0,0,1] neg_hi:[0,0,1]
	v_mov_b32_e32 v95, v101
	s_delay_alu instid0(VALU_DEP_3) | instskip(NEXT) | instid1(VALU_DEP_2)
	v_cmp_lt_u32_e32 vcc_lo, 10, v9
	v_pk_add_f32 v[92:93], v[92:93], v[94:95]
	s_or_b32 s1, vcc_lo, s1
	s_delay_alu instid0(SALU_CYCLE_1)
	s_and_not1_b32 exec_lo, exec_lo, s1
	s_cbranch_execnz .LBB107_61
; %bb.62:
	s_or_b32 exec_lo, exec_lo, s1
	v_mov_b32_e32 v9, 0
	ds_load_b64 v[94:95], v9 offset:96
	s_wait_dscnt 0x0
	v_pk_mul_f32 v[96:97], v[92:93], v[94:95] op_sel:[1,1] op_sel_hi:[0,1]
	s_delay_alu instid0(VALU_DEP_1) | instskip(SKIP_1) | instid1(VALU_DEP_2)
	v_pk_fma_f32 v[98:99], v[92:93], v[94:95], v[96:97] op_sel_hi:[1,0,1]
	v_pk_fma_f32 v[92:93], v[92:93], v[94:95], v[96:97] neg_lo:[0,0,1] neg_hi:[0,0,1]
	v_mov_b32_e32 v93, v99
	scratch_store_b64 off, v[92:93], off offset:96
.LBB107_63:
	s_wait_xcnt 0x0
	s_or_b32 exec_lo, exec_lo, s0
	s_wait_storecnt 0x0
	s_barrier_signal -1
	s_barrier_wait -1
	scratch_load_b64 v[92:93], off, off offset:104
	s_mov_b32 s0, exec_lo
	s_wait_loadcnt 0x0
	ds_store_b64 v1, v[92:93]
	s_wait_dscnt 0x0
	s_barrier_signal -1
	s_barrier_wait -1
	v_cmpx_gt_u32_e32 13, v0
	s_cbranch_execz .LBB107_67
; %bb.64:
	v_dual_mov_b32 v92, 0 :: v_dual_add_nc_u32 v9, -1, v0
	v_add_nc_u32_e32 v11, 0x160, v90
	v_mov_b32_e32 v13, v90
	s_mov_b32 s1, 0
	s_delay_alu instid0(VALU_DEP_3)
	v_mov_b32_e32 v93, v92
.LBB107_65:                             ; =>This Inner Loop Header: Depth=1
	scratch_load_b64 v[94:95], v13, off
	ds_load_b64 v[96:97], v11
	s_wait_xcnt 0x0
	v_dual_add_nc_u32 v11, 8, v11 :: v_dual_add_nc_u32 v13, 8, v13
	s_wait_loadcnt_dscnt 0x0
	v_pk_mul_f32 v[98:99], v[96:97], v[94:95] op_sel:[1,1] op_sel_hi:[0,1]
	s_delay_alu instid0(VALU_DEP_1) | instskip(SKIP_2) | instid1(VALU_DEP_3)
	v_pk_fma_f32 v[100:101], v[96:97], v[94:95], v[98:99] op_sel_hi:[1,0,1]
	v_add_nc_u32_e32 v9, 1, v9
	v_pk_fma_f32 v[94:95], v[96:97], v[94:95], v[98:99] neg_lo:[0,0,1] neg_hi:[0,0,1]
	v_mov_b32_e32 v95, v101
	s_delay_alu instid0(VALU_DEP_3) | instskip(NEXT) | instid1(VALU_DEP_2)
	v_cmp_lt_u32_e32 vcc_lo, 11, v9
	v_pk_add_f32 v[92:93], v[92:93], v[94:95]
	s_or_b32 s1, vcc_lo, s1
	s_delay_alu instid0(SALU_CYCLE_1)
	s_and_not1_b32 exec_lo, exec_lo, s1
	s_cbranch_execnz .LBB107_65
; %bb.66:
	s_or_b32 exec_lo, exec_lo, s1
	v_mov_b32_e32 v9, 0
	ds_load_b64 v[94:95], v9 offset:104
	s_wait_dscnt 0x0
	v_pk_mul_f32 v[96:97], v[92:93], v[94:95] op_sel:[1,1] op_sel_hi:[0,1]
	s_delay_alu instid0(VALU_DEP_1) | instskip(SKIP_1) | instid1(VALU_DEP_2)
	v_pk_fma_f32 v[98:99], v[92:93], v[94:95], v[96:97] op_sel_hi:[1,0,1]
	v_pk_fma_f32 v[92:93], v[92:93], v[94:95], v[96:97] neg_lo:[0,0,1] neg_hi:[0,0,1]
	v_mov_b32_e32 v93, v99
	scratch_store_b64 off, v[92:93], off offset:104
.LBB107_67:
	s_wait_xcnt 0x0
	s_or_b32 exec_lo, exec_lo, s0
	s_wait_storecnt 0x0
	s_barrier_signal -1
	s_barrier_wait -1
	scratch_load_b64 v[92:93], off, off offset:112
	s_mov_b32 s0, exec_lo
	s_wait_loadcnt 0x0
	ds_store_b64 v1, v[92:93]
	s_wait_dscnt 0x0
	s_barrier_signal -1
	s_barrier_wait -1
	v_cmpx_gt_u32_e32 14, v0
	s_cbranch_execz .LBB107_71
; %bb.68:
	v_dual_mov_b32 v92, 0 :: v_dual_add_nc_u32 v9, -1, v0
	v_add_nc_u32_e32 v11, 0x160, v90
	v_mov_b32_e32 v13, v90
	s_mov_b32 s1, 0
	s_delay_alu instid0(VALU_DEP_3)
	v_mov_b32_e32 v93, v92
.LBB107_69:                             ; =>This Inner Loop Header: Depth=1
	scratch_load_b64 v[94:95], v13, off
	ds_load_b64 v[96:97], v11
	s_wait_xcnt 0x0
	v_dual_add_nc_u32 v11, 8, v11 :: v_dual_add_nc_u32 v13, 8, v13
	s_wait_loadcnt_dscnt 0x0
	v_pk_mul_f32 v[98:99], v[96:97], v[94:95] op_sel:[1,1] op_sel_hi:[0,1]
	s_delay_alu instid0(VALU_DEP_1) | instskip(SKIP_2) | instid1(VALU_DEP_3)
	v_pk_fma_f32 v[100:101], v[96:97], v[94:95], v[98:99] op_sel_hi:[1,0,1]
	v_add_nc_u32_e32 v9, 1, v9
	v_pk_fma_f32 v[94:95], v[96:97], v[94:95], v[98:99] neg_lo:[0,0,1] neg_hi:[0,0,1]
	v_mov_b32_e32 v95, v101
	s_delay_alu instid0(VALU_DEP_3) | instskip(NEXT) | instid1(VALU_DEP_2)
	v_cmp_lt_u32_e32 vcc_lo, 12, v9
	v_pk_add_f32 v[92:93], v[92:93], v[94:95]
	s_or_b32 s1, vcc_lo, s1
	s_delay_alu instid0(SALU_CYCLE_1)
	s_and_not1_b32 exec_lo, exec_lo, s1
	s_cbranch_execnz .LBB107_69
; %bb.70:
	s_or_b32 exec_lo, exec_lo, s1
	v_mov_b32_e32 v9, 0
	ds_load_b64 v[94:95], v9 offset:112
	s_wait_dscnt 0x0
	v_pk_mul_f32 v[96:97], v[92:93], v[94:95] op_sel:[1,1] op_sel_hi:[0,1]
	s_delay_alu instid0(VALU_DEP_1) | instskip(SKIP_1) | instid1(VALU_DEP_2)
	v_pk_fma_f32 v[98:99], v[92:93], v[94:95], v[96:97] op_sel_hi:[1,0,1]
	v_pk_fma_f32 v[92:93], v[92:93], v[94:95], v[96:97] neg_lo:[0,0,1] neg_hi:[0,0,1]
	v_mov_b32_e32 v93, v99
	scratch_store_b64 off, v[92:93], off offset:112
.LBB107_71:
	s_wait_xcnt 0x0
	s_or_b32 exec_lo, exec_lo, s0
	s_wait_storecnt 0x0
	s_barrier_signal -1
	s_barrier_wait -1
	scratch_load_b64 v[92:93], off, off offset:120
	s_mov_b32 s0, exec_lo
	s_wait_loadcnt 0x0
	ds_store_b64 v1, v[92:93]
	s_wait_dscnt 0x0
	s_barrier_signal -1
	s_barrier_wait -1
	v_cmpx_gt_u32_e32 15, v0
	s_cbranch_execz .LBB107_75
; %bb.72:
	v_dual_mov_b32 v92, 0 :: v_dual_add_nc_u32 v9, -1, v0
	v_add_nc_u32_e32 v11, 0x160, v90
	v_mov_b32_e32 v13, v90
	s_mov_b32 s1, 0
	s_delay_alu instid0(VALU_DEP_3)
	v_mov_b32_e32 v93, v92
.LBB107_73:                             ; =>This Inner Loop Header: Depth=1
	scratch_load_b64 v[94:95], v13, off
	ds_load_b64 v[96:97], v11
	s_wait_xcnt 0x0
	v_dual_add_nc_u32 v11, 8, v11 :: v_dual_add_nc_u32 v13, 8, v13
	s_wait_loadcnt_dscnt 0x0
	v_pk_mul_f32 v[98:99], v[96:97], v[94:95] op_sel:[1,1] op_sel_hi:[0,1]
	s_delay_alu instid0(VALU_DEP_1) | instskip(SKIP_2) | instid1(VALU_DEP_3)
	v_pk_fma_f32 v[100:101], v[96:97], v[94:95], v[98:99] op_sel_hi:[1,0,1]
	v_add_nc_u32_e32 v9, 1, v9
	v_pk_fma_f32 v[94:95], v[96:97], v[94:95], v[98:99] neg_lo:[0,0,1] neg_hi:[0,0,1]
	v_mov_b32_e32 v95, v101
	s_delay_alu instid0(VALU_DEP_3) | instskip(NEXT) | instid1(VALU_DEP_2)
	v_cmp_lt_u32_e32 vcc_lo, 13, v9
	v_pk_add_f32 v[92:93], v[92:93], v[94:95]
	s_or_b32 s1, vcc_lo, s1
	s_delay_alu instid0(SALU_CYCLE_1)
	s_and_not1_b32 exec_lo, exec_lo, s1
	s_cbranch_execnz .LBB107_73
; %bb.74:
	s_or_b32 exec_lo, exec_lo, s1
	v_mov_b32_e32 v9, 0
	ds_load_b64 v[94:95], v9 offset:120
	s_wait_dscnt 0x0
	v_pk_mul_f32 v[96:97], v[92:93], v[94:95] op_sel:[1,1] op_sel_hi:[0,1]
	s_delay_alu instid0(VALU_DEP_1) | instskip(SKIP_1) | instid1(VALU_DEP_2)
	v_pk_fma_f32 v[98:99], v[92:93], v[94:95], v[96:97] op_sel_hi:[1,0,1]
	v_pk_fma_f32 v[92:93], v[92:93], v[94:95], v[96:97] neg_lo:[0,0,1] neg_hi:[0,0,1]
	v_mov_b32_e32 v93, v99
	scratch_store_b64 off, v[92:93], off offset:120
.LBB107_75:
	s_wait_xcnt 0x0
	s_or_b32 exec_lo, exec_lo, s0
	s_wait_storecnt 0x0
	s_barrier_signal -1
	s_barrier_wait -1
	scratch_load_b64 v[92:93], off, off offset:128
	s_mov_b32 s0, exec_lo
	s_wait_loadcnt 0x0
	ds_store_b64 v1, v[92:93]
	s_wait_dscnt 0x0
	s_barrier_signal -1
	s_barrier_wait -1
	v_cmpx_gt_u32_e32 16, v0
	s_cbranch_execz .LBB107_79
; %bb.76:
	v_dual_mov_b32 v92, 0 :: v_dual_add_nc_u32 v9, -1, v0
	v_add_nc_u32_e32 v11, 0x160, v90
	v_mov_b32_e32 v13, v90
	s_mov_b32 s1, 0
	s_delay_alu instid0(VALU_DEP_3)
	v_mov_b32_e32 v93, v92
.LBB107_77:                             ; =>This Inner Loop Header: Depth=1
	scratch_load_b64 v[94:95], v13, off
	ds_load_b64 v[96:97], v11
	s_wait_xcnt 0x0
	v_dual_add_nc_u32 v11, 8, v11 :: v_dual_add_nc_u32 v13, 8, v13
	s_wait_loadcnt_dscnt 0x0
	v_pk_mul_f32 v[98:99], v[96:97], v[94:95] op_sel:[1,1] op_sel_hi:[0,1]
	s_delay_alu instid0(VALU_DEP_1) | instskip(SKIP_2) | instid1(VALU_DEP_3)
	v_pk_fma_f32 v[100:101], v[96:97], v[94:95], v[98:99] op_sel_hi:[1,0,1]
	v_add_nc_u32_e32 v9, 1, v9
	v_pk_fma_f32 v[94:95], v[96:97], v[94:95], v[98:99] neg_lo:[0,0,1] neg_hi:[0,0,1]
	v_mov_b32_e32 v95, v101
	s_delay_alu instid0(VALU_DEP_3) | instskip(NEXT) | instid1(VALU_DEP_2)
	v_cmp_lt_u32_e32 vcc_lo, 14, v9
	v_pk_add_f32 v[92:93], v[92:93], v[94:95]
	s_or_b32 s1, vcc_lo, s1
	s_delay_alu instid0(SALU_CYCLE_1)
	s_and_not1_b32 exec_lo, exec_lo, s1
	s_cbranch_execnz .LBB107_77
; %bb.78:
	s_or_b32 exec_lo, exec_lo, s1
	v_mov_b32_e32 v9, 0
	ds_load_b64 v[94:95], v9 offset:128
	s_wait_dscnt 0x0
	v_pk_mul_f32 v[96:97], v[92:93], v[94:95] op_sel:[1,1] op_sel_hi:[0,1]
	s_delay_alu instid0(VALU_DEP_1) | instskip(SKIP_1) | instid1(VALU_DEP_2)
	v_pk_fma_f32 v[98:99], v[92:93], v[94:95], v[96:97] op_sel_hi:[1,0,1]
	v_pk_fma_f32 v[92:93], v[92:93], v[94:95], v[96:97] neg_lo:[0,0,1] neg_hi:[0,0,1]
	v_mov_b32_e32 v93, v99
	scratch_store_b64 off, v[92:93], off offset:128
.LBB107_79:
	s_wait_xcnt 0x0
	s_or_b32 exec_lo, exec_lo, s0
	s_wait_storecnt 0x0
	s_barrier_signal -1
	s_barrier_wait -1
	scratch_load_b64 v[92:93], off, off offset:136
	s_mov_b32 s0, exec_lo
	s_wait_loadcnt 0x0
	ds_store_b64 v1, v[92:93]
	s_wait_dscnt 0x0
	s_barrier_signal -1
	s_barrier_wait -1
	v_cmpx_gt_u32_e32 17, v0
	s_cbranch_execz .LBB107_83
; %bb.80:
	v_dual_mov_b32 v92, 0 :: v_dual_add_nc_u32 v9, -1, v0
	v_add_nc_u32_e32 v11, 0x160, v90
	v_mov_b32_e32 v13, v90
	s_mov_b32 s1, 0
	s_delay_alu instid0(VALU_DEP_3)
	v_mov_b32_e32 v93, v92
.LBB107_81:                             ; =>This Inner Loop Header: Depth=1
	scratch_load_b64 v[94:95], v13, off
	ds_load_b64 v[96:97], v11
	s_wait_xcnt 0x0
	v_dual_add_nc_u32 v11, 8, v11 :: v_dual_add_nc_u32 v13, 8, v13
	s_wait_loadcnt_dscnt 0x0
	v_pk_mul_f32 v[98:99], v[96:97], v[94:95] op_sel:[1,1] op_sel_hi:[0,1]
	s_delay_alu instid0(VALU_DEP_1) | instskip(SKIP_2) | instid1(VALU_DEP_3)
	v_pk_fma_f32 v[100:101], v[96:97], v[94:95], v[98:99] op_sel_hi:[1,0,1]
	v_add_nc_u32_e32 v9, 1, v9
	v_pk_fma_f32 v[94:95], v[96:97], v[94:95], v[98:99] neg_lo:[0,0,1] neg_hi:[0,0,1]
	v_mov_b32_e32 v95, v101
	s_delay_alu instid0(VALU_DEP_3) | instskip(NEXT) | instid1(VALU_DEP_2)
	v_cmp_lt_u32_e32 vcc_lo, 15, v9
	v_pk_add_f32 v[92:93], v[92:93], v[94:95]
	s_or_b32 s1, vcc_lo, s1
	s_delay_alu instid0(SALU_CYCLE_1)
	s_and_not1_b32 exec_lo, exec_lo, s1
	s_cbranch_execnz .LBB107_81
; %bb.82:
	s_or_b32 exec_lo, exec_lo, s1
	v_mov_b32_e32 v9, 0
	ds_load_b64 v[94:95], v9 offset:136
	s_wait_dscnt 0x0
	v_pk_mul_f32 v[96:97], v[92:93], v[94:95] op_sel:[1,1] op_sel_hi:[0,1]
	s_delay_alu instid0(VALU_DEP_1) | instskip(SKIP_1) | instid1(VALU_DEP_2)
	v_pk_fma_f32 v[98:99], v[92:93], v[94:95], v[96:97] op_sel_hi:[1,0,1]
	v_pk_fma_f32 v[92:93], v[92:93], v[94:95], v[96:97] neg_lo:[0,0,1] neg_hi:[0,0,1]
	v_mov_b32_e32 v93, v99
	scratch_store_b64 off, v[92:93], off offset:136
.LBB107_83:
	s_wait_xcnt 0x0
	s_or_b32 exec_lo, exec_lo, s0
	s_wait_storecnt 0x0
	s_barrier_signal -1
	s_barrier_wait -1
	scratch_load_b64 v[92:93], off, off offset:144
	s_mov_b32 s0, exec_lo
	s_wait_loadcnt 0x0
	ds_store_b64 v1, v[92:93]
	s_wait_dscnt 0x0
	s_barrier_signal -1
	s_barrier_wait -1
	v_cmpx_gt_u32_e32 18, v0
	s_cbranch_execz .LBB107_87
; %bb.84:
	v_dual_mov_b32 v92, 0 :: v_dual_add_nc_u32 v9, -1, v0
	v_add_nc_u32_e32 v11, 0x160, v90
	v_mov_b32_e32 v13, v90
	s_mov_b32 s1, 0
	s_delay_alu instid0(VALU_DEP_3)
	v_mov_b32_e32 v93, v92
.LBB107_85:                             ; =>This Inner Loop Header: Depth=1
	scratch_load_b64 v[94:95], v13, off
	ds_load_b64 v[96:97], v11
	s_wait_xcnt 0x0
	v_dual_add_nc_u32 v11, 8, v11 :: v_dual_add_nc_u32 v13, 8, v13
	s_wait_loadcnt_dscnt 0x0
	v_pk_mul_f32 v[98:99], v[96:97], v[94:95] op_sel:[1,1] op_sel_hi:[0,1]
	s_delay_alu instid0(VALU_DEP_1) | instskip(SKIP_2) | instid1(VALU_DEP_3)
	v_pk_fma_f32 v[100:101], v[96:97], v[94:95], v[98:99] op_sel_hi:[1,0,1]
	v_add_nc_u32_e32 v9, 1, v9
	v_pk_fma_f32 v[94:95], v[96:97], v[94:95], v[98:99] neg_lo:[0,0,1] neg_hi:[0,0,1]
	v_mov_b32_e32 v95, v101
	s_delay_alu instid0(VALU_DEP_3) | instskip(NEXT) | instid1(VALU_DEP_2)
	v_cmp_lt_u32_e32 vcc_lo, 16, v9
	v_pk_add_f32 v[92:93], v[92:93], v[94:95]
	s_or_b32 s1, vcc_lo, s1
	s_delay_alu instid0(SALU_CYCLE_1)
	s_and_not1_b32 exec_lo, exec_lo, s1
	s_cbranch_execnz .LBB107_85
; %bb.86:
	s_or_b32 exec_lo, exec_lo, s1
	v_mov_b32_e32 v9, 0
	ds_load_b64 v[94:95], v9 offset:144
	s_wait_dscnt 0x0
	v_pk_mul_f32 v[96:97], v[92:93], v[94:95] op_sel:[1,1] op_sel_hi:[0,1]
	s_delay_alu instid0(VALU_DEP_1) | instskip(SKIP_1) | instid1(VALU_DEP_2)
	v_pk_fma_f32 v[98:99], v[92:93], v[94:95], v[96:97] op_sel_hi:[1,0,1]
	v_pk_fma_f32 v[92:93], v[92:93], v[94:95], v[96:97] neg_lo:[0,0,1] neg_hi:[0,0,1]
	v_mov_b32_e32 v93, v99
	scratch_store_b64 off, v[92:93], off offset:144
.LBB107_87:
	s_wait_xcnt 0x0
	s_or_b32 exec_lo, exec_lo, s0
	s_wait_storecnt 0x0
	s_barrier_signal -1
	s_barrier_wait -1
	scratch_load_b64 v[92:93], off, off offset:152
	s_mov_b32 s0, exec_lo
	s_wait_loadcnt 0x0
	ds_store_b64 v1, v[92:93]
	s_wait_dscnt 0x0
	s_barrier_signal -1
	s_barrier_wait -1
	v_cmpx_gt_u32_e32 19, v0
	s_cbranch_execz .LBB107_91
; %bb.88:
	v_dual_mov_b32 v92, 0 :: v_dual_add_nc_u32 v9, -1, v0
	v_add_nc_u32_e32 v11, 0x160, v90
	v_mov_b32_e32 v13, v90
	s_mov_b32 s1, 0
	s_delay_alu instid0(VALU_DEP_3)
	v_mov_b32_e32 v93, v92
.LBB107_89:                             ; =>This Inner Loop Header: Depth=1
	scratch_load_b64 v[94:95], v13, off
	ds_load_b64 v[96:97], v11
	s_wait_xcnt 0x0
	v_dual_add_nc_u32 v11, 8, v11 :: v_dual_add_nc_u32 v13, 8, v13
	s_wait_loadcnt_dscnt 0x0
	v_pk_mul_f32 v[98:99], v[96:97], v[94:95] op_sel:[1,1] op_sel_hi:[0,1]
	s_delay_alu instid0(VALU_DEP_1) | instskip(SKIP_2) | instid1(VALU_DEP_3)
	v_pk_fma_f32 v[100:101], v[96:97], v[94:95], v[98:99] op_sel_hi:[1,0,1]
	v_add_nc_u32_e32 v9, 1, v9
	v_pk_fma_f32 v[94:95], v[96:97], v[94:95], v[98:99] neg_lo:[0,0,1] neg_hi:[0,0,1]
	v_mov_b32_e32 v95, v101
	s_delay_alu instid0(VALU_DEP_3) | instskip(NEXT) | instid1(VALU_DEP_2)
	v_cmp_lt_u32_e32 vcc_lo, 17, v9
	v_pk_add_f32 v[92:93], v[92:93], v[94:95]
	s_or_b32 s1, vcc_lo, s1
	s_delay_alu instid0(SALU_CYCLE_1)
	s_and_not1_b32 exec_lo, exec_lo, s1
	s_cbranch_execnz .LBB107_89
; %bb.90:
	s_or_b32 exec_lo, exec_lo, s1
	v_mov_b32_e32 v9, 0
	ds_load_b64 v[94:95], v9 offset:152
	s_wait_dscnt 0x0
	v_pk_mul_f32 v[96:97], v[92:93], v[94:95] op_sel:[1,1] op_sel_hi:[0,1]
	s_delay_alu instid0(VALU_DEP_1) | instskip(SKIP_1) | instid1(VALU_DEP_2)
	v_pk_fma_f32 v[98:99], v[92:93], v[94:95], v[96:97] op_sel_hi:[1,0,1]
	v_pk_fma_f32 v[92:93], v[92:93], v[94:95], v[96:97] neg_lo:[0,0,1] neg_hi:[0,0,1]
	v_mov_b32_e32 v93, v99
	scratch_store_b64 off, v[92:93], off offset:152
.LBB107_91:
	s_wait_xcnt 0x0
	s_or_b32 exec_lo, exec_lo, s0
	s_wait_storecnt 0x0
	s_barrier_signal -1
	s_barrier_wait -1
	scratch_load_b64 v[92:93], off, off offset:160
	s_mov_b32 s0, exec_lo
	s_wait_loadcnt 0x0
	ds_store_b64 v1, v[92:93]
	s_wait_dscnt 0x0
	s_barrier_signal -1
	s_barrier_wait -1
	v_cmpx_gt_u32_e32 20, v0
	s_cbranch_execz .LBB107_95
; %bb.92:
	v_dual_mov_b32 v92, 0 :: v_dual_add_nc_u32 v9, -1, v0
	v_add_nc_u32_e32 v11, 0x160, v90
	v_mov_b32_e32 v13, v90
	s_mov_b32 s1, 0
	s_delay_alu instid0(VALU_DEP_3)
	v_mov_b32_e32 v93, v92
.LBB107_93:                             ; =>This Inner Loop Header: Depth=1
	scratch_load_b64 v[94:95], v13, off
	ds_load_b64 v[96:97], v11
	s_wait_xcnt 0x0
	v_dual_add_nc_u32 v11, 8, v11 :: v_dual_add_nc_u32 v13, 8, v13
	s_wait_loadcnt_dscnt 0x0
	v_pk_mul_f32 v[98:99], v[96:97], v[94:95] op_sel:[1,1] op_sel_hi:[0,1]
	s_delay_alu instid0(VALU_DEP_1) | instskip(SKIP_2) | instid1(VALU_DEP_3)
	v_pk_fma_f32 v[100:101], v[96:97], v[94:95], v[98:99] op_sel_hi:[1,0,1]
	v_add_nc_u32_e32 v9, 1, v9
	v_pk_fma_f32 v[94:95], v[96:97], v[94:95], v[98:99] neg_lo:[0,0,1] neg_hi:[0,0,1]
	v_mov_b32_e32 v95, v101
	s_delay_alu instid0(VALU_DEP_3) | instskip(NEXT) | instid1(VALU_DEP_2)
	v_cmp_lt_u32_e32 vcc_lo, 18, v9
	v_pk_add_f32 v[92:93], v[92:93], v[94:95]
	s_or_b32 s1, vcc_lo, s1
	s_delay_alu instid0(SALU_CYCLE_1)
	s_and_not1_b32 exec_lo, exec_lo, s1
	s_cbranch_execnz .LBB107_93
; %bb.94:
	s_or_b32 exec_lo, exec_lo, s1
	v_mov_b32_e32 v9, 0
	ds_load_b64 v[94:95], v9 offset:160
	s_wait_dscnt 0x0
	v_pk_mul_f32 v[96:97], v[92:93], v[94:95] op_sel:[1,1] op_sel_hi:[0,1]
	s_delay_alu instid0(VALU_DEP_1) | instskip(SKIP_1) | instid1(VALU_DEP_2)
	v_pk_fma_f32 v[98:99], v[92:93], v[94:95], v[96:97] op_sel_hi:[1,0,1]
	v_pk_fma_f32 v[92:93], v[92:93], v[94:95], v[96:97] neg_lo:[0,0,1] neg_hi:[0,0,1]
	v_mov_b32_e32 v93, v99
	scratch_store_b64 off, v[92:93], off offset:160
.LBB107_95:
	s_wait_xcnt 0x0
	s_or_b32 exec_lo, exec_lo, s0
	s_wait_storecnt 0x0
	s_barrier_signal -1
	s_barrier_wait -1
	scratch_load_b64 v[92:93], off, off offset:168
	s_mov_b32 s0, exec_lo
	s_wait_loadcnt 0x0
	ds_store_b64 v1, v[92:93]
	s_wait_dscnt 0x0
	s_barrier_signal -1
	s_barrier_wait -1
	v_cmpx_gt_u32_e32 21, v0
	s_cbranch_execz .LBB107_99
; %bb.96:
	v_dual_mov_b32 v92, 0 :: v_dual_add_nc_u32 v9, -1, v0
	v_add_nc_u32_e32 v11, 0x160, v90
	v_mov_b32_e32 v13, v90
	s_mov_b32 s1, 0
	s_delay_alu instid0(VALU_DEP_3)
	v_mov_b32_e32 v93, v92
.LBB107_97:                             ; =>This Inner Loop Header: Depth=1
	scratch_load_b64 v[94:95], v13, off
	ds_load_b64 v[96:97], v11
	s_wait_xcnt 0x0
	v_dual_add_nc_u32 v11, 8, v11 :: v_dual_add_nc_u32 v13, 8, v13
	s_wait_loadcnt_dscnt 0x0
	v_pk_mul_f32 v[98:99], v[96:97], v[94:95] op_sel:[1,1] op_sel_hi:[0,1]
	s_delay_alu instid0(VALU_DEP_1) | instskip(SKIP_2) | instid1(VALU_DEP_3)
	v_pk_fma_f32 v[100:101], v[96:97], v[94:95], v[98:99] op_sel_hi:[1,0,1]
	v_add_nc_u32_e32 v9, 1, v9
	v_pk_fma_f32 v[94:95], v[96:97], v[94:95], v[98:99] neg_lo:[0,0,1] neg_hi:[0,0,1]
	v_mov_b32_e32 v95, v101
	s_delay_alu instid0(VALU_DEP_3) | instskip(NEXT) | instid1(VALU_DEP_2)
	v_cmp_lt_u32_e32 vcc_lo, 19, v9
	v_pk_add_f32 v[92:93], v[92:93], v[94:95]
	s_or_b32 s1, vcc_lo, s1
	s_delay_alu instid0(SALU_CYCLE_1)
	s_and_not1_b32 exec_lo, exec_lo, s1
	s_cbranch_execnz .LBB107_97
; %bb.98:
	s_or_b32 exec_lo, exec_lo, s1
	v_mov_b32_e32 v9, 0
	ds_load_b64 v[94:95], v9 offset:168
	s_wait_dscnt 0x0
	v_pk_mul_f32 v[96:97], v[92:93], v[94:95] op_sel:[1,1] op_sel_hi:[0,1]
	s_delay_alu instid0(VALU_DEP_1) | instskip(SKIP_1) | instid1(VALU_DEP_2)
	v_pk_fma_f32 v[98:99], v[92:93], v[94:95], v[96:97] op_sel_hi:[1,0,1]
	v_pk_fma_f32 v[92:93], v[92:93], v[94:95], v[96:97] neg_lo:[0,0,1] neg_hi:[0,0,1]
	v_mov_b32_e32 v93, v99
	scratch_store_b64 off, v[92:93], off offset:168
.LBB107_99:
	s_wait_xcnt 0x0
	s_or_b32 exec_lo, exec_lo, s0
	s_wait_storecnt 0x0
	s_barrier_signal -1
	s_barrier_wait -1
	scratch_load_b64 v[92:93], off, off offset:176
	s_mov_b32 s0, exec_lo
	s_wait_loadcnt 0x0
	ds_store_b64 v1, v[92:93]
	s_wait_dscnt 0x0
	s_barrier_signal -1
	s_barrier_wait -1
	v_cmpx_gt_u32_e32 22, v0
	s_cbranch_execz .LBB107_103
; %bb.100:
	v_dual_mov_b32 v92, 0 :: v_dual_add_nc_u32 v9, -1, v0
	v_add_nc_u32_e32 v11, 0x160, v90
	v_mov_b32_e32 v13, v90
	s_mov_b32 s1, 0
	s_delay_alu instid0(VALU_DEP_3)
	v_mov_b32_e32 v93, v92
.LBB107_101:                            ; =>This Inner Loop Header: Depth=1
	scratch_load_b64 v[94:95], v13, off
	ds_load_b64 v[96:97], v11
	s_wait_xcnt 0x0
	v_dual_add_nc_u32 v11, 8, v11 :: v_dual_add_nc_u32 v13, 8, v13
	s_wait_loadcnt_dscnt 0x0
	v_pk_mul_f32 v[98:99], v[96:97], v[94:95] op_sel:[1,1] op_sel_hi:[0,1]
	s_delay_alu instid0(VALU_DEP_1) | instskip(SKIP_2) | instid1(VALU_DEP_3)
	v_pk_fma_f32 v[100:101], v[96:97], v[94:95], v[98:99] op_sel_hi:[1,0,1]
	v_add_nc_u32_e32 v9, 1, v9
	v_pk_fma_f32 v[94:95], v[96:97], v[94:95], v[98:99] neg_lo:[0,0,1] neg_hi:[0,0,1]
	v_mov_b32_e32 v95, v101
	s_delay_alu instid0(VALU_DEP_3) | instskip(NEXT) | instid1(VALU_DEP_2)
	v_cmp_lt_u32_e32 vcc_lo, 20, v9
	v_pk_add_f32 v[92:93], v[92:93], v[94:95]
	s_or_b32 s1, vcc_lo, s1
	s_delay_alu instid0(SALU_CYCLE_1)
	s_and_not1_b32 exec_lo, exec_lo, s1
	s_cbranch_execnz .LBB107_101
; %bb.102:
	s_or_b32 exec_lo, exec_lo, s1
	v_mov_b32_e32 v9, 0
	ds_load_b64 v[94:95], v9 offset:176
	s_wait_dscnt 0x0
	v_pk_mul_f32 v[96:97], v[92:93], v[94:95] op_sel:[1,1] op_sel_hi:[0,1]
	s_delay_alu instid0(VALU_DEP_1) | instskip(SKIP_1) | instid1(VALU_DEP_2)
	v_pk_fma_f32 v[98:99], v[92:93], v[94:95], v[96:97] op_sel_hi:[1,0,1]
	v_pk_fma_f32 v[92:93], v[92:93], v[94:95], v[96:97] neg_lo:[0,0,1] neg_hi:[0,0,1]
	v_mov_b32_e32 v93, v99
	scratch_store_b64 off, v[92:93], off offset:176
.LBB107_103:
	s_wait_xcnt 0x0
	s_or_b32 exec_lo, exec_lo, s0
	s_wait_storecnt 0x0
	s_barrier_signal -1
	s_barrier_wait -1
	scratch_load_b64 v[92:93], off, off offset:184
	s_mov_b32 s0, exec_lo
	s_wait_loadcnt 0x0
	ds_store_b64 v1, v[92:93]
	s_wait_dscnt 0x0
	s_barrier_signal -1
	s_barrier_wait -1
	v_cmpx_gt_u32_e32 23, v0
	s_cbranch_execz .LBB107_107
; %bb.104:
	v_dual_mov_b32 v92, 0 :: v_dual_add_nc_u32 v9, -1, v0
	v_add_nc_u32_e32 v11, 0x160, v90
	v_mov_b32_e32 v13, v90
	s_mov_b32 s1, 0
	s_delay_alu instid0(VALU_DEP_3)
	v_mov_b32_e32 v93, v92
.LBB107_105:                            ; =>This Inner Loop Header: Depth=1
	scratch_load_b64 v[94:95], v13, off
	ds_load_b64 v[96:97], v11
	s_wait_xcnt 0x0
	v_dual_add_nc_u32 v11, 8, v11 :: v_dual_add_nc_u32 v13, 8, v13
	s_wait_loadcnt_dscnt 0x0
	v_pk_mul_f32 v[98:99], v[96:97], v[94:95] op_sel:[1,1] op_sel_hi:[0,1]
	s_delay_alu instid0(VALU_DEP_1) | instskip(SKIP_2) | instid1(VALU_DEP_3)
	v_pk_fma_f32 v[100:101], v[96:97], v[94:95], v[98:99] op_sel_hi:[1,0,1]
	v_add_nc_u32_e32 v9, 1, v9
	v_pk_fma_f32 v[94:95], v[96:97], v[94:95], v[98:99] neg_lo:[0,0,1] neg_hi:[0,0,1]
	v_mov_b32_e32 v95, v101
	s_delay_alu instid0(VALU_DEP_3) | instskip(NEXT) | instid1(VALU_DEP_2)
	v_cmp_lt_u32_e32 vcc_lo, 21, v9
	v_pk_add_f32 v[92:93], v[92:93], v[94:95]
	s_or_b32 s1, vcc_lo, s1
	s_delay_alu instid0(SALU_CYCLE_1)
	s_and_not1_b32 exec_lo, exec_lo, s1
	s_cbranch_execnz .LBB107_105
; %bb.106:
	s_or_b32 exec_lo, exec_lo, s1
	v_mov_b32_e32 v9, 0
	ds_load_b64 v[94:95], v9 offset:184
	s_wait_dscnt 0x0
	v_pk_mul_f32 v[96:97], v[92:93], v[94:95] op_sel:[1,1] op_sel_hi:[0,1]
	s_delay_alu instid0(VALU_DEP_1) | instskip(SKIP_1) | instid1(VALU_DEP_2)
	v_pk_fma_f32 v[98:99], v[92:93], v[94:95], v[96:97] op_sel_hi:[1,0,1]
	v_pk_fma_f32 v[92:93], v[92:93], v[94:95], v[96:97] neg_lo:[0,0,1] neg_hi:[0,0,1]
	v_mov_b32_e32 v93, v99
	scratch_store_b64 off, v[92:93], off offset:184
.LBB107_107:
	s_wait_xcnt 0x0
	s_or_b32 exec_lo, exec_lo, s0
	s_wait_storecnt 0x0
	s_barrier_signal -1
	s_barrier_wait -1
	scratch_load_b64 v[92:93], off, off offset:192
	;; [unrolled: 52-line block ×21, first 2 shown]
	s_mov_b32 s0, exec_lo
	s_wait_loadcnt 0x0
	ds_store_b64 v1, v[92:93]
	s_wait_dscnt 0x0
	s_barrier_signal -1
	s_barrier_wait -1
	v_cmpx_ne_u32_e32 43, v0
	s_cbranch_execz .LBB107_187
; %bb.184:
	v_dual_mov_b32 v92, 0 :: v_dual_mov_b32 v9, v90
	s_mov_b32 s1, 0
	s_delay_alu instid0(VALU_DEP_1)
	v_mov_b32_e32 v93, v92
.LBB107_185:                            ; =>This Inner Loop Header: Depth=1
	scratch_load_b64 v[90:91], v9, off
	ds_load_b64 v[94:95], v1
	v_add_nc_u32_e32 v1, 8, v1
	s_wait_xcnt 0x0
	v_add_nc_u32_e32 v9, 8, v9
	s_wait_loadcnt_dscnt 0x0
	v_pk_mul_f32 v[96:97], v[94:95], v[90:91] op_sel:[1,1] op_sel_hi:[0,1]
	s_delay_alu instid0(VALU_DEP_1) | instskip(SKIP_2) | instid1(VALU_DEP_3)
	v_pk_fma_f32 v[98:99], v[94:95], v[90:91], v[96:97] op_sel_hi:[1,0,1]
	v_add_nc_u32_e32 v7, 1, v7
	v_pk_fma_f32 v[90:91], v[94:95], v[90:91], v[96:97] neg_lo:[0,0,1] neg_hi:[0,0,1]
	v_mov_b32_e32 v91, v99
	s_delay_alu instid0(VALU_DEP_3) | instskip(NEXT) | instid1(VALU_DEP_2)
	v_cmp_lt_u32_e32 vcc_lo, 41, v7
	v_pk_add_f32 v[92:93], v[92:93], v[90:91]
	s_or_b32 s1, vcc_lo, s1
	s_delay_alu instid0(SALU_CYCLE_1)
	s_and_not1_b32 exec_lo, exec_lo, s1
	s_cbranch_execnz .LBB107_185
; %bb.186:
	s_or_b32 exec_lo, exec_lo, s1
	v_mov_b32_e32 v1, 0
	ds_load_b64 v[90:91], v1 offset:344
	s_wait_dscnt 0x0
	v_pk_mul_f32 v[94:95], v[92:93], v[90:91] op_sel:[1,1] op_sel_hi:[0,1]
	s_delay_alu instid0(VALU_DEP_1) | instskip(SKIP_1) | instid1(VALU_DEP_2)
	v_pk_fma_f32 v[96:97], v[92:93], v[90:91], v[94:95] op_sel_hi:[1,0,1]
	v_pk_fma_f32 v[90:91], v[92:93], v[90:91], v[94:95] neg_lo:[0,0,1] neg_hi:[0,0,1]
	v_mov_b32_e32 v91, v97
	scratch_store_b64 off, v[90:91], off offset:344
.LBB107_187:
	s_wait_xcnt 0x0
	s_or_b32 exec_lo, exec_lo, s0
	s_mov_b32 s1, -1
	s_wait_storecnt 0x0
	s_barrier_signal -1
	s_barrier_wait -1
.LBB107_188:
	s_and_b32 vcc_lo, exec_lo, s1
	s_cbranch_vccz .LBB107_190
; %bb.189:
	v_mov_b32_e32 v1, 0
	s_lshl_b64 s[0:1], s[10:11], 2
	s_delay_alu instid0(SALU_CYCLE_1)
	s_add_nc_u64 s[0:1], s[6:7], s[0:1]
	global_load_b32 v1, v1, s[0:1]
	s_wait_loadcnt 0x0
	v_cmp_ne_u32_e32 vcc_lo, 0, v1
	s_cbranch_vccz .LBB107_191
.LBB107_190:
	s_sendmsg sendmsg(MSG_DEALLOC_VGPRS)
	s_endpgm
.LBB107_191:
	s_wait_xcnt 0x0
	v_lshl_add_u32 v1, v0, 3, 0x160
	s_mov_b32 s0, exec_lo
	v_cmpx_eq_u32_e32 43, v0
	s_cbranch_execz .LBB107_193
; %bb.192:
	scratch_load_b64 v[90:91], off, off offset:336
	v_mov_b64_e32 v[92:93], 0
	scratch_store_b64 off, v[92:93], off offset:336
	s_wait_loadcnt 0x0
	ds_store_b64 v1, v[90:91]
.LBB107_193:
	s_wait_xcnt 0x0
	s_or_b32 exec_lo, exec_lo, s0
	s_wait_storecnt_dscnt 0x0
	s_barrier_signal -1
	s_barrier_wait -1
	s_clause 0x1
	scratch_load_b64 v[90:91], off, off offset:344
	scratch_load_b64 v[92:93], off, off offset:336
	v_mov_b32_e32 v7, 0
	s_mov_b32 s0, exec_lo
	ds_load_b64 v[94:95], v7 offset:696
	s_wait_loadcnt_dscnt 0x100
	v_pk_mul_f32 v[96:97], v[94:95], v[90:91] op_sel:[1,1] op_sel_hi:[0,1]
	s_delay_alu instid0(VALU_DEP_1) | instskip(SKIP_1) | instid1(VALU_DEP_2)
	v_pk_fma_f32 v[98:99], v[94:95], v[90:91], v[96:97] op_sel_hi:[1,0,1]
	v_pk_fma_f32 v[90:91], v[94:95], v[90:91], v[96:97] neg_lo:[0,0,1] neg_hi:[0,0,1]
	v_mov_b32_e32 v91, v99
	s_delay_alu instid0(VALU_DEP_1) | instskip(SKIP_1) | instid1(VALU_DEP_1)
	v_pk_add_f32 v[90:91], v[90:91], 0 op_sel_hi:[1,0]
	s_wait_loadcnt 0x0
	v_pk_add_f32 v[90:91], v[92:93], v[90:91] neg_lo:[0,1] neg_hi:[0,1]
	scratch_store_b64 off, v[90:91], off offset:336
	s_wait_xcnt 0x0
	v_cmpx_lt_u32_e32 41, v0
	s_cbranch_execz .LBB107_195
; %bb.194:
	scratch_load_b64 v[90:91], off, off offset:328
	v_mov_b64_e32 v[92:93], 0
	scratch_store_b64 off, v[92:93], off offset:328
	s_wait_loadcnt 0x0
	ds_store_b64 v1, v[90:91]
.LBB107_195:
	s_wait_xcnt 0x0
	s_or_b32 exec_lo, exec_lo, s0
	s_wait_storecnt_dscnt 0x0
	s_barrier_signal -1
	s_barrier_wait -1
	s_clause 0x1
	scratch_load_b128 v[90:93], off, off offset:336
	scratch_load_b64 v[98:99], off, off offset:328
	ds_load_b128 v[94:97], v7 offset:688
	s_mov_b32 s0, exec_lo
	s_wait_dscnt 0x0
	v_dual_mov_b32 v100, v97 :: v_dual_mov_b32 v101, v96
	s_wait_loadcnt 0x1
	v_pk_mul_f32 v[102:103], v[94:95], v[90:91] op_sel:[1,1] op_sel_hi:[0,1]
	s_delay_alu instid0(VALU_DEP_1) | instskip(SKIP_2) | instid1(VALU_DEP_3)
	v_pk_fma_f32 v[106:107], v[94:95], v[90:91], v[102:103] op_sel_hi:[1,0,1]
	v_mov_b32_e32 v104, v93
	v_pk_fma_f32 v[90:91], v[94:95], v[90:91], v[102:103] neg_lo:[0,0,1] neg_hi:[0,0,1]
	v_mov_b32_e32 v91, v107
	s_delay_alu instid0(VALU_DEP_3) | instskip(NEXT) | instid1(VALU_DEP_2)
	v_pk_mul_f32 v[100:101], v[100:101], v[104:105] op_sel_hi:[1,0]
	v_pk_add_f32 v[90:91], v[90:91], 0 op_sel_hi:[1,0]
	s_delay_alu instid0(VALU_DEP_2) | instskip(SKIP_1) | instid1(VALU_DEP_2)
	v_pk_fma_f32 v[94:95], v[96:97], v[92:93], v[100:101] op_sel_hi:[1,0,1]
	v_pk_fma_f32 v[92:93], v[96:97], v[92:93], v[100:101] neg_lo:[0,0,1] neg_hi:[0,0,1]
	v_mov_b32_e32 v93, v95
	s_delay_alu instid0(VALU_DEP_1) | instskip(SKIP_1) | instid1(VALU_DEP_1)
	v_pk_add_f32 v[90:91], v[90:91], v[92:93]
	s_wait_loadcnt 0x0
	v_pk_add_f32 v[90:91], v[98:99], v[90:91] neg_lo:[0,1] neg_hi:[0,1]
	scratch_store_b64 off, v[90:91], off offset:328
	s_wait_xcnt 0x0
	v_cmpx_lt_u32_e32 40, v0
	s_cbranch_execz .LBB107_197
; %bb.196:
	scratch_load_b64 v[90:91], off, off offset:320
	v_mov_b64_e32 v[92:93], 0
	scratch_store_b64 off, v[92:93], off offset:320
	s_wait_loadcnt 0x0
	ds_store_b64 v1, v[90:91]
.LBB107_197:
	s_wait_xcnt 0x0
	s_or_b32 exec_lo, exec_lo, s0
	s_wait_storecnt_dscnt 0x0
	s_barrier_signal -1
	s_barrier_wait -1
	s_clause 0x2
	scratch_load_b128 v[90:93], off, off offset:328
	scratch_load_b64 v[98:99], off, off offset:344
	scratch_load_b64 v[100:101], off, off offset:320
	v_mov_b32_e32 v7, 0
	ds_load_2addr_b64 v[94:97], v7 offset0:85 offset1:86
	ds_load_b64 v[102:103], v7 offset:696
	s_mov_b32 s0, exec_lo
	s_wait_dscnt 0x1
	v_dual_mov_b32 v104, v97 :: v_dual_mov_b32 v105, v96
	s_wait_loadcnt 0x2
	v_mov_b32_e32 v108, v93
	v_pk_mul_f32 v[106:107], v[94:95], v[90:91] op_sel:[1,1] op_sel_hi:[0,1]
	s_delay_alu instid0(VALU_DEP_2) | instskip(NEXT) | instid1(VALU_DEP_2)
	v_pk_mul_f32 v[104:105], v[104:105], v[108:109] op_sel_hi:[1,0]
	v_pk_fma_f32 v[110:111], v[94:95], v[90:91], v[106:107] op_sel_hi:[1,0,1]
	v_pk_fma_f32 v[90:91], v[94:95], v[90:91], v[106:107] neg_lo:[0,0,1] neg_hi:[0,0,1]
	s_wait_loadcnt_dscnt 0x100
	v_pk_mul_f32 v[106:107], v[102:103], v[98:99] op_sel:[1,1] op_sel_hi:[0,1]
	v_pk_fma_f32 v[94:95], v[96:97], v[92:93], v[104:105] op_sel_hi:[1,0,1]
	v_mov_b32_e32 v91, v111
	v_pk_fma_f32 v[92:93], v[96:97], v[92:93], v[104:105] neg_lo:[0,0,1] neg_hi:[0,0,1]
	s_delay_alu instid0(VALU_DEP_4) | instskip(NEXT) | instid1(VALU_DEP_4)
	v_pk_fma_f32 v[96:97], v[102:103], v[98:99], v[106:107] neg_lo:[0,0,1] neg_hi:[0,0,1]
	v_mov_b32_e32 v93, v95
	s_delay_alu instid0(VALU_DEP_4) | instskip(SKIP_1) | instid1(VALU_DEP_2)
	v_pk_add_f32 v[90:91], v[90:91], 0 op_sel_hi:[1,0]
	v_pk_fma_f32 v[94:95], v[102:103], v[98:99], v[106:107] op_sel_hi:[1,0,1]
	v_pk_add_f32 v[90:91], v[90:91], v[92:93]
	s_delay_alu instid0(VALU_DEP_2) | instskip(NEXT) | instid1(VALU_DEP_1)
	v_mov_b32_e32 v97, v95
	v_pk_add_f32 v[90:91], v[90:91], v[96:97]
	s_wait_loadcnt 0x0
	s_delay_alu instid0(VALU_DEP_1)
	v_pk_add_f32 v[90:91], v[100:101], v[90:91] neg_lo:[0,1] neg_hi:[0,1]
	scratch_store_b64 off, v[90:91], off offset:320
	s_wait_xcnt 0x0
	v_cmpx_lt_u32_e32 39, v0
	s_cbranch_execz .LBB107_199
; %bb.198:
	scratch_load_b64 v[90:91], off, off offset:312
	v_mov_b64_e32 v[92:93], 0
	scratch_store_b64 off, v[92:93], off offset:312
	s_wait_loadcnt 0x0
	ds_store_b64 v1, v[90:91]
.LBB107_199:
	s_wait_xcnt 0x0
	s_or_b32 exec_lo, exec_lo, s0
	s_wait_storecnt_dscnt 0x0
	s_barrier_signal -1
	s_barrier_wait -1
	s_clause 0x2
	scratch_load_b128 v[90:93], off, off offset:320
	scratch_load_b128 v[94:97], off, off offset:336
	scratch_load_b64 v[106:107], off, off offset:312
	ds_load_b128 v[98:101], v7 offset:672
	ds_load_b128 v[102:105], v7 offset:688
	s_mov_b32 s0, exec_lo
	s_wait_dscnt 0x1
	v_dual_mov_b32 v108, v101 :: v_dual_mov_b32 v109, v100
	s_wait_loadcnt_dscnt 0x200
	v_dual_mov_b32 v114, v105 :: v_dual_mov_b32 v112, v93
	v_pk_mul_f32 v[110:111], v[98:99], v[90:91] op_sel:[1,1] op_sel_hi:[0,1]
	s_delay_alu instid0(VALU_DEP_2) | instskip(NEXT) | instid1(VALU_DEP_2)
	v_pk_mul_f32 v[108:109], v[108:109], v[112:113] op_sel_hi:[1,0]
	v_pk_fma_f32 v[116:117], v[98:99], v[90:91], v[110:111] op_sel_hi:[1,0,1]
	v_pk_fma_f32 v[90:91], v[98:99], v[90:91], v[110:111] neg_lo:[0,0,1] neg_hi:[0,0,1]
	v_mov_b32_e32 v115, v104
	s_wait_loadcnt 0x1
	v_pk_mul_f32 v[112:113], v[102:103], v[94:95] op_sel:[1,1] op_sel_hi:[0,1]
	v_pk_fma_f32 v[98:99], v[100:101], v[92:93], v[108:109] op_sel_hi:[1,0,1]
	v_dual_mov_b32 v91, v117 :: v_dual_mov_b32 v98, v97
	v_pk_fma_f32 v[92:93], v[100:101], v[92:93], v[108:109] neg_lo:[0,0,1] neg_hi:[0,0,1]
	s_delay_alu instid0(VALU_DEP_4) | instskip(NEXT) | instid1(VALU_DEP_4)
	v_pk_fma_f32 v[110:111], v[102:103], v[94:95], v[112:113] op_sel_hi:[1,0,1]
	v_mov_b32_e32 v93, v99
	s_delay_alu instid0(VALU_DEP_4) | instskip(SKIP_2) | instid1(VALU_DEP_3)
	v_pk_add_f32 v[90:91], v[90:91], 0 op_sel_hi:[1,0]
	v_pk_mul_f32 v[98:99], v[114:115], v[98:99] op_sel_hi:[1,0]
	v_pk_fma_f32 v[94:95], v[102:103], v[94:95], v[112:113] neg_lo:[0,0,1] neg_hi:[0,0,1]
	v_pk_add_f32 v[90:91], v[90:91], v[92:93]
	s_delay_alu instid0(VALU_DEP_3) | instskip(SKIP_2) | instid1(VALU_DEP_3)
	v_pk_fma_f32 v[92:93], v[104:105], v[96:97], v[98:99] op_sel_hi:[1,0,1]
	v_mov_b32_e32 v95, v111
	v_pk_fma_f32 v[96:97], v[104:105], v[96:97], v[98:99] neg_lo:[0,0,1] neg_hi:[0,0,1]
	v_mov_b32_e32 v97, v93
	s_delay_alu instid0(VALU_DEP_3) | instskip(NEXT) | instid1(VALU_DEP_1)
	v_pk_add_f32 v[90:91], v[90:91], v[94:95]
	v_pk_add_f32 v[90:91], v[90:91], v[96:97]
	s_wait_loadcnt 0x0
	s_delay_alu instid0(VALU_DEP_1)
	v_pk_add_f32 v[90:91], v[106:107], v[90:91] neg_lo:[0,1] neg_hi:[0,1]
	scratch_store_b64 off, v[90:91], off offset:312
	s_wait_xcnt 0x0
	v_cmpx_lt_u32_e32 38, v0
	s_cbranch_execz .LBB107_201
; %bb.200:
	scratch_load_b64 v[90:91], off, off offset:304
	v_mov_b64_e32 v[92:93], 0
	scratch_store_b64 off, v[92:93], off offset:304
	s_wait_loadcnt 0x0
	ds_store_b64 v1, v[90:91]
.LBB107_201:
	s_wait_xcnt 0x0
	s_or_b32 exec_lo, exec_lo, s0
	s_wait_storecnt_dscnt 0x0
	s_barrier_signal -1
	s_barrier_wait -1
	s_clause 0x3
	scratch_load_b128 v[90:93], off, off offset:312
	scratch_load_b128 v[94:97], off, off offset:328
	scratch_load_b64 v[106:107], off, off offset:344
	scratch_load_b64 v[108:109], off, off offset:304
	v_mov_b32_e32 v7, 0
	ds_load_2addr_b64 v[98:101], v7 offset0:83 offset1:84
	ds_load_2addr_b64 v[102:105], v7 offset0:85 offset1:86
	s_mov_b32 s0, exec_lo
	s_wait_dscnt 0x1
	v_dual_mov_b32 v110, v101 :: v_dual_mov_b32 v111, v100
	ds_load_b64 v[116:117], v7 offset:696
	s_wait_dscnt 0x1
	v_dual_mov_b32 v118, v105 :: v_dual_mov_b32 v119, v104
	s_wait_loadcnt 0x3
	v_pk_mul_f32 v[112:113], v[98:99], v[90:91] op_sel:[1,1] op_sel_hi:[0,1]
	v_mov_b32_e32 v114, v93
	s_delay_alu instid0(VALU_DEP_2) | instskip(NEXT) | instid1(VALU_DEP_2)
	v_pk_fma_f32 v[120:121], v[98:99], v[90:91], v[112:113] op_sel_hi:[1,0,1]
	v_pk_mul_f32 v[110:111], v[110:111], v[114:115] op_sel_hi:[1,0]
	v_pk_fma_f32 v[90:91], v[98:99], v[90:91], v[112:113] neg_lo:[0,0,1] neg_hi:[0,0,1]
	s_wait_loadcnt 0x2
	v_pk_mul_f32 v[114:115], v[102:103], v[94:95] op_sel:[1,1] op_sel_hi:[0,1]
	v_dual_mov_b32 v120, v97 :: v_dual_mov_b32 v91, v121
	v_pk_fma_f32 v[98:99], v[100:101], v[92:93], v[110:111] op_sel_hi:[1,0,1]
	v_pk_fma_f32 v[92:93], v[100:101], v[92:93], v[110:111] neg_lo:[0,0,1] neg_hi:[0,0,1]
	s_delay_alu instid0(VALU_DEP_4) | instskip(NEXT) | instid1(VALU_DEP_4)
	v_pk_fma_f32 v[112:113], v[102:103], v[94:95], v[114:115] op_sel_hi:[1,0,1]
	v_pk_mul_f32 v[118:119], v[118:119], v[120:121] op_sel_hi:[1,0]
	v_pk_add_f32 v[90:91], v[90:91], 0 op_sel_hi:[1,0]
	v_mov_b32_e32 v93, v99
	v_pk_fma_f32 v[94:95], v[102:103], v[94:95], v[114:115] neg_lo:[0,0,1] neg_hi:[0,0,1]
	v_mov_b32_e32 v95, v113
	v_pk_fma_f32 v[98:99], v[104:105], v[96:97], v[118:119] op_sel_hi:[1,0,1]
	v_pk_fma_f32 v[96:97], v[104:105], v[96:97], v[118:119] neg_lo:[0,0,1] neg_hi:[0,0,1]
	v_pk_add_f32 v[90:91], v[90:91], v[92:93]
	s_wait_loadcnt_dscnt 0x100
	v_pk_mul_f32 v[92:93], v[116:117], v[106:107] op_sel:[1,1] op_sel_hi:[0,1]
	s_delay_alu instid0(VALU_DEP_2) | instskip(NEXT) | instid1(VALU_DEP_2)
	v_pk_add_f32 v[90:91], v[90:91], v[94:95]
	v_pk_fma_f32 v[94:95], v[116:117], v[106:107], v[92:93] op_sel_hi:[1,0,1]
	v_mov_b32_e32 v97, v99
	v_pk_fma_f32 v[92:93], v[116:117], v[106:107], v[92:93] neg_lo:[0,0,1] neg_hi:[0,0,1]
	s_delay_alu instid0(VALU_DEP_3) | instskip(NEXT) | instid1(VALU_DEP_3)
	v_mov_b32_e32 v93, v95
	v_pk_add_f32 v[90:91], v[90:91], v[96:97]
	s_delay_alu instid0(VALU_DEP_1) | instskip(SKIP_1) | instid1(VALU_DEP_1)
	v_pk_add_f32 v[90:91], v[90:91], v[92:93]
	s_wait_loadcnt 0x0
	v_pk_add_f32 v[90:91], v[108:109], v[90:91] neg_lo:[0,1] neg_hi:[0,1]
	scratch_store_b64 off, v[90:91], off offset:304
	s_wait_xcnt 0x0
	v_cmpx_lt_u32_e32 37, v0
	s_cbranch_execz .LBB107_203
; %bb.202:
	scratch_load_b64 v[90:91], off, off offset:296
	v_mov_b64_e32 v[92:93], 0
	scratch_store_b64 off, v[92:93], off offset:296
	s_wait_loadcnt 0x0
	ds_store_b64 v1, v[90:91]
.LBB107_203:
	s_wait_xcnt 0x0
	s_or_b32 exec_lo, exec_lo, s0
	s_wait_storecnt_dscnt 0x0
	s_barrier_signal -1
	s_barrier_wait -1
	s_clause 0x3
	scratch_load_b128 v[90:93], off, off offset:304
	scratch_load_b128 v[94:97], off, off offset:320
	;; [unrolled: 1-line block ×3, first 2 shown]
	scratch_load_b64 v[114:115], off, off offset:296
	ds_load_b128 v[102:105], v7 offset:656
	ds_load_b128 v[106:109], v7 offset:672
	;; [unrolled: 1-line block ×3, first 2 shown]
	s_mov_b32 s0, exec_lo
	s_wait_dscnt 0x2
	v_dual_mov_b32 v116, v105 :: v_dual_mov_b32 v117, v104
	s_wait_dscnt 0x1
	v_dual_mov_b32 v118, v109 :: v_dual_mov_b32 v119, v108
	;; [unrolled: 2-line block ×3, first 2 shown]
	s_wait_loadcnt 0x3
	v_pk_mul_f32 v[120:121], v[102:103], v[90:91] op_sel:[1,1] op_sel_hi:[0,1]
	v_mov_b32_e32 v122, v93
	s_delay_alu instid0(VALU_DEP_2) | instskip(NEXT) | instid1(VALU_DEP_2)
	v_pk_fma_f32 v[126:127], v[102:103], v[90:91], v[120:121] op_sel_hi:[1,0,1]
	v_pk_mul_f32 v[116:117], v[116:117], v[122:123] op_sel_hi:[1,0]
	v_pk_fma_f32 v[90:91], v[102:103], v[90:91], v[120:121] neg_lo:[0,0,1] neg_hi:[0,0,1]
	s_wait_loadcnt 0x2
	v_pk_mul_f32 v[122:123], v[106:107], v[94:95] op_sel:[1,1] op_sel_hi:[0,1]
	v_mov_b32_e32 v126, v97
	v_pk_fma_f32 v[102:103], v[104:105], v[92:93], v[116:117] op_sel_hi:[1,0,1]
	v_mov_b32_e32 v91, v127
	v_pk_fma_f32 v[92:93], v[104:105], v[92:93], v[116:117] neg_lo:[0,0,1] neg_hi:[0,0,1]
	v_pk_fma_f32 v[120:121], v[106:107], v[94:95], v[122:123] op_sel_hi:[1,0,1]
	v_pk_mul_f32 v[118:119], v[118:119], v[126:127] op_sel_hi:[1,0]
	v_mov_b32_e32 v93, v103
	v_pk_add_f32 v[90:91], v[90:91], 0 op_sel_hi:[1,0]
	v_pk_fma_f32 v[94:95], v[106:107], v[94:95], v[122:123] neg_lo:[0,0,1] neg_hi:[0,0,1]
	s_wait_loadcnt 0x1
	v_pk_mul_f32 v[102:103], v[110:111], v[98:99] op_sel:[1,1] op_sel_hi:[0,1]
	v_mov_b32_e32 v95, v121
	v_pk_fma_f32 v[104:105], v[108:109], v[96:97], v[118:119] op_sel_hi:[1,0,1]
	v_pk_add_f32 v[90:91], v[90:91], v[92:93]
	v_mov_b32_e32 v92, v101
	v_pk_fma_f32 v[96:97], v[108:109], v[96:97], v[118:119] neg_lo:[0,0,1] neg_hi:[0,0,1]
	v_pk_fma_f32 v[106:107], v[110:111], v[98:99], v[102:103] op_sel_hi:[1,0,1]
	v_mov_b32_e32 v97, v105
	v_pk_add_f32 v[90:91], v[90:91], v[94:95]
	v_pk_mul_f32 v[92:93], v[124:125], v[92:93] op_sel_hi:[1,0]
	v_pk_fma_f32 v[94:95], v[110:111], v[98:99], v[102:103] neg_lo:[0,0,1] neg_hi:[0,0,1]
	v_mov_b32_e32 v95, v107
	s_delay_alu instid0(VALU_DEP_4) | instskip(NEXT) | instid1(VALU_DEP_4)
	v_pk_add_f32 v[90:91], v[90:91], v[96:97]
	v_pk_fma_f32 v[96:97], v[112:113], v[100:101], v[92:93] op_sel_hi:[1,0,1]
	v_pk_fma_f32 v[92:93], v[112:113], v[100:101], v[92:93] neg_lo:[0,0,1] neg_hi:[0,0,1]
	s_delay_alu instid0(VALU_DEP_3) | instskip(NEXT) | instid1(VALU_DEP_3)
	v_pk_add_f32 v[90:91], v[90:91], v[94:95]
	v_mov_b32_e32 v93, v97
	s_delay_alu instid0(VALU_DEP_1) | instskip(SKIP_1) | instid1(VALU_DEP_1)
	v_pk_add_f32 v[90:91], v[90:91], v[92:93]
	s_wait_loadcnt 0x0
	v_pk_add_f32 v[90:91], v[114:115], v[90:91] neg_lo:[0,1] neg_hi:[0,1]
	scratch_store_b64 off, v[90:91], off offset:296
	s_wait_xcnt 0x0
	v_cmpx_lt_u32_e32 36, v0
	s_cbranch_execz .LBB107_205
; %bb.204:
	scratch_load_b64 v[90:91], off, off offset:288
	v_mov_b64_e32 v[92:93], 0
	scratch_store_b64 off, v[92:93], off offset:288
	s_wait_loadcnt 0x0
	ds_store_b64 v1, v[90:91]
.LBB107_205:
	s_wait_xcnt 0x0
	s_or_b32 exec_lo, exec_lo, s0
	s_wait_storecnt_dscnt 0x0
	s_barrier_signal -1
	s_barrier_wait -1
	s_clause 0x4
	scratch_load_b128 v[90:93], off, off offset:296
	scratch_load_b128 v[94:97], off, off offset:312
	;; [unrolled: 1-line block ×3, first 2 shown]
	scratch_load_b64 v[114:115], off, off offset:344
	scratch_load_b64 v[116:117], off, off offset:288
	v_mov_b32_e32 v7, 0
	ds_load_2addr_b64 v[102:105], v7 offset0:81 offset1:82
	ds_load_2addr_b64 v[106:109], v7 offset0:83 offset1:84
	ds_load_2addr_b64 v[110:113], v7 offset0:85 offset1:86
	ds_load_b64 v[118:119], v7 offset:696
	s_mov_b32 s0, exec_lo
	s_wait_dscnt 0x3
	v_dual_mov_b32 v120, v105 :: v_dual_mov_b32 v121, v104
	s_wait_dscnt 0x2
	v_dual_mov_b32 v122, v109 :: v_dual_mov_b32 v123, v108
	;; [unrolled: 2-line block ×3, first 2 shown]
	s_wait_loadcnt 0x4
	v_pk_mul_f32 v[124:125], v[102:103], v[90:91] op_sel:[1,1] op_sel_hi:[0,1]
	v_mov_b32_e32 v126, v93
	s_wait_loadcnt 0x3
	v_pk_mul_f32 v[130:131], v[106:107], v[94:95] op_sel:[1,1] op_sel_hi:[0,1]
	s_wait_loadcnt 0x2
	v_pk_mul_f32 v[134:135], v[110:111], v[98:99] op_sel:[1,1] op_sel_hi:[0,1]
	v_pk_fma_f32 v[132:133], v[102:103], v[90:91], v[124:125] op_sel_hi:[1,0,1]
	v_pk_mul_f32 v[120:121], v[120:121], v[126:127] op_sel_hi:[1,0]
	v_pk_fma_f32 v[90:91], v[102:103], v[90:91], v[124:125] neg_lo:[0,0,1] neg_hi:[0,0,1]
	v_mov_b32_e32 v126, v97
	v_pk_fma_f32 v[124:125], v[106:107], v[94:95], v[130:131] op_sel_hi:[1,0,1]
	v_mov_b32_e32 v91, v133
	v_pk_fma_f32 v[102:103], v[104:105], v[92:93], v[120:121] op_sel_hi:[1,0,1]
	v_pk_fma_f32 v[92:93], v[104:105], v[92:93], v[120:121] neg_lo:[0,0,1] neg_hi:[0,0,1]
	v_pk_mul_f32 v[122:123], v[122:123], v[126:127] op_sel_hi:[1,0]
	v_pk_fma_f32 v[94:95], v[106:107], v[94:95], v[130:131] neg_lo:[0,0,1] neg_hi:[0,0,1]
	v_pk_add_f32 v[90:91], v[90:91], 0 op_sel_hi:[1,0]
	v_dual_mov_b32 v93, v103 :: v_dual_mov_b32 v102, v101
	s_delay_alu instid0(VALU_DEP_4) | instskip(SKIP_2) | instid1(VALU_DEP_4)
	v_pk_fma_f32 v[104:105], v[108:109], v[96:97], v[122:123] op_sel_hi:[1,0,1]
	v_mov_b32_e32 v95, v125
	v_pk_fma_f32 v[96:97], v[108:109], v[96:97], v[122:123] neg_lo:[0,0,1] neg_hi:[0,0,1]
	v_pk_add_f32 v[90:91], v[90:91], v[92:93]
	v_pk_fma_f32 v[92:93], v[110:111], v[98:99], v[134:135] op_sel_hi:[1,0,1]
	v_pk_mul_f32 v[102:103], v[128:129], v[102:103] op_sel_hi:[1,0]
	v_mov_b32_e32 v97, v105
	s_delay_alu instid0(VALU_DEP_4)
	v_pk_add_f32 v[90:91], v[90:91], v[94:95]
	v_pk_fma_f32 v[94:95], v[110:111], v[98:99], v[134:135] neg_lo:[0,0,1] neg_hi:[0,0,1]
	v_mov_b32_e32 v95, v93
	v_pk_fma_f32 v[92:93], v[112:113], v[100:101], v[102:103] op_sel_hi:[1,0,1]
	v_pk_fma_f32 v[98:99], v[112:113], v[100:101], v[102:103] neg_lo:[0,0,1] neg_hi:[0,0,1]
	v_pk_add_f32 v[90:91], v[90:91], v[96:97]
	s_wait_loadcnt_dscnt 0x100
	v_pk_mul_f32 v[96:97], v[118:119], v[114:115] op_sel:[1,1] op_sel_hi:[0,1]
	v_mov_b32_e32 v99, v93
	s_delay_alu instid0(VALU_DEP_3) | instskip(NEXT) | instid1(VALU_DEP_3)
	v_pk_add_f32 v[90:91], v[90:91], v[94:95]
	v_pk_fma_f32 v[92:93], v[118:119], v[114:115], v[96:97] op_sel_hi:[1,0,1]
	v_pk_fma_f32 v[94:95], v[118:119], v[114:115], v[96:97] neg_lo:[0,0,1] neg_hi:[0,0,1]
	s_delay_alu instid0(VALU_DEP_3) | instskip(NEXT) | instid1(VALU_DEP_3)
	v_pk_add_f32 v[90:91], v[90:91], v[98:99]
	v_mov_b32_e32 v95, v93
	s_delay_alu instid0(VALU_DEP_1) | instskip(SKIP_1) | instid1(VALU_DEP_1)
	v_pk_add_f32 v[90:91], v[90:91], v[94:95]
	s_wait_loadcnt 0x0
	v_pk_add_f32 v[90:91], v[116:117], v[90:91] neg_lo:[0,1] neg_hi:[0,1]
	scratch_store_b64 off, v[90:91], off offset:288
	s_wait_xcnt 0x0
	v_cmpx_lt_u32_e32 35, v0
	s_cbranch_execz .LBB107_207
; %bb.206:
	scratch_load_b64 v[90:91], off, off offset:280
	v_mov_b64_e32 v[92:93], 0
	scratch_store_b64 off, v[92:93], off offset:280
	s_wait_loadcnt 0x0
	ds_store_b64 v1, v[90:91]
.LBB107_207:
	s_wait_xcnt 0x0
	s_or_b32 exec_lo, exec_lo, s0
	s_wait_storecnt_dscnt 0x0
	s_barrier_signal -1
	s_barrier_wait -1
	s_clause 0x4
	scratch_load_b128 v[90:93], off, off offset:288
	scratch_load_b128 v[94:97], off, off offset:304
	;; [unrolled: 1-line block ×4, first 2 shown]
	scratch_load_b64 v[122:123], off, off offset:280
	ds_load_b128 v[106:109], v7 offset:640
	ds_load_b128 v[110:113], v7 offset:656
	ds_load_b128 v[114:117], v7 offset:672
	ds_load_b128 v[118:121], v7 offset:688
	s_mov_b32 s0, exec_lo
	s_wait_dscnt 0x3
	v_dual_mov_b32 v124, v109 :: v_dual_mov_b32 v125, v108
	s_wait_dscnt 0x2
	v_dual_mov_b32 v126, v113 :: v_dual_mov_b32 v127, v112
	;; [unrolled: 2-line block ×3, first 2 shown]
	v_dual_mov_b32 v129, v116 :: v_dual_mov_b32 v134, v121
	s_wait_loadcnt 0x4
	v_mov_b32_e32 v132, v93
	v_pk_mul_f32 v[130:131], v[106:107], v[90:91] op_sel:[1,1] op_sel_hi:[0,1]
	s_wait_loadcnt 0x3
	v_pk_mul_f32 v[136:137], v[110:111], v[94:95] op_sel:[1,1] op_sel_hi:[0,1]
	s_wait_loadcnt 0x2
	v_pk_mul_f32 v[140:141], v[114:115], v[98:99] op_sel:[1,1] op_sel_hi:[0,1]
	v_pk_mul_f32 v[124:125], v[124:125], v[132:133] op_sel_hi:[1,0]
	v_pk_fma_f32 v[138:139], v[106:107], v[90:91], v[130:131] op_sel_hi:[1,0,1]
	v_pk_fma_f32 v[90:91], v[106:107], v[90:91], v[130:131] neg_lo:[0,0,1] neg_hi:[0,0,1]
	v_mov_b32_e32 v132, v97
	v_pk_fma_f32 v[130:131], v[110:111], v[94:95], v[136:137] op_sel_hi:[1,0,1]
	v_pk_fma_f32 v[106:107], v[108:109], v[92:93], v[124:125] op_sel_hi:[1,0,1]
	v_mov_b32_e32 v91, v139
	v_pk_fma_f32 v[92:93], v[108:109], v[92:93], v[124:125] neg_lo:[0,0,1] neg_hi:[0,0,1]
	v_pk_mul_f32 v[126:127], v[126:127], v[132:133] op_sel_hi:[1,0]
	s_delay_alu instid0(VALU_DEP_4) | instskip(NEXT) | instid1(VALU_DEP_4)
	v_dual_mov_b32 v106, v101 :: v_dual_mov_b32 v93, v107
	v_pk_add_f32 v[90:91], v[90:91], 0 op_sel_hi:[1,0]
	v_pk_fma_f32 v[94:95], v[110:111], v[94:95], v[136:137] neg_lo:[0,0,1] neg_hi:[0,0,1]
	v_mov_b32_e32 v95, v131
	v_pk_fma_f32 v[108:109], v[112:113], v[96:97], v[126:127] op_sel_hi:[1,0,1]
	v_pk_mul_f32 v[106:107], v[128:129], v[106:107] op_sel_hi:[1,0]
	v_pk_add_f32 v[90:91], v[90:91], v[92:93]
	v_pk_fma_f32 v[92:93], v[114:115], v[98:99], v[140:141] op_sel_hi:[1,0,1]
	v_pk_fma_f32 v[96:97], v[112:113], v[96:97], v[126:127] neg_lo:[0,0,1] neg_hi:[0,0,1]
	v_mov_b32_e32 v97, v109
	v_pk_fma_f32 v[98:99], v[114:115], v[98:99], v[140:141] neg_lo:[0,0,1] neg_hi:[0,0,1]
	v_pk_add_f32 v[90:91], v[90:91], v[94:95]
	v_mov_b32_e32 v99, v93
	v_pk_fma_f32 v[92:93], v[116:117], v[100:101], v[106:107] op_sel_hi:[1,0,1]
	s_wait_loadcnt 0x1
	v_pk_mul_f32 v[94:95], v[118:119], v[102:103] op_sel:[1,1] op_sel_hi:[0,1]
	v_mov_b32_e32 v92, v105
	v_pk_add_f32 v[90:91], v[90:91], v[96:97]
	v_pk_fma_f32 v[100:101], v[116:117], v[100:101], v[106:107] neg_lo:[0,0,1] neg_hi:[0,0,1]
	v_mov_b32_e32 v101, v93
	v_pk_fma_f32 v[96:97], v[118:119], v[102:103], v[94:95] op_sel_hi:[1,0,1]
	v_pk_mul_f32 v[92:93], v[134:135], v[92:93] op_sel_hi:[1,0]
	v_pk_add_f32 v[90:91], v[90:91], v[98:99]
	v_pk_fma_f32 v[94:95], v[118:119], v[102:103], v[94:95] neg_lo:[0,0,1] neg_hi:[0,0,1]
	s_delay_alu instid0(VALU_DEP_4) | instskip(NEXT) | instid1(VALU_DEP_4)
	v_mov_b32_e32 v95, v97
	v_pk_fma_f32 v[96:97], v[120:121], v[104:105], v[92:93] op_sel_hi:[1,0,1]
	s_delay_alu instid0(VALU_DEP_4) | instskip(SKIP_1) | instid1(VALU_DEP_3)
	v_pk_add_f32 v[90:91], v[90:91], v[100:101]
	v_pk_fma_f32 v[92:93], v[120:121], v[104:105], v[92:93] neg_lo:[0,0,1] neg_hi:[0,0,1]
	v_mov_b32_e32 v93, v97
	s_delay_alu instid0(VALU_DEP_3) | instskip(NEXT) | instid1(VALU_DEP_1)
	v_pk_add_f32 v[90:91], v[90:91], v[94:95]
	v_pk_add_f32 v[90:91], v[90:91], v[92:93]
	s_wait_loadcnt 0x0
	s_delay_alu instid0(VALU_DEP_1)
	v_pk_add_f32 v[90:91], v[122:123], v[90:91] neg_lo:[0,1] neg_hi:[0,1]
	scratch_store_b64 off, v[90:91], off offset:280
	s_wait_xcnt 0x0
	v_cmpx_lt_u32_e32 34, v0
	s_cbranch_execz .LBB107_209
; %bb.208:
	scratch_load_b64 v[90:91], off, off offset:272
	v_mov_b64_e32 v[92:93], 0
	scratch_store_b64 off, v[92:93], off offset:272
	s_wait_loadcnt 0x0
	ds_store_b64 v1, v[90:91]
.LBB107_209:
	s_wait_xcnt 0x0
	s_or_b32 exec_lo, exec_lo, s0
	s_wait_storecnt_dscnt 0x0
	s_barrier_signal -1
	s_barrier_wait -1
	s_clause 0x5
	scratch_load_b128 v[90:93], off, off offset:280
	scratch_load_b128 v[94:97], off, off offset:296
	;; [unrolled: 1-line block ×4, first 2 shown]
	scratch_load_b64 v[122:123], off, off offset:344
	scratch_load_b64 v[124:125], off, off offset:272
	v_mov_b32_e32 v7, 0
	ds_load_2addr_b64 v[106:109], v7 offset0:79 offset1:80
	ds_load_2addr_b64 v[110:113], v7 offset0:81 offset1:82
	;; [unrolled: 1-line block ×4, first 2 shown]
	ds_load_b64 v[126:127], v7 offset:696
	s_mov_b32 s0, exec_lo
	s_wait_dscnt 0x4
	v_dual_mov_b32 v128, v109 :: v_dual_mov_b32 v129, v108
	s_wait_dscnt 0x1
	v_dual_mov_b32 v130, v113 :: v_dual_mov_b32 v135, v120
	v_dual_mov_b32 v131, v112 :: v_dual_mov_b32 v132, v117
	;; [unrolled: 1-line block ×3, first 2 shown]
	s_wait_loadcnt 0x5
	v_dual_mov_b32 v136, v93 :: v_dual_mul_f32 v137, v106, v91
	v_mul_f32_e32 v9, v107, v91
	s_wait_loadcnt 0x4
	v_pk_mul_f32 v[138:139], v[110:111], v[94:95] op_sel:[1,1] op_sel_hi:[0,1]
	v_mov_b32_e32 v140, v97
	s_wait_loadcnt 0x3
	v_pk_mul_f32 v[142:143], v[114:115], v[98:99] op_sel:[1,1] op_sel_hi:[0,1]
	v_pk_mul_f32 v[128:129], v[128:129], v[136:137] op_sel_hi:[1,0]
	v_fmac_f32_e32 v137, v107, v90
	v_dual_fma_f32 v136, v106, v90, -v9 :: v_dual_mov_b32 v90, v101
	v_pk_fma_f32 v[144:145], v[110:111], v[94:95], v[138:139] op_sel_hi:[1,0,1]
	s_delay_alu instid0(VALU_DEP_4)
	v_pk_fma_f32 v[106:107], v[108:109], v[92:93], v[128:129] op_sel_hi:[1,0,1]
	v_pk_fma_f32 v[92:93], v[108:109], v[92:93], v[128:129] neg_lo:[0,0,1] neg_hi:[0,0,1]
	v_pk_mul_f32 v[130:131], v[130:131], v[140:141] op_sel_hi:[1,0]
	v_pk_add_f32 v[136:137], v[136:137], 0 op_sel_hi:[1,0]
	v_pk_fma_f32 v[94:95], v[110:111], v[94:95], v[138:139] neg_lo:[0,0,1] neg_hi:[0,0,1]
	v_dual_mov_b32 v93, v107 :: v_dual_mov_b32 v95, v145
	s_delay_alu instid0(VALU_DEP_4) | instskip(SKIP_2) | instid1(VALU_DEP_4)
	v_pk_fma_f32 v[108:109], v[112:113], v[96:97], v[130:131] op_sel_hi:[1,0,1]
	v_pk_fma_f32 v[96:97], v[112:113], v[96:97], v[130:131] neg_lo:[0,0,1] neg_hi:[0,0,1]
	v_pk_fma_f32 v[110:111], v[114:115], v[98:99], v[142:143] op_sel_hi:[1,0,1]
	v_pk_add_f32 v[92:93], v[136:137], v[92:93]
	v_pk_mul_f32 v[90:91], v[132:133], v[90:91] op_sel_hi:[1,0]
	v_mov_b32_e32 v97, v109
	v_pk_fma_f32 v[98:99], v[114:115], v[98:99], v[142:143] neg_lo:[0,0,1] neg_hi:[0,0,1]
	s_wait_loadcnt 0x2
	v_pk_mul_f32 v[106:107], v[118:119], v[102:103] op_sel:[1,1] op_sel_hi:[0,1]
	v_pk_add_f32 v[92:93], v[92:93], v[94:95]
	v_mov_b32_e32 v94, v105
	v_pk_fma_f32 v[108:109], v[116:117], v[100:101], v[90:91] op_sel_hi:[1,0,1]
	v_mov_b32_e32 v99, v111
	v_pk_fma_f32 v[90:91], v[116:117], v[100:101], v[90:91] neg_lo:[0,0,1] neg_hi:[0,0,1]
	v_pk_add_f32 v[92:93], v[92:93], v[96:97]
	v_pk_fma_f32 v[96:97], v[118:119], v[102:103], v[106:107] op_sel_hi:[1,0,1]
	v_pk_mul_f32 v[94:95], v[134:135], v[94:95] op_sel_hi:[1,0]
	v_mov_b32_e32 v91, v109
	s_delay_alu instid0(VALU_DEP_4)
	v_pk_add_f32 v[92:93], v[92:93], v[98:99]
	v_pk_fma_f32 v[98:99], v[118:119], v[102:103], v[106:107] neg_lo:[0,0,1] neg_hi:[0,0,1]
	v_mov_b32_e32 v99, v97
	v_pk_fma_f32 v[96:97], v[120:121], v[104:105], v[94:95] op_sel_hi:[1,0,1]
	v_pk_fma_f32 v[94:95], v[120:121], v[104:105], v[94:95] neg_lo:[0,0,1] neg_hi:[0,0,1]
	v_pk_add_f32 v[90:91], v[92:93], v[90:91]
	s_wait_loadcnt_dscnt 0x100
	v_pk_mul_f32 v[92:93], v[126:127], v[122:123] op_sel:[1,1] op_sel_hi:[0,1]
	v_mov_b32_e32 v95, v97
	s_delay_alu instid0(VALU_DEP_3) | instskip(NEXT) | instid1(VALU_DEP_3)
	v_pk_add_f32 v[90:91], v[90:91], v[98:99]
	v_pk_fma_f32 v[96:97], v[126:127], v[122:123], v[92:93] op_sel_hi:[1,0,1]
	v_pk_fma_f32 v[92:93], v[126:127], v[122:123], v[92:93] neg_lo:[0,0,1] neg_hi:[0,0,1]
	s_delay_alu instid0(VALU_DEP_3) | instskip(NEXT) | instid1(VALU_DEP_3)
	v_pk_add_f32 v[90:91], v[90:91], v[94:95]
	v_mov_b32_e32 v93, v97
	s_delay_alu instid0(VALU_DEP_1) | instskip(SKIP_1) | instid1(VALU_DEP_1)
	v_pk_add_f32 v[90:91], v[90:91], v[92:93]
	s_wait_loadcnt 0x0
	v_pk_add_f32 v[90:91], v[124:125], v[90:91] neg_lo:[0,1] neg_hi:[0,1]
	scratch_store_b64 off, v[90:91], off offset:272
	s_wait_xcnt 0x0
	v_cmpx_lt_u32_e32 33, v0
	s_cbranch_execz .LBB107_211
; %bb.210:
	scratch_load_b64 v[90:91], off, off offset:264
	v_mov_b64_e32 v[92:93], 0
	scratch_store_b64 off, v[92:93], off offset:264
	s_wait_loadcnt 0x0
	ds_store_b64 v1, v[90:91]
.LBB107_211:
	s_wait_xcnt 0x0
	s_or_b32 exec_lo, exec_lo, s0
	s_wait_storecnt_dscnt 0x0
	s_barrier_signal -1
	s_barrier_wait -1
	s_clause 0x5
	scratch_load_b128 v[90:93], off, off offset:272
	scratch_load_b128 v[94:97], off, off offset:288
	scratch_load_b128 v[98:101], off, off offset:304
	scratch_load_b128 v[102:105], off, off offset:320
	scratch_load_b128 v[106:109], off, off offset:336
	scratch_load_b64 v[130:131], off, off offset:264
	ds_load_b128 v[110:113], v7 offset:640
	ds_load_b128 v[114:117], v7 offset:656
	;; [unrolled: 1-line block ×5, first 2 shown]
	s_mov_b32 s0, exec_lo
	s_wait_dscnt 0x4
	v_dual_mov_b32 v132, v113 :: v_dual_mov_b32 v133, v112
	s_wait_dscnt 0x3
	v_dual_mov_b32 v134, v117 :: v_dual_mov_b32 v135, v116
	;; [unrolled: 2-line block ×4, first 2 shown]
	s_wait_loadcnt_dscnt 0x500
	v_dual_mul_f32 v141, v126, v91 :: v_dual_mul_f32 v143, v128, v93
	v_dual_mul_f32 v7, v127, v91 :: v_dual_mul_f32 v9, v129, v93
	s_wait_loadcnt 0x4
	v_pk_mul_f32 v[144:145], v[110:111], v[94:95] op_sel:[1,1] op_sel_hi:[0,1]
	s_wait_loadcnt 0x3
	v_dual_mov_b32 v146, v97 :: v_dual_mov_b32 v150, v101
	v_dual_fmac_f32 v141, v127, v90 :: v_dual_fma_f32 v140, v126, v90, -v7
	v_dual_fmac_f32 v143, v129, v92 :: v_dual_fma_f32 v142, v128, v92, -v9
	v_pk_fma_f32 v[90:91], v[110:111], v[94:95], v[144:145] op_sel_hi:[1,0,1]
	s_delay_alu instid0(VALU_DEP_4) | instskip(NEXT) | instid1(VALU_DEP_4)
	v_pk_mul_f32 v[92:93], v[132:133], v[146:147] op_sel_hi:[1,0]
	v_pk_add_f32 v[126:127], v[140:141], 0 op_sel_hi:[1,0]
	v_pk_fma_f32 v[94:95], v[110:111], v[94:95], v[144:145] neg_lo:[0,0,1] neg_hi:[0,0,1]
	v_pk_mul_f32 v[148:149], v[114:115], v[98:99] op_sel:[1,1] op_sel_hi:[0,1]
	v_mov_b32_e32 v95, v91
	v_pk_fma_f32 v[90:91], v[112:113], v[96:97], v[92:93] op_sel_hi:[1,0,1]
	v_pk_add_f32 v[110:111], v[126:127], v[142:143]
	v_pk_fma_f32 v[92:93], v[112:113], v[96:97], v[92:93] neg_lo:[0,0,1] neg_hi:[0,0,1]
	v_pk_fma_f32 v[126:127], v[114:115], v[98:99], v[148:149] op_sel_hi:[1,0,1]
	v_pk_mul_f32 v[132:133], v[134:135], v[150:151] op_sel_hi:[1,0]
	v_mov_b32_e32 v93, v91
	v_pk_add_f32 v[90:91], v[110:111], v[94:95]
	s_wait_loadcnt 0x2
	v_pk_mul_f32 v[128:129], v[118:119], v[102:103] op_sel:[1,1] op_sel_hi:[0,1]
	v_mov_b32_e32 v94, v105
	v_pk_fma_f32 v[96:97], v[114:115], v[98:99], v[148:149] neg_lo:[0,0,1] neg_hi:[0,0,1]
	v_mov_b32_e32 v97, v127
	v_pk_fma_f32 v[98:99], v[116:117], v[100:101], v[132:133] op_sel_hi:[1,0,1]
	v_pk_add_f32 v[90:91], v[90:91], v[92:93]
	v_pk_fma_f32 v[92:93], v[118:119], v[102:103], v[128:129] op_sel_hi:[1,0,1]
	v_pk_mul_f32 v[94:95], v[136:137], v[94:95] op_sel_hi:[1,0]
	v_pk_fma_f32 v[100:101], v[116:117], v[100:101], v[132:133] neg_lo:[0,0,1] neg_hi:[0,0,1]
	v_mov_b32_e32 v101, v99
	v_pk_add_f32 v[90:91], v[90:91], v[96:97]
	v_pk_fma_f32 v[98:99], v[118:119], v[102:103], v[128:129] neg_lo:[0,0,1] neg_hi:[0,0,1]
	v_mov_b32_e32 v99, v93
	v_pk_fma_f32 v[92:93], v[120:121], v[104:105], v[94:95] op_sel_hi:[1,0,1]
	s_wait_loadcnt 0x1
	v_pk_mul_f32 v[96:97], v[122:123], v[106:107] op_sel:[1,1] op_sel_hi:[0,1]
	v_pk_add_f32 v[90:91], v[90:91], v[100:101]
	v_mov_b32_e32 v92, v109
	v_pk_fma_f32 v[94:95], v[120:121], v[104:105], v[94:95] neg_lo:[0,0,1] neg_hi:[0,0,1]
	v_mov_b32_e32 v95, v93
	v_pk_fma_f32 v[100:101], v[122:123], v[106:107], v[96:97] op_sel_hi:[1,0,1]
	v_pk_add_f32 v[90:91], v[90:91], v[98:99]
	v_pk_mul_f32 v[92:93], v[138:139], v[92:93] op_sel_hi:[1,0]
	v_pk_fma_f32 v[96:97], v[122:123], v[106:107], v[96:97] neg_lo:[0,0,1] neg_hi:[0,0,1]
	s_delay_alu instid0(VALU_DEP_3) | instskip(NEXT) | instid1(VALU_DEP_3)
	v_pk_add_f32 v[90:91], v[90:91], v[94:95]
	v_pk_fma_f32 v[94:95], v[124:125], v[108:109], v[92:93] op_sel_hi:[1,0,1]
	v_mov_b32_e32 v97, v101
	v_pk_fma_f32 v[92:93], v[124:125], v[108:109], v[92:93] neg_lo:[0,0,1] neg_hi:[0,0,1]
	s_delay_alu instid0(VALU_DEP_3) | instskip(NEXT) | instid1(VALU_DEP_3)
	v_mov_b32_e32 v93, v95
	v_pk_add_f32 v[90:91], v[90:91], v[96:97]
	s_delay_alu instid0(VALU_DEP_1) | instskip(SKIP_1) | instid1(VALU_DEP_1)
	v_pk_add_f32 v[90:91], v[90:91], v[92:93]
	s_wait_loadcnt 0x0
	v_pk_add_f32 v[90:91], v[130:131], v[90:91] neg_lo:[0,1] neg_hi:[0,1]
	scratch_store_b64 off, v[90:91], off offset:264
	s_wait_xcnt 0x0
	v_cmpx_lt_u32_e32 32, v0
	s_cbranch_execz .LBB107_213
; %bb.212:
	scratch_load_b64 v[90:91], off, off offset:256
	v_mov_b64_e32 v[92:93], 0
	scratch_store_b64 off, v[92:93], off offset:256
	s_wait_loadcnt 0x0
	ds_store_b64 v1, v[90:91]
.LBB107_213:
	s_wait_xcnt 0x0
	s_or_b32 exec_lo, exec_lo, s0
	s_wait_storecnt_dscnt 0x0
	s_barrier_signal -1
	s_barrier_wait -1
	s_clause 0x6
	scratch_load_b128 v[90:93], off, off offset:264
	scratch_load_b128 v[94:97], off, off offset:280
	;; [unrolled: 1-line block ×5, first 2 shown]
	scratch_load_b64 v[130:131], off, off offset:344
	scratch_load_b64 v[132:133], off, off offset:256
	v_mov_b32_e32 v7, 0
	ds_load_2addr_b64 v[110:113], v7 offset0:79 offset1:80
	ds_load_2addr_b64 v[114:117], v7 offset0:81 offset1:82
	;; [unrolled: 1-line block ×5, first 2 shown]
	ds_load_b64 v[134:135], v7 offset:696
	s_mov_b32 s0, exec_lo
	s_wait_dscnt 0x5
	v_dual_mov_b32 v136, v113 :: v_dual_mov_b32 v137, v112
	s_wait_dscnt 0x2
	v_dual_mov_b32 v138, v117 :: v_dual_mov_b32 v143, v124
	v_dual_mov_b32 v139, v116 :: v_dual_mov_b32 v140, v121
	;; [unrolled: 1-line block ×3, first 2 shown]
	s_wait_loadcnt_dscnt 0x601
	v_dual_mul_f32 v9, v126, v91 :: v_dual_mul_f32 v11, v127, v91
	v_dual_mul_f32 v13, v129, v93 :: v_dual_mul_f32 v145, v128, v93
	s_wait_loadcnt 0x5
	v_dual_mul_f32 v147, v110, v95 :: v_dual_mul_f32 v15, v111, v95
	s_wait_loadcnt 0x4
	v_dual_mov_b32 v146, v97 :: v_dual_mov_b32 v150, v101
	v_dual_fmac_f32 v9, v127, v90 :: v_dual_fma_f32 v11, v126, v90, -v11
	v_fmac_f32_e32 v145, v129, v92
	v_pk_mul_f32 v[148:149], v[114:115], v[98:99] op_sel:[1,1] op_sel_hi:[0,1]
	s_delay_alu instid0(VALU_DEP_3)
	v_dual_fma_f32 v144, v128, v92, -v13 :: v_dual_add_f32 v93, 0, v9
	v_pk_mul_f32 v[90:91], v[136:137], v[146:147] op_sel_hi:[1,0]
	s_wait_loadcnt 0x3
	v_dual_add_f32 v92, 0, v11 :: v_dual_mov_b32 v126, v105
	v_fmac_f32_e32 v147, v111, v94
	v_fma_f32 v146, v110, v94, -v15
	v_pk_fma_f32 v[94:95], v[112:113], v[96:97], v[90:91] op_sel_hi:[1,0,1]
	s_delay_alu instid0(VALU_DEP_4) | instskip(SKIP_4) | instid1(VALU_DEP_4)
	v_pk_add_f32 v[92:93], v[92:93], v[144:145]
	v_pk_fma_f32 v[110:111], v[114:115], v[98:99], v[148:149] op_sel_hi:[1,0,1]
	v_pk_fma_f32 v[90:91], v[112:113], v[96:97], v[90:91] neg_lo:[0,0,1] neg_hi:[0,0,1]
	v_pk_fma_f32 v[96:97], v[114:115], v[98:99], v[148:149] neg_lo:[0,0,1] neg_hi:[0,0,1]
	v_pk_mul_f32 v[128:129], v[138:139], v[150:151] op_sel_hi:[1,0]
	v_dual_mov_b32 v91, v95 :: v_dual_mov_b32 v97, v111
	v_pk_add_f32 v[92:93], v[92:93], v[146:147]
	v_pk_mul_f32 v[152:153], v[118:119], v[102:103] op_sel:[1,1] op_sel_hi:[0,1]
	s_delay_alu instid0(VALU_DEP_4)
	v_pk_fma_f32 v[98:99], v[116:117], v[100:101], v[128:129] op_sel_hi:[1,0,1]
	v_pk_fma_f32 v[100:101], v[116:117], v[100:101], v[128:129] neg_lo:[0,0,1] neg_hi:[0,0,1]
	v_pk_mul_f32 v[110:111], v[140:141], v[126:127] op_sel_hi:[1,0]
	v_pk_add_f32 v[90:91], v[92:93], v[90:91]
	v_pk_fma_f32 v[92:93], v[118:119], v[102:103], v[152:153] op_sel_hi:[1,0,1]
	s_wait_loadcnt 0x2
	v_dual_mov_b32 v101, v99 :: v_dual_mov_b32 v92, v109
	v_pk_mul_f32 v[94:95], v[122:123], v[106:107] op_sel:[1,1] op_sel_hi:[0,1]
	v_pk_add_f32 v[90:91], v[90:91], v[96:97]
	v_pk_fma_f32 v[96:97], v[118:119], v[102:103], v[152:153] neg_lo:[0,0,1] neg_hi:[0,0,1]
	v_pk_fma_f32 v[98:99], v[120:121], v[104:105], v[110:111] op_sel_hi:[1,0,1]
	v_mov_b32_e32 v97, v93
	v_pk_fma_f32 v[102:103], v[120:121], v[104:105], v[110:111] neg_lo:[0,0,1] neg_hi:[0,0,1]
	v_pk_add_f32 v[90:91], v[90:91], v[100:101]
	v_pk_fma_f32 v[100:101], v[122:123], v[106:107], v[94:95] op_sel_hi:[1,0,1]
	v_pk_mul_f32 v[92:93], v[142:143], v[92:93] op_sel_hi:[1,0]
	v_mov_b32_e32 v103, v99
	v_pk_fma_f32 v[94:95], v[122:123], v[106:107], v[94:95] neg_lo:[0,0,1] neg_hi:[0,0,1]
	v_pk_add_f32 v[90:91], v[90:91], v[96:97]
	s_wait_loadcnt_dscnt 0x100
	v_pk_mul_f32 v[98:99], v[134:135], v[130:131] op_sel:[1,1] op_sel_hi:[0,1]
	v_pk_fma_f32 v[96:97], v[124:125], v[108:109], v[92:93] op_sel_hi:[1,0,1]
	v_mov_b32_e32 v95, v101
	v_pk_fma_f32 v[92:93], v[124:125], v[108:109], v[92:93] neg_lo:[0,0,1] neg_hi:[0,0,1]
	v_pk_add_f32 v[90:91], v[90:91], v[102:103]
	s_delay_alu instid0(VALU_DEP_4) | instskip(SKIP_1) | instid1(VALU_DEP_3)
	v_mov_b32_e32 v93, v97
	v_pk_fma_f32 v[96:97], v[134:135], v[130:131], v[98:99] neg_lo:[0,0,1] neg_hi:[0,0,1]
	v_pk_add_f32 v[90:91], v[90:91], v[94:95]
	v_pk_fma_f32 v[94:95], v[134:135], v[130:131], v[98:99] op_sel_hi:[1,0,1]
	s_delay_alu instid0(VALU_DEP_2) | instskip(NEXT) | instid1(VALU_DEP_2)
	v_pk_add_f32 v[90:91], v[90:91], v[92:93]
	v_mov_b32_e32 v97, v95
	s_delay_alu instid0(VALU_DEP_1) | instskip(SKIP_1) | instid1(VALU_DEP_1)
	v_pk_add_f32 v[90:91], v[90:91], v[96:97]
	s_wait_loadcnt 0x0
	v_pk_add_f32 v[90:91], v[132:133], v[90:91] neg_lo:[0,1] neg_hi:[0,1]
	scratch_store_b64 off, v[90:91], off offset:256
	s_wait_xcnt 0x0
	v_cmpx_lt_u32_e32 31, v0
	s_cbranch_execz .LBB107_215
; %bb.214:
	scratch_load_b64 v[90:91], off, off offset:248
	v_mov_b64_e32 v[92:93], 0
	scratch_store_b64 off, v[92:93], off offset:248
	s_wait_loadcnt 0x0
	ds_store_b64 v1, v[90:91]
.LBB107_215:
	s_wait_xcnt 0x0
	s_or_b32 exec_lo, exec_lo, s0
	s_wait_storecnt_dscnt 0x0
	s_barrier_signal -1
	s_barrier_wait -1
	s_clause 0x6
	scratch_load_b128 v[90:93], off, off offset:256
	scratch_load_b128 v[94:97], off, off offset:272
	;; [unrolled: 1-line block ×6, first 2 shown]
	scratch_load_b64 v[138:139], off, off offset:248
	ds_load_b128 v[114:117], v7 offset:640
	ds_load_b128 v[118:121], v7 offset:656
	;; [unrolled: 1-line block ×6, first 2 shown]
	s_mov_b32 s0, exec_lo
	s_wait_dscnt 0x5
	v_dual_mov_b32 v140, v117 :: v_dual_mov_b32 v141, v116
	s_wait_dscnt 0x4
	v_dual_mov_b32 v142, v121 :: v_dual_mov_b32 v143, v120
	;; [unrolled: 2-line block ×4, first 2 shown]
	s_wait_loadcnt_dscnt 0x601
	v_dual_mul_f32 v7, v130, v91 :: v_dual_mul_f32 v9, v132, v93
	v_dual_mul_f32 v11, v131, v91 :: v_dual_mul_f32 v13, v133, v93
	s_wait_loadcnt 0x4
	s_delay_alu instid0(VALU_DEP_2)
	v_dual_mov_b32 v154, v101 :: v_dual_fmac_f32 v7, v131, v90
	s_wait_dscnt 0x0
	v_dual_mul_f32 v149, v134, v95 :: v_dual_mul_f32 v151, v136, v97
	v_dual_fma_f32 v11, v130, v90, -v11 :: v_dual_fmac_f32 v9, v133, v92
	v_dual_mul_f32 v15, v135, v95 :: v_dual_mul_f32 v17, v137, v97
	v_dual_fma_f32 v13, v132, v92, -v13 :: v_dual_add_f32 v7, 0, v7
	s_wait_loadcnt 0x3
	s_delay_alu instid0(VALU_DEP_3) | instskip(SKIP_3) | instid1(VALU_DEP_4)
	v_dual_add_f32 v11, 0, v11 :: v_dual_mov_b32 v92, v105
	v_pk_mul_f32 v[152:153], v[114:115], v[98:99] op_sel:[1,1] op_sel_hi:[0,1]
	v_dual_fmac_f32 v149, v135, v94 :: v_dual_fma_f32 v148, v134, v94, -v15
	v_dual_add_f32 v95, v7, v9 :: v_dual_fmac_f32 v151, v137, v96
	v_dual_add_f32 v94, v11, v13 :: v_dual_fma_f32 v150, v136, v96, -v17
	s_delay_alu instid0(VALU_DEP_4) | instskip(SKIP_2) | instid1(VALU_DEP_4)
	v_pk_fma_f32 v[96:97], v[114:115], v[98:99], v[152:153] op_sel_hi:[1,0,1]
	v_pk_mul_f32 v[130:131], v[140:141], v[154:155] op_sel_hi:[1,0]
	v_pk_fma_f32 v[98:99], v[114:115], v[98:99], v[152:153] neg_lo:[0,0,1] neg_hi:[0,0,1]
	v_pk_add_f32 v[94:95], v[94:95], v[148:149]
	v_pk_mul_f32 v[90:91], v[118:119], v[102:103] op_sel:[1,1] op_sel_hi:[0,1]
	v_mov_b32_e32 v99, v97
	v_pk_fma_f32 v[96:97], v[116:117], v[100:101], v[130:131] op_sel_hi:[1,0,1]
	v_pk_fma_f32 v[100:101], v[116:117], v[100:101], v[130:131] neg_lo:[0,0,1] neg_hi:[0,0,1]
	v_pk_add_f32 v[94:95], v[94:95], v[150:151]
	v_pk_fma_f32 v[114:115], v[118:119], v[102:103], v[90:91] op_sel_hi:[1,0,1]
	v_pk_mul_f32 v[92:93], v[142:143], v[92:93] op_sel_hi:[1,0]
	v_mov_b32_e32 v101, v97
	v_pk_fma_f32 v[90:91], v[118:119], v[102:103], v[90:91] neg_lo:[0,0,1] neg_hi:[0,0,1]
	v_pk_add_f32 v[94:95], v[94:95], v[98:99]
	s_wait_loadcnt 0x2
	v_pk_mul_f32 v[132:133], v[122:123], v[106:107] op_sel:[1,1] op_sel_hi:[0,1]
	v_dual_mov_b32 v96, v109 :: v_dual_mov_b32 v91, v115
	v_pk_fma_f32 v[98:99], v[120:121], v[104:105], v[92:93] op_sel_hi:[1,0,1]
	v_pk_add_f32 v[94:95], v[94:95], v[100:101]
	v_pk_fma_f32 v[92:93], v[120:121], v[104:105], v[92:93] neg_lo:[0,0,1] neg_hi:[0,0,1]
	v_pk_fma_f32 v[100:101], v[122:123], v[106:107], v[132:133] op_sel_hi:[1,0,1]
	v_pk_mul_f32 v[96:97], v[144:145], v[96:97] op_sel_hi:[1,0]
	v_mov_b32_e32 v93, v99
	v_pk_add_f32 v[90:91], v[94:95], v[90:91]
	v_pk_fma_f32 v[98:99], v[122:123], v[106:107], v[132:133] neg_lo:[0,0,1] neg_hi:[0,0,1]
	s_wait_loadcnt 0x1
	v_pk_mul_f32 v[94:95], v[126:127], v[110:111] op_sel:[1,1] op_sel_hi:[0,1]
	v_mov_b32_e32 v99, v101
	v_pk_fma_f32 v[100:101], v[124:125], v[108:109], v[96:97] op_sel_hi:[1,0,1]
	v_pk_add_f32 v[90:91], v[90:91], v[92:93]
	v_mov_b32_e32 v92, v113
	v_pk_fma_f32 v[96:97], v[124:125], v[108:109], v[96:97] neg_lo:[0,0,1] neg_hi:[0,0,1]
	v_pk_fma_f32 v[102:103], v[126:127], v[110:111], v[94:95] op_sel_hi:[1,0,1]
	v_mov_b32_e32 v97, v101
	v_pk_add_f32 v[90:91], v[90:91], v[98:99]
	v_pk_mul_f32 v[92:93], v[146:147], v[92:93] op_sel_hi:[1,0]
	v_pk_fma_f32 v[94:95], v[126:127], v[110:111], v[94:95] neg_lo:[0,0,1] neg_hi:[0,0,1]
	s_delay_alu instid0(VALU_DEP_3) | instskip(NEXT) | instid1(VALU_DEP_3)
	v_pk_add_f32 v[90:91], v[90:91], v[96:97]
	v_pk_fma_f32 v[96:97], v[128:129], v[112:113], v[92:93] op_sel_hi:[1,0,1]
	v_mov_b32_e32 v95, v103
	v_pk_fma_f32 v[92:93], v[128:129], v[112:113], v[92:93] neg_lo:[0,0,1] neg_hi:[0,0,1]
	s_delay_alu instid0(VALU_DEP_3) | instskip(NEXT) | instid1(VALU_DEP_3)
	v_mov_b32_e32 v93, v97
	v_pk_add_f32 v[90:91], v[90:91], v[94:95]
	s_delay_alu instid0(VALU_DEP_1) | instskip(SKIP_1) | instid1(VALU_DEP_1)
	v_pk_add_f32 v[90:91], v[90:91], v[92:93]
	s_wait_loadcnt 0x0
	v_pk_add_f32 v[90:91], v[138:139], v[90:91] neg_lo:[0,1] neg_hi:[0,1]
	scratch_store_b64 off, v[90:91], off offset:248
	s_wait_xcnt 0x0
	v_cmpx_lt_u32_e32 30, v0
	s_cbranch_execz .LBB107_217
; %bb.216:
	scratch_load_b64 v[90:91], off, off offset:240
	v_mov_b64_e32 v[92:93], 0
	scratch_store_b64 off, v[92:93], off offset:240
	s_wait_loadcnt 0x0
	ds_store_b64 v1, v[90:91]
.LBB107_217:
	s_wait_xcnt 0x0
	s_or_b32 exec_lo, exec_lo, s0
	s_wait_storecnt_dscnt 0x0
	s_barrier_signal -1
	s_barrier_wait -1
	s_clause 0x7
	scratch_load_b128 v[90:93], off, off offset:248
	scratch_load_b128 v[94:97], off, off offset:264
	;; [unrolled: 1-line block ×6, first 2 shown]
	scratch_load_b64 v[138:139], off, off offset:344
	scratch_load_b64 v[140:141], off, off offset:240
	v_mov_b32_e32 v7, 0
	ds_load_2addr_b64 v[114:117], v7 offset0:79 offset1:80
	ds_load_2addr_b64 v[118:121], v7 offset0:81 offset1:82
	;; [unrolled: 1-line block ×6, first 2 shown]
	ds_load_b64 v[142:143], v7 offset:696
	s_mov_b32 s0, exec_lo
	s_wait_dscnt 0x6
	v_dual_mov_b32 v144, v117 :: v_dual_mov_b32 v145, v116
	s_wait_dscnt 0x3
	v_dual_mov_b32 v146, v121 :: v_dual_mov_b32 v151, v128
	v_dual_mov_b32 v147, v120 :: v_dual_mov_b32 v148, v125
	;; [unrolled: 1-line block ×3, first 2 shown]
	s_wait_loadcnt_dscnt 0x702
	v_dual_mul_f32 v9, v130, v91 :: v_dual_mul_f32 v15, v131, v91
	v_dual_mul_f32 v17, v133, v93 :: v_dual_mul_f32 v11, v132, v93
	s_wait_loadcnt_dscnt 0x601
	s_delay_alu instid0(VALU_DEP_2) | instskip(NEXT) | instid1(VALU_DEP_3)
	v_dual_mul_f32 v13, v134, v95 :: v_dual_fmac_f32 v9, v131, v90
	v_dual_fma_f32 v15, v130, v90, -v15 :: v_dual_mul_f32 v19, v135, v95
	v_mul_f32_e32 v21, v137, v97
	s_wait_loadcnt 0x4
	v_dual_mov_b32 v90, v105 :: v_dual_fma_f32 v17, v132, v92, -v17
	v_dual_fmac_f32 v11, v133, v92 :: v_dual_add_f32 v9, 0, v9
	v_dual_add_f32 v15, 0, v15 :: v_dual_fmac_f32 v13, v135, v94
	v_dual_mul_f32 v153, v136, v97 :: v_dual_mul_f32 v155, v114, v99
	v_dual_mul_f32 v23, v115, v99 :: v_dual_mov_b32 v154, v101
	s_delay_alu instid0(VALU_DEP_4) | instskip(NEXT) | instid1(VALU_DEP_3)
	v_dual_fma_f32 v19, v134, v94, -v19 :: v_dual_add_f32 v9, v9, v11
	v_dual_add_f32 v11, v15, v17 :: v_dual_fmac_f32 v153, v137, v96
	v_pk_mul_f32 v[156:157], v[118:119], v[102:103] op_sel:[1,1] op_sel_hi:[0,1]
	s_delay_alu instid0(VALU_DEP_3)
	v_dual_fma_f32 v152, v136, v96, -v21 :: v_dual_add_f32 v97, v9, v13
	v_pk_mul_f32 v[94:95], v[144:145], v[154:155] op_sel_hi:[1,0]
	s_wait_loadcnt 0x3
	v_dual_add_f32 v96, v11, v19 :: v_dual_mov_b32 v130, v109
	v_fmac_f32_e32 v155, v115, v98
	v_fma_f32 v154, v114, v98, -v23
	v_pk_fma_f32 v[98:99], v[116:117], v[100:101], v[94:95] op_sel_hi:[1,0,1]
	s_delay_alu instid0(VALU_DEP_4) | instskip(SKIP_4) | instid1(VALU_DEP_4)
	v_pk_add_f32 v[96:97], v[96:97], v[152:153]
	v_pk_fma_f32 v[114:115], v[118:119], v[102:103], v[156:157] op_sel_hi:[1,0,1]
	v_pk_fma_f32 v[94:95], v[116:117], v[100:101], v[94:95] neg_lo:[0,0,1] neg_hi:[0,0,1]
	v_pk_fma_f32 v[100:101], v[118:119], v[102:103], v[156:157] neg_lo:[0,0,1] neg_hi:[0,0,1]
	v_pk_mul_f32 v[90:91], v[146:147], v[90:91] op_sel_hi:[1,0]
	v_dual_mov_b32 v95, v99 :: v_dual_mov_b32 v101, v115
	v_pk_add_f32 v[96:97], v[96:97], v[154:155]
	v_pk_mul_f32 v[92:93], v[122:123], v[106:107] op_sel:[1,1] op_sel_hi:[0,1]
	s_delay_alu instid0(VALU_DEP_4)
	v_pk_fma_f32 v[102:103], v[120:121], v[104:105], v[90:91] op_sel_hi:[1,0,1]
	v_pk_fma_f32 v[90:91], v[120:121], v[104:105], v[90:91] neg_lo:[0,0,1] neg_hi:[0,0,1]
	v_pk_mul_f32 v[114:115], v[148:149], v[130:131] op_sel_hi:[1,0]
	v_pk_add_f32 v[94:95], v[96:97], v[94:95]
	v_pk_fma_f32 v[96:97], v[122:123], v[106:107], v[92:93] op_sel_hi:[1,0,1]
	s_wait_loadcnt 0x2
	v_dual_mov_b32 v91, v103 :: v_dual_mov_b32 v96, v113
	v_pk_fma_f32 v[92:93], v[122:123], v[106:107], v[92:93] neg_lo:[0,0,1] neg_hi:[0,0,1]
	v_pk_add_f32 v[94:95], v[94:95], v[100:101]
	v_pk_mul_f32 v[98:99], v[126:127], v[110:111] op_sel:[1,1] op_sel_hi:[0,1]
	v_pk_fma_f32 v[100:101], v[124:125], v[108:109], v[114:115] op_sel_hi:[1,0,1]
	v_mov_b32_e32 v93, v97
	v_pk_fma_f32 v[102:103], v[124:125], v[108:109], v[114:115] neg_lo:[0,0,1] neg_hi:[0,0,1]
	v_pk_add_f32 v[90:91], v[94:95], v[90:91]
	v_pk_fma_f32 v[94:95], v[126:127], v[110:111], v[98:99] op_sel_hi:[1,0,1]
	v_pk_mul_f32 v[96:97], v[150:151], v[96:97] op_sel_hi:[1,0]
	v_mov_b32_e32 v103, v101
	s_delay_alu instid0(VALU_DEP_4)
	v_pk_add_f32 v[90:91], v[90:91], v[92:93]
	v_pk_fma_f32 v[92:93], v[126:127], v[110:111], v[98:99] neg_lo:[0,0,1] neg_hi:[0,0,1]
	v_mov_b32_e32 v93, v95
	v_pk_fma_f32 v[94:95], v[128:129], v[112:113], v[96:97] op_sel_hi:[1,0,1]
	s_wait_loadcnt_dscnt 0x100
	v_pk_mul_f32 v[98:99], v[142:143], v[138:139] op_sel:[1,1] op_sel_hi:[0,1]
	v_pk_add_f32 v[90:91], v[90:91], v[102:103]
	v_pk_fma_f32 v[96:97], v[128:129], v[112:113], v[96:97] neg_lo:[0,0,1] neg_hi:[0,0,1]
	v_mov_b32_e32 v97, v95
	s_delay_alu instid0(VALU_DEP_4) | instskip(NEXT) | instid1(VALU_DEP_4)
	v_pk_fma_f32 v[94:95], v[142:143], v[138:139], v[98:99] neg_lo:[0,0,1] neg_hi:[0,0,1]
	v_pk_add_f32 v[90:91], v[90:91], v[92:93]
	v_pk_fma_f32 v[92:93], v[142:143], v[138:139], v[98:99] op_sel_hi:[1,0,1]
	s_delay_alu instid0(VALU_DEP_2) | instskip(NEXT) | instid1(VALU_DEP_2)
	v_pk_add_f32 v[90:91], v[90:91], v[96:97]
	v_mov_b32_e32 v95, v93
	s_delay_alu instid0(VALU_DEP_1) | instskip(SKIP_1) | instid1(VALU_DEP_1)
	v_pk_add_f32 v[90:91], v[90:91], v[94:95]
	s_wait_loadcnt 0x0
	v_pk_add_f32 v[90:91], v[140:141], v[90:91] neg_lo:[0,1] neg_hi:[0,1]
	scratch_store_b64 off, v[90:91], off offset:240
	s_wait_xcnt 0x0
	v_cmpx_lt_u32_e32 29, v0
	s_cbranch_execz .LBB107_219
; %bb.218:
	scratch_load_b64 v[90:91], off, off offset:232
	v_mov_b64_e32 v[92:93], 0
	scratch_store_b64 off, v[92:93], off offset:232
	s_wait_loadcnt 0x0
	ds_store_b64 v1, v[90:91]
.LBB107_219:
	s_wait_xcnt 0x0
	s_or_b32 exec_lo, exec_lo, s0
	s_wait_storecnt_dscnt 0x0
	s_barrier_signal -1
	s_barrier_wait -1
	s_clause 0x7
	scratch_load_b128 v[90:93], off, off offset:240
	scratch_load_b128 v[94:97], off, off offset:256
	scratch_load_b128 v[98:101], off, off offset:272
	scratch_load_b128 v[102:105], off, off offset:288
	scratch_load_b128 v[106:109], off, off offset:304
	scratch_load_b128 v[110:113], off, off offset:320
	scratch_load_b128 v[114:117], off, off offset:336
	scratch_load_b64 v[146:147], off, off offset:232
	ds_load_b128 v[118:121], v7 offset:640
	ds_load_b128 v[122:125], v7 offset:656
	;; [unrolled: 1-line block ×7, first 2 shown]
	s_mov_b32 s0, exec_lo
	s_wait_dscnt 0x6
	v_dual_mov_b32 v148, v121 :: v_dual_mov_b32 v149, v120
	s_wait_dscnt 0x5
	v_dual_mov_b32 v150, v125 :: v_dual_mov_b32 v151, v124
	;; [unrolled: 2-line block ×4, first 2 shown]
	s_wait_loadcnt_dscnt 0x702
	v_dual_mul_f32 v7, v134, v91 :: v_dual_mul_f32 v9, v136, v93
	v_dual_mul_f32 v15, v135, v91 :: v_dual_mul_f32 v17, v137, v93
	s_wait_loadcnt_dscnt 0x601
	v_dual_mul_f32 v11, v138, v95 :: v_dual_mul_f32 v13, v140, v97
	s_delay_alu instid0(VALU_DEP_3) | instskip(NEXT) | instid1(VALU_DEP_3)
	v_dual_fmac_f32 v7, v135, v90 :: v_dual_fmac_f32 v9, v137, v92
	v_dual_fma_f32 v15, v134, v90, -v15 :: v_dual_fma_f32 v17, v136, v92, -v17
	v_dual_mul_f32 v19, v139, v95 :: v_dual_mul_f32 v21, v141, v97
	s_wait_loadcnt 0x4
	s_delay_alu instid0(VALU_DEP_3) | instskip(NEXT) | instid1(VALU_DEP_3)
	v_dual_add_f32 v7, 0, v7 :: v_dual_mov_b32 v92, v105
	v_dual_add_f32 v15, 0, v15 :: v_dual_fmac_f32 v11, v139, v94
	s_delay_alu instid0(VALU_DEP_2) | instskip(SKIP_2) | instid1(VALU_DEP_3)
	v_dual_fma_f32 v19, v138, v94, -v19 :: v_dual_add_f32 v7, v7, v9
	s_wait_dscnt 0x0
	v_dual_mul_f32 v157, v142, v99 :: v_dual_mul_f32 v159, v144, v101
	v_dual_add_f32 v9, v15, v17 :: v_dual_fmac_f32 v13, v141, v96
	v_dual_mul_f32 v23, v143, v99 :: v_dual_mul_f32 v25, v145, v101
	v_dual_fma_f32 v15, v140, v96, -v21 :: v_dual_add_f32 v7, v7, v11
	s_delay_alu instid0(VALU_DEP_3) | instskip(SKIP_3) | instid1(VALU_DEP_3)
	v_dual_add_f32 v9, v9, v19 :: v_dual_fmac_f32 v157, v143, v98
	v_pk_mul_f32 v[90:91], v[118:119], v[102:103] op_sel:[1,1] op_sel_hi:[0,1]
	s_wait_loadcnt 0x3
	v_dual_mov_b32 v96, v109 :: v_dual_fma_f32 v156, v142, v98, -v23
	v_dual_add_f32 v99, v7, v13 :: v_dual_add_f32 v98, v9, v15
	v_dual_fmac_f32 v159, v145, v100 :: v_dual_fma_f32 v158, v144, v100, -v25
	v_pk_fma_f32 v[100:101], v[118:119], v[102:103], v[90:91] op_sel_hi:[1,0,1]
	v_pk_mul_f32 v[92:93], v[148:149], v[92:93] op_sel_hi:[1,0]
	s_delay_alu instid0(VALU_DEP_4)
	v_pk_add_f32 v[98:99], v[98:99], v[156:157]
	v_pk_fma_f32 v[90:91], v[118:119], v[102:103], v[90:91] neg_lo:[0,0,1] neg_hi:[0,0,1]
	v_pk_mul_f32 v[94:95], v[122:123], v[106:107] op_sel:[1,1] op_sel_hi:[0,1]
	v_mov_b32_e32 v91, v101
	v_pk_fma_f32 v[100:101], v[120:121], v[104:105], v[92:93] op_sel_hi:[1,0,1]
	v_pk_add_f32 v[98:99], v[98:99], v[158:159]
	v_pk_fma_f32 v[92:93], v[120:121], v[104:105], v[92:93] neg_lo:[0,0,1] neg_hi:[0,0,1]
	v_pk_fma_f32 v[102:103], v[122:123], v[106:107], v[94:95] op_sel_hi:[1,0,1]
	v_pk_mul_f32 v[96:97], v[150:151], v[96:97] op_sel_hi:[1,0]
	v_mov_b32_e32 v93, v101
	v_pk_add_f32 v[90:91], v[98:99], v[90:91]
	s_wait_loadcnt 0x2
	v_pk_mul_f32 v[134:135], v[126:127], v[110:111] op_sel:[1,1] op_sel_hi:[0,1]
	v_mov_b32_e32 v98, v113
	v_pk_fma_f32 v[94:95], v[122:123], v[106:107], v[94:95] neg_lo:[0,0,1] neg_hi:[0,0,1]
	v_mov_b32_e32 v95, v103
	v_pk_fma_f32 v[100:101], v[124:125], v[108:109], v[96:97] op_sel_hi:[1,0,1]
	v_pk_add_f32 v[90:91], v[90:91], v[92:93]
	v_pk_fma_f32 v[92:93], v[126:127], v[110:111], v[134:135] op_sel_hi:[1,0,1]
	v_pk_mul_f32 v[98:99], v[152:153], v[98:99] op_sel_hi:[1,0]
	v_pk_fma_f32 v[96:97], v[124:125], v[108:109], v[96:97] neg_lo:[0,0,1] neg_hi:[0,0,1]
	v_mov_b32_e32 v97, v101
	v_pk_add_f32 v[90:91], v[90:91], v[94:95]
	v_pk_fma_f32 v[100:101], v[126:127], v[110:111], v[134:135] neg_lo:[0,0,1] neg_hi:[0,0,1]
	v_mov_b32_e32 v101, v93
	v_pk_fma_f32 v[92:93], v[128:129], v[112:113], v[98:99] op_sel_hi:[1,0,1]
	s_wait_loadcnt 0x1
	v_pk_mul_f32 v[94:95], v[130:131], v[114:115] op_sel:[1,1] op_sel_hi:[0,1]
	v_pk_add_f32 v[90:91], v[90:91], v[96:97]
	v_mov_b32_e32 v92, v117
	v_pk_fma_f32 v[98:99], v[128:129], v[112:113], v[98:99] neg_lo:[0,0,1] neg_hi:[0,0,1]
	v_mov_b32_e32 v99, v93
	v_pk_fma_f32 v[96:97], v[130:131], v[114:115], v[94:95] op_sel_hi:[1,0,1]
	v_pk_add_f32 v[90:91], v[90:91], v[100:101]
	v_pk_mul_f32 v[92:93], v[154:155], v[92:93] op_sel_hi:[1,0]
	v_pk_fma_f32 v[94:95], v[130:131], v[114:115], v[94:95] neg_lo:[0,0,1] neg_hi:[0,0,1]
	s_delay_alu instid0(VALU_DEP_4) | instskip(NEXT) | instid1(VALU_DEP_4)
	v_mov_b32_e32 v95, v97
	v_pk_add_f32 v[90:91], v[90:91], v[98:99]
	s_delay_alu instid0(VALU_DEP_4) | instskip(SKIP_1) | instid1(VALU_DEP_2)
	v_pk_fma_f32 v[96:97], v[132:133], v[116:117], v[92:93] op_sel_hi:[1,0,1]
	v_pk_fma_f32 v[92:93], v[132:133], v[116:117], v[92:93] neg_lo:[0,0,1] neg_hi:[0,0,1]
	v_mov_b32_e32 v93, v97
	s_delay_alu instid0(VALU_DEP_4) | instskip(NEXT) | instid1(VALU_DEP_1)
	v_pk_add_f32 v[90:91], v[90:91], v[94:95]
	v_pk_add_f32 v[90:91], v[90:91], v[92:93]
	s_wait_loadcnt 0x0
	s_delay_alu instid0(VALU_DEP_1)
	v_pk_add_f32 v[90:91], v[146:147], v[90:91] neg_lo:[0,1] neg_hi:[0,1]
	scratch_store_b64 off, v[90:91], off offset:232
	s_wait_xcnt 0x0
	v_cmpx_lt_u32_e32 28, v0
	s_cbranch_execz .LBB107_221
; %bb.220:
	scratch_load_b64 v[90:91], off, off offset:224
	v_mov_b64_e32 v[92:93], 0
	scratch_store_b64 off, v[92:93], off offset:224
	s_wait_loadcnt 0x0
	ds_store_b64 v1, v[90:91]
.LBB107_221:
	s_wait_xcnt 0x0
	s_or_b32 exec_lo, exec_lo, s0
	s_wait_storecnt_dscnt 0x0
	s_barrier_signal -1
	s_barrier_wait -1
	s_clause 0x8
	scratch_load_b128 v[90:93], off, off offset:232
	scratch_load_b128 v[94:97], off, off offset:248
	;; [unrolled: 1-line block ×7, first 2 shown]
	scratch_load_b64 v[146:147], off, off offset:344
	scratch_load_b64 v[148:149], off, off offset:224
	v_mov_b32_e32 v7, 0
	ds_load_2addr_b64 v[118:121], v7 offset0:79 offset1:80
	ds_load_2addr_b64 v[122:125], v7 offset0:81 offset1:82
	;; [unrolled: 1-line block ×7, first 2 shown]
	ds_load_b64 v[150:151], v7 offset:696
	s_mov_b32 s0, exec_lo
	s_wait_dscnt 0x7
	v_dual_mov_b32 v152, v121 :: v_dual_mov_b32 v153, v120
	s_wait_dscnt 0x4
	v_dual_mov_b32 v154, v125 :: v_dual_mov_b32 v159, v132
	v_dual_mov_b32 v155, v124 :: v_dual_mov_b32 v156, v129
	;; [unrolled: 1-line block ×3, first 2 shown]
	s_wait_loadcnt_dscnt 0x803
	v_dual_mul_f32 v9, v134, v91 :: v_dual_mul_f32 v19, v135, v91
	v_dual_mul_f32 v21, v137, v93 :: v_dual_mul_f32 v11, v136, v93
	s_wait_loadcnt_dscnt 0x702
	v_mul_f32_e32 v13, v138, v95
	s_wait_loadcnt 0x5
	v_dual_mul_f32 v31, v119, v103 :: v_dual_fma_f32 v19, v134, v90, -v19
	v_dual_fmac_f32 v9, v135, v90 :: v_dual_mov_b32 v90, v105
	v_dual_mul_f32 v23, v139, v95 :: v_dual_mul_f32 v25, v141, v97
	v_dual_fmac_f32 v11, v137, v92 :: v_dual_fma_f32 v21, v136, v92, -v21
	s_delay_alu instid0(VALU_DEP_3) | instskip(SKIP_3) | instid1(VALU_DEP_3)
	v_dual_add_f32 v9, 0, v9 :: v_dual_add_f32 v19, 0, v19
	s_wait_dscnt 0x1
	v_dual_mul_f32 v15, v140, v97 :: v_dual_mul_f32 v17, v142, v99
	v_dual_fmac_f32 v13, v139, v94 :: v_dual_fma_f32 v23, v138, v94, -v23
	v_dual_add_f32 v9, v9, v11 :: v_dual_add_f32 v11, v19, v21
	v_dual_mul_f32 v27, v143, v99 :: v_dual_mul_f32 v29, v145, v101
	s_wait_loadcnt 0x4
	v_dual_mov_b32 v94, v109 :: v_dual_fma_f32 v19, v140, v96, -v25
	s_delay_alu instid0(VALU_DEP_3) | instskip(SKIP_2) | instid1(VALU_DEP_2)
	v_dual_fmac_f32 v15, v141, v96 :: v_dual_add_f32 v11, v11, v23
	v_dual_add_f32 v9, v9, v13 :: v_dual_fmac_f32 v17, v143, v98
	v_dual_mul_f32 v161, v144, v101 :: v_dual_mul_f32 v163, v118, v103
	v_dual_fma_f32 v13, v142, v98, -v27 :: v_dual_add_f32 v9, v9, v15
	s_delay_alu instid0(VALU_DEP_2) | instskip(SKIP_1) | instid1(VALU_DEP_3)
	v_dual_add_f32 v11, v11, v19 :: v_dual_fmac_f32 v161, v145, v100
	v_pk_mul_f32 v[92:93], v[122:123], v[106:107] op_sel:[1,1] op_sel_hi:[0,1]
	v_dual_fma_f32 v160, v144, v100, -v29 :: v_dual_add_f32 v99, v9, v17
	v_pk_mul_f32 v[90:91], v[152:153], v[90:91] op_sel_hi:[1,0]
	s_wait_loadcnt 0x3
	v_dual_add_f32 v98, v11, v13 :: v_dual_mov_b32 v100, v113
	v_fmac_f32_e32 v163, v119, v102
	v_fma_f32 v162, v118, v102, -v31
	v_pk_fma_f32 v[102:103], v[120:121], v[104:105], v[90:91] op_sel_hi:[1,0,1]
	s_delay_alu instid0(VALU_DEP_4) | instskip(SKIP_4) | instid1(VALU_DEP_4)
	v_pk_add_f32 v[98:99], v[98:99], v[160:161]
	v_pk_fma_f32 v[118:119], v[122:123], v[106:107], v[92:93] op_sel_hi:[1,0,1]
	v_pk_fma_f32 v[90:91], v[120:121], v[104:105], v[90:91] neg_lo:[0,0,1] neg_hi:[0,0,1]
	v_pk_fma_f32 v[92:93], v[122:123], v[106:107], v[92:93] neg_lo:[0,0,1] neg_hi:[0,0,1]
	v_pk_mul_f32 v[94:95], v[154:155], v[94:95] op_sel_hi:[1,0]
	v_dual_mov_b32 v91, v103 :: v_dual_mov_b32 v93, v119
	v_pk_add_f32 v[98:99], v[98:99], v[162:163]
	v_pk_mul_f32 v[96:97], v[126:127], v[110:111] op_sel:[1,1] op_sel_hi:[0,1]
	s_delay_alu instid0(VALU_DEP_4)
	v_pk_fma_f32 v[104:105], v[124:125], v[108:109], v[94:95] op_sel_hi:[1,0,1]
	v_pk_fma_f32 v[94:95], v[124:125], v[108:109], v[94:95] neg_lo:[0,0,1] neg_hi:[0,0,1]
	v_pk_mul_f32 v[100:101], v[156:157], v[100:101] op_sel_hi:[1,0]
	v_pk_add_f32 v[90:91], v[98:99], v[90:91]
	v_pk_fma_f32 v[98:99], v[126:127], v[110:111], v[96:97] op_sel_hi:[1,0,1]
	v_mov_b32_e32 v95, v105
	v_pk_fma_f32 v[96:97], v[126:127], v[110:111], v[96:97] neg_lo:[0,0,1] neg_hi:[0,0,1]
	s_wait_loadcnt 0x2
	v_pk_mul_f32 v[102:103], v[130:131], v[114:115] op_sel:[1,1] op_sel_hi:[0,1]
	v_pk_add_f32 v[90:91], v[90:91], v[92:93]
	v_dual_mov_b32 v92, v117 :: v_dual_mov_b32 v97, v99
	v_pk_fma_f32 v[98:99], v[128:129], v[112:113], v[100:101] op_sel_hi:[1,0,1]
	v_pk_fma_f32 v[100:101], v[128:129], v[112:113], v[100:101] neg_lo:[0,0,1] neg_hi:[0,0,1]
	s_delay_alu instid0(VALU_DEP_4)
	v_pk_add_f32 v[90:91], v[90:91], v[94:95]
	v_pk_fma_f32 v[94:95], v[130:131], v[114:115], v[102:103] op_sel_hi:[1,0,1]
	v_pk_mul_f32 v[92:93], v[158:159], v[92:93] op_sel_hi:[1,0]
	v_mov_b32_e32 v101, v99
	s_wait_loadcnt_dscnt 0x100
	v_pk_mul_f32 v[98:99], v[150:151], v[146:147] op_sel:[1,1] op_sel_hi:[0,1]
	v_pk_add_f32 v[90:91], v[90:91], v[96:97]
	v_pk_fma_f32 v[96:97], v[130:131], v[114:115], v[102:103] neg_lo:[0,0,1] neg_hi:[0,0,1]
	v_mov_b32_e32 v97, v95
	v_pk_fma_f32 v[94:95], v[132:133], v[116:117], v[92:93] op_sel_hi:[1,0,1]
	v_pk_fma_f32 v[92:93], v[132:133], v[116:117], v[92:93] neg_lo:[0,0,1] neg_hi:[0,0,1]
	v_pk_add_f32 v[90:91], v[90:91], v[100:101]
	s_delay_alu instid0(VALU_DEP_3) | instskip(SKIP_1) | instid1(VALU_DEP_3)
	v_mov_b32_e32 v93, v95
	v_pk_fma_f32 v[94:95], v[150:151], v[146:147], v[98:99] op_sel_hi:[1,0,1]
	v_pk_add_f32 v[90:91], v[90:91], v[96:97]
	v_pk_fma_f32 v[96:97], v[150:151], v[146:147], v[98:99] neg_lo:[0,0,1] neg_hi:[0,0,1]
	s_delay_alu instid0(VALU_DEP_3) | instskip(NEXT) | instid1(VALU_DEP_3)
	v_mov_b32_e32 v97, v95
	v_pk_add_f32 v[90:91], v[90:91], v[92:93]
	s_delay_alu instid0(VALU_DEP_1) | instskip(SKIP_1) | instid1(VALU_DEP_1)
	v_pk_add_f32 v[90:91], v[90:91], v[96:97]
	s_wait_loadcnt 0x0
	v_pk_add_f32 v[90:91], v[148:149], v[90:91] neg_lo:[0,1] neg_hi:[0,1]
	scratch_store_b64 off, v[90:91], off offset:224
	s_wait_xcnt 0x0
	v_cmpx_lt_u32_e32 27, v0
	s_cbranch_execz .LBB107_223
; %bb.222:
	scratch_load_b64 v[90:91], off, off offset:216
	v_mov_b64_e32 v[92:93], 0
	scratch_store_b64 off, v[92:93], off offset:216
	s_wait_loadcnt 0x0
	ds_store_b64 v1, v[90:91]
.LBB107_223:
	s_wait_xcnt 0x0
	s_or_b32 exec_lo, exec_lo, s0
	s_wait_storecnt_dscnt 0x0
	s_barrier_signal -1
	s_barrier_wait -1
	s_clause 0x8
	scratch_load_b128 v[90:93], off, off offset:224
	scratch_load_b128 v[94:97], off, off offset:240
	scratch_load_b128 v[98:101], off, off offset:256
	scratch_load_b128 v[102:105], off, off offset:272
	scratch_load_b128 v[106:109], off, off offset:288
	scratch_load_b128 v[110:113], off, off offset:304
	scratch_load_b128 v[114:117], off, off offset:320
	scratch_load_b128 v[118:121], off, off offset:336
	scratch_load_b64 v[154:155], off, off offset:216
	ds_load_b128 v[122:125], v7 offset:640
	ds_load_b128 v[126:129], v7 offset:656
	;; [unrolled: 1-line block ×8, first 2 shown]
	s_mov_b32 s0, exec_lo
	s_wait_dscnt 0x7
	v_dual_mov_b32 v156, v125 :: v_dual_mov_b32 v157, v124
	s_wait_dscnt 0x6
	v_dual_mov_b32 v158, v129 :: v_dual_mov_b32 v159, v128
	;; [unrolled: 2-line block ×4, first 2 shown]
	s_wait_loadcnt_dscnt 0x803
	v_dual_mul_f32 v7, v138, v91 :: v_dual_mul_f32 v9, v140, v93
	v_dual_mul_f32 v19, v139, v91 :: v_dual_mul_f32 v21, v141, v93
	s_wait_loadcnt_dscnt 0x702
	v_dual_mul_f32 v11, v142, v95 :: v_dual_mul_f32 v13, v144, v97
	s_delay_alu instid0(VALU_DEP_3) | instskip(SKIP_3) | instid1(VALU_DEP_3)
	v_dual_fmac_f32 v7, v139, v90 :: v_dual_fmac_f32 v9, v141, v92
	s_wait_loadcnt_dscnt 0x500
	v_dual_fma_f32 v19, v138, v90, -v19 :: v_dual_mul_f32 v31, v151, v103
	v_dual_mul_f32 v23, v143, v95 :: v_dual_mul_f32 v25, v145, v97
	v_dual_fma_f32 v21, v140, v92, -v21 :: v_dual_add_f32 v7, 0, v7
	s_delay_alu instid0(VALU_DEP_3) | instskip(SKIP_1) | instid1(VALU_DEP_3)
	v_dual_add_f32 v19, 0, v19 :: v_dual_mul_f32 v33, v153, v105
	v_dual_fmac_f32 v11, v143, v94 :: v_dual_fmac_f32 v13, v145, v96
	v_dual_fma_f32 v23, v142, v94, -v23 :: v_dual_add_f32 v7, v7, v9
	s_delay_alu instid0(VALU_DEP_3) | instskip(SKIP_4) | instid1(VALU_DEP_3)
	v_dual_add_f32 v9, v19, v21 :: v_dual_fma_f32 v19, v144, v96, -v25
	v_dual_mul_f32 v15, v146, v99 :: v_dual_mul_f32 v17, v148, v101
	v_dual_mul_f32 v27, v147, v99 :: v_dual_mul_f32 v29, v149, v101
	s_wait_loadcnt 0x4
	v_dual_add_f32 v7, v7, v11 :: v_dual_mov_b32 v92, v109
	v_dual_add_f32 v9, v9, v23 :: v_dual_fmac_f32 v15, v147, v98
	s_delay_alu instid0(VALU_DEP_2) | instskip(SKIP_1) | instid1(VALU_DEP_3)
	v_dual_fma_f32 v11, v146, v98, -v27 :: v_dual_add_f32 v7, v7, v13
	v_dual_mul_f32 v165, v150, v103 :: v_dual_mul_f32 v167, v152, v105
	v_dual_add_f32 v9, v9, v19 :: v_dual_fma_f32 v13, v148, v100, -v29
	s_delay_alu instid0(VALU_DEP_3) | instskip(SKIP_1) | instid1(VALU_DEP_3)
	v_dual_fmac_f32 v17, v149, v100 :: v_dual_add_f32 v7, v7, v15
	v_pk_mul_f32 v[90:91], v[122:123], v[106:107] op_sel:[1,1] op_sel_hi:[0,1]
	v_dual_add_f32 v9, v9, v11 :: v_dual_fmac_f32 v165, v151, v102
	s_wait_loadcnt 0x3
	v_dual_mov_b32 v96, v113 :: v_dual_fma_f32 v164, v150, v102, -v31
	v_dual_add_f32 v99, v7, v17 :: v_dual_fmac_f32 v167, v153, v104
	s_delay_alu instid0(VALU_DEP_3) | instskip(SKIP_3) | instid1(VALU_DEP_4)
	v_dual_add_f32 v98, v9, v13 :: v_dual_fma_f32 v166, v152, v104, -v33
	v_pk_fma_f32 v[100:101], v[122:123], v[106:107], v[90:91] op_sel_hi:[1,0,1]
	v_pk_mul_f32 v[92:93], v[156:157], v[92:93] op_sel_hi:[1,0]
	v_pk_fma_f32 v[90:91], v[122:123], v[106:107], v[90:91] neg_lo:[0,0,1] neg_hi:[0,0,1]
	v_pk_add_f32 v[98:99], v[98:99], v[164:165]
	v_pk_mul_f32 v[94:95], v[126:127], v[110:111] op_sel:[1,1] op_sel_hi:[0,1]
	v_mov_b32_e32 v91, v101
	v_pk_fma_f32 v[100:101], v[124:125], v[108:109], v[92:93] op_sel_hi:[1,0,1]
	v_pk_fma_f32 v[92:93], v[124:125], v[108:109], v[92:93] neg_lo:[0,0,1] neg_hi:[0,0,1]
	v_pk_add_f32 v[98:99], v[98:99], v[166:167]
	v_pk_fma_f32 v[104:105], v[126:127], v[110:111], v[94:95] op_sel_hi:[1,0,1]
	v_pk_mul_f32 v[96:97], v[158:159], v[96:97] op_sel_hi:[1,0]
	v_mov_b32_e32 v93, v101
	s_wait_loadcnt 0x2
	v_pk_mul_f32 v[102:103], v[130:131], v[114:115] op_sel:[1,1] op_sel_hi:[0,1]
	v_pk_add_f32 v[90:91], v[98:99], v[90:91]
	v_mov_b32_e32 v98, v117
	v_pk_fma_f32 v[94:95], v[126:127], v[110:111], v[94:95] neg_lo:[0,0,1] neg_hi:[0,0,1]
	v_mov_b32_e32 v95, v105
	v_pk_fma_f32 v[100:101], v[128:129], v[112:113], v[96:97] op_sel_hi:[1,0,1]
	v_pk_add_f32 v[90:91], v[90:91], v[92:93]
	v_pk_fma_f32 v[92:93], v[130:131], v[114:115], v[102:103] op_sel_hi:[1,0,1]
	v_pk_mul_f32 v[98:99], v[160:161], v[98:99] op_sel_hi:[1,0]
	v_pk_fma_f32 v[96:97], v[128:129], v[112:113], v[96:97] neg_lo:[0,0,1] neg_hi:[0,0,1]
	v_mov_b32_e32 v97, v101
	v_pk_add_f32 v[90:91], v[90:91], v[94:95]
	v_pk_fma_f32 v[100:101], v[130:131], v[114:115], v[102:103] neg_lo:[0,0,1] neg_hi:[0,0,1]
	v_mov_b32_e32 v101, v93
	v_pk_fma_f32 v[92:93], v[132:133], v[116:117], v[98:99] op_sel_hi:[1,0,1]
	s_wait_loadcnt 0x1
	v_pk_mul_f32 v[94:95], v[134:135], v[118:119] op_sel:[1,1] op_sel_hi:[0,1]
	v_pk_add_f32 v[90:91], v[90:91], v[96:97]
	v_mov_b32_e32 v92, v121
	v_pk_fma_f32 v[98:99], v[132:133], v[116:117], v[98:99] neg_lo:[0,0,1] neg_hi:[0,0,1]
	v_mov_b32_e32 v99, v93
	v_pk_fma_f32 v[96:97], v[134:135], v[118:119], v[94:95] op_sel_hi:[1,0,1]
	v_pk_add_f32 v[90:91], v[90:91], v[100:101]
	v_pk_mul_f32 v[92:93], v[162:163], v[92:93] op_sel_hi:[1,0]
	v_pk_fma_f32 v[94:95], v[134:135], v[118:119], v[94:95] neg_lo:[0,0,1] neg_hi:[0,0,1]
	s_delay_alu instid0(VALU_DEP_4) | instskip(NEXT) | instid1(VALU_DEP_4)
	v_mov_b32_e32 v95, v97
	v_pk_add_f32 v[90:91], v[90:91], v[98:99]
	s_delay_alu instid0(VALU_DEP_4) | instskip(SKIP_1) | instid1(VALU_DEP_2)
	v_pk_fma_f32 v[96:97], v[136:137], v[120:121], v[92:93] op_sel_hi:[1,0,1]
	v_pk_fma_f32 v[92:93], v[136:137], v[120:121], v[92:93] neg_lo:[0,0,1] neg_hi:[0,0,1]
	v_mov_b32_e32 v93, v97
	s_delay_alu instid0(VALU_DEP_4) | instskip(NEXT) | instid1(VALU_DEP_1)
	v_pk_add_f32 v[90:91], v[90:91], v[94:95]
	v_pk_add_f32 v[90:91], v[90:91], v[92:93]
	s_wait_loadcnt 0x0
	s_delay_alu instid0(VALU_DEP_1)
	v_pk_add_f32 v[90:91], v[154:155], v[90:91] neg_lo:[0,1] neg_hi:[0,1]
	scratch_store_b64 off, v[90:91], off offset:216
	s_wait_xcnt 0x0
	v_cmpx_lt_u32_e32 26, v0
	s_cbranch_execz .LBB107_225
; %bb.224:
	scratch_load_b64 v[90:91], off, off offset:208
	v_mov_b64_e32 v[92:93], 0
	scratch_store_b64 off, v[92:93], off offset:208
	s_wait_loadcnt 0x0
	ds_store_b64 v1, v[90:91]
.LBB107_225:
	s_wait_xcnt 0x0
	s_or_b32 exec_lo, exec_lo, s0
	s_wait_storecnt_dscnt 0x0
	s_barrier_signal -1
	s_barrier_wait -1
	s_clause 0x9
	scratch_load_b128 v[90:93], off, off offset:216
	scratch_load_b128 v[94:97], off, off offset:232
	scratch_load_b128 v[98:101], off, off offset:248
	scratch_load_b128 v[102:105], off, off offset:264
	scratch_load_b128 v[106:109], off, off offset:280
	scratch_load_b128 v[110:113], off, off offset:296
	scratch_load_b128 v[114:117], off, off offset:312
	scratch_load_b128 v[118:121], off, off offset:328
	scratch_load_b64 v[154:155], off, off offset:344
	scratch_load_b64 v[156:157], off, off offset:208
	v_mov_b32_e32 v7, 0
	ds_load_2addr_b64 v[122:125], v7 offset0:79 offset1:80
	ds_load_2addr_b64 v[126:129], v7 offset0:81 offset1:82
	;; [unrolled: 1-line block ×8, first 2 shown]
	ds_load_b64 v[158:159], v7 offset:696
	s_mov_b32 s0, exec_lo
	s_wait_dscnt 0x8
	v_dual_mov_b32 v160, v125 :: v_dual_mov_b32 v161, v124
	s_wait_dscnt 0x5
	v_dual_mov_b32 v162, v129 :: v_dual_mov_b32 v167, v136
	v_dual_mov_b32 v163, v128 :: v_dual_mov_b32 v164, v133
	;; [unrolled: 1-line block ×3, first 2 shown]
	s_wait_loadcnt_dscnt 0x904
	v_dual_mul_f32 v9, v138, v91 :: v_dual_mul_f32 v23, v139, v91
	v_dual_mul_f32 v25, v141, v93 :: v_dual_mul_f32 v11, v140, v93
	s_wait_loadcnt_dscnt 0x803
	v_mul_f32_e32 v13, v142, v95
	s_wait_loadcnt_dscnt 0x601
	v_dual_mul_f32 v35, v151, v103 :: v_dual_fma_f32 v23, v138, v90, -v23
	v_dual_fmac_f32 v9, v139, v90 :: v_dual_mul_f32 v37, v153, v105
	v_dual_mul_f32 v27, v143, v95 :: v_dual_mul_f32 v29, v145, v97
	v_dual_fmac_f32 v11, v141, v92 :: v_dual_fma_f32 v25, v140, v92, -v25
	s_delay_alu instid0(VALU_DEP_3) | instskip(SKIP_3) | instid1(VALU_DEP_3)
	v_dual_add_f32 v9, 0, v9 :: v_dual_add_f32 v23, 0, v23
	v_dual_mul_f32 v15, v144, v97 :: v_dual_mul_f32 v17, v146, v99
	s_wait_loadcnt 0x5
	v_dual_mul_f32 v39, v123, v107 :: v_dual_fma_f32 v27, v142, v94, -v27
	v_dual_fmac_f32 v13, v143, v94 :: v_dual_add_f32 v9, v9, v11
	v_dual_add_f32 v11, v23, v25 :: v_dual_mov_b32 v90, v109
	v_dual_mul_f32 v31, v147, v99 :: v_dual_mul_f32 v33, v149, v101
	v_dual_fmac_f32 v15, v145, v96 :: v_dual_fma_f32 v23, v144, v96, -v29
	s_delay_alu instid0(VALU_DEP_3) | instskip(SKIP_1) | instid1(VALU_DEP_4)
	v_dual_add_f32 v9, v9, v13 :: v_dual_add_f32 v11, v11, v27
	v_dual_mul_f32 v19, v148, v101 :: v_dual_mul_f32 v21, v150, v103
	v_dual_fmac_f32 v17, v147, v98 :: v_dual_fma_f32 v13, v146, v98, -v31
	s_delay_alu instid0(VALU_DEP_3) | instskip(SKIP_3) | instid1(VALU_DEP_3)
	v_dual_add_f32 v9, v9, v15 :: v_dual_fma_f32 v15, v148, v100, -v33
	s_wait_loadcnt 0x4
	v_dual_add_f32 v11, v11, v23 :: v_dual_mov_b32 v94, v113
	v_fmac_f32_e32 v19, v149, v100
	v_dual_add_f32 v9, v9, v17 :: v_dual_fmac_f32 v21, v151, v102
	s_delay_alu instid0(VALU_DEP_3) | instskip(SKIP_1) | instid1(VALU_DEP_3)
	v_add_f32_e32 v11, v11, v13
	v_dual_mul_f32 v169, v152, v105 :: v_dual_mul_f32 v171, v122, v107
	v_dual_fma_f32 v13, v150, v102, -v35 :: v_dual_add_f32 v9, v9, v19
	s_delay_alu instid0(VALU_DEP_2) | instskip(SKIP_1) | instid1(VALU_DEP_3)
	v_dual_add_f32 v11, v11, v15 :: v_dual_fmac_f32 v169, v153, v104
	v_pk_mul_f32 v[92:93], v[126:127], v[110:111] op_sel:[1,1] op_sel_hi:[0,1]
	v_dual_fma_f32 v168, v152, v104, -v37 :: v_dual_add_f32 v99, v9, v21
	v_pk_mul_f32 v[90:91], v[160:161], v[90:91] op_sel_hi:[1,0]
	s_wait_loadcnt 0x3
	v_dual_add_f32 v98, v11, v13 :: v_dual_mov_b32 v100, v117
	v_pk_fma_f32 v[104:105], v[126:127], v[110:111], v[92:93] op_sel_hi:[1,0,1]
	v_fmac_f32_e32 v171, v123, v106
	v_pk_fma_f32 v[102:103], v[124:125], v[108:109], v[90:91] op_sel_hi:[1,0,1]
	v_fma_f32 v170, v122, v106, -v39
	v_pk_add_f32 v[98:99], v[98:99], v[168:169]
	v_pk_fma_f32 v[90:91], v[124:125], v[108:109], v[90:91] neg_lo:[0,0,1] neg_hi:[0,0,1]
	v_pk_fma_f32 v[92:93], v[126:127], v[110:111], v[92:93] neg_lo:[0,0,1] neg_hi:[0,0,1]
	v_pk_mul_f32 v[94:95], v[162:163], v[94:95] op_sel_hi:[1,0]
	v_dual_mov_b32 v91, v103 :: v_dual_mov_b32 v93, v105
	v_pk_add_f32 v[98:99], v[98:99], v[170:171]
	v_pk_mul_f32 v[96:97], v[130:131], v[114:115] op_sel:[1,1] op_sel_hi:[0,1]
	s_delay_alu instid0(VALU_DEP_4)
	v_pk_fma_f32 v[104:105], v[128:129], v[112:113], v[94:95] op_sel_hi:[1,0,1]
	v_pk_fma_f32 v[94:95], v[128:129], v[112:113], v[94:95] neg_lo:[0,0,1] neg_hi:[0,0,1]
	v_pk_mul_f32 v[100:101], v[164:165], v[100:101] op_sel_hi:[1,0]
	v_pk_add_f32 v[90:91], v[98:99], v[90:91]
	v_pk_fma_f32 v[98:99], v[130:131], v[114:115], v[96:97] op_sel_hi:[1,0,1]
	v_mov_b32_e32 v95, v105
	v_pk_fma_f32 v[96:97], v[130:131], v[114:115], v[96:97] neg_lo:[0,0,1] neg_hi:[0,0,1]
	s_wait_loadcnt 0x2
	v_pk_mul_f32 v[102:103], v[134:135], v[118:119] op_sel:[1,1] op_sel_hi:[0,1]
	v_pk_add_f32 v[90:91], v[90:91], v[92:93]
	v_dual_mov_b32 v92, v121 :: v_dual_mov_b32 v97, v99
	v_pk_fma_f32 v[98:99], v[132:133], v[116:117], v[100:101] op_sel_hi:[1,0,1]
	v_pk_fma_f32 v[100:101], v[132:133], v[116:117], v[100:101] neg_lo:[0,0,1] neg_hi:[0,0,1]
	s_delay_alu instid0(VALU_DEP_4)
	v_pk_add_f32 v[90:91], v[90:91], v[94:95]
	v_pk_fma_f32 v[94:95], v[134:135], v[118:119], v[102:103] op_sel_hi:[1,0,1]
	v_pk_mul_f32 v[92:93], v[166:167], v[92:93] op_sel_hi:[1,0]
	v_mov_b32_e32 v101, v99
	s_wait_loadcnt_dscnt 0x100
	v_pk_mul_f32 v[98:99], v[158:159], v[154:155] op_sel:[1,1] op_sel_hi:[0,1]
	v_pk_add_f32 v[90:91], v[90:91], v[96:97]
	v_pk_fma_f32 v[96:97], v[134:135], v[118:119], v[102:103] neg_lo:[0,0,1] neg_hi:[0,0,1]
	v_mov_b32_e32 v97, v95
	v_pk_fma_f32 v[94:95], v[136:137], v[120:121], v[92:93] op_sel_hi:[1,0,1]
	v_pk_fma_f32 v[92:93], v[136:137], v[120:121], v[92:93] neg_lo:[0,0,1] neg_hi:[0,0,1]
	v_pk_add_f32 v[90:91], v[90:91], v[100:101]
	s_delay_alu instid0(VALU_DEP_3) | instskip(SKIP_1) | instid1(VALU_DEP_3)
	v_mov_b32_e32 v93, v95
	v_pk_fma_f32 v[94:95], v[158:159], v[154:155], v[98:99] op_sel_hi:[1,0,1]
	v_pk_add_f32 v[90:91], v[90:91], v[96:97]
	v_pk_fma_f32 v[96:97], v[158:159], v[154:155], v[98:99] neg_lo:[0,0,1] neg_hi:[0,0,1]
	s_delay_alu instid0(VALU_DEP_3) | instskip(NEXT) | instid1(VALU_DEP_3)
	v_mov_b32_e32 v97, v95
	v_pk_add_f32 v[90:91], v[90:91], v[92:93]
	s_delay_alu instid0(VALU_DEP_1) | instskip(SKIP_1) | instid1(VALU_DEP_1)
	v_pk_add_f32 v[90:91], v[90:91], v[96:97]
	s_wait_loadcnt 0x0
	v_pk_add_f32 v[90:91], v[156:157], v[90:91] neg_lo:[0,1] neg_hi:[0,1]
	scratch_store_b64 off, v[90:91], off offset:208
	s_wait_xcnt 0x0
	v_cmpx_lt_u32_e32 25, v0
	s_cbranch_execz .LBB107_227
; %bb.226:
	scratch_load_b64 v[90:91], off, off offset:200
	v_mov_b64_e32 v[92:93], 0
	scratch_store_b64 off, v[92:93], off offset:200
	s_wait_loadcnt 0x0
	ds_store_b64 v1, v[90:91]
.LBB107_227:
	s_wait_xcnt 0x0
	s_or_b32 exec_lo, exec_lo, s0
	s_wait_storecnt_dscnt 0x0
	s_barrier_signal -1
	s_barrier_wait -1
	s_clause 0x9
	scratch_load_b128 v[90:93], off, off offset:208
	scratch_load_b128 v[94:97], off, off offset:224
	;; [unrolled: 1-line block ×9, first 2 shown]
	scratch_load_b64 v[162:163], off, off offset:200
	ds_load_b128 v[126:129], v7 offset:640
	ds_load_b128 v[130:133], v7 offset:656
	;; [unrolled: 1-line block ×9, first 2 shown]
	s_mov_b32 s0, exec_lo
	s_wait_dscnt 0x8
	v_dual_mov_b32 v164, v129 :: v_dual_mov_b32 v165, v128
	s_wait_dscnt 0x7
	v_dual_mov_b32 v166, v133 :: v_dual_mov_b32 v167, v132
	;; [unrolled: 2-line block ×4, first 2 shown]
	s_wait_loadcnt_dscnt 0x904
	v_dual_mul_f32 v7, v142, v91 :: v_dual_mul_f32 v9, v144, v93
	v_dual_mul_f32 v23, v143, v91 :: v_dual_mul_f32 v25, v145, v93
	s_wait_loadcnt_dscnt 0x803
	v_dual_mul_f32 v11, v146, v95 :: v_dual_mul_f32 v13, v148, v97
	s_delay_alu instid0(VALU_DEP_3) | instskip(SKIP_3) | instid1(VALU_DEP_3)
	v_dual_fmac_f32 v7, v143, v90 :: v_dual_fmac_f32 v9, v145, v92
	s_wait_loadcnt_dscnt 0x601
	v_dual_fma_f32 v23, v142, v90, -v23 :: v_dual_mul_f32 v35, v155, v103
	v_dual_mul_f32 v27, v147, v95 :: v_dual_mul_f32 v29, v149, v97
	v_dual_fma_f32 v25, v144, v92, -v25 :: v_dual_add_f32 v7, 0, v7
	s_delay_alu instid0(VALU_DEP_3) | instskip(SKIP_1) | instid1(VALU_DEP_3)
	v_dual_add_f32 v23, 0, v23 :: v_dual_mul_f32 v37, v157, v105
	v_dual_fmac_f32 v11, v147, v94 :: v_dual_fmac_f32 v13, v149, v96
	v_dual_fma_f32 v27, v146, v94, -v27 :: v_dual_add_f32 v7, v7, v9
	s_delay_alu instid0(VALU_DEP_3) | instskip(SKIP_2) | instid1(VALU_DEP_4)
	v_dual_add_f32 v9, v23, v25 :: v_dual_fma_f32 v25, v148, v96, -v29
	v_dual_mul_f32 v15, v150, v99 :: v_dual_mul_f32 v17, v152, v101
	v_dual_mul_f32 v31, v151, v99 :: v_dual_mul_f32 v33, v153, v101
	v_add_f32_e32 v7, v7, v11
	s_delay_alu instid0(VALU_DEP_3) | instskip(NEXT) | instid1(VALU_DEP_3)
	v_dual_add_f32 v9, v9, v27 :: v_dual_fmac_f32 v15, v151, v98
	v_fma_f32 v27, v150, v98, -v31
	v_dual_mul_f32 v19, v154, v103 :: v_dual_mul_f32 v21, v156, v105
	s_delay_alu instid0(VALU_DEP_4) | instskip(NEXT) | instid1(VALU_DEP_4)
	v_dual_add_f32 v7, v7, v13 :: v_dual_fmac_f32 v17, v153, v100
	v_dual_add_f32 v9, v9, v25 :: v_dual_fma_f32 v13, v152, v100, -v33
	s_wait_loadcnt 0x4
	s_delay_alu instid0(VALU_DEP_2) | instskip(NEXT) | instid1(VALU_DEP_2)
	v_dual_mov_b32 v92, v113 :: v_dual_add_f32 v7, v7, v15
	v_dual_fmac_f32 v19, v155, v102 :: v_dual_add_f32 v9, v9, v27
	v_fma_f32 v15, v154, v102, -v35
	s_wait_dscnt 0x0
	v_dual_mul_f32 v173, v158, v107 :: v_dual_mul_f32 v175, v160, v109
	v_add_f32_e32 v7, v7, v17
	v_dual_add_f32 v9, v9, v13 :: v_dual_fma_f32 v13, v156, v104, -v37
	v_dual_mul_f32 v23, v159, v107 :: v_dual_mul_f32 v11, v161, v109
	s_delay_alu instid0(VALU_DEP_3) | instskip(NEXT) | instid1(VALU_DEP_3)
	v_dual_fmac_f32 v21, v157, v104 :: v_dual_add_f32 v7, v7, v19
	v_dual_add_f32 v9, v9, v15 :: v_dual_fmac_f32 v173, v159, v106
	v_pk_mul_f32 v[90:91], v[126:127], v[110:111] op_sel:[1,1] op_sel_hi:[0,1]
	s_wait_loadcnt 0x3
	v_dual_mov_b32 v96, v117 :: v_dual_fma_f32 v172, v158, v106, -v23
	v_dual_add_f32 v99, v7, v21 :: v_dual_fmac_f32 v175, v161, v108
	v_dual_add_f32 v98, v9, v13 :: v_dual_fma_f32 v174, v160, v108, -v11
	v_pk_fma_f32 v[100:101], v[126:127], v[110:111], v[90:91] op_sel_hi:[1,0,1]
	v_pk_mul_f32 v[92:93], v[164:165], v[92:93] op_sel_hi:[1,0]
	v_pk_fma_f32 v[90:91], v[126:127], v[110:111], v[90:91] neg_lo:[0,0,1] neg_hi:[0,0,1]
	s_delay_alu instid0(VALU_DEP_4)
	v_pk_add_f32 v[98:99], v[98:99], v[172:173]
	v_pk_mul_f32 v[94:95], v[130:131], v[114:115] op_sel:[1,1] op_sel_hi:[0,1]
	v_mov_b32_e32 v91, v101
	v_pk_fma_f32 v[100:101], v[128:129], v[112:113], v[92:93] op_sel_hi:[1,0,1]
	v_pk_fma_f32 v[92:93], v[128:129], v[112:113], v[92:93] neg_lo:[0,0,1] neg_hi:[0,0,1]
	v_pk_add_f32 v[98:99], v[98:99], v[174:175]
	v_pk_fma_f32 v[104:105], v[130:131], v[114:115], v[94:95] op_sel_hi:[1,0,1]
	v_pk_mul_f32 v[96:97], v[166:167], v[96:97] op_sel_hi:[1,0]
	v_mov_b32_e32 v93, v101
	s_wait_loadcnt 0x2
	v_pk_mul_f32 v[102:103], v[134:135], v[118:119] op_sel:[1,1] op_sel_hi:[0,1]
	v_pk_add_f32 v[90:91], v[98:99], v[90:91]
	v_mov_b32_e32 v98, v121
	v_pk_fma_f32 v[94:95], v[130:131], v[114:115], v[94:95] neg_lo:[0,0,1] neg_hi:[0,0,1]
	v_mov_b32_e32 v95, v105
	v_pk_fma_f32 v[100:101], v[132:133], v[116:117], v[96:97] op_sel_hi:[1,0,1]
	v_pk_add_f32 v[90:91], v[90:91], v[92:93]
	v_pk_fma_f32 v[92:93], v[134:135], v[118:119], v[102:103] op_sel_hi:[1,0,1]
	v_pk_mul_f32 v[98:99], v[168:169], v[98:99] op_sel_hi:[1,0]
	v_pk_fma_f32 v[96:97], v[132:133], v[116:117], v[96:97] neg_lo:[0,0,1] neg_hi:[0,0,1]
	v_mov_b32_e32 v97, v101
	v_pk_add_f32 v[90:91], v[90:91], v[94:95]
	v_pk_fma_f32 v[100:101], v[134:135], v[118:119], v[102:103] neg_lo:[0,0,1] neg_hi:[0,0,1]
	v_mov_b32_e32 v101, v93
	v_pk_fma_f32 v[92:93], v[136:137], v[120:121], v[98:99] op_sel_hi:[1,0,1]
	s_wait_loadcnt 0x1
	v_pk_mul_f32 v[94:95], v[138:139], v[122:123] op_sel:[1,1] op_sel_hi:[0,1]
	v_pk_add_f32 v[90:91], v[90:91], v[96:97]
	v_mov_b32_e32 v92, v125
	v_pk_fma_f32 v[98:99], v[136:137], v[120:121], v[98:99] neg_lo:[0,0,1] neg_hi:[0,0,1]
	v_mov_b32_e32 v99, v93
	v_pk_fma_f32 v[96:97], v[138:139], v[122:123], v[94:95] op_sel_hi:[1,0,1]
	v_pk_add_f32 v[90:91], v[90:91], v[100:101]
	v_pk_mul_f32 v[92:93], v[170:171], v[92:93] op_sel_hi:[1,0]
	v_pk_fma_f32 v[94:95], v[138:139], v[122:123], v[94:95] neg_lo:[0,0,1] neg_hi:[0,0,1]
	s_delay_alu instid0(VALU_DEP_4) | instskip(NEXT) | instid1(VALU_DEP_4)
	v_mov_b32_e32 v95, v97
	v_pk_add_f32 v[90:91], v[90:91], v[98:99]
	s_delay_alu instid0(VALU_DEP_4) | instskip(SKIP_1) | instid1(VALU_DEP_2)
	v_pk_fma_f32 v[96:97], v[140:141], v[124:125], v[92:93] op_sel_hi:[1,0,1]
	v_pk_fma_f32 v[92:93], v[140:141], v[124:125], v[92:93] neg_lo:[0,0,1] neg_hi:[0,0,1]
	v_mov_b32_e32 v93, v97
	s_delay_alu instid0(VALU_DEP_4) | instskip(NEXT) | instid1(VALU_DEP_1)
	v_pk_add_f32 v[90:91], v[90:91], v[94:95]
	v_pk_add_f32 v[90:91], v[90:91], v[92:93]
	s_wait_loadcnt 0x0
	s_delay_alu instid0(VALU_DEP_1)
	v_pk_add_f32 v[90:91], v[162:163], v[90:91] neg_lo:[0,1] neg_hi:[0,1]
	scratch_store_b64 off, v[90:91], off offset:200
	s_wait_xcnt 0x0
	v_cmpx_lt_u32_e32 24, v0
	s_cbranch_execz .LBB107_229
; %bb.228:
	scratch_load_b64 v[90:91], off, off offset:192
	v_mov_b64_e32 v[92:93], 0
	scratch_store_b64 off, v[92:93], off offset:192
	s_wait_loadcnt 0x0
	ds_store_b64 v1, v[90:91]
.LBB107_229:
	s_wait_xcnt 0x0
	s_or_b32 exec_lo, exec_lo, s0
	s_wait_storecnt_dscnt 0x0
	s_barrier_signal -1
	s_barrier_wait -1
	s_clause 0xa
	scratch_load_b128 v[90:93], off, off offset:200
	scratch_load_b128 v[94:97], off, off offset:216
	;; [unrolled: 1-line block ×9, first 2 shown]
	scratch_load_b64 v[162:163], off, off offset:344
	scratch_load_b64 v[164:165], off, off offset:192
	v_mov_b32_e32 v7, 0
	ds_load_2addr_b64 v[126:129], v7 offset0:79 offset1:80
	ds_load_2addr_b64 v[130:133], v7 offset0:81 offset1:82
	;; [unrolled: 1-line block ×9, first 2 shown]
	ds_load_b64 v[166:167], v7 offset:696
	s_mov_b32 s0, exec_lo
	s_wait_dscnt 0x9
	v_dual_mov_b32 v168, v129 :: v_dual_mov_b32 v169, v128
	s_wait_dscnt 0x6
	v_dual_mov_b32 v170, v133 :: v_dual_mov_b32 v175, v140
	v_dual_mov_b32 v171, v132 :: v_dual_mov_b32 v172, v137
	;; [unrolled: 1-line block ×3, first 2 shown]
	s_wait_loadcnt_dscnt 0xa05
	v_dual_mul_f32 v9, v142, v91 :: v_dual_mul_f32 v27, v143, v91
	v_dual_mul_f32 v29, v145, v93 :: v_dual_mul_f32 v11, v144, v93
	s_wait_loadcnt_dscnt 0x904
	v_mul_f32_e32 v13, v146, v95
	s_wait_loadcnt_dscnt 0x702
	v_dual_mul_f32 v39, v155, v103 :: v_dual_fma_f32 v27, v142, v90, -v27
	v_dual_fmac_f32 v9, v143, v90 :: v_dual_mul_f32 v41, v157, v105
	v_dual_mul_f32 v31, v147, v95 :: v_dual_mul_f32 v33, v149, v97
	v_dual_fmac_f32 v11, v145, v92 :: v_dual_fma_f32 v29, v144, v92, -v29
	s_delay_alu instid0(VALU_DEP_3) | instskip(SKIP_3) | instid1(VALU_DEP_3)
	v_dual_add_f32 v9, 0, v9 :: v_dual_add_f32 v27, 0, v27
	v_dual_mul_f32 v15, v148, v97 :: v_dual_mul_f32 v17, v150, v99
	s_wait_loadcnt_dscnt 0x601
	v_dual_mul_f32 v43, v159, v107 :: v_dual_fma_f32 v31, v146, v94, -v31
	v_dual_fmac_f32 v13, v147, v94 :: v_dual_add_f32 v9, v9, v11
	s_delay_alu instid0(VALU_DEP_3) | instskip(SKIP_2) | instid1(VALU_DEP_3)
	v_dual_add_f32 v11, v27, v29 :: v_dual_fmac_f32 v15, v149, v96
	v_dual_mul_f32 v35, v151, v99 :: v_dual_mul_f32 v37, v153, v101
	v_dual_mul_f32 v27, v161, v109 :: v_dual_fma_f32 v29, v148, v96, -v33
	v_dual_add_f32 v9, v9, v13 :: v_dual_add_f32 v11, v11, v31
	v_dual_mul_f32 v19, v152, v101 :: v_dual_mul_f32 v21, v154, v103
	s_wait_loadcnt 0x5
	v_dual_mul_f32 v13, v127, v111 :: v_dual_fma_f32 v31, v150, v98, -v35
	s_delay_alu instid0(VALU_DEP_3) | instskip(SKIP_2) | instid1(VALU_DEP_2)
	v_dual_fmac_f32 v17, v151, v98 :: v_dual_add_f32 v9, v9, v15
	v_dual_add_f32 v11, v11, v29 :: v_dual_mov_b32 v90, v113
	v_dual_fmac_f32 v19, v153, v100 :: v_dual_fma_f32 v15, v152, v100, -v37
	v_dual_add_f32 v9, v9, v17 :: v_dual_add_f32 v11, v11, v31
	v_dual_mul_f32 v23, v156, v105 :: v_dual_mul_f32 v25, v158, v107
	v_dual_fmac_f32 v21, v155, v102 :: v_dual_fma_f32 v17, v154, v102, -v39
	s_delay_alu instid0(VALU_DEP_3) | instskip(SKIP_3) | instid1(VALU_DEP_3)
	v_add_f32_e32 v9, v9, v19
	s_wait_loadcnt 0x4
	v_dual_add_f32 v11, v11, v15 :: v_dual_mov_b32 v94, v117
	v_dual_fmac_f32 v23, v157, v104 :: v_dual_fma_f32 v15, v156, v104, -v41
	v_dual_add_f32 v9, v9, v21 :: v_dual_fmac_f32 v25, v159, v106
	s_delay_alu instid0(VALU_DEP_3) | instskip(SKIP_1) | instid1(VALU_DEP_3)
	v_add_f32_e32 v11, v11, v17
	v_dual_mul_f32 v177, v160, v109 :: v_dual_mul_f32 v179, v126, v111
	v_dual_fma_f32 v17, v158, v106, -v43 :: v_dual_add_f32 v9, v9, v23
	s_delay_alu instid0(VALU_DEP_2) | instskip(SKIP_2) | instid1(VALU_DEP_4)
	v_dual_add_f32 v11, v11, v15 :: v_dual_fmac_f32 v177, v161, v108
	v_fma_f32 v176, v160, v108, -v27
	v_pk_mul_f32 v[90:91], v[168:169], v[90:91] op_sel_hi:[1,0]
	v_add_f32_e32 v99, v9, v25
	s_wait_loadcnt 0x3
	v_dual_add_f32 v98, v11, v17 :: v_dual_mov_b32 v100, v121
	v_pk_mul_f32 v[92:93], v[130:131], v[114:115] op_sel:[1,1] op_sel_hi:[0,1]
	v_dual_fmac_f32 v179, v127, v110 :: v_dual_fma_f32 v178, v126, v110, -v13
	v_pk_fma_f32 v[102:103], v[128:129], v[112:113], v[90:91] op_sel_hi:[1,0,1]
	s_delay_alu instid0(VALU_DEP_4)
	v_pk_add_f32 v[98:99], v[98:99], v[176:177]
	v_pk_fma_f32 v[90:91], v[128:129], v[112:113], v[90:91] neg_lo:[0,0,1] neg_hi:[0,0,1]
	v_pk_fma_f32 v[104:105], v[130:131], v[114:115], v[92:93] op_sel_hi:[1,0,1]
	v_pk_mul_f32 v[94:95], v[170:171], v[94:95] op_sel_hi:[1,0]
	v_mov_b32_e32 v91, v103
	v_pk_add_f32 v[98:99], v[98:99], v[178:179]
	v_pk_fma_f32 v[92:93], v[130:131], v[114:115], v[92:93] neg_lo:[0,0,1] neg_hi:[0,0,1]
	v_pk_mul_f32 v[96:97], v[134:135], v[118:119] op_sel:[1,1] op_sel_hi:[0,1]
	v_mov_b32_e32 v93, v105
	v_pk_fma_f32 v[104:105], v[132:133], v[116:117], v[94:95] op_sel_hi:[1,0,1]
	v_pk_add_f32 v[90:91], v[98:99], v[90:91]
	v_pk_fma_f32 v[94:95], v[132:133], v[116:117], v[94:95] neg_lo:[0,0,1] neg_hi:[0,0,1]
	v_pk_fma_f32 v[98:99], v[134:135], v[118:119], v[96:97] op_sel_hi:[1,0,1]
	v_pk_mul_f32 v[100:101], v[172:173], v[100:101] op_sel_hi:[1,0]
	v_mov_b32_e32 v95, v105
	v_pk_add_f32 v[90:91], v[90:91], v[92:93]
	v_pk_fma_f32 v[96:97], v[134:135], v[118:119], v[96:97] neg_lo:[0,0,1] neg_hi:[0,0,1]
	s_wait_loadcnt 0x2
	v_pk_mul_f32 v[102:103], v[138:139], v[122:123] op_sel:[1,1] op_sel_hi:[0,1]
	v_dual_mov_b32 v92, v125 :: v_dual_mov_b32 v97, v99
	v_pk_fma_f32 v[98:99], v[136:137], v[120:121], v[100:101] op_sel_hi:[1,0,1]
	v_pk_add_f32 v[90:91], v[90:91], v[94:95]
	v_pk_fma_f32 v[100:101], v[136:137], v[120:121], v[100:101] neg_lo:[0,0,1] neg_hi:[0,0,1]
	v_pk_fma_f32 v[94:95], v[138:139], v[122:123], v[102:103] op_sel_hi:[1,0,1]
	v_pk_mul_f32 v[92:93], v[174:175], v[92:93] op_sel_hi:[1,0]
	v_mov_b32_e32 v101, v99
	v_pk_add_f32 v[90:91], v[90:91], v[96:97]
	v_pk_fma_f32 v[96:97], v[138:139], v[122:123], v[102:103] neg_lo:[0,0,1] neg_hi:[0,0,1]
	v_mov_b32_e32 v97, v95
	v_pk_fma_f32 v[94:95], v[140:141], v[124:125], v[92:93] op_sel_hi:[1,0,1]
	s_wait_loadcnt_dscnt 0x100
	v_pk_mul_f32 v[98:99], v[166:167], v[162:163] op_sel:[1,1] op_sel_hi:[0,1]
	v_pk_add_f32 v[90:91], v[90:91], v[100:101]
	v_pk_fma_f32 v[92:93], v[140:141], v[124:125], v[92:93] neg_lo:[0,0,1] neg_hi:[0,0,1]
	v_mov_b32_e32 v93, v95
	s_delay_alu instid0(VALU_DEP_4) | instskip(NEXT) | instid1(VALU_DEP_4)
	v_pk_fma_f32 v[94:95], v[166:167], v[162:163], v[98:99] op_sel_hi:[1,0,1]
	v_pk_add_f32 v[90:91], v[90:91], v[96:97]
	v_pk_fma_f32 v[96:97], v[166:167], v[162:163], v[98:99] neg_lo:[0,0,1] neg_hi:[0,0,1]
	s_delay_alu instid0(VALU_DEP_3) | instskip(NEXT) | instid1(VALU_DEP_3)
	v_mov_b32_e32 v97, v95
	v_pk_add_f32 v[90:91], v[90:91], v[92:93]
	s_delay_alu instid0(VALU_DEP_1) | instskip(SKIP_1) | instid1(VALU_DEP_1)
	v_pk_add_f32 v[90:91], v[90:91], v[96:97]
	s_wait_loadcnt 0x0
	v_pk_add_f32 v[90:91], v[164:165], v[90:91] neg_lo:[0,1] neg_hi:[0,1]
	scratch_store_b64 off, v[90:91], off offset:192
	s_wait_xcnt 0x0
	v_cmpx_lt_u32_e32 23, v0
	s_cbranch_execz .LBB107_231
; %bb.230:
	scratch_load_b64 v[90:91], off, off offset:184
	v_mov_b64_e32 v[92:93], 0
	scratch_store_b64 off, v[92:93], off offset:184
	s_wait_loadcnt 0x0
	ds_store_b64 v1, v[90:91]
.LBB107_231:
	s_wait_xcnt 0x0
	s_or_b32 exec_lo, exec_lo, s0
	s_wait_storecnt_dscnt 0x0
	s_barrier_signal -1
	s_barrier_wait -1
	s_clause 0xa
	scratch_load_b128 v[90:93], off, off offset:192
	scratch_load_b128 v[94:97], off, off offset:208
	;; [unrolled: 1-line block ×10, first 2 shown]
	scratch_load_b64 v[170:171], off, off offset:184
	ds_load_b128 v[130:133], v7 offset:640
	ds_load_b128 v[134:137], v7 offset:656
	;; [unrolled: 1-line block ×10, first 2 shown]
	s_mov_b32 s0, exec_lo
	s_wait_dscnt 0x9
	v_dual_mov_b32 v172, v133 :: v_dual_mov_b32 v173, v132
	s_wait_dscnt 0x8
	v_dual_mov_b32 v174, v137 :: v_dual_mov_b32 v175, v136
	;; [unrolled: 2-line block ×4, first 2 shown]
	s_wait_loadcnt_dscnt 0xa05
	v_dual_mul_f32 v7, v146, v91 :: v_dual_mul_f32 v9, v148, v93
	v_dual_mul_f32 v27, v147, v91 :: v_dual_mul_f32 v29, v149, v93
	s_wait_loadcnt_dscnt 0x904
	v_dual_mul_f32 v11, v150, v95 :: v_dual_mul_f32 v13, v152, v97
	s_delay_alu instid0(VALU_DEP_3) | instskip(SKIP_3) | instid1(VALU_DEP_3)
	v_dual_fmac_f32 v7, v147, v90 :: v_dual_fmac_f32 v9, v149, v92
	s_wait_loadcnt_dscnt 0x702
	v_dual_fma_f32 v27, v146, v90, -v27 :: v_dual_mul_f32 v39, v159, v103
	v_dual_mul_f32 v31, v151, v95 :: v_dual_mul_f32 v33, v153, v97
	v_dual_fma_f32 v29, v148, v92, -v29 :: v_dual_add_f32 v7, 0, v7
	s_delay_alu instid0(VALU_DEP_3) | instskip(SKIP_1) | instid1(VALU_DEP_3)
	v_dual_add_f32 v27, 0, v27 :: v_dual_mul_f32 v41, v161, v105
	v_dual_fmac_f32 v11, v151, v94 :: v_dual_fmac_f32 v13, v153, v96
	v_dual_fma_f32 v31, v150, v94, -v31 :: v_dual_add_f32 v7, v7, v9
	s_delay_alu instid0(VALU_DEP_3) | instskip(SKIP_2) | instid1(VALU_DEP_4)
	v_dual_add_f32 v9, v27, v29 :: v_dual_fma_f32 v29, v152, v96, -v33
	v_dual_mul_f32 v15, v154, v99 :: v_dual_mul_f32 v17, v156, v101
	v_dual_mul_f32 v35, v155, v99 :: v_dual_mul_f32 v37, v157, v101
	v_add_f32_e32 v7, v7, v11
	s_delay_alu instid0(VALU_DEP_3) | instskip(NEXT) | instid1(VALU_DEP_3)
	v_dual_add_f32 v9, v9, v31 :: v_dual_fmac_f32 v15, v155, v98
	v_fma_f32 v31, v154, v98, -v35
	v_dual_mul_f32 v19, v158, v103 :: v_dual_mul_f32 v21, v160, v105
	s_delay_alu instid0(VALU_DEP_4) | instskip(SKIP_2) | instid1(VALU_DEP_2)
	v_dual_add_f32 v7, v7, v13 :: v_dual_fmac_f32 v17, v157, v100
	s_wait_loadcnt_dscnt 0x500
	v_dual_add_f32 v9, v9, v29 :: v_dual_mul_f32 v13, v167, v111
	v_dual_fma_f32 v29, v156, v100, -v37 :: v_dual_add_f32 v7, v7, v15
	v_mul_f32_e32 v15, v169, v113
	s_delay_alu instid0(VALU_DEP_3) | instskip(NEXT) | instid1(VALU_DEP_3)
	v_dual_add_f32 v9, v9, v31 :: v_dual_fmac_f32 v19, v159, v102
	v_dual_fma_f32 v31, v158, v102, -v39 :: v_dual_add_f32 v7, v7, v17
	v_fmac_f32_e32 v21, v161, v104
	s_delay_alu instid0(VALU_DEP_3) | instskip(SKIP_4) | instid1(VALU_DEP_3)
	v_dual_add_f32 v9, v9, v29 :: v_dual_fma_f32 v17, v160, v104, -v41
	v_dual_mul_f32 v23, v162, v107 :: v_dual_mul_f32 v25, v164, v109
	v_dual_mul_f32 v27, v163, v107 :: v_dual_mul_f32 v11, v165, v109
	s_wait_loadcnt 0x4
	v_dual_add_f32 v7, v7, v19 :: v_dual_mov_b32 v92, v117
	v_dual_add_f32 v9, v9, v31 :: v_dual_fmac_f32 v23, v163, v106
	s_delay_alu instid0(VALU_DEP_2) | instskip(SKIP_1) | instid1(VALU_DEP_3)
	v_dual_fma_f32 v19, v162, v106, -v27 :: v_dual_add_f32 v7, v7, v21
	v_dual_mul_f32 v181, v166, v111 :: v_dual_mul_f32 v183, v168, v113
	v_dual_add_f32 v9, v9, v17 :: v_dual_fma_f32 v11, v164, v108, -v11
	s_delay_alu instid0(VALU_DEP_3) | instskip(SKIP_1) | instid1(VALU_DEP_3)
	v_dual_fmac_f32 v25, v165, v108 :: v_dual_add_f32 v7, v7, v23
	v_pk_mul_f32 v[90:91], v[130:131], v[114:115] op_sel:[1,1] op_sel_hi:[0,1]
	v_dual_add_f32 v9, v9, v19 :: v_dual_fmac_f32 v181, v167, v110
	s_wait_loadcnt 0x3
	v_dual_mov_b32 v96, v121 :: v_dual_fma_f32 v180, v166, v110, -v13
	s_delay_alu instid0(VALU_DEP_2)
	v_dual_add_f32 v99, v7, v25 :: v_dual_add_f32 v98, v9, v11
	v_fmac_f32_e32 v183, v169, v112
	v_pk_fma_f32 v[100:101], v[130:131], v[114:115], v[90:91] op_sel_hi:[1,0,1]
	v_fma_f32 v182, v168, v112, -v15
	v_pk_mul_f32 v[92:93], v[172:173], v[92:93] op_sel_hi:[1,0]
	v_pk_add_f32 v[98:99], v[98:99], v[180:181]
	v_pk_fma_f32 v[90:91], v[130:131], v[114:115], v[90:91] neg_lo:[0,0,1] neg_hi:[0,0,1]
	v_pk_mul_f32 v[94:95], v[134:135], v[118:119] op_sel:[1,1] op_sel_hi:[0,1]
	v_mov_b32_e32 v91, v101
	v_pk_fma_f32 v[100:101], v[132:133], v[116:117], v[92:93] op_sel_hi:[1,0,1]
	v_pk_add_f32 v[98:99], v[98:99], v[182:183]
	v_pk_fma_f32 v[92:93], v[132:133], v[116:117], v[92:93] neg_lo:[0,0,1] neg_hi:[0,0,1]
	v_pk_fma_f32 v[104:105], v[134:135], v[118:119], v[94:95] op_sel_hi:[1,0,1]
	v_pk_mul_f32 v[96:97], v[174:175], v[96:97] op_sel_hi:[1,0]
	v_mov_b32_e32 v93, v101
	v_pk_add_f32 v[90:91], v[98:99], v[90:91]
	s_wait_loadcnt 0x2
	v_pk_mul_f32 v[102:103], v[138:139], v[122:123] op_sel:[1,1] op_sel_hi:[0,1]
	v_mov_b32_e32 v98, v125
	v_pk_fma_f32 v[94:95], v[134:135], v[118:119], v[94:95] neg_lo:[0,0,1] neg_hi:[0,0,1]
	v_pk_fma_f32 v[100:101], v[136:137], v[120:121], v[96:97] op_sel_hi:[1,0,1]
	v_mov_b32_e32 v95, v105
	v_pk_add_f32 v[90:91], v[90:91], v[92:93]
	v_pk_fma_f32 v[92:93], v[138:139], v[122:123], v[102:103] op_sel_hi:[1,0,1]
	v_pk_mul_f32 v[98:99], v[176:177], v[98:99] op_sel_hi:[1,0]
	v_pk_fma_f32 v[96:97], v[136:137], v[120:121], v[96:97] neg_lo:[0,0,1] neg_hi:[0,0,1]
	v_mov_b32_e32 v97, v101
	v_pk_add_f32 v[90:91], v[90:91], v[94:95]
	v_pk_fma_f32 v[100:101], v[138:139], v[122:123], v[102:103] neg_lo:[0,0,1] neg_hi:[0,0,1]
	v_mov_b32_e32 v101, v93
	v_pk_fma_f32 v[92:93], v[140:141], v[124:125], v[98:99] op_sel_hi:[1,0,1]
	s_wait_loadcnt 0x1
	v_pk_mul_f32 v[94:95], v[142:143], v[126:127] op_sel:[1,1] op_sel_hi:[0,1]
	v_pk_add_f32 v[90:91], v[90:91], v[96:97]
	v_mov_b32_e32 v92, v129
	v_pk_fma_f32 v[98:99], v[140:141], v[124:125], v[98:99] neg_lo:[0,0,1] neg_hi:[0,0,1]
	s_delay_alu instid0(VALU_DEP_4)
	v_pk_fma_f32 v[96:97], v[142:143], v[126:127], v[94:95] op_sel_hi:[1,0,1]
	v_mov_b32_e32 v99, v93
	v_pk_add_f32 v[90:91], v[90:91], v[100:101]
	v_pk_mul_f32 v[92:93], v[178:179], v[92:93] op_sel_hi:[1,0]
	v_pk_fma_f32 v[94:95], v[142:143], v[126:127], v[94:95] neg_lo:[0,0,1] neg_hi:[0,0,1]
	v_mov_b32_e32 v95, v97
	s_delay_alu instid0(VALU_DEP_4) | instskip(NEXT) | instid1(VALU_DEP_4)
	v_pk_add_f32 v[90:91], v[90:91], v[98:99]
	v_pk_fma_f32 v[96:97], v[144:145], v[128:129], v[92:93] op_sel_hi:[1,0,1]
	v_pk_fma_f32 v[92:93], v[144:145], v[128:129], v[92:93] neg_lo:[0,0,1] neg_hi:[0,0,1]
	s_delay_alu instid0(VALU_DEP_3) | instskip(NEXT) | instid1(VALU_DEP_3)
	v_pk_add_f32 v[90:91], v[90:91], v[94:95]
	v_mov_b32_e32 v93, v97
	s_delay_alu instid0(VALU_DEP_1) | instskip(SKIP_1) | instid1(VALU_DEP_1)
	v_pk_add_f32 v[90:91], v[90:91], v[92:93]
	s_wait_loadcnt 0x0
	v_pk_add_f32 v[90:91], v[170:171], v[90:91] neg_lo:[0,1] neg_hi:[0,1]
	scratch_store_b64 off, v[90:91], off offset:184
	s_wait_xcnt 0x0
	v_cmpx_lt_u32_e32 22, v0
	s_cbranch_execz .LBB107_233
; %bb.232:
	scratch_load_b64 v[90:91], off, off offset:176
	v_mov_b64_e32 v[92:93], 0
	scratch_store_b64 off, v[92:93], off offset:176
	s_wait_loadcnt 0x0
	ds_store_b64 v1, v[90:91]
.LBB107_233:
	s_wait_xcnt 0x0
	s_or_b32 exec_lo, exec_lo, s0
	s_wait_storecnt_dscnt 0x0
	s_barrier_signal -1
	s_barrier_wait -1
	s_clause 0xb
	scratch_load_b128 v[90:93], off, off offset:184
	scratch_load_b128 v[94:97], off, off offset:200
	scratch_load_b128 v[98:101], off, off offset:216
	scratch_load_b128 v[102:105], off, off offset:232
	scratch_load_b128 v[106:109], off, off offset:248
	scratch_load_b128 v[110:113], off, off offset:264
	scratch_load_b128 v[114:117], off, off offset:280
	scratch_load_b128 v[118:121], off, off offset:296
	scratch_load_b128 v[122:125], off, off offset:312
	scratch_load_b128 v[126:129], off, off offset:328
	scratch_load_b64 v[170:171], off, off offset:344
	scratch_load_b64 v[172:173], off, off offset:176
	v_mov_b32_e32 v7, 0
	ds_load_2addr_b64 v[130:133], v7 offset0:79 offset1:80
	ds_load_2addr_b64 v[134:137], v7 offset0:81 offset1:82
	;; [unrolled: 1-line block ×10, first 2 shown]
	ds_load_b64 v[174:175], v7 offset:696
	s_mov_b32 s0, exec_lo
	s_wait_dscnt 0xa
	v_dual_mov_b32 v176, v133 :: v_dual_mov_b32 v177, v132
	s_wait_dscnt 0x7
	v_dual_mov_b32 v178, v137 :: v_dual_mov_b32 v183, v144
	v_dual_mov_b32 v179, v136 :: v_dual_mov_b32 v180, v141
	;; [unrolled: 1-line block ×3, first 2 shown]
	s_wait_loadcnt_dscnt 0xb06
	v_dual_mul_f32 v9, v146, v91 :: v_dual_mul_f32 v31, v147, v91
	v_dual_mul_f32 v33, v149, v93 :: v_dual_mul_f32 v11, v148, v93
	s_wait_loadcnt_dscnt 0xa05
	v_mul_f32_e32 v13, v150, v95
	s_wait_loadcnt_dscnt 0x803
	v_dual_mul_f32 v43, v159, v103 :: v_dual_fma_f32 v31, v146, v90, -v31
	v_dual_fmac_f32 v9, v147, v90 :: v_dual_mul_f32 v45, v161, v105
	v_dual_mul_f32 v35, v151, v95 :: v_dual_mul_f32 v37, v153, v97
	v_dual_fmac_f32 v11, v149, v92 :: v_dual_fma_f32 v33, v148, v92, -v33
	s_delay_alu instid0(VALU_DEP_3) | instskip(SKIP_3) | instid1(VALU_DEP_3)
	v_dual_add_f32 v9, 0, v9 :: v_dual_add_f32 v31, 0, v31
	v_dual_mul_f32 v15, v152, v97 :: v_dual_mul_f32 v17, v154, v99
	s_wait_loadcnt_dscnt 0x702
	v_dual_mul_f32 v47, v163, v107 :: v_dual_fma_f32 v35, v150, v94, -v35
	v_dual_fmac_f32 v13, v151, v94 :: v_dual_add_f32 v9, v9, v11
	s_delay_alu instid0(VALU_DEP_3) | instskip(SKIP_2) | instid1(VALU_DEP_3)
	v_dual_add_f32 v11, v31, v33 :: v_dual_fmac_f32 v15, v153, v96
	v_dual_mul_f32 v39, v155, v99 :: v_dual_mul_f32 v41, v157, v101
	v_dual_mul_f32 v31, v165, v109 :: v_dual_fma_f32 v33, v152, v96, -v37
	v_dual_add_f32 v9, v9, v13 :: v_dual_add_f32 v11, v11, v35
	v_dual_mul_f32 v19, v156, v101 :: v_dual_mul_f32 v21, v158, v103
	s_wait_loadcnt_dscnt 0x601
	v_dual_mul_f32 v13, v167, v111 :: v_dual_fma_f32 v35, v154, v98, -v39
	s_delay_alu instid0(VALU_DEP_3) | instskip(NEXT) | instid1(VALU_DEP_3)
	v_dual_fmac_f32 v17, v155, v98 :: v_dual_add_f32 v9, v9, v15
	v_dual_add_f32 v11, v11, v33 :: v_dual_fmac_f32 v19, v157, v100
	v_dual_mul_f32 v15, v169, v113 :: v_dual_fma_f32 v33, v156, v100, -v41
	s_delay_alu instid0(VALU_DEP_2) | instskip(SKIP_3) | instid1(VALU_DEP_3)
	v_dual_add_f32 v9, v9, v17 :: v_dual_add_f32 v11, v11, v35
	v_dual_mul_f32 v23, v160, v105 :: v_dual_mul_f32 v25, v162, v107
	s_wait_loadcnt 0x5
	v_dual_mul_f32 v17, v131, v115 :: v_dual_fma_f32 v35, v158, v102, -v43
	v_dual_fmac_f32 v21, v159, v102 :: v_dual_add_f32 v9, v9, v19
	v_dual_add_f32 v11, v11, v33 :: v_dual_mov_b32 v90, v117
	v_dual_fmac_f32 v23, v161, v104 :: v_dual_fma_f32 v19, v160, v104, -v45
	s_delay_alu instid0(VALU_DEP_2) | instskip(SKIP_2) | instid1(VALU_DEP_3)
	v_dual_add_f32 v9, v9, v21 :: v_dual_add_f32 v11, v11, v35
	v_dual_mul_f32 v27, v164, v109 :: v_dual_mul_f32 v29, v166, v111
	v_dual_fmac_f32 v25, v163, v106 :: v_dual_fma_f32 v21, v162, v106, -v47
	v_add_f32_e32 v9, v9, v23
	s_wait_loadcnt 0x4
	v_dual_add_f32 v11, v11, v19 :: v_dual_mov_b32 v94, v121
	v_fmac_f32_e32 v27, v165, v108
	s_delay_alu instid0(VALU_DEP_3) | instskip(SKIP_1) | instid1(VALU_DEP_4)
	v_dual_fma_f32 v19, v164, v108, -v31 :: v_dual_add_f32 v9, v9, v25
	v_fmac_f32_e32 v29, v167, v110
	v_add_f32_e32 v11, v11, v21
	v_dual_mul_f32 v185, v168, v113 :: v_dual_mul_f32 v187, v130, v115
	s_delay_alu instid0(VALU_DEP_4) | instskip(NEXT) | instid1(VALU_DEP_2)
	v_dual_fma_f32 v13, v166, v110, -v13 :: v_dual_add_f32 v9, v9, v27
	v_dual_add_f32 v11, v11, v19 :: v_dual_fmac_f32 v185, v169, v112
	v_fma_f32 v184, v168, v112, -v15
	v_pk_mul_f32 v[90:91], v[176:177], v[90:91] op_sel_hi:[1,0]
	s_delay_alu instid0(VALU_DEP_4)
	v_add_f32_e32 v99, v9, v29
	s_wait_loadcnt 0x3
	v_dual_add_f32 v98, v11, v13 :: v_dual_mov_b32 v100, v125
	v_pk_mul_f32 v[92:93], v[134:135], v[118:119] op_sel:[1,1] op_sel_hi:[0,1]
	v_dual_fmac_f32 v187, v131, v114 :: v_dual_fma_f32 v186, v130, v114, -v17
	v_pk_fma_f32 v[102:103], v[132:133], v[116:117], v[90:91] op_sel_hi:[1,0,1]
	s_delay_alu instid0(VALU_DEP_4)
	v_pk_add_f32 v[98:99], v[98:99], v[184:185]
	v_pk_fma_f32 v[90:91], v[132:133], v[116:117], v[90:91] neg_lo:[0,0,1] neg_hi:[0,0,1]
	v_pk_fma_f32 v[104:105], v[134:135], v[118:119], v[92:93] op_sel_hi:[1,0,1]
	v_pk_mul_f32 v[94:95], v[178:179], v[94:95] op_sel_hi:[1,0]
	v_mov_b32_e32 v91, v103
	v_pk_add_f32 v[98:99], v[98:99], v[186:187]
	v_pk_fma_f32 v[92:93], v[134:135], v[118:119], v[92:93] neg_lo:[0,0,1] neg_hi:[0,0,1]
	v_pk_mul_f32 v[96:97], v[138:139], v[122:123] op_sel:[1,1] op_sel_hi:[0,1]
	v_mov_b32_e32 v93, v105
	v_pk_fma_f32 v[104:105], v[136:137], v[120:121], v[94:95] op_sel_hi:[1,0,1]
	v_pk_add_f32 v[90:91], v[98:99], v[90:91]
	v_pk_fma_f32 v[94:95], v[136:137], v[120:121], v[94:95] neg_lo:[0,0,1] neg_hi:[0,0,1]
	v_pk_fma_f32 v[98:99], v[138:139], v[122:123], v[96:97] op_sel_hi:[1,0,1]
	v_pk_mul_f32 v[100:101], v[180:181], v[100:101] op_sel_hi:[1,0]
	v_mov_b32_e32 v95, v105
	v_pk_add_f32 v[90:91], v[90:91], v[92:93]
	v_pk_fma_f32 v[96:97], v[138:139], v[122:123], v[96:97] neg_lo:[0,0,1] neg_hi:[0,0,1]
	s_wait_loadcnt 0x2
	v_pk_mul_f32 v[102:103], v[142:143], v[126:127] op_sel:[1,1] op_sel_hi:[0,1]
	v_dual_mov_b32 v92, v129 :: v_dual_mov_b32 v97, v99
	v_pk_fma_f32 v[98:99], v[140:141], v[124:125], v[100:101] op_sel_hi:[1,0,1]
	v_pk_add_f32 v[90:91], v[90:91], v[94:95]
	v_pk_fma_f32 v[100:101], v[140:141], v[124:125], v[100:101] neg_lo:[0,0,1] neg_hi:[0,0,1]
	v_pk_fma_f32 v[94:95], v[142:143], v[126:127], v[102:103] op_sel_hi:[1,0,1]
	v_pk_mul_f32 v[92:93], v[182:183], v[92:93] op_sel_hi:[1,0]
	v_mov_b32_e32 v101, v99
	v_pk_add_f32 v[90:91], v[90:91], v[96:97]
	v_pk_fma_f32 v[96:97], v[142:143], v[126:127], v[102:103] neg_lo:[0,0,1] neg_hi:[0,0,1]
	v_mov_b32_e32 v97, v95
	v_pk_fma_f32 v[94:95], v[144:145], v[128:129], v[92:93] op_sel_hi:[1,0,1]
	s_wait_loadcnt_dscnt 0x100
	v_pk_mul_f32 v[98:99], v[174:175], v[170:171] op_sel:[1,1] op_sel_hi:[0,1]
	v_pk_add_f32 v[90:91], v[90:91], v[100:101]
	v_pk_fma_f32 v[92:93], v[144:145], v[128:129], v[92:93] neg_lo:[0,0,1] neg_hi:[0,0,1]
	v_mov_b32_e32 v93, v95
	s_delay_alu instid0(VALU_DEP_4) | instskip(NEXT) | instid1(VALU_DEP_4)
	v_pk_fma_f32 v[94:95], v[174:175], v[170:171], v[98:99] op_sel_hi:[1,0,1]
	v_pk_add_f32 v[90:91], v[90:91], v[96:97]
	v_pk_fma_f32 v[96:97], v[174:175], v[170:171], v[98:99] neg_lo:[0,0,1] neg_hi:[0,0,1]
	s_delay_alu instid0(VALU_DEP_3) | instskip(NEXT) | instid1(VALU_DEP_3)
	v_mov_b32_e32 v97, v95
	v_pk_add_f32 v[90:91], v[90:91], v[92:93]
	s_delay_alu instid0(VALU_DEP_1) | instskip(SKIP_1) | instid1(VALU_DEP_1)
	v_pk_add_f32 v[90:91], v[90:91], v[96:97]
	s_wait_loadcnt 0x0
	v_pk_add_f32 v[90:91], v[172:173], v[90:91] neg_lo:[0,1] neg_hi:[0,1]
	scratch_store_b64 off, v[90:91], off offset:176
	s_wait_xcnt 0x0
	v_cmpx_lt_u32_e32 21, v0
	s_cbranch_execz .LBB107_235
; %bb.234:
	scratch_load_b64 v[90:91], off, off offset:168
	v_mov_b64_e32 v[92:93], 0
	scratch_store_b64 off, v[92:93], off offset:168
	s_wait_loadcnt 0x0
	ds_store_b64 v1, v[90:91]
.LBB107_235:
	s_wait_xcnt 0x0
	s_or_b32 exec_lo, exec_lo, s0
	s_wait_storecnt_dscnt 0x0
	s_barrier_signal -1
	s_barrier_wait -1
	s_clause 0xb
	scratch_load_b128 v[90:93], off, off offset:176
	scratch_load_b128 v[94:97], off, off offset:192
	;; [unrolled: 1-line block ×11, first 2 shown]
	scratch_load_b64 v[178:179], off, off offset:168
	ds_load_b128 v[134:137], v7 offset:640
	ds_load_b128 v[138:141], v7 offset:656
	;; [unrolled: 1-line block ×11, first 2 shown]
	s_mov_b32 s0, exec_lo
	s_wait_dscnt 0xa
	v_dual_mov_b32 v180, v137 :: v_dual_mov_b32 v181, v136
	s_wait_dscnt 0x9
	v_dual_mov_b32 v182, v141 :: v_dual_mov_b32 v183, v140
	;; [unrolled: 2-line block ×4, first 2 shown]
	s_wait_loadcnt_dscnt 0xb06
	v_dual_mul_f32 v7, v150, v91 :: v_dual_mul_f32 v9, v152, v93
	v_dual_mul_f32 v31, v151, v91 :: v_dual_mul_f32 v33, v153, v93
	s_wait_loadcnt_dscnt 0xa05
	v_dual_mul_f32 v11, v154, v95 :: v_dual_mul_f32 v13, v156, v97
	s_delay_alu instid0(VALU_DEP_3) | instskip(SKIP_3) | instid1(VALU_DEP_3)
	v_dual_fmac_f32 v7, v151, v90 :: v_dual_fmac_f32 v9, v153, v92
	s_wait_loadcnt_dscnt 0x803
	v_dual_fma_f32 v31, v150, v90, -v31 :: v_dual_mul_f32 v43, v163, v103
	v_dual_mul_f32 v35, v155, v95 :: v_dual_mul_f32 v37, v157, v97
	v_dual_fma_f32 v33, v152, v92, -v33 :: v_dual_add_f32 v7, 0, v7
	s_delay_alu instid0(VALU_DEP_3) | instskip(SKIP_1) | instid1(VALU_DEP_3)
	v_dual_add_f32 v31, 0, v31 :: v_dual_mul_f32 v45, v165, v105
	v_dual_fmac_f32 v11, v155, v94 :: v_dual_fmac_f32 v13, v157, v96
	v_dual_fma_f32 v35, v154, v94, -v35 :: v_dual_add_f32 v7, v7, v9
	s_delay_alu instid0(VALU_DEP_3) | instskip(SKIP_2) | instid1(VALU_DEP_4)
	v_dual_add_f32 v9, v31, v33 :: v_dual_fma_f32 v33, v156, v96, -v37
	v_dual_mul_f32 v15, v158, v99 :: v_dual_mul_f32 v17, v160, v101
	v_dual_mul_f32 v39, v159, v99 :: v_dual_mul_f32 v41, v161, v101
	v_add_f32_e32 v7, v7, v11
	s_delay_alu instid0(VALU_DEP_3) | instskip(NEXT) | instid1(VALU_DEP_3)
	v_dual_add_f32 v9, v9, v35 :: v_dual_fmac_f32 v15, v159, v98
	v_fma_f32 v35, v158, v98, -v39
	v_dual_mul_f32 v19, v162, v103 :: v_dual_mul_f32 v21, v164, v105
	s_delay_alu instid0(VALU_DEP_4) | instskip(SKIP_2) | instid1(VALU_DEP_2)
	v_dual_add_f32 v7, v7, v13 :: v_dual_fmac_f32 v17, v161, v100
	s_wait_loadcnt_dscnt 0x601
	v_dual_add_f32 v9, v9, v33 :: v_dual_mul_f32 v13, v171, v111
	v_dual_fma_f32 v33, v160, v100, -v41 :: v_dual_add_f32 v7, v7, v15
	v_mul_f32_e32 v15, v173, v113
	s_delay_alu instid0(VALU_DEP_3) | instskip(NEXT) | instid1(VALU_DEP_3)
	v_dual_add_f32 v9, v9, v35 :: v_dual_fmac_f32 v19, v163, v102
	v_dual_fma_f32 v35, v162, v102, -v43 :: v_dual_add_f32 v7, v7, v17
	v_fmac_f32_e32 v21, v165, v104
	s_wait_loadcnt_dscnt 0x500
	s_delay_alu instid0(VALU_DEP_3) | instskip(SKIP_3) | instid1(VALU_DEP_3)
	v_dual_add_f32 v9, v9, v33 :: v_dual_mul_f32 v17, v175, v115
	v_dual_mul_f32 v23, v166, v107 :: v_dual_mul_f32 v25, v168, v109
	v_dual_mul_f32 v31, v167, v107 :: v_dual_mul_f32 v11, v169, v109
	v_dual_fma_f32 v33, v164, v104, -v45 :: v_dual_add_f32 v7, v7, v19
	v_dual_add_f32 v9, v9, v35 :: v_dual_fmac_f32 v23, v167, v106
	s_delay_alu instid0(VALU_DEP_3) | instskip(NEXT) | instid1(VALU_DEP_3)
	v_dual_mul_f32 v19, v177, v117 :: v_dual_fma_f32 v31, v166, v106, -v31
	v_dual_add_f32 v7, v7, v21 :: v_dual_fmac_f32 v25, v169, v108
	s_delay_alu instid0(VALU_DEP_3) | instskip(SKIP_2) | instid1(VALU_DEP_3)
	v_dual_add_f32 v9, v9, v33 :: v_dual_fma_f32 v11, v168, v108, -v11
	v_dual_mul_f32 v27, v170, v111 :: v_dual_mul_f32 v29, v172, v113
	s_wait_loadcnt 0x4
	v_dual_add_f32 v7, v7, v23 :: v_dual_mov_b32 v92, v121
	s_delay_alu instid0(VALU_DEP_2) | instskip(NEXT) | instid1(VALU_DEP_2)
	v_dual_add_f32 v9, v9, v31 :: v_dual_fmac_f32 v27, v171, v110
	v_dual_fma_f32 v13, v170, v110, -v13 :: v_dual_add_f32 v7, v7, v25
	v_dual_mul_f32 v189, v174, v115 :: v_dual_mul_f32 v191, v176, v117
	s_delay_alu instid0(VALU_DEP_3) | instskip(NEXT) | instid1(VALU_DEP_3)
	v_dual_add_f32 v9, v9, v11 :: v_dual_fma_f32 v11, v172, v112, -v15
	v_dual_fmac_f32 v29, v173, v112 :: v_dual_add_f32 v7, v7, v27
	v_pk_mul_f32 v[90:91], v[134:135], v[118:119] op_sel:[1,1] op_sel_hi:[0,1]
	s_delay_alu instid0(VALU_DEP_3) | instskip(SKIP_2) | instid1(VALU_DEP_2)
	v_dual_add_f32 v9, v9, v13 :: v_dual_fmac_f32 v189, v175, v114
	s_wait_loadcnt 0x3
	v_dual_mov_b32 v96, v125 :: v_dual_fma_f32 v188, v174, v114, -v17
	v_dual_add_f32 v99, v7, v29 :: v_dual_add_f32 v98, v9, v11
	v_fmac_f32_e32 v191, v177, v116
	v_pk_fma_f32 v[100:101], v[134:135], v[118:119], v[90:91] op_sel_hi:[1,0,1]
	v_fma_f32 v190, v176, v116, -v19
	v_pk_mul_f32 v[92:93], v[180:181], v[92:93] op_sel_hi:[1,0]
	v_pk_add_f32 v[98:99], v[98:99], v[188:189]
	v_pk_fma_f32 v[90:91], v[134:135], v[118:119], v[90:91] neg_lo:[0,0,1] neg_hi:[0,0,1]
	v_pk_mul_f32 v[94:95], v[138:139], v[122:123] op_sel:[1,1] op_sel_hi:[0,1]
	v_mov_b32_e32 v91, v101
	v_pk_fma_f32 v[100:101], v[136:137], v[120:121], v[92:93] op_sel_hi:[1,0,1]
	v_pk_add_f32 v[98:99], v[98:99], v[190:191]
	v_pk_fma_f32 v[92:93], v[136:137], v[120:121], v[92:93] neg_lo:[0,0,1] neg_hi:[0,0,1]
	v_pk_fma_f32 v[104:105], v[138:139], v[122:123], v[94:95] op_sel_hi:[1,0,1]
	v_pk_mul_f32 v[96:97], v[182:183], v[96:97] op_sel_hi:[1,0]
	v_mov_b32_e32 v93, v101
	v_pk_add_f32 v[90:91], v[98:99], v[90:91]
	s_wait_loadcnt 0x2
	v_pk_mul_f32 v[102:103], v[142:143], v[126:127] op_sel:[1,1] op_sel_hi:[0,1]
	v_mov_b32_e32 v98, v129
	v_pk_fma_f32 v[94:95], v[138:139], v[122:123], v[94:95] neg_lo:[0,0,1] neg_hi:[0,0,1]
	v_pk_fma_f32 v[100:101], v[140:141], v[124:125], v[96:97] op_sel_hi:[1,0,1]
	v_mov_b32_e32 v95, v105
	v_pk_add_f32 v[90:91], v[90:91], v[92:93]
	v_pk_fma_f32 v[92:93], v[142:143], v[126:127], v[102:103] op_sel_hi:[1,0,1]
	v_pk_mul_f32 v[98:99], v[184:185], v[98:99] op_sel_hi:[1,0]
	v_pk_fma_f32 v[96:97], v[140:141], v[124:125], v[96:97] neg_lo:[0,0,1] neg_hi:[0,0,1]
	v_mov_b32_e32 v97, v101
	v_pk_add_f32 v[90:91], v[90:91], v[94:95]
	v_pk_fma_f32 v[100:101], v[142:143], v[126:127], v[102:103] neg_lo:[0,0,1] neg_hi:[0,0,1]
	v_mov_b32_e32 v101, v93
	v_pk_fma_f32 v[92:93], v[144:145], v[128:129], v[98:99] op_sel_hi:[1,0,1]
	s_wait_loadcnt 0x1
	v_pk_mul_f32 v[94:95], v[146:147], v[130:131] op_sel:[1,1] op_sel_hi:[0,1]
	v_pk_add_f32 v[90:91], v[90:91], v[96:97]
	v_mov_b32_e32 v92, v133
	v_pk_fma_f32 v[98:99], v[144:145], v[128:129], v[98:99] neg_lo:[0,0,1] neg_hi:[0,0,1]
	s_delay_alu instid0(VALU_DEP_4)
	v_pk_fma_f32 v[96:97], v[146:147], v[130:131], v[94:95] op_sel_hi:[1,0,1]
	v_mov_b32_e32 v99, v93
	v_pk_add_f32 v[90:91], v[90:91], v[100:101]
	v_pk_mul_f32 v[92:93], v[186:187], v[92:93] op_sel_hi:[1,0]
	v_pk_fma_f32 v[94:95], v[146:147], v[130:131], v[94:95] neg_lo:[0,0,1] neg_hi:[0,0,1]
	v_mov_b32_e32 v95, v97
	s_delay_alu instid0(VALU_DEP_4) | instskip(NEXT) | instid1(VALU_DEP_4)
	v_pk_add_f32 v[90:91], v[90:91], v[98:99]
	v_pk_fma_f32 v[96:97], v[148:149], v[132:133], v[92:93] op_sel_hi:[1,0,1]
	v_pk_fma_f32 v[92:93], v[148:149], v[132:133], v[92:93] neg_lo:[0,0,1] neg_hi:[0,0,1]
	s_delay_alu instid0(VALU_DEP_3) | instskip(NEXT) | instid1(VALU_DEP_3)
	v_pk_add_f32 v[90:91], v[90:91], v[94:95]
	v_mov_b32_e32 v93, v97
	s_delay_alu instid0(VALU_DEP_1) | instskip(SKIP_1) | instid1(VALU_DEP_1)
	v_pk_add_f32 v[90:91], v[90:91], v[92:93]
	s_wait_loadcnt 0x0
	v_pk_add_f32 v[90:91], v[178:179], v[90:91] neg_lo:[0,1] neg_hi:[0,1]
	scratch_store_b64 off, v[90:91], off offset:168
	s_wait_xcnt 0x0
	v_cmpx_lt_u32_e32 20, v0
	s_cbranch_execz .LBB107_237
; %bb.236:
	scratch_load_b64 v[90:91], off, off offset:160
	v_mov_b64_e32 v[92:93], 0
	scratch_store_b64 off, v[92:93], off offset:160
	s_wait_loadcnt 0x0
	ds_store_b64 v1, v[90:91]
.LBB107_237:
	s_wait_xcnt 0x0
	s_or_b32 exec_lo, exec_lo, s0
	s_wait_storecnt_dscnt 0x0
	s_barrier_signal -1
	s_barrier_wait -1
	s_clause 0xc
	scratch_load_b128 v[90:93], off, off offset:168
	scratch_load_b128 v[94:97], off, off offset:184
	;; [unrolled: 1-line block ×11, first 2 shown]
	scratch_load_b64 v[178:179], off, off offset:344
	scratch_load_b64 v[180:181], off, off offset:160
	v_mov_b32_e32 v7, 0
	ds_load_2addr_b64 v[134:137], v7 offset0:79 offset1:80
	ds_load_2addr_b64 v[138:141], v7 offset0:81 offset1:82
	;; [unrolled: 1-line block ×11, first 2 shown]
	ds_load_b64 v[182:183], v7 offset:696
	s_mov_b32 s0, exec_lo
	s_wait_dscnt 0xb
	v_dual_mov_b32 v184, v137 :: v_dual_mov_b32 v185, v136
	s_wait_dscnt 0x8
	v_dual_mov_b32 v186, v141 :: v_dual_mov_b32 v191, v148
	v_dual_mov_b32 v187, v140 :: v_dual_mov_b32 v188, v145
	;; [unrolled: 1-line block ×3, first 2 shown]
	s_wait_loadcnt_dscnt 0xc07
	v_dual_mul_f32 v9, v150, v91 :: v_dual_mul_f32 v35, v151, v91
	v_dual_mul_f32 v37, v153, v93 :: v_dual_mul_f32 v11, v152, v93
	s_wait_loadcnt_dscnt 0xb06
	v_mul_f32_e32 v13, v154, v95
	s_wait_loadcnt_dscnt 0x904
	v_dual_mul_f32 v47, v163, v103 :: v_dual_fma_f32 v35, v150, v90, -v35
	v_dual_fmac_f32 v9, v151, v90 :: v_dual_mul_f32 v49, v165, v105
	v_dual_mul_f32 v39, v155, v95 :: v_dual_mul_f32 v41, v157, v97
	v_dual_fmac_f32 v11, v153, v92 :: v_dual_fma_f32 v37, v152, v92, -v37
	s_delay_alu instid0(VALU_DEP_3) | instskip(SKIP_3) | instid1(VALU_DEP_3)
	v_dual_add_f32 v9, 0, v9 :: v_dual_add_f32 v35, 0, v35
	v_dual_mul_f32 v15, v156, v97 :: v_dual_mul_f32 v17, v158, v99
	s_wait_loadcnt_dscnt 0x803
	v_dual_mul_f32 v51, v167, v107 :: v_dual_fma_f32 v39, v154, v94, -v39
	v_dual_fmac_f32 v13, v155, v94 :: v_dual_add_f32 v9, v9, v11
	s_delay_alu instid0(VALU_DEP_3) | instskip(SKIP_2) | instid1(VALU_DEP_3)
	v_dual_add_f32 v11, v35, v37 :: v_dual_fmac_f32 v15, v157, v96
	v_dual_mul_f32 v43, v159, v99 :: v_dual_mul_f32 v45, v161, v101
	v_dual_mul_f32 v35, v169, v109 :: v_dual_fma_f32 v37, v156, v96, -v41
	v_dual_add_f32 v9, v9, v13 :: v_dual_add_f32 v11, v11, v39
	v_dual_mul_f32 v19, v160, v101 :: v_dual_mul_f32 v21, v162, v103
	s_wait_loadcnt_dscnt 0x701
	v_dual_mul_f32 v13, v175, v111 :: v_dual_fma_f32 v39, v158, v98, -v43
	s_delay_alu instid0(VALU_DEP_3) | instskip(NEXT) | instid1(VALU_DEP_3)
	v_dual_fmac_f32 v17, v159, v98 :: v_dual_add_f32 v9, v9, v15
	v_dual_add_f32 v11, v11, v37 :: v_dual_fmac_f32 v19, v161, v100
	v_dual_mul_f32 v15, v177, v113 :: v_dual_fma_f32 v37, v160, v100, -v45
	s_delay_alu instid0(VALU_DEP_2) | instskip(SKIP_3) | instid1(VALU_DEP_3)
	v_dual_add_f32 v9, v9, v17 :: v_dual_add_f32 v11, v11, v39
	v_dual_mul_f32 v23, v164, v105 :: v_dual_mul_f32 v25, v166, v107
	s_wait_loadcnt 0x6
	v_dual_mul_f32 v17, v171, v115 :: v_dual_fma_f32 v39, v162, v102, -v47
	v_dual_fmac_f32 v21, v163, v102 :: v_dual_add_f32 v9, v9, v19
	s_delay_alu instid0(VALU_DEP_3) | instskip(SKIP_1) | instid1(VALU_DEP_2)
	v_dual_add_f32 v11, v11, v37 :: v_dual_fmac_f32 v23, v165, v104
	v_dual_mul_f32 v19, v173, v117 :: v_dual_fma_f32 v37, v164, v104, -v49
	v_dual_add_f32 v9, v9, v21 :: v_dual_add_f32 v11, v11, v39
	v_dual_mul_f32 v27, v168, v109 :: v_dual_mul_f32 v29, v174, v111
	s_wait_loadcnt 0x5
	v_dual_mul_f32 v21, v135, v119 :: v_dual_fma_f32 v39, v166, v106, -v51
	s_delay_alu instid0(VALU_DEP_3) | instskip(SKIP_2) | instid1(VALU_DEP_3)
	v_dual_fmac_f32 v25, v167, v106 :: v_dual_add_f32 v9, v9, v23
	v_dual_add_f32 v11, v11, v37 :: v_dual_mov_b32 v90, v121
	v_fmac_f32_e32 v27, v169, v108
	v_dual_fma_f32 v23, v168, v108, -v35 :: v_dual_add_f32 v9, v9, v25
	s_delay_alu instid0(VALU_DEP_3) | instskip(SKIP_1) | instid1(VALU_DEP_3)
	v_dual_add_f32 v11, v11, v39 :: v_dual_mul_f32 v31, v176, v113
	v_dual_mul_f32 v33, v170, v115 :: v_dual_fmac_f32 v29, v175, v110
	v_dual_add_f32 v9, v9, v27 :: v_dual_fma_f32 v13, v174, v110, -v13
	s_wait_loadcnt 0x4
	s_delay_alu instid0(VALU_DEP_3) | instskip(SKIP_3) | instid1(VALU_DEP_4)
	v_dual_add_f32 v11, v11, v23 :: v_dual_mov_b32 v94, v125
	v_fma_f32 v15, v176, v112, -v15
	v_fmac_f32_e32 v31, v177, v112
	v_dual_add_f32 v9, v9, v29 :: v_dual_fmac_f32 v33, v171, v114
	v_add_f32_e32 v11, v11, v13
	v_dual_mul_f32 v193, v172, v117 :: v_dual_mul_f32 v195, v134, v119
	s_delay_alu instid0(VALU_DEP_3) | instskip(NEXT) | instid1(VALU_DEP_2)
	v_dual_fma_f32 v13, v170, v114, -v17 :: v_dual_add_f32 v9, v9, v31
	v_dual_add_f32 v11, v11, v15 :: v_dual_fmac_f32 v193, v173, v116
	v_fma_f32 v192, v172, v116, -v19
	v_pk_mul_f32 v[90:91], v[184:185], v[90:91] op_sel_hi:[1,0]
	s_delay_alu instid0(VALU_DEP_4)
	v_add_f32_e32 v99, v9, v33
	s_wait_loadcnt 0x3
	v_dual_add_f32 v98, v11, v13 :: v_dual_mov_b32 v100, v129
	v_pk_mul_f32 v[92:93], v[138:139], v[122:123] op_sel:[1,1] op_sel_hi:[0,1]
	v_dual_fmac_f32 v195, v135, v118 :: v_dual_fma_f32 v194, v134, v118, -v21
	v_pk_fma_f32 v[102:103], v[136:137], v[120:121], v[90:91] op_sel_hi:[1,0,1]
	s_delay_alu instid0(VALU_DEP_4)
	v_pk_add_f32 v[98:99], v[98:99], v[192:193]
	v_pk_fma_f32 v[90:91], v[136:137], v[120:121], v[90:91] neg_lo:[0,0,1] neg_hi:[0,0,1]
	v_pk_fma_f32 v[104:105], v[138:139], v[122:123], v[92:93] op_sel_hi:[1,0,1]
	v_pk_mul_f32 v[94:95], v[186:187], v[94:95] op_sel_hi:[1,0]
	v_mov_b32_e32 v91, v103
	v_pk_add_f32 v[98:99], v[98:99], v[194:195]
	v_pk_fma_f32 v[92:93], v[138:139], v[122:123], v[92:93] neg_lo:[0,0,1] neg_hi:[0,0,1]
	v_pk_mul_f32 v[96:97], v[142:143], v[126:127] op_sel:[1,1] op_sel_hi:[0,1]
	v_mov_b32_e32 v93, v105
	v_pk_fma_f32 v[104:105], v[140:141], v[124:125], v[94:95] op_sel_hi:[1,0,1]
	v_pk_add_f32 v[90:91], v[98:99], v[90:91]
	v_pk_fma_f32 v[94:95], v[140:141], v[124:125], v[94:95] neg_lo:[0,0,1] neg_hi:[0,0,1]
	v_pk_fma_f32 v[98:99], v[142:143], v[126:127], v[96:97] op_sel_hi:[1,0,1]
	v_pk_mul_f32 v[100:101], v[188:189], v[100:101] op_sel_hi:[1,0]
	v_mov_b32_e32 v95, v105
	v_pk_add_f32 v[90:91], v[90:91], v[92:93]
	v_pk_fma_f32 v[96:97], v[142:143], v[126:127], v[96:97] neg_lo:[0,0,1] neg_hi:[0,0,1]
	s_wait_loadcnt 0x2
	v_pk_mul_f32 v[102:103], v[146:147], v[130:131] op_sel:[1,1] op_sel_hi:[0,1]
	v_dual_mov_b32 v92, v133 :: v_dual_mov_b32 v97, v99
	v_pk_fma_f32 v[98:99], v[144:145], v[128:129], v[100:101] op_sel_hi:[1,0,1]
	v_pk_add_f32 v[90:91], v[90:91], v[94:95]
	v_pk_fma_f32 v[100:101], v[144:145], v[128:129], v[100:101] neg_lo:[0,0,1] neg_hi:[0,0,1]
	v_pk_fma_f32 v[94:95], v[146:147], v[130:131], v[102:103] op_sel_hi:[1,0,1]
	v_pk_mul_f32 v[92:93], v[190:191], v[92:93] op_sel_hi:[1,0]
	v_mov_b32_e32 v101, v99
	v_pk_add_f32 v[90:91], v[90:91], v[96:97]
	v_pk_fma_f32 v[96:97], v[146:147], v[130:131], v[102:103] neg_lo:[0,0,1] neg_hi:[0,0,1]
	v_mov_b32_e32 v97, v95
	v_pk_fma_f32 v[94:95], v[148:149], v[132:133], v[92:93] op_sel_hi:[1,0,1]
	s_wait_loadcnt_dscnt 0x100
	v_pk_mul_f32 v[98:99], v[182:183], v[178:179] op_sel:[1,1] op_sel_hi:[0,1]
	v_pk_add_f32 v[90:91], v[90:91], v[100:101]
	v_pk_fma_f32 v[92:93], v[148:149], v[132:133], v[92:93] neg_lo:[0,0,1] neg_hi:[0,0,1]
	v_mov_b32_e32 v93, v95
	s_delay_alu instid0(VALU_DEP_4) | instskip(NEXT) | instid1(VALU_DEP_4)
	v_pk_fma_f32 v[94:95], v[182:183], v[178:179], v[98:99] op_sel_hi:[1,0,1]
	v_pk_add_f32 v[90:91], v[90:91], v[96:97]
	v_pk_fma_f32 v[96:97], v[182:183], v[178:179], v[98:99] neg_lo:[0,0,1] neg_hi:[0,0,1]
	s_delay_alu instid0(VALU_DEP_3) | instskip(NEXT) | instid1(VALU_DEP_3)
	v_mov_b32_e32 v97, v95
	v_pk_add_f32 v[90:91], v[90:91], v[92:93]
	s_delay_alu instid0(VALU_DEP_1) | instskip(SKIP_1) | instid1(VALU_DEP_1)
	v_pk_add_f32 v[90:91], v[90:91], v[96:97]
	s_wait_loadcnt 0x0
	v_pk_add_f32 v[90:91], v[180:181], v[90:91] neg_lo:[0,1] neg_hi:[0,1]
	scratch_store_b64 off, v[90:91], off offset:160
	s_wait_xcnt 0x0
	v_cmpx_lt_u32_e32 19, v0
	s_cbranch_execz .LBB107_239
; %bb.238:
	scratch_load_b64 v[90:91], off, off offset:152
	v_mov_b64_e32 v[92:93], 0
	scratch_store_b64 off, v[92:93], off offset:152
	s_wait_loadcnt 0x0
	ds_store_b64 v1, v[90:91]
.LBB107_239:
	s_wait_xcnt 0x0
	s_or_b32 exec_lo, exec_lo, s0
	s_wait_storecnt_dscnt 0x0
	s_barrier_signal -1
	s_barrier_wait -1
	s_clause 0xc
	scratch_load_b128 v[90:93], off, off offset:160
	scratch_load_b128 v[94:97], off, off offset:176
	;; [unrolled: 1-line block ×12, first 2 shown]
	scratch_load_b64 v[186:187], off, off offset:152
	ds_load_b128 v[138:141], v7 offset:640
	ds_load_b128 v[142:145], v7 offset:656
	;; [unrolled: 1-line block ×12, first 2 shown]
	s_mov_b32 s0, exec_lo
	s_wait_dscnt 0xb
	v_dual_mov_b32 v188, v141 :: v_dual_mov_b32 v189, v140
	s_wait_dscnt 0xa
	v_dual_mov_b32 v190, v145 :: v_dual_mov_b32 v191, v144
	s_wait_dscnt 0x9
	v_dual_mov_b32 v192, v149 :: v_dual_mov_b32 v193, v148
	s_wait_dscnt 0x8
	v_dual_mov_b32 v194, v153 :: v_dual_mov_b32 v195, v152
	s_wait_loadcnt_dscnt 0xc07
	v_dual_mul_f32 v7, v154, v91 :: v_dual_mul_f32 v9, v156, v93
	v_dual_mul_f32 v35, v155, v91 :: v_dual_mul_f32 v37, v157, v93
	s_wait_loadcnt_dscnt 0xb06
	v_dual_mul_f32 v11, v158, v95 :: v_dual_mul_f32 v13, v160, v97
	s_delay_alu instid0(VALU_DEP_3) | instskip(SKIP_3) | instid1(VALU_DEP_3)
	v_dual_fmac_f32 v7, v155, v90 :: v_dual_fmac_f32 v9, v157, v92
	s_wait_loadcnt_dscnt 0x904
	v_dual_fma_f32 v35, v154, v90, -v35 :: v_dual_mul_f32 v47, v167, v103
	v_dual_mul_f32 v39, v159, v95 :: v_dual_mul_f32 v41, v161, v97
	v_dual_fma_f32 v37, v156, v92, -v37 :: v_dual_add_f32 v7, 0, v7
	s_delay_alu instid0(VALU_DEP_3) | instskip(SKIP_1) | instid1(VALU_DEP_3)
	v_dual_add_f32 v35, 0, v35 :: v_dual_mul_f32 v49, v169, v105
	v_dual_fmac_f32 v11, v159, v94 :: v_dual_fmac_f32 v13, v161, v96
	v_dual_fma_f32 v39, v158, v94, -v39 :: v_dual_add_f32 v7, v7, v9
	s_delay_alu instid0(VALU_DEP_3) | instskip(SKIP_2) | instid1(VALU_DEP_4)
	v_dual_add_f32 v9, v35, v37 :: v_dual_fma_f32 v37, v160, v96, -v41
	v_dual_mul_f32 v15, v162, v99 :: v_dual_mul_f32 v17, v164, v101
	v_dual_mul_f32 v43, v163, v99 :: v_dual_mul_f32 v45, v165, v101
	v_add_f32_e32 v7, v7, v11
	s_delay_alu instid0(VALU_DEP_3) | instskip(NEXT) | instid1(VALU_DEP_3)
	v_dual_add_f32 v9, v9, v39 :: v_dual_fmac_f32 v15, v163, v98
	v_fma_f32 v39, v162, v98, -v43
	v_dual_mul_f32 v19, v166, v103 :: v_dual_mul_f32 v21, v168, v105
	s_delay_alu instid0(VALU_DEP_4) | instskip(SKIP_2) | instid1(VALU_DEP_2)
	v_dual_add_f32 v7, v7, v13 :: v_dual_fmac_f32 v17, v165, v100
	s_wait_loadcnt_dscnt 0x702
	v_dual_add_f32 v9, v9, v37 :: v_dual_mul_f32 v13, v175, v111
	v_dual_fma_f32 v37, v164, v100, -v45 :: v_dual_add_f32 v7, v7, v15
	v_mul_f32_e32 v15, v177, v113
	s_delay_alu instid0(VALU_DEP_3) | instskip(NEXT) | instid1(VALU_DEP_3)
	v_dual_add_f32 v9, v9, v39 :: v_dual_fmac_f32 v19, v167, v102
	v_dual_fma_f32 v39, v166, v102, -v47 :: v_dual_add_f32 v7, v7, v17
	v_fmac_f32_e32 v21, v169, v104
	s_wait_loadcnt_dscnt 0x601
	s_delay_alu instid0(VALU_DEP_3) | instskip(SKIP_3) | instid1(VALU_DEP_3)
	v_dual_add_f32 v9, v9, v37 :: v_dual_mul_f32 v17, v179, v115
	v_dual_mul_f32 v23, v170, v107 :: v_dual_mul_f32 v25, v172, v109
	v_dual_mul_f32 v35, v171, v107 :: v_dual_mul_f32 v11, v173, v109
	v_dual_fma_f32 v37, v168, v104, -v49 :: v_dual_add_f32 v7, v7, v19
	v_dual_add_f32 v9, v9, v39 :: v_dual_fmac_f32 v23, v171, v106
	s_delay_alu instid0(VALU_DEP_3) | instskip(NEXT) | instid1(VALU_DEP_3)
	v_dual_mul_f32 v19, v181, v117 :: v_dual_fma_f32 v35, v170, v106, -v35
	v_dual_add_f32 v7, v7, v21 :: v_dual_fmac_f32 v25, v173, v108
	s_wait_loadcnt_dscnt 0x500
	s_delay_alu instid0(VALU_DEP_3) | instskip(SKIP_1) | instid1(VALU_DEP_3)
	v_dual_add_f32 v9, v9, v37 :: v_dual_mul_f32 v21, v183, v119
	v_dual_mul_f32 v27, v174, v111 :: v_dual_mul_f32 v29, v176, v113
	v_dual_fma_f32 v11, v172, v108, -v11 :: v_dual_add_f32 v7, v7, v23
	s_delay_alu instid0(VALU_DEP_2) | instskip(SKIP_1) | instid1(VALU_DEP_2)
	v_dual_add_f32 v9, v9, v35 :: v_dual_fmac_f32 v27, v175, v110
	v_dual_mul_f32 v23, v185, v121 :: v_dual_fma_f32 v13, v174, v110, -v13
	v_dual_add_f32 v7, v7, v25 :: v_dual_add_f32 v9, v9, v11
	v_dual_mul_f32 v31, v178, v115 :: v_dual_mul_f32 v33, v180, v117
	v_dual_fmac_f32 v29, v177, v112 :: v_dual_fma_f32 v11, v176, v112, -v15
	s_delay_alu instid0(VALU_DEP_3) | instskip(SKIP_1) | instid1(VALU_DEP_3)
	v_dual_add_f32 v7, v7, v27 :: v_dual_add_f32 v9, v9, v13
	s_wait_loadcnt 0x4
	v_dual_mov_b32 v92, v125 :: v_dual_fmac_f32 v31, v179, v114
	s_delay_alu instid0(VALU_DEP_2) | instskip(NEXT) | instid1(VALU_DEP_3)
	v_dual_fma_f32 v13, v178, v114, -v17 :: v_dual_add_f32 v7, v7, v29
	v_dual_add_f32 v9, v9, v11 :: v_dual_fma_f32 v11, v180, v116, -v19
	v_dual_mul_f32 v197, v182, v119 :: v_dual_mul_f32 v199, v184, v121
	s_delay_alu instid0(VALU_DEP_3) | instskip(NEXT) | instid1(VALU_DEP_2)
	v_dual_fmac_f32 v33, v181, v116 :: v_dual_add_f32 v7, v7, v31
	v_dual_add_f32 v9, v9, v13 :: v_dual_fmac_f32 v197, v183, v118
	v_pk_mul_f32 v[90:91], v[138:139], v[122:123] op_sel:[1,1] op_sel_hi:[0,1]
	s_wait_loadcnt 0x3
	v_dual_mov_b32 v96, v129 :: v_dual_fma_f32 v196, v182, v118, -v21
	s_delay_alu instid0(VALU_DEP_3)
	v_dual_add_f32 v99, v7, v33 :: v_dual_add_f32 v98, v9, v11
	v_fmac_f32_e32 v199, v185, v120
	v_pk_fma_f32 v[100:101], v[138:139], v[122:123], v[90:91] op_sel_hi:[1,0,1]
	v_fma_f32 v198, v184, v120, -v23
	v_pk_mul_f32 v[92:93], v[188:189], v[92:93] op_sel_hi:[1,0]
	v_pk_add_f32 v[98:99], v[98:99], v[196:197]
	v_pk_fma_f32 v[90:91], v[138:139], v[122:123], v[90:91] neg_lo:[0,0,1] neg_hi:[0,0,1]
	v_pk_mul_f32 v[94:95], v[142:143], v[126:127] op_sel:[1,1] op_sel_hi:[0,1]
	v_mov_b32_e32 v91, v101
	v_pk_fma_f32 v[100:101], v[140:141], v[124:125], v[92:93] op_sel_hi:[1,0,1]
	v_pk_add_f32 v[98:99], v[98:99], v[198:199]
	v_pk_fma_f32 v[92:93], v[140:141], v[124:125], v[92:93] neg_lo:[0,0,1] neg_hi:[0,0,1]
	v_pk_fma_f32 v[104:105], v[142:143], v[126:127], v[94:95] op_sel_hi:[1,0,1]
	v_pk_mul_f32 v[96:97], v[190:191], v[96:97] op_sel_hi:[1,0]
	v_mov_b32_e32 v93, v101
	v_pk_add_f32 v[90:91], v[98:99], v[90:91]
	s_wait_loadcnt 0x2
	v_pk_mul_f32 v[102:103], v[146:147], v[130:131] op_sel:[1,1] op_sel_hi:[0,1]
	v_mov_b32_e32 v98, v133
	v_pk_fma_f32 v[94:95], v[142:143], v[126:127], v[94:95] neg_lo:[0,0,1] neg_hi:[0,0,1]
	v_pk_fma_f32 v[100:101], v[144:145], v[128:129], v[96:97] op_sel_hi:[1,0,1]
	v_mov_b32_e32 v95, v105
	v_pk_add_f32 v[90:91], v[90:91], v[92:93]
	v_pk_fma_f32 v[92:93], v[146:147], v[130:131], v[102:103] op_sel_hi:[1,0,1]
	v_pk_mul_f32 v[98:99], v[192:193], v[98:99] op_sel_hi:[1,0]
	v_pk_fma_f32 v[96:97], v[144:145], v[128:129], v[96:97] neg_lo:[0,0,1] neg_hi:[0,0,1]
	v_mov_b32_e32 v97, v101
	v_pk_add_f32 v[90:91], v[90:91], v[94:95]
	v_pk_fma_f32 v[100:101], v[146:147], v[130:131], v[102:103] neg_lo:[0,0,1] neg_hi:[0,0,1]
	v_mov_b32_e32 v101, v93
	v_pk_fma_f32 v[92:93], v[148:149], v[132:133], v[98:99] op_sel_hi:[1,0,1]
	s_wait_loadcnt 0x1
	v_pk_mul_f32 v[94:95], v[150:151], v[134:135] op_sel:[1,1] op_sel_hi:[0,1]
	v_pk_add_f32 v[90:91], v[90:91], v[96:97]
	v_mov_b32_e32 v92, v137
	v_pk_fma_f32 v[98:99], v[148:149], v[132:133], v[98:99] neg_lo:[0,0,1] neg_hi:[0,0,1]
	s_delay_alu instid0(VALU_DEP_4)
	v_pk_fma_f32 v[96:97], v[150:151], v[134:135], v[94:95] op_sel_hi:[1,0,1]
	v_mov_b32_e32 v99, v93
	v_pk_add_f32 v[90:91], v[90:91], v[100:101]
	v_pk_mul_f32 v[92:93], v[194:195], v[92:93] op_sel_hi:[1,0]
	v_pk_fma_f32 v[94:95], v[150:151], v[134:135], v[94:95] neg_lo:[0,0,1] neg_hi:[0,0,1]
	v_mov_b32_e32 v95, v97
	s_delay_alu instid0(VALU_DEP_4) | instskip(NEXT) | instid1(VALU_DEP_4)
	v_pk_add_f32 v[90:91], v[90:91], v[98:99]
	v_pk_fma_f32 v[96:97], v[152:153], v[136:137], v[92:93] op_sel_hi:[1,0,1]
	v_pk_fma_f32 v[92:93], v[152:153], v[136:137], v[92:93] neg_lo:[0,0,1] neg_hi:[0,0,1]
	s_delay_alu instid0(VALU_DEP_3) | instskip(NEXT) | instid1(VALU_DEP_3)
	v_pk_add_f32 v[90:91], v[90:91], v[94:95]
	v_mov_b32_e32 v93, v97
	s_delay_alu instid0(VALU_DEP_1) | instskip(SKIP_1) | instid1(VALU_DEP_1)
	v_pk_add_f32 v[90:91], v[90:91], v[92:93]
	s_wait_loadcnt 0x0
	v_pk_add_f32 v[90:91], v[186:187], v[90:91] neg_lo:[0,1] neg_hi:[0,1]
	scratch_store_b64 off, v[90:91], off offset:152
	s_wait_xcnt 0x0
	v_cmpx_lt_u32_e32 18, v0
	s_cbranch_execz .LBB107_241
; %bb.240:
	scratch_load_b64 v[90:91], off, off offset:144
	v_mov_b64_e32 v[92:93], 0
	scratch_store_b64 off, v[92:93], off offset:144
	s_wait_loadcnt 0x0
	ds_store_b64 v1, v[90:91]
.LBB107_241:
	s_wait_xcnt 0x0
	s_or_b32 exec_lo, exec_lo, s0
	s_wait_storecnt_dscnt 0x0
	s_barrier_signal -1
	s_barrier_wait -1
	s_clause 0xd
	scratch_load_b128 v[90:93], off, off offset:152
	scratch_load_b128 v[94:97], off, off offset:168
	scratch_load_b128 v[98:101], off, off offset:184
	scratch_load_b128 v[102:105], off, off offset:200
	scratch_load_b128 v[106:109], off, off offset:216
	scratch_load_b128 v[110:113], off, off offset:232
	scratch_load_b128 v[114:117], off, off offset:248
	scratch_load_b128 v[118:121], off, off offset:264
	scratch_load_b128 v[122:125], off, off offset:280
	scratch_load_b128 v[126:129], off, off offset:296
	scratch_load_b128 v[130:133], off, off offset:312
	scratch_load_b128 v[134:137], off, off offset:328
	scratch_load_b64 v[186:187], off, off offset:344
	scratch_load_b64 v[188:189], off, off offset:144
	v_mov_b32_e32 v7, 0
	ds_load_2addr_b64 v[138:141], v7 offset0:79 offset1:80
	ds_load_2addr_b64 v[142:145], v7 offset0:81 offset1:82
	ds_load_2addr_b64 v[146:149], v7 offset0:83 offset1:84
	ds_load_2addr_b64 v[150:153], v7 offset0:85 offset1:86
	ds_load_2addr_b64 v[154:157], v7 offset0:63 offset1:64
	ds_load_2addr_b64 v[158:161], v7 offset0:65 offset1:66
	ds_load_2addr_b64 v[162:165], v7 offset0:67 offset1:68
	ds_load_2addr_b64 v[166:169], v7 offset0:69 offset1:70
	ds_load_2addr_b64 v[170:173], v7 offset0:71 offset1:72
	ds_load_2addr_b64 v[174:177], v7 offset0:73 offset1:74
	ds_load_2addr_b64 v[178:181], v7 offset0:75 offset1:76
	ds_load_2addr_b64 v[182:185], v7 offset0:77 offset1:78
	ds_load_b64 v[190:191], v7 offset:696
	s_mov_b32 s0, exec_lo
	s_wait_dscnt 0xc
	v_dual_mov_b32 v192, v141 :: v_dual_mov_b32 v193, v140
	s_wait_dscnt 0x9
	v_dual_mov_b32 v194, v145 :: v_dual_mov_b32 v199, v152
	v_dual_mov_b32 v195, v144 :: v_dual_mov_b32 v196, v149
	;; [unrolled: 1-line block ×3, first 2 shown]
	s_wait_loadcnt_dscnt 0xd08
	v_dual_mul_f32 v9, v154, v91 :: v_dual_mul_f32 v39, v155, v91
	v_dual_mul_f32 v41, v157, v93 :: v_dual_mul_f32 v11, v156, v93
	s_wait_loadcnt_dscnt 0xc07
	v_mul_f32_e32 v13, v158, v95
	s_wait_loadcnt_dscnt 0xa05
	v_dual_mul_f32 v51, v167, v103 :: v_dual_fma_f32 v39, v154, v90, -v39
	v_dual_fmac_f32 v9, v155, v90 :: v_dual_mul_f32 v53, v169, v105
	v_dual_mul_f32 v43, v159, v95 :: v_dual_mul_f32 v45, v161, v97
	v_dual_fmac_f32 v11, v157, v92 :: v_dual_fma_f32 v41, v156, v92, -v41
	s_delay_alu instid0(VALU_DEP_3) | instskip(SKIP_3) | instid1(VALU_DEP_3)
	v_dual_add_f32 v9, 0, v9 :: v_dual_add_f32 v39, 0, v39
	v_dual_mul_f32 v15, v160, v97 :: v_dual_mul_f32 v17, v162, v99
	s_wait_loadcnt_dscnt 0x904
	v_dual_mul_f32 v55, v171, v107 :: v_dual_fma_f32 v43, v158, v94, -v43
	v_dual_fmac_f32 v13, v159, v94 :: v_dual_add_f32 v9, v9, v11
	s_delay_alu instid0(VALU_DEP_3) | instskip(SKIP_2) | instid1(VALU_DEP_3)
	v_dual_add_f32 v11, v39, v41 :: v_dual_fmac_f32 v15, v161, v96
	v_dual_mul_f32 v47, v163, v99 :: v_dual_mul_f32 v49, v165, v101
	v_dual_mul_f32 v39, v173, v109 :: v_dual_fma_f32 v41, v160, v96, -v45
	v_dual_add_f32 v9, v9, v13 :: v_dual_add_f32 v11, v11, v43
	v_dual_mul_f32 v19, v164, v101 :: v_dual_mul_f32 v21, v166, v103
	s_wait_loadcnt_dscnt 0x803
	v_dual_mul_f32 v13, v175, v111 :: v_dual_fma_f32 v43, v162, v98, -v47
	s_delay_alu instid0(VALU_DEP_3) | instskip(NEXT) | instid1(VALU_DEP_3)
	v_dual_fmac_f32 v17, v163, v98 :: v_dual_add_f32 v9, v9, v15
	v_dual_add_f32 v11, v11, v41 :: v_dual_fmac_f32 v19, v165, v100
	v_dual_mul_f32 v15, v177, v113 :: v_dual_fma_f32 v41, v164, v100, -v49
	s_delay_alu instid0(VALU_DEP_2) | instskip(SKIP_3) | instid1(VALU_DEP_3)
	v_dual_add_f32 v9, v9, v17 :: v_dual_add_f32 v11, v11, v43
	v_dual_mul_f32 v23, v168, v105 :: v_dual_mul_f32 v25, v170, v107
	s_wait_loadcnt_dscnt 0x702
	v_dual_mul_f32 v17, v179, v115 :: v_dual_fma_f32 v43, v166, v102, -v51
	v_dual_fmac_f32 v21, v167, v102 :: v_dual_add_f32 v9, v9, v19
	s_delay_alu instid0(VALU_DEP_3) | instskip(SKIP_1) | instid1(VALU_DEP_2)
	v_dual_add_f32 v11, v11, v41 :: v_dual_fmac_f32 v23, v169, v104
	v_dual_mul_f32 v19, v181, v117 :: v_dual_fma_f32 v41, v168, v104, -v53
	v_dual_add_f32 v9, v9, v21 :: v_dual_add_f32 v11, v11, v43
	v_dual_mul_f32 v27, v172, v109 :: v_dual_mul_f32 v29, v174, v111
	s_wait_loadcnt_dscnt 0x601
	v_dual_mul_f32 v21, v183, v119 :: v_dual_fma_f32 v43, v170, v106, -v55
	s_delay_alu instid0(VALU_DEP_3) | instskip(NEXT) | instid1(VALU_DEP_3)
	v_dual_fmac_f32 v25, v171, v106 :: v_dual_add_f32 v9, v9, v23
	v_dual_add_f32 v11, v11, v41 :: v_dual_fmac_f32 v27, v173, v108
	v_dual_mul_f32 v23, v185, v121 :: v_dual_fma_f32 v39, v172, v108, -v39
	s_delay_alu instid0(VALU_DEP_2) | instskip(SKIP_3) | instid1(VALU_DEP_3)
	v_dual_add_f32 v9, v9, v25 :: v_dual_add_f32 v11, v11, v43
	v_dual_mul_f32 v31, v176, v113 :: v_dual_mul_f32 v33, v178, v115
	s_wait_loadcnt 0x5
	v_dual_mul_f32 v25, v139, v123 :: v_dual_fma_f32 v13, v174, v110, -v13
	v_dual_fmac_f32 v29, v175, v110 :: v_dual_add_f32 v9, v9, v27
	v_dual_add_f32 v11, v11, v39 :: v_dual_mov_b32 v90, v125
	v_fmac_f32_e32 v31, v177, v112
	s_delay_alu instid0(VALU_DEP_3) | instskip(NEXT) | instid1(VALU_DEP_3)
	v_dual_fma_f32 v15, v176, v112, -v15 :: v_dual_add_f32 v9, v9, v29
	v_add_f32_e32 v11, v11, v13
	v_dual_mul_f32 v35, v180, v117 :: v_dual_mul_f32 v37, v182, v119
	s_delay_alu instid0(VALU_DEP_3) | instskip(NEXT) | instid1(VALU_DEP_3)
	v_dual_fmac_f32 v33, v179, v114 :: v_dual_add_f32 v9, v9, v31
	v_dual_fma_f32 v13, v178, v114, -v17 :: v_dual_add_f32 v11, v11, v15
	s_wait_loadcnt 0x4
	v_dual_mov_b32 v94, v129 :: v_dual_fma_f32 v15, v180, v116, -v19
	v_fmac_f32_e32 v35, v181, v116
	v_dual_add_f32 v9, v9, v33 :: v_dual_fmac_f32 v37, v183, v118
	v_add_f32_e32 v11, v11, v13
	v_dual_mul_f32 v201, v184, v121 :: v_dual_mul_f32 v203, v138, v123
	s_delay_alu instid0(VALU_DEP_3) | instskip(NEXT) | instid1(VALU_DEP_2)
	v_dual_fma_f32 v13, v182, v118, -v21 :: v_dual_add_f32 v9, v9, v35
	v_dual_add_f32 v11, v11, v15 :: v_dual_fmac_f32 v201, v185, v120
	v_fma_f32 v200, v184, v120, -v23
	v_pk_mul_f32 v[90:91], v[192:193], v[90:91] op_sel_hi:[1,0]
	s_delay_alu instid0(VALU_DEP_4)
	v_add_f32_e32 v99, v9, v37
	s_wait_loadcnt 0x3
	v_dual_add_f32 v98, v11, v13 :: v_dual_mov_b32 v100, v133
	v_pk_mul_f32 v[92:93], v[142:143], v[126:127] op_sel:[1,1] op_sel_hi:[0,1]
	v_dual_fmac_f32 v203, v139, v122 :: v_dual_fma_f32 v202, v138, v122, -v25
	v_pk_fma_f32 v[102:103], v[140:141], v[124:125], v[90:91] op_sel_hi:[1,0,1]
	s_delay_alu instid0(VALU_DEP_4)
	v_pk_add_f32 v[98:99], v[98:99], v[200:201]
	v_pk_fma_f32 v[90:91], v[140:141], v[124:125], v[90:91] neg_lo:[0,0,1] neg_hi:[0,0,1]
	v_pk_fma_f32 v[104:105], v[142:143], v[126:127], v[92:93] op_sel_hi:[1,0,1]
	v_pk_mul_f32 v[94:95], v[194:195], v[94:95] op_sel_hi:[1,0]
	v_mov_b32_e32 v91, v103
	v_pk_add_f32 v[98:99], v[98:99], v[202:203]
	v_pk_fma_f32 v[92:93], v[142:143], v[126:127], v[92:93] neg_lo:[0,0,1] neg_hi:[0,0,1]
	v_pk_mul_f32 v[96:97], v[146:147], v[130:131] op_sel:[1,1] op_sel_hi:[0,1]
	v_mov_b32_e32 v93, v105
	v_pk_fma_f32 v[104:105], v[144:145], v[128:129], v[94:95] op_sel_hi:[1,0,1]
	v_pk_add_f32 v[90:91], v[98:99], v[90:91]
	v_pk_fma_f32 v[94:95], v[144:145], v[128:129], v[94:95] neg_lo:[0,0,1] neg_hi:[0,0,1]
	v_pk_fma_f32 v[98:99], v[146:147], v[130:131], v[96:97] op_sel_hi:[1,0,1]
	v_pk_mul_f32 v[100:101], v[196:197], v[100:101] op_sel_hi:[1,0]
	v_mov_b32_e32 v95, v105
	v_pk_add_f32 v[90:91], v[90:91], v[92:93]
	v_pk_fma_f32 v[96:97], v[146:147], v[130:131], v[96:97] neg_lo:[0,0,1] neg_hi:[0,0,1]
	s_wait_loadcnt 0x2
	v_pk_mul_f32 v[102:103], v[150:151], v[134:135] op_sel:[1,1] op_sel_hi:[0,1]
	v_dual_mov_b32 v92, v137 :: v_dual_mov_b32 v97, v99
	v_pk_fma_f32 v[98:99], v[148:149], v[132:133], v[100:101] op_sel_hi:[1,0,1]
	v_pk_add_f32 v[90:91], v[90:91], v[94:95]
	v_pk_fma_f32 v[100:101], v[148:149], v[132:133], v[100:101] neg_lo:[0,0,1] neg_hi:[0,0,1]
	v_pk_fma_f32 v[94:95], v[150:151], v[134:135], v[102:103] op_sel_hi:[1,0,1]
	v_pk_mul_f32 v[92:93], v[198:199], v[92:93] op_sel_hi:[1,0]
	v_mov_b32_e32 v101, v99
	v_pk_add_f32 v[90:91], v[90:91], v[96:97]
	v_pk_fma_f32 v[96:97], v[150:151], v[134:135], v[102:103] neg_lo:[0,0,1] neg_hi:[0,0,1]
	v_mov_b32_e32 v97, v95
	v_pk_fma_f32 v[94:95], v[152:153], v[136:137], v[92:93] op_sel_hi:[1,0,1]
	s_wait_loadcnt_dscnt 0x100
	v_pk_mul_f32 v[98:99], v[190:191], v[186:187] op_sel:[1,1] op_sel_hi:[0,1]
	v_pk_add_f32 v[90:91], v[90:91], v[100:101]
	v_pk_fma_f32 v[92:93], v[152:153], v[136:137], v[92:93] neg_lo:[0,0,1] neg_hi:[0,0,1]
	v_mov_b32_e32 v93, v95
	s_delay_alu instid0(VALU_DEP_4) | instskip(NEXT) | instid1(VALU_DEP_4)
	v_pk_fma_f32 v[94:95], v[190:191], v[186:187], v[98:99] op_sel_hi:[1,0,1]
	v_pk_add_f32 v[90:91], v[90:91], v[96:97]
	v_pk_fma_f32 v[96:97], v[190:191], v[186:187], v[98:99] neg_lo:[0,0,1] neg_hi:[0,0,1]
	s_delay_alu instid0(VALU_DEP_3) | instskip(NEXT) | instid1(VALU_DEP_3)
	v_mov_b32_e32 v97, v95
	v_pk_add_f32 v[90:91], v[90:91], v[92:93]
	s_delay_alu instid0(VALU_DEP_1) | instskip(SKIP_1) | instid1(VALU_DEP_1)
	v_pk_add_f32 v[90:91], v[90:91], v[96:97]
	s_wait_loadcnt 0x0
	v_pk_add_f32 v[90:91], v[188:189], v[90:91] neg_lo:[0,1] neg_hi:[0,1]
	scratch_store_b64 off, v[90:91], off offset:144
	s_wait_xcnt 0x0
	v_cmpx_lt_u32_e32 17, v0
	s_cbranch_execz .LBB107_243
; %bb.242:
	scratch_load_b64 v[90:91], off, off offset:136
	v_mov_b64_e32 v[92:93], 0
	scratch_store_b64 off, v[92:93], off offset:136
	s_wait_loadcnt 0x0
	ds_store_b64 v1, v[90:91]
.LBB107_243:
	s_wait_xcnt 0x0
	s_or_b32 exec_lo, exec_lo, s0
	s_wait_storecnt_dscnt 0x0
	s_barrier_signal -1
	s_barrier_wait -1
	s_clause 0xd
	scratch_load_b128 v[90:93], off, off offset:144
	scratch_load_b128 v[94:97], off, off offset:160
	;; [unrolled: 1-line block ×13, first 2 shown]
	scratch_load_b64 v[194:195], off, off offset:136
	ds_load_b128 v[142:145], v7 offset:640
	ds_load_b128 v[146:149], v7 offset:656
	;; [unrolled: 1-line block ×13, first 2 shown]
	s_mov_b32 s0, exec_lo
	s_wait_dscnt 0xc
	v_dual_mov_b32 v196, v145 :: v_dual_mov_b32 v197, v144
	s_wait_dscnt 0xb
	v_dual_mov_b32 v198, v149 :: v_dual_mov_b32 v199, v148
	;; [unrolled: 2-line block ×4, first 2 shown]
	s_wait_loadcnt_dscnt 0xd08
	v_dual_mul_f32 v7, v158, v91 :: v_dual_mul_f32 v9, v160, v93
	v_dual_mul_f32 v39, v159, v91 :: v_dual_mul_f32 v41, v161, v93
	s_wait_loadcnt_dscnt 0xc07
	v_dual_mul_f32 v11, v162, v95 :: v_dual_mul_f32 v13, v164, v97
	s_delay_alu instid0(VALU_DEP_3) | instskip(SKIP_3) | instid1(VALU_DEP_3)
	v_dual_fmac_f32 v7, v159, v90 :: v_dual_fmac_f32 v9, v161, v92
	s_wait_loadcnt_dscnt 0xa05
	v_dual_fma_f32 v39, v158, v90, -v39 :: v_dual_mul_f32 v51, v171, v103
	v_dual_mul_f32 v43, v163, v95 :: v_dual_mul_f32 v45, v165, v97
	v_dual_fma_f32 v41, v160, v92, -v41 :: v_dual_add_f32 v7, 0, v7
	s_delay_alu instid0(VALU_DEP_3) | instskip(SKIP_1) | instid1(VALU_DEP_3)
	v_dual_add_f32 v39, 0, v39 :: v_dual_mul_f32 v53, v173, v105
	v_dual_fmac_f32 v11, v163, v94 :: v_dual_fmac_f32 v13, v165, v96
	v_dual_fma_f32 v43, v162, v94, -v43 :: v_dual_add_f32 v7, v7, v9
	s_delay_alu instid0(VALU_DEP_3) | instskip(SKIP_2) | instid1(VALU_DEP_4)
	v_dual_add_f32 v9, v39, v41 :: v_dual_fma_f32 v41, v164, v96, -v45
	v_dual_mul_f32 v15, v166, v99 :: v_dual_mul_f32 v17, v168, v101
	v_dual_mul_f32 v47, v167, v99 :: v_dual_mul_f32 v49, v169, v101
	v_add_f32_e32 v7, v7, v11
	s_delay_alu instid0(VALU_DEP_3) | instskip(NEXT) | instid1(VALU_DEP_3)
	v_dual_add_f32 v9, v9, v43 :: v_dual_fmac_f32 v15, v167, v98
	v_fma_f32 v43, v166, v98, -v47
	v_dual_mul_f32 v19, v170, v103 :: v_dual_mul_f32 v21, v172, v105
	s_delay_alu instid0(VALU_DEP_4) | instskip(SKIP_2) | instid1(VALU_DEP_2)
	v_dual_add_f32 v7, v7, v13 :: v_dual_fmac_f32 v17, v169, v100
	s_wait_loadcnt_dscnt 0x802
	v_dual_add_f32 v9, v9, v41 :: v_dual_mul_f32 v13, v183, v111
	v_dual_fma_f32 v41, v168, v100, -v49 :: v_dual_add_f32 v7, v7, v15
	v_mul_f32_e32 v15, v185, v113
	s_delay_alu instid0(VALU_DEP_3) | instskip(NEXT) | instid1(VALU_DEP_3)
	v_dual_add_f32 v9, v9, v43 :: v_dual_fmac_f32 v19, v171, v102
	v_dual_fma_f32 v43, v170, v102, -v51 :: v_dual_add_f32 v7, v7, v17
	v_fmac_f32_e32 v21, v173, v104
	s_wait_loadcnt_dscnt 0x701
	s_delay_alu instid0(VALU_DEP_3) | instskip(SKIP_3) | instid1(VALU_DEP_3)
	v_dual_add_f32 v9, v9, v41 :: v_dual_mul_f32 v17, v187, v115
	v_dual_mul_f32 v23, v178, v107 :: v_dual_mul_f32 v25, v180, v109
	v_dual_mul_f32 v39, v179, v107 :: v_dual_mul_f32 v11, v181, v109
	v_dual_fma_f32 v41, v172, v104, -v53 :: v_dual_add_f32 v7, v7, v19
	v_dual_add_f32 v9, v9, v43 :: v_dual_fmac_f32 v23, v179, v106
	s_delay_alu instid0(VALU_DEP_3) | instskip(NEXT) | instid1(VALU_DEP_3)
	v_dual_mul_f32 v19, v189, v117 :: v_dual_fma_f32 v39, v178, v106, -v39
	v_dual_add_f32 v7, v7, v21 :: v_dual_fmac_f32 v25, v181, v108
	s_wait_loadcnt_dscnt 0x600
	s_delay_alu instid0(VALU_DEP_3) | instskip(SKIP_1) | instid1(VALU_DEP_3)
	v_dual_add_f32 v9, v9, v41 :: v_dual_mul_f32 v21, v191, v119
	v_dual_mul_f32 v27, v182, v111 :: v_dual_mul_f32 v29, v184, v113
	v_dual_fma_f32 v11, v180, v108, -v11 :: v_dual_add_f32 v7, v7, v23
	s_delay_alu instid0(VALU_DEP_2) | instskip(SKIP_1) | instid1(VALU_DEP_2)
	v_dual_add_f32 v9, v9, v39 :: v_dual_fmac_f32 v27, v183, v110
	v_dual_mul_f32 v23, v193, v121 :: v_dual_fma_f32 v13, v182, v110, -v13
	v_dual_add_f32 v7, v7, v25 :: v_dual_add_f32 v9, v9, v11
	v_dual_mul_f32 v31, v186, v115 :: v_dual_mul_f32 v33, v188, v117
	s_wait_loadcnt 0x5
	v_dual_mul_f32 v11, v175, v123 :: v_dual_fmac_f32 v29, v185, v112
	s_delay_alu instid0(VALU_DEP_3) | instskip(NEXT) | instid1(VALU_DEP_3)
	v_dual_fma_f32 v15, v184, v112, -v15 :: v_dual_add_f32 v7, v7, v27
	v_dual_add_f32 v9, v9, v13 :: v_dual_fmac_f32 v31, v187, v114
	v_dual_mul_f32 v13, v177, v125 :: v_dual_fma_f32 v17, v186, v114, -v17
	s_delay_alu instid0(VALU_DEP_2) | instskip(SKIP_2) | instid1(VALU_DEP_3)
	v_dual_add_f32 v7, v7, v29 :: v_dual_add_f32 v9, v9, v15
	v_dual_mul_f32 v35, v190, v119 :: v_dual_mul_f32 v37, v192, v121
	v_dual_fmac_f32 v33, v189, v116 :: v_dual_fma_f32 v15, v188, v116, -v19
	v_dual_add_f32 v7, v7, v31 :: v_dual_add_f32 v9, v9, v17
	s_wait_loadcnt 0x4
	s_delay_alu instid0(VALU_DEP_3) | instskip(NEXT) | instid1(VALU_DEP_2)
	v_dual_mov_b32 v92, v129 :: v_dual_fmac_f32 v35, v191, v118
	v_dual_fma_f32 v17, v190, v118, -v21 :: v_dual_add_f32 v7, v7, v33
	s_delay_alu instid0(VALU_DEP_3) | instskip(SKIP_1) | instid1(VALU_DEP_3)
	v_dual_add_f32 v9, v9, v15 :: v_dual_fma_f32 v15, v192, v120, -v23
	v_dual_mul_f32 v205, v174, v123 :: v_dual_mul_f32 v207, v176, v125
	v_dual_fmac_f32 v37, v193, v120 :: v_dual_add_f32 v7, v7, v35
	s_delay_alu instid0(VALU_DEP_2) | instskip(SKIP_3) | instid1(VALU_DEP_3)
	v_dual_add_f32 v9, v9, v17 :: v_dual_fmac_f32 v205, v175, v122
	v_pk_mul_f32 v[90:91], v[142:143], v[126:127] op_sel:[1,1] op_sel_hi:[0,1]
	s_wait_loadcnt 0x3
	v_dual_mov_b32 v96, v133 :: v_dual_fma_f32 v204, v174, v122, -v11
	v_dual_add_f32 v99, v7, v37 :: v_dual_add_f32 v98, v9, v15
	v_dual_fmac_f32 v207, v177, v124 :: v_dual_fma_f32 v206, v176, v124, -v13
	v_pk_fma_f32 v[100:101], v[142:143], v[126:127], v[90:91] op_sel_hi:[1,0,1]
	v_pk_mul_f32 v[92:93], v[196:197], v[92:93] op_sel_hi:[1,0]
	s_delay_alu instid0(VALU_DEP_4)
	v_pk_add_f32 v[98:99], v[98:99], v[204:205]
	v_pk_fma_f32 v[90:91], v[142:143], v[126:127], v[90:91] neg_lo:[0,0,1] neg_hi:[0,0,1]
	v_pk_mul_f32 v[94:95], v[146:147], v[130:131] op_sel:[1,1] op_sel_hi:[0,1]
	v_mov_b32_e32 v91, v101
	v_pk_fma_f32 v[100:101], v[144:145], v[128:129], v[92:93] op_sel_hi:[1,0,1]
	v_pk_add_f32 v[98:99], v[98:99], v[206:207]
	v_pk_fma_f32 v[92:93], v[144:145], v[128:129], v[92:93] neg_lo:[0,0,1] neg_hi:[0,0,1]
	v_pk_fma_f32 v[104:105], v[146:147], v[130:131], v[94:95] op_sel_hi:[1,0,1]
	v_pk_mul_f32 v[96:97], v[198:199], v[96:97] op_sel_hi:[1,0]
	v_mov_b32_e32 v93, v101
	v_pk_add_f32 v[90:91], v[98:99], v[90:91]
	s_wait_loadcnt 0x2
	v_pk_mul_f32 v[102:103], v[150:151], v[134:135] op_sel:[1,1] op_sel_hi:[0,1]
	v_mov_b32_e32 v98, v137
	v_pk_fma_f32 v[94:95], v[146:147], v[130:131], v[94:95] neg_lo:[0,0,1] neg_hi:[0,0,1]
	v_mov_b32_e32 v95, v105
	v_pk_fma_f32 v[100:101], v[148:149], v[132:133], v[96:97] op_sel_hi:[1,0,1]
	v_pk_add_f32 v[90:91], v[90:91], v[92:93]
	v_pk_fma_f32 v[92:93], v[150:151], v[134:135], v[102:103] op_sel_hi:[1,0,1]
	v_pk_mul_f32 v[98:99], v[200:201], v[98:99] op_sel_hi:[1,0]
	v_pk_fma_f32 v[96:97], v[148:149], v[132:133], v[96:97] neg_lo:[0,0,1] neg_hi:[0,0,1]
	v_mov_b32_e32 v97, v101
	v_pk_add_f32 v[90:91], v[90:91], v[94:95]
	v_pk_fma_f32 v[100:101], v[150:151], v[134:135], v[102:103] neg_lo:[0,0,1] neg_hi:[0,0,1]
	v_mov_b32_e32 v101, v93
	v_pk_fma_f32 v[92:93], v[152:153], v[136:137], v[98:99] op_sel_hi:[1,0,1]
	s_wait_loadcnt 0x1
	v_pk_mul_f32 v[94:95], v[154:155], v[138:139] op_sel:[1,1] op_sel_hi:[0,1]
	v_pk_add_f32 v[90:91], v[90:91], v[96:97]
	v_mov_b32_e32 v92, v141
	v_pk_fma_f32 v[98:99], v[152:153], v[136:137], v[98:99] neg_lo:[0,0,1] neg_hi:[0,0,1]
	v_mov_b32_e32 v99, v93
	v_pk_fma_f32 v[96:97], v[154:155], v[138:139], v[94:95] op_sel_hi:[1,0,1]
	v_pk_add_f32 v[90:91], v[90:91], v[100:101]
	v_pk_mul_f32 v[92:93], v[202:203], v[92:93] op_sel_hi:[1,0]
	v_pk_fma_f32 v[94:95], v[154:155], v[138:139], v[94:95] neg_lo:[0,0,1] neg_hi:[0,0,1]
	s_delay_alu instid0(VALU_DEP_4) | instskip(NEXT) | instid1(VALU_DEP_4)
	v_mov_b32_e32 v95, v97
	v_pk_add_f32 v[90:91], v[90:91], v[98:99]
	s_delay_alu instid0(VALU_DEP_4) | instskip(SKIP_1) | instid1(VALU_DEP_2)
	v_pk_fma_f32 v[96:97], v[156:157], v[140:141], v[92:93] op_sel_hi:[1,0,1]
	v_pk_fma_f32 v[92:93], v[156:157], v[140:141], v[92:93] neg_lo:[0,0,1] neg_hi:[0,0,1]
	v_mov_b32_e32 v93, v97
	s_delay_alu instid0(VALU_DEP_4) | instskip(NEXT) | instid1(VALU_DEP_1)
	v_pk_add_f32 v[90:91], v[90:91], v[94:95]
	v_pk_add_f32 v[90:91], v[90:91], v[92:93]
	s_wait_loadcnt 0x0
	s_delay_alu instid0(VALU_DEP_1)
	v_pk_add_f32 v[90:91], v[194:195], v[90:91] neg_lo:[0,1] neg_hi:[0,1]
	scratch_store_b64 off, v[90:91], off offset:136
	s_wait_xcnt 0x0
	v_cmpx_lt_u32_e32 16, v0
	s_cbranch_execz .LBB107_245
; %bb.244:
	scratch_load_b64 v[90:91], off, off offset:128
	v_mov_b64_e32 v[92:93], 0
	scratch_store_b64 off, v[92:93], off offset:128
	s_wait_loadcnt 0x0
	ds_store_b64 v1, v[90:91]
.LBB107_245:
	s_wait_xcnt 0x0
	s_or_b32 exec_lo, exec_lo, s0
	s_wait_storecnt_dscnt 0x0
	s_barrier_signal -1
	s_barrier_wait -1
	s_clause 0xe
	scratch_load_b128 v[90:93], off, off offset:136
	scratch_load_b128 v[94:97], off, off offset:152
	;; [unrolled: 1-line block ×13, first 2 shown]
	scratch_load_b64 v[194:195], off, off offset:344
	scratch_load_b64 v[196:197], off, off offset:128
	v_mov_b32_e32 v7, 0
	ds_load_2addr_b64 v[142:145], v7 offset0:79 offset1:80
	ds_load_2addr_b64 v[146:149], v7 offset0:81 offset1:82
	;; [unrolled: 1-line block ×13, first 2 shown]
	ds_load_b64 v[198:199], v7 offset:696
	s_mov_b32 s0, exec_lo
	s_wait_dscnt 0xd
	v_dual_mov_b32 v200, v145 :: v_dual_mov_b32 v201, v144
	s_wait_dscnt 0xa
	v_dual_mov_b32 v202, v149 :: v_dual_mov_b32 v207, v156
	v_dual_mov_b32 v203, v148 :: v_dual_mov_b32 v204, v153
	;; [unrolled: 1-line block ×3, first 2 shown]
	s_wait_loadcnt_dscnt 0xe09
	v_dual_mul_f32 v9, v158, v91 :: v_dual_mul_f32 v43, v159, v91
	v_dual_mul_f32 v45, v161, v93 :: v_dual_mul_f32 v11, v160, v93
	s_wait_loadcnt_dscnt 0xd08
	v_mul_f32_e32 v13, v162, v95
	s_wait_loadcnt_dscnt 0xb05
	v_dual_mul_f32 v55, v175, v103 :: v_dual_fma_f32 v43, v158, v90, -v43
	v_dual_fmac_f32 v9, v159, v90 :: v_dual_mul_f32 v57, v177, v105
	v_dual_mul_f32 v47, v163, v95 :: v_dual_mul_f32 v49, v165, v97
	v_dual_fmac_f32 v11, v161, v92 :: v_dual_fma_f32 v45, v160, v92, -v45
	s_delay_alu instid0(VALU_DEP_3) | instskip(SKIP_3) | instid1(VALU_DEP_3)
	v_dual_add_f32 v9, 0, v9 :: v_dual_add_f32 v43, 0, v43
	v_dual_mul_f32 v15, v164, v97 :: v_dual_mul_f32 v17, v166, v99
	s_wait_loadcnt_dscnt 0xa04
	v_dual_mul_f32 v59, v179, v107 :: v_dual_fma_f32 v47, v162, v94, -v47
	v_dual_fmac_f32 v13, v163, v94 :: v_dual_add_f32 v9, v9, v11
	s_delay_alu instid0(VALU_DEP_3) | instskip(SKIP_2) | instid1(VALU_DEP_3)
	v_dual_add_f32 v11, v43, v45 :: v_dual_fmac_f32 v15, v165, v96
	v_dual_mul_f32 v51, v167, v99 :: v_dual_mul_f32 v53, v169, v101
	v_dual_mul_f32 v43, v181, v109 :: v_dual_fma_f32 v45, v164, v96, -v49
	v_dual_add_f32 v9, v9, v13 :: v_dual_add_f32 v11, v11, v47
	v_dual_mul_f32 v19, v168, v101 :: v_dual_mul_f32 v21, v174, v103
	s_wait_loadcnt_dscnt 0x903
	v_dual_mul_f32 v13, v183, v111 :: v_dual_fma_f32 v47, v166, v98, -v51
	s_delay_alu instid0(VALU_DEP_3) | instskip(NEXT) | instid1(VALU_DEP_3)
	v_dual_fmac_f32 v17, v167, v98 :: v_dual_add_f32 v9, v9, v15
	v_dual_add_f32 v11, v11, v45 :: v_dual_fmac_f32 v19, v169, v100
	v_dual_mul_f32 v15, v185, v113 :: v_dual_fma_f32 v45, v168, v100, -v53
	s_delay_alu instid0(VALU_DEP_2) | instskip(SKIP_3) | instid1(VALU_DEP_3)
	v_dual_add_f32 v9, v9, v17 :: v_dual_add_f32 v11, v11, v47
	v_dual_mul_f32 v23, v176, v105 :: v_dual_mul_f32 v25, v178, v107
	s_wait_loadcnt_dscnt 0x802
	v_dual_mul_f32 v17, v187, v115 :: v_dual_fma_f32 v47, v174, v102, -v55
	v_dual_fmac_f32 v21, v175, v102 :: v_dual_add_f32 v9, v9, v19
	s_delay_alu instid0(VALU_DEP_3) | instskip(SKIP_1) | instid1(VALU_DEP_2)
	v_dual_add_f32 v11, v11, v45 :: v_dual_fmac_f32 v23, v177, v104
	v_dual_mul_f32 v19, v189, v117 :: v_dual_fma_f32 v45, v176, v104, -v57
	v_dual_add_f32 v9, v9, v21 :: v_dual_add_f32 v11, v11, v47
	v_dual_mul_f32 v27, v180, v109 :: v_dual_mul_f32 v29, v182, v111
	s_wait_loadcnt_dscnt 0x701
	v_dual_mul_f32 v21, v191, v119 :: v_dual_fma_f32 v47, v178, v106, -v59
	s_delay_alu instid0(VALU_DEP_3) | instskip(NEXT) | instid1(VALU_DEP_3)
	v_dual_fmac_f32 v25, v179, v106 :: v_dual_add_f32 v9, v9, v23
	v_dual_add_f32 v11, v11, v45 :: v_dual_fmac_f32 v27, v181, v108
	v_dual_mul_f32 v23, v193, v121 :: v_dual_fma_f32 v43, v180, v108, -v43
	s_delay_alu instid0(VALU_DEP_2) | instskip(SKIP_3) | instid1(VALU_DEP_3)
	v_dual_add_f32 v9, v9, v25 :: v_dual_add_f32 v11, v11, v47
	v_dual_mul_f32 v31, v184, v113 :: v_dual_mul_f32 v33, v186, v115
	s_wait_loadcnt 0x6
	v_dual_mul_f32 v25, v171, v123 :: v_dual_fma_f32 v13, v182, v110, -v13
	v_dual_fmac_f32 v29, v183, v110 :: v_dual_add_f32 v9, v9, v27
	v_dual_add_f32 v11, v11, v43 :: v_dual_mul_f32 v27, v173, v125
	v_fmac_f32_e32 v31, v185, v112
	s_delay_alu instid0(VALU_DEP_3) | instskip(NEXT) | instid1(VALU_DEP_3)
	v_dual_fma_f32 v15, v184, v112, -v15 :: v_dual_add_f32 v9, v9, v29
	v_add_f32_e32 v11, v11, v13
	v_dual_mul_f32 v35, v188, v117 :: v_dual_mul_f32 v37, v190, v119
	s_wait_loadcnt 0x5
	v_dual_mul_f32 v13, v143, v127 :: v_dual_fma_f32 v17, v186, v114, -v17
	v_dual_fmac_f32 v33, v187, v114 :: v_dual_add_f32 v9, v9, v31
	v_dual_add_f32 v11, v11, v15 :: v_dual_mov_b32 v90, v129
	v_fmac_f32_e32 v35, v189, v116
	s_delay_alu instid0(VALU_DEP_3) | instskip(NEXT) | instid1(VALU_DEP_3)
	v_dual_fma_f32 v15, v188, v116, -v19 :: v_dual_add_f32 v9, v9, v33
	v_add_f32_e32 v11, v11, v17
	v_dual_mul_f32 v39, v192, v121 :: v_dual_mul_f32 v41, v170, v123
	s_delay_alu instid0(VALU_DEP_3) | instskip(NEXT) | instid1(VALU_DEP_3)
	v_dual_fmac_f32 v37, v191, v118 :: v_dual_add_f32 v9, v9, v35
	v_dual_fma_f32 v17, v190, v118, -v21 :: v_dual_add_f32 v11, v11, v15
	s_wait_loadcnt 0x4
	v_dual_mov_b32 v94, v133 :: v_dual_fma_f32 v15, v192, v120, -v23
	v_fmac_f32_e32 v39, v193, v120
	v_dual_add_f32 v9, v9, v37 :: v_dual_fmac_f32 v41, v171, v122
	v_add_f32_e32 v11, v11, v17
	v_dual_mul_f32 v209, v172, v125 :: v_dual_mul_f32 v211, v142, v127
	s_delay_alu instid0(VALU_DEP_3) | instskip(NEXT) | instid1(VALU_DEP_2)
	v_dual_fma_f32 v17, v170, v122, -v25 :: v_dual_add_f32 v9, v9, v39
	v_dual_add_f32 v11, v11, v15 :: v_dual_fmac_f32 v209, v173, v124
	v_fma_f32 v208, v172, v124, -v27
	v_pk_mul_f32 v[90:91], v[200:201], v[90:91] op_sel_hi:[1,0]
	s_delay_alu instid0(VALU_DEP_4)
	v_add_f32_e32 v99, v9, v41
	s_wait_loadcnt 0x3
	v_dual_add_f32 v98, v11, v17 :: v_dual_mov_b32 v100, v137
	v_pk_mul_f32 v[92:93], v[146:147], v[130:131] op_sel:[1,1] op_sel_hi:[0,1]
	v_dual_fmac_f32 v211, v143, v126 :: v_dual_fma_f32 v210, v142, v126, -v13
	v_pk_fma_f32 v[102:103], v[144:145], v[128:129], v[90:91] op_sel_hi:[1,0,1]
	s_delay_alu instid0(VALU_DEP_4)
	v_pk_add_f32 v[98:99], v[98:99], v[208:209]
	v_pk_fma_f32 v[90:91], v[144:145], v[128:129], v[90:91] neg_lo:[0,0,1] neg_hi:[0,0,1]
	v_pk_fma_f32 v[104:105], v[146:147], v[130:131], v[92:93] op_sel_hi:[1,0,1]
	v_pk_mul_f32 v[94:95], v[202:203], v[94:95] op_sel_hi:[1,0]
	v_mov_b32_e32 v91, v103
	v_pk_add_f32 v[98:99], v[98:99], v[210:211]
	v_pk_fma_f32 v[92:93], v[146:147], v[130:131], v[92:93] neg_lo:[0,0,1] neg_hi:[0,0,1]
	v_pk_mul_f32 v[96:97], v[150:151], v[134:135] op_sel:[1,1] op_sel_hi:[0,1]
	v_mov_b32_e32 v93, v105
	v_pk_fma_f32 v[104:105], v[148:149], v[132:133], v[94:95] op_sel_hi:[1,0,1]
	v_pk_add_f32 v[90:91], v[98:99], v[90:91]
	v_pk_fma_f32 v[94:95], v[148:149], v[132:133], v[94:95] neg_lo:[0,0,1] neg_hi:[0,0,1]
	v_pk_fma_f32 v[98:99], v[150:151], v[134:135], v[96:97] op_sel_hi:[1,0,1]
	v_pk_mul_f32 v[100:101], v[204:205], v[100:101] op_sel_hi:[1,0]
	v_mov_b32_e32 v95, v105
	v_pk_add_f32 v[90:91], v[90:91], v[92:93]
	v_pk_fma_f32 v[96:97], v[150:151], v[134:135], v[96:97] neg_lo:[0,0,1] neg_hi:[0,0,1]
	s_wait_loadcnt 0x2
	v_pk_mul_f32 v[102:103], v[154:155], v[138:139] op_sel:[1,1] op_sel_hi:[0,1]
	v_dual_mov_b32 v92, v141 :: v_dual_mov_b32 v97, v99
	v_pk_fma_f32 v[98:99], v[152:153], v[136:137], v[100:101] op_sel_hi:[1,0,1]
	v_pk_add_f32 v[90:91], v[90:91], v[94:95]
	v_pk_fma_f32 v[100:101], v[152:153], v[136:137], v[100:101] neg_lo:[0,0,1] neg_hi:[0,0,1]
	v_pk_fma_f32 v[94:95], v[154:155], v[138:139], v[102:103] op_sel_hi:[1,0,1]
	v_pk_mul_f32 v[92:93], v[206:207], v[92:93] op_sel_hi:[1,0]
	v_mov_b32_e32 v101, v99
	v_pk_add_f32 v[90:91], v[90:91], v[96:97]
	v_pk_fma_f32 v[96:97], v[154:155], v[138:139], v[102:103] neg_lo:[0,0,1] neg_hi:[0,0,1]
	v_mov_b32_e32 v97, v95
	v_pk_fma_f32 v[94:95], v[156:157], v[140:141], v[92:93] op_sel_hi:[1,0,1]
	s_wait_loadcnt_dscnt 0x100
	v_pk_mul_f32 v[98:99], v[198:199], v[194:195] op_sel:[1,1] op_sel_hi:[0,1]
	v_pk_add_f32 v[90:91], v[90:91], v[100:101]
	v_pk_fma_f32 v[92:93], v[156:157], v[140:141], v[92:93] neg_lo:[0,0,1] neg_hi:[0,0,1]
	v_mov_b32_e32 v93, v95
	s_delay_alu instid0(VALU_DEP_4) | instskip(NEXT) | instid1(VALU_DEP_4)
	v_pk_fma_f32 v[94:95], v[198:199], v[194:195], v[98:99] op_sel_hi:[1,0,1]
	v_pk_add_f32 v[90:91], v[90:91], v[96:97]
	v_pk_fma_f32 v[96:97], v[198:199], v[194:195], v[98:99] neg_lo:[0,0,1] neg_hi:[0,0,1]
	s_delay_alu instid0(VALU_DEP_3) | instskip(NEXT) | instid1(VALU_DEP_3)
	v_mov_b32_e32 v97, v95
	v_pk_add_f32 v[90:91], v[90:91], v[92:93]
	s_delay_alu instid0(VALU_DEP_1) | instskip(SKIP_1) | instid1(VALU_DEP_1)
	v_pk_add_f32 v[90:91], v[90:91], v[96:97]
	s_wait_loadcnt 0x0
	v_pk_add_f32 v[90:91], v[196:197], v[90:91] neg_lo:[0,1] neg_hi:[0,1]
	scratch_store_b64 off, v[90:91], off offset:128
	s_wait_xcnt 0x0
	v_cmpx_lt_u32_e32 15, v0
	s_cbranch_execz .LBB107_247
; %bb.246:
	scratch_load_b64 v[90:91], off, off offset:120
	v_mov_b64_e32 v[92:93], 0
	scratch_store_b64 off, v[92:93], off offset:120
	s_wait_loadcnt 0x0
	ds_store_b64 v1, v[90:91]
.LBB107_247:
	s_wait_xcnt 0x0
	s_or_b32 exec_lo, exec_lo, s0
	s_wait_storecnt_dscnt 0x0
	s_barrier_signal -1
	s_barrier_wait -1
	s_clause 0xe
	scratch_load_b128 v[90:93], off, off offset:128
	scratch_load_b128 v[94:97], off, off offset:144
	;; [unrolled: 1-line block ×14, first 2 shown]
	scratch_load_b64 v[202:203], off, off offset:120
	ds_load_b128 v[146:149], v7 offset:640
	ds_load_b128 v[150:153], v7 offset:656
	;; [unrolled: 1-line block ×14, first 2 shown]
	s_mov_b32 s0, exec_lo
	s_wait_dscnt 0xd
	v_dual_mov_b32 v204, v149 :: v_dual_mov_b32 v205, v148
	s_wait_dscnt 0xc
	v_dual_mov_b32 v206, v153 :: v_dual_mov_b32 v207, v152
	;; [unrolled: 2-line block ×4, first 2 shown]
	s_wait_loadcnt_dscnt 0xe09
	v_dual_mul_f32 v7, v162, v91 :: v_dual_mul_f32 v9, v164, v93
	v_dual_mul_f32 v43, v163, v91 :: v_dual_mul_f32 v45, v165, v93
	s_wait_loadcnt_dscnt 0xd08
	v_dual_mul_f32 v11, v166, v95 :: v_dual_mul_f32 v13, v168, v97
	s_delay_alu instid0(VALU_DEP_3) | instskip(SKIP_3) | instid1(VALU_DEP_3)
	v_dual_fmac_f32 v7, v163, v90 :: v_dual_fmac_f32 v9, v165, v92
	s_wait_loadcnt_dscnt 0xb06
	v_dual_fma_f32 v43, v162, v90, -v43 :: v_dual_mul_f32 v55, v175, v103
	v_dual_mul_f32 v47, v167, v95 :: v_dual_mul_f32 v49, v169, v97
	v_dual_fma_f32 v45, v164, v92, -v45 :: v_dual_add_f32 v7, 0, v7
	s_delay_alu instid0(VALU_DEP_3) | instskip(SKIP_1) | instid1(VALU_DEP_3)
	v_dual_add_f32 v43, 0, v43 :: v_dual_mul_f32 v57, v177, v105
	v_dual_fmac_f32 v11, v167, v94 :: v_dual_fmac_f32 v13, v169, v96
	v_dual_fma_f32 v47, v166, v94, -v47 :: v_dual_add_f32 v7, v7, v9
	s_delay_alu instid0(VALU_DEP_3) | instskip(SKIP_2) | instid1(VALU_DEP_4)
	v_dual_add_f32 v9, v43, v45 :: v_dual_fma_f32 v45, v168, v96, -v49
	v_dual_mul_f32 v15, v170, v99 :: v_dual_mul_f32 v17, v172, v101
	v_dual_mul_f32 v51, v171, v99 :: v_dual_mul_f32 v53, v173, v101
	v_add_f32_e32 v7, v7, v11
	s_delay_alu instid0(VALU_DEP_3) | instskip(NEXT) | instid1(VALU_DEP_3)
	v_dual_add_f32 v9, v9, v47 :: v_dual_fmac_f32 v15, v171, v98
	v_fma_f32 v47, v170, v98, -v51
	v_dual_mul_f32 v19, v174, v103 :: v_dual_mul_f32 v21, v176, v105
	s_delay_alu instid0(VALU_DEP_4) | instskip(SKIP_2) | instid1(VALU_DEP_2)
	v_dual_add_f32 v7, v7, v13 :: v_dual_fmac_f32 v17, v173, v100
	s_wait_loadcnt_dscnt 0x904
	v_dual_add_f32 v9, v9, v45 :: v_dual_mul_f32 v13, v183, v111
	v_dual_fma_f32 v45, v172, v100, -v53 :: v_dual_add_f32 v7, v7, v15
	v_mul_f32_e32 v15, v185, v113
	s_delay_alu instid0(VALU_DEP_3) | instskip(NEXT) | instid1(VALU_DEP_3)
	v_dual_add_f32 v9, v9, v47 :: v_dual_fmac_f32 v19, v175, v102
	v_dual_fma_f32 v47, v174, v102, -v55 :: v_dual_add_f32 v7, v7, v17
	v_fmac_f32_e32 v21, v177, v104
	s_wait_loadcnt_dscnt 0x803
	s_delay_alu instid0(VALU_DEP_3) | instskip(SKIP_3) | instid1(VALU_DEP_3)
	v_dual_add_f32 v9, v9, v45 :: v_dual_mul_f32 v17, v187, v115
	v_dual_mul_f32 v23, v178, v107 :: v_dual_mul_f32 v25, v180, v109
	v_dual_mul_f32 v43, v179, v107 :: v_dual_mul_f32 v11, v181, v109
	v_dual_fma_f32 v45, v176, v104, -v57 :: v_dual_add_f32 v7, v7, v19
	v_dual_add_f32 v9, v9, v47 :: v_dual_fmac_f32 v23, v179, v106
	s_delay_alu instid0(VALU_DEP_3) | instskip(NEXT) | instid1(VALU_DEP_3)
	v_dual_mul_f32 v19, v189, v117 :: v_dual_fma_f32 v43, v178, v106, -v43
	v_dual_add_f32 v7, v7, v21 :: v_dual_fmac_f32 v25, v181, v108
	s_wait_loadcnt_dscnt 0x702
	s_delay_alu instid0(VALU_DEP_3) | instskip(SKIP_1) | instid1(VALU_DEP_3)
	v_dual_add_f32 v9, v9, v45 :: v_dual_mul_f32 v21, v191, v119
	v_dual_mul_f32 v27, v182, v111 :: v_dual_mul_f32 v29, v184, v113
	v_dual_fma_f32 v11, v180, v108, -v11 :: v_dual_add_f32 v7, v7, v23
	s_delay_alu instid0(VALU_DEP_2) | instskip(SKIP_1) | instid1(VALU_DEP_2)
	v_dual_add_f32 v9, v9, v43 :: v_dual_fmac_f32 v27, v183, v110
	v_dual_mul_f32 v23, v193, v121 :: v_dual_fma_f32 v13, v182, v110, -v13
	v_dual_add_f32 v7, v7, v25 :: v_dual_add_f32 v9, v9, v11
	v_dual_mul_f32 v31, v186, v115 :: v_dual_mul_f32 v33, v188, v117
	s_wait_loadcnt_dscnt 0x601
	v_dual_mul_f32 v11, v195, v123 :: v_dual_fmac_f32 v29, v185, v112
	s_delay_alu instid0(VALU_DEP_3) | instskip(NEXT) | instid1(VALU_DEP_3)
	v_dual_fma_f32 v15, v184, v112, -v15 :: v_dual_add_f32 v7, v7, v27
	v_dual_add_f32 v9, v9, v13 :: v_dual_fmac_f32 v31, v187, v114
	v_dual_mul_f32 v13, v197, v125 :: v_dual_fma_f32 v17, v186, v114, -v17
	s_delay_alu instid0(VALU_DEP_2) | instskip(SKIP_3) | instid1(VALU_DEP_3)
	v_dual_add_f32 v7, v7, v29 :: v_dual_add_f32 v9, v9, v15
	v_dual_mul_f32 v35, v190, v119 :: v_dual_mul_f32 v37, v192, v121
	s_wait_loadcnt_dscnt 0x500
	v_dual_mul_f32 v15, v199, v127 :: v_dual_fmac_f32 v33, v189, v116
	v_dual_fma_f32 v19, v188, v116, -v19 :: v_dual_add_f32 v7, v7, v31
	s_delay_alu instid0(VALU_DEP_3) | instskip(SKIP_1) | instid1(VALU_DEP_2)
	v_dual_add_f32 v9, v9, v17 :: v_dual_fmac_f32 v35, v191, v118
	v_dual_mul_f32 v17, v201, v129 :: v_dual_fma_f32 v21, v190, v118, -v21
	v_dual_add_f32 v7, v7, v33 :: v_dual_add_f32 v9, v9, v19
	v_dual_mul_f32 v39, v194, v123 :: v_dual_mul_f32 v41, v196, v125
	v_dual_fmac_f32 v37, v193, v120 :: v_dual_fma_f32 v19, v192, v120, -v23
	s_delay_alu instid0(VALU_DEP_3) | instskip(SKIP_1) | instid1(VALU_DEP_3)
	v_dual_add_f32 v7, v7, v35 :: v_dual_add_f32 v9, v9, v21
	s_wait_loadcnt 0x4
	v_dual_mov_b32 v92, v133 :: v_dual_fmac_f32 v39, v195, v122
	s_delay_alu instid0(VALU_DEP_2) | instskip(NEXT) | instid1(VALU_DEP_3)
	v_dual_fma_f32 v11, v194, v122, -v11 :: v_dual_add_f32 v7, v7, v37
	v_dual_add_f32 v9, v9, v19 :: v_dual_fma_f32 v13, v196, v124, -v13
	v_dual_mul_f32 v213, v198, v127 :: v_dual_mul_f32 v215, v200, v129
	s_delay_alu instid0(VALU_DEP_3) | instskip(NEXT) | instid1(VALU_DEP_2)
	v_dual_fmac_f32 v41, v197, v124 :: v_dual_add_f32 v7, v7, v39
	v_dual_add_f32 v9, v9, v11 :: v_dual_fmac_f32 v213, v199, v126
	v_pk_mul_f32 v[90:91], v[146:147], v[130:131] op_sel:[1,1] op_sel_hi:[0,1]
	s_wait_loadcnt 0x3
	v_dual_mov_b32 v96, v137 :: v_dual_fma_f32 v212, v198, v126, -v15
	v_dual_add_f32 v99, v7, v41 :: v_dual_fmac_f32 v215, v201, v128
	v_dual_add_f32 v98, v9, v13 :: v_dual_fma_f32 v214, v200, v128, -v17
	v_pk_fma_f32 v[100:101], v[146:147], v[130:131], v[90:91] op_sel_hi:[1,0,1]
	v_pk_mul_f32 v[92:93], v[204:205], v[92:93] op_sel_hi:[1,0]
	v_pk_fma_f32 v[90:91], v[146:147], v[130:131], v[90:91] neg_lo:[0,0,1] neg_hi:[0,0,1]
	s_delay_alu instid0(VALU_DEP_4)
	v_pk_add_f32 v[98:99], v[98:99], v[212:213]
	v_pk_mul_f32 v[94:95], v[150:151], v[134:135] op_sel:[1,1] op_sel_hi:[0,1]
	v_mov_b32_e32 v91, v101
	v_pk_fma_f32 v[100:101], v[148:149], v[132:133], v[92:93] op_sel_hi:[1,0,1]
	v_pk_fma_f32 v[92:93], v[148:149], v[132:133], v[92:93] neg_lo:[0,0,1] neg_hi:[0,0,1]
	v_pk_add_f32 v[98:99], v[98:99], v[214:215]
	v_pk_fma_f32 v[104:105], v[150:151], v[134:135], v[94:95] op_sel_hi:[1,0,1]
	v_pk_mul_f32 v[96:97], v[206:207], v[96:97] op_sel_hi:[1,0]
	v_mov_b32_e32 v93, v101
	s_wait_loadcnt 0x2
	v_pk_mul_f32 v[102:103], v[154:155], v[138:139] op_sel:[1,1] op_sel_hi:[0,1]
	v_pk_add_f32 v[90:91], v[98:99], v[90:91]
	v_mov_b32_e32 v98, v141
	v_pk_fma_f32 v[94:95], v[150:151], v[134:135], v[94:95] neg_lo:[0,0,1] neg_hi:[0,0,1]
	v_mov_b32_e32 v95, v105
	v_pk_fma_f32 v[100:101], v[152:153], v[136:137], v[96:97] op_sel_hi:[1,0,1]
	v_pk_add_f32 v[90:91], v[90:91], v[92:93]
	v_pk_fma_f32 v[92:93], v[154:155], v[138:139], v[102:103] op_sel_hi:[1,0,1]
	v_pk_mul_f32 v[98:99], v[208:209], v[98:99] op_sel_hi:[1,0]
	v_pk_fma_f32 v[96:97], v[152:153], v[136:137], v[96:97] neg_lo:[0,0,1] neg_hi:[0,0,1]
	v_mov_b32_e32 v97, v101
	v_pk_add_f32 v[90:91], v[90:91], v[94:95]
	v_pk_fma_f32 v[100:101], v[154:155], v[138:139], v[102:103] neg_lo:[0,0,1] neg_hi:[0,0,1]
	v_mov_b32_e32 v101, v93
	v_pk_fma_f32 v[92:93], v[156:157], v[140:141], v[98:99] op_sel_hi:[1,0,1]
	s_wait_loadcnt 0x1
	v_pk_mul_f32 v[94:95], v[158:159], v[142:143] op_sel:[1,1] op_sel_hi:[0,1]
	v_pk_add_f32 v[90:91], v[90:91], v[96:97]
	v_mov_b32_e32 v92, v145
	v_pk_fma_f32 v[98:99], v[156:157], v[140:141], v[98:99] neg_lo:[0,0,1] neg_hi:[0,0,1]
	v_mov_b32_e32 v99, v93
	v_pk_fma_f32 v[96:97], v[158:159], v[142:143], v[94:95] op_sel_hi:[1,0,1]
	v_pk_add_f32 v[90:91], v[90:91], v[100:101]
	v_pk_mul_f32 v[92:93], v[210:211], v[92:93] op_sel_hi:[1,0]
	v_pk_fma_f32 v[94:95], v[158:159], v[142:143], v[94:95] neg_lo:[0,0,1] neg_hi:[0,0,1]
	s_delay_alu instid0(VALU_DEP_4) | instskip(NEXT) | instid1(VALU_DEP_4)
	v_mov_b32_e32 v95, v97
	v_pk_add_f32 v[90:91], v[90:91], v[98:99]
	s_delay_alu instid0(VALU_DEP_4) | instskip(SKIP_1) | instid1(VALU_DEP_2)
	v_pk_fma_f32 v[96:97], v[160:161], v[144:145], v[92:93] op_sel_hi:[1,0,1]
	v_pk_fma_f32 v[92:93], v[160:161], v[144:145], v[92:93] neg_lo:[0,0,1] neg_hi:[0,0,1]
	v_mov_b32_e32 v93, v97
	s_delay_alu instid0(VALU_DEP_4) | instskip(NEXT) | instid1(VALU_DEP_1)
	v_pk_add_f32 v[90:91], v[90:91], v[94:95]
	v_pk_add_f32 v[90:91], v[90:91], v[92:93]
	s_wait_loadcnt 0x0
	s_delay_alu instid0(VALU_DEP_1)
	v_pk_add_f32 v[90:91], v[202:203], v[90:91] neg_lo:[0,1] neg_hi:[0,1]
	scratch_store_b64 off, v[90:91], off offset:120
	s_wait_xcnt 0x0
	v_cmpx_lt_u32_e32 14, v0
	s_cbranch_execz .LBB107_249
; %bb.248:
	scratch_load_b64 v[90:91], off, off offset:112
	v_mov_b64_e32 v[92:93], 0
	scratch_store_b64 off, v[92:93], off offset:112
	s_wait_loadcnt 0x0
	ds_store_b64 v1, v[90:91]
.LBB107_249:
	s_wait_xcnt 0x0
	s_or_b32 exec_lo, exec_lo, s0
	s_wait_storecnt_dscnt 0x0
	s_barrier_signal -1
	s_barrier_wait -1
	s_clause 0xf
	scratch_load_b128 v[90:93], off, off offset:120
	scratch_load_b128 v[94:97], off, off offset:136
	;; [unrolled: 1-line block ×14, first 2 shown]
	scratch_load_b64 v[202:203], off, off offset:344
	scratch_load_b64 v[204:205], off, off offset:112
	v_mov_b32_e32 v7, 0
	ds_load_2addr_b64 v[146:149], v7 offset0:79 offset1:80
	ds_load_2addr_b64 v[150:153], v7 offset0:81 offset1:82
	;; [unrolled: 1-line block ×14, first 2 shown]
	ds_load_b64 v[206:207], v7 offset:696
	s_mov_b32 s0, exec_lo
	s_wait_dscnt 0xe
	v_dual_mov_b32 v208, v149 :: v_dual_mov_b32 v209, v148
	s_wait_dscnt 0xb
	v_dual_mov_b32 v210, v153 :: v_dual_mov_b32 v215, v160
	v_dual_mov_b32 v211, v152 :: v_dual_mov_b32 v212, v157
	v_dual_mov_b32 v213, v156 :: v_dual_mov_b32 v214, v161
	s_wait_loadcnt_dscnt 0xf0a
	v_dual_mul_f32 v9, v162, v91 :: v_dual_mul_f32 v47, v163, v91
	v_dual_mul_f32 v49, v165, v93 :: v_dual_mul_f32 v11, v164, v93
	s_wait_loadcnt_dscnt 0xe09
	v_mul_f32_e32 v13, v166, v95
	s_wait_loadcnt_dscnt 0xc07
	v_dual_mul_f32 v59, v175, v103 :: v_dual_fma_f32 v47, v162, v90, -v47
	v_dual_fmac_f32 v9, v163, v90 :: v_dual_mul_f32 v61, v177, v105
	v_dual_mul_f32 v51, v167, v95 :: v_dual_mul_f32 v53, v169, v97
	v_dual_fmac_f32 v11, v165, v92 :: v_dual_fma_f32 v49, v164, v92, -v49
	s_delay_alu instid0(VALU_DEP_3) | instskip(SKIP_3) | instid1(VALU_DEP_3)
	v_dual_add_f32 v9, 0, v9 :: v_dual_add_f32 v47, 0, v47
	v_dual_mul_f32 v15, v168, v97 :: v_dual_mul_f32 v17, v170, v99
	s_wait_loadcnt_dscnt 0xb06
	v_dual_mul_f32 v63, v179, v107 :: v_dual_fma_f32 v51, v166, v94, -v51
	v_dual_fmac_f32 v13, v167, v94 :: v_dual_add_f32 v9, v9, v11
	s_delay_alu instid0(VALU_DEP_3) | instskip(SKIP_2) | instid1(VALU_DEP_3)
	v_dual_add_f32 v11, v47, v49 :: v_dual_fmac_f32 v15, v169, v96
	v_dual_mul_f32 v55, v171, v99 :: v_dual_mul_f32 v57, v173, v101
	v_dual_mul_f32 v47, v181, v109 :: v_dual_fma_f32 v49, v168, v96, -v53
	v_dual_add_f32 v9, v9, v13 :: v_dual_add_f32 v11, v11, v51
	v_dual_mul_f32 v19, v172, v101 :: v_dual_mul_f32 v21, v174, v103
	s_wait_loadcnt_dscnt 0xa05
	v_dual_mul_f32 v13, v183, v111 :: v_dual_fma_f32 v51, v170, v98, -v55
	s_delay_alu instid0(VALU_DEP_3) | instskip(NEXT) | instid1(VALU_DEP_3)
	v_dual_fmac_f32 v17, v171, v98 :: v_dual_add_f32 v9, v9, v15
	v_dual_add_f32 v11, v11, v49 :: v_dual_fmac_f32 v19, v173, v100
	v_dual_mul_f32 v15, v185, v113 :: v_dual_fma_f32 v49, v172, v100, -v57
	s_delay_alu instid0(VALU_DEP_2) | instskip(SKIP_3) | instid1(VALU_DEP_3)
	v_dual_add_f32 v9, v9, v17 :: v_dual_add_f32 v11, v11, v51
	v_dual_mul_f32 v23, v176, v105 :: v_dual_mul_f32 v25, v178, v107
	s_wait_loadcnt_dscnt 0x904
	v_dual_mul_f32 v17, v187, v115 :: v_dual_fma_f32 v51, v174, v102, -v59
	v_dual_fmac_f32 v21, v175, v102 :: v_dual_add_f32 v9, v9, v19
	s_delay_alu instid0(VALU_DEP_3) | instskip(SKIP_1) | instid1(VALU_DEP_2)
	v_dual_add_f32 v11, v11, v49 :: v_dual_fmac_f32 v23, v177, v104
	v_dual_mul_f32 v19, v189, v117 :: v_dual_fma_f32 v49, v176, v104, -v61
	v_dual_add_f32 v9, v9, v21 :: v_dual_add_f32 v11, v11, v51
	v_dual_mul_f32 v27, v180, v109 :: v_dual_mul_f32 v29, v182, v111
	s_wait_loadcnt_dscnt 0x803
	v_dual_mul_f32 v21, v191, v119 :: v_dual_fma_f32 v51, v178, v106, -v63
	s_delay_alu instid0(VALU_DEP_3) | instskip(NEXT) | instid1(VALU_DEP_3)
	v_dual_fmac_f32 v25, v179, v106 :: v_dual_add_f32 v9, v9, v23
	v_dual_add_f32 v11, v11, v49 :: v_dual_fmac_f32 v27, v181, v108
	v_dual_mul_f32 v23, v193, v121 :: v_dual_fma_f32 v47, v180, v108, -v47
	s_delay_alu instid0(VALU_DEP_2) | instskip(SKIP_3) | instid1(VALU_DEP_3)
	v_dual_add_f32 v9, v9, v25 :: v_dual_add_f32 v11, v11, v51
	v_dual_mul_f32 v31, v184, v113 :: v_dual_mul_f32 v33, v186, v115
	s_wait_loadcnt_dscnt 0x702
	v_dual_mul_f32 v25, v195, v123 :: v_dual_fma_f32 v13, v182, v110, -v13
	v_dual_fmac_f32 v29, v183, v110 :: v_dual_add_f32 v9, v9, v27
	v_dual_add_f32 v11, v11, v47 :: v_dual_mul_f32 v27, v197, v125
	v_fmac_f32_e32 v31, v185, v112
	s_delay_alu instid0(VALU_DEP_3) | instskip(NEXT) | instid1(VALU_DEP_3)
	v_dual_fma_f32 v15, v184, v112, -v15 :: v_dual_add_f32 v9, v9, v29
	v_add_f32_e32 v11, v11, v13
	v_dual_mul_f32 v35, v188, v117 :: v_dual_mul_f32 v37, v190, v119
	s_wait_loadcnt_dscnt 0x601
	v_dual_mul_f32 v13, v199, v127 :: v_dual_fma_f32 v17, v186, v114, -v17
	v_dual_fmac_f32 v33, v187, v114 :: v_dual_add_f32 v9, v9, v31
	v_dual_add_f32 v11, v11, v15 :: v_dual_mul_f32 v15, v201, v129
	v_fmac_f32_e32 v35, v189, v116
	s_delay_alu instid0(VALU_DEP_3) | instskip(NEXT) | instid1(VALU_DEP_3)
	v_dual_fma_f32 v19, v188, v116, -v19 :: v_dual_add_f32 v9, v9, v33
	v_add_f32_e32 v11, v11, v17
	v_dual_mul_f32 v39, v192, v121 :: v_dual_mul_f32 v41, v194, v123
	s_wait_loadcnt 0x5
	v_dual_mul_f32 v17, v147, v131 :: v_dual_fma_f32 v21, v190, v118, -v21
	v_dual_fmac_f32 v37, v191, v118 :: v_dual_add_f32 v9, v9, v35
	v_dual_add_f32 v11, v11, v19 :: v_dual_mov_b32 v90, v133
	v_fmac_f32_e32 v39, v193, v120
	s_delay_alu instid0(VALU_DEP_3) | instskip(NEXT) | instid1(VALU_DEP_3)
	v_dual_fma_f32 v19, v192, v120, -v23 :: v_dual_add_f32 v9, v9, v37
	v_add_f32_e32 v11, v11, v21
	v_dual_mul_f32 v43, v196, v125 :: v_dual_mul_f32 v45, v198, v127
	s_delay_alu instid0(VALU_DEP_3) | instskip(NEXT) | instid1(VALU_DEP_3)
	v_dual_fmac_f32 v41, v195, v122 :: v_dual_add_f32 v9, v9, v39
	v_dual_fma_f32 v21, v194, v122, -v25 :: v_dual_add_f32 v11, v11, v19
	s_wait_loadcnt 0x4
	v_dual_mov_b32 v94, v137 :: v_dual_fma_f32 v19, v196, v124, -v27
	v_fmac_f32_e32 v43, v197, v124
	v_dual_add_f32 v9, v9, v41 :: v_dual_fmac_f32 v45, v199, v126
	v_add_f32_e32 v11, v11, v21
	v_dual_mul_f32 v217, v200, v129 :: v_dual_mul_f32 v219, v146, v131
	s_delay_alu instid0(VALU_DEP_3) | instskip(NEXT) | instid1(VALU_DEP_2)
	v_dual_fma_f32 v13, v198, v126, -v13 :: v_dual_add_f32 v9, v9, v43
	v_dual_add_f32 v11, v11, v19 :: v_dual_fmac_f32 v217, v201, v128
	v_fma_f32 v216, v200, v128, -v15
	v_pk_mul_f32 v[90:91], v[208:209], v[90:91] op_sel_hi:[1,0]
	s_delay_alu instid0(VALU_DEP_4)
	v_add_f32_e32 v99, v9, v45
	s_wait_loadcnt 0x3
	v_dual_add_f32 v98, v11, v13 :: v_dual_mov_b32 v100, v141
	v_pk_mul_f32 v[92:93], v[150:151], v[134:135] op_sel:[1,1] op_sel_hi:[0,1]
	v_dual_fmac_f32 v219, v147, v130 :: v_dual_fma_f32 v218, v146, v130, -v17
	v_pk_fma_f32 v[102:103], v[148:149], v[132:133], v[90:91] op_sel_hi:[1,0,1]
	s_delay_alu instid0(VALU_DEP_4)
	v_pk_add_f32 v[98:99], v[98:99], v[216:217]
	v_pk_fma_f32 v[90:91], v[148:149], v[132:133], v[90:91] neg_lo:[0,0,1] neg_hi:[0,0,1]
	v_pk_fma_f32 v[104:105], v[150:151], v[134:135], v[92:93] op_sel_hi:[1,0,1]
	v_pk_mul_f32 v[94:95], v[210:211], v[94:95] op_sel_hi:[1,0]
	v_mov_b32_e32 v91, v103
	v_pk_add_f32 v[98:99], v[98:99], v[218:219]
	v_pk_fma_f32 v[92:93], v[150:151], v[134:135], v[92:93] neg_lo:[0,0,1] neg_hi:[0,0,1]
	v_pk_mul_f32 v[96:97], v[154:155], v[138:139] op_sel:[1,1] op_sel_hi:[0,1]
	v_mov_b32_e32 v93, v105
	v_pk_fma_f32 v[104:105], v[152:153], v[136:137], v[94:95] op_sel_hi:[1,0,1]
	v_pk_add_f32 v[90:91], v[98:99], v[90:91]
	v_pk_fma_f32 v[94:95], v[152:153], v[136:137], v[94:95] neg_lo:[0,0,1] neg_hi:[0,0,1]
	v_pk_fma_f32 v[98:99], v[154:155], v[138:139], v[96:97] op_sel_hi:[1,0,1]
	v_pk_mul_f32 v[100:101], v[212:213], v[100:101] op_sel_hi:[1,0]
	v_mov_b32_e32 v95, v105
	v_pk_add_f32 v[90:91], v[90:91], v[92:93]
	v_pk_fma_f32 v[96:97], v[154:155], v[138:139], v[96:97] neg_lo:[0,0,1] neg_hi:[0,0,1]
	s_wait_loadcnt 0x2
	v_pk_mul_f32 v[102:103], v[158:159], v[142:143] op_sel:[1,1] op_sel_hi:[0,1]
	v_dual_mov_b32 v92, v145 :: v_dual_mov_b32 v97, v99
	v_pk_fma_f32 v[98:99], v[156:157], v[140:141], v[100:101] op_sel_hi:[1,0,1]
	v_pk_add_f32 v[90:91], v[90:91], v[94:95]
	v_pk_fma_f32 v[100:101], v[156:157], v[140:141], v[100:101] neg_lo:[0,0,1] neg_hi:[0,0,1]
	v_pk_fma_f32 v[94:95], v[158:159], v[142:143], v[102:103] op_sel_hi:[1,0,1]
	v_pk_mul_f32 v[92:93], v[214:215], v[92:93] op_sel_hi:[1,0]
	v_mov_b32_e32 v101, v99
	v_pk_add_f32 v[90:91], v[90:91], v[96:97]
	v_pk_fma_f32 v[96:97], v[158:159], v[142:143], v[102:103] neg_lo:[0,0,1] neg_hi:[0,0,1]
	v_mov_b32_e32 v97, v95
	v_pk_fma_f32 v[94:95], v[160:161], v[144:145], v[92:93] op_sel_hi:[1,0,1]
	s_wait_loadcnt_dscnt 0x100
	v_pk_mul_f32 v[98:99], v[206:207], v[202:203] op_sel:[1,1] op_sel_hi:[0,1]
	v_pk_add_f32 v[90:91], v[90:91], v[100:101]
	v_pk_fma_f32 v[92:93], v[160:161], v[144:145], v[92:93] neg_lo:[0,0,1] neg_hi:[0,0,1]
	v_mov_b32_e32 v93, v95
	s_delay_alu instid0(VALU_DEP_4) | instskip(NEXT) | instid1(VALU_DEP_4)
	v_pk_fma_f32 v[94:95], v[206:207], v[202:203], v[98:99] op_sel_hi:[1,0,1]
	v_pk_add_f32 v[90:91], v[90:91], v[96:97]
	v_pk_fma_f32 v[96:97], v[206:207], v[202:203], v[98:99] neg_lo:[0,0,1] neg_hi:[0,0,1]
	s_delay_alu instid0(VALU_DEP_3) | instskip(NEXT) | instid1(VALU_DEP_3)
	v_mov_b32_e32 v97, v95
	v_pk_add_f32 v[90:91], v[90:91], v[92:93]
	s_delay_alu instid0(VALU_DEP_1) | instskip(SKIP_1) | instid1(VALU_DEP_1)
	v_pk_add_f32 v[90:91], v[90:91], v[96:97]
	s_wait_loadcnt 0x0
	v_pk_add_f32 v[90:91], v[204:205], v[90:91] neg_lo:[0,1] neg_hi:[0,1]
	scratch_store_b64 off, v[90:91], off offset:112
	s_wait_xcnt 0x0
	v_cmpx_lt_u32_e32 13, v0
	s_cbranch_execz .LBB107_251
; %bb.250:
	scratch_load_b64 v[90:91], off, off offset:104
	v_mov_b64_e32 v[92:93], 0
	scratch_store_b64 off, v[92:93], off offset:104
	s_wait_loadcnt 0x0
	ds_store_b64 v1, v[90:91]
.LBB107_251:
	s_wait_xcnt 0x0
	s_or_b32 exec_lo, exec_lo, s0
	s_wait_storecnt_dscnt 0x0
	s_barrier_signal -1
	s_barrier_wait -1
	s_clause 0xf
	scratch_load_b128 v[90:93], off, off offset:112
	scratch_load_b128 v[94:97], off, off offset:128
	;; [unrolled: 1-line block ×15, first 2 shown]
	scratch_load_b64 v[210:211], off, off offset:104
	ds_load_b128 v[150:153], v7 offset:640
	ds_load_b128 v[154:157], v7 offset:656
	;; [unrolled: 1-line block ×15, first 2 shown]
	s_mov_b32 s0, exec_lo
	s_wait_dscnt 0xe
	v_dual_mov_b32 v212, v153 :: v_dual_mov_b32 v213, v152
	s_wait_dscnt 0xd
	v_dual_mov_b32 v214, v157 :: v_dual_mov_b32 v215, v156
	;; [unrolled: 2-line block ×4, first 2 shown]
	s_wait_loadcnt_dscnt 0xf0a
	v_dual_mul_f32 v7, v166, v91 :: v_dual_mul_f32 v9, v168, v93
	v_dual_mul_f32 v47, v167, v91 :: v_dual_mul_f32 v49, v169, v93
	s_wait_loadcnt_dscnt 0xe09
	v_dual_mul_f32 v11, v170, v95 :: v_dual_mul_f32 v13, v172, v97
	s_delay_alu instid0(VALU_DEP_3) | instskip(SKIP_3) | instid1(VALU_DEP_3)
	v_dual_fmac_f32 v7, v167, v90 :: v_dual_fmac_f32 v9, v169, v92
	s_wait_loadcnt_dscnt 0xc06
	v_dual_fma_f32 v47, v166, v90, -v47 :: v_dual_mul_f32 v59, v183, v103
	v_dual_mul_f32 v51, v171, v95 :: v_dual_mul_f32 v53, v173, v97
	v_dual_fma_f32 v49, v168, v92, -v49 :: v_dual_add_f32 v7, 0, v7
	s_delay_alu instid0(VALU_DEP_3) | instskip(SKIP_1) | instid1(VALU_DEP_3)
	v_dual_add_f32 v47, 0, v47 :: v_dual_mul_f32 v61, v185, v105
	v_dual_fmac_f32 v11, v171, v94 :: v_dual_fmac_f32 v13, v173, v96
	v_dual_fma_f32 v51, v170, v94, -v51 :: v_dual_add_f32 v7, v7, v9
	s_delay_alu instid0(VALU_DEP_3) | instskip(SKIP_2) | instid1(VALU_DEP_4)
	v_dual_add_f32 v9, v47, v49 :: v_dual_fma_f32 v49, v172, v96, -v53
	v_dual_mul_f32 v15, v178, v99 :: v_dual_mul_f32 v17, v180, v101
	v_dual_mul_f32 v55, v179, v99 :: v_dual_mul_f32 v57, v181, v101
	v_add_f32_e32 v7, v7, v11
	s_delay_alu instid0(VALU_DEP_3) | instskip(NEXT) | instid1(VALU_DEP_3)
	v_dual_add_f32 v9, v9, v51 :: v_dual_fmac_f32 v15, v179, v98
	v_fma_f32 v51, v178, v98, -v55
	v_dual_mul_f32 v19, v182, v103 :: v_dual_mul_f32 v21, v184, v105
	s_delay_alu instid0(VALU_DEP_4) | instskip(SKIP_2) | instid1(VALU_DEP_2)
	v_dual_add_f32 v7, v7, v13 :: v_dual_fmac_f32 v17, v181, v100
	s_wait_loadcnt_dscnt 0xa04
	v_dual_add_f32 v9, v9, v49 :: v_dual_mul_f32 v13, v191, v111
	v_dual_fma_f32 v49, v180, v100, -v57 :: v_dual_add_f32 v7, v7, v15
	v_mul_f32_e32 v15, v193, v113
	s_delay_alu instid0(VALU_DEP_3) | instskip(NEXT) | instid1(VALU_DEP_3)
	v_dual_add_f32 v9, v9, v51 :: v_dual_fmac_f32 v19, v183, v102
	v_dual_fma_f32 v51, v182, v102, -v59 :: v_dual_add_f32 v7, v7, v17
	v_fmac_f32_e32 v21, v185, v104
	s_wait_loadcnt_dscnt 0x903
	s_delay_alu instid0(VALU_DEP_3) | instskip(SKIP_3) | instid1(VALU_DEP_3)
	v_dual_add_f32 v9, v9, v49 :: v_dual_mul_f32 v17, v195, v115
	v_dual_mul_f32 v23, v186, v107 :: v_dual_mul_f32 v25, v188, v109
	v_dual_mul_f32 v47, v187, v107 :: v_dual_mul_f32 v11, v189, v109
	v_dual_fma_f32 v49, v184, v104, -v61 :: v_dual_add_f32 v7, v7, v19
	v_dual_add_f32 v9, v9, v51 :: v_dual_fmac_f32 v23, v187, v106
	s_delay_alu instid0(VALU_DEP_3) | instskip(NEXT) | instid1(VALU_DEP_3)
	v_dual_mul_f32 v19, v197, v117 :: v_dual_fma_f32 v47, v186, v106, -v47
	v_dual_add_f32 v7, v7, v21 :: v_dual_fmac_f32 v25, v189, v108
	s_wait_loadcnt_dscnt 0x802
	s_delay_alu instid0(VALU_DEP_3) | instskip(SKIP_1) | instid1(VALU_DEP_3)
	v_dual_add_f32 v9, v9, v49 :: v_dual_mul_f32 v21, v199, v119
	v_dual_mul_f32 v27, v190, v111 :: v_dual_mul_f32 v29, v192, v113
	v_dual_fma_f32 v11, v188, v108, -v11 :: v_dual_add_f32 v7, v7, v23
	s_delay_alu instid0(VALU_DEP_2) | instskip(SKIP_1) | instid1(VALU_DEP_2)
	v_dual_add_f32 v9, v9, v47 :: v_dual_fmac_f32 v27, v191, v110
	v_dual_mul_f32 v23, v201, v121 :: v_dual_fma_f32 v13, v190, v110, -v13
	v_dual_add_f32 v7, v7, v25 :: v_dual_add_f32 v9, v9, v11
	v_dual_mul_f32 v31, v194, v115 :: v_dual_mul_f32 v33, v196, v117
	s_wait_loadcnt_dscnt 0x701
	v_dual_mul_f32 v11, v203, v123 :: v_dual_fmac_f32 v29, v193, v112
	s_delay_alu instid0(VALU_DEP_3) | instskip(NEXT) | instid1(VALU_DEP_3)
	v_dual_fma_f32 v15, v192, v112, -v15 :: v_dual_add_f32 v7, v7, v27
	v_dual_add_f32 v9, v9, v13 :: v_dual_fmac_f32 v31, v195, v114
	v_dual_mul_f32 v13, v205, v125 :: v_dual_fma_f32 v17, v194, v114, -v17
	s_delay_alu instid0(VALU_DEP_2) | instskip(SKIP_3) | instid1(VALU_DEP_3)
	v_dual_add_f32 v7, v7, v29 :: v_dual_add_f32 v9, v9, v15
	v_dual_mul_f32 v35, v198, v119 :: v_dual_mul_f32 v37, v200, v121
	s_wait_loadcnt_dscnt 0x600
	v_dual_mul_f32 v15, v207, v127 :: v_dual_fmac_f32 v33, v197, v116
	v_dual_fma_f32 v19, v196, v116, -v19 :: v_dual_add_f32 v7, v7, v31
	s_delay_alu instid0(VALU_DEP_3) | instskip(SKIP_1) | instid1(VALU_DEP_2)
	v_dual_add_f32 v9, v9, v17 :: v_dual_fmac_f32 v35, v199, v118
	v_dual_mul_f32 v17, v209, v129 :: v_dual_fma_f32 v21, v198, v118, -v21
	v_dual_add_f32 v7, v7, v33 :: v_dual_add_f32 v9, v9, v19
	v_dual_mul_f32 v39, v202, v123 :: v_dual_mul_f32 v41, v204, v125
	s_wait_loadcnt 0x5
	v_dual_mul_f32 v19, v175, v131 :: v_dual_fmac_f32 v37, v201, v120
	s_delay_alu instid0(VALU_DEP_3) | instskip(NEXT) | instid1(VALU_DEP_3)
	v_dual_fma_f32 v23, v200, v120, -v23 :: v_dual_add_f32 v7, v7, v35
	v_dual_add_f32 v9, v9, v21 :: v_dual_fmac_f32 v39, v203, v122
	v_dual_mul_f32 v21, v177, v133 :: v_dual_fma_f32 v11, v202, v122, -v11
	s_delay_alu instid0(VALU_DEP_2) | instskip(SKIP_1) | instid1(VALU_DEP_2)
	v_dual_add_f32 v7, v7, v37 :: v_dual_add_f32 v9, v9, v23
	v_dual_mul_f32 v43, v206, v127 :: v_dual_mul_f32 v45, v208, v129
	v_dual_fmac_f32 v41, v205, v124 :: v_dual_add_f32 v7, v7, v39
	s_delay_alu instid0(VALU_DEP_3) | instskip(SKIP_1) | instid1(VALU_DEP_3)
	v_dual_fma_f32 v13, v204, v124, -v13 :: v_dual_add_f32 v9, v9, v11
	s_wait_loadcnt 0x4
	v_dual_mov_b32 v92, v137 :: v_dual_fmac_f32 v43, v207, v126
	s_delay_alu instid0(VALU_DEP_3) | instskip(NEXT) | instid1(VALU_DEP_3)
	v_dual_fma_f32 v11, v206, v126, -v15 :: v_dual_add_f32 v7, v7, v41
	v_dual_add_f32 v9, v9, v13 :: v_dual_fma_f32 v13, v208, v128, -v17
	v_dual_mul_f32 v221, v174, v131 :: v_dual_mul_f32 v223, v176, v133
	s_delay_alu instid0(VALU_DEP_3) | instskip(NEXT) | instid1(VALU_DEP_2)
	v_dual_fmac_f32 v45, v209, v128 :: v_dual_add_f32 v7, v7, v43
	v_dual_add_f32 v9, v9, v11 :: v_dual_fmac_f32 v221, v175, v130
	v_pk_mul_f32 v[90:91], v[150:151], v[134:135] op_sel:[1,1] op_sel_hi:[0,1]
	s_wait_loadcnt 0x3
	v_dual_mov_b32 v96, v141 :: v_dual_fma_f32 v220, v174, v130, -v19
	v_dual_add_f32 v99, v7, v45 :: v_dual_fmac_f32 v223, v177, v132
	v_dual_add_f32 v98, v9, v13 :: v_dual_fma_f32 v222, v176, v132, -v21
	v_pk_fma_f32 v[100:101], v[150:151], v[134:135], v[90:91] op_sel_hi:[1,0,1]
	v_pk_mul_f32 v[92:93], v[212:213], v[92:93] op_sel_hi:[1,0]
	v_pk_fma_f32 v[90:91], v[150:151], v[134:135], v[90:91] neg_lo:[0,0,1] neg_hi:[0,0,1]
	s_delay_alu instid0(VALU_DEP_4)
	v_pk_add_f32 v[98:99], v[98:99], v[220:221]
	v_pk_mul_f32 v[94:95], v[154:155], v[138:139] op_sel:[1,1] op_sel_hi:[0,1]
	v_mov_b32_e32 v91, v101
	v_pk_fma_f32 v[100:101], v[152:153], v[136:137], v[92:93] op_sel_hi:[1,0,1]
	v_pk_fma_f32 v[92:93], v[152:153], v[136:137], v[92:93] neg_lo:[0,0,1] neg_hi:[0,0,1]
	v_pk_add_f32 v[98:99], v[98:99], v[222:223]
	v_pk_fma_f32 v[104:105], v[154:155], v[138:139], v[94:95] op_sel_hi:[1,0,1]
	v_pk_mul_f32 v[96:97], v[214:215], v[96:97] op_sel_hi:[1,0]
	v_mov_b32_e32 v93, v101
	s_wait_loadcnt 0x2
	v_pk_mul_f32 v[102:103], v[158:159], v[142:143] op_sel:[1,1] op_sel_hi:[0,1]
	v_pk_add_f32 v[90:91], v[98:99], v[90:91]
	v_mov_b32_e32 v98, v145
	v_pk_fma_f32 v[94:95], v[154:155], v[138:139], v[94:95] neg_lo:[0,0,1] neg_hi:[0,0,1]
	v_mov_b32_e32 v95, v105
	v_pk_fma_f32 v[100:101], v[156:157], v[140:141], v[96:97] op_sel_hi:[1,0,1]
	v_pk_add_f32 v[90:91], v[90:91], v[92:93]
	v_pk_fma_f32 v[92:93], v[158:159], v[142:143], v[102:103] op_sel_hi:[1,0,1]
	v_pk_mul_f32 v[98:99], v[216:217], v[98:99] op_sel_hi:[1,0]
	v_pk_fma_f32 v[96:97], v[156:157], v[140:141], v[96:97] neg_lo:[0,0,1] neg_hi:[0,0,1]
	v_mov_b32_e32 v97, v101
	v_pk_add_f32 v[90:91], v[90:91], v[94:95]
	v_pk_fma_f32 v[100:101], v[158:159], v[142:143], v[102:103] neg_lo:[0,0,1] neg_hi:[0,0,1]
	v_mov_b32_e32 v101, v93
	v_pk_fma_f32 v[92:93], v[160:161], v[144:145], v[98:99] op_sel_hi:[1,0,1]
	s_wait_loadcnt 0x1
	v_pk_mul_f32 v[94:95], v[162:163], v[146:147] op_sel:[1,1] op_sel_hi:[0,1]
	v_pk_add_f32 v[90:91], v[90:91], v[96:97]
	v_mov_b32_e32 v92, v149
	v_pk_fma_f32 v[98:99], v[160:161], v[144:145], v[98:99] neg_lo:[0,0,1] neg_hi:[0,0,1]
	v_mov_b32_e32 v99, v93
	v_pk_fma_f32 v[96:97], v[162:163], v[146:147], v[94:95] op_sel_hi:[1,0,1]
	v_pk_add_f32 v[90:91], v[90:91], v[100:101]
	v_pk_mul_f32 v[92:93], v[218:219], v[92:93] op_sel_hi:[1,0]
	v_pk_fma_f32 v[94:95], v[162:163], v[146:147], v[94:95] neg_lo:[0,0,1] neg_hi:[0,0,1]
	s_delay_alu instid0(VALU_DEP_4) | instskip(NEXT) | instid1(VALU_DEP_4)
	v_mov_b32_e32 v95, v97
	v_pk_add_f32 v[90:91], v[90:91], v[98:99]
	s_delay_alu instid0(VALU_DEP_4) | instskip(SKIP_1) | instid1(VALU_DEP_2)
	v_pk_fma_f32 v[96:97], v[164:165], v[148:149], v[92:93] op_sel_hi:[1,0,1]
	v_pk_fma_f32 v[92:93], v[164:165], v[148:149], v[92:93] neg_lo:[0,0,1] neg_hi:[0,0,1]
	v_mov_b32_e32 v93, v97
	s_delay_alu instid0(VALU_DEP_4) | instskip(NEXT) | instid1(VALU_DEP_1)
	v_pk_add_f32 v[90:91], v[90:91], v[94:95]
	v_pk_add_f32 v[90:91], v[90:91], v[92:93]
	s_wait_loadcnt 0x0
	s_delay_alu instid0(VALU_DEP_1)
	v_pk_add_f32 v[90:91], v[210:211], v[90:91] neg_lo:[0,1] neg_hi:[0,1]
	scratch_store_b64 off, v[90:91], off offset:104
	s_wait_xcnt 0x0
	v_cmpx_lt_u32_e32 12, v0
	s_cbranch_execz .LBB107_253
; %bb.252:
	scratch_load_b64 v[90:91], off, off offset:96
	v_mov_b64_e32 v[92:93], 0
	scratch_store_b64 off, v[92:93], off offset:96
	s_wait_loadcnt 0x0
	ds_store_b64 v1, v[90:91]
.LBB107_253:
	s_wait_xcnt 0x0
	s_or_b32 exec_lo, exec_lo, s0
	s_wait_storecnt_dscnt 0x0
	s_barrier_signal -1
	s_barrier_wait -1
	s_clause 0x10
	scratch_load_b128 v[90:93], off, off offset:104
	scratch_load_b128 v[94:97], off, off offset:120
	;; [unrolled: 1-line block ×15, first 2 shown]
	scratch_load_b64 v[210:211], off, off offset:344
	scratch_load_b64 v[212:213], off, off offset:96
	v_mov_b32_e32 v7, 0
	ds_load_2addr_b64 v[150:153], v7 offset0:79 offset1:80
	ds_load_2addr_b64 v[154:157], v7 offset0:81 offset1:82
	;; [unrolled: 1-line block ×15, first 2 shown]
	ds_load_b64 v[214:215], v7 offset:696
	s_mov_b32 s0, exec_lo
	s_wait_dscnt 0xf
	v_dual_mov_b32 v216, v153 :: v_dual_mov_b32 v217, v152
	s_wait_dscnt 0xc
	v_dual_mov_b32 v218, v157 :: v_dual_mov_b32 v223, v164
	v_dual_mov_b32 v219, v156 :: v_dual_mov_b32 v220, v161
	;; [unrolled: 1-line block ×3, first 2 shown]
	s_wait_loadcnt_dscnt 0x100b
	v_dual_mul_f32 v9, v166, v91 :: v_dual_mul_f32 v51, v167, v91
	v_dual_mul_f32 v53, v169, v93 :: v_dual_mul_f32 v11, v168, v93
	s_wait_loadcnt_dscnt 0xf09
	v_mul_f32_e32 v13, v174, v95
	s_wait_loadcnt_dscnt 0xd07
	v_dual_mul_f32 v63, v183, v103 :: v_dual_fma_f32 v51, v166, v90, -v51
	v_dual_fmac_f32 v9, v167, v90 :: v_dual_mul_f32 v65, v185, v105
	v_dual_mul_f32 v55, v175, v95 :: v_dual_mul_f32 v57, v177, v97
	v_dual_fmac_f32 v11, v169, v92 :: v_dual_fma_f32 v53, v168, v92, -v53
	s_delay_alu instid0(VALU_DEP_3) | instskip(SKIP_3) | instid1(VALU_DEP_3)
	v_dual_add_f32 v9, 0, v9 :: v_dual_add_f32 v51, 0, v51
	v_dual_mul_f32 v15, v176, v97 :: v_dual_mul_f32 v17, v178, v99
	s_wait_loadcnt_dscnt 0xc06
	v_dual_mul_f32 v67, v187, v107 :: v_dual_fma_f32 v55, v174, v94, -v55
	v_dual_fmac_f32 v13, v175, v94 :: v_dual_add_f32 v9, v9, v11
	s_delay_alu instid0(VALU_DEP_3) | instskip(SKIP_2) | instid1(VALU_DEP_3)
	v_dual_add_f32 v11, v51, v53 :: v_dual_fmac_f32 v15, v177, v96
	v_dual_mul_f32 v59, v179, v99 :: v_dual_mul_f32 v61, v181, v101
	v_dual_mul_f32 v51, v189, v109 :: v_dual_fma_f32 v53, v176, v96, -v57
	v_dual_add_f32 v9, v9, v13 :: v_dual_add_f32 v11, v11, v55
	v_dual_mul_f32 v19, v180, v101 :: v_dual_mul_f32 v21, v182, v103
	s_wait_loadcnt_dscnt 0xb05
	v_dual_mul_f32 v13, v191, v111 :: v_dual_fma_f32 v55, v178, v98, -v59
	s_delay_alu instid0(VALU_DEP_3) | instskip(NEXT) | instid1(VALU_DEP_3)
	v_dual_fmac_f32 v17, v179, v98 :: v_dual_add_f32 v9, v9, v15
	v_dual_add_f32 v11, v11, v53 :: v_dual_fmac_f32 v19, v181, v100
	v_dual_mul_f32 v15, v193, v113 :: v_dual_fma_f32 v53, v180, v100, -v61
	s_delay_alu instid0(VALU_DEP_2) | instskip(SKIP_3) | instid1(VALU_DEP_3)
	v_dual_add_f32 v9, v9, v17 :: v_dual_add_f32 v11, v11, v55
	v_dual_mul_f32 v23, v184, v105 :: v_dual_mul_f32 v25, v186, v107
	s_wait_loadcnt_dscnt 0xa04
	v_dual_mul_f32 v17, v195, v115 :: v_dual_fma_f32 v55, v182, v102, -v63
	v_dual_fmac_f32 v21, v183, v102 :: v_dual_add_f32 v9, v9, v19
	s_delay_alu instid0(VALU_DEP_3) | instskip(SKIP_1) | instid1(VALU_DEP_2)
	v_dual_add_f32 v11, v11, v53 :: v_dual_fmac_f32 v23, v185, v104
	v_dual_mul_f32 v19, v197, v117 :: v_dual_fma_f32 v53, v184, v104, -v65
	v_dual_add_f32 v9, v9, v21 :: v_dual_add_f32 v11, v11, v55
	v_dual_mul_f32 v27, v188, v109 :: v_dual_mul_f32 v29, v190, v111
	s_wait_loadcnt_dscnt 0x903
	v_dual_mul_f32 v21, v199, v119 :: v_dual_fma_f32 v55, v186, v106, -v67
	s_delay_alu instid0(VALU_DEP_3) | instskip(NEXT) | instid1(VALU_DEP_3)
	v_dual_fmac_f32 v25, v187, v106 :: v_dual_add_f32 v9, v9, v23
	v_dual_add_f32 v11, v11, v53 :: v_dual_fmac_f32 v27, v189, v108
	v_dual_mul_f32 v23, v201, v121 :: v_dual_fma_f32 v51, v188, v108, -v51
	s_delay_alu instid0(VALU_DEP_2) | instskip(SKIP_3) | instid1(VALU_DEP_3)
	v_dual_add_f32 v9, v9, v25 :: v_dual_add_f32 v11, v11, v55
	v_dual_mul_f32 v31, v192, v113 :: v_dual_mul_f32 v33, v194, v115
	s_wait_loadcnt_dscnt 0x802
	v_dual_mul_f32 v25, v203, v123 :: v_dual_fma_f32 v13, v190, v110, -v13
	v_dual_fmac_f32 v29, v191, v110 :: v_dual_add_f32 v9, v9, v27
	v_dual_add_f32 v11, v11, v51 :: v_dual_mul_f32 v27, v205, v125
	v_fmac_f32_e32 v31, v193, v112
	s_delay_alu instid0(VALU_DEP_3) | instskip(NEXT) | instid1(VALU_DEP_3)
	v_dual_fma_f32 v15, v192, v112, -v15 :: v_dual_add_f32 v9, v9, v29
	v_add_f32_e32 v11, v11, v13
	v_dual_mul_f32 v35, v196, v117 :: v_dual_mul_f32 v37, v198, v119
	s_wait_loadcnt_dscnt 0x701
	v_dual_mul_f32 v13, v207, v127 :: v_dual_fma_f32 v17, v194, v114, -v17
	v_dual_fmac_f32 v33, v195, v114 :: v_dual_add_f32 v9, v9, v31
	v_dual_add_f32 v11, v11, v15 :: v_dual_mul_f32 v15, v209, v129
	v_fmac_f32_e32 v35, v197, v116
	s_delay_alu instid0(VALU_DEP_3) | instskip(NEXT) | instid1(VALU_DEP_3)
	v_dual_fma_f32 v19, v196, v116, -v19 :: v_dual_add_f32 v9, v9, v33
	v_add_f32_e32 v11, v11, v17
	v_dual_mul_f32 v39, v200, v121 :: v_dual_mul_f32 v41, v202, v123
	s_wait_loadcnt 0x6
	v_dual_mul_f32 v17, v171, v131 :: v_dual_fma_f32 v21, v198, v118, -v21
	v_dual_fmac_f32 v37, v199, v118 :: v_dual_add_f32 v9, v9, v35
	v_dual_add_f32 v11, v11, v19 :: v_dual_mul_f32 v19, v173, v133
	v_fmac_f32_e32 v39, v201, v120
	s_delay_alu instid0(VALU_DEP_3) | instskip(NEXT) | instid1(VALU_DEP_3)
	v_dual_fma_f32 v23, v200, v120, -v23 :: v_dual_add_f32 v9, v9, v37
	v_add_f32_e32 v11, v11, v21
	v_dual_mul_f32 v43, v204, v125 :: v_dual_mul_f32 v45, v206, v127
	s_wait_loadcnt 0x5
	v_dual_mul_f32 v21, v151, v135 :: v_dual_fma_f32 v25, v202, v122, -v25
	v_dual_fmac_f32 v41, v203, v122 :: v_dual_add_f32 v9, v9, v39
	v_dual_add_f32 v11, v11, v23 :: v_dual_mov_b32 v90, v137
	v_fmac_f32_e32 v43, v205, v124
	s_delay_alu instid0(VALU_DEP_3) | instskip(NEXT) | instid1(VALU_DEP_3)
	v_dual_fma_f32 v23, v204, v124, -v27 :: v_dual_add_f32 v9, v9, v41
	v_add_f32_e32 v11, v11, v25
	v_dual_mul_f32 v47, v208, v129 :: v_dual_mul_f32 v49, v170, v131
	s_delay_alu instid0(VALU_DEP_3) | instskip(NEXT) | instid1(VALU_DEP_3)
	v_dual_fmac_f32 v45, v207, v126 :: v_dual_add_f32 v9, v9, v43
	v_dual_fma_f32 v13, v206, v126, -v13 :: v_dual_add_f32 v11, v11, v23
	s_wait_loadcnt 0x4
	v_dual_mov_b32 v94, v141 :: v_dual_fma_f32 v15, v208, v128, -v15
	v_fmac_f32_e32 v47, v209, v128
	v_dual_add_f32 v9, v9, v45 :: v_dual_fmac_f32 v49, v171, v130
	v_add_f32_e32 v11, v11, v13
	v_dual_mul_f32 v225, v172, v133 :: v_dual_mul_f32 v227, v150, v135
	s_delay_alu instid0(VALU_DEP_3) | instskip(NEXT) | instid1(VALU_DEP_2)
	v_dual_fma_f32 v13, v170, v130, -v17 :: v_dual_add_f32 v9, v9, v47
	v_dual_add_f32 v11, v11, v15 :: v_dual_fmac_f32 v225, v173, v132
	v_fma_f32 v224, v172, v132, -v19
	v_pk_mul_f32 v[90:91], v[216:217], v[90:91] op_sel_hi:[1,0]
	s_delay_alu instid0(VALU_DEP_4)
	v_add_f32_e32 v99, v9, v49
	s_wait_loadcnt 0x3
	v_dual_add_f32 v98, v11, v13 :: v_dual_mov_b32 v100, v145
	v_pk_mul_f32 v[92:93], v[154:155], v[138:139] op_sel:[1,1] op_sel_hi:[0,1]
	v_dual_fmac_f32 v227, v151, v134 :: v_dual_fma_f32 v226, v150, v134, -v21
	v_pk_fma_f32 v[102:103], v[152:153], v[136:137], v[90:91] op_sel_hi:[1,0,1]
	s_delay_alu instid0(VALU_DEP_4)
	v_pk_add_f32 v[98:99], v[98:99], v[224:225]
	v_pk_fma_f32 v[90:91], v[152:153], v[136:137], v[90:91] neg_lo:[0,0,1] neg_hi:[0,0,1]
	v_pk_fma_f32 v[104:105], v[154:155], v[138:139], v[92:93] op_sel_hi:[1,0,1]
	v_pk_mul_f32 v[94:95], v[218:219], v[94:95] op_sel_hi:[1,0]
	v_mov_b32_e32 v91, v103
	v_pk_add_f32 v[98:99], v[98:99], v[226:227]
	v_pk_fma_f32 v[92:93], v[154:155], v[138:139], v[92:93] neg_lo:[0,0,1] neg_hi:[0,0,1]
	v_pk_mul_f32 v[96:97], v[158:159], v[142:143] op_sel:[1,1] op_sel_hi:[0,1]
	v_mov_b32_e32 v93, v105
	v_pk_fma_f32 v[104:105], v[156:157], v[140:141], v[94:95] op_sel_hi:[1,0,1]
	v_pk_add_f32 v[90:91], v[98:99], v[90:91]
	v_pk_fma_f32 v[94:95], v[156:157], v[140:141], v[94:95] neg_lo:[0,0,1] neg_hi:[0,0,1]
	v_pk_fma_f32 v[98:99], v[158:159], v[142:143], v[96:97] op_sel_hi:[1,0,1]
	v_pk_mul_f32 v[100:101], v[220:221], v[100:101] op_sel_hi:[1,0]
	v_mov_b32_e32 v95, v105
	v_pk_add_f32 v[90:91], v[90:91], v[92:93]
	v_pk_fma_f32 v[96:97], v[158:159], v[142:143], v[96:97] neg_lo:[0,0,1] neg_hi:[0,0,1]
	s_wait_loadcnt 0x2
	v_pk_mul_f32 v[102:103], v[162:163], v[146:147] op_sel:[1,1] op_sel_hi:[0,1]
	v_dual_mov_b32 v92, v149 :: v_dual_mov_b32 v97, v99
	v_pk_fma_f32 v[98:99], v[160:161], v[144:145], v[100:101] op_sel_hi:[1,0,1]
	v_pk_add_f32 v[90:91], v[90:91], v[94:95]
	v_pk_fma_f32 v[100:101], v[160:161], v[144:145], v[100:101] neg_lo:[0,0,1] neg_hi:[0,0,1]
	v_pk_fma_f32 v[94:95], v[162:163], v[146:147], v[102:103] op_sel_hi:[1,0,1]
	v_pk_mul_f32 v[92:93], v[222:223], v[92:93] op_sel_hi:[1,0]
	v_mov_b32_e32 v101, v99
	v_pk_add_f32 v[90:91], v[90:91], v[96:97]
	v_pk_fma_f32 v[96:97], v[162:163], v[146:147], v[102:103] neg_lo:[0,0,1] neg_hi:[0,0,1]
	v_mov_b32_e32 v97, v95
	v_pk_fma_f32 v[94:95], v[164:165], v[148:149], v[92:93] op_sel_hi:[1,0,1]
	s_wait_loadcnt_dscnt 0x100
	v_pk_mul_f32 v[98:99], v[214:215], v[210:211] op_sel:[1,1] op_sel_hi:[0,1]
	v_pk_add_f32 v[90:91], v[90:91], v[100:101]
	v_pk_fma_f32 v[92:93], v[164:165], v[148:149], v[92:93] neg_lo:[0,0,1] neg_hi:[0,0,1]
	v_mov_b32_e32 v93, v95
	s_delay_alu instid0(VALU_DEP_4) | instskip(NEXT) | instid1(VALU_DEP_4)
	v_pk_fma_f32 v[94:95], v[214:215], v[210:211], v[98:99] op_sel_hi:[1,0,1]
	v_pk_add_f32 v[90:91], v[90:91], v[96:97]
	v_pk_fma_f32 v[96:97], v[214:215], v[210:211], v[98:99] neg_lo:[0,0,1] neg_hi:[0,0,1]
	s_delay_alu instid0(VALU_DEP_3) | instskip(NEXT) | instid1(VALU_DEP_3)
	v_mov_b32_e32 v97, v95
	v_pk_add_f32 v[90:91], v[90:91], v[92:93]
	s_delay_alu instid0(VALU_DEP_1) | instskip(SKIP_1) | instid1(VALU_DEP_1)
	v_pk_add_f32 v[90:91], v[90:91], v[96:97]
	s_wait_loadcnt 0x0
	v_pk_add_f32 v[90:91], v[212:213], v[90:91] neg_lo:[0,1] neg_hi:[0,1]
	scratch_store_b64 off, v[90:91], off offset:96
	s_wait_xcnt 0x0
	v_cmpx_lt_u32_e32 11, v0
	s_cbranch_execz .LBB107_255
; %bb.254:
	scratch_load_b64 v[90:91], off, off offset:88
	v_mov_b64_e32 v[92:93], 0
	scratch_store_b64 off, v[92:93], off offset:88
	s_wait_loadcnt 0x0
	ds_store_b64 v1, v[90:91]
.LBB107_255:
	s_wait_xcnt 0x0
	s_or_b32 exec_lo, exec_lo, s0
	s_wait_storecnt_dscnt 0x0
	s_barrier_signal -1
	s_barrier_wait -1
	s_clause 0x10
	scratch_load_b128 v[90:93], off, off offset:96
	scratch_load_b128 v[94:97], off, off offset:112
	;; [unrolled: 1-line block ×16, first 2 shown]
	scratch_load_b64 v[218:219], off, off offset:88
	ds_load_b128 v[154:157], v7 offset:640
	ds_load_b128 v[158:161], v7 offset:656
	;; [unrolled: 1-line block ×16, first 2 shown]
	s_mov_b32 s0, exec_lo
	s_wait_dscnt 0xf
	v_dual_mov_b32 v220, v157 :: v_dual_mov_b32 v221, v156
	s_wait_dscnt 0xe
	v_dual_mov_b32 v222, v161 :: v_dual_mov_b32 v223, v160
	s_wait_dscnt 0xd
	v_dual_mov_b32 v224, v165 :: v_dual_mov_b32 v225, v164
	s_wait_dscnt 0xc
	v_dual_mov_b32 v226, v169 :: v_dual_mov_b32 v227, v168
	s_wait_loadcnt_dscnt 0x100b
	v_dual_mul_f32 v7, v170, v91 :: v_dual_mul_f32 v9, v172, v93
	v_dual_mul_f32 v51, v171, v91 :: v_dual_mul_f32 v53, v173, v93
	s_wait_loadcnt_dscnt 0xf0a
	v_dual_mul_f32 v11, v174, v95 :: v_dual_mul_f32 v13, v176, v97
	s_delay_alu instid0(VALU_DEP_3) | instskip(SKIP_3) | instid1(VALU_DEP_3)
	v_dual_fmac_f32 v7, v171, v90 :: v_dual_fmac_f32 v9, v173, v92
	s_wait_loadcnt_dscnt 0xd08
	v_dual_fma_f32 v51, v170, v90, -v51 :: v_dual_mul_f32 v63, v183, v103
	v_dual_mul_f32 v55, v175, v95 :: v_dual_mul_f32 v57, v177, v97
	v_dual_fma_f32 v53, v172, v92, -v53 :: v_dual_add_f32 v7, 0, v7
	s_delay_alu instid0(VALU_DEP_3) | instskip(SKIP_1) | instid1(VALU_DEP_3)
	v_dual_add_f32 v51, 0, v51 :: v_dual_mul_f32 v65, v185, v105
	v_dual_fmac_f32 v11, v175, v94 :: v_dual_fmac_f32 v13, v177, v96
	v_dual_fma_f32 v55, v174, v94, -v55 :: v_dual_add_f32 v7, v7, v9
	s_delay_alu instid0(VALU_DEP_3) | instskip(SKIP_2) | instid1(VALU_DEP_4)
	v_dual_add_f32 v9, v51, v53 :: v_dual_fma_f32 v53, v176, v96, -v57
	v_dual_mul_f32 v15, v178, v99 :: v_dual_mul_f32 v17, v180, v101
	v_dual_mul_f32 v59, v179, v99 :: v_dual_mul_f32 v61, v181, v101
	v_add_f32_e32 v7, v7, v11
	s_delay_alu instid0(VALU_DEP_3) | instskip(NEXT) | instid1(VALU_DEP_3)
	v_dual_add_f32 v9, v9, v55 :: v_dual_fmac_f32 v15, v179, v98
	v_fma_f32 v55, v178, v98, -v59
	v_dual_mul_f32 v19, v182, v103 :: v_dual_mul_f32 v21, v184, v105
	s_delay_alu instid0(VALU_DEP_4) | instskip(SKIP_2) | instid1(VALU_DEP_2)
	v_dual_add_f32 v7, v7, v13 :: v_dual_fmac_f32 v17, v181, v100
	s_wait_loadcnt_dscnt 0xb06
	v_dual_add_f32 v9, v9, v53 :: v_dual_mul_f32 v13, v191, v111
	v_dual_fma_f32 v53, v180, v100, -v61 :: v_dual_add_f32 v7, v7, v15
	v_mul_f32_e32 v15, v193, v113
	s_delay_alu instid0(VALU_DEP_3) | instskip(NEXT) | instid1(VALU_DEP_3)
	v_dual_add_f32 v9, v9, v55 :: v_dual_fmac_f32 v19, v183, v102
	v_dual_fma_f32 v55, v182, v102, -v63 :: v_dual_add_f32 v7, v7, v17
	v_fmac_f32_e32 v21, v185, v104
	s_wait_loadcnt_dscnt 0xa05
	s_delay_alu instid0(VALU_DEP_3) | instskip(SKIP_3) | instid1(VALU_DEP_3)
	v_dual_add_f32 v9, v9, v53 :: v_dual_mul_f32 v17, v195, v115
	v_dual_mul_f32 v23, v186, v107 :: v_dual_mul_f32 v25, v188, v109
	v_dual_mul_f32 v51, v187, v107 :: v_dual_mul_f32 v11, v189, v109
	v_dual_fma_f32 v53, v184, v104, -v65 :: v_dual_add_f32 v7, v7, v19
	v_dual_add_f32 v9, v9, v55 :: v_dual_fmac_f32 v23, v187, v106
	s_delay_alu instid0(VALU_DEP_3) | instskip(NEXT) | instid1(VALU_DEP_3)
	v_dual_mul_f32 v19, v197, v117 :: v_dual_fma_f32 v51, v186, v106, -v51
	v_dual_add_f32 v7, v7, v21 :: v_dual_fmac_f32 v25, v189, v108
	s_wait_loadcnt_dscnt 0x904
	s_delay_alu instid0(VALU_DEP_3) | instskip(SKIP_1) | instid1(VALU_DEP_3)
	v_dual_add_f32 v9, v9, v53 :: v_dual_mul_f32 v21, v199, v119
	v_dual_mul_f32 v27, v190, v111 :: v_dual_mul_f32 v29, v192, v113
	v_dual_fma_f32 v11, v188, v108, -v11 :: v_dual_add_f32 v7, v7, v23
	s_delay_alu instid0(VALU_DEP_2) | instskip(SKIP_1) | instid1(VALU_DEP_2)
	v_dual_add_f32 v9, v9, v51 :: v_dual_fmac_f32 v27, v191, v110
	v_dual_mul_f32 v23, v201, v121 :: v_dual_fma_f32 v13, v190, v110, -v13
	v_dual_add_f32 v7, v7, v25 :: v_dual_add_f32 v9, v9, v11
	v_dual_mul_f32 v31, v194, v115 :: v_dual_mul_f32 v33, v196, v117
	s_wait_loadcnt_dscnt 0x803
	v_dual_mul_f32 v11, v203, v123 :: v_dual_fmac_f32 v29, v193, v112
	s_delay_alu instid0(VALU_DEP_3) | instskip(NEXT) | instid1(VALU_DEP_3)
	v_dual_fma_f32 v15, v192, v112, -v15 :: v_dual_add_f32 v7, v7, v27
	v_dual_add_f32 v9, v9, v13 :: v_dual_fmac_f32 v31, v195, v114
	v_dual_mul_f32 v13, v205, v125 :: v_dual_fma_f32 v17, v194, v114, -v17
	s_delay_alu instid0(VALU_DEP_2) | instskip(SKIP_3) | instid1(VALU_DEP_3)
	v_dual_add_f32 v7, v7, v29 :: v_dual_add_f32 v9, v9, v15
	v_dual_mul_f32 v35, v198, v119 :: v_dual_mul_f32 v37, v200, v121
	s_wait_loadcnt_dscnt 0x702
	v_dual_mul_f32 v15, v207, v127 :: v_dual_fmac_f32 v33, v197, v116
	v_dual_fma_f32 v19, v196, v116, -v19 :: v_dual_add_f32 v7, v7, v31
	s_delay_alu instid0(VALU_DEP_3) | instskip(SKIP_1) | instid1(VALU_DEP_2)
	v_dual_add_f32 v9, v9, v17 :: v_dual_fmac_f32 v35, v199, v118
	v_dual_mul_f32 v17, v209, v129 :: v_dual_fma_f32 v21, v198, v118, -v21
	v_dual_add_f32 v7, v7, v33 :: v_dual_add_f32 v9, v9, v19
	v_dual_mul_f32 v39, v202, v123 :: v_dual_mul_f32 v41, v204, v125
	s_wait_loadcnt_dscnt 0x601
	v_dual_mul_f32 v19, v211, v131 :: v_dual_fmac_f32 v37, v201, v120
	s_delay_alu instid0(VALU_DEP_3) | instskip(NEXT) | instid1(VALU_DEP_3)
	v_dual_fma_f32 v23, v200, v120, -v23 :: v_dual_add_f32 v7, v7, v35
	v_dual_add_f32 v9, v9, v21 :: v_dual_fmac_f32 v39, v203, v122
	v_dual_mul_f32 v21, v213, v133 :: v_dual_fma_f32 v11, v202, v122, -v11
	s_delay_alu instid0(VALU_DEP_2) | instskip(SKIP_3) | instid1(VALU_DEP_3)
	v_dual_add_f32 v7, v7, v37 :: v_dual_add_f32 v9, v9, v23
	v_dual_mul_f32 v43, v206, v127 :: v_dual_mul_f32 v45, v208, v129
	s_wait_loadcnt_dscnt 0x500
	v_dual_mul_f32 v23, v215, v135 :: v_dual_fmac_f32 v41, v205, v124
	v_dual_fma_f32 v13, v204, v124, -v13 :: v_dual_add_f32 v7, v7, v39
	s_delay_alu instid0(VALU_DEP_3) | instskip(SKIP_1) | instid1(VALU_DEP_3)
	v_dual_add_f32 v9, v9, v11 :: v_dual_fmac_f32 v43, v207, v126
	v_dual_mul_f32 v11, v217, v137 :: v_dual_fma_f32 v15, v206, v126, -v15
	v_dual_add_f32 v7, v7, v41 :: v_dual_fmac_f32 v45, v209, v128
	s_delay_alu instid0(VALU_DEP_3) | instskip(SKIP_2) | instid1(VALU_DEP_3)
	v_dual_add_f32 v9, v9, v13 :: v_dual_fma_f32 v13, v208, v128, -v17
	v_dual_mul_f32 v47, v210, v131 :: v_dual_mul_f32 v49, v212, v133
	s_wait_loadcnt 0x4
	v_dual_add_f32 v7, v7, v43 :: v_dual_mov_b32 v92, v141
	s_delay_alu instid0(VALU_DEP_2) | instskip(NEXT) | instid1(VALU_DEP_2)
	v_dual_add_f32 v9, v9, v15 :: v_dual_fmac_f32 v47, v211, v130
	v_dual_fma_f32 v15, v210, v130, -v19 :: v_dual_add_f32 v7, v7, v45
	v_dual_mul_f32 v229, v214, v135 :: v_dual_mul_f32 v231, v216, v137
	s_delay_alu instid0(VALU_DEP_3) | instskip(NEXT) | instid1(VALU_DEP_3)
	v_dual_add_f32 v9, v9, v13 :: v_dual_fma_f32 v13, v212, v132, -v21
	v_dual_fmac_f32 v49, v213, v132 :: v_dual_add_f32 v7, v7, v47
	v_pk_mul_f32 v[90:91], v[154:155], v[138:139] op_sel:[1,1] op_sel_hi:[0,1]
	s_delay_alu instid0(VALU_DEP_3) | instskip(SKIP_3) | instid1(VALU_DEP_3)
	v_dual_add_f32 v9, v9, v15 :: v_dual_fmac_f32 v229, v215, v134
	s_wait_loadcnt 0x3
	v_dual_mov_b32 v96, v145 :: v_dual_fma_f32 v228, v214, v134, -v23
	v_dual_add_f32 v99, v7, v49 :: v_dual_fmac_f32 v231, v217, v136
	v_dual_add_f32 v98, v9, v13 :: v_dual_fma_f32 v230, v216, v136, -v11
	v_pk_fma_f32 v[100:101], v[154:155], v[138:139], v[90:91] op_sel_hi:[1,0,1]
	v_pk_mul_f32 v[92:93], v[220:221], v[92:93] op_sel_hi:[1,0]
	v_pk_fma_f32 v[90:91], v[154:155], v[138:139], v[90:91] neg_lo:[0,0,1] neg_hi:[0,0,1]
	s_delay_alu instid0(VALU_DEP_4)
	v_pk_add_f32 v[98:99], v[98:99], v[228:229]
	v_pk_mul_f32 v[94:95], v[158:159], v[142:143] op_sel:[1,1] op_sel_hi:[0,1]
	v_mov_b32_e32 v91, v101
	v_pk_fma_f32 v[100:101], v[156:157], v[140:141], v[92:93] op_sel_hi:[1,0,1]
	v_pk_fma_f32 v[92:93], v[156:157], v[140:141], v[92:93] neg_lo:[0,0,1] neg_hi:[0,0,1]
	v_pk_add_f32 v[98:99], v[98:99], v[230:231]
	v_pk_fma_f32 v[104:105], v[158:159], v[142:143], v[94:95] op_sel_hi:[1,0,1]
	v_pk_mul_f32 v[96:97], v[222:223], v[96:97] op_sel_hi:[1,0]
	v_mov_b32_e32 v93, v101
	s_wait_loadcnt 0x2
	v_pk_mul_f32 v[102:103], v[162:163], v[146:147] op_sel:[1,1] op_sel_hi:[0,1]
	v_pk_add_f32 v[90:91], v[98:99], v[90:91]
	v_mov_b32_e32 v98, v149
	v_pk_fma_f32 v[94:95], v[158:159], v[142:143], v[94:95] neg_lo:[0,0,1] neg_hi:[0,0,1]
	v_mov_b32_e32 v95, v105
	v_pk_fma_f32 v[100:101], v[160:161], v[144:145], v[96:97] op_sel_hi:[1,0,1]
	v_pk_add_f32 v[90:91], v[90:91], v[92:93]
	v_pk_fma_f32 v[92:93], v[162:163], v[146:147], v[102:103] op_sel_hi:[1,0,1]
	v_pk_mul_f32 v[98:99], v[224:225], v[98:99] op_sel_hi:[1,0]
	v_pk_fma_f32 v[96:97], v[160:161], v[144:145], v[96:97] neg_lo:[0,0,1] neg_hi:[0,0,1]
	v_mov_b32_e32 v97, v101
	v_pk_add_f32 v[90:91], v[90:91], v[94:95]
	v_pk_fma_f32 v[100:101], v[162:163], v[146:147], v[102:103] neg_lo:[0,0,1] neg_hi:[0,0,1]
	v_mov_b32_e32 v101, v93
	v_pk_fma_f32 v[92:93], v[164:165], v[148:149], v[98:99] op_sel_hi:[1,0,1]
	s_wait_loadcnt 0x1
	v_pk_mul_f32 v[94:95], v[166:167], v[150:151] op_sel:[1,1] op_sel_hi:[0,1]
	v_pk_add_f32 v[90:91], v[90:91], v[96:97]
	v_mov_b32_e32 v92, v153
	v_pk_fma_f32 v[98:99], v[164:165], v[148:149], v[98:99] neg_lo:[0,0,1] neg_hi:[0,0,1]
	v_mov_b32_e32 v99, v93
	v_pk_fma_f32 v[96:97], v[166:167], v[150:151], v[94:95] op_sel_hi:[1,0,1]
	v_pk_add_f32 v[90:91], v[90:91], v[100:101]
	v_pk_mul_f32 v[92:93], v[226:227], v[92:93] op_sel_hi:[1,0]
	v_pk_fma_f32 v[94:95], v[166:167], v[150:151], v[94:95] neg_lo:[0,0,1] neg_hi:[0,0,1]
	s_delay_alu instid0(VALU_DEP_4) | instskip(NEXT) | instid1(VALU_DEP_4)
	v_mov_b32_e32 v95, v97
	v_pk_add_f32 v[90:91], v[90:91], v[98:99]
	s_delay_alu instid0(VALU_DEP_4) | instskip(SKIP_1) | instid1(VALU_DEP_2)
	v_pk_fma_f32 v[96:97], v[168:169], v[152:153], v[92:93] op_sel_hi:[1,0,1]
	v_pk_fma_f32 v[92:93], v[168:169], v[152:153], v[92:93] neg_lo:[0,0,1] neg_hi:[0,0,1]
	v_mov_b32_e32 v93, v97
	s_delay_alu instid0(VALU_DEP_4) | instskip(NEXT) | instid1(VALU_DEP_1)
	v_pk_add_f32 v[90:91], v[90:91], v[94:95]
	v_pk_add_f32 v[90:91], v[90:91], v[92:93]
	s_wait_loadcnt 0x0
	s_delay_alu instid0(VALU_DEP_1)
	v_pk_add_f32 v[90:91], v[218:219], v[90:91] neg_lo:[0,1] neg_hi:[0,1]
	scratch_store_b64 off, v[90:91], off offset:88
	s_wait_xcnt 0x0
	v_cmpx_lt_u32_e32 10, v0
	s_cbranch_execz .LBB107_257
; %bb.256:
	scratch_load_b64 v[90:91], off, off offset:80
	v_mov_b64_e32 v[92:93], 0
	scratch_store_b64 off, v[92:93], off offset:80
	s_wait_loadcnt 0x0
	ds_store_b64 v1, v[90:91]
.LBB107_257:
	s_wait_xcnt 0x0
	s_or_b32 exec_lo, exec_lo, s0
	s_wait_storecnt_dscnt 0x0
	s_barrier_signal -1
	s_barrier_wait -1
	s_clause 0x11
	scratch_load_b128 v[90:93], off, off offset:88
	scratch_load_b128 v[94:97], off, off offset:104
	scratch_load_b128 v[98:101], off, off offset:120
	scratch_load_b128 v[102:105], off, off offset:136
	scratch_load_b128 v[106:109], off, off offset:152
	scratch_load_b128 v[110:113], off, off offset:168
	scratch_load_b128 v[114:117], off, off offset:184
	scratch_load_b128 v[118:121], off, off offset:200
	scratch_load_b128 v[122:125], off, off offset:216
	scratch_load_b128 v[126:129], off, off offset:232
	scratch_load_b128 v[130:133], off, off offset:248
	scratch_load_b128 v[134:137], off, off offset:264
	scratch_load_b128 v[138:141], off, off offset:280
	scratch_load_b128 v[142:145], off, off offset:296
	scratch_load_b128 v[146:149], off, off offset:312
	scratch_load_b128 v[150:153], off, off offset:328
	scratch_load_b64 v[218:219], off, off offset:344
	scratch_load_b64 v[220:221], off, off offset:80
	v_mov_b32_e32 v7, 0
	ds_load_2addr_b64 v[154:157], v7 offset0:79 offset1:80
	ds_load_2addr_b64 v[158:161], v7 offset0:81 offset1:82
	;; [unrolled: 1-line block ×16, first 2 shown]
	ds_load_b64 v[222:223], v7 offset:696
	s_mov_b32 s0, exec_lo
	s_wait_dscnt 0x10
	v_dual_mov_b32 v224, v157 :: v_dual_mov_b32 v225, v156
	s_wait_dscnt 0xd
	v_dual_mov_b32 v226, v161 :: v_dual_mov_b32 v231, v168
	v_dual_mov_b32 v227, v160 :: v_dual_mov_b32 v228, v165
	v_dual_mov_b32 v229, v164 :: v_dual_mov_b32 v230, v169
	s_wait_loadcnt_dscnt 0x110c
	v_dual_mul_f32 v9, v170, v91 :: v_dual_mul_f32 v55, v171, v91
	v_dual_mul_f32 v57, v173, v93 :: v_dual_mul_f32 v11, v172, v93
	s_wait_loadcnt_dscnt 0x100b
	v_mul_f32_e32 v13, v174, v95
	s_wait_loadcnt_dscnt 0xe09
	v_dual_mul_f32 v67, v183, v103 :: v_dual_fma_f32 v55, v170, v90, -v55
	v_dual_fmac_f32 v9, v171, v90 :: v_dual_mul_f32 v69, v185, v105
	v_dual_mul_f32 v59, v175, v95 :: v_dual_mul_f32 v61, v177, v97
	v_dual_fmac_f32 v11, v173, v92 :: v_dual_fma_f32 v57, v172, v92, -v57
	s_delay_alu instid0(VALU_DEP_3) | instskip(SKIP_3) | instid1(VALU_DEP_3)
	v_dual_add_f32 v9, 0, v9 :: v_dual_add_f32 v55, 0, v55
	v_dual_mul_f32 v15, v176, v97 :: v_dual_mul_f32 v17, v178, v99
	s_wait_loadcnt_dscnt 0xd08
	v_dual_mul_f32 v71, v187, v107 :: v_dual_fma_f32 v59, v174, v94, -v59
	v_dual_fmac_f32 v13, v175, v94 :: v_dual_add_f32 v9, v9, v11
	s_delay_alu instid0(VALU_DEP_3) | instskip(SKIP_2) | instid1(VALU_DEP_3)
	v_dual_add_f32 v11, v55, v57 :: v_dual_fmac_f32 v15, v177, v96
	v_dual_mul_f32 v63, v179, v99 :: v_dual_mul_f32 v65, v181, v101
	v_dual_mul_f32 v55, v189, v109 :: v_dual_fma_f32 v57, v176, v96, -v61
	v_dual_add_f32 v9, v9, v13 :: v_dual_add_f32 v11, v11, v59
	v_dual_mul_f32 v19, v180, v101 :: v_dual_mul_f32 v21, v182, v103
	s_wait_loadcnt_dscnt 0xc07
	v_dual_mul_f32 v13, v191, v111 :: v_dual_fma_f32 v59, v178, v98, -v63
	s_delay_alu instid0(VALU_DEP_3) | instskip(NEXT) | instid1(VALU_DEP_3)
	v_dual_fmac_f32 v17, v179, v98 :: v_dual_add_f32 v9, v9, v15
	v_dual_add_f32 v11, v11, v57 :: v_dual_fmac_f32 v19, v181, v100
	v_dual_mul_f32 v15, v193, v113 :: v_dual_fma_f32 v57, v180, v100, -v65
	s_delay_alu instid0(VALU_DEP_2) | instskip(SKIP_3) | instid1(VALU_DEP_3)
	v_dual_add_f32 v9, v9, v17 :: v_dual_add_f32 v11, v11, v59
	v_dual_mul_f32 v23, v184, v105 :: v_dual_mul_f32 v25, v186, v107
	s_wait_loadcnt_dscnt 0xb06
	v_dual_mul_f32 v17, v195, v115 :: v_dual_fma_f32 v59, v182, v102, -v67
	v_dual_fmac_f32 v21, v183, v102 :: v_dual_add_f32 v9, v9, v19
	s_delay_alu instid0(VALU_DEP_3) | instskip(SKIP_1) | instid1(VALU_DEP_2)
	v_dual_add_f32 v11, v11, v57 :: v_dual_fmac_f32 v23, v185, v104
	v_dual_mul_f32 v19, v197, v117 :: v_dual_fma_f32 v57, v184, v104, -v69
	v_dual_add_f32 v9, v9, v21 :: v_dual_add_f32 v11, v11, v59
	v_dual_mul_f32 v27, v188, v109 :: v_dual_mul_f32 v29, v190, v111
	s_wait_loadcnt_dscnt 0xa05
	v_dual_mul_f32 v21, v199, v119 :: v_dual_fma_f32 v59, v186, v106, -v71
	s_delay_alu instid0(VALU_DEP_3) | instskip(NEXT) | instid1(VALU_DEP_3)
	v_dual_fmac_f32 v25, v187, v106 :: v_dual_add_f32 v9, v9, v23
	v_dual_add_f32 v11, v11, v57 :: v_dual_fmac_f32 v27, v189, v108
	v_dual_mul_f32 v23, v201, v121 :: v_dual_fma_f32 v55, v188, v108, -v55
	s_delay_alu instid0(VALU_DEP_2) | instskip(SKIP_3) | instid1(VALU_DEP_3)
	v_dual_add_f32 v9, v9, v25 :: v_dual_add_f32 v11, v11, v59
	v_dual_mul_f32 v31, v192, v113 :: v_dual_mul_f32 v33, v194, v115
	s_wait_loadcnt_dscnt 0x904
	v_dual_mul_f32 v25, v203, v123 :: v_dual_fma_f32 v13, v190, v110, -v13
	v_dual_fmac_f32 v29, v191, v110 :: v_dual_add_f32 v9, v9, v27
	v_dual_add_f32 v11, v11, v55 :: v_dual_mul_f32 v27, v205, v125
	v_fmac_f32_e32 v31, v193, v112
	s_delay_alu instid0(VALU_DEP_3) | instskip(NEXT) | instid1(VALU_DEP_3)
	v_dual_fma_f32 v15, v192, v112, -v15 :: v_dual_add_f32 v9, v9, v29
	v_add_f32_e32 v11, v11, v13
	v_dual_mul_f32 v35, v196, v117 :: v_dual_mul_f32 v37, v198, v119
	s_wait_loadcnt_dscnt 0x803
	v_dual_mul_f32 v13, v207, v127 :: v_dual_fma_f32 v17, v194, v114, -v17
	v_dual_fmac_f32 v33, v195, v114 :: v_dual_add_f32 v9, v9, v31
	v_dual_add_f32 v11, v11, v15 :: v_dual_mul_f32 v15, v209, v129
	v_fmac_f32_e32 v35, v197, v116
	s_delay_alu instid0(VALU_DEP_3) | instskip(NEXT) | instid1(VALU_DEP_3)
	v_dual_fma_f32 v19, v196, v116, -v19 :: v_dual_add_f32 v9, v9, v33
	v_add_f32_e32 v11, v11, v17
	;; [unrolled: 9-line block ×4, first 2 shown]
	v_dual_mul_f32 v47, v208, v129 :: v_dual_mul_f32 v49, v210, v131
	s_wait_loadcnt 0x5
	v_dual_mul_f32 v25, v155, v139 :: v_dual_fma_f32 v13, v206, v126, -v13
	v_dual_fmac_f32 v45, v207, v126 :: v_dual_add_f32 v9, v9, v43
	v_dual_add_f32 v11, v11, v27 :: v_dual_mov_b32 v90, v141
	v_fmac_f32_e32 v47, v209, v128
	s_delay_alu instid0(VALU_DEP_3) | instskip(NEXT) | instid1(VALU_DEP_3)
	v_dual_fma_f32 v15, v208, v128, -v15 :: v_dual_add_f32 v9, v9, v45
	v_add_f32_e32 v11, v11, v13
	v_dual_mul_f32 v51, v212, v133 :: v_dual_mul_f32 v53, v214, v135
	s_delay_alu instid0(VALU_DEP_3) | instskip(NEXT) | instid1(VALU_DEP_3)
	v_dual_fmac_f32 v49, v211, v130 :: v_dual_add_f32 v9, v9, v47
	v_dual_fma_f32 v13, v210, v130, -v17 :: v_dual_add_f32 v11, v11, v15
	s_wait_loadcnt 0x4
	v_dual_mov_b32 v94, v145 :: v_dual_fma_f32 v15, v212, v132, -v19
	v_fmac_f32_e32 v51, v213, v132
	v_dual_add_f32 v9, v9, v49 :: v_dual_fmac_f32 v53, v215, v134
	v_add_f32_e32 v11, v11, v13
	v_dual_mul_f32 v233, v216, v137 :: v_dual_mul_f32 v235, v154, v139
	s_delay_alu instid0(VALU_DEP_3) | instskip(NEXT) | instid1(VALU_DEP_2)
	v_dual_fma_f32 v13, v214, v134, -v21 :: v_dual_add_f32 v9, v9, v51
	v_dual_add_f32 v11, v11, v15 :: v_dual_fmac_f32 v233, v217, v136
	v_fma_f32 v232, v216, v136, -v23
	v_pk_mul_f32 v[90:91], v[224:225], v[90:91] op_sel_hi:[1,0]
	s_delay_alu instid0(VALU_DEP_4)
	v_add_f32_e32 v99, v9, v53
	s_wait_loadcnt 0x3
	v_dual_add_f32 v98, v11, v13 :: v_dual_mov_b32 v100, v149
	v_pk_mul_f32 v[92:93], v[158:159], v[142:143] op_sel:[1,1] op_sel_hi:[0,1]
	v_dual_fmac_f32 v235, v155, v138 :: v_dual_fma_f32 v234, v154, v138, -v25
	v_pk_fma_f32 v[102:103], v[156:157], v[140:141], v[90:91] op_sel_hi:[1,0,1]
	s_delay_alu instid0(VALU_DEP_4)
	v_pk_add_f32 v[98:99], v[98:99], v[232:233]
	v_pk_fma_f32 v[90:91], v[156:157], v[140:141], v[90:91] neg_lo:[0,0,1] neg_hi:[0,0,1]
	v_pk_fma_f32 v[104:105], v[158:159], v[142:143], v[92:93] op_sel_hi:[1,0,1]
	v_pk_mul_f32 v[94:95], v[226:227], v[94:95] op_sel_hi:[1,0]
	v_mov_b32_e32 v91, v103
	v_pk_add_f32 v[98:99], v[98:99], v[234:235]
	v_pk_fma_f32 v[92:93], v[158:159], v[142:143], v[92:93] neg_lo:[0,0,1] neg_hi:[0,0,1]
	v_pk_mul_f32 v[96:97], v[162:163], v[146:147] op_sel:[1,1] op_sel_hi:[0,1]
	v_mov_b32_e32 v93, v105
	v_pk_fma_f32 v[104:105], v[160:161], v[144:145], v[94:95] op_sel_hi:[1,0,1]
	v_pk_add_f32 v[90:91], v[98:99], v[90:91]
	v_pk_fma_f32 v[94:95], v[160:161], v[144:145], v[94:95] neg_lo:[0,0,1] neg_hi:[0,0,1]
	v_pk_fma_f32 v[98:99], v[162:163], v[146:147], v[96:97] op_sel_hi:[1,0,1]
	v_pk_mul_f32 v[100:101], v[228:229], v[100:101] op_sel_hi:[1,0]
	v_mov_b32_e32 v95, v105
	v_pk_add_f32 v[90:91], v[90:91], v[92:93]
	v_pk_fma_f32 v[96:97], v[162:163], v[146:147], v[96:97] neg_lo:[0,0,1] neg_hi:[0,0,1]
	s_wait_loadcnt 0x2
	v_pk_mul_f32 v[102:103], v[166:167], v[150:151] op_sel:[1,1] op_sel_hi:[0,1]
	v_dual_mov_b32 v92, v153 :: v_dual_mov_b32 v97, v99
	v_pk_fma_f32 v[98:99], v[164:165], v[148:149], v[100:101] op_sel_hi:[1,0,1]
	v_pk_add_f32 v[90:91], v[90:91], v[94:95]
	v_pk_fma_f32 v[100:101], v[164:165], v[148:149], v[100:101] neg_lo:[0,0,1] neg_hi:[0,0,1]
	v_pk_fma_f32 v[94:95], v[166:167], v[150:151], v[102:103] op_sel_hi:[1,0,1]
	v_pk_mul_f32 v[92:93], v[230:231], v[92:93] op_sel_hi:[1,0]
	v_mov_b32_e32 v101, v99
	v_pk_add_f32 v[90:91], v[90:91], v[96:97]
	v_pk_fma_f32 v[96:97], v[166:167], v[150:151], v[102:103] neg_lo:[0,0,1] neg_hi:[0,0,1]
	v_mov_b32_e32 v97, v95
	v_pk_fma_f32 v[94:95], v[168:169], v[152:153], v[92:93] op_sel_hi:[1,0,1]
	s_wait_loadcnt_dscnt 0x100
	v_pk_mul_f32 v[98:99], v[222:223], v[218:219] op_sel:[1,1] op_sel_hi:[0,1]
	v_pk_add_f32 v[90:91], v[90:91], v[100:101]
	v_pk_fma_f32 v[92:93], v[168:169], v[152:153], v[92:93] neg_lo:[0,0,1] neg_hi:[0,0,1]
	v_mov_b32_e32 v93, v95
	s_delay_alu instid0(VALU_DEP_4) | instskip(NEXT) | instid1(VALU_DEP_4)
	v_pk_fma_f32 v[94:95], v[222:223], v[218:219], v[98:99] op_sel_hi:[1,0,1]
	v_pk_add_f32 v[90:91], v[90:91], v[96:97]
	v_pk_fma_f32 v[96:97], v[222:223], v[218:219], v[98:99] neg_lo:[0,0,1] neg_hi:[0,0,1]
	s_delay_alu instid0(VALU_DEP_3) | instskip(NEXT) | instid1(VALU_DEP_3)
	v_mov_b32_e32 v97, v95
	v_pk_add_f32 v[90:91], v[90:91], v[92:93]
	s_delay_alu instid0(VALU_DEP_1) | instskip(SKIP_1) | instid1(VALU_DEP_1)
	v_pk_add_f32 v[90:91], v[90:91], v[96:97]
	s_wait_loadcnt 0x0
	v_pk_add_f32 v[90:91], v[220:221], v[90:91] neg_lo:[0,1] neg_hi:[0,1]
	scratch_store_b64 off, v[90:91], off offset:80
	s_wait_xcnt 0x0
	v_cmpx_lt_u32_e32 9, v0
	s_cbranch_execz .LBB107_259
; %bb.258:
	scratch_load_b64 v[90:91], off, off offset:72
	v_mov_b64_e32 v[92:93], 0
	scratch_store_b64 off, v[92:93], off offset:72
	s_wait_loadcnt 0x0
	ds_store_b64 v1, v[90:91]
.LBB107_259:
	s_wait_xcnt 0x0
	s_or_b32 exec_lo, exec_lo, s0
	s_wait_storecnt_dscnt 0x0
	s_barrier_signal -1
	s_barrier_wait -1
	s_clause 0x11
	scratch_load_b128 v[90:93], off, off offset:80
	scratch_load_b128 v[94:97], off, off offset:96
	;; [unrolled: 1-line block ×17, first 2 shown]
	scratch_load_b64 v[226:227], off, off offset:72
	ds_load_b128 v[158:161], v7 offset:640
	ds_load_b128 v[162:165], v7 offset:656
	;; [unrolled: 1-line block ×17, first 2 shown]
	s_mov_b32 s0, exec_lo
	s_wait_dscnt 0x10
	v_dual_mov_b32 v228, v161 :: v_dual_mov_b32 v229, v160
	s_wait_dscnt 0xf
	v_dual_mov_b32 v230, v165 :: v_dual_mov_b32 v231, v164
	;; [unrolled: 2-line block ×4, first 2 shown]
	s_wait_loadcnt_dscnt 0x110b
	v_dual_mul_f32 v7, v178, v91 :: v_dual_mul_f32 v9, v180, v93
	v_dual_mul_f32 v55, v179, v91 :: v_dual_mul_f32 v57, v181, v93
	s_wait_loadcnt_dscnt 0x100a
	v_dual_mul_f32 v11, v182, v95 :: v_dual_mul_f32 v13, v184, v97
	s_delay_alu instid0(VALU_DEP_3) | instskip(SKIP_3) | instid1(VALU_DEP_3)
	v_dual_fmac_f32 v7, v179, v90 :: v_dual_fmac_f32 v9, v181, v92
	s_wait_loadcnt_dscnt 0xe08
	v_dual_fma_f32 v55, v178, v90, -v55 :: v_dual_mul_f32 v67, v191, v103
	v_dual_mul_f32 v59, v183, v95 :: v_dual_mul_f32 v61, v185, v97
	v_dual_fma_f32 v57, v180, v92, -v57 :: v_dual_add_f32 v7, 0, v7
	s_delay_alu instid0(VALU_DEP_3) | instskip(SKIP_1) | instid1(VALU_DEP_3)
	v_dual_add_f32 v55, 0, v55 :: v_dual_mul_f32 v69, v193, v105
	v_dual_fmac_f32 v11, v183, v94 :: v_dual_fmac_f32 v13, v185, v96
	v_dual_fma_f32 v59, v182, v94, -v59 :: v_dual_add_f32 v7, v7, v9
	s_delay_alu instid0(VALU_DEP_3) | instskip(SKIP_2) | instid1(VALU_DEP_4)
	v_dual_add_f32 v9, v55, v57 :: v_dual_fma_f32 v57, v184, v96, -v61
	v_dual_mul_f32 v15, v186, v99 :: v_dual_mul_f32 v17, v188, v101
	v_dual_mul_f32 v63, v187, v99 :: v_dual_mul_f32 v65, v189, v101
	v_add_f32_e32 v7, v7, v11
	s_delay_alu instid0(VALU_DEP_3) | instskip(NEXT) | instid1(VALU_DEP_3)
	v_dual_add_f32 v9, v9, v59 :: v_dual_fmac_f32 v15, v187, v98
	v_fma_f32 v59, v186, v98, -v63
	v_dual_mul_f32 v19, v190, v103 :: v_dual_mul_f32 v21, v192, v105
	s_delay_alu instid0(VALU_DEP_4) | instskip(SKIP_2) | instid1(VALU_DEP_2)
	v_dual_add_f32 v7, v7, v13 :: v_dual_fmac_f32 v17, v189, v100
	s_wait_loadcnt_dscnt 0xc06
	v_dual_add_f32 v9, v9, v57 :: v_dual_mul_f32 v13, v199, v111
	v_dual_fma_f32 v57, v188, v100, -v65 :: v_dual_add_f32 v7, v7, v15
	v_mul_f32_e32 v15, v201, v113
	s_delay_alu instid0(VALU_DEP_3) | instskip(NEXT) | instid1(VALU_DEP_3)
	v_dual_add_f32 v9, v9, v59 :: v_dual_fmac_f32 v19, v191, v102
	v_dual_fma_f32 v59, v190, v102, -v67 :: v_dual_add_f32 v7, v7, v17
	v_fmac_f32_e32 v21, v193, v104
	s_wait_loadcnt_dscnt 0xb05
	s_delay_alu instid0(VALU_DEP_3) | instskip(SKIP_3) | instid1(VALU_DEP_3)
	v_dual_add_f32 v9, v9, v57 :: v_dual_mul_f32 v17, v203, v115
	v_dual_mul_f32 v23, v194, v107 :: v_dual_mul_f32 v25, v196, v109
	v_dual_mul_f32 v55, v195, v107 :: v_dual_mul_f32 v11, v197, v109
	v_dual_fma_f32 v57, v192, v104, -v69 :: v_dual_add_f32 v7, v7, v19
	v_dual_add_f32 v9, v9, v59 :: v_dual_fmac_f32 v23, v195, v106
	s_delay_alu instid0(VALU_DEP_3) | instskip(NEXT) | instid1(VALU_DEP_3)
	v_dual_mul_f32 v19, v205, v117 :: v_dual_fma_f32 v55, v194, v106, -v55
	v_dual_add_f32 v7, v7, v21 :: v_dual_fmac_f32 v25, v197, v108
	s_wait_loadcnt_dscnt 0xa04
	s_delay_alu instid0(VALU_DEP_3) | instskip(SKIP_1) | instid1(VALU_DEP_3)
	v_dual_add_f32 v9, v9, v57 :: v_dual_mul_f32 v21, v207, v119
	v_dual_mul_f32 v27, v198, v111 :: v_dual_mul_f32 v29, v200, v113
	v_dual_fma_f32 v11, v196, v108, -v11 :: v_dual_add_f32 v7, v7, v23
	s_delay_alu instid0(VALU_DEP_2) | instskip(SKIP_1) | instid1(VALU_DEP_2)
	v_dual_add_f32 v9, v9, v55 :: v_dual_fmac_f32 v27, v199, v110
	v_dual_mul_f32 v23, v209, v121 :: v_dual_fma_f32 v13, v198, v110, -v13
	v_dual_add_f32 v7, v7, v25 :: v_dual_add_f32 v9, v9, v11
	v_dual_mul_f32 v31, v202, v115 :: v_dual_mul_f32 v33, v204, v117
	s_wait_loadcnt_dscnt 0x903
	v_dual_mul_f32 v11, v211, v123 :: v_dual_fmac_f32 v29, v201, v112
	s_delay_alu instid0(VALU_DEP_3) | instskip(NEXT) | instid1(VALU_DEP_3)
	v_dual_fma_f32 v15, v200, v112, -v15 :: v_dual_add_f32 v7, v7, v27
	v_dual_add_f32 v9, v9, v13 :: v_dual_fmac_f32 v31, v203, v114
	v_dual_mul_f32 v13, v213, v125 :: v_dual_fma_f32 v17, v202, v114, -v17
	s_delay_alu instid0(VALU_DEP_2) | instskip(SKIP_3) | instid1(VALU_DEP_3)
	v_dual_add_f32 v7, v7, v29 :: v_dual_add_f32 v9, v9, v15
	v_dual_mul_f32 v35, v206, v119 :: v_dual_mul_f32 v37, v208, v121
	s_wait_loadcnt_dscnt 0x802
	v_dual_mul_f32 v15, v215, v127 :: v_dual_fmac_f32 v33, v205, v116
	v_dual_fma_f32 v19, v204, v116, -v19 :: v_dual_add_f32 v7, v7, v31
	s_delay_alu instid0(VALU_DEP_3) | instskip(SKIP_1) | instid1(VALU_DEP_2)
	v_dual_add_f32 v9, v9, v17 :: v_dual_fmac_f32 v35, v207, v118
	v_dual_mul_f32 v17, v217, v129 :: v_dual_fma_f32 v21, v206, v118, -v21
	v_dual_add_f32 v7, v7, v33 :: v_dual_add_f32 v9, v9, v19
	v_dual_mul_f32 v39, v210, v123 :: v_dual_mul_f32 v41, v212, v125
	s_wait_loadcnt_dscnt 0x701
	v_dual_mul_f32 v19, v219, v131 :: v_dual_fmac_f32 v37, v209, v120
	s_delay_alu instid0(VALU_DEP_3) | instskip(NEXT) | instid1(VALU_DEP_3)
	v_dual_fma_f32 v23, v208, v120, -v23 :: v_dual_add_f32 v7, v7, v35
	v_dual_add_f32 v9, v9, v21 :: v_dual_fmac_f32 v39, v211, v122
	v_dual_mul_f32 v21, v221, v133 :: v_dual_fma_f32 v11, v210, v122, -v11
	s_delay_alu instid0(VALU_DEP_2) | instskip(SKIP_3) | instid1(VALU_DEP_3)
	v_dual_add_f32 v7, v7, v37 :: v_dual_add_f32 v9, v9, v23
	v_dual_mul_f32 v43, v214, v127 :: v_dual_mul_f32 v45, v216, v129
	s_wait_loadcnt_dscnt 0x600
	v_dual_mul_f32 v23, v223, v135 :: v_dual_fmac_f32 v41, v213, v124
	v_dual_fma_f32 v13, v212, v124, -v13 :: v_dual_add_f32 v7, v7, v39
	s_delay_alu instid0(VALU_DEP_3) | instskip(SKIP_1) | instid1(VALU_DEP_3)
	v_dual_add_f32 v9, v9, v11 :: v_dual_fmac_f32 v43, v215, v126
	v_dual_mul_f32 v11, v225, v137 :: v_dual_fma_f32 v15, v214, v126, -v15
	v_dual_add_f32 v7, v7, v41 :: v_dual_fmac_f32 v45, v217, v128
	s_wait_loadcnt 0x5
	s_delay_alu instid0(VALU_DEP_3) | instskip(SKIP_1) | instid1(VALU_DEP_3)
	v_dual_add_f32 v9, v9, v13 :: v_dual_mul_f32 v13, v175, v139
	v_dual_mul_f32 v47, v218, v131 :: v_dual_mul_f32 v49, v220, v133
	v_dual_fma_f32 v17, v216, v128, -v17 :: v_dual_add_f32 v7, v7, v43
	s_delay_alu instid0(VALU_DEP_2) | instskip(SKIP_1) | instid1(VALU_DEP_3)
	v_dual_add_f32 v9, v9, v15 :: v_dual_fmac_f32 v47, v219, v130
	v_dual_mul_f32 v15, v177, v141 :: v_dual_fma_f32 v19, v218, v130, -v19
	v_dual_add_f32 v7, v7, v45 :: v_dual_fmac_f32 v49, v221, v132
	s_delay_alu instid0(VALU_DEP_3) | instskip(SKIP_2) | instid1(VALU_DEP_3)
	v_dual_add_f32 v9, v9, v17 :: v_dual_fma_f32 v17, v220, v132, -v21
	v_dual_mul_f32 v51, v222, v135 :: v_dual_mul_f32 v53, v224, v137
	s_wait_loadcnt 0x4
	v_dual_add_f32 v7, v7, v47 :: v_dual_mov_b32 v92, v145
	s_delay_alu instid0(VALU_DEP_2) | instskip(NEXT) | instid1(VALU_DEP_2)
	v_dual_add_f32 v9, v9, v19 :: v_dual_fmac_f32 v51, v223, v134
	v_dual_fma_f32 v19, v222, v134, -v23 :: v_dual_add_f32 v7, v7, v49
	v_dual_mul_f32 v237, v174, v139 :: v_dual_mul_f32 v239, v176, v141
	s_delay_alu instid0(VALU_DEP_3) | instskip(NEXT) | instid1(VALU_DEP_3)
	v_dual_add_f32 v9, v9, v17 :: v_dual_fma_f32 v11, v224, v136, -v11
	v_dual_fmac_f32 v53, v225, v136 :: v_dual_add_f32 v7, v7, v51
	v_pk_mul_f32 v[90:91], v[158:159], v[142:143] op_sel:[1,1] op_sel_hi:[0,1]
	s_delay_alu instid0(VALU_DEP_3) | instskip(SKIP_2) | instid1(VALU_DEP_2)
	v_dual_add_f32 v9, v9, v19 :: v_dual_fmac_f32 v237, v175, v138
	s_wait_loadcnt 0x3
	v_dual_mov_b32 v96, v149 :: v_dual_fma_f32 v236, v174, v138, -v13
	v_dual_add_f32 v99, v7, v53 :: v_dual_add_f32 v98, v9, v11
	v_fmac_f32_e32 v239, v177, v140
	v_pk_fma_f32 v[100:101], v[158:159], v[142:143], v[90:91] op_sel_hi:[1,0,1]
	v_fma_f32 v238, v176, v140, -v15
	v_pk_mul_f32 v[92:93], v[228:229], v[92:93] op_sel_hi:[1,0]
	v_pk_add_f32 v[98:99], v[98:99], v[236:237]
	v_pk_fma_f32 v[90:91], v[158:159], v[142:143], v[90:91] neg_lo:[0,0,1] neg_hi:[0,0,1]
	v_pk_mul_f32 v[94:95], v[162:163], v[146:147] op_sel:[1,1] op_sel_hi:[0,1]
	v_mov_b32_e32 v91, v101
	v_pk_fma_f32 v[100:101], v[160:161], v[144:145], v[92:93] op_sel_hi:[1,0,1]
	v_pk_add_f32 v[98:99], v[98:99], v[238:239]
	v_pk_fma_f32 v[92:93], v[160:161], v[144:145], v[92:93] neg_lo:[0,0,1] neg_hi:[0,0,1]
	v_pk_fma_f32 v[104:105], v[162:163], v[146:147], v[94:95] op_sel_hi:[1,0,1]
	v_pk_mul_f32 v[96:97], v[230:231], v[96:97] op_sel_hi:[1,0]
	v_mov_b32_e32 v93, v101
	v_pk_add_f32 v[90:91], v[98:99], v[90:91]
	s_wait_loadcnt 0x2
	v_pk_mul_f32 v[102:103], v[166:167], v[150:151] op_sel:[1,1] op_sel_hi:[0,1]
	v_mov_b32_e32 v98, v153
	v_pk_fma_f32 v[94:95], v[162:163], v[146:147], v[94:95] neg_lo:[0,0,1] neg_hi:[0,0,1]
	v_pk_fma_f32 v[100:101], v[164:165], v[148:149], v[96:97] op_sel_hi:[1,0,1]
	v_mov_b32_e32 v95, v105
	v_pk_add_f32 v[90:91], v[90:91], v[92:93]
	v_pk_fma_f32 v[92:93], v[166:167], v[150:151], v[102:103] op_sel_hi:[1,0,1]
	v_pk_mul_f32 v[98:99], v[232:233], v[98:99] op_sel_hi:[1,0]
	v_pk_fma_f32 v[96:97], v[164:165], v[148:149], v[96:97] neg_lo:[0,0,1] neg_hi:[0,0,1]
	v_mov_b32_e32 v97, v101
	v_pk_add_f32 v[90:91], v[90:91], v[94:95]
	v_pk_fma_f32 v[100:101], v[166:167], v[150:151], v[102:103] neg_lo:[0,0,1] neg_hi:[0,0,1]
	v_mov_b32_e32 v101, v93
	v_pk_fma_f32 v[92:93], v[168:169], v[152:153], v[98:99] op_sel_hi:[1,0,1]
	s_wait_loadcnt 0x1
	v_pk_mul_f32 v[94:95], v[170:171], v[154:155] op_sel:[1,1] op_sel_hi:[0,1]
	v_pk_add_f32 v[90:91], v[90:91], v[96:97]
	v_mov_b32_e32 v92, v157
	v_pk_fma_f32 v[98:99], v[168:169], v[152:153], v[98:99] neg_lo:[0,0,1] neg_hi:[0,0,1]
	s_delay_alu instid0(VALU_DEP_4)
	v_pk_fma_f32 v[96:97], v[170:171], v[154:155], v[94:95] op_sel_hi:[1,0,1]
	v_mov_b32_e32 v99, v93
	v_pk_add_f32 v[90:91], v[90:91], v[100:101]
	v_pk_mul_f32 v[92:93], v[234:235], v[92:93] op_sel_hi:[1,0]
	v_pk_fma_f32 v[94:95], v[170:171], v[154:155], v[94:95] neg_lo:[0,0,1] neg_hi:[0,0,1]
	v_mov_b32_e32 v95, v97
	s_delay_alu instid0(VALU_DEP_4) | instskip(NEXT) | instid1(VALU_DEP_4)
	v_pk_add_f32 v[90:91], v[90:91], v[98:99]
	v_pk_fma_f32 v[96:97], v[172:173], v[156:157], v[92:93] op_sel_hi:[1,0,1]
	v_pk_fma_f32 v[92:93], v[172:173], v[156:157], v[92:93] neg_lo:[0,0,1] neg_hi:[0,0,1]
	s_delay_alu instid0(VALU_DEP_3) | instskip(NEXT) | instid1(VALU_DEP_3)
	v_pk_add_f32 v[90:91], v[90:91], v[94:95]
	v_mov_b32_e32 v93, v97
	s_delay_alu instid0(VALU_DEP_1) | instskip(SKIP_1) | instid1(VALU_DEP_1)
	v_pk_add_f32 v[90:91], v[90:91], v[92:93]
	s_wait_loadcnt 0x0
	v_pk_add_f32 v[90:91], v[226:227], v[90:91] neg_lo:[0,1] neg_hi:[0,1]
	scratch_store_b64 off, v[90:91], off offset:72
	s_wait_xcnt 0x0
	v_cmpx_lt_u32_e32 8, v0
	s_cbranch_execz .LBB107_261
; %bb.260:
	scratch_load_b64 v[90:91], off, off offset:64
	v_mov_b64_e32 v[92:93], 0
	scratch_store_b64 off, v[92:93], off offset:64
	s_wait_loadcnt 0x0
	ds_store_b64 v1, v[90:91]
.LBB107_261:
	s_wait_xcnt 0x0
	s_or_b32 exec_lo, exec_lo, s0
	s_wait_storecnt_dscnt 0x0
	s_barrier_signal -1
	s_barrier_wait -1
	s_clause 0x12
	scratch_load_b128 v[90:93], off, off offset:72
	scratch_load_b128 v[94:97], off, off offset:88
	;; [unrolled: 1-line block ×17, first 2 shown]
	scratch_load_b64 v[226:227], off, off offset:344
	scratch_load_b64 v[228:229], off, off offset:64
	v_mov_b32_e32 v7, 0
	ds_load_2addr_b64 v[158:161], v7 offset0:79 offset1:80
	ds_load_2addr_b64 v[162:165], v7 offset0:81 offset1:82
	;; [unrolled: 1-line block ×17, first 2 shown]
	ds_load_b64 v[230:231], v7 offset:696
	s_mov_b32 s0, exec_lo
	s_wait_dscnt 0x11
	v_dual_mov_b32 v232, v161 :: v_dual_mov_b32 v233, v160
	s_wait_dscnt 0x10
	v_dual_mov_b32 v234, v165 :: v_dual_mov_b32 v235, v164
	;; [unrolled: 2-line block ×3, first 2 shown]
	v_dual_mov_b32 v237, v168 :: v_dual_mov_b32 v238, v177
	s_wait_loadcnt_dscnt 0x120c
	v_dual_mul_f32 v9, v178, v91 :: v_dual_mul_f32 v59, v179, v91
	v_dual_mul_f32 v61, v181, v93 :: v_dual_mul_f32 v11, v180, v93
	s_wait_loadcnt_dscnt 0x110b
	v_mul_f32_e32 v13, v182, v95
	s_wait_loadcnt_dscnt 0xf09
	v_dual_mul_f32 v71, v191, v103 :: v_dual_fma_f32 v59, v178, v90, -v59
	v_dual_fmac_f32 v9, v179, v90 :: v_dual_mul_f32 v73, v193, v105
	v_dual_mul_f32 v63, v183, v95 :: v_dual_mul_f32 v65, v185, v97
	v_dual_fmac_f32 v11, v181, v92 :: v_dual_fma_f32 v61, v180, v92, -v61
	s_delay_alu instid0(VALU_DEP_3) | instskip(SKIP_3) | instid1(VALU_DEP_3)
	v_dual_add_f32 v9, 0, v9 :: v_dual_add_f32 v59, 0, v59
	v_dual_mul_f32 v15, v184, v97 :: v_dual_mul_f32 v17, v186, v99
	s_wait_loadcnt_dscnt 0xe08
	v_dual_mul_f32 v75, v195, v107 :: v_dual_fma_f32 v63, v182, v94, -v63
	v_dual_fmac_f32 v13, v183, v94 :: v_dual_add_f32 v9, v9, v11
	s_delay_alu instid0(VALU_DEP_3) | instskip(SKIP_2) | instid1(VALU_DEP_3)
	v_dual_add_f32 v11, v59, v61 :: v_dual_fmac_f32 v15, v185, v96
	v_dual_mul_f32 v67, v187, v99 :: v_dual_mul_f32 v69, v189, v101
	v_dual_mul_f32 v59, v197, v109 :: v_dual_fma_f32 v61, v184, v96, -v65
	v_dual_add_f32 v9, v9, v13 :: v_dual_add_f32 v11, v11, v63
	v_dual_mul_f32 v19, v188, v101 :: v_dual_mul_f32 v21, v190, v103
	s_wait_loadcnt_dscnt 0xd07
	v_dual_mul_f32 v13, v199, v111 :: v_dual_fma_f32 v63, v186, v98, -v67
	s_delay_alu instid0(VALU_DEP_3) | instskip(NEXT) | instid1(VALU_DEP_3)
	v_dual_fmac_f32 v17, v187, v98 :: v_dual_add_f32 v9, v9, v15
	v_dual_add_f32 v11, v11, v61 :: v_dual_fmac_f32 v19, v189, v100
	v_dual_mul_f32 v15, v201, v113 :: v_dual_fma_f32 v61, v188, v100, -v69
	s_delay_alu instid0(VALU_DEP_2) | instskip(SKIP_3) | instid1(VALU_DEP_3)
	v_dual_add_f32 v9, v9, v17 :: v_dual_add_f32 v11, v11, v63
	v_dual_mul_f32 v23, v192, v105 :: v_dual_mul_f32 v25, v194, v107
	s_wait_loadcnt_dscnt 0xc06
	v_dual_mul_f32 v17, v203, v115 :: v_dual_fma_f32 v63, v190, v102, -v71
	v_dual_fmac_f32 v21, v191, v102 :: v_dual_add_f32 v9, v9, v19
	s_delay_alu instid0(VALU_DEP_3) | instskip(SKIP_1) | instid1(VALU_DEP_2)
	v_dual_add_f32 v11, v11, v61 :: v_dual_fmac_f32 v23, v193, v104
	v_dual_mul_f32 v19, v205, v117 :: v_dual_fma_f32 v61, v192, v104, -v73
	v_dual_add_f32 v9, v9, v21 :: v_dual_add_f32 v11, v11, v63
	v_dual_mul_f32 v27, v196, v109 :: v_dual_mul_f32 v29, v198, v111
	s_wait_loadcnt_dscnt 0xb05
	v_dual_mul_f32 v21, v207, v119 :: v_dual_fma_f32 v63, v194, v106, -v75
	s_delay_alu instid0(VALU_DEP_3) | instskip(NEXT) | instid1(VALU_DEP_3)
	v_dual_fmac_f32 v25, v195, v106 :: v_dual_add_f32 v9, v9, v23
	v_dual_add_f32 v11, v11, v61 :: v_dual_fmac_f32 v27, v197, v108
	v_dual_mul_f32 v23, v209, v121 :: v_dual_fma_f32 v59, v196, v108, -v59
	s_delay_alu instid0(VALU_DEP_2) | instskip(SKIP_3) | instid1(VALU_DEP_3)
	v_dual_add_f32 v9, v9, v25 :: v_dual_add_f32 v11, v11, v63
	v_dual_mul_f32 v31, v200, v113 :: v_dual_mul_f32 v33, v202, v115
	s_wait_loadcnt_dscnt 0xa04
	v_dual_mul_f32 v25, v211, v123 :: v_dual_fma_f32 v13, v198, v110, -v13
	v_dual_fmac_f32 v29, v199, v110 :: v_dual_add_f32 v9, v9, v27
	v_dual_add_f32 v11, v11, v59 :: v_dual_mul_f32 v27, v213, v125
	v_fmac_f32_e32 v31, v201, v112
	s_delay_alu instid0(VALU_DEP_3) | instskip(NEXT) | instid1(VALU_DEP_3)
	v_dual_fma_f32 v15, v200, v112, -v15 :: v_dual_add_f32 v9, v9, v29
	v_add_f32_e32 v11, v11, v13
	v_dual_mul_f32 v35, v204, v117 :: v_dual_mul_f32 v37, v206, v119
	s_wait_loadcnt_dscnt 0x903
	v_dual_mul_f32 v13, v215, v127 :: v_dual_fma_f32 v17, v202, v114, -v17
	v_dual_fmac_f32 v33, v203, v114 :: v_dual_add_f32 v9, v9, v31
	v_dual_add_f32 v11, v11, v15 :: v_dual_mul_f32 v15, v217, v129
	v_fmac_f32_e32 v35, v205, v116
	s_delay_alu instid0(VALU_DEP_3) | instskip(NEXT) | instid1(VALU_DEP_3)
	v_dual_fma_f32 v19, v204, v116, -v19 :: v_dual_add_f32 v9, v9, v33
	v_add_f32_e32 v11, v11, v17
	;; [unrolled: 9-line block ×4, first 2 shown]
	v_dual_mul_f32 v47, v216, v129 :: v_dual_mul_f32 v49, v218, v131
	s_wait_loadcnt 0x6
	v_dual_mul_f32 v25, v171, v139 :: v_dual_fma_f32 v13, v214, v126, -v13
	v_dual_fmac_f32 v45, v215, v126 :: v_dual_add_f32 v9, v9, v43
	v_dual_add_f32 v11, v11, v27 :: v_dual_mul_f32 v27, v173, v141
	v_fmac_f32_e32 v47, v217, v128
	s_delay_alu instid0(VALU_DEP_3) | instskip(NEXT) | instid1(VALU_DEP_3)
	v_dual_fma_f32 v15, v216, v128, -v15 :: v_dual_add_f32 v9, v9, v45
	v_add_f32_e32 v11, v11, v13
	v_dual_mul_f32 v51, v220, v133 :: v_dual_mul_f32 v53, v222, v135
	s_wait_loadcnt 0x5
	v_dual_mul_f32 v13, v159, v143 :: v_dual_fma_f32 v17, v218, v130, -v17
	v_dual_fmac_f32 v49, v219, v130 :: v_dual_add_f32 v9, v9, v47
	v_dual_add_f32 v11, v11, v15 :: v_dual_mov_b32 v90, v145
	v_fmac_f32_e32 v51, v221, v132
	s_delay_alu instid0(VALU_DEP_3) | instskip(NEXT) | instid1(VALU_DEP_3)
	v_dual_fma_f32 v15, v220, v132, -v19 :: v_dual_add_f32 v9, v9, v49
	v_add_f32_e32 v11, v11, v17
	v_dual_mul_f32 v55, v224, v137 :: v_dual_mul_f32 v57, v170, v139
	s_delay_alu instid0(VALU_DEP_3) | instskip(NEXT) | instid1(VALU_DEP_3)
	v_dual_fmac_f32 v53, v223, v134 :: v_dual_add_f32 v9, v9, v51
	v_dual_fma_f32 v17, v222, v134, -v21 :: v_dual_add_f32 v11, v11, v15
	s_wait_loadcnt 0x4
	v_dual_mov_b32 v94, v149 :: v_dual_fma_f32 v15, v224, v136, -v23
	v_fmac_f32_e32 v55, v225, v136
	v_dual_add_f32 v9, v9, v53 :: v_dual_fmac_f32 v57, v171, v138
	v_add_f32_e32 v11, v11, v17
	v_dual_mul_f32 v241, v172, v141 :: v_dual_mul_f32 v243, v158, v143
	s_delay_alu instid0(VALU_DEP_3) | instskip(NEXT) | instid1(VALU_DEP_2)
	v_dual_fma_f32 v17, v170, v138, -v25 :: v_dual_add_f32 v9, v9, v55
	v_dual_add_f32 v11, v11, v15 :: v_dual_fmac_f32 v241, v173, v140
	v_fma_f32 v240, v172, v140, -v27
	v_pk_mul_f32 v[90:91], v[232:233], v[90:91] op_sel_hi:[1,0]
	s_delay_alu instid0(VALU_DEP_4)
	v_add_f32_e32 v99, v9, v57
	s_wait_loadcnt 0x3
	v_dual_add_f32 v98, v11, v17 :: v_dual_mov_b32 v100, v153
	v_pk_mul_f32 v[92:93], v[162:163], v[146:147] op_sel:[1,1] op_sel_hi:[0,1]
	v_dual_fmac_f32 v243, v159, v142 :: v_dual_fma_f32 v242, v158, v142, -v13
	v_pk_fma_f32 v[102:103], v[160:161], v[144:145], v[90:91] op_sel_hi:[1,0,1]
	s_delay_alu instid0(VALU_DEP_4)
	v_pk_add_f32 v[98:99], v[98:99], v[240:241]
	v_pk_fma_f32 v[90:91], v[160:161], v[144:145], v[90:91] neg_lo:[0,0,1] neg_hi:[0,0,1]
	v_pk_fma_f32 v[104:105], v[162:163], v[146:147], v[92:93] op_sel_hi:[1,0,1]
	v_pk_mul_f32 v[94:95], v[234:235], v[94:95] op_sel_hi:[1,0]
	v_mov_b32_e32 v91, v103
	v_pk_add_f32 v[98:99], v[98:99], v[242:243]
	v_pk_fma_f32 v[92:93], v[162:163], v[146:147], v[92:93] neg_lo:[0,0,1] neg_hi:[0,0,1]
	v_pk_mul_f32 v[96:97], v[166:167], v[150:151] op_sel:[1,1] op_sel_hi:[0,1]
	v_mov_b32_e32 v93, v105
	v_pk_fma_f32 v[104:105], v[164:165], v[148:149], v[94:95] op_sel_hi:[1,0,1]
	v_pk_add_f32 v[90:91], v[98:99], v[90:91]
	v_pk_fma_f32 v[94:95], v[164:165], v[148:149], v[94:95] neg_lo:[0,0,1] neg_hi:[0,0,1]
	v_pk_fma_f32 v[98:99], v[166:167], v[150:151], v[96:97] op_sel_hi:[1,0,1]
	v_pk_mul_f32 v[100:101], v[236:237], v[100:101] op_sel_hi:[1,0]
	v_mov_b32_e32 v95, v105
	v_pk_add_f32 v[90:91], v[90:91], v[92:93]
	v_pk_fma_f32 v[96:97], v[166:167], v[150:151], v[96:97] neg_lo:[0,0,1] neg_hi:[0,0,1]
	s_wait_loadcnt 0x2
	v_pk_mul_f32 v[102:103], v[174:175], v[154:155] op_sel:[1,1] op_sel_hi:[0,1]
	v_dual_mov_b32 v92, v157 :: v_dual_mov_b32 v97, v99
	v_pk_fma_f32 v[98:99], v[168:169], v[152:153], v[100:101] op_sel_hi:[1,0,1]
	v_pk_add_f32 v[90:91], v[90:91], v[94:95]
	v_pk_fma_f32 v[100:101], v[168:169], v[152:153], v[100:101] neg_lo:[0,0,1] neg_hi:[0,0,1]
	v_pk_fma_f32 v[94:95], v[174:175], v[154:155], v[102:103] op_sel_hi:[1,0,1]
	v_pk_mul_f32 v[92:93], v[238:239], v[92:93] op_sel_hi:[1,0]
	v_mov_b32_e32 v101, v99
	v_pk_add_f32 v[90:91], v[90:91], v[96:97]
	v_pk_fma_f32 v[96:97], v[174:175], v[154:155], v[102:103] neg_lo:[0,0,1] neg_hi:[0,0,1]
	v_mov_b32_e32 v97, v95
	v_pk_fma_f32 v[94:95], v[176:177], v[156:157], v[92:93] op_sel_hi:[1,0,1]
	s_wait_loadcnt_dscnt 0x100
	v_pk_mul_f32 v[98:99], v[230:231], v[226:227] op_sel:[1,1] op_sel_hi:[0,1]
	v_pk_add_f32 v[90:91], v[90:91], v[100:101]
	v_pk_fma_f32 v[92:93], v[176:177], v[156:157], v[92:93] neg_lo:[0,0,1] neg_hi:[0,0,1]
	v_mov_b32_e32 v93, v95
	s_delay_alu instid0(VALU_DEP_4) | instskip(NEXT) | instid1(VALU_DEP_4)
	v_pk_fma_f32 v[94:95], v[230:231], v[226:227], v[98:99] op_sel_hi:[1,0,1]
	v_pk_add_f32 v[90:91], v[90:91], v[96:97]
	v_pk_fma_f32 v[96:97], v[230:231], v[226:227], v[98:99] neg_lo:[0,0,1] neg_hi:[0,0,1]
	s_delay_alu instid0(VALU_DEP_3) | instskip(NEXT) | instid1(VALU_DEP_3)
	v_mov_b32_e32 v97, v95
	v_pk_add_f32 v[90:91], v[90:91], v[92:93]
	s_delay_alu instid0(VALU_DEP_1) | instskip(SKIP_1) | instid1(VALU_DEP_1)
	v_pk_add_f32 v[90:91], v[90:91], v[96:97]
	s_wait_loadcnt 0x0
	v_pk_add_f32 v[90:91], v[228:229], v[90:91] neg_lo:[0,1] neg_hi:[0,1]
	scratch_store_b64 off, v[90:91], off offset:64
	s_wait_xcnt 0x0
	v_cmpx_lt_u32_e32 7, v0
	s_cbranch_execz .LBB107_263
; %bb.262:
	scratch_load_b64 v[90:91], off, off offset:56
	v_mov_b64_e32 v[92:93], 0
	scratch_store_b64 off, v[92:93], off offset:56
	s_wait_loadcnt 0x0
	ds_store_b64 v1, v[90:91]
.LBB107_263:
	s_wait_xcnt 0x0
	s_or_b32 exec_lo, exec_lo, s0
	s_wait_storecnt_dscnt 0x0
	s_barrier_signal -1
	s_barrier_wait -1
	s_clause 0x12
	scratch_load_b128 v[90:93], off, off offset:64
	scratch_load_b128 v[94:97], off, off offset:80
	;; [unrolled: 1-line block ×18, first 2 shown]
	scratch_load_b64 v[234:235], off, off offset:56
	ds_load_b128 v[162:165], v7 offset:640
	ds_load_b128 v[166:169], v7 offset:656
	;; [unrolled: 1-line block ×18, first 2 shown]
	s_mov_b32 s0, exec_lo
	s_wait_dscnt 0x11
	v_dual_mov_b32 v236, v165 :: v_dual_mov_b32 v237, v164
	s_wait_dscnt 0x10
	v_dual_mov_b32 v238, v169 :: v_dual_mov_b32 v239, v168
	;; [unrolled: 2-line block ×4, first 2 shown]
	s_wait_loadcnt_dscnt 0x120d
	v_dual_mul_f32 v7, v178, v91 :: v_dual_mul_f32 v9, v180, v93
	v_dual_mul_f32 v59, v179, v91 :: v_dual_mul_f32 v61, v181, v93
	s_wait_loadcnt_dscnt 0x110c
	v_dual_mul_f32 v11, v182, v95 :: v_dual_mul_f32 v13, v184, v97
	s_delay_alu instid0(VALU_DEP_3) | instskip(SKIP_3) | instid1(VALU_DEP_3)
	v_dual_fmac_f32 v7, v179, v90 :: v_dual_fmac_f32 v9, v181, v92
	s_wait_loadcnt_dscnt 0xf0a
	v_dual_fma_f32 v59, v178, v90, -v59 :: v_dual_mul_f32 v71, v191, v103
	v_dual_mul_f32 v63, v183, v95 :: v_dual_mul_f32 v65, v185, v97
	v_dual_fma_f32 v61, v180, v92, -v61 :: v_dual_add_f32 v7, 0, v7
	s_delay_alu instid0(VALU_DEP_3) | instskip(SKIP_1) | instid1(VALU_DEP_3)
	v_dual_add_f32 v59, 0, v59 :: v_dual_mul_f32 v73, v193, v105
	v_dual_fmac_f32 v11, v183, v94 :: v_dual_fmac_f32 v13, v185, v96
	v_dual_fma_f32 v63, v182, v94, -v63 :: v_dual_add_f32 v7, v7, v9
	s_delay_alu instid0(VALU_DEP_3) | instskip(SKIP_2) | instid1(VALU_DEP_4)
	v_dual_add_f32 v9, v59, v61 :: v_dual_fma_f32 v61, v184, v96, -v65
	v_dual_mul_f32 v15, v186, v99 :: v_dual_mul_f32 v17, v188, v101
	v_dual_mul_f32 v67, v187, v99 :: v_dual_mul_f32 v69, v189, v101
	v_add_f32_e32 v7, v7, v11
	s_delay_alu instid0(VALU_DEP_3) | instskip(NEXT) | instid1(VALU_DEP_3)
	v_dual_add_f32 v9, v9, v63 :: v_dual_fmac_f32 v15, v187, v98
	v_fma_f32 v63, v186, v98, -v67
	v_dual_mul_f32 v19, v190, v103 :: v_dual_mul_f32 v21, v192, v105
	s_delay_alu instid0(VALU_DEP_4) | instskip(SKIP_2) | instid1(VALU_DEP_2)
	v_dual_add_f32 v7, v7, v13 :: v_dual_fmac_f32 v17, v189, v100
	s_wait_loadcnt_dscnt 0xd08
	v_dual_add_f32 v9, v9, v61 :: v_dual_mul_f32 v13, v199, v111
	v_dual_fma_f32 v61, v188, v100, -v69 :: v_dual_add_f32 v7, v7, v15
	v_mul_f32_e32 v15, v201, v113
	s_delay_alu instid0(VALU_DEP_3) | instskip(NEXT) | instid1(VALU_DEP_3)
	v_dual_add_f32 v9, v9, v63 :: v_dual_fmac_f32 v19, v191, v102
	v_dual_fma_f32 v63, v190, v102, -v71 :: v_dual_add_f32 v7, v7, v17
	v_fmac_f32_e32 v21, v193, v104
	s_wait_loadcnt_dscnt 0xc07
	s_delay_alu instid0(VALU_DEP_3) | instskip(SKIP_3) | instid1(VALU_DEP_3)
	v_dual_add_f32 v9, v9, v61 :: v_dual_mul_f32 v17, v203, v115
	v_dual_mul_f32 v23, v194, v107 :: v_dual_mul_f32 v25, v196, v109
	v_dual_mul_f32 v59, v195, v107 :: v_dual_mul_f32 v11, v197, v109
	v_dual_fma_f32 v61, v192, v104, -v73 :: v_dual_add_f32 v7, v7, v19
	v_dual_add_f32 v9, v9, v63 :: v_dual_fmac_f32 v23, v195, v106
	s_delay_alu instid0(VALU_DEP_3) | instskip(NEXT) | instid1(VALU_DEP_3)
	v_dual_mul_f32 v19, v205, v117 :: v_dual_fma_f32 v59, v194, v106, -v59
	v_dual_add_f32 v7, v7, v21 :: v_dual_fmac_f32 v25, v197, v108
	s_wait_loadcnt_dscnt 0xb06
	s_delay_alu instid0(VALU_DEP_3) | instskip(SKIP_1) | instid1(VALU_DEP_3)
	v_dual_add_f32 v9, v9, v61 :: v_dual_mul_f32 v21, v207, v119
	v_dual_mul_f32 v27, v198, v111 :: v_dual_mul_f32 v29, v200, v113
	v_dual_fma_f32 v11, v196, v108, -v11 :: v_dual_add_f32 v7, v7, v23
	s_delay_alu instid0(VALU_DEP_2) | instskip(SKIP_1) | instid1(VALU_DEP_2)
	v_dual_add_f32 v9, v9, v59 :: v_dual_fmac_f32 v27, v199, v110
	v_dual_mul_f32 v23, v209, v121 :: v_dual_fma_f32 v13, v198, v110, -v13
	v_dual_add_f32 v7, v7, v25 :: v_dual_add_f32 v9, v9, v11
	v_dual_mul_f32 v31, v202, v115 :: v_dual_mul_f32 v33, v204, v117
	s_wait_loadcnt_dscnt 0xa05
	v_dual_mul_f32 v11, v211, v123 :: v_dual_fmac_f32 v29, v201, v112
	s_delay_alu instid0(VALU_DEP_3) | instskip(NEXT) | instid1(VALU_DEP_3)
	v_dual_fma_f32 v15, v200, v112, -v15 :: v_dual_add_f32 v7, v7, v27
	v_dual_add_f32 v9, v9, v13 :: v_dual_fmac_f32 v31, v203, v114
	v_dual_mul_f32 v13, v213, v125 :: v_dual_fma_f32 v17, v202, v114, -v17
	s_delay_alu instid0(VALU_DEP_2) | instskip(SKIP_3) | instid1(VALU_DEP_3)
	v_dual_add_f32 v7, v7, v29 :: v_dual_add_f32 v9, v9, v15
	v_dual_mul_f32 v35, v206, v119 :: v_dual_mul_f32 v37, v208, v121
	s_wait_loadcnt_dscnt 0x904
	v_dual_mul_f32 v15, v215, v127 :: v_dual_fmac_f32 v33, v205, v116
	v_dual_fma_f32 v19, v204, v116, -v19 :: v_dual_add_f32 v7, v7, v31
	s_delay_alu instid0(VALU_DEP_3) | instskip(SKIP_1) | instid1(VALU_DEP_2)
	v_dual_add_f32 v9, v9, v17 :: v_dual_fmac_f32 v35, v207, v118
	v_dual_mul_f32 v17, v217, v129 :: v_dual_fma_f32 v21, v206, v118, -v21
	v_dual_add_f32 v7, v7, v33 :: v_dual_add_f32 v9, v9, v19
	v_dual_mul_f32 v39, v210, v123 :: v_dual_mul_f32 v41, v212, v125
	s_wait_loadcnt_dscnt 0x803
	v_dual_mul_f32 v19, v219, v131 :: v_dual_fmac_f32 v37, v209, v120
	s_delay_alu instid0(VALU_DEP_3) | instskip(NEXT) | instid1(VALU_DEP_3)
	v_dual_fma_f32 v23, v208, v120, -v23 :: v_dual_add_f32 v7, v7, v35
	v_dual_add_f32 v9, v9, v21 :: v_dual_fmac_f32 v39, v211, v122
	v_dual_mul_f32 v21, v221, v133 :: v_dual_fma_f32 v11, v210, v122, -v11
	s_delay_alu instid0(VALU_DEP_2) | instskip(SKIP_3) | instid1(VALU_DEP_3)
	v_dual_add_f32 v7, v7, v37 :: v_dual_add_f32 v9, v9, v23
	v_dual_mul_f32 v43, v214, v127 :: v_dual_mul_f32 v45, v216, v129
	s_wait_loadcnt_dscnt 0x702
	v_dual_mul_f32 v23, v223, v135 :: v_dual_fmac_f32 v41, v213, v124
	v_dual_fma_f32 v13, v212, v124, -v13 :: v_dual_add_f32 v7, v7, v39
	s_delay_alu instid0(VALU_DEP_3) | instskip(SKIP_1) | instid1(VALU_DEP_3)
	v_dual_add_f32 v9, v9, v11 :: v_dual_fmac_f32 v43, v215, v126
	v_dual_mul_f32 v11, v225, v137 :: v_dual_fma_f32 v15, v214, v126, -v15
	v_dual_add_f32 v7, v7, v41 :: v_dual_fmac_f32 v45, v217, v128
	s_wait_loadcnt_dscnt 0x601
	s_delay_alu instid0(VALU_DEP_3) | instskip(SKIP_1) | instid1(VALU_DEP_3)
	v_dual_add_f32 v9, v9, v13 :: v_dual_mul_f32 v13, v227, v139
	v_dual_mul_f32 v47, v218, v131 :: v_dual_mul_f32 v49, v220, v133
	v_dual_fma_f32 v17, v216, v128, -v17 :: v_dual_add_f32 v7, v7, v43
	s_delay_alu instid0(VALU_DEP_2) | instskip(SKIP_1) | instid1(VALU_DEP_3)
	v_dual_add_f32 v9, v9, v15 :: v_dual_fmac_f32 v47, v219, v130
	v_dual_mul_f32 v15, v229, v141 :: v_dual_fma_f32 v19, v218, v130, -v19
	v_dual_add_f32 v7, v7, v45 :: v_dual_fmac_f32 v49, v221, v132
	s_wait_loadcnt_dscnt 0x500
	s_delay_alu instid0(VALU_DEP_3) | instskip(SKIP_1) | instid1(VALU_DEP_3)
	v_dual_add_f32 v9, v9, v17 :: v_dual_mul_f32 v17, v231, v143
	v_dual_mul_f32 v51, v222, v135 :: v_dual_mul_f32 v53, v224, v137
	v_dual_fma_f32 v21, v220, v132, -v21 :: v_dual_add_f32 v7, v7, v47
	s_delay_alu instid0(VALU_DEP_2) | instskip(SKIP_1) | instid1(VALU_DEP_3)
	v_dual_add_f32 v9, v9, v19 :: v_dual_fmac_f32 v51, v223, v134
	v_dual_mul_f32 v19, v233, v145 :: v_dual_fma_f32 v23, v222, v134, -v23
	v_dual_add_f32 v7, v7, v49 :: v_dual_fmac_f32 v53, v225, v136
	s_delay_alu instid0(VALU_DEP_3) | instskip(SKIP_2) | instid1(VALU_DEP_3)
	v_dual_add_f32 v9, v9, v21 :: v_dual_fma_f32 v11, v224, v136, -v11
	v_dual_mul_f32 v55, v226, v139 :: v_dual_mul_f32 v57, v228, v141
	s_wait_loadcnt 0x4
	v_dual_add_f32 v7, v7, v51 :: v_dual_mov_b32 v92, v149
	s_delay_alu instid0(VALU_DEP_2) | instskip(NEXT) | instid1(VALU_DEP_2)
	v_dual_add_f32 v9, v9, v23 :: v_dual_fmac_f32 v55, v227, v138
	v_dual_fma_f32 v13, v226, v138, -v13 :: v_dual_add_f32 v7, v7, v53
	v_dual_mul_f32 v245, v230, v143 :: v_dual_mul_f32 v247, v232, v145
	s_delay_alu instid0(VALU_DEP_3) | instskip(NEXT) | instid1(VALU_DEP_3)
	v_dual_add_f32 v9, v9, v11 :: v_dual_fma_f32 v11, v228, v140, -v15
	v_dual_fmac_f32 v57, v229, v140 :: v_dual_add_f32 v7, v7, v55
	v_pk_mul_f32 v[90:91], v[162:163], v[146:147] op_sel:[1,1] op_sel_hi:[0,1]
	s_delay_alu instid0(VALU_DEP_3) | instskip(SKIP_2) | instid1(VALU_DEP_2)
	v_dual_add_f32 v9, v9, v13 :: v_dual_fmac_f32 v245, v231, v142
	s_wait_loadcnt 0x3
	v_dual_mov_b32 v96, v153 :: v_dual_fma_f32 v244, v230, v142, -v17
	v_dual_add_f32 v99, v7, v57 :: v_dual_add_f32 v98, v9, v11
	v_fmac_f32_e32 v247, v233, v144
	v_pk_fma_f32 v[100:101], v[162:163], v[146:147], v[90:91] op_sel_hi:[1,0,1]
	v_fma_f32 v246, v232, v144, -v19
	v_pk_mul_f32 v[92:93], v[236:237], v[92:93] op_sel_hi:[1,0]
	v_pk_add_f32 v[98:99], v[98:99], v[244:245]
	v_pk_fma_f32 v[90:91], v[162:163], v[146:147], v[90:91] neg_lo:[0,0,1] neg_hi:[0,0,1]
	v_pk_mul_f32 v[94:95], v[166:167], v[150:151] op_sel:[1,1] op_sel_hi:[0,1]
	v_mov_b32_e32 v91, v101
	v_pk_fma_f32 v[100:101], v[164:165], v[148:149], v[92:93] op_sel_hi:[1,0,1]
	v_pk_add_f32 v[98:99], v[98:99], v[246:247]
	v_pk_fma_f32 v[92:93], v[164:165], v[148:149], v[92:93] neg_lo:[0,0,1] neg_hi:[0,0,1]
	v_pk_fma_f32 v[104:105], v[166:167], v[150:151], v[94:95] op_sel_hi:[1,0,1]
	v_pk_mul_f32 v[96:97], v[238:239], v[96:97] op_sel_hi:[1,0]
	v_mov_b32_e32 v93, v101
	v_pk_add_f32 v[90:91], v[98:99], v[90:91]
	s_wait_loadcnt 0x2
	v_pk_mul_f32 v[102:103], v[170:171], v[154:155] op_sel:[1,1] op_sel_hi:[0,1]
	v_mov_b32_e32 v98, v157
	v_pk_fma_f32 v[94:95], v[166:167], v[150:151], v[94:95] neg_lo:[0,0,1] neg_hi:[0,0,1]
	v_pk_fma_f32 v[100:101], v[168:169], v[152:153], v[96:97] op_sel_hi:[1,0,1]
	v_mov_b32_e32 v95, v105
	v_pk_add_f32 v[90:91], v[90:91], v[92:93]
	v_pk_fma_f32 v[92:93], v[170:171], v[154:155], v[102:103] op_sel_hi:[1,0,1]
	v_pk_mul_f32 v[98:99], v[240:241], v[98:99] op_sel_hi:[1,0]
	v_pk_fma_f32 v[96:97], v[168:169], v[152:153], v[96:97] neg_lo:[0,0,1] neg_hi:[0,0,1]
	v_mov_b32_e32 v97, v101
	v_pk_add_f32 v[90:91], v[90:91], v[94:95]
	v_pk_fma_f32 v[100:101], v[170:171], v[154:155], v[102:103] neg_lo:[0,0,1] neg_hi:[0,0,1]
	v_mov_b32_e32 v101, v93
	v_pk_fma_f32 v[92:93], v[172:173], v[156:157], v[98:99] op_sel_hi:[1,0,1]
	s_wait_loadcnt 0x1
	v_pk_mul_f32 v[94:95], v[174:175], v[158:159] op_sel:[1,1] op_sel_hi:[0,1]
	v_pk_add_f32 v[90:91], v[90:91], v[96:97]
	v_mov_b32_e32 v92, v161
	v_pk_fma_f32 v[98:99], v[172:173], v[156:157], v[98:99] neg_lo:[0,0,1] neg_hi:[0,0,1]
	s_delay_alu instid0(VALU_DEP_4)
	v_pk_fma_f32 v[96:97], v[174:175], v[158:159], v[94:95] op_sel_hi:[1,0,1]
	v_mov_b32_e32 v99, v93
	v_pk_add_f32 v[90:91], v[90:91], v[100:101]
	v_pk_mul_f32 v[92:93], v[242:243], v[92:93] op_sel_hi:[1,0]
	v_pk_fma_f32 v[94:95], v[174:175], v[158:159], v[94:95] neg_lo:[0,0,1] neg_hi:[0,0,1]
	v_mov_b32_e32 v95, v97
	s_delay_alu instid0(VALU_DEP_4) | instskip(NEXT) | instid1(VALU_DEP_4)
	v_pk_add_f32 v[90:91], v[90:91], v[98:99]
	v_pk_fma_f32 v[96:97], v[176:177], v[160:161], v[92:93] op_sel_hi:[1,0,1]
	v_pk_fma_f32 v[92:93], v[176:177], v[160:161], v[92:93] neg_lo:[0,0,1] neg_hi:[0,0,1]
	s_delay_alu instid0(VALU_DEP_3) | instskip(NEXT) | instid1(VALU_DEP_3)
	v_pk_add_f32 v[90:91], v[90:91], v[94:95]
	v_mov_b32_e32 v93, v97
	s_delay_alu instid0(VALU_DEP_1) | instskip(SKIP_1) | instid1(VALU_DEP_1)
	v_pk_add_f32 v[90:91], v[90:91], v[92:93]
	s_wait_loadcnt 0x0
	v_pk_add_f32 v[90:91], v[234:235], v[90:91] neg_lo:[0,1] neg_hi:[0,1]
	scratch_store_b64 off, v[90:91], off offset:56
	s_wait_xcnt 0x0
	v_cmpx_lt_u32_e32 6, v0
	s_cbranch_execz .LBB107_265
; %bb.264:
	scratch_load_b64 v[90:91], off, off offset:48
	v_mov_b64_e32 v[92:93], 0
	scratch_store_b64 off, v[92:93], off offset:48
	s_wait_loadcnt 0x0
	ds_store_b64 v1, v[90:91]
.LBB107_265:
	s_wait_xcnt 0x0
	s_or_b32 exec_lo, exec_lo, s0
	s_wait_storecnt_dscnt 0x0
	s_barrier_signal -1
	s_barrier_wait -1
	s_clause 0x13
	scratch_load_b128 v[90:93], off, off offset:56
	scratch_load_b128 v[94:97], off, off offset:72
	;; [unrolled: 1-line block ×18, first 2 shown]
	scratch_load_b64 v[234:235], off, off offset:344
	scratch_load_b64 v[236:237], off, off offset:48
	v_mov_b32_e32 v7, 0
	ds_load_2addr_b64 v[162:165], v7 offset0:79 offset1:80
	ds_load_2addr_b64 v[166:169], v7 offset0:81 offset1:82
	;; [unrolled: 1-line block ×18, first 2 shown]
	ds_load_b64 v[238:239], v7 offset:696
	s_mov_b32 s0, exec_lo
	s_wait_dscnt 0x12
	v_dual_mov_b32 v240, v165 :: v_dual_mov_b32 v241, v164
	s_wait_dscnt 0x11
	v_dual_mov_b32 v242, v169 :: v_dual_mov_b32 v243, v168
	;; [unrolled: 2-line block ×3, first 2 shown]
	v_dual_mov_b32 v245, v172 :: v_dual_mov_b32 v246, v185
	s_wait_loadcnt 0x13
	v_dual_mul_f32 v9, v174, v91 :: v_dual_mul_f32 v63, v175, v91
	v_dual_mul_f32 v65, v177, v93 :: v_dual_mul_f32 v11, v176, v93
	s_wait_loadcnt 0x12
	v_mul_f32_e32 v13, v178, v95
	s_wait_loadcnt_dscnt 0x100b
	v_dual_mul_f32 v75, v191, v103 :: v_dual_fma_f32 v63, v174, v90, -v63
	v_dual_fmac_f32 v9, v175, v90 :: v_dual_mul_f32 v77, v193, v105
	v_dual_mul_f32 v67, v179, v95 :: v_dual_mul_f32 v69, v181, v97
	v_dual_fmac_f32 v11, v177, v92 :: v_dual_fma_f32 v65, v176, v92, -v65
	s_delay_alu instid0(VALU_DEP_3) | instskip(SKIP_3) | instid1(VALU_DEP_3)
	v_dual_add_f32 v9, 0, v9 :: v_dual_add_f32 v63, 0, v63
	v_dual_mul_f32 v15, v180, v97 :: v_dual_mul_f32 v17, v186, v99
	s_wait_loadcnt_dscnt 0xf0a
	v_dual_mul_f32 v79, v195, v107 :: v_dual_fma_f32 v67, v178, v94, -v67
	v_dual_fmac_f32 v13, v179, v94 :: v_dual_add_f32 v9, v9, v11
	s_delay_alu instid0(VALU_DEP_3) | instskip(SKIP_2) | instid1(VALU_DEP_3)
	v_dual_add_f32 v11, v63, v65 :: v_dual_fmac_f32 v15, v181, v96
	v_dual_mul_f32 v71, v187, v99 :: v_dual_mul_f32 v73, v189, v101
	v_dual_mul_f32 v63, v197, v109 :: v_dual_fma_f32 v65, v180, v96, -v69
	v_dual_add_f32 v9, v9, v13 :: v_dual_add_f32 v11, v11, v67
	v_dual_mul_f32 v19, v188, v101 :: v_dual_mul_f32 v21, v190, v103
	s_wait_loadcnt_dscnt 0xe09
	v_dual_mul_f32 v13, v199, v111 :: v_dual_fma_f32 v67, v186, v98, -v71
	s_delay_alu instid0(VALU_DEP_3) | instskip(NEXT) | instid1(VALU_DEP_3)
	v_dual_fmac_f32 v17, v187, v98 :: v_dual_add_f32 v9, v9, v15
	v_dual_add_f32 v11, v11, v65 :: v_dual_fmac_f32 v19, v189, v100
	v_dual_mul_f32 v15, v201, v113 :: v_dual_fma_f32 v65, v188, v100, -v73
	s_delay_alu instid0(VALU_DEP_2) | instskip(SKIP_3) | instid1(VALU_DEP_3)
	v_dual_add_f32 v9, v9, v17 :: v_dual_add_f32 v11, v11, v67
	v_dual_mul_f32 v23, v192, v105 :: v_dual_mul_f32 v25, v194, v107
	s_wait_loadcnt_dscnt 0xd08
	v_dual_mul_f32 v17, v203, v115 :: v_dual_fma_f32 v67, v190, v102, -v75
	v_dual_fmac_f32 v21, v191, v102 :: v_dual_add_f32 v9, v9, v19
	s_delay_alu instid0(VALU_DEP_3) | instskip(SKIP_1) | instid1(VALU_DEP_2)
	v_dual_add_f32 v11, v11, v65 :: v_dual_fmac_f32 v23, v193, v104
	v_dual_mul_f32 v19, v205, v117 :: v_dual_fma_f32 v65, v192, v104, -v77
	v_dual_add_f32 v9, v9, v21 :: v_dual_add_f32 v11, v11, v67
	v_dual_mul_f32 v27, v196, v109 :: v_dual_mul_f32 v29, v198, v111
	s_wait_loadcnt_dscnt 0xc07
	v_dual_mul_f32 v21, v207, v119 :: v_dual_fma_f32 v67, v194, v106, -v79
	s_delay_alu instid0(VALU_DEP_3) | instskip(NEXT) | instid1(VALU_DEP_3)
	v_dual_fmac_f32 v25, v195, v106 :: v_dual_add_f32 v9, v9, v23
	v_dual_add_f32 v11, v11, v65 :: v_dual_fmac_f32 v27, v197, v108
	v_dual_mul_f32 v23, v209, v121 :: v_dual_fma_f32 v63, v196, v108, -v63
	s_delay_alu instid0(VALU_DEP_2) | instskip(SKIP_3) | instid1(VALU_DEP_3)
	v_dual_add_f32 v9, v9, v25 :: v_dual_add_f32 v11, v11, v67
	v_dual_mul_f32 v31, v200, v113 :: v_dual_mul_f32 v33, v202, v115
	s_wait_loadcnt_dscnt 0xb06
	v_dual_mul_f32 v25, v211, v123 :: v_dual_fma_f32 v13, v198, v110, -v13
	v_dual_fmac_f32 v29, v199, v110 :: v_dual_add_f32 v9, v9, v27
	v_dual_add_f32 v11, v11, v63 :: v_dual_mul_f32 v27, v213, v125
	v_fmac_f32_e32 v31, v201, v112
	s_delay_alu instid0(VALU_DEP_3) | instskip(NEXT) | instid1(VALU_DEP_3)
	v_dual_fma_f32 v15, v200, v112, -v15 :: v_dual_add_f32 v9, v9, v29
	v_add_f32_e32 v11, v11, v13
	v_dual_mul_f32 v35, v204, v117 :: v_dual_mul_f32 v37, v206, v119
	s_wait_loadcnt_dscnt 0xa05
	v_dual_mul_f32 v13, v215, v127 :: v_dual_fma_f32 v17, v202, v114, -v17
	v_dual_fmac_f32 v33, v203, v114 :: v_dual_add_f32 v9, v9, v31
	v_dual_add_f32 v11, v11, v15 :: v_dual_mul_f32 v15, v217, v129
	v_fmac_f32_e32 v35, v205, v116
	s_delay_alu instid0(VALU_DEP_3) | instskip(NEXT) | instid1(VALU_DEP_3)
	v_dual_fma_f32 v19, v204, v116, -v19 :: v_dual_add_f32 v9, v9, v33
	v_add_f32_e32 v11, v11, v17
	;; [unrolled: 9-line block ×6, first 2 shown]
	v_dual_mul_f32 v55, v224, v137 :: v_dual_mul_f32 v57, v226, v139
	s_wait_loadcnt 0x5
	v_dual_mul_f32 v17, v163, v147 :: v_dual_fma_f32 v21, v222, v134, -v21
	v_dual_fmac_f32 v53, v223, v134 :: v_dual_add_f32 v9, v9, v51
	v_dual_add_f32 v11, v11, v19 :: v_dual_mov_b32 v90, v149
	v_fmac_f32_e32 v55, v225, v136
	s_delay_alu instid0(VALU_DEP_3) | instskip(NEXT) | instid1(VALU_DEP_3)
	v_dual_fma_f32 v19, v224, v136, -v23 :: v_dual_add_f32 v9, v9, v53
	v_add_f32_e32 v11, v11, v21
	v_dual_mul_f32 v59, v228, v141 :: v_dual_mul_f32 v61, v230, v143
	s_delay_alu instid0(VALU_DEP_3) | instskip(NEXT) | instid1(VALU_DEP_3)
	v_dual_fmac_f32 v57, v227, v138 :: v_dual_add_f32 v9, v9, v55
	v_dual_fma_f32 v21, v226, v138, -v25 :: v_dual_add_f32 v11, v11, v19
	s_wait_loadcnt 0x4
	v_dual_mov_b32 v94, v153 :: v_dual_fma_f32 v19, v228, v140, -v27
	v_fmac_f32_e32 v59, v229, v140
	v_dual_add_f32 v9, v9, v57 :: v_dual_fmac_f32 v61, v231, v142
	v_add_f32_e32 v11, v11, v21
	v_dual_mul_f32 v249, v232, v145 :: v_dual_mul_f32 v251, v162, v147
	s_delay_alu instid0(VALU_DEP_3) | instskip(NEXT) | instid1(VALU_DEP_2)
	v_dual_fma_f32 v13, v230, v142, -v13 :: v_dual_add_f32 v9, v9, v59
	v_dual_add_f32 v11, v11, v19 :: v_dual_fmac_f32 v249, v233, v144
	v_fma_f32 v248, v232, v144, -v15
	v_pk_mul_f32 v[90:91], v[240:241], v[90:91] op_sel_hi:[1,0]
	s_delay_alu instid0(VALU_DEP_4)
	v_add_f32_e32 v99, v9, v61
	s_wait_loadcnt 0x3
	v_dual_add_f32 v98, v11, v13 :: v_dual_mov_b32 v100, v157
	v_pk_mul_f32 v[92:93], v[166:167], v[150:151] op_sel:[1,1] op_sel_hi:[0,1]
	v_dual_fmac_f32 v251, v163, v146 :: v_dual_fma_f32 v250, v162, v146, -v17
	v_pk_fma_f32 v[102:103], v[164:165], v[148:149], v[90:91] op_sel_hi:[1,0,1]
	s_delay_alu instid0(VALU_DEP_4)
	v_pk_add_f32 v[98:99], v[98:99], v[248:249]
	v_pk_fma_f32 v[90:91], v[164:165], v[148:149], v[90:91] neg_lo:[0,0,1] neg_hi:[0,0,1]
	v_pk_fma_f32 v[104:105], v[166:167], v[150:151], v[92:93] op_sel_hi:[1,0,1]
	v_pk_mul_f32 v[94:95], v[242:243], v[94:95] op_sel_hi:[1,0]
	v_mov_b32_e32 v91, v103
	v_pk_add_f32 v[98:99], v[98:99], v[250:251]
	v_pk_fma_f32 v[92:93], v[166:167], v[150:151], v[92:93] neg_lo:[0,0,1] neg_hi:[0,0,1]
	v_pk_mul_f32 v[96:97], v[170:171], v[154:155] op_sel:[1,1] op_sel_hi:[0,1]
	v_mov_b32_e32 v93, v105
	v_pk_fma_f32 v[104:105], v[168:169], v[152:153], v[94:95] op_sel_hi:[1,0,1]
	v_pk_add_f32 v[90:91], v[98:99], v[90:91]
	v_pk_fma_f32 v[94:95], v[168:169], v[152:153], v[94:95] neg_lo:[0,0,1] neg_hi:[0,0,1]
	v_pk_fma_f32 v[98:99], v[170:171], v[154:155], v[96:97] op_sel_hi:[1,0,1]
	v_pk_mul_f32 v[100:101], v[244:245], v[100:101] op_sel_hi:[1,0]
	v_mov_b32_e32 v95, v105
	v_pk_add_f32 v[90:91], v[90:91], v[92:93]
	v_pk_fma_f32 v[96:97], v[170:171], v[154:155], v[96:97] neg_lo:[0,0,1] neg_hi:[0,0,1]
	s_wait_loadcnt 0x2
	v_pk_mul_f32 v[102:103], v[182:183], v[158:159] op_sel:[1,1] op_sel_hi:[0,1]
	v_dual_mov_b32 v92, v161 :: v_dual_mov_b32 v97, v99
	v_pk_fma_f32 v[98:99], v[172:173], v[156:157], v[100:101] op_sel_hi:[1,0,1]
	v_pk_add_f32 v[90:91], v[90:91], v[94:95]
	v_pk_fma_f32 v[100:101], v[172:173], v[156:157], v[100:101] neg_lo:[0,0,1] neg_hi:[0,0,1]
	v_pk_fma_f32 v[94:95], v[182:183], v[158:159], v[102:103] op_sel_hi:[1,0,1]
	v_pk_mul_f32 v[92:93], v[246:247], v[92:93] op_sel_hi:[1,0]
	v_mov_b32_e32 v101, v99
	v_pk_add_f32 v[90:91], v[90:91], v[96:97]
	v_pk_fma_f32 v[96:97], v[182:183], v[158:159], v[102:103] neg_lo:[0,0,1] neg_hi:[0,0,1]
	v_mov_b32_e32 v97, v95
	v_pk_fma_f32 v[94:95], v[184:185], v[160:161], v[92:93] op_sel_hi:[1,0,1]
	s_wait_loadcnt_dscnt 0x100
	v_pk_mul_f32 v[98:99], v[238:239], v[234:235] op_sel:[1,1] op_sel_hi:[0,1]
	v_pk_add_f32 v[90:91], v[90:91], v[100:101]
	v_pk_fma_f32 v[92:93], v[184:185], v[160:161], v[92:93] neg_lo:[0,0,1] neg_hi:[0,0,1]
	v_mov_b32_e32 v93, v95
	s_delay_alu instid0(VALU_DEP_4) | instskip(NEXT) | instid1(VALU_DEP_4)
	v_pk_fma_f32 v[94:95], v[238:239], v[234:235], v[98:99] op_sel_hi:[1,0,1]
	v_pk_add_f32 v[90:91], v[90:91], v[96:97]
	v_pk_fma_f32 v[96:97], v[238:239], v[234:235], v[98:99] neg_lo:[0,0,1] neg_hi:[0,0,1]
	s_delay_alu instid0(VALU_DEP_3) | instskip(NEXT) | instid1(VALU_DEP_3)
	v_mov_b32_e32 v97, v95
	v_pk_add_f32 v[90:91], v[90:91], v[92:93]
	s_delay_alu instid0(VALU_DEP_1) | instskip(SKIP_1) | instid1(VALU_DEP_1)
	v_pk_add_f32 v[90:91], v[90:91], v[96:97]
	s_wait_loadcnt 0x0
	v_pk_add_f32 v[90:91], v[236:237], v[90:91] neg_lo:[0,1] neg_hi:[0,1]
	scratch_store_b64 off, v[90:91], off offset:48
	s_wait_xcnt 0x0
	v_cmpx_lt_u32_e32 5, v0
	s_cbranch_execz .LBB107_267
; %bb.266:
	scratch_load_b64 v[90:91], off, off offset:40
	v_mov_b64_e32 v[92:93], 0
	scratch_store_b64 off, v[92:93], off offset:40
	s_wait_loadcnt 0x0
	ds_store_b64 v1, v[90:91]
.LBB107_267:
	s_wait_xcnt 0x0
	s_or_b32 exec_lo, exec_lo, s0
	s_wait_storecnt_dscnt 0x0
	s_barrier_signal -1
	s_barrier_wait -1
	s_clause 0x13
	scratch_load_b128 v[90:93], off, off offset:48
	scratch_load_b128 v[94:97], off, off offset:64
	;; [unrolled: 1-line block ×19, first 2 shown]
	scratch_load_b64 v[242:243], off, off offset:40
	ds_load_b128 v[166:169], v7 offset:640
	ds_load_b128 v[170:173], v7 offset:656
	ds_load_b128 v[174:177], v7 offset:624
	ds_load_b128 v[178:181], v7 offset:672
	ds_load_b128 v[182:185], v7 offset:688
	ds_load_b128 v[186:189], v7 offset:400
	ds_load_b128 v[190:193], v7 offset:416
	ds_load_b128 v[194:197], v7 offset:432
	ds_load_b128 v[198:201], v7 offset:448
	ds_load_b128 v[202:205], v7 offset:464
	ds_load_b128 v[206:209], v7 offset:480
	ds_load_b128 v[210:213], v7 offset:496
	ds_load_b128 v[214:217], v7 offset:512
	ds_load_b128 v[218:221], v7 offset:528
	ds_load_b128 v[222:225], v7 offset:544
	ds_load_b128 v[226:229], v7 offset:560
	ds_load_b128 v[230:233], v7 offset:576
	ds_load_b128 v[234:237], v7 offset:592
	ds_load_b128 v[238:241], v7 offset:608
	s_mov_b32 s0, exec_lo
	s_wait_dscnt 0x12
	v_dual_mov_b32 v244, v169 :: v_dual_mov_b32 v245, v168
	s_wait_dscnt 0x11
	v_dual_mov_b32 v246, v173 :: v_dual_mov_b32 v247, v172
	;; [unrolled: 2-line block ×4, first 2 shown]
	s_wait_loadcnt_dscnt 0x130d
	v_dual_mul_f32 v7, v186, v91 :: v_dual_mul_f32 v9, v188, v93
	v_dual_mul_f32 v63, v187, v91 :: v_dual_mul_f32 v65, v189, v93
	s_wait_loadcnt_dscnt 0x120c
	v_dual_mul_f32 v11, v190, v95 :: v_dual_mul_f32 v13, v192, v97
	s_delay_alu instid0(VALU_DEP_3) | instskip(SKIP_3) | instid1(VALU_DEP_3)
	v_dual_fmac_f32 v7, v187, v90 :: v_dual_fmac_f32 v9, v189, v92
	s_wait_loadcnt_dscnt 0x100a
	v_dual_fma_f32 v63, v186, v90, -v63 :: v_dual_mul_f32 v75, v199, v103
	v_dual_mul_f32 v67, v191, v95 :: v_dual_mul_f32 v69, v193, v97
	v_dual_fma_f32 v65, v188, v92, -v65 :: v_dual_add_f32 v7, 0, v7
	s_delay_alu instid0(VALU_DEP_3) | instskip(SKIP_1) | instid1(VALU_DEP_3)
	v_dual_add_f32 v63, 0, v63 :: v_dual_mul_f32 v77, v201, v105
	v_dual_fmac_f32 v11, v191, v94 :: v_dual_fmac_f32 v13, v193, v96
	v_dual_fma_f32 v67, v190, v94, -v67 :: v_dual_add_f32 v7, v7, v9
	s_delay_alu instid0(VALU_DEP_3) | instskip(SKIP_2) | instid1(VALU_DEP_4)
	v_dual_add_f32 v9, v63, v65 :: v_dual_fma_f32 v65, v192, v96, -v69
	v_dual_mul_f32 v15, v194, v99 :: v_dual_mul_f32 v17, v196, v101
	v_dual_mul_f32 v71, v195, v99 :: v_dual_mul_f32 v73, v197, v101
	v_add_f32_e32 v7, v7, v11
	s_delay_alu instid0(VALU_DEP_3) | instskip(NEXT) | instid1(VALU_DEP_3)
	v_dual_add_f32 v9, v9, v67 :: v_dual_fmac_f32 v15, v195, v98
	v_fma_f32 v67, v194, v98, -v71
	v_dual_mul_f32 v19, v198, v103 :: v_dual_mul_f32 v21, v200, v105
	s_delay_alu instid0(VALU_DEP_4) | instskip(SKIP_2) | instid1(VALU_DEP_2)
	v_dual_add_f32 v7, v7, v13 :: v_dual_fmac_f32 v17, v197, v100
	s_wait_loadcnt_dscnt 0xe08
	v_dual_add_f32 v9, v9, v65 :: v_dual_mul_f32 v13, v207, v111
	v_dual_fma_f32 v65, v196, v100, -v73 :: v_dual_add_f32 v7, v7, v15
	v_mul_f32_e32 v15, v209, v113
	s_delay_alu instid0(VALU_DEP_3) | instskip(NEXT) | instid1(VALU_DEP_3)
	v_dual_add_f32 v9, v9, v67 :: v_dual_fmac_f32 v19, v199, v102
	v_dual_fma_f32 v67, v198, v102, -v75 :: v_dual_add_f32 v7, v7, v17
	v_fmac_f32_e32 v21, v201, v104
	s_wait_loadcnt_dscnt 0xd07
	s_delay_alu instid0(VALU_DEP_3) | instskip(SKIP_3) | instid1(VALU_DEP_3)
	v_dual_add_f32 v9, v9, v65 :: v_dual_mul_f32 v17, v211, v115
	v_dual_mul_f32 v23, v202, v107 :: v_dual_mul_f32 v25, v204, v109
	v_dual_mul_f32 v63, v203, v107 :: v_dual_mul_f32 v11, v205, v109
	v_dual_fma_f32 v65, v200, v104, -v77 :: v_dual_add_f32 v7, v7, v19
	v_dual_add_f32 v9, v9, v67 :: v_dual_fmac_f32 v23, v203, v106
	s_delay_alu instid0(VALU_DEP_3) | instskip(NEXT) | instid1(VALU_DEP_3)
	v_dual_mul_f32 v19, v213, v117 :: v_dual_fma_f32 v63, v202, v106, -v63
	v_dual_add_f32 v7, v7, v21 :: v_dual_fmac_f32 v25, v205, v108
	s_wait_loadcnt_dscnt 0xc06
	s_delay_alu instid0(VALU_DEP_3) | instskip(SKIP_1) | instid1(VALU_DEP_3)
	v_dual_add_f32 v9, v9, v65 :: v_dual_mul_f32 v21, v215, v119
	v_dual_mul_f32 v27, v206, v111 :: v_dual_mul_f32 v29, v208, v113
	v_dual_fma_f32 v11, v204, v108, -v11 :: v_dual_add_f32 v7, v7, v23
	s_delay_alu instid0(VALU_DEP_2) | instskip(SKIP_1) | instid1(VALU_DEP_2)
	v_dual_add_f32 v9, v9, v63 :: v_dual_fmac_f32 v27, v207, v110
	v_dual_mul_f32 v23, v217, v121 :: v_dual_fma_f32 v13, v206, v110, -v13
	v_dual_add_f32 v7, v7, v25 :: v_dual_add_f32 v9, v9, v11
	v_dual_mul_f32 v31, v210, v115 :: v_dual_mul_f32 v33, v212, v117
	s_wait_loadcnt_dscnt 0xb05
	v_dual_mul_f32 v11, v219, v123 :: v_dual_fmac_f32 v29, v209, v112
	s_delay_alu instid0(VALU_DEP_3) | instskip(NEXT) | instid1(VALU_DEP_3)
	v_dual_fma_f32 v15, v208, v112, -v15 :: v_dual_add_f32 v7, v7, v27
	v_dual_add_f32 v9, v9, v13 :: v_dual_fmac_f32 v31, v211, v114
	v_dual_mul_f32 v13, v221, v125 :: v_dual_fma_f32 v17, v210, v114, -v17
	s_delay_alu instid0(VALU_DEP_2) | instskip(SKIP_3) | instid1(VALU_DEP_3)
	v_dual_add_f32 v7, v7, v29 :: v_dual_add_f32 v9, v9, v15
	v_dual_mul_f32 v35, v214, v119 :: v_dual_mul_f32 v37, v216, v121
	s_wait_loadcnt_dscnt 0xa04
	v_dual_mul_f32 v15, v223, v127 :: v_dual_fmac_f32 v33, v213, v116
	v_dual_fma_f32 v19, v212, v116, -v19 :: v_dual_add_f32 v7, v7, v31
	s_delay_alu instid0(VALU_DEP_3) | instskip(SKIP_1) | instid1(VALU_DEP_2)
	v_dual_add_f32 v9, v9, v17 :: v_dual_fmac_f32 v35, v215, v118
	v_dual_mul_f32 v17, v225, v129 :: v_dual_fma_f32 v21, v214, v118, -v21
	v_dual_add_f32 v7, v7, v33 :: v_dual_add_f32 v9, v9, v19
	v_dual_mul_f32 v39, v218, v123 :: v_dual_mul_f32 v41, v220, v125
	s_wait_loadcnt_dscnt 0x903
	v_dual_mul_f32 v19, v227, v131 :: v_dual_fmac_f32 v37, v217, v120
	s_delay_alu instid0(VALU_DEP_3) | instskip(NEXT) | instid1(VALU_DEP_3)
	v_dual_fma_f32 v23, v216, v120, -v23 :: v_dual_add_f32 v7, v7, v35
	v_dual_add_f32 v9, v9, v21 :: v_dual_fmac_f32 v39, v219, v122
	v_dual_mul_f32 v21, v229, v133 :: v_dual_fma_f32 v11, v218, v122, -v11
	s_delay_alu instid0(VALU_DEP_2) | instskip(SKIP_3) | instid1(VALU_DEP_3)
	v_dual_add_f32 v7, v7, v37 :: v_dual_add_f32 v9, v9, v23
	v_dual_mul_f32 v43, v222, v127 :: v_dual_mul_f32 v45, v224, v129
	s_wait_loadcnt_dscnt 0x802
	v_dual_mul_f32 v23, v231, v135 :: v_dual_fmac_f32 v41, v221, v124
	v_dual_fma_f32 v13, v220, v124, -v13 :: v_dual_add_f32 v7, v7, v39
	s_delay_alu instid0(VALU_DEP_3) | instskip(SKIP_1) | instid1(VALU_DEP_3)
	v_dual_add_f32 v9, v9, v11 :: v_dual_fmac_f32 v43, v223, v126
	v_dual_mul_f32 v11, v233, v137 :: v_dual_fma_f32 v15, v222, v126, -v15
	v_dual_add_f32 v7, v7, v41 :: v_dual_fmac_f32 v45, v225, v128
	s_wait_loadcnt_dscnt 0x701
	s_delay_alu instid0(VALU_DEP_3) | instskip(SKIP_1) | instid1(VALU_DEP_3)
	v_dual_add_f32 v9, v9, v13 :: v_dual_mul_f32 v13, v235, v139
	v_dual_mul_f32 v47, v226, v131 :: v_dual_mul_f32 v49, v228, v133
	v_dual_fma_f32 v17, v224, v128, -v17 :: v_dual_add_f32 v7, v7, v43
	s_delay_alu instid0(VALU_DEP_2) | instskip(SKIP_1) | instid1(VALU_DEP_3)
	v_dual_add_f32 v9, v9, v15 :: v_dual_fmac_f32 v47, v227, v130
	v_dual_mul_f32 v15, v237, v141 :: v_dual_fma_f32 v19, v226, v130, -v19
	v_dual_add_f32 v7, v7, v45 :: v_dual_fmac_f32 v49, v229, v132
	s_wait_loadcnt_dscnt 0x600
	s_delay_alu instid0(VALU_DEP_3) | instskip(SKIP_1) | instid1(VALU_DEP_3)
	v_dual_add_f32 v9, v9, v17 :: v_dual_mul_f32 v17, v239, v143
	v_dual_mul_f32 v51, v230, v135 :: v_dual_mul_f32 v53, v232, v137
	v_dual_fma_f32 v21, v228, v132, -v21 :: v_dual_add_f32 v7, v7, v47
	s_delay_alu instid0(VALU_DEP_2) | instskip(SKIP_1) | instid1(VALU_DEP_3)
	v_dual_add_f32 v9, v9, v19 :: v_dual_fmac_f32 v51, v231, v134
	v_dual_mul_f32 v19, v241, v145 :: v_dual_fma_f32 v23, v230, v134, -v23
	v_dual_add_f32 v7, v7, v49 :: v_dual_fmac_f32 v53, v233, v136
	s_wait_loadcnt 0x5
	s_delay_alu instid0(VALU_DEP_3) | instskip(SKIP_1) | instid1(VALU_DEP_3)
	v_dual_add_f32 v9, v9, v21 :: v_dual_mul_f32 v21, v175, v147
	v_dual_mul_f32 v55, v234, v139 :: v_dual_mul_f32 v57, v236, v141
	v_dual_fma_f32 v11, v232, v136, -v11 :: v_dual_add_f32 v7, v7, v51
	s_delay_alu instid0(VALU_DEP_2) | instskip(SKIP_1) | instid1(VALU_DEP_2)
	v_dual_add_f32 v9, v9, v23 :: v_dual_fmac_f32 v55, v235, v138
	v_dual_mul_f32 v23, v177, v149 :: v_dual_fma_f32 v13, v234, v138, -v13
	v_dual_add_f32 v7, v7, v53 :: v_dual_add_f32 v9, v9, v11
	v_dual_mul_f32 v59, v238, v143 :: v_dual_mul_f32 v61, v240, v145
	v_dual_fmac_f32 v57, v237, v140 :: v_dual_fma_f32 v11, v236, v140, -v15
	s_delay_alu instid0(VALU_DEP_3) | instskip(SKIP_1) | instid1(VALU_DEP_3)
	v_dual_add_f32 v7, v7, v55 :: v_dual_add_f32 v9, v9, v13
	s_wait_loadcnt 0x4
	v_dual_mov_b32 v92, v153 :: v_dual_fmac_f32 v59, v239, v142
	s_delay_alu instid0(VALU_DEP_2) | instskip(NEXT) | instid1(VALU_DEP_3)
	v_dual_fma_f32 v13, v238, v142, -v17 :: v_dual_add_f32 v7, v7, v57
	v_dual_add_f32 v9, v9, v11 :: v_dual_fma_f32 v11, v240, v144, -v19
	v_dual_mul_f32 v253, v174, v147 :: v_dual_mul_f32 v255, v176, v149
	s_delay_alu instid0(VALU_DEP_3) | instskip(NEXT) | instid1(VALU_DEP_2)
	v_dual_fmac_f32 v61, v241, v144 :: v_dual_add_f32 v7, v7, v59
	v_dual_add_f32 v9, v9, v13 :: v_dual_fmac_f32 v253, v175, v146
	v_pk_mul_f32 v[90:91], v[166:167], v[150:151] op_sel:[1,1] op_sel_hi:[0,1]
	s_wait_loadcnt 0x3
	v_dual_mov_b32 v96, v157 :: v_dual_fma_f32 v252, v174, v146, -v21
	s_delay_alu instid0(VALU_DEP_3)
	v_dual_add_f32 v99, v7, v61 :: v_dual_add_f32 v98, v9, v11
	v_fmac_f32_e32 v255, v177, v148
	v_pk_fma_f32 v[100:101], v[166:167], v[150:151], v[90:91] op_sel_hi:[1,0,1]
	v_fma_f32 v254, v176, v148, -v23
	v_pk_mul_f32 v[92:93], v[244:245], v[92:93] op_sel_hi:[1,0]
	v_pk_add_f32 v[98:99], v[98:99], v[252:253]
	v_pk_fma_f32 v[90:91], v[166:167], v[150:151], v[90:91] neg_lo:[0,0,1] neg_hi:[0,0,1]
	v_pk_mul_f32 v[94:95], v[170:171], v[154:155] op_sel:[1,1] op_sel_hi:[0,1]
	v_mov_b32_e32 v91, v101
	v_pk_fma_f32 v[100:101], v[168:169], v[152:153], v[92:93] op_sel_hi:[1,0,1]
	v_pk_add_f32 v[98:99], v[98:99], v[254:255]
	v_pk_fma_f32 v[92:93], v[168:169], v[152:153], v[92:93] neg_lo:[0,0,1] neg_hi:[0,0,1]
	v_pk_fma_f32 v[104:105], v[170:171], v[154:155], v[94:95] op_sel_hi:[1,0,1]
	v_pk_mul_f32 v[96:97], v[246:247], v[96:97] op_sel_hi:[1,0]
	v_mov_b32_e32 v93, v101
	v_pk_add_f32 v[90:91], v[98:99], v[90:91]
	s_wait_loadcnt 0x2
	v_pk_mul_f32 v[102:103], v[178:179], v[158:159] op_sel:[1,1] op_sel_hi:[0,1]
	v_mov_b32_e32 v98, v161
	v_pk_fma_f32 v[94:95], v[170:171], v[154:155], v[94:95] neg_lo:[0,0,1] neg_hi:[0,0,1]
	v_pk_fma_f32 v[100:101], v[172:173], v[156:157], v[96:97] op_sel_hi:[1,0,1]
	v_mov_b32_e32 v95, v105
	v_pk_add_f32 v[90:91], v[90:91], v[92:93]
	v_pk_fma_f32 v[92:93], v[178:179], v[158:159], v[102:103] op_sel_hi:[1,0,1]
	v_pk_mul_f32 v[98:99], v[248:249], v[98:99] op_sel_hi:[1,0]
	v_pk_fma_f32 v[96:97], v[172:173], v[156:157], v[96:97] neg_lo:[0,0,1] neg_hi:[0,0,1]
	v_mov_b32_e32 v97, v101
	v_pk_add_f32 v[90:91], v[90:91], v[94:95]
	v_pk_fma_f32 v[100:101], v[178:179], v[158:159], v[102:103] neg_lo:[0,0,1] neg_hi:[0,0,1]
	v_mov_b32_e32 v101, v93
	v_pk_fma_f32 v[92:93], v[180:181], v[160:161], v[98:99] op_sel_hi:[1,0,1]
	s_wait_loadcnt 0x1
	v_pk_mul_f32 v[94:95], v[182:183], v[162:163] op_sel:[1,1] op_sel_hi:[0,1]
	v_pk_add_f32 v[90:91], v[90:91], v[96:97]
	v_mov_b32_e32 v92, v165
	v_pk_fma_f32 v[98:99], v[180:181], v[160:161], v[98:99] neg_lo:[0,0,1] neg_hi:[0,0,1]
	s_delay_alu instid0(VALU_DEP_4)
	v_pk_fma_f32 v[96:97], v[182:183], v[162:163], v[94:95] op_sel_hi:[1,0,1]
	v_mov_b32_e32 v99, v93
	v_pk_add_f32 v[90:91], v[90:91], v[100:101]
	v_pk_mul_f32 v[92:93], v[250:251], v[92:93] op_sel_hi:[1,0]
	v_pk_fma_f32 v[94:95], v[182:183], v[162:163], v[94:95] neg_lo:[0,0,1] neg_hi:[0,0,1]
	v_mov_b32_e32 v95, v97
	s_delay_alu instid0(VALU_DEP_4) | instskip(NEXT) | instid1(VALU_DEP_4)
	v_pk_add_f32 v[90:91], v[90:91], v[98:99]
	v_pk_fma_f32 v[96:97], v[184:185], v[164:165], v[92:93] op_sel_hi:[1,0,1]
	v_pk_fma_f32 v[92:93], v[184:185], v[164:165], v[92:93] neg_lo:[0,0,1] neg_hi:[0,0,1]
	s_delay_alu instid0(VALU_DEP_3) | instskip(NEXT) | instid1(VALU_DEP_3)
	v_pk_add_f32 v[90:91], v[90:91], v[94:95]
	v_mov_b32_e32 v93, v97
	s_delay_alu instid0(VALU_DEP_1) | instskip(SKIP_1) | instid1(VALU_DEP_1)
	v_pk_add_f32 v[90:91], v[90:91], v[92:93]
	s_wait_loadcnt 0x0
	v_pk_add_f32 v[90:91], v[242:243], v[90:91] neg_lo:[0,1] neg_hi:[0,1]
	scratch_store_b64 off, v[90:91], off offset:40
	s_wait_xcnt 0x0
	v_cmpx_lt_u32_e32 4, v0
	s_cbranch_execz .LBB107_269
; %bb.268:
	scratch_load_b64 v[90:91], off, off offset:32
	v_mov_b64_e32 v[92:93], 0
	scratch_store_b64 off, v[92:93], off offset:32
	s_wait_loadcnt 0x0
	ds_store_b64 v1, v[90:91]
.LBB107_269:
	s_wait_xcnt 0x0
	s_or_b32 exec_lo, exec_lo, s0
	s_wait_storecnt_dscnt 0x0
	s_barrier_signal -1
	s_barrier_wait -1
	s_clause 0x14
	scratch_load_b128 v[90:93], off, off offset:40
	scratch_load_b128 v[94:97], off, off offset:56
	;; [unrolled: 1-line block ×19, first 2 shown]
	scratch_load_b64 v[242:243], off, off offset:344
	scratch_load_b64 v[244:245], off, off offset:32
	v_mov_b32_e32 v7, 0
	ds_load_2addr_b64 v[166:169], v7 offset0:79 offset1:80
	ds_load_2addr_b64 v[170:173], v7 offset0:77 offset1:78
	;; [unrolled: 1-line block ×19, first 2 shown]
	ds_load_b64 v[246:247], v7 offset:696
	s_wait_dscnt 0x13
	v_dual_mov_b32 v248, v169 :: v_dual_mov_b32 v249, v168
	s_wait_dscnt 0x11
	v_dual_mov_b32 v250, v177 :: v_dual_mov_b32 v251, v176
	s_wait_dscnt 0x10
	v_dual_mov_b32 v252, v181 :: v_dual_mov_b32 v253, v180
	s_wait_dscnt 0xd
	v_dual_mov_b32 v254, v193 :: v_dual_mov_b32 v255, v192
	s_mov_b32 s0, exec_lo
	s_wait_loadcnt 0x14
	v_dual_mul_f32 v9, v182, v91 :: v_dual_mul_f32 v67, v183, v91
	v_dual_mul_f32 v69, v185, v93 :: v_dual_mul_f32 v11, v184, v93
	s_wait_loadcnt 0x13
	v_mul_f32_e32 v13, v186, v95
	s_wait_loadcnt_dscnt 0x110b
	v_dual_mul_f32 v79, v199, v103 :: v_dual_fma_f32 v67, v182, v90, -v67
	v_dual_fmac_f32 v9, v183, v90 :: v_dual_mul_f32 v81, v201, v105
	v_dual_mul_f32 v71, v187, v95 :: v_dual_mul_f32 v73, v189, v97
	v_dual_fmac_f32 v11, v185, v92 :: v_dual_fma_f32 v69, v184, v92, -v69
	s_delay_alu instid0(VALU_DEP_3) | instskip(SKIP_3) | instid1(VALU_DEP_3)
	v_dual_add_f32 v9, 0, v9 :: v_dual_add_f32 v67, 0, v67
	v_dual_mul_f32 v15, v188, v97 :: v_dual_mul_f32 v17, v194, v99
	s_wait_loadcnt_dscnt 0x100a
	v_dual_mul_f32 v83, v203, v107 :: v_dual_fma_f32 v71, v186, v94, -v71
	v_dual_fmac_f32 v13, v187, v94 :: v_dual_add_f32 v9, v9, v11
	s_delay_alu instid0(VALU_DEP_3) | instskip(SKIP_2) | instid1(VALU_DEP_3)
	v_dual_add_f32 v11, v67, v69 :: v_dual_fmac_f32 v15, v189, v96
	v_dual_mul_f32 v75, v195, v99 :: v_dual_mul_f32 v77, v197, v101
	v_dual_mul_f32 v67, v205, v109 :: v_dual_fma_f32 v69, v188, v96, -v73
	v_dual_add_f32 v9, v9, v13 :: v_dual_add_f32 v11, v11, v71
	v_dual_mul_f32 v19, v196, v101 :: v_dual_mul_f32 v21, v198, v103
	s_wait_loadcnt_dscnt 0xf09
	v_dual_mul_f32 v13, v207, v111 :: v_dual_fma_f32 v71, v194, v98, -v75
	s_delay_alu instid0(VALU_DEP_3) | instskip(NEXT) | instid1(VALU_DEP_3)
	v_dual_fmac_f32 v17, v195, v98 :: v_dual_add_f32 v9, v9, v15
	v_dual_add_f32 v11, v11, v69 :: v_dual_fmac_f32 v19, v197, v100
	v_dual_mul_f32 v15, v209, v113 :: v_dual_fma_f32 v69, v196, v100, -v77
	s_delay_alu instid0(VALU_DEP_2) | instskip(SKIP_3) | instid1(VALU_DEP_3)
	v_dual_add_f32 v9, v9, v17 :: v_dual_add_f32 v11, v11, v71
	v_dual_mul_f32 v23, v200, v105 :: v_dual_mul_f32 v25, v202, v107
	s_wait_loadcnt_dscnt 0xe08
	v_dual_mul_f32 v17, v211, v115 :: v_dual_fma_f32 v71, v198, v102, -v79
	v_dual_fmac_f32 v21, v199, v102 :: v_dual_add_f32 v9, v9, v19
	s_delay_alu instid0(VALU_DEP_3) | instskip(SKIP_1) | instid1(VALU_DEP_2)
	v_dual_add_f32 v11, v11, v69 :: v_dual_fmac_f32 v23, v201, v104
	v_dual_mul_f32 v19, v213, v117 :: v_dual_fma_f32 v69, v200, v104, -v81
	v_dual_add_f32 v9, v9, v21 :: v_dual_add_f32 v11, v11, v71
	v_dual_mul_f32 v27, v204, v109 :: v_dual_mul_f32 v29, v206, v111
	s_wait_loadcnt_dscnt 0xd07
	v_dual_mul_f32 v21, v215, v119 :: v_dual_fma_f32 v71, v202, v106, -v83
	s_delay_alu instid0(VALU_DEP_3) | instskip(NEXT) | instid1(VALU_DEP_3)
	v_dual_fmac_f32 v25, v203, v106 :: v_dual_add_f32 v9, v9, v23
	v_dual_add_f32 v11, v11, v69 :: v_dual_fmac_f32 v27, v205, v108
	v_dual_mul_f32 v23, v217, v121 :: v_dual_fma_f32 v67, v204, v108, -v67
	s_delay_alu instid0(VALU_DEP_2) | instskip(SKIP_3) | instid1(VALU_DEP_3)
	v_dual_add_f32 v9, v9, v25 :: v_dual_add_f32 v11, v11, v71
	v_dual_mul_f32 v31, v208, v113 :: v_dual_mul_f32 v33, v210, v115
	s_wait_loadcnt_dscnt 0xc06
	v_dual_mul_f32 v25, v219, v123 :: v_dual_fma_f32 v13, v206, v110, -v13
	v_dual_fmac_f32 v29, v207, v110 :: v_dual_add_f32 v9, v9, v27
	v_dual_add_f32 v11, v11, v67 :: v_dual_mul_f32 v27, v221, v125
	v_fmac_f32_e32 v31, v209, v112
	s_delay_alu instid0(VALU_DEP_3) | instskip(NEXT) | instid1(VALU_DEP_3)
	v_dual_fma_f32 v15, v208, v112, -v15 :: v_dual_add_f32 v9, v9, v29
	v_add_f32_e32 v11, v11, v13
	v_dual_mul_f32 v35, v212, v117 :: v_dual_mul_f32 v37, v214, v119
	s_wait_loadcnt_dscnt 0xb05
	v_dual_mul_f32 v13, v223, v127 :: v_dual_fma_f32 v17, v210, v114, -v17
	v_dual_fmac_f32 v33, v211, v114 :: v_dual_add_f32 v9, v9, v31
	v_dual_add_f32 v11, v11, v15 :: v_dual_mul_f32 v15, v225, v129
	v_fmac_f32_e32 v35, v213, v116
	s_delay_alu instid0(VALU_DEP_3) | instskip(NEXT) | instid1(VALU_DEP_3)
	v_dual_fma_f32 v19, v212, v116, -v19 :: v_dual_add_f32 v9, v9, v33
	v_add_f32_e32 v11, v11, v17
	;; [unrolled: 9-line block ×6, first 2 shown]
	v_dual_mul_f32 v55, v232, v137 :: v_dual_mul_f32 v57, v234, v139
	s_wait_loadcnt 0x6
	v_dual_mul_f32 v17, v171, v147 :: v_dual_fma_f32 v21, v230, v134, -v21
	v_dual_fmac_f32 v53, v231, v134 :: v_dual_add_f32 v9, v9, v51
	v_dual_add_f32 v11, v11, v19 :: v_dual_mul_f32 v19, v173, v149
	v_fmac_f32_e32 v55, v233, v136
	s_delay_alu instid0(VALU_DEP_3) | instskip(NEXT) | instid1(VALU_DEP_3)
	v_dual_fma_f32 v23, v232, v136, -v23 :: v_dual_add_f32 v9, v9, v53
	v_add_f32_e32 v11, v11, v21
	v_dual_mul_f32 v59, v236, v141 :: v_dual_mul_f32 v61, v238, v143
	s_wait_loadcnt 0x5
	v_dual_mul_f32 v21, v167, v151 :: v_dual_fma_f32 v25, v234, v138, -v25
	v_dual_fmac_f32 v57, v235, v138 :: v_dual_add_f32 v9, v9, v55
	v_dual_add_f32 v11, v11, v23 :: v_dual_mov_b32 v90, v153
	v_fmac_f32_e32 v59, v237, v140
	s_delay_alu instid0(VALU_DEP_3) | instskip(NEXT) | instid1(VALU_DEP_3)
	v_dual_fma_f32 v23, v236, v140, -v27 :: v_dual_add_f32 v9, v9, v57
	v_add_f32_e32 v11, v11, v25
	v_dual_mul_f32 v63, v240, v145 :: v_dual_mul_f32 v65, v170, v147
	s_delay_alu instid0(VALU_DEP_3) | instskip(NEXT) | instid1(VALU_DEP_3)
	v_dual_fmac_f32 v61, v239, v142 :: v_dual_add_f32 v9, v9, v59
	v_dual_fma_f32 v13, v238, v142, -v13 :: v_dual_add_f32 v11, v11, v23
	s_wait_loadcnt 0x4
	v_dual_mov_b32 v94, v157 :: v_dual_fma_f32 v15, v240, v144, -v15
	v_fmac_f32_e32 v63, v241, v144
	v_dual_add_f32 v9, v9, v61 :: v_dual_fmac_f32 v65, v171, v146
	v_add_f32_e32 v11, v11, v13
	s_set_vgpr_msb 64                       ;  msbs: dst=1 src0=0 src1=0 src2=0
	v_dual_mul_f32 v1 /*v257*/, v172, v149 :: v_dual_mul_f32 v3 /*v259*/, v166, v151
	s_set_vgpr_msb 0                        ;  msbs: dst=0 src0=0 src1=0 src2=0
	v_dual_fma_f32 v13, v170, v146, -v17 :: v_dual_add_f32 v9, v9, v63
	v_add_f32_e32 v11, v11, v15
	s_set_vgpr_msb 64                       ;  msbs: dst=1 src0=0 src1=0 src2=0
	v_dual_fmac_f32 v1 /*v257*/, v173, v148 :: v_dual_fmac_f32 v3 /*v259*/, v167, v150
	v_dual_fma_f32 v0 /*v256*/, v172, v148, -v19 :: v_dual_fma_f32 v2 /*v258*/, v166, v150, -v21
	s_set_vgpr_msb 0                        ;  msbs: dst=0 src0=0 src1=0 src2=0
	v_pk_mul_f32 v[90:91], v[248:249], v[90:91] op_sel_hi:[1,0]
	v_add_f32_e32 v99, v9, v65
	s_wait_loadcnt 0x3
	v_dual_add_f32 v98, v11, v13 :: v_dual_mov_b32 v100, v161
	v_pk_mul_f32 v[92:93], v[174:175], v[154:155] op_sel:[1,1] op_sel_hi:[0,1]
	v_pk_fma_f32 v[102:103], v[168:169], v[152:153], v[90:91] op_sel_hi:[1,0,1]
	v_pk_fma_f32 v[90:91], v[168:169], v[152:153], v[90:91] neg_lo:[0,0,1] neg_hi:[0,0,1]
	s_set_vgpr_msb 4                        ;  msbs: dst=0 src0=0 src1=1 src2=0
	v_pk_add_f32 v[98:99], v[98:99], v[0:1] /*v[256:257]*/
	s_set_vgpr_msb 0                        ;  msbs: dst=0 src0=0 src1=0 src2=0
	v_pk_mul_f32 v[94:95], v[250:251], v[94:95] op_sel_hi:[1,0]
	v_pk_fma_f32 v[104:105], v[174:175], v[154:155], v[92:93] op_sel_hi:[1,0,1]
	v_mov_b32_e32 v91, v103
	v_pk_fma_f32 v[92:93], v[174:175], v[154:155], v[92:93] neg_lo:[0,0,1] neg_hi:[0,0,1]
	s_set_vgpr_msb 4                        ;  msbs: dst=0 src0=0 src1=1 src2=0
	v_pk_add_f32 v[98:99], v[98:99], v[2:3] /*v[258:259]*/
	s_set_vgpr_msb 0                        ;  msbs: dst=0 src0=0 src1=0 src2=0
	v_pk_mul_f32 v[96:97], v[178:179], v[158:159] op_sel:[1,1] op_sel_hi:[0,1]
	v_mov_b32_e32 v93, v105
	v_pk_fma_f32 v[104:105], v[176:177], v[156:157], v[94:95] op_sel_hi:[1,0,1]
	v_pk_fma_f32 v[94:95], v[176:177], v[156:157], v[94:95] neg_lo:[0,0,1] neg_hi:[0,0,1]
	v_pk_add_f32 v[90:91], v[98:99], v[90:91]
	v_pk_fma_f32 v[98:99], v[178:179], v[158:159], v[96:97] op_sel_hi:[1,0,1]
	v_pk_mul_f32 v[100:101], v[252:253], v[100:101] op_sel_hi:[1,0]
	v_mov_b32_e32 v95, v105
	v_pk_fma_f32 v[96:97], v[178:179], v[158:159], v[96:97] neg_lo:[0,0,1] neg_hi:[0,0,1]
	v_pk_add_f32 v[90:91], v[90:91], v[92:93]
	s_wait_loadcnt 0x2
	v_pk_mul_f32 v[102:103], v[190:191], v[162:163] op_sel:[1,1] op_sel_hi:[0,1]
	v_dual_mov_b32 v92, v165 :: v_dual_mov_b32 v97, v99
	v_pk_fma_f32 v[98:99], v[180:181], v[160:161], v[100:101] op_sel_hi:[1,0,1]
	v_pk_add_f32 v[90:91], v[90:91], v[94:95]
	v_pk_fma_f32 v[100:101], v[180:181], v[160:161], v[100:101] neg_lo:[0,0,1] neg_hi:[0,0,1]
	v_pk_fma_f32 v[94:95], v[190:191], v[162:163], v[102:103] op_sel_hi:[1,0,1]
	v_pk_mul_f32 v[92:93], v[254:255], v[92:93] op_sel_hi:[1,0]
	v_mov_b32_e32 v101, v99
	v_pk_add_f32 v[90:91], v[90:91], v[96:97]
	v_pk_fma_f32 v[96:97], v[190:191], v[162:163], v[102:103] neg_lo:[0,0,1] neg_hi:[0,0,1]
	v_mov_b32_e32 v97, v95
	v_pk_fma_f32 v[94:95], v[192:193], v[164:165], v[92:93] op_sel_hi:[1,0,1]
	s_wait_loadcnt_dscnt 0x100
	v_pk_mul_f32 v[98:99], v[246:247], v[242:243] op_sel:[1,1] op_sel_hi:[0,1]
	v_pk_add_f32 v[90:91], v[90:91], v[100:101]
	v_pk_fma_f32 v[92:93], v[192:193], v[164:165], v[92:93] neg_lo:[0,0,1] neg_hi:[0,0,1]
	v_mov_b32_e32 v93, v95
	s_delay_alu instid0(VALU_DEP_4) | instskip(NEXT) | instid1(VALU_DEP_4)
	v_pk_fma_f32 v[94:95], v[246:247], v[242:243], v[98:99] op_sel_hi:[1,0,1]
	v_pk_add_f32 v[90:91], v[90:91], v[96:97]
	v_pk_fma_f32 v[96:97], v[246:247], v[242:243], v[98:99] neg_lo:[0,0,1] neg_hi:[0,0,1]
	s_delay_alu instid0(VALU_DEP_3) | instskip(NEXT) | instid1(VALU_DEP_3)
	v_mov_b32_e32 v97, v95
	v_pk_add_f32 v[90:91], v[90:91], v[92:93]
	s_delay_alu instid0(VALU_DEP_1) | instskip(SKIP_1) | instid1(VALU_DEP_1)
	v_pk_add_f32 v[90:91], v[90:91], v[96:97]
	s_wait_loadcnt 0x0
	v_pk_add_f32 v[90:91], v[244:245], v[90:91] neg_lo:[0,1] neg_hi:[0,1]
	scratch_store_b64 off, v[90:91], off offset:32
	s_wait_xcnt 0x0
	v_cmpx_lt_u32_e32 3, v0
	s_cbranch_execz .LBB107_271
; %bb.270:
	scratch_load_b64 v[90:91], off, off offset:24
	v_mov_b64_e32 v[92:93], 0
	scratch_store_b64 off, v[92:93], off offset:24
	s_wait_loadcnt 0x0
	ds_store_b64 v1, v[90:91]
.LBB107_271:
	s_wait_xcnt 0x0
	s_or_b32 exec_lo, exec_lo, s0
	s_wait_storecnt_dscnt 0x0
	s_barrier_signal -1
	s_barrier_wait -1
	s_clause 0x14
	scratch_load_b128 v[90:93], off, off offset:32
	scratch_load_b128 v[94:97], off, off offset:48
	;; [unrolled: 1-line block ×20, first 2 shown]
	scratch_load_b64 v[250:251], off, off offset:24
	ds_load_b128 v[170:173], v7 offset:640
	ds_load_b128 v[174:177], v7 offset:656
	;; [unrolled: 1-line block ×20, first 2 shown]
	s_wait_dscnt 0x13
	v_dual_mov_b32 v252, v173 :: v_dual_mov_b32 v253, v172
	s_wait_dscnt 0x12
	v_dual_mov_b32 v254, v177 :: v_dual_mov_b32 v255, v176
	s_wait_dscnt 0xf
	s_set_vgpr_msb 64                       ;  msbs: dst=1 src0=0 src1=0 src2=0
	v_dual_mov_b32 v0 /*v256*/, v189 :: v_dual_mov_b32 v1 /*v257*/, v188
	s_wait_dscnt 0xe
	v_dual_mov_b32 v2 /*v258*/, v193 :: v_dual_mov_b32 v3 /*v259*/, v192
	s_mov_b32 s0, exec_lo
	s_wait_loadcnt 0x14
	s_set_vgpr_msb 0                        ;  msbs: dst=0 src0=0 src1=0 src2=0
	v_dual_mul_f32 v7, v178, v91 :: v_dual_mul_f32 v9, v180, v93
	v_dual_mul_f32 v67, v179, v91 :: v_dual_mul_f32 v69, v181, v93
	s_wait_loadcnt 0x13
	v_dual_mul_f32 v11, v182, v95 :: v_dual_mul_f32 v13, v184, v97
	s_delay_alu instid0(VALU_DEP_3) | instskip(SKIP_3) | instid1(VALU_DEP_3)
	v_dual_fmac_f32 v7, v179, v90 :: v_dual_fmac_f32 v9, v181, v92
	s_wait_loadcnt_dscnt 0x110c
	v_dual_fma_f32 v67, v178, v90, -v67 :: v_dual_mul_f32 v79, v199, v103
	v_dual_mul_f32 v71, v183, v95 :: v_dual_mul_f32 v73, v185, v97
	v_dual_fma_f32 v69, v180, v92, -v69 :: v_dual_add_f32 v7, 0, v7
	s_delay_alu instid0(VALU_DEP_3) | instskip(SKIP_1) | instid1(VALU_DEP_3)
	v_dual_add_f32 v67, 0, v67 :: v_dual_mul_f32 v81, v201, v105
	v_dual_fmac_f32 v11, v183, v94 :: v_dual_fmac_f32 v13, v185, v96
	v_dual_fma_f32 v71, v182, v94, -v71 :: v_dual_add_f32 v7, v7, v9
	s_delay_alu instid0(VALU_DEP_3) | instskip(SKIP_2) | instid1(VALU_DEP_4)
	v_dual_add_f32 v9, v67, v69 :: v_dual_fma_f32 v69, v184, v96, -v73
	v_dual_mul_f32 v15, v194, v99 :: v_dual_mul_f32 v17, v196, v101
	v_dual_mul_f32 v75, v195, v99 :: v_dual_mul_f32 v77, v197, v101
	v_add_f32_e32 v7, v7, v11
	s_delay_alu instid0(VALU_DEP_3) | instskip(NEXT) | instid1(VALU_DEP_3)
	v_dual_add_f32 v9, v9, v71 :: v_dual_fmac_f32 v15, v195, v98
	v_fma_f32 v71, v194, v98, -v75
	v_dual_mul_f32 v19, v198, v103 :: v_dual_mul_f32 v21, v200, v105
	s_delay_alu instid0(VALU_DEP_4) | instskip(SKIP_2) | instid1(VALU_DEP_2)
	v_dual_add_f32 v7, v7, v13 :: v_dual_fmac_f32 v17, v197, v100
	s_wait_loadcnt_dscnt 0xf0a
	v_dual_add_f32 v9, v9, v69 :: v_dual_mul_f32 v13, v207, v111
	v_dual_fma_f32 v69, v196, v100, -v77 :: v_dual_add_f32 v7, v7, v15
	v_mul_f32_e32 v15, v209, v113
	s_delay_alu instid0(VALU_DEP_3) | instskip(NEXT) | instid1(VALU_DEP_3)
	v_dual_add_f32 v9, v9, v71 :: v_dual_fmac_f32 v19, v199, v102
	v_dual_fma_f32 v71, v198, v102, -v79 :: v_dual_add_f32 v7, v7, v17
	v_fmac_f32_e32 v21, v201, v104
	s_wait_loadcnt_dscnt 0xe09
	s_delay_alu instid0(VALU_DEP_3) | instskip(SKIP_3) | instid1(VALU_DEP_3)
	v_dual_add_f32 v9, v9, v69 :: v_dual_mul_f32 v17, v211, v115
	v_dual_mul_f32 v23, v202, v107 :: v_dual_mul_f32 v25, v204, v109
	v_dual_mul_f32 v67, v203, v107 :: v_dual_mul_f32 v11, v205, v109
	v_dual_fma_f32 v69, v200, v104, -v81 :: v_dual_add_f32 v7, v7, v19
	v_dual_add_f32 v9, v9, v71 :: v_dual_fmac_f32 v23, v203, v106
	s_delay_alu instid0(VALU_DEP_3) | instskip(NEXT) | instid1(VALU_DEP_3)
	v_dual_mul_f32 v19, v213, v117 :: v_dual_fma_f32 v67, v202, v106, -v67
	v_dual_add_f32 v7, v7, v21 :: v_dual_fmac_f32 v25, v205, v108
	s_wait_loadcnt_dscnt 0xd08
	s_delay_alu instid0(VALU_DEP_3) | instskip(SKIP_1) | instid1(VALU_DEP_3)
	v_dual_add_f32 v9, v9, v69 :: v_dual_mul_f32 v21, v215, v119
	v_dual_mul_f32 v27, v206, v111 :: v_dual_mul_f32 v29, v208, v113
	v_dual_fma_f32 v11, v204, v108, -v11 :: v_dual_add_f32 v7, v7, v23
	s_delay_alu instid0(VALU_DEP_2) | instskip(SKIP_1) | instid1(VALU_DEP_2)
	v_dual_add_f32 v9, v9, v67 :: v_dual_fmac_f32 v27, v207, v110
	v_dual_mul_f32 v23, v217, v121 :: v_dual_fma_f32 v13, v206, v110, -v13
	v_dual_add_f32 v7, v7, v25 :: v_dual_add_f32 v9, v9, v11
	v_dual_mul_f32 v31, v210, v115 :: v_dual_mul_f32 v33, v212, v117
	s_wait_loadcnt_dscnt 0xc07
	v_dual_mul_f32 v11, v219, v123 :: v_dual_fmac_f32 v29, v209, v112
	s_delay_alu instid0(VALU_DEP_3) | instskip(NEXT) | instid1(VALU_DEP_3)
	v_dual_fma_f32 v15, v208, v112, -v15 :: v_dual_add_f32 v7, v7, v27
	v_dual_add_f32 v9, v9, v13 :: v_dual_fmac_f32 v31, v211, v114
	v_dual_mul_f32 v13, v221, v125 :: v_dual_fma_f32 v17, v210, v114, -v17
	s_delay_alu instid0(VALU_DEP_2) | instskip(SKIP_3) | instid1(VALU_DEP_3)
	v_dual_add_f32 v7, v7, v29 :: v_dual_add_f32 v9, v9, v15
	v_dual_mul_f32 v35, v214, v119 :: v_dual_mul_f32 v37, v216, v121
	s_wait_loadcnt_dscnt 0xb06
	v_dual_mul_f32 v15, v223, v127 :: v_dual_fmac_f32 v33, v213, v116
	v_dual_fma_f32 v19, v212, v116, -v19 :: v_dual_add_f32 v7, v7, v31
	s_delay_alu instid0(VALU_DEP_3) | instskip(SKIP_1) | instid1(VALU_DEP_2)
	v_dual_add_f32 v9, v9, v17 :: v_dual_fmac_f32 v35, v215, v118
	v_dual_mul_f32 v17, v225, v129 :: v_dual_fma_f32 v21, v214, v118, -v21
	v_dual_add_f32 v7, v7, v33 :: v_dual_add_f32 v9, v9, v19
	v_dual_mul_f32 v39, v218, v123 :: v_dual_mul_f32 v41, v220, v125
	s_wait_loadcnt_dscnt 0xa05
	v_dual_mul_f32 v19, v227, v131 :: v_dual_fmac_f32 v37, v217, v120
	s_delay_alu instid0(VALU_DEP_3) | instskip(NEXT) | instid1(VALU_DEP_3)
	v_dual_fma_f32 v23, v216, v120, -v23 :: v_dual_add_f32 v7, v7, v35
	v_dual_add_f32 v9, v9, v21 :: v_dual_fmac_f32 v39, v219, v122
	v_dual_mul_f32 v21, v229, v133 :: v_dual_fma_f32 v11, v218, v122, -v11
	s_delay_alu instid0(VALU_DEP_2) | instskip(SKIP_3) | instid1(VALU_DEP_3)
	v_dual_add_f32 v7, v7, v37 :: v_dual_add_f32 v9, v9, v23
	v_dual_mul_f32 v43, v222, v127 :: v_dual_mul_f32 v45, v224, v129
	s_wait_loadcnt_dscnt 0x904
	v_dual_mul_f32 v23, v231, v135 :: v_dual_fmac_f32 v41, v221, v124
	v_dual_fma_f32 v13, v220, v124, -v13 :: v_dual_add_f32 v7, v7, v39
	s_delay_alu instid0(VALU_DEP_3) | instskip(SKIP_1) | instid1(VALU_DEP_3)
	v_dual_add_f32 v9, v9, v11 :: v_dual_fmac_f32 v43, v223, v126
	v_dual_mul_f32 v11, v233, v137 :: v_dual_fma_f32 v15, v222, v126, -v15
	v_dual_add_f32 v7, v7, v41 :: v_dual_fmac_f32 v45, v225, v128
	s_wait_loadcnt_dscnt 0x803
	s_delay_alu instid0(VALU_DEP_3) | instskip(SKIP_1) | instid1(VALU_DEP_3)
	v_dual_add_f32 v9, v9, v13 :: v_dual_mul_f32 v13, v235, v139
	v_dual_mul_f32 v47, v226, v131 :: v_dual_mul_f32 v49, v228, v133
	v_dual_fma_f32 v17, v224, v128, -v17 :: v_dual_add_f32 v7, v7, v43
	s_delay_alu instid0(VALU_DEP_2) | instskip(SKIP_1) | instid1(VALU_DEP_3)
	v_dual_add_f32 v9, v9, v15 :: v_dual_fmac_f32 v47, v227, v130
	v_dual_mul_f32 v15, v237, v141 :: v_dual_fma_f32 v19, v226, v130, -v19
	v_dual_add_f32 v7, v7, v45 :: v_dual_fmac_f32 v49, v229, v132
	s_wait_loadcnt_dscnt 0x702
	s_delay_alu instid0(VALU_DEP_3) | instskip(SKIP_1) | instid1(VALU_DEP_3)
	v_dual_add_f32 v9, v9, v17 :: v_dual_mul_f32 v17, v239, v143
	v_dual_mul_f32 v51, v230, v135 :: v_dual_mul_f32 v53, v232, v137
	v_dual_fma_f32 v21, v228, v132, -v21 :: v_dual_add_f32 v7, v7, v47
	s_delay_alu instid0(VALU_DEP_2) | instskip(SKIP_1) | instid1(VALU_DEP_3)
	v_dual_add_f32 v9, v9, v19 :: v_dual_fmac_f32 v51, v231, v134
	v_dual_mul_f32 v19, v241, v145 :: v_dual_fma_f32 v23, v230, v134, -v23
	v_dual_add_f32 v7, v7, v49 :: v_dual_fmac_f32 v53, v233, v136
	s_wait_loadcnt_dscnt 0x601
	s_delay_alu instid0(VALU_DEP_3) | instskip(SKIP_1) | instid1(VALU_DEP_3)
	v_dual_add_f32 v9, v9, v21 :: v_dual_mul_f32 v21, v243, v147
	v_dual_mul_f32 v55, v234, v139 :: v_dual_mul_f32 v57, v236, v141
	v_dual_fma_f32 v11, v232, v136, -v11 :: v_dual_add_f32 v7, v7, v51
	s_delay_alu instid0(VALU_DEP_2) | instskip(SKIP_1) | instid1(VALU_DEP_2)
	v_dual_add_f32 v9, v9, v23 :: v_dual_fmac_f32 v55, v235, v138
	v_dual_mul_f32 v23, v245, v149 :: v_dual_fma_f32 v13, v234, v138, -v13
	v_dual_add_f32 v7, v7, v53 :: v_dual_add_f32 v9, v9, v11
	v_dual_mul_f32 v59, v238, v143 :: v_dual_mul_f32 v61, v240, v145
	s_wait_loadcnt_dscnt 0x500
	v_dual_mul_f32 v11, v247, v151 :: v_dual_fmac_f32 v57, v237, v140
	s_delay_alu instid0(VALU_DEP_3) | instskip(NEXT) | instid1(VALU_DEP_3)
	v_dual_fma_f32 v15, v236, v140, -v15 :: v_dual_add_f32 v7, v7, v55
	v_dual_add_f32 v9, v9, v13 :: v_dual_fmac_f32 v59, v239, v142
	v_dual_mul_f32 v13, v249, v153 :: v_dual_fma_f32 v17, v238, v142, -v17
	s_delay_alu instid0(VALU_DEP_2) | instskip(SKIP_2) | instid1(VALU_DEP_3)
	v_dual_add_f32 v7, v7, v57 :: v_dual_add_f32 v9, v9, v15
	v_dual_mul_f32 v63, v242, v147 :: v_dual_mul_f32 v65, v244, v149
	v_dual_fmac_f32 v61, v241, v144 :: v_dual_fma_f32 v15, v240, v144, -v19
	v_dual_add_f32 v7, v7, v59 :: v_dual_add_f32 v9, v9, v17
	s_wait_loadcnt 0x4
	s_delay_alu instid0(VALU_DEP_3) | instskip(NEXT) | instid1(VALU_DEP_2)
	v_dual_mov_b32 v92, v157 :: v_dual_fmac_f32 v63, v243, v146
	v_dual_fma_f32 v17, v242, v146, -v21 :: v_dual_add_f32 v7, v7, v61
	s_delay_alu instid0(VALU_DEP_3)
	v_dual_add_f32 v9, v9, v15 :: v_dual_fma_f32 v15, v244, v148, -v23
	s_set_vgpr_msb 64                       ;  msbs: dst=1 src0=0 src1=0 src2=0
	v_dual_mul_f32 v5 /*v261*/, v246, v151 :: v_dual_mul_f32 v7 /*v263*/, v248, v153
	s_set_vgpr_msb 0                        ;  msbs: dst=0 src0=0 src1=0 src2=0
	v_dual_fmac_f32 v65, v245, v148 :: v_dual_add_f32 v7, v7, v63
	v_add_f32_e32 v9, v9, v17
	v_pk_mul_f32 v[90:91], v[170:171], v[154:155] op_sel:[1,1] op_sel_hi:[0,1]
	s_wait_loadcnt 0x3
	v_mov_b32_e32 v96, v161
	s_set_vgpr_msb 64                       ;  msbs: dst=1 src0=0 src1=0 src2=0
	v_dual_fmac_f32 v5 /*v261*/, v247, v150 :: v_dual_fmac_f32 v7 /*v263*/, v249, v152
	v_dual_fma_f32 v4 /*v260*/, v246, v150, -v11 :: v_dual_fma_f32 v6 /*v262*/, v248, v152, -v13
	s_set_vgpr_msb 0                        ;  msbs: dst=0 src0=0 src1=0 src2=0
	v_dual_add_f32 v99, v7, v65 :: v_dual_add_f32 v98, v9, v15
	v_pk_fma_f32 v[100:101], v[170:171], v[154:155], v[90:91] op_sel_hi:[1,0,1]
	v_pk_mul_f32 v[92:93], v[252:253], v[92:93] op_sel_hi:[1,0]
	v_pk_fma_f32 v[90:91], v[170:171], v[154:155], v[90:91] neg_lo:[0,0,1] neg_hi:[0,0,1]
	v_pk_mul_f32 v[94:95], v[174:175], v[158:159] op_sel:[1,1] op_sel_hi:[0,1]
	s_set_vgpr_msb 4                        ;  msbs: dst=0 src0=0 src1=1 src2=0
	v_pk_add_f32 v[98:99], v[98:99], v[4:5] /*v[260:261]*/
	v_mov_b32_e32 v91, v101
	s_set_vgpr_msb 0                        ;  msbs: dst=0 src0=0 src1=0 src2=0
	v_pk_fma_f32 v[100:101], v[172:173], v[156:157], v[92:93] op_sel_hi:[1,0,1]
	v_pk_fma_f32 v[92:93], v[172:173], v[156:157], v[92:93] neg_lo:[0,0,1] neg_hi:[0,0,1]
	v_pk_fma_f32 v[104:105], v[174:175], v[158:159], v[94:95] op_sel_hi:[1,0,1]
	s_set_vgpr_msb 4                        ;  msbs: dst=0 src0=0 src1=1 src2=0
	v_pk_add_f32 v[98:99], v[98:99], v[6:7] /*v[262:263]*/
	s_set_vgpr_msb 0                        ;  msbs: dst=0 src0=0 src1=0 src2=0
	v_pk_mul_f32 v[96:97], v[254:255], v[96:97] op_sel_hi:[1,0]
	v_mov_b32_e32 v93, v101
	s_wait_loadcnt 0x2
	v_pk_mul_f32 v[102:103], v[186:187], v[162:163] op_sel:[1,1] op_sel_hi:[0,1]
	v_pk_fma_f32 v[94:95], v[174:175], v[158:159], v[94:95] neg_lo:[0,0,1] neg_hi:[0,0,1]
	v_pk_add_f32 v[90:91], v[98:99], v[90:91]
	v_dual_mov_b32 v98, v165 :: v_dual_mov_b32 v95, v105
	v_pk_fma_f32 v[100:101], v[176:177], v[160:161], v[96:97] op_sel_hi:[1,0,1]
	v_pk_fma_f32 v[96:97], v[176:177], v[160:161], v[96:97] neg_lo:[0,0,1] neg_hi:[0,0,1]
	s_delay_alu instid0(VALU_DEP_4)
	v_pk_add_f32 v[90:91], v[90:91], v[92:93]
	v_pk_fma_f32 v[92:93], v[186:187], v[162:163], v[102:103] op_sel_hi:[1,0,1]
	s_set_vgpr_msb 1                        ;  msbs: dst=0 src0=1 src1=0 src2=0
	v_pk_mul_f32 v[98:99], v[0:1] /*v[256:257]*/, v[98:99] op_sel_hi:[1,0]
	s_set_vgpr_msb 0                        ;  msbs: dst=0 src0=0 src1=0 src2=0
	v_mov_b32_e32 v97, v101
	v_pk_fma_f32 v[100:101], v[186:187], v[162:163], v[102:103] neg_lo:[0,0,1] neg_hi:[0,0,1]
	v_pk_add_f32 v[90:91], v[90:91], v[94:95]
	v_mov_b32_e32 v101, v93
	v_pk_fma_f32 v[92:93], v[188:189], v[164:165], v[98:99] op_sel_hi:[1,0,1]
	s_wait_loadcnt 0x1
	v_pk_mul_f32 v[94:95], v[190:191], v[166:167] op_sel:[1,1] op_sel_hi:[0,1]
	v_mov_b32_e32 v92, v169
	v_pk_add_f32 v[90:91], v[90:91], v[96:97]
	v_pk_fma_f32 v[98:99], v[188:189], v[164:165], v[98:99] neg_lo:[0,0,1] neg_hi:[0,0,1]
	v_mov_b32_e32 v99, v93
	v_pk_fma_f32 v[96:97], v[190:191], v[166:167], v[94:95] op_sel_hi:[1,0,1]
	s_set_vgpr_msb 1                        ;  msbs: dst=0 src0=1 src1=0 src2=0
	v_pk_mul_f32 v[92:93], v[2:3] /*v[258:259]*/, v[92:93] op_sel_hi:[1,0]
	s_set_vgpr_msb 0                        ;  msbs: dst=0 src0=0 src1=0 src2=0
	v_pk_add_f32 v[90:91], v[90:91], v[100:101]
	v_pk_fma_f32 v[94:95], v[190:191], v[166:167], v[94:95] neg_lo:[0,0,1] neg_hi:[0,0,1]
	v_mov_b32_e32 v95, v97
	v_pk_fma_f32 v[96:97], v[192:193], v[168:169], v[92:93] op_sel_hi:[1,0,1]
	s_delay_alu instid0(VALU_DEP_4) | instskip(SKIP_1) | instid1(VALU_DEP_3)
	v_pk_add_f32 v[90:91], v[90:91], v[98:99]
	v_pk_fma_f32 v[92:93], v[192:193], v[168:169], v[92:93] neg_lo:[0,0,1] neg_hi:[0,0,1]
	v_mov_b32_e32 v93, v97
	s_delay_alu instid0(VALU_DEP_3) | instskip(NEXT) | instid1(VALU_DEP_1)
	v_pk_add_f32 v[90:91], v[90:91], v[94:95]
	v_pk_add_f32 v[90:91], v[90:91], v[92:93]
	s_wait_loadcnt 0x0
	s_delay_alu instid0(VALU_DEP_1)
	v_pk_add_f32 v[90:91], v[250:251], v[90:91] neg_lo:[0,1] neg_hi:[0,1]
	scratch_store_b64 off, v[90:91], off offset:24
	s_wait_xcnt 0x0
	v_cmpx_lt_u32_e32 2, v0
	s_cbranch_execz .LBB107_273
; %bb.272:
	scratch_load_b64 v[90:91], off, off offset:16
	v_mov_b64_e32 v[92:93], 0
	scratch_store_b64 off, v[92:93], off offset:16
	s_wait_loadcnt 0x0
	ds_store_b64 v1, v[90:91]
.LBB107_273:
	s_wait_xcnt 0x0
	s_or_b32 exec_lo, exec_lo, s0
	s_wait_storecnt_dscnt 0x0
	s_barrier_signal -1
	s_barrier_wait -1
	s_clause 0x10
	scratch_load_b128 v[94:97], off, off offset:24
	scratch_load_b128 v[102:105], off, off offset:40
	;; [unrolled: 1-line block ×17, first 2 shown]
	v_mov_b32_e32 v69, 0
	s_mov_b32 s0, exec_lo
	ds_load_2addr_b64 v[90:93], v69 offset0:47 offset1:48
	ds_load_2addr_b64 v[98:101], v69 offset0:49 offset1:50
	s_wait_loadcnt_dscnt 0x1001
	v_dual_mul_f32 v7, v90, v95 :: v_dual_mul_f32 v9, v92, v97
	ds_load_2addr_b64 v[202:205], v69 offset0:75 offset1:76
	ds_load_2addr_b64 v[210:213], v69 offset0:77 offset1:78
	;; [unrolled: 1-line block ×4, first 2 shown]
	v_dual_fmac_f32 v7, v91, v94 :: v_dual_fmac_f32 v9, v93, v96
	ds_load_2addr_b64 v[218:221], v69 offset0:79 offset1:80
	ds_load_2addr_b64 v[122:125], v69 offset0:55 offset1:56
	;; [unrolled: 1-line block ×3, first 2 shown]
	v_add_f32_e32 v7, 0, v7
	ds_load_2addr_b64 v[138:141], v69 offset0:59 offset1:60
	ds_load_2addr_b64 v[146:149], v69 offset0:61 offset1:62
	;; [unrolled: 1-line block ×4, first 2 shown]
	s_wait_loadcnt_dscnt 0xf0b
	v_dual_add_f32 v7, v7, v9 :: v_dual_mul_f32 v9, v98, v103
	ds_load_2addr_b64 v[170:173], v69 offset0:67 offset1:68
	ds_load_2addr_b64 v[178:181], v69 offset0:69 offset1:70
	;; [unrolled: 1-line block ×4, first 2 shown]
	s_wait_loadcnt_dscnt 0xd0d
	v_dual_fmac_f32 v9, v99, v102 :: v_dual_mul_f32 v241, v212, v217
	s_clause 0x3
	scratch_load_b128 v[226:229], off, off offset:296
	scratch_load_b128 v[230:233], off, off offset:312
	;; [unrolled: 1-line block ×3, first 2 shown]
	scratch_load_b64 v[244:245], off, off offset:344
	v_add_f32_e32 v7, v7, v9
	v_dual_mul_f32 v9, v100, v105 :: v_dual_fmac_f32 v241, v213, v216
	s_wait_loadcnt_dscnt 0xe0a
	s_delay_alu instid0(VALU_DEP_1) | instskip(NEXT) | instid1(VALU_DEP_1)
	v_dual_mul_f32 v243, v218, v223 :: v_dual_fmac_f32 v9, v101, v104
	v_fmac_f32_e32 v243, v219, v222
	s_delay_alu instid0(VALU_DEP_2) | instskip(NEXT) | instid1(VALU_DEP_1)
	v_dual_add_f32 v7, v7, v9 :: v_dual_mul_f32 v9, v106, v111
	v_fmac_f32_e32 v9, v107, v110
	s_delay_alu instid0(VALU_DEP_1) | instskip(SKIP_1) | instid1(VALU_DEP_1)
	v_add_f32_e32 v7, v7, v9
	v_mul_f32_e32 v9, v108, v113
	v_fmac_f32_e32 v9, v109, v112
	s_delay_alu instid0(VALU_DEP_1) | instskip(NEXT) | instid1(VALU_DEP_1)
	v_dual_add_f32 v7, v7, v9 :: v_dual_mul_f32 v9, v114, v119
	v_fmac_f32_e32 v9, v115, v118
	s_delay_alu instid0(VALU_DEP_1) | instskip(SKIP_1) | instid1(VALU_DEP_1)
	v_add_f32_e32 v7, v7, v9
	v_mul_f32_e32 v9, v116, v121
	v_fmac_f32_e32 v9, v117, v120
	s_wait_loadcnt_dscnt 0xd09
	s_delay_alu instid0(VALU_DEP_1) | instskip(NEXT) | instid1(VALU_DEP_1)
	v_dual_add_f32 v7, v7, v9 :: v_dual_mul_f32 v9, v122, v127
	v_fmac_f32_e32 v9, v123, v126
	s_delay_alu instid0(VALU_DEP_1) | instskip(SKIP_1) | instid1(VALU_DEP_1)
	v_add_f32_e32 v7, v7, v9
	v_mul_f32_e32 v9, v124, v129
	v_fmac_f32_e32 v9, v125, v128
	s_wait_loadcnt_dscnt 0xc08
	;; [unrolled: 8-line block ×10, first 2 shown]
	s_delay_alu instid0(VALU_DEP_1) | instskip(NEXT) | instid1(VALU_DEP_1)
	v_dual_add_f32 v7, v7, v9 :: v_dual_mul_f32 v9, v194, v199
	v_fmac_f32_e32 v9, v195, v198
	s_delay_alu instid0(VALU_DEP_1) | instskip(SKIP_1) | instid1(VALU_DEP_1)
	v_add_f32_e32 v7, v7, v9
	v_mul_f32_e32 v9, v196, v201
	v_fmac_f32_e32 v9, v197, v200
	s_delay_alu instid0(VALU_DEP_1) | instskip(NEXT) | instid1(VALU_DEP_1)
	v_dual_add_f32 v7, v7, v9 :: v_dual_mul_f32 v9, v202, v207
	v_fmac_f32_e32 v9, v203, v206
	s_delay_alu instid0(VALU_DEP_1) | instskip(SKIP_1) | instid1(VALU_DEP_1)
	v_add_f32_e32 v7, v7, v9
	v_mul_f32_e32 v9, v204, v209
	v_fmac_f32_e32 v9, v205, v208
	s_delay_alu instid0(VALU_DEP_1) | instskip(NEXT) | instid1(VALU_DEP_1)
	v_dual_add_f32 v7, v7, v9 :: v_dual_mul_f32 v9, v210, v215
	v_fmac_f32_e32 v9, v211, v214
	s_delay_alu instid0(VALU_DEP_1) | instskip(SKIP_1) | instid1(VALU_DEP_1)
	v_add_f32_e32 v239, v7, v9
	v_dual_mul_f32 v7, v91, v95 :: v_dual_mul_f32 v9, v93, v97
	v_dual_fma_f32 v7, v90, v94, -v7 :: v_dual_fma_f32 v9, v92, v96, -v9
	s_delay_alu instid0(VALU_DEP_1) | instskip(NEXT) | instid1(VALU_DEP_1)
	v_add_f32_e32 v7, 0, v7
	v_add_f32_e32 v7, v7, v9
	v_mul_f32_e32 v9, v99, v103
	s_delay_alu instid0(VALU_DEP_1) | instskip(NEXT) | instid1(VALU_DEP_1)
	v_fma_f32 v9, v98, v102, -v9
	v_add_f32_e32 v7, v7, v9
	v_mul_f32_e32 v9, v101, v105
	s_delay_alu instid0(VALU_DEP_1)
	v_fma_f32 v9, v100, v104, -v9
	ds_load_2addr_b64 v[90:93], v69 offset0:81 offset1:82
	ds_load_2addr_b64 v[94:97], v69 offset0:83 offset1:84
	;; [unrolled: 1-line block ×3, first 2 shown]
	ds_load_b64 v[102:103], v69 offset:696
	v_add_f32_e32 v7, v7, v9
	v_dual_mul_f32 v9, v107, v111 :: v_dual_mov_b32 v107, v220
	s_delay_alu instid0(VALU_DEP_1) | instskip(NEXT) | instid1(VALU_DEP_1)
	v_dual_fma_f32 v9, v106, v110, -v9 :: v_dual_mov_b32 v106, v221
	v_add_f32_e32 v7, v7, v9
	v_mul_f32_e32 v9, v109, v113
	s_delay_alu instid0(VALU_DEP_1) | instskip(NEXT) | instid1(VALU_DEP_1)
	v_dual_fma_f32 v9, v108, v112, -v9 :: v_dual_mov_b32 v108, v225
	v_add_f32_e32 v7, v7, v9
	v_mul_f32_e32 v9, v115, v119
	s_delay_alu instid0(VALU_DEP_3) | instskip(NEXT) | instid1(VALU_DEP_2)
	v_pk_mul_f32 v[106:107], v[106:107], v[108:109] op_sel_hi:[1,0]
	v_fma_f32 v9, v114, v118, -v9
	s_delay_alu instid0(VALU_DEP_2) | instskip(SKIP_1) | instid1(VALU_DEP_3)
	v_pk_fma_f32 v[108:109], v[220:221], v[224:225], v[106:107] neg_lo:[0,0,1] neg_hi:[0,0,1]
	v_pk_fma_f32 v[106:107], v[220:221], v[224:225], v[106:107] op_sel_hi:[1,0,1]
	v_add_f32_e32 v7, v7, v9
	s_delay_alu instid0(VALU_DEP_2) | instskip(SKIP_2) | instid1(VALU_DEP_2)
	v_dual_mul_f32 v9, v117, v121 :: v_dual_mov_b32 v109, v107
	s_wait_loadcnt_dscnt 0x303
	v_pk_mul_f32 v[106:107], v[90:91], v[226:227] op_sel:[1,1] op_sel_hi:[0,1]
	v_fma_f32 v9, v116, v120, -v9
	s_delay_alu instid0(VALU_DEP_1) | instskip(SKIP_1) | instid1(VALU_DEP_1)
	v_add_f32_e32 v7, v7, v9
	v_mul_f32_e32 v9, v123, v127
	v_fma_f32 v9, v122, v126, -v9
	s_delay_alu instid0(VALU_DEP_1) | instskip(SKIP_1) | instid1(VALU_DEP_1)
	v_add_f32_e32 v7, v7, v9
	v_mul_f32_e32 v9, v125, v129
	;; [unrolled: 4-line block ×24, first 2 shown]
	v_dual_fma_f32 v240, v212, v216, -v7 :: v_dual_mul_f32 v7, v219, v223
	s_delay_alu instid0(VALU_DEP_1) | instskip(NEXT) | instid1(VALU_DEP_2)
	v_pk_add_f32 v[104:105], v[238:239], v[240:241]
	v_fma_f32 v242, v218, v222, -v7
	s_delay_alu instid0(VALU_DEP_1) | instskip(NEXT) | instid1(VALU_DEP_1)
	v_pk_add_f32 v[104:105], v[104:105], v[242:243]
	v_pk_add_f32 v[104:105], v[104:105], v[108:109]
	v_pk_fma_f32 v[108:109], v[90:91], v[226:227], v[106:107] neg_lo:[0,0,1] neg_hi:[0,0,1]
	v_pk_fma_f32 v[90:91], v[90:91], v[226:227], v[106:107] op_sel_hi:[1,0,1]
	s_delay_alu instid0(VALU_DEP_1) | instskip(NEXT) | instid1(VALU_DEP_1)
	v_dual_mov_b32 v106, v229 :: v_dual_mov_b32 v109, v91
	v_pk_add_f32 v[90:91], v[104:105], v[108:109]
	v_dual_mov_b32 v104, v93 :: v_dual_mov_b32 v105, v92
	s_delay_alu instid0(VALU_DEP_1) | instskip(NEXT) | instid1(VALU_DEP_1)
	v_pk_mul_f32 v[104:105], v[104:105], v[106:107] op_sel_hi:[1,0]
	v_pk_fma_f32 v[106:107], v[92:93], v[228:229], v[104:105] neg_lo:[0,0,1] neg_hi:[0,0,1]
	v_pk_fma_f32 v[92:93], v[92:93], v[228:229], v[104:105] op_sel_hi:[1,0,1]
	s_delay_alu instid0(VALU_DEP_1) | instskip(SKIP_2) | instid1(VALU_DEP_2)
	v_mov_b32_e32 v107, v93
	s_wait_loadcnt_dscnt 0x202
	v_pk_mul_f32 v[92:93], v[94:95], v[230:231] op_sel:[1,1] op_sel_hi:[0,1]
	v_pk_add_f32 v[90:91], v[90:91], v[106:107]
	s_delay_alu instid0(VALU_DEP_2) | instskip(SKIP_2) | instid1(VALU_DEP_2)
	v_pk_fma_f32 v[104:105], v[94:95], v[230:231], v[92:93] neg_lo:[0,0,1] neg_hi:[0,0,1]
	v_pk_fma_f32 v[92:93], v[94:95], v[230:231], v[92:93] op_sel_hi:[1,0,1]
	v_dual_mov_b32 v92, v97 :: v_dual_mov_b32 v94, v233
	v_dual_mov_b32 v105, v93 :: v_dual_mov_b32 v93, v96
	s_delay_alu instid0(VALU_DEP_1) | instskip(NEXT) | instid1(VALU_DEP_2)
	v_pk_add_f32 v[90:91], v[90:91], v[104:105]
	v_pk_mul_f32 v[92:93], v[92:93], v[94:95] op_sel_hi:[1,0]
	s_delay_alu instid0(VALU_DEP_1) | instskip(SKIP_1) | instid1(VALU_DEP_1)
	v_pk_fma_f32 v[94:95], v[96:97], v[232:233], v[92:93] neg_lo:[0,0,1] neg_hi:[0,0,1]
	v_pk_fma_f32 v[92:93], v[96:97], v[232:233], v[92:93] op_sel_hi:[1,0,1]
	v_mov_b32_e32 v95, v93
	s_wait_loadcnt_dscnt 0x101
	v_pk_mul_f32 v[92:93], v[98:99], v[234:235] op_sel:[1,1] op_sel_hi:[0,1]
	s_delay_alu instid0(VALU_DEP_2) | instskip(NEXT) | instid1(VALU_DEP_2)
	v_pk_add_f32 v[90:91], v[90:91], v[94:95]
	v_pk_fma_f32 v[94:95], v[98:99], v[234:235], v[92:93] neg_lo:[0,0,1] neg_hi:[0,0,1]
	v_pk_fma_f32 v[92:93], v[98:99], v[234:235], v[92:93] op_sel_hi:[1,0,1]
	s_delay_alu instid0(VALU_DEP_1) | instskip(SKIP_1) | instid1(VALU_DEP_2)
	v_dual_mov_b32 v92, v101 :: v_dual_mov_b32 v95, v93
	v_mov_b32_e32 v93, v100
	v_pk_add_f32 v[90:91], v[90:91], v[94:95]
	v_mov_b32_e32 v94, v237
	s_delay_alu instid0(VALU_DEP_1) | instskip(NEXT) | instid1(VALU_DEP_1)
	v_pk_mul_f32 v[92:93], v[92:93], v[94:95] op_sel_hi:[1,0]
	v_pk_fma_f32 v[94:95], v[100:101], v[236:237], v[92:93] neg_lo:[0,0,1] neg_hi:[0,0,1]
	v_pk_fma_f32 v[92:93], v[100:101], v[236:237], v[92:93] op_sel_hi:[1,0,1]
	s_delay_alu instid0(VALU_DEP_1) | instskip(SKIP_2) | instid1(VALU_DEP_2)
	v_mov_b32_e32 v95, v93
	s_wait_loadcnt_dscnt 0x0
	v_pk_mul_f32 v[92:93], v[102:103], v[244:245] op_sel:[1,1] op_sel_hi:[0,1]
	v_pk_add_f32 v[90:91], v[90:91], v[94:95]
	s_delay_alu instid0(VALU_DEP_2) | instskip(SKIP_1) | instid1(VALU_DEP_1)
	v_pk_fma_f32 v[94:95], v[102:103], v[244:245], v[92:93] neg_lo:[0,0,1] neg_hi:[0,0,1]
	v_pk_fma_f32 v[92:93], v[102:103], v[244:245], v[92:93] op_sel_hi:[1,0,1]
	v_mov_b32_e32 v95, v93
	scratch_load_b64 v[92:93], off, off offset:16
	v_pk_add_f32 v[90:91], v[90:91], v[94:95]
	s_wait_loadcnt 0x0
	s_delay_alu instid0(VALU_DEP_1)
	v_pk_add_f32 v[90:91], v[92:93], v[90:91] neg_lo:[0,1] neg_hi:[0,1]
	scratch_store_b64 off, v[90:91], off offset:16
	s_wait_xcnt 0x0
	v_cmpx_lt_u32_e32 1, v0
	s_cbranch_execz .LBB107_275
; %bb.274:
	scratch_load_b64 v[90:91], off, off offset:8
	v_mov_b64_e32 v[92:93], 0
	scratch_store_b64 off, v[92:93], off offset:8
	s_wait_loadcnt 0x0
	ds_store_b64 v1, v[90:91]
.LBB107_275:
	s_wait_xcnt 0x0
	s_or_b32 exec_lo, exec_lo, s0
	s_wait_storecnt_dscnt 0x0
	s_barrier_signal -1
	s_barrier_wait -1
	s_clause 0x15
	scratch_load_b128 v[90:93], off, off offset:16
	scratch_load_b128 v[94:97], off, off offset:32
	;; [unrolled: 1-line block ×21, first 2 shown]
	scratch_load_b64 v[250:251], off, off offset:8
	ds_load_b128 v[174:177], v69 offset:368
	ds_load_b128 v[178:181], v69 offset:384
	;; [unrolled: 1-line block ×19, first 2 shown]
	v_ashrrev_i32_e32 v67, 31, v66
	v_dual_ashrrev_i32 v7, 31, v6 :: v_dual_ashrrev_i32 v9, 31, v8
	v_dual_ashrrev_i32 v11, 31, v10 :: v_dual_ashrrev_i32 v13, 31, v12
	;; [unrolled: 1-line block ×15, first 2 shown]
	s_mov_b32 s0, exec_lo
	s_wait_loadcnt_dscnt 0x1512
	v_dual_mul_f32 v71, v174, v91 :: v_dual_mul_f32 v77, v177, v93
	v_dual_mul_f32 v73, v176, v93 :: v_dual_mul_f32 v75, v175, v91
	s_wait_loadcnt_dscnt 0x1411
	s_delay_alu instid0(VALU_DEP_2) | instskip(NEXT) | instid1(VALU_DEP_3)
	v_dual_mul_f32 v79, v178, v95 :: v_dual_fmac_f32 v71, v175, v90
	v_fma_f32 v77, v176, v92, -v77
	s_wait_loadcnt_dscnt 0x1310
	v_dual_mul_f32 v81, v180, v97 :: v_dual_mul_f32 v83, v182, v99
	v_dual_mul_f32 v85, v184, v101 :: v_dual_mul_f32 v87, v179, v95
	;; [unrolled: 1-line block ×3, first 2 shown]
	s_wait_loadcnt_dscnt 0x120f
	v_dual_mul_f32 v175, v186, v103 :: v_dual_mul_f32 v176, v188, v105
	v_dual_mul_f32 v103, v187, v103 :: v_dual_mul_f32 v105, v189, v105
	v_dual_fmac_f32 v73, v177, v92 :: v_dual_fma_f32 v75, v174, v90, -v75
	v_dual_mul_f32 v101, v185, v101 :: v_dual_fmac_f32 v79, v179, v94
	v_dual_fmac_f32 v81, v181, v96 :: v_dual_fma_f32 v87, v178, v94, -v87
	v_dual_fma_f32 v89, v180, v96, -v89 :: v_dual_fmac_f32 v83, v183, v98
	v_fma_f32 v178, v188, v104, -v105
	s_wait_loadcnt_dscnt 0x1100
	v_dual_mov_b32 v105, v248 :: v_dual_mul_f32 v179, v190, v107
	v_dual_mul_f32 v180, v192, v109 :: v_dual_mul_f32 v107, v191, v107
	s_wait_loadcnt 0x10
	v_dual_mul_f32 v181, v194, v111 :: v_dual_mul_f32 v109, v193, v109
	s_delay_alu instid0(VALU_DEP_2) | instskip(NEXT) | instid1(VALU_DEP_3)
	v_dual_fmac_f32 v179, v191, v106 :: v_dual_fmac_f32 v180, v193, v108
	v_dual_fma_f32 v106, v190, v106, -v107 :: v_dual_add_f32 v71, 0, v71
	s_delay_alu instid0(VALU_DEP_3)
	v_dual_fma_f32 v108, v192, v108, -v109 :: v_dual_add_f32 v75, 0, v75
	v_fma_f32 v174, v184, v100, -v101
	ds_load_b128 v[90:93], v69 offset:592
	ds_load_b128 v[94:97], v69 offset:608
	v_dual_add_f32 v71, v71, v73 :: v_dual_fmac_f32 v85, v185, v100
	v_dual_fma_f32 v69, v182, v98, -v99 :: v_dual_add_f32 v75, v75, v77
	s_wait_loadcnt 0xe
	v_dual_mul_f32 v77, v202, v119 :: v_dual_mul_f32 v73, v200, v117
	s_delay_alu instid0(VALU_DEP_3) | instskip(SKIP_3) | instid1(VALU_DEP_3)
	v_add_f32_e32 v71, v71, v79
	s_wait_loadcnt 0xd
	v_dual_mul_f32 v79, v206, v123 :: v_dual_mul_f32 v184, v204, v121
	v_dual_add_f32 v75, v75, v87 :: v_dual_mov_b32 v98, v237
	v_dual_add_f32 v71, v71, v81 :: v_dual_mov_b32 v101, v240
	v_fmac_f32_e32 v175, v187, v102
	s_wait_loadcnt 0xb
	s_delay_alu instid0(VALU_DEP_3) | instskip(NEXT) | instid1(VALU_DEP_3)
	v_dual_add_f32 v75, v75, v89 :: v_dual_mul_f32 v89, v214, v131
	v_dual_mul_f32 v81, v212, v129 :: v_dual_add_f32 v71, v71, v83
	s_wait_loadcnt 0xa
	s_delay_alu instid0(VALU_DEP_2) | instskip(SKIP_2) | instid1(VALU_DEP_3)
	v_dual_mul_f32 v83, v218, v135 :: v_dual_add_f32 v69, v75, v69
	v_dual_fmac_f32 v176, v189, v104 :: v_dual_fma_f32 v177, v186, v102, -v103
	v_mul_f32_e32 v75, v220, v137
	v_dual_add_f32 v71, v71, v85 :: v_dual_add_f32 v69, v69, v174
	s_wait_loadcnt 0x9
	v_dual_mul_f32 v85, v224, v141 :: v_dual_mov_b32 v102, v245
	v_dual_mul_f32 v182, v196, v113 :: v_dual_mul_f32 v183, v198, v115
	s_delay_alu instid0(VALU_DEP_3)
	v_dual_add_f32 v71, v71, v175 :: v_dual_add_f32 v69, v69, v177
	s_wait_loadcnt 0x8
	v_dual_mul_f32 v188, v228, v145 :: v_dual_mul_f32 v107, v195, v111
	s_wait_loadcnt_dscnt 0x600
	v_dual_mul_f32 v109, v197, v113 :: v_dual_mul_f32 v111, v94, v151
	v_dual_add_f32 v71, v71, v176 :: v_dual_mul_f32 v177, v92, v149
	v_add_f32_e32 v69, v69, v178
	v_dual_fmac_f32 v181, v195, v110 :: v_dual_fmac_f32 v182, v197, v112
	s_delay_alu instid0(VALU_DEP_3) | instskip(NEXT) | instid1(VALU_DEP_3)
	v_dual_add_f32 v71, v71, v179 :: v_dual_fma_f32 v110, v194, v110, -v107
	v_dual_fma_f32 v112, v196, v112, -v109 :: v_dual_add_f32 v69, v69, v106
	s_wait_loadcnt 0x5
	v_dual_mul_f32 v109, v232, v157 :: v_dual_mul_f32 v106, v199, v115
	s_delay_alu instid0(VALU_DEP_3) | instskip(NEXT) | instid1(VALU_DEP_3)
	v_dual_mul_f32 v115, v201, v117 :: v_dual_add_f32 v71, v71, v180
	v_dual_add_f32 v69, v69, v108 :: v_dual_mul_f32 v108, v203, v119
	v_dual_fmac_f32 v183, v199, v114 :: v_dual_fmac_f32 v73, v201, v116
	s_delay_alu instid0(VALU_DEP_2) | instskip(SKIP_1) | instid1(VALU_DEP_2)
	v_dual_add_f32 v71, v71, v181 :: v_dual_add_f32 v69, v69, v110
	v_dual_mul_f32 v110, v209, v125 :: v_dual_fma_f32 v106, v198, v114, -v106
	v_dual_fma_f32 v114, v200, v116, -v115 :: v_dual_add_f32 v71, v71, v182
	s_delay_alu instid0(VALU_DEP_3) | instskip(SKIP_1) | instid1(VALU_DEP_2)
	v_dual_add_f32 v69, v69, v112 :: v_dual_mul_f32 v112, v211, v127
	v_dual_mul_f32 v117, v205, v121 :: v_dual_mul_f32 v119, v207, v123
	v_dual_add_f32 v71, v71, v183 :: v_dual_add_f32 v69, v69, v106
	v_dual_mul_f32 v106, v213, v129 :: v_dual_fmac_f32 v77, v203, v118
	s_delay_alu instid0(VALU_DEP_2) | instskip(NEXT) | instid1(VALU_DEP_3)
	v_dual_fma_f32 v108, v202, v118, -v108 :: v_dual_add_f32 v71, v71, v73
	v_dual_add_f32 v69, v69, v114 :: v_dual_mul_f32 v73, v215, v131
	v_dual_fmac_f32 v184, v205, v120 :: v_dual_fma_f32 v114, v204, v120, -v117
	s_delay_alu instid0(VALU_DEP_2) | instskip(SKIP_2) | instid1(VALU_DEP_3)
	v_dual_add_f32 v71, v71, v77 :: v_dual_add_f32 v69, v69, v108
	v_dual_mul_f32 v87, v208, v125 :: v_dual_mul_f32 v185, v210, v127
	v_dual_mul_f32 v77, v217, v133 :: v_dual_fmac_f32 v79, v207, v122
	v_dual_fma_f32 v108, v206, v122, -v119 :: v_dual_add_f32 v71, v71, v184
	s_delay_alu instid0(VALU_DEP_4) | instskip(NEXT) | instid1(VALU_DEP_4)
	v_dual_add_f32 v69, v69, v114 :: v_dual_mul_f32 v114, v219, v135
	v_dual_fmac_f32 v87, v209, v124 :: v_dual_fma_f32 v110, v208, v124, -v110
	s_delay_alu instid0(VALU_DEP_2) | instskip(SKIP_1) | instid1(VALU_DEP_2)
	v_dual_add_f32 v71, v71, v79 :: v_dual_add_f32 v69, v69, v108
	v_dual_mul_f32 v79, v221, v137 :: v_dual_fmac_f32 v185, v211, v126
	v_dual_fma_f32 v108, v210, v126, -v112 :: v_dual_add_f32 v71, v71, v87
	s_delay_alu instid0(VALU_DEP_3) | instskip(SKIP_1) | instid1(VALU_DEP_2)
	v_dual_add_f32 v69, v69, v110 :: v_dual_mul_f32 v87, v223, v139
	v_dual_fmac_f32 v81, v213, v128 :: v_dual_fma_f32 v106, v212, v128, -v106
	v_dual_add_f32 v71, v71, v185 :: v_dual_add_f32 v69, v69, v108
	v_dual_mul_f32 v186, v216, v133 :: v_dual_mul_f32 v187, v222, v139
	v_dual_mul_f32 v108, v225, v141 :: v_dual_fmac_f32 v89, v215, v130
	s_delay_alu instid0(VALU_DEP_3) | instskip(NEXT) | instid1(VALU_DEP_4)
	v_dual_fma_f32 v73, v214, v130, -v73 :: v_dual_add_f32 v71, v71, v81
	v_dual_add_f32 v69, v69, v106 :: v_dual_mul_f32 v81, v227, v143
	s_delay_alu instid0(VALU_DEP_4) | instskip(NEXT) | instid1(VALU_DEP_3)
	v_dual_fmac_f32 v186, v217, v132 :: v_dual_fma_f32 v77, v216, v132, -v77
	v_dual_add_f32 v71, v71, v89 :: v_dual_fma_f32 v89, v218, v134, -v114
	s_delay_alu instid0(VALU_DEP_3) | instskip(NEXT) | instid1(VALU_DEP_2)
	v_dual_add_f32 v69, v69, v73 :: v_dual_fmac_f32 v83, v219, v134
	v_dual_mul_f32 v73, v229, v145 :: v_dual_add_f32 v71, v71, v186
	v_fmac_f32_e32 v75, v221, v136
	s_delay_alu instid0(VALU_DEP_3) | instskip(NEXT) | instid1(VALU_DEP_3)
	v_dual_add_f32 v69, v69, v77 :: v_dual_mul_f32 v77, v91, v147
	v_dual_fma_f32 v79, v220, v136, -v79 :: v_dual_add_f32 v71, v71, v83
	v_dual_mul_f32 v83, v93, v149 :: v_dual_fmac_f32 v187, v223, v138
	s_delay_alu instid0(VALU_DEP_3) | instskip(NEXT) | instid1(VALU_DEP_3)
	v_dual_add_f32 v69, v69, v89 :: v_dual_fma_f32 v87, v222, v138, -v87
	v_add_f32_e32 v71, v71, v75
	v_mul_f32_e32 v174, v226, v143
	v_dual_mul_f32 v75, v95, v151 :: v_dual_fmac_f32 v85, v225, v140
	s_delay_alu instid0(VALU_DEP_4) | instskip(NEXT) | instid1(VALU_DEP_4)
	v_dual_add_f32 v69, v69, v79 :: v_dual_fma_f32 v79, v224, v140, -v108
	v_add_f32_e32 v71, v71, v187
	s_delay_alu instid0(VALU_DEP_4) | instskip(NEXT) | instid1(VALU_DEP_3)
	v_dual_fmac_f32 v174, v227, v142 :: v_dual_mul_f32 v175, v90, v147
	v_add_f32_e32 v69, v69, v87
	v_dual_mul_f32 v87, v97, v153 :: v_dual_fma_f32 v81, v226, v142, -v81
	s_delay_alu instid0(VALU_DEP_4) | instskip(NEXT) | instid1(VALU_DEP_3)
	v_dual_add_f32 v71, v71, v85 :: v_dual_fmac_f32 v188, v229, v144
	v_dual_add_f32 v69, v69, v79 :: v_dual_fma_f32 v73, v228, v144, -v73
	v_mul_f32_e32 v79, v231, v155
	s_delay_alu instid0(VALU_DEP_3) | instskip(NEXT) | instid1(VALU_DEP_3)
	v_add_f32_e32 v71, v71, v174
	v_dual_fmac_f32 v175, v91, v146 :: v_dual_add_f32 v69, v69, v81
	v_dual_mul_f32 v81, v233, v157 :: v_dual_fma_f32 v77, v90, v146, -v77
	s_delay_alu instid0(VALU_DEP_3) | instskip(SKIP_1) | instid1(VALU_DEP_4)
	v_add_f32_e32 v71, v71, v188
	v_fmac_f32_e32 v177, v93, v148
	v_dual_add_f32 v69, v69, v73 :: v_dual_fma_f32 v73, v92, v148, -v83
	v_dual_mul_f32 v113, v96, v153 :: v_dual_mul_f32 v107, v230, v155
	s_delay_alu instid0(VALU_DEP_2) | instskip(SKIP_2) | instid1(VALU_DEP_2)
	v_dual_add_f32 v71, v71, v175 :: v_dual_add_f32 v69, v69, v77
	s_wait_loadcnt 0x4
	v_dual_fmac_f32 v111, v95, v150 :: v_dual_mov_b32 v92, v161
	v_dual_fma_f32 v75, v94, v150, -v75 :: v_dual_add_f32 v71, v71, v177
	v_fmac_f32_e32 v113, v97, v152
	v_dual_add_f32 v69, v69, v73 :: v_dual_fma_f32 v73, v96, v152, -v87
	v_dual_mov_b32 v99, v236 :: v_dual_mov_b32 v100, v241
	s_wait_loadcnt 0x3
	v_dual_add_f32 v71, v71, v111 :: v_dual_mov_b32 v96, v165
	s_delay_alu instid0(VALU_DEP_3) | instskip(SKIP_1) | instid1(VALU_DEP_3)
	v_dual_add_f32 v69, v69, v75 :: v_dual_fmac_f32 v107, v231, v154
	v_pk_mul_f32 v[90:91], v[234:235], v[158:159] op_sel:[1,1] op_sel_hi:[0,1]
	v_dual_fma_f32 v106, v230, v154, -v79 :: v_dual_add_f32 v111, v71, v113
	s_delay_alu instid0(VALU_DEP_3) | instskip(SKIP_1) | instid1(VALU_DEP_4)
	v_dual_add_f32 v110, v69, v73 :: v_dual_fma_f32 v108, v232, v156, -v81
	v_pk_mul_f32 v[92:93], v[98:99], v[92:93] op_sel_hi:[1,0]
	v_pk_fma_f32 v[112:113], v[234:235], v[158:159], v[90:91] op_sel_hi:[1,0,1]
	v_pk_fma_f32 v[90:91], v[234:235], v[158:159], v[90:91] neg_lo:[0,0,1] neg_hi:[0,0,1]
	s_delay_alu instid0(VALU_DEP_4)
	v_pk_add_f32 v[98:99], v[110:111], v[106:107]
	v_pk_mul_f32 v[94:95], v[238:239], v[162:163] op_sel:[1,1] op_sel_hi:[0,1]
	v_pk_fma_f32 v[110:111], v[236:237], v[160:161], v[92:93] op_sel_hi:[1,0,1]
	v_fmac_f32_e32 v109, v233, v156
	v_pk_fma_f32 v[92:93], v[236:237], v[160:161], v[92:93] neg_lo:[0,0,1] neg_hi:[0,0,1]
	v_mov_b32_e32 v91, v113
	v_pk_mul_f32 v[96:97], v[100:101], v[96:97] op_sel_hi:[1,0]
	v_mov_b32_e32 v93, v111
	v_pk_add_f32 v[98:99], v[98:99], v[108:109]
	v_pk_fma_f32 v[108:109], v[238:239], v[162:163], v[94:95] op_sel_hi:[1,0,1]
	v_dual_mov_b32 v103, v244 :: v_dual_mov_b32 v104, v249
	s_wait_loadcnt 0x2
	v_pk_mul_f32 v[106:107], v[242:243], v[166:167] op_sel:[1,1] op_sel_hi:[0,1]
	v_pk_add_f32 v[90:91], v[98:99], v[90:91]
	v_mov_b32_e32 v98, v169
	v_pk_fma_f32 v[94:95], v[238:239], v[162:163], v[94:95] neg_lo:[0,0,1] neg_hi:[0,0,1]
	v_pk_fma_f32 v[100:101], v[240:241], v[164:165], v[96:97] op_sel_hi:[1,0,1]
	v_mov_b32_e32 v95, v109
	v_pk_add_f32 v[90:91], v[90:91], v[92:93]
	v_pk_fma_f32 v[92:93], v[242:243], v[166:167], v[106:107] op_sel_hi:[1,0,1]
	v_pk_mul_f32 v[98:99], v[102:103], v[98:99] op_sel_hi:[1,0]
	v_pk_fma_f32 v[96:97], v[240:241], v[164:165], v[96:97] neg_lo:[0,0,1] neg_hi:[0,0,1]
	v_mov_b32_e32 v97, v101
	v_pk_add_f32 v[90:91], v[90:91], v[94:95]
	v_pk_fma_f32 v[100:101], v[242:243], v[166:167], v[106:107] neg_lo:[0,0,1] neg_hi:[0,0,1]
	v_mov_b32_e32 v101, v93
	v_pk_fma_f32 v[92:93], v[244:245], v[168:169], v[98:99] op_sel_hi:[1,0,1]
	s_wait_loadcnt 0x1
	v_pk_mul_f32 v[94:95], v[246:247], v[170:171] op_sel:[1,1] op_sel_hi:[0,1]
	v_pk_add_f32 v[90:91], v[90:91], v[96:97]
	v_mov_b32_e32 v92, v173
	v_pk_fma_f32 v[98:99], v[244:245], v[168:169], v[98:99] neg_lo:[0,0,1] neg_hi:[0,0,1]
	v_dual_mov_b32 v99, v93 :: v_dual_ashrrev_i32 v69, 31, v68
	v_pk_fma_f32 v[96:97], v[246:247], v[170:171], v[94:95] op_sel_hi:[1,0,1]
	v_pk_add_f32 v[90:91], v[90:91], v[100:101]
	v_pk_mul_f32 v[92:93], v[104:105], v[92:93] op_sel_hi:[1,0]
	v_pk_fma_f32 v[94:95], v[246:247], v[170:171], v[94:95] neg_lo:[0,0,1] neg_hi:[0,0,1]
	s_delay_alu instid0(VALU_DEP_4) | instskip(NEXT) | instid1(VALU_DEP_4)
	v_dual_ashrrev_i32 v71, 31, v70 :: v_dual_mov_b32 v95, v97
	v_pk_add_f32 v[90:91], v[90:91], v[98:99]
	s_delay_alu instid0(VALU_DEP_4)
	v_pk_fma_f32 v[96:97], v[248:249], v[172:173], v[92:93] op_sel_hi:[1,0,1]
	v_pk_fma_f32 v[92:93], v[248:249], v[172:173], v[92:93] neg_lo:[0,0,1] neg_hi:[0,0,1]
	v_dual_ashrrev_i32 v73, 31, v72 :: v_dual_ashrrev_i32 v75, 31, v74
	v_ashrrev_i32_e32 v77, 31, v76
	v_pk_add_f32 v[90:91], v[90:91], v[94:95]
	v_dual_mov_b32 v93, v97 :: v_dual_ashrrev_i32 v79, 31, v78
	v_dual_ashrrev_i32 v81, 31, v80 :: v_dual_ashrrev_i32 v83, 31, v82
	v_ashrrev_i32_e32 v85, 31, v84
	s_delay_alu instid0(VALU_DEP_3) | instskip(SKIP_2) | instid1(VALU_DEP_2)
	v_pk_add_f32 v[90:91], v[90:91], v[92:93]
	v_dual_ashrrev_i32 v87, 31, v86 :: v_dual_ashrrev_i32 v89, 31, v88
	s_wait_loadcnt 0x0
	v_pk_add_f32 v[90:91], v[250:251], v[90:91] neg_lo:[0,1] neg_hi:[0,1]
	scratch_store_b64 off, v[90:91], off offset:8
	s_wait_xcnt 0x0
	v_cmpx_ne_u32_e32 0, v0
	s_cbranch_execz .LBB107_277
; %bb.276:
	scratch_load_b64 v[90:91], off, off
	v_mov_b64_e32 v[92:93], 0
	scratch_store_b64 off, v[92:93], off
	s_wait_loadcnt 0x0
	ds_store_b64 v1, v[90:91]
.LBB107_277:
	s_wait_xcnt 0x0
	s_or_b32 exec_lo, exec_lo, s0
	s_wait_storecnt_dscnt 0x0
	s_barrier_signal -1
	s_barrier_wait -1
	s_clause 0x7
	scratch_load_b128 v[94:97], off, off offset:8
	scratch_load_b128 v[102:105], off, off offset:24
	;; [unrolled: 1-line block ×8, first 2 shown]
	v_mov_b32_e32 v0, 0
	s_clause 0x3
	scratch_load_b128 v[158:161], off, off offset:136
	scratch_load_b128 v[166:169], off, off offset:152
	;; [unrolled: 1-line block ×4, first 2 shown]
	ds_load_2addr_b64 v[90:93], v0 offset0:45 offset1:46
	s_clause 0x5
	scratch_load_b128 v[190:193], off, off offset:200
	scratch_load_b128 v[198:201], off, off offset:216
	;; [unrolled: 1-line block ×6, first 2 shown]
	s_and_b32 vcc_lo, exec_lo, s12
	s_wait_loadcnt_dscnt 0x1100
	v_dual_mul_f32 v1, v90, v95 :: v_dual_mul_f32 v98, v92, v97
	s_delay_alu instid0(VALU_DEP_1) | instskip(NEXT) | instid1(VALU_DEP_1)
	v_dual_fmac_f32 v1, v91, v94 :: v_dual_fmac_f32 v98, v93, v96
	v_add_f32_e32 v1, 0, v1
	s_delay_alu instid0(VALU_DEP_1) | instskip(SKIP_3) | instid1(VALU_DEP_1)
	v_add_f32_e32 v1, v1, v98
	ds_load_2addr_b64 v[98:101], v0 offset0:47 offset1:48
	s_wait_loadcnt_dscnt 0x1000
	v_mul_f32_e32 v106, v98, v103
	v_fmac_f32_e32 v106, v99, v102
	s_delay_alu instid0(VALU_DEP_1) | instskip(NEXT) | instid1(VALU_DEP_1)
	v_dual_add_f32 v1, v1, v106 :: v_dual_mul_f32 v106, v100, v105
	v_fmac_f32_e32 v106, v101, v104
	s_delay_alu instid0(VALU_DEP_1) | instskip(SKIP_3) | instid1(VALU_DEP_1)
	v_add_f32_e32 v1, v1, v106
	ds_load_2addr_b64 v[106:109], v0 offset0:49 offset1:50
	s_wait_loadcnt_dscnt 0xf00
	v_mul_f32_e32 v114, v106, v111
	v_fmac_f32_e32 v114, v107, v110
	s_delay_alu instid0(VALU_DEP_1) | instskip(NEXT) | instid1(VALU_DEP_1)
	v_dual_add_f32 v1, v1, v114 :: v_dual_mul_f32 v114, v108, v113
	v_fmac_f32_e32 v114, v109, v112
	;; [unrolled: 9-line block ×15, first 2 shown]
	s_delay_alu instid0(VALU_DEP_1) | instskip(SKIP_3) | instid1(VALU_DEP_1)
	v_add_f32_e32 v1, v1, v218
	ds_load_2addr_b64 v[218:221], v0 offset0:77 offset1:78
	s_wait_loadcnt_dscnt 0x100
	v_dual_mul_f32 v226, v218, v223 :: v_dual_mul_f32 v249, v220, v225
	v_dual_fmac_f32 v226, v219, v222 :: v_dual_fmac_f32 v249, v221, v224
	s_delay_alu instid0(VALU_DEP_1)
	v_dual_add_f32 v247, v1, v226 :: v_dual_mul_f32 v1, v91, v95
	ds_load_2addr_b64 v[226:229], v0 offset0:79 offset1:80
	s_clause 0x3
	scratch_load_b128 v[234:237], off, off offset:296
	scratch_load_b128 v[238:241], off, off offset:312
	;; [unrolled: 1-line block ×3, first 2 shown]
	scratch_load_b64 v[252:253], off, off offset:344
	v_dual_fma_f32 v1, v90, v94, -v1 :: v_dual_mul_f32 v90, v93, v97
	s_delay_alu instid0(VALU_DEP_1) | instskip(NEXT) | instid1(VALU_DEP_1)
	v_dual_add_f32 v1, 0, v1 :: v_dual_fma_f32 v90, v92, v96, -v90
	v_dual_add_f32 v1, v1, v90 :: v_dual_mul_f32 v90, v99, v103
	s_wait_loadcnt_dscnt 0x400
	v_mul_f32_e32 v251, v226, v231
	s_delay_alu instid0(VALU_DEP_2) | instskip(NEXT) | instid1(VALU_DEP_2)
	v_fma_f32 v90, v98, v102, -v90
	v_fmac_f32_e32 v251, v227, v230
	s_delay_alu instid0(VALU_DEP_2) | instskip(SKIP_1) | instid1(VALU_DEP_1)
	v_add_f32_e32 v1, v1, v90
	v_mul_f32_e32 v90, v101, v105
	v_fma_f32 v90, v100, v104, -v90
	s_delay_alu instid0(VALU_DEP_1) | instskip(NEXT) | instid1(VALU_DEP_1)
	v_dual_add_f32 v1, v1, v90 :: v_dual_mul_f32 v90, v107, v111
	v_dual_mov_b32 v107, v228 :: v_dual_fma_f32 v90, v106, v110, -v90
	v_mov_b32_e32 v106, v229
	s_delay_alu instid0(VALU_DEP_2) | instskip(SKIP_1) | instid1(VALU_DEP_1)
	v_add_f32_e32 v1, v1, v90
	v_mul_f32_e32 v90, v109, v113
	v_dual_fma_f32 v90, v108, v112, -v90 :: v_dual_mov_b32 v108, v233
	s_delay_alu instid0(VALU_DEP_1) | instskip(NEXT) | instid1(VALU_DEP_2)
	v_dual_add_f32 v1, v1, v90 :: v_dual_mul_f32 v90, v115, v119
	v_pk_mul_f32 v[106:107], v[106:107], v[108:109] op_sel_hi:[1,0]
	s_delay_alu instid0(VALU_DEP_2) | instskip(NEXT) | instid1(VALU_DEP_2)
	v_fma_f32 v90, v114, v118, -v90
	v_pk_fma_f32 v[108:109], v[228:229], v[232:233], v[106:107] neg_lo:[0,0,1] neg_hi:[0,0,1]
	v_pk_fma_f32 v[106:107], v[228:229], v[232:233], v[106:107] op_sel_hi:[1,0,1]
	s_delay_alu instid0(VALU_DEP_3) | instskip(NEXT) | instid1(VALU_DEP_2)
	v_add_f32_e32 v1, v1, v90
	v_dual_mul_f32 v90, v117, v121 :: v_dual_mov_b32 v109, v107
	s_delay_alu instid0(VALU_DEP_1) | instskip(NEXT) | instid1(VALU_DEP_1)
	v_fma_f32 v90, v116, v120, -v90
	v_dual_add_f32 v1, v1, v90 :: v_dual_mul_f32 v90, v123, v127
	s_delay_alu instid0(VALU_DEP_1) | instskip(NEXT) | instid1(VALU_DEP_1)
	v_fma_f32 v90, v122, v126, -v90
	v_add_f32_e32 v1, v1, v90
	v_mul_f32_e32 v90, v125, v129
	s_delay_alu instid0(VALU_DEP_1) | instskip(NEXT) | instid1(VALU_DEP_1)
	v_fma_f32 v90, v124, v128, -v90
	v_dual_add_f32 v1, v1, v90 :: v_dual_mul_f32 v90, v131, v135
	s_delay_alu instid0(VALU_DEP_1) | instskip(NEXT) | instid1(VALU_DEP_1)
	v_fma_f32 v90, v130, v134, -v90
	v_add_f32_e32 v1, v1, v90
	v_mul_f32_e32 v90, v133, v137
	;; [unrolled: 7-line block ×12, first 2 shown]
	s_delay_alu instid0(VALU_DEP_1) | instskip(NEXT) | instid1(VALU_DEP_1)
	v_fma_f32 v90, v212, v216, -v90
	v_dual_add_f32 v1, v1, v90 :: v_dual_mul_f32 v90, v219, v223
	s_delay_alu instid0(VALU_DEP_1) | instskip(NEXT) | instid1(VALU_DEP_1)
	v_fma_f32 v90, v218, v222, -v90
	v_add_f32_e32 v246, v1, v90
	ds_load_2addr_b64 v[90:93], v0 offset0:81 offset1:82
	ds_load_2addr_b64 v[94:97], v0 offset0:83 offset1:84
	ds_load_2addr_b64 v[98:101], v0 offset0:85 offset1:86
	ds_load_b64 v[102:103], v0 offset:696
	v_mul_f32_e32 v1, v221, v225
	s_delay_alu instid0(VALU_DEP_1) | instskip(NEXT) | instid1(VALU_DEP_1)
	v_dual_fma_f32 v248, v220, v224, -v1 :: v_dual_mul_f32 v1, v227, v231
	v_pk_add_f32 v[104:105], v[246:247], v[248:249]
	s_delay_alu instid0(VALU_DEP_2) | instskip(NEXT) | instid1(VALU_DEP_1)
	v_fma_f32 v250, v226, v230, -v1
	v_pk_add_f32 v[104:105], v[104:105], v[250:251]
	s_wait_loadcnt_dscnt 0x303
	v_pk_mul_f32 v[106:107], v[90:91], v[234:235] op_sel:[1,1] op_sel_hi:[0,1]
	s_delay_alu instid0(VALU_DEP_2) | instskip(NEXT) | instid1(VALU_DEP_2)
	v_pk_add_f32 v[104:105], v[104:105], v[108:109]
	v_pk_fma_f32 v[108:109], v[90:91], v[234:235], v[106:107] neg_lo:[0,0,1] neg_hi:[0,0,1]
	v_pk_fma_f32 v[90:91], v[90:91], v[234:235], v[106:107] op_sel_hi:[1,0,1]
	s_delay_alu instid0(VALU_DEP_1) | instskip(NEXT) | instid1(VALU_DEP_1)
	v_dual_mov_b32 v106, v237 :: v_dual_mov_b32 v109, v91
	v_pk_add_f32 v[90:91], v[104:105], v[108:109]
	v_dual_mov_b32 v104, v93 :: v_dual_mov_b32 v105, v92
	s_delay_alu instid0(VALU_DEP_1) | instskip(NEXT) | instid1(VALU_DEP_1)
	v_pk_mul_f32 v[104:105], v[104:105], v[106:107] op_sel_hi:[1,0]
	v_pk_fma_f32 v[106:107], v[92:93], v[236:237], v[104:105] neg_lo:[0,0,1] neg_hi:[0,0,1]
	v_pk_fma_f32 v[92:93], v[92:93], v[236:237], v[104:105] op_sel_hi:[1,0,1]
	s_delay_alu instid0(VALU_DEP_1) | instskip(SKIP_2) | instid1(VALU_DEP_2)
	v_mov_b32_e32 v107, v93
	s_wait_loadcnt_dscnt 0x202
	v_pk_mul_f32 v[92:93], v[94:95], v[238:239] op_sel:[1,1] op_sel_hi:[0,1]
	v_pk_add_f32 v[90:91], v[90:91], v[106:107]
	s_delay_alu instid0(VALU_DEP_2) | instskip(SKIP_2) | instid1(VALU_DEP_2)
	v_pk_fma_f32 v[104:105], v[94:95], v[238:239], v[92:93] neg_lo:[0,0,1] neg_hi:[0,0,1]
	v_pk_fma_f32 v[92:93], v[94:95], v[238:239], v[92:93] op_sel_hi:[1,0,1]
	v_dual_mov_b32 v92, v97 :: v_dual_mov_b32 v94, v241
	v_dual_mov_b32 v105, v93 :: v_dual_mov_b32 v93, v96
	s_delay_alu instid0(VALU_DEP_1) | instskip(NEXT) | instid1(VALU_DEP_2)
	v_pk_add_f32 v[90:91], v[90:91], v[104:105]
	v_pk_mul_f32 v[92:93], v[92:93], v[94:95] op_sel_hi:[1,0]
	s_delay_alu instid0(VALU_DEP_1) | instskip(SKIP_1) | instid1(VALU_DEP_1)
	v_pk_fma_f32 v[94:95], v[96:97], v[240:241], v[92:93] neg_lo:[0,0,1] neg_hi:[0,0,1]
	v_pk_fma_f32 v[92:93], v[96:97], v[240:241], v[92:93] op_sel_hi:[1,0,1]
	v_mov_b32_e32 v95, v93
	s_wait_loadcnt_dscnt 0x101
	v_pk_mul_f32 v[92:93], v[98:99], v[242:243] op_sel:[1,1] op_sel_hi:[0,1]
	s_delay_alu instid0(VALU_DEP_2) | instskip(NEXT) | instid1(VALU_DEP_2)
	v_pk_add_f32 v[90:91], v[90:91], v[94:95]
	v_pk_fma_f32 v[94:95], v[98:99], v[242:243], v[92:93] neg_lo:[0,0,1] neg_hi:[0,0,1]
	v_pk_fma_f32 v[92:93], v[98:99], v[242:243], v[92:93] op_sel_hi:[1,0,1]
	s_delay_alu instid0(VALU_DEP_1) | instskip(SKIP_1) | instid1(VALU_DEP_2)
	v_dual_mov_b32 v92, v101 :: v_dual_mov_b32 v95, v93
	v_mov_b32_e32 v93, v100
	v_pk_add_f32 v[90:91], v[90:91], v[94:95]
	v_mov_b32_e32 v94, v245
	s_delay_alu instid0(VALU_DEP_1) | instskip(NEXT) | instid1(VALU_DEP_1)
	v_pk_mul_f32 v[92:93], v[92:93], v[94:95] op_sel_hi:[1,0]
	v_pk_fma_f32 v[94:95], v[100:101], v[244:245], v[92:93] neg_lo:[0,0,1] neg_hi:[0,0,1]
	v_pk_fma_f32 v[92:93], v[100:101], v[244:245], v[92:93] op_sel_hi:[1,0,1]
	s_delay_alu instid0(VALU_DEP_1) | instskip(SKIP_2) | instid1(VALU_DEP_2)
	v_mov_b32_e32 v95, v93
	s_wait_loadcnt_dscnt 0x0
	v_pk_mul_f32 v[92:93], v[102:103], v[252:253] op_sel:[1,1] op_sel_hi:[0,1]
	v_pk_add_f32 v[90:91], v[90:91], v[94:95]
	s_delay_alu instid0(VALU_DEP_2) | instskip(SKIP_1) | instid1(VALU_DEP_1)
	v_pk_fma_f32 v[94:95], v[102:103], v[252:253], v[92:93] neg_lo:[0,0,1] neg_hi:[0,0,1]
	v_pk_fma_f32 v[92:93], v[102:103], v[252:253], v[92:93] op_sel_hi:[1,0,1]
	v_mov_b32_e32 v95, v93
	scratch_load_b64 v[92:93], off, off
	v_pk_add_f32 v[90:91], v[90:91], v[94:95]
	s_wait_loadcnt 0x0
	s_delay_alu instid0(VALU_DEP_1)
	v_pk_add_f32 v[90:91], v[92:93], v[90:91] neg_lo:[0,1] neg_hi:[0,1]
	scratch_store_b64 off, v[90:91], off
	s_cbranch_vccz .LBB107_364
; %bb.278:
	global_load_b32 v0, v0, s[8:9] offset:168
	s_wait_loadcnt 0x0
	v_cmp_ne_u32_e32 vcc_lo, 43, v0
	s_cbranch_vccz .LBB107_280
; %bb.279:
	s_wait_xcnt 0x0
	v_lshlrev_b32_e32 v0, 3, v0
	s_delay_alu instid0(VALU_DEP_1)
	v_mov_b32_e32 v92, v0
	scratch_load_b64 v[0:1], v92, off offset:-8
	scratch_load_b64 v[90:91], off, off offset:336
	s_wait_loadcnt 0x1
	scratch_store_b64 off, v[0:1], off offset:336
	s_wait_loadcnt 0x0
	scratch_store_b64 v92, v[90:91], off offset:-8
.LBB107_280:
	s_wait_xcnt 0x0
	v_mov_b32_e32 v0, 0
	global_load_b32 v1, v0, s[8:9] offset:164
	s_wait_loadcnt 0x0
	v_cmp_eq_u32_e32 vcc_lo, 42, v1
	s_cbranch_vccnz .LBB107_282
; %bb.281:
	v_lshlrev_b32_e32 v1, 3, v1
	scratch_load_b64 v[90:91], v1, off offset:-8
	scratch_load_b64 v[92:93], off, off offset:328
	s_wait_loadcnt 0x1
	scratch_store_b64 off, v[90:91], off offset:328
	s_wait_loadcnt 0x0
	scratch_store_b64 v1, v[92:93], off offset:-8
.LBB107_282:
	global_load_b32 v0, v0, s[8:9] offset:160
	s_wait_loadcnt 0x0
	v_cmp_eq_u32_e32 vcc_lo, 41, v0
	s_cbranch_vccnz .LBB107_284
; %bb.283:
	s_wait_xcnt 0x0
	v_lshlrev_b32_e32 v0, 3, v0
	s_delay_alu instid0(VALU_DEP_1)
	v_mov_b32_e32 v92, v0
	scratch_load_b64 v[0:1], v92, off offset:-8
	scratch_load_b64 v[90:91], off, off offset:320
	s_wait_loadcnt 0x1
	scratch_store_b64 off, v[0:1], off offset:320
	s_wait_loadcnt 0x0
	scratch_store_b64 v92, v[90:91], off offset:-8
.LBB107_284:
	s_wait_xcnt 0x0
	v_mov_b32_e32 v0, 0
	global_load_b32 v1, v0, s[8:9] offset:156
	s_wait_loadcnt 0x0
	v_cmp_eq_u32_e32 vcc_lo, 40, v1
	s_cbranch_vccnz .LBB107_286
; %bb.285:
	v_lshlrev_b32_e32 v1, 3, v1
	scratch_load_b64 v[90:91], v1, off offset:-8
	scratch_load_b64 v[92:93], off, off offset:312
	s_wait_loadcnt 0x1
	scratch_store_b64 off, v[90:91], off offset:312
	s_wait_loadcnt 0x0
	scratch_store_b64 v1, v[92:93], off offset:-8
.LBB107_286:
	global_load_b32 v0, v0, s[8:9] offset:152
	s_wait_loadcnt 0x0
	v_cmp_eq_u32_e32 vcc_lo, 39, v0
	s_cbranch_vccnz .LBB107_288
; %bb.287:
	s_wait_xcnt 0x0
	v_lshlrev_b32_e32 v0, 3, v0
	s_delay_alu instid0(VALU_DEP_1)
	v_mov_b32_e32 v92, v0
	scratch_load_b64 v[0:1], v92, off offset:-8
	scratch_load_b64 v[90:91], off, off offset:304
	s_wait_loadcnt 0x1
	scratch_store_b64 off, v[0:1], off offset:304
	s_wait_loadcnt 0x0
	scratch_store_b64 v92, v[90:91], off offset:-8
.LBB107_288:
	s_wait_xcnt 0x0
	v_mov_b32_e32 v0, 0
	global_load_b32 v1, v0, s[8:9] offset:148
	s_wait_loadcnt 0x0
	v_cmp_eq_u32_e32 vcc_lo, 38, v1
	s_cbranch_vccnz .LBB107_290
; %bb.289:
	v_lshlrev_b32_e32 v1, 3, v1
	scratch_load_b64 v[90:91], v1, off offset:-8
	scratch_load_b64 v[92:93], off, off offset:296
	s_wait_loadcnt 0x1
	scratch_store_b64 off, v[90:91], off offset:296
	s_wait_loadcnt 0x0
	scratch_store_b64 v1, v[92:93], off offset:-8
.LBB107_290:
	global_load_b32 v0, v0, s[8:9] offset:144
	s_wait_loadcnt 0x0
	v_cmp_eq_u32_e32 vcc_lo, 37, v0
	s_cbranch_vccnz .LBB107_292
; %bb.291:
	s_wait_xcnt 0x0
	v_lshlrev_b32_e32 v0, 3, v0
	s_delay_alu instid0(VALU_DEP_1)
	v_mov_b32_e32 v92, v0
	scratch_load_b64 v[0:1], v92, off offset:-8
	scratch_load_b64 v[90:91], off, off offset:288
	s_wait_loadcnt 0x1
	scratch_store_b64 off, v[0:1], off offset:288
	s_wait_loadcnt 0x0
	scratch_store_b64 v92, v[90:91], off offset:-8
.LBB107_292:
	s_wait_xcnt 0x0
	v_mov_b32_e32 v0, 0
	global_load_b32 v1, v0, s[8:9] offset:140
	s_wait_loadcnt 0x0
	v_cmp_eq_u32_e32 vcc_lo, 36, v1
	s_cbranch_vccnz .LBB107_294
; %bb.293:
	v_lshlrev_b32_e32 v1, 3, v1
	scratch_load_b64 v[90:91], v1, off offset:-8
	scratch_load_b64 v[92:93], off, off offset:280
	s_wait_loadcnt 0x1
	scratch_store_b64 off, v[90:91], off offset:280
	s_wait_loadcnt 0x0
	scratch_store_b64 v1, v[92:93], off offset:-8
.LBB107_294:
	global_load_b32 v0, v0, s[8:9] offset:136
	s_wait_loadcnt 0x0
	v_cmp_eq_u32_e32 vcc_lo, 35, v0
	s_cbranch_vccnz .LBB107_296
; %bb.295:
	s_wait_xcnt 0x0
	v_lshlrev_b32_e32 v0, 3, v0
	s_delay_alu instid0(VALU_DEP_1)
	v_mov_b32_e32 v92, v0
	scratch_load_b64 v[0:1], v92, off offset:-8
	scratch_load_b64 v[90:91], off, off offset:272
	s_wait_loadcnt 0x1
	scratch_store_b64 off, v[0:1], off offset:272
	s_wait_loadcnt 0x0
	scratch_store_b64 v92, v[90:91], off offset:-8
.LBB107_296:
	s_wait_xcnt 0x0
	v_mov_b32_e32 v0, 0
	global_load_b32 v1, v0, s[8:9] offset:132
	s_wait_loadcnt 0x0
	v_cmp_eq_u32_e32 vcc_lo, 34, v1
	s_cbranch_vccnz .LBB107_298
; %bb.297:
	v_lshlrev_b32_e32 v1, 3, v1
	scratch_load_b64 v[90:91], v1, off offset:-8
	scratch_load_b64 v[92:93], off, off offset:264
	s_wait_loadcnt 0x1
	scratch_store_b64 off, v[90:91], off offset:264
	s_wait_loadcnt 0x0
	scratch_store_b64 v1, v[92:93], off offset:-8
.LBB107_298:
	global_load_b32 v0, v0, s[8:9] offset:128
	s_wait_loadcnt 0x0
	v_cmp_eq_u32_e32 vcc_lo, 33, v0
	s_cbranch_vccnz .LBB107_300
; %bb.299:
	s_wait_xcnt 0x0
	v_lshlrev_b32_e32 v0, 3, v0
	s_delay_alu instid0(VALU_DEP_1)
	v_mov_b32_e32 v92, v0
	scratch_load_b64 v[0:1], v92, off offset:-8
	scratch_load_b64 v[90:91], off, off offset:256
	s_wait_loadcnt 0x1
	scratch_store_b64 off, v[0:1], off offset:256
	s_wait_loadcnt 0x0
	scratch_store_b64 v92, v[90:91], off offset:-8
.LBB107_300:
	s_wait_xcnt 0x0
	v_mov_b32_e32 v0, 0
	global_load_b32 v1, v0, s[8:9] offset:124
	s_wait_loadcnt 0x0
	v_cmp_eq_u32_e32 vcc_lo, 32, v1
	s_cbranch_vccnz .LBB107_302
; %bb.301:
	v_lshlrev_b32_e32 v1, 3, v1
	scratch_load_b64 v[90:91], v1, off offset:-8
	scratch_load_b64 v[92:93], off, off offset:248
	s_wait_loadcnt 0x1
	scratch_store_b64 off, v[90:91], off offset:248
	s_wait_loadcnt 0x0
	scratch_store_b64 v1, v[92:93], off offset:-8
.LBB107_302:
	global_load_b32 v0, v0, s[8:9] offset:120
	s_wait_loadcnt 0x0
	v_cmp_eq_u32_e32 vcc_lo, 31, v0
	s_cbranch_vccnz .LBB107_304
; %bb.303:
	s_wait_xcnt 0x0
	v_lshlrev_b32_e32 v0, 3, v0
	s_delay_alu instid0(VALU_DEP_1)
	v_mov_b32_e32 v92, v0
	scratch_load_b64 v[0:1], v92, off offset:-8
	scratch_load_b64 v[90:91], off, off offset:240
	s_wait_loadcnt 0x1
	scratch_store_b64 off, v[0:1], off offset:240
	s_wait_loadcnt 0x0
	scratch_store_b64 v92, v[90:91], off offset:-8
.LBB107_304:
	s_wait_xcnt 0x0
	v_mov_b32_e32 v0, 0
	global_load_b32 v1, v0, s[8:9] offset:116
	s_wait_loadcnt 0x0
	v_cmp_eq_u32_e32 vcc_lo, 30, v1
	s_cbranch_vccnz .LBB107_306
; %bb.305:
	v_lshlrev_b32_e32 v1, 3, v1
	scratch_load_b64 v[90:91], v1, off offset:-8
	scratch_load_b64 v[92:93], off, off offset:232
	s_wait_loadcnt 0x1
	scratch_store_b64 off, v[90:91], off offset:232
	s_wait_loadcnt 0x0
	scratch_store_b64 v1, v[92:93], off offset:-8
.LBB107_306:
	global_load_b32 v0, v0, s[8:9] offset:112
	s_wait_loadcnt 0x0
	v_cmp_eq_u32_e32 vcc_lo, 29, v0
	s_cbranch_vccnz .LBB107_308
; %bb.307:
	s_wait_xcnt 0x0
	v_lshlrev_b32_e32 v0, 3, v0
	s_delay_alu instid0(VALU_DEP_1)
	v_mov_b32_e32 v92, v0
	scratch_load_b64 v[0:1], v92, off offset:-8
	scratch_load_b64 v[90:91], off, off offset:224
	s_wait_loadcnt 0x1
	scratch_store_b64 off, v[0:1], off offset:224
	s_wait_loadcnt 0x0
	scratch_store_b64 v92, v[90:91], off offset:-8
.LBB107_308:
	s_wait_xcnt 0x0
	v_mov_b32_e32 v0, 0
	global_load_b32 v1, v0, s[8:9] offset:108
	s_wait_loadcnt 0x0
	v_cmp_eq_u32_e32 vcc_lo, 28, v1
	s_cbranch_vccnz .LBB107_310
; %bb.309:
	v_lshlrev_b32_e32 v1, 3, v1
	scratch_load_b64 v[90:91], v1, off offset:-8
	scratch_load_b64 v[92:93], off, off offset:216
	s_wait_loadcnt 0x1
	scratch_store_b64 off, v[90:91], off offset:216
	s_wait_loadcnt 0x0
	scratch_store_b64 v1, v[92:93], off offset:-8
.LBB107_310:
	global_load_b32 v0, v0, s[8:9] offset:104
	s_wait_loadcnt 0x0
	v_cmp_eq_u32_e32 vcc_lo, 27, v0
	s_cbranch_vccnz .LBB107_312
; %bb.311:
	s_wait_xcnt 0x0
	v_lshlrev_b32_e32 v0, 3, v0
	s_delay_alu instid0(VALU_DEP_1)
	v_mov_b32_e32 v92, v0
	scratch_load_b64 v[0:1], v92, off offset:-8
	scratch_load_b64 v[90:91], off, off offset:208
	s_wait_loadcnt 0x1
	scratch_store_b64 off, v[0:1], off offset:208
	s_wait_loadcnt 0x0
	scratch_store_b64 v92, v[90:91], off offset:-8
.LBB107_312:
	s_wait_xcnt 0x0
	v_mov_b32_e32 v0, 0
	global_load_b32 v1, v0, s[8:9] offset:100
	s_wait_loadcnt 0x0
	v_cmp_eq_u32_e32 vcc_lo, 26, v1
	s_cbranch_vccnz .LBB107_314
; %bb.313:
	v_lshlrev_b32_e32 v1, 3, v1
	scratch_load_b64 v[90:91], v1, off offset:-8
	scratch_load_b64 v[92:93], off, off offset:200
	s_wait_loadcnt 0x1
	scratch_store_b64 off, v[90:91], off offset:200
	s_wait_loadcnt 0x0
	scratch_store_b64 v1, v[92:93], off offset:-8
.LBB107_314:
	global_load_b32 v0, v0, s[8:9] offset:96
	s_wait_loadcnt 0x0
	v_cmp_eq_u32_e32 vcc_lo, 25, v0
	s_cbranch_vccnz .LBB107_316
; %bb.315:
	s_wait_xcnt 0x0
	v_lshlrev_b32_e32 v0, 3, v0
	s_delay_alu instid0(VALU_DEP_1)
	v_mov_b32_e32 v92, v0
	scratch_load_b64 v[0:1], v92, off offset:-8
	scratch_load_b64 v[90:91], off, off offset:192
	s_wait_loadcnt 0x1
	scratch_store_b64 off, v[0:1], off offset:192
	s_wait_loadcnt 0x0
	scratch_store_b64 v92, v[90:91], off offset:-8
.LBB107_316:
	s_wait_xcnt 0x0
	v_mov_b32_e32 v0, 0
	global_load_b32 v1, v0, s[8:9] offset:92
	s_wait_loadcnt 0x0
	v_cmp_eq_u32_e32 vcc_lo, 24, v1
	s_cbranch_vccnz .LBB107_318
; %bb.317:
	v_lshlrev_b32_e32 v1, 3, v1
	scratch_load_b64 v[90:91], v1, off offset:-8
	scratch_load_b64 v[92:93], off, off offset:184
	s_wait_loadcnt 0x1
	scratch_store_b64 off, v[90:91], off offset:184
	s_wait_loadcnt 0x0
	scratch_store_b64 v1, v[92:93], off offset:-8
.LBB107_318:
	global_load_b32 v0, v0, s[8:9] offset:88
	s_wait_loadcnt 0x0
	v_cmp_eq_u32_e32 vcc_lo, 23, v0
	s_cbranch_vccnz .LBB107_320
; %bb.319:
	s_wait_xcnt 0x0
	v_lshlrev_b32_e32 v0, 3, v0
	s_delay_alu instid0(VALU_DEP_1)
	v_mov_b32_e32 v92, v0
	scratch_load_b64 v[0:1], v92, off offset:-8
	scratch_load_b64 v[90:91], off, off offset:176
	s_wait_loadcnt 0x1
	scratch_store_b64 off, v[0:1], off offset:176
	s_wait_loadcnt 0x0
	scratch_store_b64 v92, v[90:91], off offset:-8
.LBB107_320:
	s_wait_xcnt 0x0
	v_mov_b32_e32 v0, 0
	global_load_b32 v1, v0, s[8:9] offset:84
	s_wait_loadcnt 0x0
	v_cmp_eq_u32_e32 vcc_lo, 22, v1
	s_cbranch_vccnz .LBB107_322
; %bb.321:
	v_lshlrev_b32_e32 v1, 3, v1
	scratch_load_b64 v[90:91], v1, off offset:-8
	scratch_load_b64 v[92:93], off, off offset:168
	s_wait_loadcnt 0x1
	scratch_store_b64 off, v[90:91], off offset:168
	s_wait_loadcnt 0x0
	scratch_store_b64 v1, v[92:93], off offset:-8
.LBB107_322:
	global_load_b32 v0, v0, s[8:9] offset:80
	s_wait_loadcnt 0x0
	v_cmp_eq_u32_e32 vcc_lo, 21, v0
	s_cbranch_vccnz .LBB107_324
; %bb.323:
	s_wait_xcnt 0x0
	v_lshlrev_b32_e32 v0, 3, v0
	s_delay_alu instid0(VALU_DEP_1)
	v_mov_b32_e32 v92, v0
	scratch_load_b64 v[0:1], v92, off offset:-8
	scratch_load_b64 v[90:91], off, off offset:160
	s_wait_loadcnt 0x1
	scratch_store_b64 off, v[0:1], off offset:160
	s_wait_loadcnt 0x0
	scratch_store_b64 v92, v[90:91], off offset:-8
.LBB107_324:
	s_wait_xcnt 0x0
	v_mov_b32_e32 v0, 0
	global_load_b32 v1, v0, s[8:9] offset:76
	s_wait_loadcnt 0x0
	v_cmp_eq_u32_e32 vcc_lo, 20, v1
	s_cbranch_vccnz .LBB107_326
; %bb.325:
	v_lshlrev_b32_e32 v1, 3, v1
	scratch_load_b64 v[90:91], v1, off offset:-8
	scratch_load_b64 v[92:93], off, off offset:152
	s_wait_loadcnt 0x1
	scratch_store_b64 off, v[90:91], off offset:152
	s_wait_loadcnt 0x0
	scratch_store_b64 v1, v[92:93], off offset:-8
.LBB107_326:
	global_load_b32 v0, v0, s[8:9] offset:72
	s_wait_loadcnt 0x0
	v_cmp_eq_u32_e32 vcc_lo, 19, v0
	s_cbranch_vccnz .LBB107_328
; %bb.327:
	s_wait_xcnt 0x0
	v_lshlrev_b32_e32 v0, 3, v0
	s_delay_alu instid0(VALU_DEP_1)
	v_mov_b32_e32 v92, v0
	scratch_load_b64 v[0:1], v92, off offset:-8
	scratch_load_b64 v[90:91], off, off offset:144
	s_wait_loadcnt 0x1
	scratch_store_b64 off, v[0:1], off offset:144
	s_wait_loadcnt 0x0
	scratch_store_b64 v92, v[90:91], off offset:-8
.LBB107_328:
	s_wait_xcnt 0x0
	v_mov_b32_e32 v0, 0
	global_load_b32 v1, v0, s[8:9] offset:68
	s_wait_loadcnt 0x0
	v_cmp_eq_u32_e32 vcc_lo, 18, v1
	s_cbranch_vccnz .LBB107_330
; %bb.329:
	v_lshlrev_b32_e32 v1, 3, v1
	scratch_load_b64 v[90:91], v1, off offset:-8
	scratch_load_b64 v[92:93], off, off offset:136
	s_wait_loadcnt 0x1
	scratch_store_b64 off, v[90:91], off offset:136
	s_wait_loadcnt 0x0
	scratch_store_b64 v1, v[92:93], off offset:-8
.LBB107_330:
	global_load_b32 v0, v0, s[8:9] offset:64
	s_wait_loadcnt 0x0
	v_cmp_eq_u32_e32 vcc_lo, 17, v0
	s_cbranch_vccnz .LBB107_332
; %bb.331:
	s_wait_xcnt 0x0
	v_lshlrev_b32_e32 v0, 3, v0
	s_delay_alu instid0(VALU_DEP_1)
	v_mov_b32_e32 v92, v0
	scratch_load_b64 v[0:1], v92, off offset:-8
	scratch_load_b64 v[90:91], off, off offset:128
	s_wait_loadcnt 0x1
	scratch_store_b64 off, v[0:1], off offset:128
	s_wait_loadcnt 0x0
	scratch_store_b64 v92, v[90:91], off offset:-8
.LBB107_332:
	s_wait_xcnt 0x0
	v_mov_b32_e32 v0, 0
	global_load_b32 v1, v0, s[8:9] offset:60
	s_wait_loadcnt 0x0
	v_cmp_eq_u32_e32 vcc_lo, 16, v1
	s_cbranch_vccnz .LBB107_334
; %bb.333:
	v_lshlrev_b32_e32 v1, 3, v1
	scratch_load_b64 v[90:91], v1, off offset:-8
	scratch_load_b64 v[92:93], off, off offset:120
	s_wait_loadcnt 0x1
	scratch_store_b64 off, v[90:91], off offset:120
	s_wait_loadcnt 0x0
	scratch_store_b64 v1, v[92:93], off offset:-8
.LBB107_334:
	global_load_b32 v0, v0, s[8:9] offset:56
	s_wait_loadcnt 0x0
	v_cmp_eq_u32_e32 vcc_lo, 15, v0
	s_cbranch_vccnz .LBB107_336
; %bb.335:
	s_wait_xcnt 0x0
	v_lshlrev_b32_e32 v0, 3, v0
	s_delay_alu instid0(VALU_DEP_1)
	v_mov_b32_e32 v92, v0
	scratch_load_b64 v[0:1], v92, off offset:-8
	scratch_load_b64 v[90:91], off, off offset:112
	s_wait_loadcnt 0x1
	scratch_store_b64 off, v[0:1], off offset:112
	s_wait_loadcnt 0x0
	scratch_store_b64 v92, v[90:91], off offset:-8
.LBB107_336:
	s_wait_xcnt 0x0
	v_mov_b32_e32 v0, 0
	global_load_b32 v1, v0, s[8:9] offset:52
	s_wait_loadcnt 0x0
	v_cmp_eq_u32_e32 vcc_lo, 14, v1
	s_cbranch_vccnz .LBB107_338
; %bb.337:
	v_lshlrev_b32_e32 v1, 3, v1
	scratch_load_b64 v[90:91], v1, off offset:-8
	scratch_load_b64 v[92:93], off, off offset:104
	s_wait_loadcnt 0x1
	scratch_store_b64 off, v[90:91], off offset:104
	s_wait_loadcnt 0x0
	scratch_store_b64 v1, v[92:93], off offset:-8
.LBB107_338:
	global_load_b32 v0, v0, s[8:9] offset:48
	s_wait_loadcnt 0x0
	v_cmp_eq_u32_e32 vcc_lo, 13, v0
	s_cbranch_vccnz .LBB107_340
; %bb.339:
	s_wait_xcnt 0x0
	v_lshlrev_b32_e32 v0, 3, v0
	s_delay_alu instid0(VALU_DEP_1)
	v_mov_b32_e32 v92, v0
	scratch_load_b64 v[0:1], v92, off offset:-8
	scratch_load_b64 v[90:91], off, off offset:96
	s_wait_loadcnt 0x1
	scratch_store_b64 off, v[0:1], off offset:96
	s_wait_loadcnt 0x0
	scratch_store_b64 v92, v[90:91], off offset:-8
.LBB107_340:
	s_wait_xcnt 0x0
	v_mov_b32_e32 v0, 0
	global_load_b32 v1, v0, s[8:9] offset:44
	s_wait_loadcnt 0x0
	v_cmp_eq_u32_e32 vcc_lo, 12, v1
	s_cbranch_vccnz .LBB107_342
; %bb.341:
	v_lshlrev_b32_e32 v1, 3, v1
	scratch_load_b64 v[90:91], v1, off offset:-8
	scratch_load_b64 v[92:93], off, off offset:88
	s_wait_loadcnt 0x1
	scratch_store_b64 off, v[90:91], off offset:88
	s_wait_loadcnt 0x0
	scratch_store_b64 v1, v[92:93], off offset:-8
.LBB107_342:
	global_load_b32 v0, v0, s[8:9] offset:40
	s_wait_loadcnt 0x0
	v_cmp_eq_u32_e32 vcc_lo, 11, v0
	s_cbranch_vccnz .LBB107_344
; %bb.343:
	s_wait_xcnt 0x0
	v_lshlrev_b32_e32 v0, 3, v0
	s_delay_alu instid0(VALU_DEP_1)
	v_mov_b32_e32 v92, v0
	scratch_load_b64 v[0:1], v92, off offset:-8
	scratch_load_b64 v[90:91], off, off offset:80
	s_wait_loadcnt 0x1
	scratch_store_b64 off, v[0:1], off offset:80
	s_wait_loadcnt 0x0
	scratch_store_b64 v92, v[90:91], off offset:-8
.LBB107_344:
	s_wait_xcnt 0x0
	v_mov_b32_e32 v0, 0
	global_load_b32 v1, v0, s[8:9] offset:36
	s_wait_loadcnt 0x0
	v_cmp_eq_u32_e32 vcc_lo, 10, v1
	s_cbranch_vccnz .LBB107_346
; %bb.345:
	v_lshlrev_b32_e32 v1, 3, v1
	scratch_load_b64 v[90:91], v1, off offset:-8
	scratch_load_b64 v[92:93], off, off offset:72
	s_wait_loadcnt 0x1
	scratch_store_b64 off, v[90:91], off offset:72
	s_wait_loadcnt 0x0
	scratch_store_b64 v1, v[92:93], off offset:-8
.LBB107_346:
	global_load_b32 v0, v0, s[8:9] offset:32
	s_wait_loadcnt 0x0
	v_cmp_eq_u32_e32 vcc_lo, 9, v0
	s_cbranch_vccnz .LBB107_348
; %bb.347:
	s_wait_xcnt 0x0
	v_lshlrev_b32_e32 v0, 3, v0
	s_delay_alu instid0(VALU_DEP_1)
	v_mov_b32_e32 v92, v0
	scratch_load_b64 v[0:1], v92, off offset:-8
	scratch_load_b64 v[90:91], off, off offset:64
	s_wait_loadcnt 0x1
	scratch_store_b64 off, v[0:1], off offset:64
	s_wait_loadcnt 0x0
	scratch_store_b64 v92, v[90:91], off offset:-8
.LBB107_348:
	s_wait_xcnt 0x0
	v_mov_b32_e32 v0, 0
	global_load_b32 v1, v0, s[8:9] offset:28
	s_wait_loadcnt 0x0
	v_cmp_eq_u32_e32 vcc_lo, 8, v1
	s_cbranch_vccnz .LBB107_350
; %bb.349:
	v_lshlrev_b32_e32 v1, 3, v1
	scratch_load_b64 v[90:91], v1, off offset:-8
	scratch_load_b64 v[92:93], off, off offset:56
	s_wait_loadcnt 0x1
	scratch_store_b64 off, v[90:91], off offset:56
	s_wait_loadcnt 0x0
	scratch_store_b64 v1, v[92:93], off offset:-8
.LBB107_350:
	global_load_b32 v0, v0, s[8:9] offset:24
	s_wait_loadcnt 0x0
	v_cmp_eq_u32_e32 vcc_lo, 7, v0
	s_cbranch_vccnz .LBB107_352
; %bb.351:
	s_wait_xcnt 0x0
	v_lshlrev_b32_e32 v0, 3, v0
	s_delay_alu instid0(VALU_DEP_1)
	v_mov_b32_e32 v92, v0
	scratch_load_b64 v[0:1], v92, off offset:-8
	scratch_load_b64 v[90:91], off, off offset:48
	s_wait_loadcnt 0x1
	scratch_store_b64 off, v[0:1], off offset:48
	s_wait_loadcnt 0x0
	scratch_store_b64 v92, v[90:91], off offset:-8
.LBB107_352:
	s_wait_xcnt 0x0
	v_mov_b32_e32 v0, 0
	global_load_b32 v1, v0, s[8:9] offset:20
	s_wait_loadcnt 0x0
	v_cmp_eq_u32_e32 vcc_lo, 6, v1
	s_cbranch_vccnz .LBB107_354
; %bb.353:
	v_lshlrev_b32_e32 v1, 3, v1
	scratch_load_b64 v[90:91], v1, off offset:-8
	scratch_load_b64 v[92:93], off, off offset:40
	s_wait_loadcnt 0x1
	scratch_store_b64 off, v[90:91], off offset:40
	s_wait_loadcnt 0x0
	scratch_store_b64 v1, v[92:93], off offset:-8
.LBB107_354:
	global_load_b32 v0, v0, s[8:9] offset:16
	s_wait_loadcnt 0x0
	v_cmp_eq_u32_e32 vcc_lo, 5, v0
	s_cbranch_vccnz .LBB107_356
; %bb.355:
	s_wait_xcnt 0x0
	v_lshlrev_b32_e32 v0, 3, v0
	s_delay_alu instid0(VALU_DEP_1)
	v_mov_b32_e32 v92, v0
	scratch_load_b64 v[0:1], v92, off offset:-8
	scratch_load_b64 v[90:91], off, off offset:32
	s_wait_loadcnt 0x1
	scratch_store_b64 off, v[0:1], off offset:32
	s_wait_loadcnt 0x0
	scratch_store_b64 v92, v[90:91], off offset:-8
.LBB107_356:
	s_wait_xcnt 0x0
	v_mov_b32_e32 v0, 0
	global_load_b32 v1, v0, s[8:9] offset:12
	s_wait_loadcnt 0x0
	v_cmp_eq_u32_e32 vcc_lo, 4, v1
	s_cbranch_vccnz .LBB107_358
; %bb.357:
	v_lshlrev_b32_e32 v1, 3, v1
	scratch_load_b64 v[90:91], v1, off offset:-8
	scratch_load_b64 v[92:93], off, off offset:24
	s_wait_loadcnt 0x1
	scratch_store_b64 off, v[90:91], off offset:24
	s_wait_loadcnt 0x0
	scratch_store_b64 v1, v[92:93], off offset:-8
.LBB107_358:
	global_load_b32 v0, v0, s[8:9] offset:8
	s_wait_loadcnt 0x0
	v_cmp_eq_u32_e32 vcc_lo, 3, v0
	s_cbranch_vccnz .LBB107_360
; %bb.359:
	s_wait_xcnt 0x0
	v_lshlrev_b32_e32 v0, 3, v0
	s_delay_alu instid0(VALU_DEP_1)
	v_mov_b32_e32 v92, v0
	scratch_load_b64 v[0:1], v92, off offset:-8
	scratch_load_b64 v[90:91], off, off offset:16
	s_wait_loadcnt 0x1
	scratch_store_b64 off, v[0:1], off offset:16
	s_wait_loadcnt 0x0
	scratch_store_b64 v92, v[90:91], off offset:-8
.LBB107_360:
	s_wait_xcnt 0x0
	v_mov_b32_e32 v0, 0
	global_load_b32 v1, v0, s[8:9] offset:4
	s_wait_loadcnt 0x0
	v_cmp_eq_u32_e32 vcc_lo, 2, v1
	s_cbranch_vccnz .LBB107_362
; %bb.361:
	v_lshlrev_b32_e32 v1, 3, v1
	scratch_load_b64 v[90:91], v1, off offset:-8
	scratch_load_b64 v[92:93], off, off offset:8
	s_wait_loadcnt 0x1
	scratch_store_b64 off, v[90:91], off offset:8
	s_wait_loadcnt 0x0
	scratch_store_b64 v1, v[92:93], off offset:-8
.LBB107_362:
	global_load_b32 v0, v0, s[8:9]
	scratch_load_b64 v[90:91], off, off
	s_wait_loadcnt 0x1
	v_cmp_eq_u32_e32 vcc_lo, 1, v0
	s_cbranch_vccnz .LBB107_364
; %bb.363:
	s_wait_xcnt 0x1
	v_lshlrev_b32_e32 v0, 3, v0
	s_delay_alu instid0(VALU_DEP_1)
	v_mov_b32_e32 v92, v0
	scratch_load_b64 v[0:1], v92, off offset:-8
	s_wait_loadcnt 0x0
	scratch_store_b64 off, v[0:1], off
	scratch_store_b64 v92, v[90:91], off offset:-8
	scratch_load_b64 v[90:91], off, off
.LBB107_364:
	s_wait_loadcnt 0x0
	flat_store_b64 v[2:3], v[90:91]
	scratch_load_b64 v[2:3], off, off offset:8
	v_lshl_add_u64 v[130:131], v[6:7], 3, s[2:3]
	v_lshl_add_u64 v[128:129], v[8:9], 3, s[2:3]
	;; [unrolled: 1-line block ×42, first 2 shown]
	s_wait_loadcnt 0x0
	flat_store_b64 v[4:5], v[2:3]
	scratch_load_b64 v[2:3], off, off offset:16
	s_wait_loadcnt 0x0
	flat_store_b64 v[130:131], v[2:3]
	scratch_load_b64 v[2:3], off, off offset:24
	;; [unrolled: 3-line block ×42, first 2 shown]
	s_wait_loadcnt 0x0
	flat_store_b64 v[0:1], v[2:3]
	s_sendmsg sendmsg(MSG_DEALLOC_VGPRS)
	s_endpgm
	.section	.rodata,"a",@progbits
	.p2align	6, 0x0
	.amdhsa_kernel _ZN9rocsolver6v33100L18getri_kernel_smallILi44E19rocblas_complex_numIfEPKPS3_EEvT1_iilPiilS8_bb
		.amdhsa_group_segment_fixed_size 708
		.amdhsa_private_segment_fixed_size 368
		.amdhsa_kernarg_size 60
		.amdhsa_user_sgpr_count 2
		.amdhsa_user_sgpr_dispatch_ptr 0
		.amdhsa_user_sgpr_queue_ptr 0
		.amdhsa_user_sgpr_kernarg_segment_ptr 1
		.amdhsa_user_sgpr_dispatch_id 0
		.amdhsa_user_sgpr_kernarg_preload_length 0
		.amdhsa_user_sgpr_kernarg_preload_offset 0
		.amdhsa_user_sgpr_private_segment_size 0
		.amdhsa_wavefront_size32 1
		.amdhsa_uses_dynamic_stack 0
		.amdhsa_enable_private_segment 1
		.amdhsa_system_sgpr_workgroup_id_x 1
		.amdhsa_system_sgpr_workgroup_id_y 0
		.amdhsa_system_sgpr_workgroup_id_z 0
		.amdhsa_system_sgpr_workgroup_info 0
		.amdhsa_system_vgpr_workitem_id 0
		.amdhsa_next_free_vgpr 264
		.amdhsa_next_free_sgpr 19
		.amdhsa_named_barrier_count 0
		.amdhsa_reserve_vcc 1
		.amdhsa_float_round_mode_32 0
		.amdhsa_float_round_mode_16_64 0
		.amdhsa_float_denorm_mode_32 3
		.amdhsa_float_denorm_mode_16_64 3
		.amdhsa_fp16_overflow 0
		.amdhsa_memory_ordered 1
		.amdhsa_forward_progress 1
		.amdhsa_inst_pref_size 255
		.amdhsa_round_robin_scheduling 0
		.amdhsa_exception_fp_ieee_invalid_op 0
		.amdhsa_exception_fp_denorm_src 0
		.amdhsa_exception_fp_ieee_div_zero 0
		.amdhsa_exception_fp_ieee_overflow 0
		.amdhsa_exception_fp_ieee_underflow 0
		.amdhsa_exception_fp_ieee_inexact 0
		.amdhsa_exception_int_div_zero 0
	.end_amdhsa_kernel
	.section	.text._ZN9rocsolver6v33100L18getri_kernel_smallILi44E19rocblas_complex_numIfEPKPS3_EEvT1_iilPiilS8_bb,"axG",@progbits,_ZN9rocsolver6v33100L18getri_kernel_smallILi44E19rocblas_complex_numIfEPKPS3_EEvT1_iilPiilS8_bb,comdat
.Lfunc_end107:
	.size	_ZN9rocsolver6v33100L18getri_kernel_smallILi44E19rocblas_complex_numIfEPKPS3_EEvT1_iilPiilS8_bb, .Lfunc_end107-_ZN9rocsolver6v33100L18getri_kernel_smallILi44E19rocblas_complex_numIfEPKPS3_EEvT1_iilPiilS8_bb
                                        ; -- End function
	.set _ZN9rocsolver6v33100L18getri_kernel_smallILi44E19rocblas_complex_numIfEPKPS3_EEvT1_iilPiilS8_bb.num_vgpr, 264
	.set _ZN9rocsolver6v33100L18getri_kernel_smallILi44E19rocblas_complex_numIfEPKPS3_EEvT1_iilPiilS8_bb.num_agpr, 0
	.set _ZN9rocsolver6v33100L18getri_kernel_smallILi44E19rocblas_complex_numIfEPKPS3_EEvT1_iilPiilS8_bb.numbered_sgpr, 19
	.set _ZN9rocsolver6v33100L18getri_kernel_smallILi44E19rocblas_complex_numIfEPKPS3_EEvT1_iilPiilS8_bb.num_named_barrier, 0
	.set _ZN9rocsolver6v33100L18getri_kernel_smallILi44E19rocblas_complex_numIfEPKPS3_EEvT1_iilPiilS8_bb.private_seg_size, 368
	.set _ZN9rocsolver6v33100L18getri_kernel_smallILi44E19rocblas_complex_numIfEPKPS3_EEvT1_iilPiilS8_bb.uses_vcc, 1
	.set _ZN9rocsolver6v33100L18getri_kernel_smallILi44E19rocblas_complex_numIfEPKPS3_EEvT1_iilPiilS8_bb.uses_flat_scratch, 1
	.set _ZN9rocsolver6v33100L18getri_kernel_smallILi44E19rocblas_complex_numIfEPKPS3_EEvT1_iilPiilS8_bb.has_dyn_sized_stack, 0
	.set _ZN9rocsolver6v33100L18getri_kernel_smallILi44E19rocblas_complex_numIfEPKPS3_EEvT1_iilPiilS8_bb.has_recursion, 0
	.set _ZN9rocsolver6v33100L18getri_kernel_smallILi44E19rocblas_complex_numIfEPKPS3_EEvT1_iilPiilS8_bb.has_indirect_call, 0
	.section	.AMDGPU.csdata,"",@progbits
; Kernel info:
; codeLenInByte = 75112
; TotalNumSgprs: 21
; NumVgprs: 264
; ScratchSize: 368
; MemoryBound: 0
; FloatMode: 240
; IeeeMode: 1
; LDSByteSize: 708 bytes/workgroup (compile time only)
; SGPRBlocks: 0
; VGPRBlocks: 16
; NumSGPRsForWavesPerEU: 21
; NumVGPRsForWavesPerEU: 264
; NamedBarCnt: 0
; Occupancy: 3
; WaveLimiterHint : 1
; COMPUTE_PGM_RSRC2:SCRATCH_EN: 1
; COMPUTE_PGM_RSRC2:USER_SGPR: 2
; COMPUTE_PGM_RSRC2:TRAP_HANDLER: 0
; COMPUTE_PGM_RSRC2:TGID_X_EN: 1
; COMPUTE_PGM_RSRC2:TGID_Y_EN: 0
; COMPUTE_PGM_RSRC2:TGID_Z_EN: 0
; COMPUTE_PGM_RSRC2:TIDIG_COMP_CNT: 0
	.section	.text._ZN9rocsolver6v33100L18getri_kernel_smallILi45E19rocblas_complex_numIfEPKPS3_EEvT1_iilPiilS8_bb,"axG",@progbits,_ZN9rocsolver6v33100L18getri_kernel_smallILi45E19rocblas_complex_numIfEPKPS3_EEvT1_iilPiilS8_bb,comdat
	.globl	_ZN9rocsolver6v33100L18getri_kernel_smallILi45E19rocblas_complex_numIfEPKPS3_EEvT1_iilPiilS8_bb ; -- Begin function _ZN9rocsolver6v33100L18getri_kernel_smallILi45E19rocblas_complex_numIfEPKPS3_EEvT1_iilPiilS8_bb
	.p2align	8
	.type	_ZN9rocsolver6v33100L18getri_kernel_smallILi45E19rocblas_complex_numIfEPKPS3_EEvT1_iilPiilS8_bb,@function
_ZN9rocsolver6v33100L18getri_kernel_smallILi45E19rocblas_complex_numIfEPKPS3_EEvT1_iilPiilS8_bb: ; @_ZN9rocsolver6v33100L18getri_kernel_smallILi45E19rocblas_complex_numIfEPKPS3_EEvT1_iilPiilS8_bb
; %bb.0:
	s_mov_b32 s2, exec_lo
	v_cmpx_gt_u32_e32 45, v0
	s_cbranch_execz .LBB108_194
; %bb.1:
	s_clause 0x1
	s_load_b32 s13, s[0:1], 0x38
	s_load_b64 s[2:3], s[0:1], 0x0
	s_getreg_b32 s6, hwreg(HW_REG_IB_STS2, 6, 4)
	s_wait_kmcnt 0x0
	s_bitcmp1_b32 s13, 8
	s_cselect_b32 s12, -1, 0
	s_bfe_u32 s4, ttmp6, 0x4000c
	s_and_b32 s5, ttmp6, 15
	s_add_co_i32 s4, s4, 1
	s_delay_alu instid0(SALU_CYCLE_1) | instskip(NEXT) | instid1(SALU_CYCLE_1)
	s_mul_i32 s4, ttmp9, s4
	s_add_co_i32 s5, s5, s4
	s_cmp_eq_u32 s6, 0
	s_cselect_b32 s10, ttmp9, s5
	s_load_b128 s[4:7], s[0:1], 0x28
	s_ashr_i32 s11, s10, 31
	s_delay_alu instid0(SALU_CYCLE_1) | instskip(NEXT) | instid1(SALU_CYCLE_1)
	s_lshl_b64 s[8:9], s[10:11], 3
	s_add_nc_u64 s[2:3], s[2:3], s[8:9]
	s_bfe_u32 s8, s13, 0x10008
	s_load_b64 s[2:3], s[2:3], 0x0
	s_cmp_eq_u32 s8, 0
                                        ; implicit-def: $sgpr8_sgpr9
	s_cbranch_scc1 .LBB108_3
; %bb.2:
	s_load_b96 s[16:18], s[0:1], 0x18
	s_wait_kmcnt 0x0
	s_mul_u64 s[4:5], s[4:5], s[10:11]
	s_delay_alu instid0(SALU_CYCLE_1) | instskip(SKIP_4) | instid1(SALU_CYCLE_1)
	s_lshl_b64 s[4:5], s[4:5], 2
	s_ashr_i32 s9, s18, 31
	s_mov_b32 s8, s18
	s_add_nc_u64 s[4:5], s[16:17], s[4:5]
	s_lshl_b64 s[8:9], s[8:9], 2
	s_add_nc_u64 s[8:9], s[4:5], s[8:9]
.LBB108_3:
	s_wait_kmcnt 0x0
	s_clause 0x1
	s_load_b64 s[4:5], s[0:1], 0x8
	s_load_b32 s13, s[0:1], 0x38
	v_dual_mov_b32 v93, 0 :: v_dual_lshlrev_b32 v92, 3, v0
	s_wait_kmcnt 0x0
	s_ashr_i32 s1, s4, 31
	s_mov_b32 s0, s4
	s_delay_alu instid0(SALU_CYCLE_1) | instskip(NEXT) | instid1(SALU_CYCLE_1)
	s_lshl_b64 s[0:1], s[0:1], 3
	s_add_nc_u64 s[2:3], s[2:3], s[0:1]
	s_ashr_i32 s1, s5, 31
	flat_load_b64 v[6:7], v0, s[2:3] scale_offset
	v_add_nc_u64_e32 v[2:3], s[2:3], v[92:93]
	s_mov_b32 s0, s5
	s_bitcmp0_b32 s13, 0
	s_delay_alu instid0(VALU_DEP_1)
	v_lshl_add_u64 v[4:5], s[0:1], 3, v[2:3]
	s_mov_b32 s1, -1
	s_wait_loadcnt_dscnt 0x0
	scratch_store_b64 off, v[6:7], off
	flat_load_b64 v[8:9], v[4:5]
	s_wait_xcnt 0x1
	v_add3_u32 v6, s5, s5, v0
	s_wait_loadcnt_dscnt 0x0
	scratch_store_b64 off, v[8:9], off offset:8
	flat_load_b64 v[10:11], v6, s[2:3] scale_offset
	s_wait_xcnt 0x1
	v_add_nc_u32_e32 v8, s5, v6
	s_wait_loadcnt_dscnt 0x0
	scratch_store_b64 off, v[10:11], off offset:16
	flat_load_b64 v[12:13], v8, s[2:3] scale_offset
	s_wait_xcnt 0x1
	v_add_nc_u32_e32 v10, s5, v8
	s_wait_loadcnt_dscnt 0x0
	scratch_store_b64 off, v[12:13], off offset:24
	flat_load_b64 v[14:15], v10, s[2:3] scale_offset
	s_wait_xcnt 0x1
	v_add_nc_u32_e32 v12, s5, v10
	s_wait_loadcnt_dscnt 0x0
	scratch_store_b64 off, v[14:15], off offset:32
	flat_load_b64 v[16:17], v12, s[2:3] scale_offset
	s_wait_xcnt 0x1
	v_add_nc_u32_e32 v14, s5, v12
	s_wait_loadcnt_dscnt 0x0
	scratch_store_b64 off, v[16:17], off offset:40
	flat_load_b64 v[18:19], v14, s[2:3] scale_offset
	s_wait_xcnt 0x1
	v_add_nc_u32_e32 v16, s5, v14
	s_wait_loadcnt_dscnt 0x0
	scratch_store_b64 off, v[18:19], off offset:48
	flat_load_b64 v[20:21], v16, s[2:3] scale_offset
	s_wait_xcnt 0x1
	v_add_nc_u32_e32 v18, s5, v16
	s_wait_loadcnt_dscnt 0x0
	scratch_store_b64 off, v[20:21], off offset:56
	flat_load_b64 v[22:23], v18, s[2:3] scale_offset
	s_wait_xcnt 0x1
	v_add_nc_u32_e32 v20, s5, v18
	s_wait_loadcnt_dscnt 0x0
	scratch_store_b64 off, v[22:23], off offset:64
	flat_load_b64 v[24:25], v20, s[2:3] scale_offset
	s_wait_xcnt 0x1
	v_add_nc_u32_e32 v22, s5, v20
	s_wait_loadcnt_dscnt 0x0
	scratch_store_b64 off, v[24:25], off offset:72
	flat_load_b64 v[26:27], v22, s[2:3] scale_offset
	s_wait_xcnt 0x1
	v_add_nc_u32_e32 v24, s5, v22
	s_wait_loadcnt_dscnt 0x0
	scratch_store_b64 off, v[26:27], off offset:80
	flat_load_b64 v[28:29], v24, s[2:3] scale_offset
	s_wait_xcnt 0x1
	v_add_nc_u32_e32 v26, s5, v24
	s_wait_loadcnt_dscnt 0x0
	scratch_store_b64 off, v[28:29], off offset:88
	flat_load_b64 v[30:31], v26, s[2:3] scale_offset
	s_wait_xcnt 0x1
	v_add_nc_u32_e32 v28, s5, v26
	s_wait_loadcnt_dscnt 0x0
	scratch_store_b64 off, v[30:31], off offset:96
	flat_load_b64 v[32:33], v28, s[2:3] scale_offset
	s_wait_xcnt 0x1
	v_add_nc_u32_e32 v30, s5, v28
	s_wait_loadcnt_dscnt 0x0
	scratch_store_b64 off, v[32:33], off offset:104
	flat_load_b64 v[34:35], v30, s[2:3] scale_offset
	s_wait_xcnt 0x1
	v_add_nc_u32_e32 v32, s5, v30
	s_wait_loadcnt_dscnt 0x0
	scratch_store_b64 off, v[34:35], off offset:112
	flat_load_b64 v[36:37], v32, s[2:3] scale_offset
	s_wait_xcnt 0x1
	v_add_nc_u32_e32 v34, s5, v32
	s_wait_loadcnt_dscnt 0x0
	scratch_store_b64 off, v[36:37], off offset:120
	flat_load_b64 v[38:39], v34, s[2:3] scale_offset
	s_wait_xcnt 0x1
	v_add_nc_u32_e32 v36, s5, v34
	s_wait_loadcnt_dscnt 0x0
	scratch_store_b64 off, v[38:39], off offset:128
	flat_load_b64 v[40:41], v36, s[2:3] scale_offset
	s_wait_xcnt 0x1
	v_add_nc_u32_e32 v38, s5, v36
	s_wait_loadcnt_dscnt 0x0
	scratch_store_b64 off, v[40:41], off offset:136
	flat_load_b64 v[42:43], v38, s[2:3] scale_offset
	s_wait_xcnt 0x1
	v_add_nc_u32_e32 v40, s5, v38
	s_wait_loadcnt_dscnt 0x0
	scratch_store_b64 off, v[42:43], off offset:144
	flat_load_b64 v[44:45], v40, s[2:3] scale_offset
	s_wait_xcnt 0x1
	v_add_nc_u32_e32 v42, s5, v40
	s_wait_loadcnt_dscnt 0x0
	scratch_store_b64 off, v[44:45], off offset:152
	flat_load_b64 v[46:47], v42, s[2:3] scale_offset
	s_wait_xcnt 0x1
	v_add_nc_u32_e32 v44, s5, v42
	s_wait_loadcnt_dscnt 0x0
	scratch_store_b64 off, v[46:47], off offset:160
	flat_load_b64 v[48:49], v44, s[2:3] scale_offset
	s_wait_xcnt 0x1
	v_add_nc_u32_e32 v46, s5, v44
	s_wait_loadcnt_dscnt 0x0
	scratch_store_b64 off, v[48:49], off offset:168
	flat_load_b64 v[50:51], v46, s[2:3] scale_offset
	s_wait_xcnt 0x1
	v_add_nc_u32_e32 v48, s5, v46
	s_wait_loadcnt_dscnt 0x0
	scratch_store_b64 off, v[50:51], off offset:176
	flat_load_b64 v[52:53], v48, s[2:3] scale_offset
	s_wait_xcnt 0x1
	v_add_nc_u32_e32 v50, s5, v48
	s_wait_loadcnt_dscnt 0x0
	scratch_store_b64 off, v[52:53], off offset:184
	flat_load_b64 v[54:55], v50, s[2:3] scale_offset
	s_wait_xcnt 0x1
	v_add_nc_u32_e32 v52, s5, v50
	s_wait_loadcnt_dscnt 0x0
	scratch_store_b64 off, v[54:55], off offset:192
	flat_load_b64 v[56:57], v52, s[2:3] scale_offset
	s_wait_xcnt 0x1
	v_add_nc_u32_e32 v54, s5, v52
	s_wait_loadcnt_dscnt 0x0
	scratch_store_b64 off, v[56:57], off offset:200
	flat_load_b64 v[58:59], v54, s[2:3] scale_offset
	s_wait_xcnt 0x1
	v_add_nc_u32_e32 v56, s5, v54
	s_wait_loadcnt_dscnt 0x0
	scratch_store_b64 off, v[58:59], off offset:208
	flat_load_b64 v[60:61], v56, s[2:3] scale_offset
	s_wait_xcnt 0x1
	v_add_nc_u32_e32 v58, s5, v56
	s_wait_loadcnt_dscnt 0x0
	scratch_store_b64 off, v[60:61], off offset:216
	flat_load_b64 v[62:63], v58, s[2:3] scale_offset
	s_wait_xcnt 0x1
	v_add_nc_u32_e32 v60, s5, v58
	s_wait_loadcnt_dscnt 0x0
	scratch_store_b64 off, v[62:63], off offset:224
	flat_load_b64 v[64:65], v60, s[2:3] scale_offset
	s_wait_xcnt 0x1
	v_add_nc_u32_e32 v62, s5, v60
	s_wait_loadcnt_dscnt 0x0
	scratch_store_b64 off, v[64:65], off offset:232
	flat_load_b64 v[66:67], v62, s[2:3] scale_offset
	s_wait_xcnt 0x1
	v_add_nc_u32_e32 v64, s5, v62
	s_wait_loadcnt_dscnt 0x0
	scratch_store_b64 off, v[66:67], off offset:240
	flat_load_b64 v[68:69], v64, s[2:3] scale_offset
	s_wait_xcnt 0x1
	v_add_nc_u32_e32 v66, s5, v64
	s_wait_loadcnt_dscnt 0x0
	scratch_store_b64 off, v[68:69], off offset:248
	flat_load_b64 v[70:71], v66, s[2:3] scale_offset
	s_wait_xcnt 0x1
	v_add_nc_u32_e32 v68, s5, v66
	s_wait_loadcnt_dscnt 0x0
	scratch_store_b64 off, v[70:71], off offset:256
	flat_load_b64 v[72:73], v68, s[2:3] scale_offset
	s_wait_xcnt 0x1
	v_add_nc_u32_e32 v70, s5, v68
	s_wait_loadcnt_dscnt 0x0
	scratch_store_b64 off, v[72:73], off offset:264
	flat_load_b64 v[74:75], v70, s[2:3] scale_offset
	s_wait_xcnt 0x1
	v_add_nc_u32_e32 v72, s5, v70
	s_wait_loadcnt_dscnt 0x0
	scratch_store_b64 off, v[74:75], off offset:272
	flat_load_b64 v[76:77], v72, s[2:3] scale_offset
	s_wait_xcnt 0x1
	v_add_nc_u32_e32 v74, s5, v72
	s_wait_loadcnt_dscnt 0x0
	scratch_store_b64 off, v[76:77], off offset:280
	flat_load_b64 v[78:79], v74, s[2:3] scale_offset
	s_wait_xcnt 0x1
	v_add_nc_u32_e32 v76, s5, v74
	s_wait_loadcnt_dscnt 0x0
	scratch_store_b64 off, v[78:79], off offset:288
	flat_load_b64 v[80:81], v76, s[2:3] scale_offset
	s_wait_xcnt 0x1
	v_add_nc_u32_e32 v78, s5, v76
	s_wait_loadcnt_dscnt 0x0
	scratch_store_b64 off, v[80:81], off offset:296
	flat_load_b64 v[82:83], v78, s[2:3] scale_offset
	s_wait_xcnt 0x1
	v_add_nc_u32_e32 v80, s5, v78
	s_wait_loadcnt_dscnt 0x0
	scratch_store_b64 off, v[82:83], off offset:304
	flat_load_b64 v[84:85], v80, s[2:3] scale_offset
	s_wait_xcnt 0x1
	v_add_nc_u32_e32 v82, s5, v80
	s_wait_loadcnt_dscnt 0x0
	scratch_store_b64 off, v[84:85], off offset:312
	flat_load_b64 v[86:87], v82, s[2:3] scale_offset
	s_wait_xcnt 0x1
	v_add_nc_u32_e32 v84, s5, v82
	s_wait_loadcnt_dscnt 0x0
	scratch_store_b64 off, v[86:87], off offset:320
	flat_load_b64 v[88:89], v84, s[2:3] scale_offset
	s_wait_xcnt 0x1
	v_add_nc_u32_e32 v86, s5, v84
	s_wait_loadcnt_dscnt 0x0
	scratch_store_b64 off, v[88:89], off offset:328
	flat_load_b64 v[90:91], v86, s[2:3] scale_offset
	s_wait_xcnt 0x1
	v_add_nc_u32_e32 v88, s5, v86
	s_wait_loadcnt_dscnt 0x0
	scratch_store_b64 off, v[90:91], off offset:336
	flat_load_b64 v[94:95], v88, s[2:3] scale_offset
	s_wait_xcnt 0x1
	v_add_nc_u32_e32 v90, s5, v88
	s_wait_loadcnt_dscnt 0x0
	scratch_store_b64 off, v[94:95], off offset:344
	flat_load_b64 v[94:95], v90, s[2:3] scale_offset
	s_wait_loadcnt_dscnt 0x0
	scratch_store_b64 off, v[94:95], off offset:352
	s_cbranch_scc1 .LBB108_192
; %bb.4:
	v_cmp_eq_u32_e64 s0, 0, v0
	s_wait_xcnt 0x0
	s_and_saveexec_b32 s1, s0
; %bb.5:
	v_mov_b32_e32 v1, 0
	ds_store_b32 v1, v1 offset:360
; %bb.6:
	s_or_b32 exec_lo, exec_lo, s1
	s_wait_storecnt_dscnt 0x0
	s_barrier_signal -1
	s_barrier_wait -1
	scratch_load_b64 v[94:95], v0, off scale_offset
	s_wait_loadcnt 0x0
	v_cmp_eq_f32_e32 vcc_lo, 0, v94
	v_cmp_eq_f32_e64 s1, 0, v95
	s_and_b32 s1, vcc_lo, s1
	s_delay_alu instid0(SALU_CYCLE_1)
	s_and_saveexec_b32 s4, s1
	s_cbranch_execz .LBB108_10
; %bb.7:
	v_mov_b32_e32 v1, 0
	s_mov_b32 s5, 0
	ds_load_b32 v7, v1 offset:360
	s_wait_dscnt 0x0
	v_readfirstlane_b32 s1, v7
	v_add_nc_u32_e32 v7, 1, v0
	s_cmp_eq_u32 s1, 0
	s_delay_alu instid0(VALU_DEP_1) | instskip(SKIP_1) | instid1(SALU_CYCLE_1)
	v_cmp_gt_i32_e32 vcc_lo, s1, v7
	s_cselect_b32 s13, -1, 0
	s_or_b32 s13, s13, vcc_lo
	s_delay_alu instid0(SALU_CYCLE_1)
	s_and_b32 exec_lo, exec_lo, s13
	s_cbranch_execz .LBB108_10
; %bb.8:
	v_mov_b32_e32 v9, s1
.LBB108_9:                              ; =>This Inner Loop Header: Depth=1
	ds_cmpstore_rtn_b32 v9, v1, v7, v9 offset:360
	s_wait_dscnt 0x0
	v_cmp_ne_u32_e32 vcc_lo, 0, v9
	v_cmp_le_i32_e64 s1, v9, v7
	s_and_b32 s1, vcc_lo, s1
	s_delay_alu instid0(SALU_CYCLE_1) | instskip(NEXT) | instid1(SALU_CYCLE_1)
	s_and_b32 s1, exec_lo, s1
	s_or_b32 s5, s1, s5
	s_delay_alu instid0(SALU_CYCLE_1)
	s_and_not1_b32 exec_lo, exec_lo, s5
	s_cbranch_execnz .LBB108_9
.LBB108_10:
	s_or_b32 exec_lo, exec_lo, s4
	v_mov_b32_e32 v1, 0
	s_barrier_signal -1
	s_barrier_wait -1
	ds_load_b32 v7, v1 offset:360
	s_and_saveexec_b32 s1, s0
	s_cbranch_execz .LBB108_12
; %bb.11:
	s_lshl_b64 s[4:5], s[10:11], 2
	s_delay_alu instid0(SALU_CYCLE_1)
	s_add_nc_u64 s[4:5], s[6:7], s[4:5]
	s_wait_dscnt 0x0
	global_store_b32 v1, v7, s[4:5]
.LBB108_12:
	s_wait_xcnt 0x0
	s_or_b32 exec_lo, exec_lo, s1
	s_wait_dscnt 0x0
	v_cmp_ne_u32_e32 vcc_lo, 0, v7
	s_mov_b32 s1, 0
	s_cbranch_vccnz .LBB108_192
; %bb.13:
	v_lshl_add_u32 v7, v0, 3, 0
                                        ; implicit-def: $vgpr97
                                        ; implicit-def: $vgpr98
	scratch_load_b64 v[94:95], v7, off
	s_wait_loadcnt 0x0
	v_cmp_ngt_f32_e64 s1, |v94|, |v95|
	s_wait_xcnt 0x0
	s_and_saveexec_b32 s4, s1
	s_delay_alu instid0(SALU_CYCLE_1)
	s_xor_b32 s1, exec_lo, s4
	s_cbranch_execz .LBB108_15
; %bb.14:
	v_div_scale_f32 v1, null, v95, v95, v94
	v_div_scale_f32 v13, vcc_lo, v94, v95, v94
	s_delay_alu instid0(VALU_DEP_2) | instskip(SKIP_1) | instid1(TRANS32_DEP_1)
	v_rcp_f32_e32 v9, v1
	v_nop
	v_fma_f32 v11, -v1, v9, 1.0
	s_delay_alu instid0(VALU_DEP_1) | instskip(NEXT) | instid1(VALU_DEP_1)
	v_fmac_f32_e32 v9, v11, v9
	v_mul_f32_e32 v11, v13, v9
	s_delay_alu instid0(VALU_DEP_1) | instskip(NEXT) | instid1(VALU_DEP_1)
	v_fma_f32 v15, -v1, v11, v13
	v_fmac_f32_e32 v11, v15, v9
	s_delay_alu instid0(VALU_DEP_1) | instskip(NEXT) | instid1(VALU_DEP_1)
	v_fma_f32 v1, -v1, v11, v13
	v_div_fmas_f32 v1, v1, v9, v11
	s_delay_alu instid0(VALU_DEP_1) | instskip(NEXT) | instid1(VALU_DEP_1)
	v_div_fixup_f32 v1, v1, v95, v94
	v_fmac_f32_e32 v95, v94, v1
	s_delay_alu instid0(VALU_DEP_1) | instskip(NEXT) | instid1(VALU_DEP_1)
	v_div_scale_f32 v9, null, v95, v95, -1.0
	v_rcp_f32_e32 v11, v9
	v_nop
	s_delay_alu instid0(TRANS32_DEP_1) | instskip(NEXT) | instid1(VALU_DEP_1)
	v_fma_f32 v13, -v9, v11, 1.0
	v_fmac_f32_e32 v11, v13, v11
	v_div_scale_f32 v13, vcc_lo, -1.0, v95, -1.0
	s_delay_alu instid0(VALU_DEP_1) | instskip(NEXT) | instid1(VALU_DEP_1)
	v_mul_f32_e32 v15, v13, v11
	v_fma_f32 v17, -v9, v15, v13
	s_delay_alu instid0(VALU_DEP_1) | instskip(NEXT) | instid1(VALU_DEP_1)
	v_fmac_f32_e32 v15, v17, v11
	v_fma_f32 v9, -v9, v15, v13
	s_delay_alu instid0(VALU_DEP_1) | instskip(NEXT) | instid1(VALU_DEP_1)
	v_div_fmas_f32 v9, v9, v11, v15
	v_div_fixup_f32 v97, v9, v95, -1.0
                                        ; implicit-def: $vgpr94_vgpr95
	s_delay_alu instid0(VALU_DEP_1) | instskip(NEXT) | instid1(VALU_DEP_1)
	v_mul_f32_e32 v98, v1, v97
	v_xor_b32_e32 v96, 0x80000000, v98
.LBB108_15:
	s_and_not1_saveexec_b32 s1, s1
	s_cbranch_execz .LBB108_17
; %bb.16:
	v_div_scale_f32 v1, null, v94, v94, v95
	v_div_scale_f32 v13, vcc_lo, v95, v94, v95
	s_delay_alu instid0(VALU_DEP_2) | instskip(SKIP_1) | instid1(TRANS32_DEP_1)
	v_rcp_f32_e32 v9, v1
	v_nop
	v_fma_f32 v11, -v1, v9, 1.0
	s_delay_alu instid0(VALU_DEP_1) | instskip(NEXT) | instid1(VALU_DEP_1)
	v_fmac_f32_e32 v9, v11, v9
	v_mul_f32_e32 v11, v13, v9
	s_delay_alu instid0(VALU_DEP_1) | instskip(NEXT) | instid1(VALU_DEP_1)
	v_fma_f32 v15, -v1, v11, v13
	v_fmac_f32_e32 v11, v15, v9
	s_delay_alu instid0(VALU_DEP_1) | instskip(NEXT) | instid1(VALU_DEP_1)
	v_fma_f32 v1, -v1, v11, v13
	v_div_fmas_f32 v1, v1, v9, v11
	s_delay_alu instid0(VALU_DEP_1) | instskip(NEXT) | instid1(VALU_DEP_1)
	v_div_fixup_f32 v1, v1, v94, v95
	v_fmac_f32_e32 v94, v95, v1
	s_delay_alu instid0(VALU_DEP_1) | instskip(SKIP_1) | instid1(VALU_DEP_2)
	v_div_scale_f32 v9, null, v94, v94, 1.0
	v_div_scale_f32 v15, vcc_lo, 1.0, v94, 1.0
	v_rcp_f32_e32 v11, v9
	v_nop
	s_delay_alu instid0(TRANS32_DEP_1) | instskip(NEXT) | instid1(VALU_DEP_1)
	v_fma_f32 v13, -v9, v11, 1.0
	v_fmac_f32_e32 v11, v13, v11
	s_delay_alu instid0(VALU_DEP_1) | instskip(NEXT) | instid1(VALU_DEP_1)
	v_mul_f32_e32 v13, v15, v11
	v_fma_f32 v17, -v9, v13, v15
	s_delay_alu instid0(VALU_DEP_1) | instskip(NEXT) | instid1(VALU_DEP_1)
	v_fmac_f32_e32 v13, v17, v11
	v_fma_f32 v9, -v9, v13, v15
	s_delay_alu instid0(VALU_DEP_1) | instskip(NEXT) | instid1(VALU_DEP_1)
	v_div_fmas_f32 v9, v9, v11, v13
	v_div_fixup_f32 v96, v9, v94, 1.0
	s_delay_alu instid0(VALU_DEP_1)
	v_xor_b32_e32 v98, 0x80000000, v96
	v_mul_f32_e64 v97, v1, -v96
.LBB108_17:
	s_or_b32 exec_lo, exec_lo, s1
	scratch_store_b64 v7, v[96:97], off
	scratch_load_b64 v[94:95], off, off offset:8
	v_xor_b32_e32 v99, 0x80000000, v97
	v_add_nc_u32_e32 v1, 0x170, v92
	s_wait_loadcnt 0x0
	ds_store_2addr_b64 v92, v[98:99], v[94:95] offset1:46
	s_wait_storecnt_dscnt 0x0
	s_barrier_signal -1
	s_barrier_wait -1
	s_wait_xcnt 0x0
	s_and_saveexec_b32 s1, s0
	s_cbranch_execz .LBB108_19
; %bb.18:
	scratch_load_b64 v[94:95], v7, off
	ds_load_b64 v[96:97], v1
	s_wait_loadcnt_dscnt 0x0
	v_pk_mul_f32 v[100:101], v[96:97], v[94:95] op_sel:[1,1] op_sel_hi:[0,1]
	s_delay_alu instid0(VALU_DEP_1) | instskip(SKIP_2) | instid1(VALU_DEP_3)
	v_pk_fma_f32 v[102:103], v[96:97], v[94:95], v[100:101] op_sel_hi:[1,0,1]
	v_mov_b32_e32 v9, 0
	v_pk_fma_f32 v[94:95], v[96:97], v[94:95], v[100:101] neg_lo:[0,0,1] neg_hi:[0,0,1]
	v_mov_b32_e32 v95, v103
	ds_load_b64 v[98:99], v9 offset:8
	v_pk_add_f32 v[94:95], v[94:95], 0 op_sel_hi:[1,0]
	s_wait_dscnt 0x0
	s_delay_alu instid0(VALU_DEP_1) | instskip(NEXT) | instid1(VALU_DEP_1)
	v_pk_mul_f32 v[96:97], v[94:95], v[98:99] op_sel:[1,1] op_sel_hi:[0,1]
	v_pk_fma_f32 v[100:101], v[94:95], v[98:99], v[96:97] op_sel_hi:[1,0,1]
	v_pk_fma_f32 v[94:95], v[94:95], v[98:99], v[96:97] neg_lo:[0,0,1] neg_hi:[0,0,1]
	s_delay_alu instid0(VALU_DEP_2)
	v_mov_b32_e32 v95, v101
	scratch_store_b64 off, v[94:95], off offset:8
.LBB108_19:
	s_wait_xcnt 0x0
	s_or_b32 exec_lo, exec_lo, s1
	s_wait_storecnt 0x0
	s_barrier_signal -1
	s_barrier_wait -1
	scratch_load_b64 v[94:95], off, off offset:16
	s_mov_b32 s1, exec_lo
	s_wait_loadcnt 0x0
	ds_store_b64 v1, v[94:95]
	s_wait_dscnt 0x0
	s_barrier_signal -1
	s_barrier_wait -1
	v_cmpx_gt_u32_e32 2, v0
	s_cbranch_execz .LBB108_23
; %bb.20:
	scratch_load_b64 v[94:95], v7, off
	ds_load_b64 v[96:97], v1
	s_wait_loadcnt_dscnt 0x0
	v_pk_mul_f32 v[98:99], v[96:97], v[94:95] op_sel:[1,1] op_sel_hi:[0,1]
	s_delay_alu instid0(VALU_DEP_1) | instskip(SKIP_1) | instid1(VALU_DEP_2)
	v_pk_fma_f32 v[100:101], v[96:97], v[94:95], v[98:99] op_sel_hi:[1,0,1]
	v_pk_fma_f32 v[94:95], v[96:97], v[94:95], v[98:99] neg_lo:[0,0,1] neg_hi:[0,0,1]
	v_mov_b32_e32 v95, v101
	s_delay_alu instid0(VALU_DEP_1)
	v_pk_add_f32 v[94:95], v[94:95], 0 op_sel_hi:[1,0]
	s_and_saveexec_b32 s4, s0
	s_cbranch_execz .LBB108_22
; %bb.21:
	scratch_load_b64 v[96:97], off, off offset:8
	v_mov_b32_e32 v7, 0
	ds_load_b64 v[98:99], v7 offset:376
	s_wait_loadcnt_dscnt 0x0
	v_pk_mul_f32 v[100:101], v[98:99], v[96:97] op_sel:[1,1] op_sel_hi:[0,1]
	s_delay_alu instid0(VALU_DEP_1) | instskip(SKIP_1) | instid1(VALU_DEP_2)
	v_pk_fma_f32 v[102:103], v[98:99], v[96:97], v[100:101] op_sel_hi:[1,0,1]
	v_pk_fma_f32 v[96:97], v[98:99], v[96:97], v[100:101] neg_lo:[0,0,1] neg_hi:[0,0,1]
	v_mov_b32_e32 v97, v103
	s_delay_alu instid0(VALU_DEP_1)
	v_pk_add_f32 v[94:95], v[94:95], v[96:97]
.LBB108_22:
	s_or_b32 exec_lo, exec_lo, s4
	v_mov_b32_e32 v7, 0
	ds_load_b64 v[96:97], v7 offset:16
	s_wait_dscnt 0x0
	v_pk_mul_f32 v[98:99], v[94:95], v[96:97] op_sel:[1,1] op_sel_hi:[0,1]
	s_delay_alu instid0(VALU_DEP_1) | instskip(SKIP_1) | instid1(VALU_DEP_2)
	v_pk_fma_f32 v[100:101], v[94:95], v[96:97], v[98:99] op_sel_hi:[1,0,1]
	v_pk_fma_f32 v[94:95], v[94:95], v[96:97], v[98:99] neg_lo:[0,0,1] neg_hi:[0,0,1]
	v_mov_b32_e32 v95, v101
	scratch_store_b64 off, v[94:95], off offset:16
.LBB108_23:
	s_wait_xcnt 0x0
	s_or_b32 exec_lo, exec_lo, s1
	s_wait_storecnt 0x0
	s_barrier_signal -1
	s_barrier_wait -1
	scratch_load_b64 v[94:95], off, off offset:24
	v_add_nc_u32_e32 v7, -1, v0
	s_mov_b32 s0, exec_lo
	s_wait_loadcnt 0x0
	ds_store_b64 v1, v[94:95]
	s_wait_dscnt 0x0
	s_barrier_signal -1
	s_barrier_wait -1
	v_cmpx_gt_u32_e32 3, v0
	s_cbranch_execz .LBB108_27
; %bb.24:
	v_dual_mov_b32 v94, 0 :: v_dual_add_nc_u32 v9, -1, v0
	v_add_nc_u32_e32 v11, 0x170, v92
	v_mov_b32_e32 v13, v92
	s_mov_b32 s1, 0
	s_delay_alu instid0(VALU_DEP_3)
	v_mov_b32_e32 v95, v94
.LBB108_25:                             ; =>This Inner Loop Header: Depth=1
	scratch_load_b64 v[96:97], v13, off
	ds_load_b64 v[98:99], v11
	s_wait_xcnt 0x0
	v_dual_add_nc_u32 v11, 8, v11 :: v_dual_add_nc_u32 v13, 8, v13
	s_wait_loadcnt_dscnt 0x0
	v_pk_mul_f32 v[100:101], v[98:99], v[96:97] op_sel:[1,1] op_sel_hi:[0,1]
	s_delay_alu instid0(VALU_DEP_1) | instskip(SKIP_2) | instid1(VALU_DEP_3)
	v_pk_fma_f32 v[102:103], v[98:99], v[96:97], v[100:101] op_sel_hi:[1,0,1]
	v_add_nc_u32_e32 v9, 1, v9
	v_pk_fma_f32 v[96:97], v[98:99], v[96:97], v[100:101] neg_lo:[0,0,1] neg_hi:[0,0,1]
	v_mov_b32_e32 v97, v103
	s_delay_alu instid0(VALU_DEP_3) | instskip(NEXT) | instid1(VALU_DEP_2)
	v_cmp_lt_u32_e32 vcc_lo, 1, v9
	v_pk_add_f32 v[94:95], v[94:95], v[96:97]
	s_or_b32 s1, vcc_lo, s1
	s_delay_alu instid0(SALU_CYCLE_1)
	s_and_not1_b32 exec_lo, exec_lo, s1
	s_cbranch_execnz .LBB108_25
; %bb.26:
	s_or_b32 exec_lo, exec_lo, s1
	v_mov_b32_e32 v9, 0
	ds_load_b64 v[96:97], v9 offset:24
	s_wait_dscnt 0x0
	v_pk_mul_f32 v[98:99], v[94:95], v[96:97] op_sel:[1,1] op_sel_hi:[0,1]
	s_delay_alu instid0(VALU_DEP_1) | instskip(SKIP_1) | instid1(VALU_DEP_2)
	v_pk_fma_f32 v[100:101], v[94:95], v[96:97], v[98:99] op_sel_hi:[1,0,1]
	v_pk_fma_f32 v[94:95], v[94:95], v[96:97], v[98:99] neg_lo:[0,0,1] neg_hi:[0,0,1]
	v_mov_b32_e32 v95, v101
	scratch_store_b64 off, v[94:95], off offset:24
.LBB108_27:
	s_wait_xcnt 0x0
	s_or_b32 exec_lo, exec_lo, s0
	s_wait_storecnt 0x0
	s_barrier_signal -1
	s_barrier_wait -1
	scratch_load_b64 v[94:95], off, off offset:32
	s_mov_b32 s0, exec_lo
	s_wait_loadcnt 0x0
	ds_store_b64 v1, v[94:95]
	s_wait_dscnt 0x0
	s_barrier_signal -1
	s_barrier_wait -1
	v_cmpx_gt_u32_e32 4, v0
	s_cbranch_execz .LBB108_31
; %bb.28:
	v_dual_mov_b32 v94, 0 :: v_dual_add_nc_u32 v9, -1, v0
	v_add_nc_u32_e32 v11, 0x170, v92
	v_mov_b32_e32 v13, v92
	s_mov_b32 s1, 0
	s_delay_alu instid0(VALU_DEP_3)
	v_mov_b32_e32 v95, v94
.LBB108_29:                             ; =>This Inner Loop Header: Depth=1
	scratch_load_b64 v[96:97], v13, off
	ds_load_b64 v[98:99], v11
	s_wait_xcnt 0x0
	v_dual_add_nc_u32 v11, 8, v11 :: v_dual_add_nc_u32 v13, 8, v13
	s_wait_loadcnt_dscnt 0x0
	v_pk_mul_f32 v[100:101], v[98:99], v[96:97] op_sel:[1,1] op_sel_hi:[0,1]
	s_delay_alu instid0(VALU_DEP_1) | instskip(SKIP_2) | instid1(VALU_DEP_3)
	v_pk_fma_f32 v[102:103], v[98:99], v[96:97], v[100:101] op_sel_hi:[1,0,1]
	v_add_nc_u32_e32 v9, 1, v9
	v_pk_fma_f32 v[96:97], v[98:99], v[96:97], v[100:101] neg_lo:[0,0,1] neg_hi:[0,0,1]
	v_mov_b32_e32 v97, v103
	s_delay_alu instid0(VALU_DEP_3) | instskip(NEXT) | instid1(VALU_DEP_2)
	v_cmp_lt_u32_e32 vcc_lo, 2, v9
	v_pk_add_f32 v[94:95], v[94:95], v[96:97]
	s_or_b32 s1, vcc_lo, s1
	s_delay_alu instid0(SALU_CYCLE_1)
	s_and_not1_b32 exec_lo, exec_lo, s1
	s_cbranch_execnz .LBB108_29
; %bb.30:
	s_or_b32 exec_lo, exec_lo, s1
	v_mov_b32_e32 v9, 0
	ds_load_b64 v[96:97], v9 offset:32
	s_wait_dscnt 0x0
	v_pk_mul_f32 v[98:99], v[94:95], v[96:97] op_sel:[1,1] op_sel_hi:[0,1]
	s_delay_alu instid0(VALU_DEP_1) | instskip(SKIP_1) | instid1(VALU_DEP_2)
	v_pk_fma_f32 v[100:101], v[94:95], v[96:97], v[98:99] op_sel_hi:[1,0,1]
	v_pk_fma_f32 v[94:95], v[94:95], v[96:97], v[98:99] neg_lo:[0,0,1] neg_hi:[0,0,1]
	v_mov_b32_e32 v95, v101
	scratch_store_b64 off, v[94:95], off offset:32
.LBB108_31:
	s_wait_xcnt 0x0
	s_or_b32 exec_lo, exec_lo, s0
	s_wait_storecnt 0x0
	s_barrier_signal -1
	s_barrier_wait -1
	scratch_load_b64 v[94:95], off, off offset:40
	;; [unrolled: 52-line block ×19, first 2 shown]
	s_mov_b32 s0, exec_lo
	s_wait_loadcnt 0x0
	ds_store_b64 v1, v[94:95]
	s_wait_dscnt 0x0
	s_barrier_signal -1
	s_barrier_wait -1
	v_cmpx_gt_u32_e32 22, v0
	s_cbranch_execz .LBB108_103
; %bb.100:
	v_dual_mov_b32 v94, 0 :: v_dual_add_nc_u32 v9, -1, v0
	v_add_nc_u32_e32 v11, 0x170, v92
	v_mov_b32_e32 v13, v92
	s_mov_b32 s1, 0
	s_delay_alu instid0(VALU_DEP_3)
	v_mov_b32_e32 v95, v94
.LBB108_101:                            ; =>This Inner Loop Header: Depth=1
	scratch_load_b64 v[96:97], v13, off
	ds_load_b64 v[98:99], v11
	s_wait_xcnt 0x0
	v_dual_add_nc_u32 v11, 8, v11 :: v_dual_add_nc_u32 v13, 8, v13
	s_wait_loadcnt_dscnt 0x0
	v_pk_mul_f32 v[100:101], v[98:99], v[96:97] op_sel:[1,1] op_sel_hi:[0,1]
	s_delay_alu instid0(VALU_DEP_1) | instskip(SKIP_2) | instid1(VALU_DEP_3)
	v_pk_fma_f32 v[102:103], v[98:99], v[96:97], v[100:101] op_sel_hi:[1,0,1]
	v_add_nc_u32_e32 v9, 1, v9
	v_pk_fma_f32 v[96:97], v[98:99], v[96:97], v[100:101] neg_lo:[0,0,1] neg_hi:[0,0,1]
	v_mov_b32_e32 v97, v103
	s_delay_alu instid0(VALU_DEP_3) | instskip(NEXT) | instid1(VALU_DEP_2)
	v_cmp_lt_u32_e32 vcc_lo, 20, v9
	v_pk_add_f32 v[94:95], v[94:95], v[96:97]
	s_or_b32 s1, vcc_lo, s1
	s_delay_alu instid0(SALU_CYCLE_1)
	s_and_not1_b32 exec_lo, exec_lo, s1
	s_cbranch_execnz .LBB108_101
; %bb.102:
	s_or_b32 exec_lo, exec_lo, s1
	v_mov_b32_e32 v9, 0
	ds_load_b64 v[96:97], v9 offset:176
	s_wait_dscnt 0x0
	v_pk_mul_f32 v[98:99], v[94:95], v[96:97] op_sel:[1,1] op_sel_hi:[0,1]
	s_delay_alu instid0(VALU_DEP_1) | instskip(SKIP_1) | instid1(VALU_DEP_2)
	v_pk_fma_f32 v[100:101], v[94:95], v[96:97], v[98:99] op_sel_hi:[1,0,1]
	v_pk_fma_f32 v[94:95], v[94:95], v[96:97], v[98:99] neg_lo:[0,0,1] neg_hi:[0,0,1]
	v_mov_b32_e32 v95, v101
	scratch_store_b64 off, v[94:95], off offset:176
.LBB108_103:
	s_wait_xcnt 0x0
	s_or_b32 exec_lo, exec_lo, s0
	s_wait_storecnt 0x0
	s_barrier_signal -1
	s_barrier_wait -1
	scratch_load_b64 v[94:95], off, off offset:184
	s_mov_b32 s0, exec_lo
	s_wait_loadcnt 0x0
	ds_store_b64 v1, v[94:95]
	s_wait_dscnt 0x0
	s_barrier_signal -1
	s_barrier_wait -1
	v_cmpx_gt_u32_e32 23, v0
	s_cbranch_execz .LBB108_107
; %bb.104:
	v_dual_mov_b32 v94, 0 :: v_dual_add_nc_u32 v9, -1, v0
	v_add_nc_u32_e32 v11, 0x170, v92
	v_mov_b32_e32 v13, v92
	s_mov_b32 s1, 0
	s_delay_alu instid0(VALU_DEP_3)
	v_mov_b32_e32 v95, v94
.LBB108_105:                            ; =>This Inner Loop Header: Depth=1
	scratch_load_b64 v[96:97], v13, off
	ds_load_b64 v[98:99], v11
	s_wait_xcnt 0x0
	v_dual_add_nc_u32 v11, 8, v11 :: v_dual_add_nc_u32 v13, 8, v13
	s_wait_loadcnt_dscnt 0x0
	v_pk_mul_f32 v[100:101], v[98:99], v[96:97] op_sel:[1,1] op_sel_hi:[0,1]
	s_delay_alu instid0(VALU_DEP_1) | instskip(SKIP_2) | instid1(VALU_DEP_3)
	v_pk_fma_f32 v[102:103], v[98:99], v[96:97], v[100:101] op_sel_hi:[1,0,1]
	v_add_nc_u32_e32 v9, 1, v9
	v_pk_fma_f32 v[96:97], v[98:99], v[96:97], v[100:101] neg_lo:[0,0,1] neg_hi:[0,0,1]
	v_mov_b32_e32 v97, v103
	s_delay_alu instid0(VALU_DEP_3) | instskip(NEXT) | instid1(VALU_DEP_2)
	v_cmp_lt_u32_e32 vcc_lo, 21, v9
	v_pk_add_f32 v[94:95], v[94:95], v[96:97]
	s_or_b32 s1, vcc_lo, s1
	s_delay_alu instid0(SALU_CYCLE_1)
	s_and_not1_b32 exec_lo, exec_lo, s1
	s_cbranch_execnz .LBB108_105
; %bb.106:
	s_or_b32 exec_lo, exec_lo, s1
	v_mov_b32_e32 v9, 0
	ds_load_b64 v[96:97], v9 offset:184
	s_wait_dscnt 0x0
	v_pk_mul_f32 v[98:99], v[94:95], v[96:97] op_sel:[1,1] op_sel_hi:[0,1]
	s_delay_alu instid0(VALU_DEP_1) | instskip(SKIP_1) | instid1(VALU_DEP_2)
	v_pk_fma_f32 v[100:101], v[94:95], v[96:97], v[98:99] op_sel_hi:[1,0,1]
	v_pk_fma_f32 v[94:95], v[94:95], v[96:97], v[98:99] neg_lo:[0,0,1] neg_hi:[0,0,1]
	v_mov_b32_e32 v95, v101
	scratch_store_b64 off, v[94:95], off offset:184
.LBB108_107:
	s_wait_xcnt 0x0
	s_or_b32 exec_lo, exec_lo, s0
	s_wait_storecnt 0x0
	s_barrier_signal -1
	s_barrier_wait -1
	scratch_load_b64 v[94:95], off, off offset:192
	;; [unrolled: 52-line block ×22, first 2 shown]
	s_mov_b32 s0, exec_lo
	s_wait_loadcnt 0x0
	ds_store_b64 v1, v[94:95]
	s_wait_dscnt 0x0
	s_barrier_signal -1
	s_barrier_wait -1
	v_cmpx_ne_u32_e32 44, v0
	s_cbranch_execz .LBB108_191
; %bb.188:
	v_dual_mov_b32 v94, 0 :: v_dual_mov_b32 v9, v92
	s_mov_b32 s1, 0
	s_delay_alu instid0(VALU_DEP_1)
	v_mov_b32_e32 v95, v94
.LBB108_189:                            ; =>This Inner Loop Header: Depth=1
	scratch_load_b64 v[92:93], v9, off
	ds_load_b64 v[96:97], v1
	v_add_nc_u32_e32 v1, 8, v1
	s_wait_xcnt 0x0
	v_add_nc_u32_e32 v9, 8, v9
	s_wait_loadcnt_dscnt 0x0
	v_pk_mul_f32 v[98:99], v[96:97], v[92:93] op_sel:[1,1] op_sel_hi:[0,1]
	s_delay_alu instid0(VALU_DEP_1) | instskip(SKIP_2) | instid1(VALU_DEP_3)
	v_pk_fma_f32 v[100:101], v[96:97], v[92:93], v[98:99] op_sel_hi:[1,0,1]
	v_add_nc_u32_e32 v7, 1, v7
	v_pk_fma_f32 v[92:93], v[96:97], v[92:93], v[98:99] neg_lo:[0,0,1] neg_hi:[0,0,1]
	v_mov_b32_e32 v93, v101
	s_delay_alu instid0(VALU_DEP_3) | instskip(NEXT) | instid1(VALU_DEP_2)
	v_cmp_lt_u32_e32 vcc_lo, 42, v7
	v_pk_add_f32 v[94:95], v[94:95], v[92:93]
	s_or_b32 s1, vcc_lo, s1
	s_delay_alu instid0(SALU_CYCLE_1)
	s_and_not1_b32 exec_lo, exec_lo, s1
	s_cbranch_execnz .LBB108_189
; %bb.190:
	s_or_b32 exec_lo, exec_lo, s1
	v_mov_b32_e32 v1, 0
	ds_load_b64 v[92:93], v1 offset:352
	s_wait_dscnt 0x0
	v_pk_mul_f32 v[96:97], v[94:95], v[92:93] op_sel:[1,1] op_sel_hi:[0,1]
	s_delay_alu instid0(VALU_DEP_1) | instskip(SKIP_1) | instid1(VALU_DEP_2)
	v_pk_fma_f32 v[98:99], v[94:95], v[92:93], v[96:97] op_sel_hi:[1,0,1]
	v_pk_fma_f32 v[92:93], v[94:95], v[92:93], v[96:97] neg_lo:[0,0,1] neg_hi:[0,0,1]
	v_mov_b32_e32 v93, v99
	scratch_store_b64 off, v[92:93], off offset:352
.LBB108_191:
	s_wait_xcnt 0x0
	s_or_b32 exec_lo, exec_lo, s0
	s_mov_b32 s1, -1
	s_wait_storecnt 0x0
	s_barrier_signal -1
	s_barrier_wait -1
.LBB108_192:
	s_and_b32 vcc_lo, exec_lo, s1
	s_cbranch_vccz .LBB108_194
; %bb.193:
	v_mov_b32_e32 v1, 0
	s_lshl_b64 s[0:1], s[10:11], 2
	s_delay_alu instid0(SALU_CYCLE_1)
	s_add_nc_u64 s[0:1], s[6:7], s[0:1]
	global_load_b32 v1, v1, s[0:1]
	s_wait_loadcnt 0x0
	v_cmp_ne_u32_e32 vcc_lo, 0, v1
	s_cbranch_vccz .LBB108_195
.LBB108_194:
	s_sendmsg sendmsg(MSG_DEALLOC_VGPRS)
	s_endpgm
.LBB108_195:
	s_wait_xcnt 0x0
	v_lshl_add_u32 v1, v0, 3, 0x170
	s_mov_b32 s0, exec_lo
	v_cmpx_eq_u32_e32 44, v0
	s_cbranch_execz .LBB108_197
; %bb.196:
	scratch_load_b64 v[92:93], off, off offset:344
	v_mov_b64_e32 v[94:95], 0
	scratch_store_b64 off, v[94:95], off offset:344
	s_wait_loadcnt 0x0
	ds_store_b64 v1, v[92:93]
.LBB108_197:
	s_wait_xcnt 0x0
	s_or_b32 exec_lo, exec_lo, s0
	s_wait_storecnt_dscnt 0x0
	s_barrier_signal -1
	s_barrier_wait -1
	s_clause 0x1
	scratch_load_b64 v[92:93], off, off offset:352
	scratch_load_b64 v[94:95], off, off offset:344
	v_mov_b32_e32 v7, 0
	s_mov_b32 s0, exec_lo
	ds_load_b64 v[96:97], v7 offset:720
	s_wait_loadcnt_dscnt 0x100
	v_pk_mul_f32 v[98:99], v[96:97], v[92:93] op_sel:[1,1] op_sel_hi:[0,1]
	s_delay_alu instid0(VALU_DEP_1) | instskip(SKIP_1) | instid1(VALU_DEP_2)
	v_pk_fma_f32 v[100:101], v[96:97], v[92:93], v[98:99] op_sel_hi:[1,0,1]
	v_pk_fma_f32 v[92:93], v[96:97], v[92:93], v[98:99] neg_lo:[0,0,1] neg_hi:[0,0,1]
	v_mov_b32_e32 v93, v101
	s_delay_alu instid0(VALU_DEP_1) | instskip(SKIP_1) | instid1(VALU_DEP_1)
	v_pk_add_f32 v[92:93], v[92:93], 0 op_sel_hi:[1,0]
	s_wait_loadcnt 0x0
	v_pk_add_f32 v[92:93], v[94:95], v[92:93] neg_lo:[0,1] neg_hi:[0,1]
	scratch_store_b64 off, v[92:93], off offset:344
	s_wait_xcnt 0x0
	v_cmpx_lt_u32_e32 42, v0
	s_cbranch_execz .LBB108_199
; %bb.198:
	scratch_load_b64 v[92:93], off, off offset:336
	v_mov_b64_e32 v[94:95], 0
	scratch_store_b64 off, v[94:95], off offset:336
	s_wait_loadcnt 0x0
	ds_store_b64 v1, v[92:93]
.LBB108_199:
	s_wait_xcnt 0x0
	s_or_b32 exec_lo, exec_lo, s0
	s_wait_storecnt_dscnt 0x0
	s_barrier_signal -1
	s_barrier_wait -1
	s_clause 0x1
	scratch_load_b128 v[92:95], off, off offset:344
	scratch_load_b64 v[100:101], off, off offset:336
	ds_load_2addr_b64 v[96:99], v7 offset0:89 offset1:90
	s_mov_b32 s0, exec_lo
	s_wait_dscnt 0x0
	v_dual_mov_b32 v102, v99 :: v_dual_mov_b32 v103, v98
	s_wait_loadcnt 0x1
	v_pk_mul_f32 v[104:105], v[96:97], v[92:93] op_sel:[1,1] op_sel_hi:[0,1]
	s_delay_alu instid0(VALU_DEP_1) | instskip(SKIP_2) | instid1(VALU_DEP_3)
	v_pk_fma_f32 v[108:109], v[96:97], v[92:93], v[104:105] op_sel_hi:[1,0,1]
	v_mov_b32_e32 v106, v95
	v_pk_fma_f32 v[92:93], v[96:97], v[92:93], v[104:105] neg_lo:[0,0,1] neg_hi:[0,0,1]
	v_mov_b32_e32 v93, v109
	s_delay_alu instid0(VALU_DEP_3) | instskip(NEXT) | instid1(VALU_DEP_2)
	v_pk_mul_f32 v[102:103], v[102:103], v[106:107] op_sel_hi:[1,0]
	v_pk_add_f32 v[92:93], v[92:93], 0 op_sel_hi:[1,0]
	s_delay_alu instid0(VALU_DEP_2) | instskip(SKIP_1) | instid1(VALU_DEP_2)
	v_pk_fma_f32 v[96:97], v[98:99], v[94:95], v[102:103] op_sel_hi:[1,0,1]
	v_pk_fma_f32 v[94:95], v[98:99], v[94:95], v[102:103] neg_lo:[0,0,1] neg_hi:[0,0,1]
	v_mov_b32_e32 v95, v97
	s_delay_alu instid0(VALU_DEP_1) | instskip(SKIP_1) | instid1(VALU_DEP_1)
	v_pk_add_f32 v[92:93], v[92:93], v[94:95]
	s_wait_loadcnt 0x0
	v_pk_add_f32 v[92:93], v[100:101], v[92:93] neg_lo:[0,1] neg_hi:[0,1]
	scratch_store_b64 off, v[92:93], off offset:336
	s_wait_xcnt 0x0
	v_cmpx_lt_u32_e32 41, v0
	s_cbranch_execz .LBB108_201
; %bb.200:
	scratch_load_b64 v[92:93], off, off offset:328
	v_mov_b64_e32 v[94:95], 0
	scratch_store_b64 off, v[94:95], off offset:328
	s_wait_loadcnt 0x0
	ds_store_b64 v1, v[92:93]
.LBB108_201:
	s_wait_xcnt 0x0
	s_or_b32 exec_lo, exec_lo, s0
	s_wait_storecnt_dscnt 0x0
	s_barrier_signal -1
	s_barrier_wait -1
	s_clause 0x2
	scratch_load_b128 v[92:95], off, off offset:336
	scratch_load_b64 v[100:101], off, off offset:352
	scratch_load_b64 v[102:103], off, off offset:328
	v_mov_b32_e32 v7, 0
	ds_load_b128 v[96:99], v7 offset:704
	ds_load_b64 v[104:105], v7 offset:720
	s_mov_b32 s0, exec_lo
	s_wait_dscnt 0x1
	v_dual_mov_b32 v106, v99 :: v_dual_mov_b32 v107, v98
	s_wait_loadcnt 0x2
	v_mov_b32_e32 v110, v95
	v_pk_mul_f32 v[108:109], v[96:97], v[92:93] op_sel:[1,1] op_sel_hi:[0,1]
	s_delay_alu instid0(VALU_DEP_2) | instskip(NEXT) | instid1(VALU_DEP_2)
	v_pk_mul_f32 v[106:107], v[106:107], v[110:111] op_sel_hi:[1,0]
	v_pk_fma_f32 v[112:113], v[96:97], v[92:93], v[108:109] op_sel_hi:[1,0,1]
	v_pk_fma_f32 v[92:93], v[96:97], v[92:93], v[108:109] neg_lo:[0,0,1] neg_hi:[0,0,1]
	s_wait_loadcnt_dscnt 0x100
	v_pk_mul_f32 v[108:109], v[104:105], v[100:101] op_sel:[1,1] op_sel_hi:[0,1]
	v_pk_fma_f32 v[96:97], v[98:99], v[94:95], v[106:107] op_sel_hi:[1,0,1]
	v_mov_b32_e32 v93, v113
	v_pk_fma_f32 v[94:95], v[98:99], v[94:95], v[106:107] neg_lo:[0,0,1] neg_hi:[0,0,1]
	s_delay_alu instid0(VALU_DEP_4) | instskip(NEXT) | instid1(VALU_DEP_4)
	v_pk_fma_f32 v[98:99], v[104:105], v[100:101], v[108:109] neg_lo:[0,0,1] neg_hi:[0,0,1]
	v_mov_b32_e32 v95, v97
	s_delay_alu instid0(VALU_DEP_4) | instskip(SKIP_1) | instid1(VALU_DEP_2)
	v_pk_add_f32 v[92:93], v[92:93], 0 op_sel_hi:[1,0]
	v_pk_fma_f32 v[96:97], v[104:105], v[100:101], v[108:109] op_sel_hi:[1,0,1]
	v_pk_add_f32 v[92:93], v[92:93], v[94:95]
	s_delay_alu instid0(VALU_DEP_2) | instskip(NEXT) | instid1(VALU_DEP_1)
	v_mov_b32_e32 v99, v97
	v_pk_add_f32 v[92:93], v[92:93], v[98:99]
	s_wait_loadcnt 0x0
	s_delay_alu instid0(VALU_DEP_1)
	v_pk_add_f32 v[92:93], v[102:103], v[92:93] neg_lo:[0,1] neg_hi:[0,1]
	scratch_store_b64 off, v[92:93], off offset:328
	s_wait_xcnt 0x0
	v_cmpx_lt_u32_e32 40, v0
	s_cbranch_execz .LBB108_203
; %bb.202:
	scratch_load_b64 v[92:93], off, off offset:320
	v_mov_b64_e32 v[94:95], 0
	scratch_store_b64 off, v[94:95], off offset:320
	s_wait_loadcnt 0x0
	ds_store_b64 v1, v[92:93]
.LBB108_203:
	s_wait_xcnt 0x0
	s_or_b32 exec_lo, exec_lo, s0
	s_wait_storecnt_dscnt 0x0
	s_barrier_signal -1
	s_barrier_wait -1
	s_clause 0x2
	scratch_load_b128 v[92:95], off, off offset:328
	scratch_load_b128 v[96:99], off, off offset:344
	scratch_load_b64 v[108:109], off, off offset:320
	ds_load_2addr_b64 v[100:103], v7 offset0:87 offset1:88
	ds_load_2addr_b64 v[104:107], v7 offset0:89 offset1:90
	s_mov_b32 s0, exec_lo
	s_wait_dscnt 0x1
	v_dual_mov_b32 v110, v103 :: v_dual_mov_b32 v111, v102
	s_wait_loadcnt_dscnt 0x200
	v_dual_mov_b32 v116, v107 :: v_dual_mov_b32 v114, v95
	v_pk_mul_f32 v[112:113], v[100:101], v[92:93] op_sel:[1,1] op_sel_hi:[0,1]
	s_delay_alu instid0(VALU_DEP_2) | instskip(NEXT) | instid1(VALU_DEP_2)
	v_pk_mul_f32 v[110:111], v[110:111], v[114:115] op_sel_hi:[1,0]
	v_pk_fma_f32 v[118:119], v[100:101], v[92:93], v[112:113] op_sel_hi:[1,0,1]
	v_pk_fma_f32 v[92:93], v[100:101], v[92:93], v[112:113] neg_lo:[0,0,1] neg_hi:[0,0,1]
	v_mov_b32_e32 v117, v106
	s_wait_loadcnt 0x1
	v_pk_mul_f32 v[114:115], v[104:105], v[96:97] op_sel:[1,1] op_sel_hi:[0,1]
	v_pk_fma_f32 v[100:101], v[102:103], v[94:95], v[110:111] op_sel_hi:[1,0,1]
	v_dual_mov_b32 v93, v119 :: v_dual_mov_b32 v100, v99
	v_pk_fma_f32 v[94:95], v[102:103], v[94:95], v[110:111] neg_lo:[0,0,1] neg_hi:[0,0,1]
	s_delay_alu instid0(VALU_DEP_4) | instskip(NEXT) | instid1(VALU_DEP_4)
	v_pk_fma_f32 v[112:113], v[104:105], v[96:97], v[114:115] op_sel_hi:[1,0,1]
	v_mov_b32_e32 v95, v101
	s_delay_alu instid0(VALU_DEP_4) | instskip(SKIP_2) | instid1(VALU_DEP_3)
	v_pk_add_f32 v[92:93], v[92:93], 0 op_sel_hi:[1,0]
	v_pk_mul_f32 v[100:101], v[116:117], v[100:101] op_sel_hi:[1,0]
	v_pk_fma_f32 v[96:97], v[104:105], v[96:97], v[114:115] neg_lo:[0,0,1] neg_hi:[0,0,1]
	v_pk_add_f32 v[92:93], v[92:93], v[94:95]
	s_delay_alu instid0(VALU_DEP_3) | instskip(SKIP_2) | instid1(VALU_DEP_3)
	v_pk_fma_f32 v[94:95], v[106:107], v[98:99], v[100:101] op_sel_hi:[1,0,1]
	v_mov_b32_e32 v97, v113
	v_pk_fma_f32 v[98:99], v[106:107], v[98:99], v[100:101] neg_lo:[0,0,1] neg_hi:[0,0,1]
	v_mov_b32_e32 v99, v95
	s_delay_alu instid0(VALU_DEP_3) | instskip(NEXT) | instid1(VALU_DEP_1)
	v_pk_add_f32 v[92:93], v[92:93], v[96:97]
	v_pk_add_f32 v[92:93], v[92:93], v[98:99]
	s_wait_loadcnt 0x0
	s_delay_alu instid0(VALU_DEP_1)
	v_pk_add_f32 v[92:93], v[108:109], v[92:93] neg_lo:[0,1] neg_hi:[0,1]
	scratch_store_b64 off, v[92:93], off offset:320
	s_wait_xcnt 0x0
	v_cmpx_lt_u32_e32 39, v0
	s_cbranch_execz .LBB108_205
; %bb.204:
	scratch_load_b64 v[92:93], off, off offset:312
	v_mov_b64_e32 v[94:95], 0
	scratch_store_b64 off, v[94:95], off offset:312
	s_wait_loadcnt 0x0
	ds_store_b64 v1, v[92:93]
.LBB108_205:
	s_wait_xcnt 0x0
	s_or_b32 exec_lo, exec_lo, s0
	s_wait_storecnt_dscnt 0x0
	s_barrier_signal -1
	s_barrier_wait -1
	s_clause 0x3
	scratch_load_b128 v[92:95], off, off offset:320
	scratch_load_b128 v[96:99], off, off offset:336
	scratch_load_b64 v[108:109], off, off offset:352
	scratch_load_b64 v[110:111], off, off offset:312
	v_mov_b32_e32 v7, 0
	ds_load_b128 v[100:103], v7 offset:688
	ds_load_b128 v[104:107], v7 offset:704
	s_mov_b32 s0, exec_lo
	s_wait_dscnt 0x1
	v_dual_mov_b32 v112, v103 :: v_dual_mov_b32 v113, v102
	ds_load_b64 v[118:119], v7 offset:720
	s_wait_dscnt 0x1
	v_dual_mov_b32 v120, v107 :: v_dual_mov_b32 v121, v106
	s_wait_loadcnt 0x3
	v_pk_mul_f32 v[114:115], v[100:101], v[92:93] op_sel:[1,1] op_sel_hi:[0,1]
	v_mov_b32_e32 v116, v95
	s_delay_alu instid0(VALU_DEP_2) | instskip(NEXT) | instid1(VALU_DEP_2)
	v_pk_fma_f32 v[122:123], v[100:101], v[92:93], v[114:115] op_sel_hi:[1,0,1]
	v_pk_mul_f32 v[112:113], v[112:113], v[116:117] op_sel_hi:[1,0]
	v_pk_fma_f32 v[92:93], v[100:101], v[92:93], v[114:115] neg_lo:[0,0,1] neg_hi:[0,0,1]
	s_wait_loadcnt 0x2
	v_pk_mul_f32 v[116:117], v[104:105], v[96:97] op_sel:[1,1] op_sel_hi:[0,1]
	v_dual_mov_b32 v122, v99 :: v_dual_mov_b32 v93, v123
	v_pk_fma_f32 v[100:101], v[102:103], v[94:95], v[112:113] op_sel_hi:[1,0,1]
	v_pk_fma_f32 v[94:95], v[102:103], v[94:95], v[112:113] neg_lo:[0,0,1] neg_hi:[0,0,1]
	s_delay_alu instid0(VALU_DEP_4) | instskip(NEXT) | instid1(VALU_DEP_4)
	v_pk_fma_f32 v[114:115], v[104:105], v[96:97], v[116:117] op_sel_hi:[1,0,1]
	v_pk_mul_f32 v[120:121], v[120:121], v[122:123] op_sel_hi:[1,0]
	v_pk_add_f32 v[92:93], v[92:93], 0 op_sel_hi:[1,0]
	v_mov_b32_e32 v95, v101
	v_pk_fma_f32 v[96:97], v[104:105], v[96:97], v[116:117] neg_lo:[0,0,1] neg_hi:[0,0,1]
	v_mov_b32_e32 v97, v115
	v_pk_fma_f32 v[100:101], v[106:107], v[98:99], v[120:121] op_sel_hi:[1,0,1]
	v_pk_fma_f32 v[98:99], v[106:107], v[98:99], v[120:121] neg_lo:[0,0,1] neg_hi:[0,0,1]
	v_pk_add_f32 v[92:93], v[92:93], v[94:95]
	s_wait_loadcnt_dscnt 0x100
	v_pk_mul_f32 v[94:95], v[118:119], v[108:109] op_sel:[1,1] op_sel_hi:[0,1]
	s_delay_alu instid0(VALU_DEP_2) | instskip(NEXT) | instid1(VALU_DEP_2)
	v_pk_add_f32 v[92:93], v[92:93], v[96:97]
	v_pk_fma_f32 v[96:97], v[118:119], v[108:109], v[94:95] op_sel_hi:[1,0,1]
	v_mov_b32_e32 v99, v101
	v_pk_fma_f32 v[94:95], v[118:119], v[108:109], v[94:95] neg_lo:[0,0,1] neg_hi:[0,0,1]
	s_delay_alu instid0(VALU_DEP_3) | instskip(NEXT) | instid1(VALU_DEP_3)
	v_mov_b32_e32 v95, v97
	v_pk_add_f32 v[92:93], v[92:93], v[98:99]
	s_delay_alu instid0(VALU_DEP_1) | instskip(SKIP_1) | instid1(VALU_DEP_1)
	v_pk_add_f32 v[92:93], v[92:93], v[94:95]
	s_wait_loadcnt 0x0
	v_pk_add_f32 v[92:93], v[110:111], v[92:93] neg_lo:[0,1] neg_hi:[0,1]
	scratch_store_b64 off, v[92:93], off offset:312
	s_wait_xcnt 0x0
	v_cmpx_lt_u32_e32 38, v0
	s_cbranch_execz .LBB108_207
; %bb.206:
	scratch_load_b64 v[92:93], off, off offset:304
	v_mov_b64_e32 v[94:95], 0
	scratch_store_b64 off, v[94:95], off offset:304
	s_wait_loadcnt 0x0
	ds_store_b64 v1, v[92:93]
.LBB108_207:
	s_wait_xcnt 0x0
	s_or_b32 exec_lo, exec_lo, s0
	s_wait_storecnt_dscnt 0x0
	s_barrier_signal -1
	s_barrier_wait -1
	s_clause 0x3
	scratch_load_b128 v[92:95], off, off offset:312
	scratch_load_b128 v[96:99], off, off offset:328
	;; [unrolled: 1-line block ×3, first 2 shown]
	scratch_load_b64 v[116:117], off, off offset:304
	ds_load_2addr_b64 v[104:107], v7 offset0:85 offset1:86
	ds_load_2addr_b64 v[108:111], v7 offset0:87 offset1:88
	;; [unrolled: 1-line block ×3, first 2 shown]
	s_mov_b32 s0, exec_lo
	s_wait_dscnt 0x2
	v_dual_mov_b32 v118, v107 :: v_dual_mov_b32 v119, v106
	s_wait_dscnt 0x1
	v_dual_mov_b32 v120, v111 :: v_dual_mov_b32 v121, v110
	;; [unrolled: 2-line block ×3, first 2 shown]
	s_wait_loadcnt 0x3
	v_pk_mul_f32 v[122:123], v[104:105], v[92:93] op_sel:[1,1] op_sel_hi:[0,1]
	v_mov_b32_e32 v124, v95
	s_delay_alu instid0(VALU_DEP_2) | instskip(NEXT) | instid1(VALU_DEP_2)
	v_pk_fma_f32 v[128:129], v[104:105], v[92:93], v[122:123] op_sel_hi:[1,0,1]
	v_pk_mul_f32 v[118:119], v[118:119], v[124:125] op_sel_hi:[1,0]
	v_pk_fma_f32 v[92:93], v[104:105], v[92:93], v[122:123] neg_lo:[0,0,1] neg_hi:[0,0,1]
	s_wait_loadcnt 0x2
	v_pk_mul_f32 v[124:125], v[108:109], v[96:97] op_sel:[1,1] op_sel_hi:[0,1]
	v_mov_b32_e32 v128, v99
	v_pk_fma_f32 v[104:105], v[106:107], v[94:95], v[118:119] op_sel_hi:[1,0,1]
	v_mov_b32_e32 v93, v129
	v_pk_fma_f32 v[94:95], v[106:107], v[94:95], v[118:119] neg_lo:[0,0,1] neg_hi:[0,0,1]
	v_pk_fma_f32 v[122:123], v[108:109], v[96:97], v[124:125] op_sel_hi:[1,0,1]
	v_pk_mul_f32 v[120:121], v[120:121], v[128:129] op_sel_hi:[1,0]
	v_mov_b32_e32 v95, v105
	v_pk_add_f32 v[92:93], v[92:93], 0 op_sel_hi:[1,0]
	v_pk_fma_f32 v[96:97], v[108:109], v[96:97], v[124:125] neg_lo:[0,0,1] neg_hi:[0,0,1]
	s_wait_loadcnt 0x1
	v_pk_mul_f32 v[104:105], v[112:113], v[100:101] op_sel:[1,1] op_sel_hi:[0,1]
	v_mov_b32_e32 v97, v123
	v_pk_fma_f32 v[106:107], v[110:111], v[98:99], v[120:121] op_sel_hi:[1,0,1]
	v_pk_add_f32 v[92:93], v[92:93], v[94:95]
	v_mov_b32_e32 v94, v103
	v_pk_fma_f32 v[98:99], v[110:111], v[98:99], v[120:121] neg_lo:[0,0,1] neg_hi:[0,0,1]
	v_pk_fma_f32 v[108:109], v[112:113], v[100:101], v[104:105] op_sel_hi:[1,0,1]
	v_mov_b32_e32 v99, v107
	v_pk_add_f32 v[92:93], v[92:93], v[96:97]
	v_pk_mul_f32 v[94:95], v[126:127], v[94:95] op_sel_hi:[1,0]
	v_pk_fma_f32 v[96:97], v[112:113], v[100:101], v[104:105] neg_lo:[0,0,1] neg_hi:[0,0,1]
	v_mov_b32_e32 v97, v109
	s_delay_alu instid0(VALU_DEP_4) | instskip(NEXT) | instid1(VALU_DEP_4)
	v_pk_add_f32 v[92:93], v[92:93], v[98:99]
	v_pk_fma_f32 v[98:99], v[114:115], v[102:103], v[94:95] op_sel_hi:[1,0,1]
	v_pk_fma_f32 v[94:95], v[114:115], v[102:103], v[94:95] neg_lo:[0,0,1] neg_hi:[0,0,1]
	s_delay_alu instid0(VALU_DEP_3) | instskip(NEXT) | instid1(VALU_DEP_3)
	v_pk_add_f32 v[92:93], v[92:93], v[96:97]
	v_mov_b32_e32 v95, v99
	s_delay_alu instid0(VALU_DEP_1) | instskip(SKIP_1) | instid1(VALU_DEP_1)
	v_pk_add_f32 v[92:93], v[92:93], v[94:95]
	s_wait_loadcnt 0x0
	v_pk_add_f32 v[92:93], v[116:117], v[92:93] neg_lo:[0,1] neg_hi:[0,1]
	scratch_store_b64 off, v[92:93], off offset:304
	s_wait_xcnt 0x0
	v_cmpx_lt_u32_e32 37, v0
	s_cbranch_execz .LBB108_209
; %bb.208:
	scratch_load_b64 v[92:93], off, off offset:296
	v_mov_b64_e32 v[94:95], 0
	scratch_store_b64 off, v[94:95], off offset:296
	s_wait_loadcnt 0x0
	ds_store_b64 v1, v[92:93]
.LBB108_209:
	s_wait_xcnt 0x0
	s_or_b32 exec_lo, exec_lo, s0
	s_wait_storecnt_dscnt 0x0
	s_barrier_signal -1
	s_barrier_wait -1
	s_clause 0x4
	scratch_load_b128 v[92:95], off, off offset:304
	scratch_load_b128 v[96:99], off, off offset:320
	;; [unrolled: 1-line block ×3, first 2 shown]
	scratch_load_b64 v[116:117], off, off offset:352
	scratch_load_b64 v[118:119], off, off offset:296
	v_mov_b32_e32 v7, 0
	ds_load_b128 v[104:107], v7 offset:672
	ds_load_b128 v[108:111], v7 offset:688
	;; [unrolled: 1-line block ×3, first 2 shown]
	ds_load_b64 v[120:121], v7 offset:720
	s_mov_b32 s0, exec_lo
	s_wait_dscnt 0x3
	v_dual_mov_b32 v122, v107 :: v_dual_mov_b32 v123, v106
	s_wait_dscnt 0x2
	v_dual_mov_b32 v124, v111 :: v_dual_mov_b32 v125, v110
	;; [unrolled: 2-line block ×3, first 2 shown]
	s_wait_loadcnt 0x4
	v_pk_mul_f32 v[126:127], v[104:105], v[92:93] op_sel:[1,1] op_sel_hi:[0,1]
	v_mov_b32_e32 v128, v95
	s_wait_loadcnt 0x3
	v_pk_mul_f32 v[132:133], v[108:109], v[96:97] op_sel:[1,1] op_sel_hi:[0,1]
	s_wait_loadcnt 0x2
	v_pk_mul_f32 v[136:137], v[112:113], v[100:101] op_sel:[1,1] op_sel_hi:[0,1]
	v_pk_fma_f32 v[134:135], v[104:105], v[92:93], v[126:127] op_sel_hi:[1,0,1]
	v_pk_mul_f32 v[122:123], v[122:123], v[128:129] op_sel_hi:[1,0]
	v_pk_fma_f32 v[92:93], v[104:105], v[92:93], v[126:127] neg_lo:[0,0,1] neg_hi:[0,0,1]
	v_mov_b32_e32 v128, v99
	v_pk_fma_f32 v[126:127], v[108:109], v[96:97], v[132:133] op_sel_hi:[1,0,1]
	v_mov_b32_e32 v93, v135
	v_pk_fma_f32 v[104:105], v[106:107], v[94:95], v[122:123] op_sel_hi:[1,0,1]
	v_pk_fma_f32 v[94:95], v[106:107], v[94:95], v[122:123] neg_lo:[0,0,1] neg_hi:[0,0,1]
	v_pk_mul_f32 v[124:125], v[124:125], v[128:129] op_sel_hi:[1,0]
	v_pk_fma_f32 v[96:97], v[108:109], v[96:97], v[132:133] neg_lo:[0,0,1] neg_hi:[0,0,1]
	v_pk_add_f32 v[92:93], v[92:93], 0 op_sel_hi:[1,0]
	v_dual_mov_b32 v95, v105 :: v_dual_mov_b32 v104, v103
	s_delay_alu instid0(VALU_DEP_4) | instskip(SKIP_2) | instid1(VALU_DEP_4)
	v_pk_fma_f32 v[106:107], v[110:111], v[98:99], v[124:125] op_sel_hi:[1,0,1]
	v_mov_b32_e32 v97, v127
	v_pk_fma_f32 v[98:99], v[110:111], v[98:99], v[124:125] neg_lo:[0,0,1] neg_hi:[0,0,1]
	v_pk_add_f32 v[92:93], v[92:93], v[94:95]
	v_pk_fma_f32 v[94:95], v[112:113], v[100:101], v[136:137] op_sel_hi:[1,0,1]
	v_pk_mul_f32 v[104:105], v[130:131], v[104:105] op_sel_hi:[1,0]
	v_mov_b32_e32 v99, v107
	s_delay_alu instid0(VALU_DEP_4)
	v_pk_add_f32 v[92:93], v[92:93], v[96:97]
	v_pk_fma_f32 v[96:97], v[112:113], v[100:101], v[136:137] neg_lo:[0,0,1] neg_hi:[0,0,1]
	v_mov_b32_e32 v97, v95
	v_pk_fma_f32 v[94:95], v[114:115], v[102:103], v[104:105] op_sel_hi:[1,0,1]
	v_pk_fma_f32 v[100:101], v[114:115], v[102:103], v[104:105] neg_lo:[0,0,1] neg_hi:[0,0,1]
	v_pk_add_f32 v[92:93], v[92:93], v[98:99]
	s_wait_loadcnt_dscnt 0x100
	v_pk_mul_f32 v[98:99], v[120:121], v[116:117] op_sel:[1,1] op_sel_hi:[0,1]
	v_mov_b32_e32 v101, v95
	s_delay_alu instid0(VALU_DEP_3) | instskip(NEXT) | instid1(VALU_DEP_3)
	v_pk_add_f32 v[92:93], v[92:93], v[96:97]
	v_pk_fma_f32 v[94:95], v[120:121], v[116:117], v[98:99] op_sel_hi:[1,0,1]
	v_pk_fma_f32 v[96:97], v[120:121], v[116:117], v[98:99] neg_lo:[0,0,1] neg_hi:[0,0,1]
	s_delay_alu instid0(VALU_DEP_3) | instskip(NEXT) | instid1(VALU_DEP_3)
	v_pk_add_f32 v[92:93], v[92:93], v[100:101]
	v_mov_b32_e32 v97, v95
	s_delay_alu instid0(VALU_DEP_1) | instskip(SKIP_1) | instid1(VALU_DEP_1)
	v_pk_add_f32 v[92:93], v[92:93], v[96:97]
	s_wait_loadcnt 0x0
	v_pk_add_f32 v[92:93], v[118:119], v[92:93] neg_lo:[0,1] neg_hi:[0,1]
	scratch_store_b64 off, v[92:93], off offset:296
	s_wait_xcnt 0x0
	v_cmpx_lt_u32_e32 36, v0
	s_cbranch_execz .LBB108_211
; %bb.210:
	scratch_load_b64 v[92:93], off, off offset:288
	v_mov_b64_e32 v[94:95], 0
	scratch_store_b64 off, v[94:95], off offset:288
	s_wait_loadcnt 0x0
	ds_store_b64 v1, v[92:93]
.LBB108_211:
	s_wait_xcnt 0x0
	s_or_b32 exec_lo, exec_lo, s0
	s_wait_storecnt_dscnt 0x0
	s_barrier_signal -1
	s_barrier_wait -1
	s_clause 0x4
	scratch_load_b128 v[92:95], off, off offset:296
	scratch_load_b128 v[96:99], off, off offset:312
	;; [unrolled: 1-line block ×4, first 2 shown]
	scratch_load_b64 v[124:125], off, off offset:288
	ds_load_2addr_b64 v[108:111], v7 offset0:83 offset1:84
	ds_load_2addr_b64 v[112:115], v7 offset0:85 offset1:86
	;; [unrolled: 1-line block ×4, first 2 shown]
	s_mov_b32 s0, exec_lo
	s_wait_dscnt 0x3
	v_dual_mov_b32 v126, v111 :: v_dual_mov_b32 v127, v110
	s_wait_dscnt 0x2
	v_dual_mov_b32 v128, v115 :: v_dual_mov_b32 v129, v114
	;; [unrolled: 2-line block ×3, first 2 shown]
	v_dual_mov_b32 v131, v118 :: v_dual_mov_b32 v136, v123
	s_wait_loadcnt 0x4
	v_mov_b32_e32 v134, v95
	v_pk_mul_f32 v[132:133], v[108:109], v[92:93] op_sel:[1,1] op_sel_hi:[0,1]
	s_wait_loadcnt 0x3
	v_pk_mul_f32 v[138:139], v[112:113], v[96:97] op_sel:[1,1] op_sel_hi:[0,1]
	s_wait_loadcnt 0x2
	v_pk_mul_f32 v[142:143], v[116:117], v[100:101] op_sel:[1,1] op_sel_hi:[0,1]
	v_pk_mul_f32 v[126:127], v[126:127], v[134:135] op_sel_hi:[1,0]
	v_pk_fma_f32 v[140:141], v[108:109], v[92:93], v[132:133] op_sel_hi:[1,0,1]
	v_pk_fma_f32 v[92:93], v[108:109], v[92:93], v[132:133] neg_lo:[0,0,1] neg_hi:[0,0,1]
	v_mov_b32_e32 v134, v99
	v_pk_fma_f32 v[132:133], v[112:113], v[96:97], v[138:139] op_sel_hi:[1,0,1]
	v_pk_fma_f32 v[108:109], v[110:111], v[94:95], v[126:127] op_sel_hi:[1,0,1]
	v_mov_b32_e32 v93, v141
	v_pk_fma_f32 v[94:95], v[110:111], v[94:95], v[126:127] neg_lo:[0,0,1] neg_hi:[0,0,1]
	v_pk_mul_f32 v[128:129], v[128:129], v[134:135] op_sel_hi:[1,0]
	s_delay_alu instid0(VALU_DEP_4) | instskip(NEXT) | instid1(VALU_DEP_4)
	v_dual_mov_b32 v108, v103 :: v_dual_mov_b32 v95, v109
	v_pk_add_f32 v[92:93], v[92:93], 0 op_sel_hi:[1,0]
	v_pk_fma_f32 v[96:97], v[112:113], v[96:97], v[138:139] neg_lo:[0,0,1] neg_hi:[0,0,1]
	v_mov_b32_e32 v97, v133
	v_pk_fma_f32 v[110:111], v[114:115], v[98:99], v[128:129] op_sel_hi:[1,0,1]
	v_pk_mul_f32 v[108:109], v[130:131], v[108:109] op_sel_hi:[1,0]
	v_pk_add_f32 v[92:93], v[92:93], v[94:95]
	v_pk_fma_f32 v[94:95], v[116:117], v[100:101], v[142:143] op_sel_hi:[1,0,1]
	v_pk_fma_f32 v[98:99], v[114:115], v[98:99], v[128:129] neg_lo:[0,0,1] neg_hi:[0,0,1]
	v_mov_b32_e32 v99, v111
	v_pk_fma_f32 v[100:101], v[116:117], v[100:101], v[142:143] neg_lo:[0,0,1] neg_hi:[0,0,1]
	v_pk_add_f32 v[92:93], v[92:93], v[96:97]
	v_mov_b32_e32 v101, v95
	v_pk_fma_f32 v[94:95], v[118:119], v[102:103], v[108:109] op_sel_hi:[1,0,1]
	s_wait_loadcnt 0x1
	v_pk_mul_f32 v[96:97], v[120:121], v[104:105] op_sel:[1,1] op_sel_hi:[0,1]
	v_mov_b32_e32 v94, v107
	v_pk_add_f32 v[92:93], v[92:93], v[98:99]
	v_pk_fma_f32 v[102:103], v[118:119], v[102:103], v[108:109] neg_lo:[0,0,1] neg_hi:[0,0,1]
	v_mov_b32_e32 v103, v95
	v_pk_fma_f32 v[98:99], v[120:121], v[104:105], v[96:97] op_sel_hi:[1,0,1]
	v_pk_mul_f32 v[94:95], v[136:137], v[94:95] op_sel_hi:[1,0]
	v_pk_add_f32 v[92:93], v[92:93], v[100:101]
	v_pk_fma_f32 v[96:97], v[120:121], v[104:105], v[96:97] neg_lo:[0,0,1] neg_hi:[0,0,1]
	s_delay_alu instid0(VALU_DEP_4) | instskip(NEXT) | instid1(VALU_DEP_4)
	v_mov_b32_e32 v97, v99
	v_pk_fma_f32 v[98:99], v[122:123], v[106:107], v[94:95] op_sel_hi:[1,0,1]
	s_delay_alu instid0(VALU_DEP_4) | instskip(SKIP_1) | instid1(VALU_DEP_3)
	v_pk_add_f32 v[92:93], v[92:93], v[102:103]
	v_pk_fma_f32 v[94:95], v[122:123], v[106:107], v[94:95] neg_lo:[0,0,1] neg_hi:[0,0,1]
	v_mov_b32_e32 v95, v99
	s_delay_alu instid0(VALU_DEP_3) | instskip(NEXT) | instid1(VALU_DEP_1)
	v_pk_add_f32 v[92:93], v[92:93], v[96:97]
	v_pk_add_f32 v[92:93], v[92:93], v[94:95]
	s_wait_loadcnt 0x0
	s_delay_alu instid0(VALU_DEP_1)
	v_pk_add_f32 v[92:93], v[124:125], v[92:93] neg_lo:[0,1] neg_hi:[0,1]
	scratch_store_b64 off, v[92:93], off offset:288
	s_wait_xcnt 0x0
	v_cmpx_lt_u32_e32 35, v0
	s_cbranch_execz .LBB108_213
; %bb.212:
	scratch_load_b64 v[92:93], off, off offset:280
	v_mov_b64_e32 v[94:95], 0
	scratch_store_b64 off, v[94:95], off offset:280
	s_wait_loadcnt 0x0
	ds_store_b64 v1, v[92:93]
.LBB108_213:
	s_wait_xcnt 0x0
	s_or_b32 exec_lo, exec_lo, s0
	s_wait_storecnt_dscnt 0x0
	s_barrier_signal -1
	s_barrier_wait -1
	s_clause 0x5
	scratch_load_b128 v[92:95], off, off offset:288
	scratch_load_b128 v[96:99], off, off offset:304
	;; [unrolled: 1-line block ×4, first 2 shown]
	scratch_load_b64 v[124:125], off, off offset:352
	scratch_load_b64 v[126:127], off, off offset:280
	v_mov_b32_e32 v7, 0
	ds_load_b128 v[108:111], v7 offset:656
	ds_load_b128 v[112:115], v7 offset:672
	;; [unrolled: 1-line block ×4, first 2 shown]
	ds_load_b64 v[128:129], v7 offset:720
	s_mov_b32 s0, exec_lo
	s_wait_dscnt 0x4
	v_dual_mov_b32 v130, v111 :: v_dual_mov_b32 v131, v110
	s_wait_dscnt 0x1
	v_dual_mov_b32 v132, v115 :: v_dual_mov_b32 v137, v122
	v_dual_mov_b32 v133, v114 :: v_dual_mov_b32 v134, v119
	;; [unrolled: 1-line block ×3, first 2 shown]
	s_wait_loadcnt 0x5
	v_dual_mov_b32 v138, v95 :: v_dual_mul_f32 v139, v108, v93
	v_mul_f32_e32 v9, v109, v93
	s_wait_loadcnt 0x4
	v_pk_mul_f32 v[140:141], v[112:113], v[96:97] op_sel:[1,1] op_sel_hi:[0,1]
	v_mov_b32_e32 v142, v99
	s_wait_loadcnt 0x3
	v_pk_mul_f32 v[144:145], v[116:117], v[100:101] op_sel:[1,1] op_sel_hi:[0,1]
	v_pk_mul_f32 v[130:131], v[130:131], v[138:139] op_sel_hi:[1,0]
	v_dual_fmac_f32 v139, v109, v92 :: v_dual_fma_f32 v138, v108, v92, -v9
	v_mov_b32_e32 v92, v103
	v_pk_fma_f32 v[146:147], v[112:113], v[96:97], v[140:141] op_sel_hi:[1,0,1]
	s_delay_alu instid0(VALU_DEP_4)
	v_pk_fma_f32 v[108:109], v[110:111], v[94:95], v[130:131] op_sel_hi:[1,0,1]
	v_pk_fma_f32 v[94:95], v[110:111], v[94:95], v[130:131] neg_lo:[0,0,1] neg_hi:[0,0,1]
	v_pk_mul_f32 v[132:133], v[132:133], v[142:143] op_sel_hi:[1,0]
	v_pk_add_f32 v[138:139], v[138:139], 0 op_sel_hi:[1,0]
	v_pk_fma_f32 v[96:97], v[112:113], v[96:97], v[140:141] neg_lo:[0,0,1] neg_hi:[0,0,1]
	v_dual_mov_b32 v95, v109 :: v_dual_mov_b32 v97, v147
	s_delay_alu instid0(VALU_DEP_4) | instskip(SKIP_2) | instid1(VALU_DEP_4)
	v_pk_fma_f32 v[110:111], v[114:115], v[98:99], v[132:133] op_sel_hi:[1,0,1]
	v_pk_fma_f32 v[98:99], v[114:115], v[98:99], v[132:133] neg_lo:[0,0,1] neg_hi:[0,0,1]
	v_pk_fma_f32 v[112:113], v[116:117], v[100:101], v[144:145] op_sel_hi:[1,0,1]
	v_pk_add_f32 v[94:95], v[138:139], v[94:95]
	v_pk_mul_f32 v[92:93], v[134:135], v[92:93] op_sel_hi:[1,0]
	v_mov_b32_e32 v99, v111
	v_pk_fma_f32 v[100:101], v[116:117], v[100:101], v[144:145] neg_lo:[0,0,1] neg_hi:[0,0,1]
	s_wait_loadcnt 0x2
	v_pk_mul_f32 v[108:109], v[120:121], v[104:105] op_sel:[1,1] op_sel_hi:[0,1]
	v_pk_add_f32 v[94:95], v[94:95], v[96:97]
	v_mov_b32_e32 v96, v107
	v_pk_fma_f32 v[110:111], v[118:119], v[102:103], v[92:93] op_sel_hi:[1,0,1]
	v_mov_b32_e32 v101, v113
	v_pk_fma_f32 v[92:93], v[118:119], v[102:103], v[92:93] neg_lo:[0,0,1] neg_hi:[0,0,1]
	v_pk_add_f32 v[94:95], v[94:95], v[98:99]
	v_pk_fma_f32 v[98:99], v[120:121], v[104:105], v[108:109] op_sel_hi:[1,0,1]
	v_pk_mul_f32 v[96:97], v[136:137], v[96:97] op_sel_hi:[1,0]
	v_mov_b32_e32 v93, v111
	s_delay_alu instid0(VALU_DEP_4)
	v_pk_add_f32 v[94:95], v[94:95], v[100:101]
	v_pk_fma_f32 v[100:101], v[120:121], v[104:105], v[108:109] neg_lo:[0,0,1] neg_hi:[0,0,1]
	v_mov_b32_e32 v101, v99
	v_pk_fma_f32 v[98:99], v[122:123], v[106:107], v[96:97] op_sel_hi:[1,0,1]
	v_pk_fma_f32 v[96:97], v[122:123], v[106:107], v[96:97] neg_lo:[0,0,1] neg_hi:[0,0,1]
	v_pk_add_f32 v[92:93], v[94:95], v[92:93]
	s_wait_loadcnt_dscnt 0x100
	v_pk_mul_f32 v[94:95], v[128:129], v[124:125] op_sel:[1,1] op_sel_hi:[0,1]
	v_mov_b32_e32 v97, v99
	s_delay_alu instid0(VALU_DEP_3) | instskip(NEXT) | instid1(VALU_DEP_3)
	v_pk_add_f32 v[92:93], v[92:93], v[100:101]
	v_pk_fma_f32 v[98:99], v[128:129], v[124:125], v[94:95] op_sel_hi:[1,0,1]
	v_pk_fma_f32 v[94:95], v[128:129], v[124:125], v[94:95] neg_lo:[0,0,1] neg_hi:[0,0,1]
	s_delay_alu instid0(VALU_DEP_3) | instskip(NEXT) | instid1(VALU_DEP_3)
	v_pk_add_f32 v[92:93], v[92:93], v[96:97]
	v_mov_b32_e32 v95, v99
	s_delay_alu instid0(VALU_DEP_1) | instskip(SKIP_1) | instid1(VALU_DEP_1)
	v_pk_add_f32 v[92:93], v[92:93], v[94:95]
	s_wait_loadcnt 0x0
	v_pk_add_f32 v[92:93], v[126:127], v[92:93] neg_lo:[0,1] neg_hi:[0,1]
	scratch_store_b64 off, v[92:93], off offset:280
	s_wait_xcnt 0x0
	v_cmpx_lt_u32_e32 34, v0
	s_cbranch_execz .LBB108_215
; %bb.214:
	scratch_load_b64 v[92:93], off, off offset:272
	v_mov_b64_e32 v[94:95], 0
	scratch_store_b64 off, v[94:95], off offset:272
	s_wait_loadcnt 0x0
	ds_store_b64 v1, v[92:93]
.LBB108_215:
	s_wait_xcnt 0x0
	s_or_b32 exec_lo, exec_lo, s0
	s_wait_storecnt_dscnt 0x0
	s_barrier_signal -1
	s_barrier_wait -1
	s_clause 0x5
	scratch_load_b128 v[92:95], off, off offset:280
	scratch_load_b128 v[96:99], off, off offset:296
	;; [unrolled: 1-line block ×5, first 2 shown]
	scratch_load_b64 v[132:133], off, off offset:272
	ds_load_2addr_b64 v[112:115], v7 offset0:83 offset1:84
	ds_load_2addr_b64 v[116:119], v7 offset0:85 offset1:86
	;; [unrolled: 1-line block ×5, first 2 shown]
	s_mov_b32 s0, exec_lo
	s_wait_dscnt 0x4
	v_dual_mov_b32 v134, v115 :: v_dual_mov_b32 v135, v114
	s_wait_dscnt 0x3
	v_dual_mov_b32 v136, v119 :: v_dual_mov_b32 v137, v118
	s_wait_dscnt 0x2
	v_dual_mov_b32 v138, v123 :: v_dual_mov_b32 v139, v122
	s_wait_dscnt 0x1
	v_dual_mov_b32 v140, v127 :: v_dual_mov_b32 v141, v126
	s_wait_loadcnt_dscnt 0x500
	v_dual_mul_f32 v143, v128, v93 :: v_dual_mul_f32 v145, v130, v95
	v_dual_mul_f32 v7, v129, v93 :: v_dual_mul_f32 v9, v131, v95
	s_wait_loadcnt 0x4
	v_pk_mul_f32 v[146:147], v[112:113], v[96:97] op_sel:[1,1] op_sel_hi:[0,1]
	s_wait_loadcnt 0x3
	v_dual_mov_b32 v148, v99 :: v_dual_mov_b32 v152, v103
	v_dual_fmac_f32 v143, v129, v92 :: v_dual_fmac_f32 v145, v131, v94
	v_dual_fma_f32 v142, v128, v92, -v7 :: v_dual_fma_f32 v144, v130, v94, -v9
	v_pk_fma_f32 v[92:93], v[112:113], v[96:97], v[146:147] op_sel_hi:[1,0,1]
	s_delay_alu instid0(VALU_DEP_4) | instskip(SKIP_1) | instid1(VALU_DEP_4)
	v_pk_mul_f32 v[94:95], v[134:135], v[148:149] op_sel_hi:[1,0]
	v_pk_fma_f32 v[96:97], v[112:113], v[96:97], v[146:147] neg_lo:[0,0,1] neg_hi:[0,0,1]
	v_pk_add_f32 v[128:129], v[142:143], 0 op_sel_hi:[1,0]
	v_pk_mul_f32 v[150:151], v[116:117], v[100:101] op_sel:[1,1] op_sel_hi:[0,1]
	v_mov_b32_e32 v97, v93
	v_pk_fma_f32 v[92:93], v[114:115], v[98:99], v[94:95] op_sel_hi:[1,0,1]
	v_pk_fma_f32 v[94:95], v[114:115], v[98:99], v[94:95] neg_lo:[0,0,1] neg_hi:[0,0,1]
	v_pk_add_f32 v[112:113], v[128:129], v[144:145]
	v_pk_fma_f32 v[128:129], v[116:117], v[100:101], v[150:151] op_sel_hi:[1,0,1]
	v_pk_mul_f32 v[134:135], v[136:137], v[152:153] op_sel_hi:[1,0]
	v_mov_b32_e32 v95, v93
	s_wait_loadcnt 0x2
	v_pk_mul_f32 v[130:131], v[120:121], v[104:105] op_sel:[1,1] op_sel_hi:[0,1]
	v_pk_add_f32 v[92:93], v[112:113], v[96:97]
	v_mov_b32_e32 v96, v107
	v_pk_fma_f32 v[98:99], v[116:117], v[100:101], v[150:151] neg_lo:[0,0,1] neg_hi:[0,0,1]
	v_mov_b32_e32 v99, v129
	v_pk_fma_f32 v[100:101], v[118:119], v[102:103], v[134:135] op_sel_hi:[1,0,1]
	v_pk_add_f32 v[92:93], v[92:93], v[94:95]
	v_pk_fma_f32 v[94:95], v[120:121], v[104:105], v[130:131] op_sel_hi:[1,0,1]
	v_pk_mul_f32 v[96:97], v[138:139], v[96:97] op_sel_hi:[1,0]
	v_pk_fma_f32 v[102:103], v[118:119], v[102:103], v[134:135] neg_lo:[0,0,1] neg_hi:[0,0,1]
	v_mov_b32_e32 v103, v101
	v_pk_add_f32 v[92:93], v[92:93], v[98:99]
	v_pk_fma_f32 v[100:101], v[120:121], v[104:105], v[130:131] neg_lo:[0,0,1] neg_hi:[0,0,1]
	v_mov_b32_e32 v101, v95
	v_pk_fma_f32 v[94:95], v[122:123], v[106:107], v[96:97] op_sel_hi:[1,0,1]
	s_wait_loadcnt 0x1
	v_pk_mul_f32 v[98:99], v[124:125], v[108:109] op_sel:[1,1] op_sel_hi:[0,1]
	v_pk_add_f32 v[92:93], v[92:93], v[102:103]
	v_mov_b32_e32 v94, v111
	v_pk_fma_f32 v[96:97], v[122:123], v[106:107], v[96:97] neg_lo:[0,0,1] neg_hi:[0,0,1]
	v_mov_b32_e32 v97, v95
	v_pk_fma_f32 v[102:103], v[124:125], v[108:109], v[98:99] op_sel_hi:[1,0,1]
	v_pk_add_f32 v[92:93], v[92:93], v[100:101]
	v_pk_mul_f32 v[94:95], v[140:141], v[94:95] op_sel_hi:[1,0]
	v_pk_fma_f32 v[98:99], v[124:125], v[108:109], v[98:99] neg_lo:[0,0,1] neg_hi:[0,0,1]
	s_delay_alu instid0(VALU_DEP_3) | instskip(NEXT) | instid1(VALU_DEP_3)
	v_pk_add_f32 v[92:93], v[92:93], v[96:97]
	v_pk_fma_f32 v[96:97], v[126:127], v[110:111], v[94:95] op_sel_hi:[1,0,1]
	v_mov_b32_e32 v99, v103
	v_pk_fma_f32 v[94:95], v[126:127], v[110:111], v[94:95] neg_lo:[0,0,1] neg_hi:[0,0,1]
	s_delay_alu instid0(VALU_DEP_3) | instskip(NEXT) | instid1(VALU_DEP_3)
	v_mov_b32_e32 v95, v97
	v_pk_add_f32 v[92:93], v[92:93], v[98:99]
	s_delay_alu instid0(VALU_DEP_1) | instskip(SKIP_1) | instid1(VALU_DEP_1)
	v_pk_add_f32 v[92:93], v[92:93], v[94:95]
	s_wait_loadcnt 0x0
	v_pk_add_f32 v[92:93], v[132:133], v[92:93] neg_lo:[0,1] neg_hi:[0,1]
	scratch_store_b64 off, v[92:93], off offset:272
	s_wait_xcnt 0x0
	v_cmpx_lt_u32_e32 33, v0
	s_cbranch_execz .LBB108_217
; %bb.216:
	scratch_load_b64 v[92:93], off, off offset:264
	v_mov_b64_e32 v[94:95], 0
	scratch_store_b64 off, v[94:95], off offset:264
	s_wait_loadcnt 0x0
	ds_store_b64 v1, v[92:93]
.LBB108_217:
	s_wait_xcnt 0x0
	s_or_b32 exec_lo, exec_lo, s0
	s_wait_storecnt_dscnt 0x0
	s_barrier_signal -1
	s_barrier_wait -1
	s_clause 0x6
	scratch_load_b128 v[92:95], off, off offset:272
	scratch_load_b128 v[96:99], off, off offset:288
	;; [unrolled: 1-line block ×5, first 2 shown]
	scratch_load_b64 v[132:133], off, off offset:352
	scratch_load_b64 v[134:135], off, off offset:264
	v_mov_b32_e32 v7, 0
	ds_load_b128 v[112:115], v7 offset:656
	ds_load_b128 v[116:119], v7 offset:672
	;; [unrolled: 1-line block ×5, first 2 shown]
	ds_load_b64 v[136:137], v7 offset:720
	s_mov_b32 s0, exec_lo
	s_wait_dscnt 0x5
	v_dual_mov_b32 v138, v115 :: v_dual_mov_b32 v139, v114
	s_wait_dscnt 0x2
	v_dual_mov_b32 v140, v119 :: v_dual_mov_b32 v145, v126
	v_dual_mov_b32 v141, v118 :: v_dual_mov_b32 v142, v123
	;; [unrolled: 1-line block ×3, first 2 shown]
	s_wait_loadcnt_dscnt 0x601
	v_dual_mul_f32 v9, v128, v93 :: v_dual_mul_f32 v11, v129, v93
	v_dual_mul_f32 v13, v131, v95 :: v_dual_mul_f32 v147, v130, v95
	s_wait_loadcnt 0x5
	v_dual_mul_f32 v149, v112, v97 :: v_dual_mul_f32 v15, v113, v97
	s_wait_loadcnt 0x4
	v_dual_mov_b32 v148, v99 :: v_dual_mov_b32 v152, v103
	v_dual_fmac_f32 v9, v129, v92 :: v_dual_fma_f32 v11, v128, v92, -v11
	v_dual_fma_f32 v146, v130, v94, -v13 :: v_dual_fmac_f32 v147, v131, v94
	s_delay_alu instid0(VALU_DEP_3) | instskip(NEXT) | instid1(VALU_DEP_3)
	v_pk_mul_f32 v[92:93], v[138:139], v[148:149] op_sel_hi:[1,0]
	v_dual_add_f32 v95, 0, v9 :: v_dual_add_f32 v94, 0, v11
	s_wait_loadcnt 0x3
	v_mov_b32_e32 v128, v107
	v_pk_mul_f32 v[150:151], v[116:117], v[100:101] op_sel:[1,1] op_sel_hi:[0,1]
	v_dual_fmac_f32 v149, v113, v96 :: v_dual_fma_f32 v148, v112, v96, -v15
	v_pk_fma_f32 v[96:97], v[114:115], v[98:99], v[92:93] op_sel_hi:[1,0,1]
	v_pk_add_f32 v[94:95], v[94:95], v[146:147]
	v_pk_fma_f32 v[92:93], v[114:115], v[98:99], v[92:93] neg_lo:[0,0,1] neg_hi:[0,0,1]
	v_pk_fma_f32 v[112:113], v[116:117], v[100:101], v[150:151] op_sel_hi:[1,0,1]
	v_pk_mul_f32 v[130:131], v[140:141], v[152:153] op_sel_hi:[1,0]
	v_mov_b32_e32 v93, v97
	v_pk_add_f32 v[94:95], v[94:95], v[148:149]
	v_pk_fma_f32 v[98:99], v[116:117], v[100:101], v[150:151] neg_lo:[0,0,1] neg_hi:[0,0,1]
	v_pk_mul_f32 v[154:155], v[120:121], v[104:105] op_sel:[1,1] op_sel_hi:[0,1]
	v_mov_b32_e32 v99, v113
	v_pk_fma_f32 v[100:101], v[118:119], v[102:103], v[130:131] op_sel_hi:[1,0,1]
	v_pk_add_f32 v[92:93], v[94:95], v[92:93]
	v_pk_fma_f32 v[102:103], v[118:119], v[102:103], v[130:131] neg_lo:[0,0,1] neg_hi:[0,0,1]
	v_pk_fma_f32 v[94:95], v[120:121], v[104:105], v[154:155] op_sel_hi:[1,0,1]
	v_pk_mul_f32 v[112:113], v[142:143], v[128:129] op_sel_hi:[1,0]
	s_wait_loadcnt 0x2
	v_dual_mov_b32 v103, v101 :: v_dual_mov_b32 v94, v111
	v_pk_add_f32 v[92:93], v[92:93], v[98:99]
	v_pk_fma_f32 v[98:99], v[120:121], v[104:105], v[154:155] neg_lo:[0,0,1] neg_hi:[0,0,1]
	v_pk_mul_f32 v[96:97], v[124:125], v[108:109] op_sel:[1,1] op_sel_hi:[0,1]
	v_pk_fma_f32 v[100:101], v[122:123], v[106:107], v[112:113] op_sel_hi:[1,0,1]
	v_mov_b32_e32 v99, v95
	v_pk_add_f32 v[92:93], v[92:93], v[102:103]
	v_pk_fma_f32 v[104:105], v[122:123], v[106:107], v[112:113] neg_lo:[0,0,1] neg_hi:[0,0,1]
	v_pk_fma_f32 v[102:103], v[124:125], v[108:109], v[96:97] op_sel_hi:[1,0,1]
	v_pk_mul_f32 v[94:95], v[144:145], v[94:95] op_sel_hi:[1,0]
	v_mov_b32_e32 v105, v101
	v_pk_add_f32 v[92:93], v[92:93], v[98:99]
	v_pk_fma_f32 v[96:97], v[124:125], v[108:109], v[96:97] neg_lo:[0,0,1] neg_hi:[0,0,1]
	s_wait_loadcnt_dscnt 0x100
	v_pk_mul_f32 v[100:101], v[136:137], v[132:133] op_sel:[1,1] op_sel_hi:[0,1]
	v_pk_fma_f32 v[98:99], v[126:127], v[110:111], v[94:95] op_sel_hi:[1,0,1]
	v_mov_b32_e32 v97, v103
	v_pk_add_f32 v[92:93], v[92:93], v[104:105]
	v_pk_fma_f32 v[94:95], v[126:127], v[110:111], v[94:95] neg_lo:[0,0,1] neg_hi:[0,0,1]
	s_delay_alu instid0(VALU_DEP_4) | instskip(SKIP_1) | instid1(VALU_DEP_4)
	v_mov_b32_e32 v95, v99
	v_pk_fma_f32 v[98:99], v[136:137], v[132:133], v[100:101] neg_lo:[0,0,1] neg_hi:[0,0,1]
	v_pk_add_f32 v[92:93], v[92:93], v[96:97]
	v_pk_fma_f32 v[96:97], v[136:137], v[132:133], v[100:101] op_sel_hi:[1,0,1]
	s_delay_alu instid0(VALU_DEP_2) | instskip(NEXT) | instid1(VALU_DEP_2)
	v_pk_add_f32 v[92:93], v[92:93], v[94:95]
	v_mov_b32_e32 v99, v97
	s_delay_alu instid0(VALU_DEP_1) | instskip(SKIP_1) | instid1(VALU_DEP_1)
	v_pk_add_f32 v[92:93], v[92:93], v[98:99]
	s_wait_loadcnt 0x0
	v_pk_add_f32 v[92:93], v[134:135], v[92:93] neg_lo:[0,1] neg_hi:[0,1]
	scratch_store_b64 off, v[92:93], off offset:264
	s_wait_xcnt 0x0
	v_cmpx_lt_u32_e32 32, v0
	s_cbranch_execz .LBB108_219
; %bb.218:
	scratch_load_b64 v[92:93], off, off offset:256
	v_mov_b64_e32 v[94:95], 0
	scratch_store_b64 off, v[94:95], off offset:256
	s_wait_loadcnt 0x0
	ds_store_b64 v1, v[92:93]
.LBB108_219:
	s_wait_xcnt 0x0
	s_or_b32 exec_lo, exec_lo, s0
	s_wait_storecnt_dscnt 0x0
	s_barrier_signal -1
	s_barrier_wait -1
	s_clause 0x6
	scratch_load_b128 v[92:95], off, off offset:264
	scratch_load_b128 v[96:99], off, off offset:280
	;; [unrolled: 1-line block ×6, first 2 shown]
	scratch_load_b64 v[140:141], off, off offset:256
	ds_load_2addr_b64 v[116:119], v7 offset0:83 offset1:84
	ds_load_2addr_b64 v[120:123], v7 offset0:85 offset1:86
	;; [unrolled: 1-line block ×6, first 2 shown]
	s_mov_b32 s0, exec_lo
	s_wait_dscnt 0x5
	v_dual_mov_b32 v142, v119 :: v_dual_mov_b32 v143, v118
	s_wait_dscnt 0x4
	v_dual_mov_b32 v144, v123 :: v_dual_mov_b32 v145, v122
	;; [unrolled: 2-line block ×4, first 2 shown]
	s_wait_loadcnt_dscnt 0x601
	v_dual_mul_f32 v7, v132, v93 :: v_dual_mul_f32 v9, v134, v95
	v_dual_mul_f32 v11, v133, v93 :: v_dual_mul_f32 v13, v135, v95
	s_wait_loadcnt 0x4
	s_delay_alu instid0(VALU_DEP_2)
	v_dual_mov_b32 v156, v103 :: v_dual_fmac_f32 v7, v133, v92
	s_wait_dscnt 0x0
	v_dual_mul_f32 v151, v136, v97 :: v_dual_mul_f32 v153, v138, v99
	v_dual_fma_f32 v11, v132, v92, -v11 :: v_dual_fmac_f32 v9, v135, v94
	v_dual_mul_f32 v15, v137, v97 :: v_dual_mul_f32 v17, v139, v99
	v_dual_fma_f32 v13, v134, v94, -v13 :: v_dual_add_f32 v7, 0, v7
	s_wait_loadcnt 0x3
	s_delay_alu instid0(VALU_DEP_3) | instskip(SKIP_3) | instid1(VALU_DEP_4)
	v_dual_add_f32 v11, 0, v11 :: v_dual_mov_b32 v94, v107
	v_pk_mul_f32 v[154:155], v[116:117], v[100:101] op_sel:[1,1] op_sel_hi:[0,1]
	v_pk_mul_f32 v[92:93], v[120:121], v[104:105] op_sel:[1,1] op_sel_hi:[0,1]
	v_dual_fmac_f32 v151, v137, v96 :: v_dual_add_f32 v97, v7, v9
	v_dual_fma_f32 v150, v136, v96, -v15 :: v_dual_add_f32 v96, v11, v13
	v_fmac_f32_e32 v153, v139, v98
	v_fma_f32 v152, v138, v98, -v17
	v_pk_fma_f32 v[98:99], v[116:117], v[100:101], v[154:155] op_sel_hi:[1,0,1]
	v_pk_mul_f32 v[132:133], v[142:143], v[156:157] op_sel_hi:[1,0]
	v_pk_add_f32 v[96:97], v[96:97], v[150:151]
	v_pk_fma_f32 v[100:101], v[116:117], v[100:101], v[154:155] neg_lo:[0,0,1] neg_hi:[0,0,1]
	v_pk_fma_f32 v[116:117], v[120:121], v[104:105], v[92:93] op_sel_hi:[1,0,1]
	v_pk_fma_f32 v[92:93], v[120:121], v[104:105], v[92:93] neg_lo:[0,0,1] neg_hi:[0,0,1]
	v_mov_b32_e32 v101, v99
	v_pk_fma_f32 v[98:99], v[118:119], v[102:103], v[132:133] op_sel_hi:[1,0,1]
	v_pk_fma_f32 v[102:103], v[118:119], v[102:103], v[132:133] neg_lo:[0,0,1] neg_hi:[0,0,1]
	v_mov_b32_e32 v93, v117
	v_pk_add_f32 v[96:97], v[96:97], v[152:153]
	v_pk_mul_f32 v[94:95], v[144:145], v[94:95] op_sel_hi:[1,0]
	s_wait_loadcnt 0x2
	v_dual_mov_b32 v103, v99 :: v_dual_mov_b32 v98, v111
	v_pk_mul_f32 v[134:135], v[124:125], v[108:109] op_sel:[1,1] op_sel_hi:[0,1]
	v_pk_add_f32 v[96:97], v[96:97], v[100:101]
	v_pk_fma_f32 v[100:101], v[122:123], v[106:107], v[94:95] op_sel_hi:[1,0,1]
	v_pk_fma_f32 v[94:95], v[122:123], v[106:107], v[94:95] neg_lo:[0,0,1] neg_hi:[0,0,1]
	v_pk_mul_f32 v[98:99], v[146:147], v[98:99] op_sel_hi:[1,0]
	s_delay_alu instid0(VALU_DEP_4) | instskip(SKIP_3) | instid1(VALU_DEP_4)
	v_pk_add_f32 v[96:97], v[96:97], v[102:103]
	v_pk_fma_f32 v[102:103], v[124:125], v[108:109], v[134:135] op_sel_hi:[1,0,1]
	v_mov_b32_e32 v95, v101
	v_pk_fma_f32 v[100:101], v[124:125], v[108:109], v[134:135] neg_lo:[0,0,1] neg_hi:[0,0,1]
	v_pk_add_f32 v[92:93], v[96:97], v[92:93]
	s_wait_loadcnt 0x1
	v_pk_mul_f32 v[96:97], v[128:129], v[112:113] op_sel:[1,1] op_sel_hi:[0,1]
	v_mov_b32_e32 v101, v103
	v_pk_fma_f32 v[102:103], v[126:127], v[110:111], v[98:99] op_sel_hi:[1,0,1]
	v_pk_fma_f32 v[98:99], v[126:127], v[110:111], v[98:99] neg_lo:[0,0,1] neg_hi:[0,0,1]
	v_pk_add_f32 v[92:93], v[92:93], v[94:95]
	v_mov_b32_e32 v94, v115
	v_pk_fma_f32 v[104:105], v[128:129], v[112:113], v[96:97] op_sel_hi:[1,0,1]
	v_mov_b32_e32 v99, v103
	v_pk_fma_f32 v[96:97], v[128:129], v[112:113], v[96:97] neg_lo:[0,0,1] neg_hi:[0,0,1]
	v_pk_add_f32 v[92:93], v[92:93], v[100:101]
	v_pk_mul_f32 v[94:95], v[148:149], v[94:95] op_sel_hi:[1,0]
	s_delay_alu instid0(VALU_DEP_2) | instskip(NEXT) | instid1(VALU_DEP_2)
	v_pk_add_f32 v[92:93], v[92:93], v[98:99]
	v_pk_fma_f32 v[98:99], v[130:131], v[114:115], v[94:95] op_sel_hi:[1,0,1]
	v_mov_b32_e32 v97, v105
	v_pk_fma_f32 v[94:95], v[130:131], v[114:115], v[94:95] neg_lo:[0,0,1] neg_hi:[0,0,1]
	s_delay_alu instid0(VALU_DEP_3) | instskip(NEXT) | instid1(VALU_DEP_3)
	v_mov_b32_e32 v95, v99
	v_pk_add_f32 v[92:93], v[92:93], v[96:97]
	s_delay_alu instid0(VALU_DEP_1) | instskip(SKIP_1) | instid1(VALU_DEP_1)
	v_pk_add_f32 v[92:93], v[92:93], v[94:95]
	s_wait_loadcnt 0x0
	v_pk_add_f32 v[92:93], v[140:141], v[92:93] neg_lo:[0,1] neg_hi:[0,1]
	scratch_store_b64 off, v[92:93], off offset:256
	s_wait_xcnt 0x0
	v_cmpx_lt_u32_e32 31, v0
	s_cbranch_execz .LBB108_221
; %bb.220:
	scratch_load_b64 v[92:93], off, off offset:248
	v_mov_b64_e32 v[94:95], 0
	scratch_store_b64 off, v[94:95], off offset:248
	s_wait_loadcnt 0x0
	ds_store_b64 v1, v[92:93]
.LBB108_221:
	s_wait_xcnt 0x0
	s_or_b32 exec_lo, exec_lo, s0
	s_wait_storecnt_dscnt 0x0
	s_barrier_signal -1
	s_barrier_wait -1
	s_clause 0x7
	scratch_load_b128 v[92:95], off, off offset:256
	scratch_load_b128 v[96:99], off, off offset:272
	;; [unrolled: 1-line block ×6, first 2 shown]
	scratch_load_b64 v[140:141], off, off offset:352
	scratch_load_b64 v[142:143], off, off offset:248
	v_mov_b32_e32 v7, 0
	ds_load_b128 v[116:119], v7 offset:656
	ds_load_b128 v[120:123], v7 offset:672
	;; [unrolled: 1-line block ×6, first 2 shown]
	ds_load_b64 v[144:145], v7 offset:720
	s_mov_b32 s0, exec_lo
	s_wait_dscnt 0x6
	v_dual_mov_b32 v146, v119 :: v_dual_mov_b32 v147, v118
	s_wait_dscnt 0x3
	v_dual_mov_b32 v148, v123 :: v_dual_mov_b32 v153, v130
	v_dual_mov_b32 v149, v122 :: v_dual_mov_b32 v150, v127
	;; [unrolled: 1-line block ×3, first 2 shown]
	s_wait_loadcnt_dscnt 0x702
	v_dual_mul_f32 v9, v132, v93 :: v_dual_mul_f32 v15, v133, v93
	v_dual_mul_f32 v17, v135, v95 :: v_dual_mul_f32 v11, v134, v95
	s_wait_loadcnt_dscnt 0x601
	s_delay_alu instid0(VALU_DEP_2) | instskip(NEXT) | instid1(VALU_DEP_3)
	v_dual_mul_f32 v13, v136, v97 :: v_dual_fmac_f32 v9, v133, v92
	v_dual_fma_f32 v15, v132, v92, -v15 :: v_dual_mul_f32 v19, v137, v97
	v_mul_f32_e32 v21, v139, v99
	s_wait_loadcnt 0x4
	v_dual_mov_b32 v92, v107 :: v_dual_fma_f32 v17, v134, v94, -v17
	v_dual_fmac_f32 v11, v135, v94 :: v_dual_add_f32 v9, 0, v9
	v_dual_add_f32 v15, 0, v15 :: v_dual_fmac_f32 v13, v137, v96
	v_dual_mul_f32 v155, v138, v99 :: v_dual_mul_f32 v157, v116, v101
	v_dual_mul_f32 v23, v117, v101 :: v_dual_mov_b32 v156, v103
	s_delay_alu instid0(VALU_DEP_4) | instskip(NEXT) | instid1(VALU_DEP_4)
	v_dual_fma_f32 v19, v136, v96, -v19 :: v_dual_add_f32 v9, v9, v11
	v_dual_add_f32 v11, v15, v17 :: v_dual_fma_f32 v154, v138, v98, -v21
	s_delay_alu instid0(VALU_DEP_4) | instskip(NEXT) | instid1(VALU_DEP_4)
	v_fmac_f32_e32 v155, v139, v98
	v_pk_mul_f32 v[96:97], v[146:147], v[156:157] op_sel_hi:[1,0]
	s_delay_alu instid0(VALU_DEP_3)
	v_dual_add_f32 v99, v9, v13 :: v_dual_add_f32 v98, v11, v19
	v_fmac_f32_e32 v157, v117, v100
	v_pk_mul_f32 v[158:159], v[120:121], v[104:105] op_sel:[1,1] op_sel_hi:[0,1]
	s_wait_loadcnt 0x3
	v_dual_mov_b32 v132, v111 :: v_dual_fma_f32 v156, v116, v100, -v23
	v_pk_fma_f32 v[100:101], v[118:119], v[102:103], v[96:97] op_sel_hi:[1,0,1]
	v_pk_add_f32 v[98:99], v[98:99], v[154:155]
	v_pk_fma_f32 v[96:97], v[118:119], v[102:103], v[96:97] neg_lo:[0,0,1] neg_hi:[0,0,1]
	v_pk_fma_f32 v[116:117], v[120:121], v[104:105], v[158:159] op_sel_hi:[1,0,1]
	v_pk_mul_f32 v[92:93], v[148:149], v[92:93] op_sel_hi:[1,0]
	v_mov_b32_e32 v97, v101
	v_pk_add_f32 v[98:99], v[98:99], v[156:157]
	v_pk_fma_f32 v[102:103], v[120:121], v[104:105], v[158:159] neg_lo:[0,0,1] neg_hi:[0,0,1]
	v_pk_mul_f32 v[94:95], v[124:125], v[108:109] op_sel:[1,1] op_sel_hi:[0,1]
	v_mov_b32_e32 v103, v117
	v_pk_fma_f32 v[104:105], v[122:123], v[106:107], v[92:93] op_sel_hi:[1,0,1]
	v_pk_add_f32 v[96:97], v[98:99], v[96:97]
	v_pk_fma_f32 v[92:93], v[122:123], v[106:107], v[92:93] neg_lo:[0,0,1] neg_hi:[0,0,1]
	v_pk_fma_f32 v[98:99], v[124:125], v[108:109], v[94:95] op_sel_hi:[1,0,1]
	v_pk_mul_f32 v[116:117], v[150:151], v[132:133] op_sel_hi:[1,0]
	s_wait_loadcnt 0x2
	v_dual_mov_b32 v93, v105 :: v_dual_mov_b32 v98, v115
	v_pk_add_f32 v[96:97], v[96:97], v[102:103]
	v_pk_fma_f32 v[94:95], v[124:125], v[108:109], v[94:95] neg_lo:[0,0,1] neg_hi:[0,0,1]
	v_pk_mul_f32 v[100:101], v[128:129], v[112:113] op_sel:[1,1] op_sel_hi:[0,1]
	v_pk_fma_f32 v[102:103], v[126:127], v[110:111], v[116:117] op_sel_hi:[1,0,1]
	v_mov_b32_e32 v95, v99
	v_pk_add_f32 v[92:93], v[96:97], v[92:93]
	v_pk_fma_f32 v[104:105], v[126:127], v[110:111], v[116:117] neg_lo:[0,0,1] neg_hi:[0,0,1]
	v_pk_fma_f32 v[96:97], v[128:129], v[112:113], v[100:101] op_sel_hi:[1,0,1]
	v_pk_mul_f32 v[98:99], v[152:153], v[98:99] op_sel_hi:[1,0]
	v_mov_b32_e32 v105, v103
	v_pk_add_f32 v[92:93], v[92:93], v[94:95]
	v_pk_fma_f32 v[94:95], v[128:129], v[112:113], v[100:101] neg_lo:[0,0,1] neg_hi:[0,0,1]
	v_mov_b32_e32 v95, v97
	v_pk_fma_f32 v[96:97], v[130:131], v[114:115], v[98:99] op_sel_hi:[1,0,1]
	s_wait_loadcnt_dscnt 0x100
	v_pk_mul_f32 v[100:101], v[144:145], v[140:141] op_sel:[1,1] op_sel_hi:[0,1]
	v_pk_add_f32 v[92:93], v[92:93], v[104:105]
	v_pk_fma_f32 v[98:99], v[130:131], v[114:115], v[98:99] neg_lo:[0,0,1] neg_hi:[0,0,1]
	v_mov_b32_e32 v99, v97
	s_delay_alu instid0(VALU_DEP_4) | instskip(NEXT) | instid1(VALU_DEP_4)
	v_pk_fma_f32 v[96:97], v[144:145], v[140:141], v[100:101] neg_lo:[0,0,1] neg_hi:[0,0,1]
	v_pk_add_f32 v[92:93], v[92:93], v[94:95]
	v_pk_fma_f32 v[94:95], v[144:145], v[140:141], v[100:101] op_sel_hi:[1,0,1]
	s_delay_alu instid0(VALU_DEP_2) | instskip(NEXT) | instid1(VALU_DEP_2)
	v_pk_add_f32 v[92:93], v[92:93], v[98:99]
	v_mov_b32_e32 v97, v95
	s_delay_alu instid0(VALU_DEP_1) | instskip(SKIP_1) | instid1(VALU_DEP_1)
	v_pk_add_f32 v[92:93], v[92:93], v[96:97]
	s_wait_loadcnt 0x0
	v_pk_add_f32 v[92:93], v[142:143], v[92:93] neg_lo:[0,1] neg_hi:[0,1]
	scratch_store_b64 off, v[92:93], off offset:248
	s_wait_xcnt 0x0
	v_cmpx_lt_u32_e32 30, v0
	s_cbranch_execz .LBB108_223
; %bb.222:
	scratch_load_b64 v[92:93], off, off offset:240
	v_mov_b64_e32 v[94:95], 0
	scratch_store_b64 off, v[94:95], off offset:240
	s_wait_loadcnt 0x0
	ds_store_b64 v1, v[92:93]
.LBB108_223:
	s_wait_xcnt 0x0
	s_or_b32 exec_lo, exec_lo, s0
	s_wait_storecnt_dscnt 0x0
	s_barrier_signal -1
	s_barrier_wait -1
	s_clause 0x7
	scratch_load_b128 v[92:95], off, off offset:248
	scratch_load_b128 v[96:99], off, off offset:264
	scratch_load_b128 v[100:103], off, off offset:280
	scratch_load_b128 v[104:107], off, off offset:296
	scratch_load_b128 v[108:111], off, off offset:312
	scratch_load_b128 v[112:115], off, off offset:328
	scratch_load_b128 v[116:119], off, off offset:344
	scratch_load_b64 v[148:149], off, off offset:240
	ds_load_2addr_b64 v[120:123], v7 offset0:83 offset1:84
	ds_load_2addr_b64 v[124:127], v7 offset0:85 offset1:86
	;; [unrolled: 1-line block ×7, first 2 shown]
	s_mov_b32 s0, exec_lo
	s_wait_dscnt 0x6
	v_dual_mov_b32 v150, v123 :: v_dual_mov_b32 v151, v122
	s_wait_dscnt 0x5
	v_dual_mov_b32 v152, v127 :: v_dual_mov_b32 v153, v126
	;; [unrolled: 2-line block ×4, first 2 shown]
	s_wait_loadcnt_dscnt 0x702
	v_dual_mul_f32 v7, v136, v93 :: v_dual_mul_f32 v9, v138, v95
	v_dual_mul_f32 v15, v137, v93 :: v_dual_mul_f32 v17, v139, v95
	s_wait_loadcnt_dscnt 0x601
	v_dual_mul_f32 v11, v140, v97 :: v_dual_mul_f32 v13, v142, v99
	s_delay_alu instid0(VALU_DEP_3) | instskip(NEXT) | instid1(VALU_DEP_3)
	v_dual_fmac_f32 v7, v137, v92 :: v_dual_fmac_f32 v9, v139, v94
	v_dual_fma_f32 v15, v136, v92, -v15 :: v_dual_fma_f32 v17, v138, v94, -v17
	v_dual_mul_f32 v19, v141, v97 :: v_dual_mul_f32 v21, v143, v99
	s_wait_loadcnt 0x4
	s_delay_alu instid0(VALU_DEP_3) | instskip(NEXT) | instid1(VALU_DEP_3)
	v_dual_add_f32 v7, 0, v7 :: v_dual_mov_b32 v94, v107
	v_dual_add_f32 v15, 0, v15 :: v_dual_fmac_f32 v11, v141, v96
	s_delay_alu instid0(VALU_DEP_2) | instskip(SKIP_2) | instid1(VALU_DEP_3)
	v_dual_fma_f32 v19, v140, v96, -v19 :: v_dual_add_f32 v7, v7, v9
	s_wait_dscnt 0x0
	v_dual_mul_f32 v159, v144, v101 :: v_dual_mul_f32 v161, v146, v103
	v_dual_add_f32 v9, v15, v17 :: v_dual_fma_f32 v15, v142, v98, -v21
	v_dual_mul_f32 v23, v145, v101 :: v_dual_mul_f32 v25, v147, v103
	s_delay_alu instid0(VALU_DEP_2) | instskip(NEXT) | instid1(VALU_DEP_4)
	v_dual_fmac_f32 v13, v143, v98 :: v_dual_add_f32 v9, v9, v19
	v_dual_add_f32 v7, v7, v11 :: v_dual_fmac_f32 v159, v145, v100
	v_pk_mul_f32 v[92:93], v[120:121], v[104:105] op_sel:[1,1] op_sel_hi:[0,1]
	s_wait_loadcnt 0x3
	v_pk_mul_f32 v[96:97], v[124:125], v[108:109] op_sel:[1,1] op_sel_hi:[0,1]
	v_dual_mov_b32 v98, v111 :: v_dual_fma_f32 v158, v144, v100, -v23
	v_dual_add_f32 v101, v7, v13 :: v_dual_add_f32 v100, v9, v15
	v_fmac_f32_e32 v161, v147, v102
	v_fma_f32 v160, v146, v102, -v25
	v_pk_fma_f32 v[102:103], v[120:121], v[104:105], v[92:93] op_sel_hi:[1,0,1]
	v_pk_mul_f32 v[94:95], v[150:151], v[94:95] op_sel_hi:[1,0]
	v_pk_add_f32 v[100:101], v[100:101], v[158:159]
	v_pk_fma_f32 v[92:93], v[120:121], v[104:105], v[92:93] neg_lo:[0,0,1] neg_hi:[0,0,1]
	v_pk_fma_f32 v[104:105], v[124:125], v[108:109], v[96:97] op_sel_hi:[1,0,1]
	v_pk_fma_f32 v[96:97], v[124:125], v[108:109], v[96:97] neg_lo:[0,0,1] neg_hi:[0,0,1]
	v_mov_b32_e32 v93, v103
	v_pk_fma_f32 v[102:103], v[122:123], v[106:107], v[94:95] op_sel_hi:[1,0,1]
	v_pk_fma_f32 v[94:95], v[122:123], v[106:107], v[94:95] neg_lo:[0,0,1] neg_hi:[0,0,1]
	v_mov_b32_e32 v97, v105
	v_pk_add_f32 v[100:101], v[100:101], v[160:161]
	v_pk_mul_f32 v[98:99], v[152:153], v[98:99] op_sel_hi:[1,0]
	v_mov_b32_e32 v95, v103
	s_wait_loadcnt 0x2
	v_pk_mul_f32 v[136:137], v[128:129], v[112:113] op_sel:[1,1] op_sel_hi:[0,1]
	v_pk_add_f32 v[92:93], v[100:101], v[92:93]
	v_mov_b32_e32 v100, v115
	v_pk_fma_f32 v[102:103], v[126:127], v[110:111], v[98:99] op_sel_hi:[1,0,1]
	v_pk_fma_f32 v[98:99], v[126:127], v[110:111], v[98:99] neg_lo:[0,0,1] neg_hi:[0,0,1]
	s_delay_alu instid0(VALU_DEP_4)
	v_pk_add_f32 v[92:93], v[92:93], v[94:95]
	v_pk_fma_f32 v[94:95], v[128:129], v[112:113], v[136:137] op_sel_hi:[1,0,1]
	v_pk_mul_f32 v[100:101], v[154:155], v[100:101] op_sel_hi:[1,0]
	v_mov_b32_e32 v99, v103
	v_pk_fma_f32 v[102:103], v[128:129], v[112:113], v[136:137] neg_lo:[0,0,1] neg_hi:[0,0,1]
	v_pk_add_f32 v[92:93], v[92:93], v[96:97]
	v_mov_b32_e32 v103, v95
	v_pk_fma_f32 v[94:95], v[130:131], v[114:115], v[100:101] op_sel_hi:[1,0,1]
	s_wait_loadcnt 0x1
	v_pk_mul_f32 v[96:97], v[132:133], v[116:117] op_sel:[1,1] op_sel_hi:[0,1]
	v_mov_b32_e32 v94, v119
	v_pk_add_f32 v[92:93], v[92:93], v[98:99]
	v_pk_fma_f32 v[100:101], v[130:131], v[114:115], v[100:101] neg_lo:[0,0,1] neg_hi:[0,0,1]
	v_mov_b32_e32 v101, v95
	v_pk_fma_f32 v[98:99], v[132:133], v[116:117], v[96:97] op_sel_hi:[1,0,1]
	v_pk_mul_f32 v[94:95], v[156:157], v[94:95] op_sel_hi:[1,0]
	v_pk_add_f32 v[92:93], v[92:93], v[102:103]
	v_pk_fma_f32 v[96:97], v[132:133], v[116:117], v[96:97] neg_lo:[0,0,1] neg_hi:[0,0,1]
	s_delay_alu instid0(VALU_DEP_4) | instskip(NEXT) | instid1(VALU_DEP_4)
	v_mov_b32_e32 v97, v99
	v_pk_fma_f32 v[98:99], v[134:135], v[118:119], v[94:95] op_sel_hi:[1,0,1]
	s_delay_alu instid0(VALU_DEP_4) | instskip(SKIP_1) | instid1(VALU_DEP_3)
	v_pk_add_f32 v[92:93], v[92:93], v[100:101]
	v_pk_fma_f32 v[94:95], v[134:135], v[118:119], v[94:95] neg_lo:[0,0,1] neg_hi:[0,0,1]
	v_mov_b32_e32 v95, v99
	s_delay_alu instid0(VALU_DEP_3) | instskip(NEXT) | instid1(VALU_DEP_1)
	v_pk_add_f32 v[92:93], v[92:93], v[96:97]
	v_pk_add_f32 v[92:93], v[92:93], v[94:95]
	s_wait_loadcnt 0x0
	s_delay_alu instid0(VALU_DEP_1)
	v_pk_add_f32 v[92:93], v[148:149], v[92:93] neg_lo:[0,1] neg_hi:[0,1]
	scratch_store_b64 off, v[92:93], off offset:240
	s_wait_xcnt 0x0
	v_cmpx_lt_u32_e32 29, v0
	s_cbranch_execz .LBB108_225
; %bb.224:
	scratch_load_b64 v[92:93], off, off offset:232
	v_mov_b64_e32 v[94:95], 0
	scratch_store_b64 off, v[94:95], off offset:232
	s_wait_loadcnt 0x0
	ds_store_b64 v1, v[92:93]
.LBB108_225:
	s_wait_xcnt 0x0
	s_or_b32 exec_lo, exec_lo, s0
	s_wait_storecnt_dscnt 0x0
	s_barrier_signal -1
	s_barrier_wait -1
	s_clause 0x8
	scratch_load_b128 v[92:95], off, off offset:240
	scratch_load_b128 v[96:99], off, off offset:256
	;; [unrolled: 1-line block ×7, first 2 shown]
	scratch_load_b64 v[148:149], off, off offset:352
	scratch_load_b64 v[150:151], off, off offset:232
	v_mov_b32_e32 v7, 0
	ds_load_b128 v[120:123], v7 offset:656
	ds_load_b128 v[124:127], v7 offset:672
	ds_load_b128 v[128:131], v7 offset:688
	ds_load_b128 v[132:135], v7 offset:704
	ds_load_b128 v[136:139], v7 offset:608
	ds_load_b128 v[140:143], v7 offset:624
	ds_load_b128 v[144:147], v7 offset:640
	ds_load_b64 v[152:153], v7 offset:720
	s_mov_b32 s0, exec_lo
	s_wait_dscnt 0x7
	v_dual_mov_b32 v154, v123 :: v_dual_mov_b32 v155, v122
	s_wait_dscnt 0x4
	v_dual_mov_b32 v156, v127 :: v_dual_mov_b32 v161, v134
	v_dual_mov_b32 v157, v126 :: v_dual_mov_b32 v158, v131
	;; [unrolled: 1-line block ×3, first 2 shown]
	s_wait_loadcnt_dscnt 0x803
	v_dual_mul_f32 v9, v136, v93 :: v_dual_mul_f32 v19, v137, v93
	v_dual_mul_f32 v21, v139, v95 :: v_dual_mul_f32 v11, v138, v95
	s_wait_loadcnt_dscnt 0x702
	v_mul_f32_e32 v13, v140, v97
	s_wait_loadcnt 0x5
	v_dual_mul_f32 v31, v121, v105 :: v_dual_fma_f32 v19, v136, v92, -v19
	v_dual_fmac_f32 v9, v137, v92 :: v_dual_mov_b32 v92, v107
	v_dual_mul_f32 v23, v141, v97 :: v_dual_mul_f32 v25, v143, v99
	v_dual_fmac_f32 v11, v139, v94 :: v_dual_fma_f32 v21, v138, v94, -v21
	s_delay_alu instid0(VALU_DEP_3) | instskip(SKIP_3) | instid1(VALU_DEP_3)
	v_dual_add_f32 v9, 0, v9 :: v_dual_add_f32 v19, 0, v19
	s_wait_dscnt 0x1
	v_dual_mul_f32 v15, v142, v99 :: v_dual_mul_f32 v17, v144, v101
	v_dual_fmac_f32 v13, v141, v96 :: v_dual_fma_f32 v23, v140, v96, -v23
	v_dual_add_f32 v9, v9, v11 :: v_dual_add_f32 v11, v19, v21
	v_dual_mul_f32 v27, v145, v101 :: v_dual_mul_f32 v29, v147, v103
	s_wait_loadcnt 0x4
	v_dual_mov_b32 v96, v111 :: v_dual_fma_f32 v19, v142, v98, -v25
	s_delay_alu instid0(VALU_DEP_3) | instskip(SKIP_2) | instid1(VALU_DEP_3)
	v_dual_fmac_f32 v15, v143, v98 :: v_dual_add_f32 v9, v9, v13
	v_dual_add_f32 v11, v11, v23 :: v_dual_fmac_f32 v17, v145, v100
	v_dual_mul_f32 v163, v146, v103 :: v_dual_mul_f32 v165, v120, v105
	v_dual_fma_f32 v13, v144, v100, -v27 :: v_dual_add_f32 v9, v9, v15
	s_delay_alu instid0(VALU_DEP_3) | instskip(NEXT) | instid1(VALU_DEP_3)
	v_dual_add_f32 v11, v11, v19 :: v_dual_fma_f32 v162, v146, v102, -v29
	v_fmac_f32_e32 v163, v147, v102
	v_pk_mul_f32 v[92:93], v[154:155], v[92:93] op_sel_hi:[1,0]
	s_delay_alu instid0(VALU_DEP_4) | instskip(NEXT) | instid1(VALU_DEP_4)
	v_add_f32_e32 v101, v9, v17
	v_dual_add_f32 v100, v11, v13 :: v_dual_fmac_f32 v165, v121, v104
	v_pk_mul_f32 v[94:95], v[124:125], v[108:109] op_sel:[1,1] op_sel_hi:[0,1]
	s_wait_loadcnt 0x3
	v_dual_mov_b32 v102, v115 :: v_dual_fma_f32 v164, v120, v104, -v31
	v_pk_fma_f32 v[104:105], v[122:123], v[106:107], v[92:93] op_sel_hi:[1,0,1]
	v_pk_add_f32 v[100:101], v[100:101], v[162:163]
	v_pk_fma_f32 v[92:93], v[122:123], v[106:107], v[92:93] neg_lo:[0,0,1] neg_hi:[0,0,1]
	v_pk_fma_f32 v[120:121], v[124:125], v[108:109], v[94:95] op_sel_hi:[1,0,1]
	v_pk_mul_f32 v[96:97], v[156:157], v[96:97] op_sel_hi:[1,0]
	v_mov_b32_e32 v93, v105
	v_pk_add_f32 v[100:101], v[100:101], v[164:165]
	v_pk_fma_f32 v[94:95], v[124:125], v[108:109], v[94:95] neg_lo:[0,0,1] neg_hi:[0,0,1]
	v_pk_mul_f32 v[98:99], v[128:129], v[112:113] op_sel:[1,1] op_sel_hi:[0,1]
	v_mov_b32_e32 v95, v121
	v_pk_fma_f32 v[106:107], v[126:127], v[110:111], v[96:97] op_sel_hi:[1,0,1]
	v_pk_add_f32 v[92:93], v[100:101], v[92:93]
	v_pk_fma_f32 v[96:97], v[126:127], v[110:111], v[96:97] neg_lo:[0,0,1] neg_hi:[0,0,1]
	v_pk_fma_f32 v[100:101], v[128:129], v[112:113], v[98:99] op_sel_hi:[1,0,1]
	v_pk_mul_f32 v[102:103], v[158:159], v[102:103] op_sel_hi:[1,0]
	v_mov_b32_e32 v97, v107
	v_pk_add_f32 v[92:93], v[92:93], v[94:95]
	v_pk_fma_f32 v[98:99], v[128:129], v[112:113], v[98:99] neg_lo:[0,0,1] neg_hi:[0,0,1]
	s_wait_loadcnt 0x2
	v_pk_mul_f32 v[104:105], v[132:133], v[116:117] op_sel:[1,1] op_sel_hi:[0,1]
	v_dual_mov_b32 v94, v119 :: v_dual_mov_b32 v99, v101
	v_pk_fma_f32 v[100:101], v[130:131], v[114:115], v[102:103] op_sel_hi:[1,0,1]
	v_pk_add_f32 v[92:93], v[92:93], v[96:97]
	v_pk_fma_f32 v[102:103], v[130:131], v[114:115], v[102:103] neg_lo:[0,0,1] neg_hi:[0,0,1]
	v_pk_fma_f32 v[96:97], v[132:133], v[116:117], v[104:105] op_sel_hi:[1,0,1]
	v_pk_mul_f32 v[94:95], v[160:161], v[94:95] op_sel_hi:[1,0]
	v_mov_b32_e32 v103, v101
	v_pk_add_f32 v[92:93], v[92:93], v[98:99]
	v_pk_fma_f32 v[98:99], v[132:133], v[116:117], v[104:105] neg_lo:[0,0,1] neg_hi:[0,0,1]
	v_mov_b32_e32 v99, v97
	v_pk_fma_f32 v[96:97], v[134:135], v[118:119], v[94:95] op_sel_hi:[1,0,1]
	s_wait_loadcnt_dscnt 0x100
	v_pk_mul_f32 v[100:101], v[152:153], v[148:149] op_sel:[1,1] op_sel_hi:[0,1]
	v_pk_add_f32 v[92:93], v[92:93], v[102:103]
	v_pk_fma_f32 v[94:95], v[134:135], v[118:119], v[94:95] neg_lo:[0,0,1] neg_hi:[0,0,1]
	v_mov_b32_e32 v95, v97
	s_delay_alu instid0(VALU_DEP_4) | instskip(NEXT) | instid1(VALU_DEP_4)
	v_pk_fma_f32 v[96:97], v[152:153], v[148:149], v[100:101] op_sel_hi:[1,0,1]
	v_pk_add_f32 v[92:93], v[92:93], v[98:99]
	v_pk_fma_f32 v[98:99], v[152:153], v[148:149], v[100:101] neg_lo:[0,0,1] neg_hi:[0,0,1]
	s_delay_alu instid0(VALU_DEP_3) | instskip(NEXT) | instid1(VALU_DEP_3)
	v_mov_b32_e32 v99, v97
	v_pk_add_f32 v[92:93], v[92:93], v[94:95]
	s_delay_alu instid0(VALU_DEP_1) | instskip(SKIP_1) | instid1(VALU_DEP_1)
	v_pk_add_f32 v[92:93], v[92:93], v[98:99]
	s_wait_loadcnt 0x0
	v_pk_add_f32 v[92:93], v[150:151], v[92:93] neg_lo:[0,1] neg_hi:[0,1]
	scratch_store_b64 off, v[92:93], off offset:232
	s_wait_xcnt 0x0
	v_cmpx_lt_u32_e32 28, v0
	s_cbranch_execz .LBB108_227
; %bb.226:
	scratch_load_b64 v[92:93], off, off offset:224
	v_mov_b64_e32 v[94:95], 0
	scratch_store_b64 off, v[94:95], off offset:224
	s_wait_loadcnt 0x0
	ds_store_b64 v1, v[92:93]
.LBB108_227:
	s_wait_xcnt 0x0
	s_or_b32 exec_lo, exec_lo, s0
	s_wait_storecnt_dscnt 0x0
	s_barrier_signal -1
	s_barrier_wait -1
	s_clause 0x8
	scratch_load_b128 v[92:95], off, off offset:232
	scratch_load_b128 v[96:99], off, off offset:248
	;; [unrolled: 1-line block ×8, first 2 shown]
	scratch_load_b64 v[156:157], off, off offset:224
	ds_load_2addr_b64 v[124:127], v7 offset0:83 offset1:84
	ds_load_2addr_b64 v[128:131], v7 offset0:85 offset1:86
	;; [unrolled: 1-line block ×8, first 2 shown]
	s_mov_b32 s0, exec_lo
	s_wait_dscnt 0x7
	v_dual_mov_b32 v158, v127 :: v_dual_mov_b32 v159, v126
	s_wait_dscnt 0x6
	v_dual_mov_b32 v160, v131 :: v_dual_mov_b32 v161, v130
	;; [unrolled: 2-line block ×4, first 2 shown]
	s_wait_loadcnt_dscnt 0x803
	v_dual_mul_f32 v7, v140, v93 :: v_dual_mul_f32 v9, v142, v95
	v_dual_mul_f32 v19, v141, v93 :: v_dual_mul_f32 v21, v143, v95
	s_wait_loadcnt_dscnt 0x702
	v_dual_mul_f32 v11, v144, v97 :: v_dual_mul_f32 v13, v146, v99
	s_delay_alu instid0(VALU_DEP_3) | instskip(SKIP_3) | instid1(VALU_DEP_3)
	v_dual_fmac_f32 v7, v141, v92 :: v_dual_fmac_f32 v9, v143, v94
	s_wait_loadcnt_dscnt 0x500
	v_dual_fma_f32 v19, v140, v92, -v19 :: v_dual_mul_f32 v31, v153, v105
	v_dual_mul_f32 v23, v145, v97 :: v_dual_mul_f32 v25, v147, v99
	v_dual_fma_f32 v21, v142, v94, -v21 :: v_dual_add_f32 v7, 0, v7
	s_delay_alu instid0(VALU_DEP_3) | instskip(SKIP_1) | instid1(VALU_DEP_4)
	v_dual_add_f32 v19, 0, v19 :: v_dual_fmac_f32 v11, v145, v96
	v_dual_mul_f32 v15, v148, v101 :: v_dual_mul_f32 v17, v150, v103
	v_dual_mul_f32 v33, v155, v107 :: v_dual_fma_f32 v23, v144, v96, -v23
	s_delay_alu instid0(VALU_DEP_4) | instskip(NEXT) | instid1(VALU_DEP_3)
	v_add_f32_e32 v7, v7, v9
	v_dual_add_f32 v9, v19, v21 :: v_dual_fmac_f32 v15, v149, v100
	v_dual_mul_f32 v27, v149, v101 :: v_dual_mul_f32 v29, v151, v103
	s_delay_alu instid0(VALU_DEP_2) | instskip(NEXT) | instid1(VALU_DEP_4)
	v_dual_fmac_f32 v13, v147, v98 :: v_dual_add_f32 v9, v9, v23
	v_dual_fma_f32 v19, v146, v98, -v25 :: v_dual_add_f32 v7, v7, v11
	s_wait_loadcnt 0x4
	s_delay_alu instid0(VALU_DEP_3) | instskip(SKIP_1) | instid1(VALU_DEP_3)
	v_dual_fma_f32 v11, v148, v100, -v27 :: v_dual_mov_b32 v94, v111
	v_dual_mul_f32 v167, v152, v105 :: v_dual_mul_f32 v169, v154, v107
	v_dual_add_f32 v7, v7, v13 :: v_dual_fma_f32 v13, v150, v102, -v29
	v_dual_add_f32 v9, v9, v19 :: v_dual_fmac_f32 v17, v151, v102
	v_pk_mul_f32 v[92:93], v[124:125], v[108:109] op_sel:[1,1] op_sel_hi:[0,1]
	s_delay_alu instid0(VALU_DEP_3) | instskip(SKIP_1) | instid1(VALU_DEP_3)
	v_dual_add_f32 v7, v7, v15 :: v_dual_fmac_f32 v167, v153, v104
	s_wait_loadcnt 0x3
	v_dual_add_f32 v9, v9, v11 :: v_dual_mov_b32 v98, v115
	s_delay_alu instid0(VALU_DEP_2) | instskip(NEXT) | instid1(VALU_DEP_2)
	v_dual_fma_f32 v166, v152, v104, -v31 :: v_dual_add_f32 v101, v7, v17
	v_dual_fma_f32 v168, v154, v106, -v33 :: v_dual_add_f32 v100, v9, v13
	v_fmac_f32_e32 v169, v155, v106
	v_pk_fma_f32 v[102:103], v[124:125], v[108:109], v[92:93] op_sel_hi:[1,0,1]
	v_pk_mul_f32 v[94:95], v[158:159], v[94:95] op_sel_hi:[1,0]
	v_pk_fma_f32 v[92:93], v[124:125], v[108:109], v[92:93] neg_lo:[0,0,1] neg_hi:[0,0,1]
	v_pk_add_f32 v[100:101], v[100:101], v[166:167]
	v_pk_mul_f32 v[96:97], v[128:129], v[112:113] op_sel:[1,1] op_sel_hi:[0,1]
	v_mov_b32_e32 v93, v103
	v_pk_fma_f32 v[102:103], v[126:127], v[110:111], v[94:95] op_sel_hi:[1,0,1]
	v_pk_fma_f32 v[94:95], v[126:127], v[110:111], v[94:95] neg_lo:[0,0,1] neg_hi:[0,0,1]
	v_pk_add_f32 v[100:101], v[100:101], v[168:169]
	v_pk_fma_f32 v[106:107], v[128:129], v[112:113], v[96:97] op_sel_hi:[1,0,1]
	v_pk_mul_f32 v[98:99], v[160:161], v[98:99] op_sel_hi:[1,0]
	v_mov_b32_e32 v95, v103
	s_wait_loadcnt 0x2
	v_pk_mul_f32 v[104:105], v[132:133], v[116:117] op_sel:[1,1] op_sel_hi:[0,1]
	v_pk_add_f32 v[92:93], v[100:101], v[92:93]
	v_mov_b32_e32 v100, v119
	v_pk_fma_f32 v[96:97], v[128:129], v[112:113], v[96:97] neg_lo:[0,0,1] neg_hi:[0,0,1]
	v_mov_b32_e32 v97, v107
	v_pk_fma_f32 v[102:103], v[130:131], v[114:115], v[98:99] op_sel_hi:[1,0,1]
	v_pk_add_f32 v[92:93], v[92:93], v[94:95]
	v_pk_fma_f32 v[94:95], v[132:133], v[116:117], v[104:105] op_sel_hi:[1,0,1]
	v_pk_mul_f32 v[100:101], v[162:163], v[100:101] op_sel_hi:[1,0]
	v_pk_fma_f32 v[98:99], v[130:131], v[114:115], v[98:99] neg_lo:[0,0,1] neg_hi:[0,0,1]
	v_mov_b32_e32 v99, v103
	v_pk_add_f32 v[92:93], v[92:93], v[96:97]
	v_pk_fma_f32 v[102:103], v[132:133], v[116:117], v[104:105] neg_lo:[0,0,1] neg_hi:[0,0,1]
	v_mov_b32_e32 v103, v95
	v_pk_fma_f32 v[94:95], v[134:135], v[118:119], v[100:101] op_sel_hi:[1,0,1]
	s_wait_loadcnt 0x1
	v_pk_mul_f32 v[96:97], v[136:137], v[120:121] op_sel:[1,1] op_sel_hi:[0,1]
	v_pk_add_f32 v[92:93], v[92:93], v[98:99]
	v_mov_b32_e32 v94, v123
	v_pk_fma_f32 v[100:101], v[134:135], v[118:119], v[100:101] neg_lo:[0,0,1] neg_hi:[0,0,1]
	v_mov_b32_e32 v101, v95
	v_pk_fma_f32 v[98:99], v[136:137], v[120:121], v[96:97] op_sel_hi:[1,0,1]
	v_pk_add_f32 v[92:93], v[92:93], v[102:103]
	v_pk_mul_f32 v[94:95], v[164:165], v[94:95] op_sel_hi:[1,0]
	v_pk_fma_f32 v[96:97], v[136:137], v[120:121], v[96:97] neg_lo:[0,0,1] neg_hi:[0,0,1]
	s_delay_alu instid0(VALU_DEP_4) | instskip(NEXT) | instid1(VALU_DEP_4)
	v_mov_b32_e32 v97, v99
	v_pk_add_f32 v[92:93], v[92:93], v[100:101]
	s_delay_alu instid0(VALU_DEP_4) | instskip(SKIP_1) | instid1(VALU_DEP_2)
	v_pk_fma_f32 v[98:99], v[138:139], v[122:123], v[94:95] op_sel_hi:[1,0,1]
	v_pk_fma_f32 v[94:95], v[138:139], v[122:123], v[94:95] neg_lo:[0,0,1] neg_hi:[0,0,1]
	v_mov_b32_e32 v95, v99
	s_delay_alu instid0(VALU_DEP_4) | instskip(NEXT) | instid1(VALU_DEP_1)
	v_pk_add_f32 v[92:93], v[92:93], v[96:97]
	v_pk_add_f32 v[92:93], v[92:93], v[94:95]
	s_wait_loadcnt 0x0
	s_delay_alu instid0(VALU_DEP_1)
	v_pk_add_f32 v[92:93], v[156:157], v[92:93] neg_lo:[0,1] neg_hi:[0,1]
	scratch_store_b64 off, v[92:93], off offset:224
	s_wait_xcnt 0x0
	v_cmpx_lt_u32_e32 27, v0
	s_cbranch_execz .LBB108_229
; %bb.228:
	scratch_load_b64 v[92:93], off, off offset:216
	v_mov_b64_e32 v[94:95], 0
	scratch_store_b64 off, v[94:95], off offset:216
	s_wait_loadcnt 0x0
	ds_store_b64 v1, v[92:93]
.LBB108_229:
	s_wait_xcnt 0x0
	s_or_b32 exec_lo, exec_lo, s0
	s_wait_storecnt_dscnt 0x0
	s_barrier_signal -1
	s_barrier_wait -1
	s_clause 0x9
	scratch_load_b128 v[92:95], off, off offset:224
	scratch_load_b128 v[96:99], off, off offset:240
	;; [unrolled: 1-line block ×8, first 2 shown]
	scratch_load_b64 v[156:157], off, off offset:352
	scratch_load_b64 v[158:159], off, off offset:216
	v_mov_b32_e32 v7, 0
	ds_load_b128 v[124:127], v7 offset:656
	ds_load_b128 v[128:131], v7 offset:672
	;; [unrolled: 1-line block ×8, first 2 shown]
	ds_load_b64 v[160:161], v7 offset:720
	s_mov_b32 s0, exec_lo
	s_wait_dscnt 0x8
	v_dual_mov_b32 v162, v127 :: v_dual_mov_b32 v163, v126
	s_wait_dscnt 0x5
	v_dual_mov_b32 v164, v131 :: v_dual_mov_b32 v169, v138
	v_dual_mov_b32 v165, v130 :: v_dual_mov_b32 v166, v135
	;; [unrolled: 1-line block ×3, first 2 shown]
	s_wait_loadcnt_dscnt 0x904
	v_dual_mul_f32 v9, v140, v93 :: v_dual_mul_f32 v23, v141, v93
	v_dual_mul_f32 v25, v143, v95 :: v_dual_mul_f32 v11, v142, v95
	s_wait_loadcnt_dscnt 0x803
	v_mul_f32_e32 v13, v144, v97
	s_wait_loadcnt_dscnt 0x601
	v_dual_mul_f32 v35, v153, v105 :: v_dual_fma_f32 v23, v140, v92, -v23
	v_dual_fmac_f32 v9, v141, v92 :: v_dual_mul_f32 v37, v155, v107
	v_dual_mul_f32 v27, v145, v97 :: v_dual_mul_f32 v29, v147, v99
	v_dual_fmac_f32 v11, v143, v94 :: v_dual_fma_f32 v25, v142, v94, -v25
	s_delay_alu instid0(VALU_DEP_3)
	v_dual_add_f32 v9, 0, v9 :: v_dual_add_f32 v23, 0, v23
	v_dual_mul_f32 v15, v146, v99 :: v_dual_mul_f32 v17, v148, v101
	s_wait_loadcnt 0x5
	v_dual_mul_f32 v39, v125, v109 :: v_dual_fma_f32 v27, v144, v96, -v27
	v_fmac_f32_e32 v13, v145, v96
	v_dual_add_f32 v9, v9, v11 :: v_dual_mov_b32 v92, v111
	v_add_f32_e32 v11, v23, v25
	v_dual_mul_f32 v31, v149, v101 :: v_dual_mul_f32 v33, v151, v103
	v_dual_fmac_f32 v15, v147, v98 :: v_dual_fma_f32 v23, v146, v98, -v29
	s_delay_alu instid0(VALU_DEP_3) | instskip(SKIP_1) | instid1(VALU_DEP_4)
	v_dual_add_f32 v9, v9, v13 :: v_dual_add_f32 v11, v11, v27
	v_dual_mul_f32 v19, v150, v103 :: v_dual_mul_f32 v21, v152, v105
	v_dual_fmac_f32 v17, v149, v100 :: v_dual_fma_f32 v13, v148, v100, -v31
	s_wait_loadcnt 0x4
	s_delay_alu instid0(VALU_DEP_3) | instskip(SKIP_1) | instid1(VALU_DEP_2)
	v_dual_add_f32 v9, v9, v15 :: v_dual_mov_b32 v96, v115
	v_dual_add_f32 v11, v11, v23 :: v_dual_fma_f32 v15, v150, v102, -v33
	v_dual_fmac_f32 v19, v151, v102 :: v_dual_add_f32 v9, v9, v17
	v_dual_mul_f32 v171, v154, v107 :: v_dual_mul_f32 v173, v124, v109
	s_delay_alu instid0(VALU_DEP_3) | instskip(NEXT) | instid1(VALU_DEP_3)
	v_dual_add_f32 v11, v11, v13 :: v_dual_fmac_f32 v21, v153, v104
	v_dual_fma_f32 v13, v152, v104, -v35 :: v_dual_add_f32 v9, v9, v19
	s_delay_alu instid0(VALU_DEP_3) | instskip(NEXT) | instid1(VALU_DEP_3)
	v_fmac_f32_e32 v171, v155, v106
	v_dual_add_f32 v11, v11, v15 :: v_dual_fma_f32 v170, v154, v106, -v37
	v_pk_mul_f32 v[92:93], v[162:163], v[92:93] op_sel_hi:[1,0]
	s_delay_alu instid0(VALU_DEP_4) | instskip(SKIP_1) | instid1(VALU_DEP_4)
	v_add_f32_e32 v101, v9, v21
	v_pk_mul_f32 v[94:95], v[128:129], v[112:113] op_sel:[1,1] op_sel_hi:[0,1]
	v_dual_add_f32 v100, v11, v13 :: v_dual_fmac_f32 v173, v125, v108
	s_wait_loadcnt 0x3
	v_dual_mov_b32 v102, v119 :: v_dual_fma_f32 v172, v124, v108, -v39
	v_pk_fma_f32 v[104:105], v[126:127], v[110:111], v[92:93] op_sel_hi:[1,0,1]
	s_delay_alu instid0(VALU_DEP_3)
	v_pk_add_f32 v[100:101], v[100:101], v[170:171]
	v_pk_fma_f32 v[92:93], v[126:127], v[110:111], v[92:93] neg_lo:[0,0,1] neg_hi:[0,0,1]
	v_pk_fma_f32 v[106:107], v[128:129], v[112:113], v[94:95] op_sel_hi:[1,0,1]
	v_pk_mul_f32 v[96:97], v[164:165], v[96:97] op_sel_hi:[1,0]
	v_mov_b32_e32 v93, v105
	v_pk_add_f32 v[100:101], v[100:101], v[172:173]
	v_pk_fma_f32 v[94:95], v[128:129], v[112:113], v[94:95] neg_lo:[0,0,1] neg_hi:[0,0,1]
	v_pk_mul_f32 v[98:99], v[132:133], v[116:117] op_sel:[1,1] op_sel_hi:[0,1]
	v_mov_b32_e32 v95, v107
	v_pk_fma_f32 v[106:107], v[130:131], v[114:115], v[96:97] op_sel_hi:[1,0,1]
	v_pk_add_f32 v[92:93], v[100:101], v[92:93]
	v_pk_fma_f32 v[96:97], v[130:131], v[114:115], v[96:97] neg_lo:[0,0,1] neg_hi:[0,0,1]
	v_pk_fma_f32 v[100:101], v[132:133], v[116:117], v[98:99] op_sel_hi:[1,0,1]
	v_pk_mul_f32 v[102:103], v[166:167], v[102:103] op_sel_hi:[1,0]
	v_mov_b32_e32 v97, v107
	v_pk_add_f32 v[92:93], v[92:93], v[94:95]
	v_pk_fma_f32 v[98:99], v[132:133], v[116:117], v[98:99] neg_lo:[0,0,1] neg_hi:[0,0,1]
	s_wait_loadcnt 0x2
	v_pk_mul_f32 v[104:105], v[136:137], v[120:121] op_sel:[1,1] op_sel_hi:[0,1]
	v_dual_mov_b32 v94, v123 :: v_dual_mov_b32 v99, v101
	v_pk_fma_f32 v[100:101], v[134:135], v[118:119], v[102:103] op_sel_hi:[1,0,1]
	v_pk_add_f32 v[92:93], v[92:93], v[96:97]
	v_pk_fma_f32 v[102:103], v[134:135], v[118:119], v[102:103] neg_lo:[0,0,1] neg_hi:[0,0,1]
	v_pk_fma_f32 v[96:97], v[136:137], v[120:121], v[104:105] op_sel_hi:[1,0,1]
	v_pk_mul_f32 v[94:95], v[168:169], v[94:95] op_sel_hi:[1,0]
	v_mov_b32_e32 v103, v101
	v_pk_add_f32 v[92:93], v[92:93], v[98:99]
	v_pk_fma_f32 v[98:99], v[136:137], v[120:121], v[104:105] neg_lo:[0,0,1] neg_hi:[0,0,1]
	v_mov_b32_e32 v99, v97
	v_pk_fma_f32 v[96:97], v[138:139], v[122:123], v[94:95] op_sel_hi:[1,0,1]
	s_wait_loadcnt_dscnt 0x100
	v_pk_mul_f32 v[100:101], v[160:161], v[156:157] op_sel:[1,1] op_sel_hi:[0,1]
	v_pk_add_f32 v[92:93], v[92:93], v[102:103]
	v_pk_fma_f32 v[94:95], v[138:139], v[122:123], v[94:95] neg_lo:[0,0,1] neg_hi:[0,0,1]
	v_mov_b32_e32 v95, v97
	s_delay_alu instid0(VALU_DEP_4) | instskip(NEXT) | instid1(VALU_DEP_4)
	v_pk_fma_f32 v[96:97], v[160:161], v[156:157], v[100:101] op_sel_hi:[1,0,1]
	v_pk_add_f32 v[92:93], v[92:93], v[98:99]
	v_pk_fma_f32 v[98:99], v[160:161], v[156:157], v[100:101] neg_lo:[0,0,1] neg_hi:[0,0,1]
	s_delay_alu instid0(VALU_DEP_3) | instskip(NEXT) | instid1(VALU_DEP_3)
	v_mov_b32_e32 v99, v97
	v_pk_add_f32 v[92:93], v[92:93], v[94:95]
	s_delay_alu instid0(VALU_DEP_1) | instskip(SKIP_1) | instid1(VALU_DEP_1)
	v_pk_add_f32 v[92:93], v[92:93], v[98:99]
	s_wait_loadcnt 0x0
	v_pk_add_f32 v[92:93], v[158:159], v[92:93] neg_lo:[0,1] neg_hi:[0,1]
	scratch_store_b64 off, v[92:93], off offset:216
	s_wait_xcnt 0x0
	v_cmpx_lt_u32_e32 26, v0
	s_cbranch_execz .LBB108_231
; %bb.230:
	scratch_load_b64 v[92:93], off, off offset:208
	v_mov_b64_e32 v[94:95], 0
	scratch_store_b64 off, v[94:95], off offset:208
	s_wait_loadcnt 0x0
	ds_store_b64 v1, v[92:93]
.LBB108_231:
	s_wait_xcnt 0x0
	s_or_b32 exec_lo, exec_lo, s0
	s_wait_storecnt_dscnt 0x0
	s_barrier_signal -1
	s_barrier_wait -1
	s_clause 0x9
	scratch_load_b128 v[92:95], off, off offset:216
	scratch_load_b128 v[96:99], off, off offset:232
	;; [unrolled: 1-line block ×9, first 2 shown]
	scratch_load_b64 v[164:165], off, off offset:208
	ds_load_2addr_b64 v[128:131], v7 offset0:83 offset1:84
	ds_load_2addr_b64 v[132:135], v7 offset0:85 offset1:86
	;; [unrolled: 1-line block ×9, first 2 shown]
	s_mov_b32 s0, exec_lo
	s_wait_dscnt 0x8
	v_dual_mov_b32 v166, v131 :: v_dual_mov_b32 v167, v130
	s_wait_dscnt 0x7
	v_dual_mov_b32 v168, v135 :: v_dual_mov_b32 v169, v134
	s_wait_dscnt 0x6
	v_dual_mov_b32 v170, v139 :: v_dual_mov_b32 v171, v138
	s_wait_dscnt 0x5
	v_dual_mov_b32 v172, v143 :: v_dual_mov_b32 v173, v142
	s_wait_loadcnt_dscnt 0x904
	v_dual_mul_f32 v7, v144, v93 :: v_dual_mul_f32 v9, v146, v95
	v_dual_mul_f32 v23, v145, v93 :: v_dual_mul_f32 v25, v147, v95
	s_wait_loadcnt_dscnt 0x803
	v_dual_mul_f32 v11, v148, v97 :: v_dual_mul_f32 v13, v150, v99
	s_delay_alu instid0(VALU_DEP_3) | instskip(SKIP_3) | instid1(VALU_DEP_3)
	v_dual_fmac_f32 v7, v145, v92 :: v_dual_fmac_f32 v9, v147, v94
	s_wait_loadcnt_dscnt 0x601
	v_dual_fma_f32 v23, v144, v92, -v23 :: v_dual_mul_f32 v35, v157, v105
	v_dual_mul_f32 v27, v149, v97 :: v_dual_mul_f32 v29, v151, v99
	v_dual_fma_f32 v25, v146, v94, -v25 :: v_dual_add_f32 v7, 0, v7
	s_delay_alu instid0(VALU_DEP_3) | instskip(SKIP_1) | instid1(VALU_DEP_4)
	v_dual_add_f32 v23, 0, v23 :: v_dual_fmac_f32 v11, v149, v96
	v_dual_mul_f32 v15, v152, v101 :: v_dual_mul_f32 v17, v154, v103
	v_dual_mul_f32 v37, v159, v107 :: v_dual_fma_f32 v27, v148, v96, -v27
	s_delay_alu instid0(VALU_DEP_4) | instskip(NEXT) | instid1(VALU_DEP_3)
	v_add_f32_e32 v7, v7, v9
	v_dual_add_f32 v9, v23, v25 :: v_dual_fmac_f32 v15, v153, v100
	v_dual_mul_f32 v31, v153, v101 :: v_dual_mul_f32 v33, v155, v103
	s_wait_loadcnt_dscnt 0x500
	v_dual_mul_f32 v23, v161, v109 :: v_dual_fmac_f32 v13, v151, v98
	v_dual_fma_f32 v25, v150, v98, -v29 :: v_dual_add_f32 v7, v7, v11
	s_delay_alu instid0(VALU_DEP_3) | instskip(SKIP_1) | instid1(VALU_DEP_3)
	v_dual_add_f32 v9, v9, v27 :: v_dual_fma_f32 v27, v152, v100, -v31
	v_dual_mul_f32 v19, v156, v105 :: v_dual_mul_f32 v21, v158, v107
	v_add_f32_e32 v7, v7, v13
	s_delay_alu instid0(VALU_DEP_3) | instskip(SKIP_1) | instid1(VALU_DEP_3)
	v_dual_mul_f32 v11, v163, v111 :: v_dual_add_f32 v9, v9, v25
	v_fmac_f32_e32 v17, v155, v102
	v_dual_fma_f32 v13, v154, v102, -v33 :: v_dual_add_f32 v7, v7, v15
	s_wait_loadcnt 0x4
	v_dual_mov_b32 v94, v115 :: v_dual_fmac_f32 v19, v157, v104
	v_dual_add_f32 v9, v9, v27 :: v_dual_fma_f32 v15, v156, v104, -v35
	s_delay_alu instid0(VALU_DEP_3) | instskip(SKIP_1) | instid1(VALU_DEP_3)
	v_add_f32_e32 v7, v7, v17
	v_dual_mul_f32 v175, v160, v109 :: v_dual_mul_f32 v177, v162, v111
	v_dual_add_f32 v9, v9, v13 :: v_dual_fmac_f32 v21, v159, v106
	s_delay_alu instid0(VALU_DEP_3) | instskip(SKIP_2) | instid1(VALU_DEP_3)
	v_dual_fma_f32 v13, v158, v106, -v37 :: v_dual_add_f32 v7, v7, v19
	v_pk_mul_f32 v[92:93], v[128:129], v[112:113] op_sel:[1,1] op_sel_hi:[0,1]
	s_wait_loadcnt 0x3
	v_dual_add_f32 v9, v9, v15 :: v_dual_mov_b32 v98, v119
	s_delay_alu instid0(VALU_DEP_3) | instskip(NEXT) | instid1(VALU_DEP_2)
	v_dual_fmac_f32 v175, v161, v108 :: v_dual_add_f32 v101, v7, v21
	v_dual_fma_f32 v174, v160, v108, -v23 :: v_dual_add_f32 v100, v9, v13
	v_dual_fmac_f32 v177, v163, v110 :: v_dual_fma_f32 v176, v162, v110, -v11
	v_pk_fma_f32 v[102:103], v[128:129], v[112:113], v[92:93] op_sel_hi:[1,0,1]
	v_pk_mul_f32 v[94:95], v[166:167], v[94:95] op_sel_hi:[1,0]
	s_delay_alu instid0(VALU_DEP_4)
	v_pk_add_f32 v[100:101], v[100:101], v[174:175]
	v_pk_fma_f32 v[92:93], v[128:129], v[112:113], v[92:93] neg_lo:[0,0,1] neg_hi:[0,0,1]
	v_pk_mul_f32 v[96:97], v[132:133], v[116:117] op_sel:[1,1] op_sel_hi:[0,1]
	v_mov_b32_e32 v93, v103
	v_pk_fma_f32 v[102:103], v[130:131], v[114:115], v[94:95] op_sel_hi:[1,0,1]
	v_pk_add_f32 v[100:101], v[100:101], v[176:177]
	v_pk_fma_f32 v[94:95], v[130:131], v[114:115], v[94:95] neg_lo:[0,0,1] neg_hi:[0,0,1]
	v_pk_fma_f32 v[106:107], v[132:133], v[116:117], v[96:97] op_sel_hi:[1,0,1]
	v_pk_mul_f32 v[98:99], v[168:169], v[98:99] op_sel_hi:[1,0]
	v_mov_b32_e32 v95, v103
	v_pk_add_f32 v[92:93], v[100:101], v[92:93]
	s_wait_loadcnt 0x2
	v_pk_mul_f32 v[104:105], v[136:137], v[120:121] op_sel:[1,1] op_sel_hi:[0,1]
	v_mov_b32_e32 v100, v123
	v_pk_fma_f32 v[96:97], v[132:133], v[116:117], v[96:97] neg_lo:[0,0,1] neg_hi:[0,0,1]
	v_mov_b32_e32 v97, v107
	v_pk_fma_f32 v[102:103], v[134:135], v[118:119], v[98:99] op_sel_hi:[1,0,1]
	v_pk_add_f32 v[92:93], v[92:93], v[94:95]
	v_pk_fma_f32 v[94:95], v[136:137], v[120:121], v[104:105] op_sel_hi:[1,0,1]
	v_pk_mul_f32 v[100:101], v[170:171], v[100:101] op_sel_hi:[1,0]
	v_pk_fma_f32 v[98:99], v[134:135], v[118:119], v[98:99] neg_lo:[0,0,1] neg_hi:[0,0,1]
	v_mov_b32_e32 v99, v103
	v_pk_add_f32 v[92:93], v[92:93], v[96:97]
	v_pk_fma_f32 v[102:103], v[136:137], v[120:121], v[104:105] neg_lo:[0,0,1] neg_hi:[0,0,1]
	v_mov_b32_e32 v103, v95
	v_pk_fma_f32 v[94:95], v[138:139], v[122:123], v[100:101] op_sel_hi:[1,0,1]
	s_wait_loadcnt 0x1
	v_pk_mul_f32 v[96:97], v[140:141], v[124:125] op_sel:[1,1] op_sel_hi:[0,1]
	v_pk_add_f32 v[92:93], v[92:93], v[98:99]
	v_mov_b32_e32 v94, v127
	v_pk_fma_f32 v[100:101], v[138:139], v[122:123], v[100:101] neg_lo:[0,0,1] neg_hi:[0,0,1]
	v_mov_b32_e32 v101, v95
	v_pk_fma_f32 v[98:99], v[140:141], v[124:125], v[96:97] op_sel_hi:[1,0,1]
	v_pk_add_f32 v[92:93], v[92:93], v[102:103]
	v_pk_mul_f32 v[94:95], v[172:173], v[94:95] op_sel_hi:[1,0]
	v_pk_fma_f32 v[96:97], v[140:141], v[124:125], v[96:97] neg_lo:[0,0,1] neg_hi:[0,0,1]
	s_delay_alu instid0(VALU_DEP_4) | instskip(NEXT) | instid1(VALU_DEP_4)
	v_mov_b32_e32 v97, v99
	v_pk_add_f32 v[92:93], v[92:93], v[100:101]
	s_delay_alu instid0(VALU_DEP_4) | instskip(SKIP_1) | instid1(VALU_DEP_2)
	v_pk_fma_f32 v[98:99], v[142:143], v[126:127], v[94:95] op_sel_hi:[1,0,1]
	v_pk_fma_f32 v[94:95], v[142:143], v[126:127], v[94:95] neg_lo:[0,0,1] neg_hi:[0,0,1]
	v_mov_b32_e32 v95, v99
	s_delay_alu instid0(VALU_DEP_4) | instskip(NEXT) | instid1(VALU_DEP_1)
	v_pk_add_f32 v[92:93], v[92:93], v[96:97]
	v_pk_add_f32 v[92:93], v[92:93], v[94:95]
	s_wait_loadcnt 0x0
	s_delay_alu instid0(VALU_DEP_1)
	v_pk_add_f32 v[92:93], v[164:165], v[92:93] neg_lo:[0,1] neg_hi:[0,1]
	scratch_store_b64 off, v[92:93], off offset:208
	s_wait_xcnt 0x0
	v_cmpx_lt_u32_e32 25, v0
	s_cbranch_execz .LBB108_233
; %bb.232:
	scratch_load_b64 v[92:93], off, off offset:200
	v_mov_b64_e32 v[94:95], 0
	scratch_store_b64 off, v[94:95], off offset:200
	s_wait_loadcnt 0x0
	ds_store_b64 v1, v[92:93]
.LBB108_233:
	s_wait_xcnt 0x0
	s_or_b32 exec_lo, exec_lo, s0
	s_wait_storecnt_dscnt 0x0
	s_barrier_signal -1
	s_barrier_wait -1
	s_clause 0xa
	scratch_load_b128 v[92:95], off, off offset:208
	scratch_load_b128 v[96:99], off, off offset:224
	;; [unrolled: 1-line block ×9, first 2 shown]
	scratch_load_b64 v[164:165], off, off offset:352
	scratch_load_b64 v[166:167], off, off offset:200
	v_mov_b32_e32 v7, 0
	ds_load_b128 v[128:131], v7 offset:656
	ds_load_b128 v[132:135], v7 offset:672
	;; [unrolled: 1-line block ×9, first 2 shown]
	ds_load_b64 v[168:169], v7 offset:720
	s_mov_b32 s0, exec_lo
	s_wait_dscnt 0x9
	v_dual_mov_b32 v170, v131 :: v_dual_mov_b32 v171, v130
	s_wait_dscnt 0x6
	v_dual_mov_b32 v172, v135 :: v_dual_mov_b32 v177, v142
	v_dual_mov_b32 v173, v134 :: v_dual_mov_b32 v174, v139
	;; [unrolled: 1-line block ×3, first 2 shown]
	s_wait_loadcnt_dscnt 0xa05
	v_dual_mul_f32 v9, v144, v93 :: v_dual_mul_f32 v27, v145, v93
	v_dual_mul_f32 v29, v147, v95 :: v_dual_mul_f32 v11, v146, v95
	s_wait_loadcnt_dscnt 0x904
	v_mul_f32_e32 v13, v148, v97
	s_wait_loadcnt_dscnt 0x702
	v_dual_mul_f32 v39, v157, v105 :: v_dual_fma_f32 v27, v144, v92, -v27
	v_dual_fmac_f32 v9, v145, v92 :: v_dual_mul_f32 v41, v159, v107
	v_dual_mul_f32 v31, v149, v97 :: v_dual_mul_f32 v33, v151, v99
	v_dual_fmac_f32 v11, v147, v94 :: v_dual_fma_f32 v29, v146, v94, -v29
	s_delay_alu instid0(VALU_DEP_3) | instskip(SKIP_4) | instid1(VALU_DEP_3)
	v_dual_add_f32 v9, 0, v9 :: v_dual_add_f32 v27, 0, v27
	v_dual_mul_f32 v15, v150, v99 :: v_dual_mul_f32 v17, v152, v101
	s_wait_loadcnt_dscnt 0x601
	v_dual_mul_f32 v43, v161, v109 :: v_dual_fma_f32 v31, v148, v96, -v31
	v_fmac_f32_e32 v13, v149, v96
	v_dual_add_f32 v9, v9, v11 :: v_dual_fmac_f32 v15, v151, v98
	v_add_f32_e32 v11, v27, v29
	v_dual_mul_f32 v35, v153, v101 :: v_dual_mul_f32 v37, v155, v103
	v_dual_mul_f32 v27, v163, v111 :: v_dual_fma_f32 v29, v150, v98, -v33
	s_delay_alu instid0(VALU_DEP_3) | instskip(SKIP_3) | instid1(VALU_DEP_3)
	v_dual_add_f32 v9, v9, v13 :: v_dual_add_f32 v11, v11, v31
	v_dual_mul_f32 v19, v154, v103 :: v_dual_mul_f32 v21, v156, v105
	s_wait_loadcnt 0x5
	v_dual_mul_f32 v13, v129, v113 :: v_dual_fma_f32 v31, v152, v100, -v35
	v_dual_fmac_f32 v17, v153, v100 :: v_dual_add_f32 v11, v11, v29
	v_dual_add_f32 v9, v9, v15 :: v_dual_mov_b32 v92, v115
	v_dual_fmac_f32 v19, v155, v102 :: v_dual_fma_f32 v15, v154, v102, -v37
	s_delay_alu instid0(VALU_DEP_2) | instskip(SKIP_3) | instid1(VALU_DEP_3)
	v_dual_add_f32 v11, v11, v31 :: v_dual_add_f32 v9, v9, v17
	v_dual_mul_f32 v23, v158, v107 :: v_dual_mul_f32 v25, v160, v109
	v_dual_fmac_f32 v21, v157, v104 :: v_dual_fma_f32 v17, v156, v104, -v39
	s_wait_loadcnt 0x4
	v_dual_add_f32 v9, v9, v19 :: v_dual_mov_b32 v96, v119
	v_dual_add_f32 v11, v11, v15 :: v_dual_fma_f32 v15, v158, v106, -v41
	s_delay_alu instid0(VALU_DEP_2) | instskip(SKIP_1) | instid1(VALU_DEP_3)
	v_dual_fmac_f32 v23, v159, v106 :: v_dual_add_f32 v9, v9, v21
	v_dual_mul_f32 v179, v162, v111 :: v_dual_mul_f32 v181, v128, v113
	v_dual_add_f32 v11, v11, v17 :: v_dual_fmac_f32 v25, v161, v108
	s_delay_alu instid0(VALU_DEP_3) | instskip(NEXT) | instid1(VALU_DEP_3)
	v_dual_fma_f32 v17, v160, v108, -v43 :: v_dual_add_f32 v9, v9, v23
	v_fmac_f32_e32 v179, v163, v110
	s_delay_alu instid0(VALU_DEP_3) | instskip(SKIP_1) | instid1(VALU_DEP_4)
	v_dual_add_f32 v11, v11, v15 :: v_dual_fma_f32 v178, v162, v110, -v27
	v_pk_mul_f32 v[92:93], v[170:171], v[92:93] op_sel_hi:[1,0]
	v_add_f32_e32 v101, v9, v25
	v_pk_mul_f32 v[94:95], v[132:133], v[116:117] op_sel:[1,1] op_sel_hi:[0,1]
	s_delay_alu instid0(VALU_DEP_4) | instskip(SKIP_3) | instid1(VALU_DEP_3)
	v_dual_add_f32 v100, v11, v17 :: v_dual_fmac_f32 v181, v129, v112
	s_wait_loadcnt 0x3
	v_dual_mov_b32 v102, v123 :: v_dual_fma_f32 v180, v128, v112, -v13
	v_pk_fma_f32 v[104:105], v[130:131], v[114:115], v[92:93] op_sel_hi:[1,0,1]
	v_pk_add_f32 v[100:101], v[100:101], v[178:179]
	v_pk_fma_f32 v[92:93], v[130:131], v[114:115], v[92:93] neg_lo:[0,0,1] neg_hi:[0,0,1]
	v_pk_fma_f32 v[106:107], v[132:133], v[116:117], v[94:95] op_sel_hi:[1,0,1]
	v_pk_mul_f32 v[96:97], v[172:173], v[96:97] op_sel_hi:[1,0]
	v_mov_b32_e32 v93, v105
	v_pk_add_f32 v[100:101], v[100:101], v[180:181]
	v_pk_fma_f32 v[94:95], v[132:133], v[116:117], v[94:95] neg_lo:[0,0,1] neg_hi:[0,0,1]
	v_pk_mul_f32 v[98:99], v[136:137], v[120:121] op_sel:[1,1] op_sel_hi:[0,1]
	v_mov_b32_e32 v95, v107
	v_pk_fma_f32 v[106:107], v[134:135], v[118:119], v[96:97] op_sel_hi:[1,0,1]
	v_pk_add_f32 v[92:93], v[100:101], v[92:93]
	v_pk_fma_f32 v[96:97], v[134:135], v[118:119], v[96:97] neg_lo:[0,0,1] neg_hi:[0,0,1]
	v_pk_fma_f32 v[100:101], v[136:137], v[120:121], v[98:99] op_sel_hi:[1,0,1]
	v_pk_mul_f32 v[102:103], v[174:175], v[102:103] op_sel_hi:[1,0]
	v_mov_b32_e32 v97, v107
	v_pk_add_f32 v[92:93], v[92:93], v[94:95]
	v_pk_fma_f32 v[98:99], v[136:137], v[120:121], v[98:99] neg_lo:[0,0,1] neg_hi:[0,0,1]
	s_wait_loadcnt 0x2
	v_pk_mul_f32 v[104:105], v[140:141], v[124:125] op_sel:[1,1] op_sel_hi:[0,1]
	v_dual_mov_b32 v94, v127 :: v_dual_mov_b32 v99, v101
	v_pk_fma_f32 v[100:101], v[138:139], v[122:123], v[102:103] op_sel_hi:[1,0,1]
	v_pk_add_f32 v[92:93], v[92:93], v[96:97]
	v_pk_fma_f32 v[102:103], v[138:139], v[122:123], v[102:103] neg_lo:[0,0,1] neg_hi:[0,0,1]
	v_pk_fma_f32 v[96:97], v[140:141], v[124:125], v[104:105] op_sel_hi:[1,0,1]
	v_pk_mul_f32 v[94:95], v[176:177], v[94:95] op_sel_hi:[1,0]
	v_mov_b32_e32 v103, v101
	v_pk_add_f32 v[92:93], v[92:93], v[98:99]
	v_pk_fma_f32 v[98:99], v[140:141], v[124:125], v[104:105] neg_lo:[0,0,1] neg_hi:[0,0,1]
	v_mov_b32_e32 v99, v97
	v_pk_fma_f32 v[96:97], v[142:143], v[126:127], v[94:95] op_sel_hi:[1,0,1]
	s_wait_loadcnt_dscnt 0x100
	v_pk_mul_f32 v[100:101], v[168:169], v[164:165] op_sel:[1,1] op_sel_hi:[0,1]
	v_pk_add_f32 v[92:93], v[92:93], v[102:103]
	v_pk_fma_f32 v[94:95], v[142:143], v[126:127], v[94:95] neg_lo:[0,0,1] neg_hi:[0,0,1]
	v_mov_b32_e32 v95, v97
	s_delay_alu instid0(VALU_DEP_4) | instskip(NEXT) | instid1(VALU_DEP_4)
	v_pk_fma_f32 v[96:97], v[168:169], v[164:165], v[100:101] op_sel_hi:[1,0,1]
	v_pk_add_f32 v[92:93], v[92:93], v[98:99]
	v_pk_fma_f32 v[98:99], v[168:169], v[164:165], v[100:101] neg_lo:[0,0,1] neg_hi:[0,0,1]
	s_delay_alu instid0(VALU_DEP_3) | instskip(NEXT) | instid1(VALU_DEP_3)
	v_mov_b32_e32 v99, v97
	v_pk_add_f32 v[92:93], v[92:93], v[94:95]
	s_delay_alu instid0(VALU_DEP_1) | instskip(SKIP_1) | instid1(VALU_DEP_1)
	v_pk_add_f32 v[92:93], v[92:93], v[98:99]
	s_wait_loadcnt 0x0
	v_pk_add_f32 v[92:93], v[166:167], v[92:93] neg_lo:[0,1] neg_hi:[0,1]
	scratch_store_b64 off, v[92:93], off offset:200
	s_wait_xcnt 0x0
	v_cmpx_lt_u32_e32 24, v0
	s_cbranch_execz .LBB108_235
; %bb.234:
	scratch_load_b64 v[92:93], off, off offset:192
	v_mov_b64_e32 v[94:95], 0
	scratch_store_b64 off, v[94:95], off offset:192
	s_wait_loadcnt 0x0
	ds_store_b64 v1, v[92:93]
.LBB108_235:
	s_wait_xcnt 0x0
	s_or_b32 exec_lo, exec_lo, s0
	s_wait_storecnt_dscnt 0x0
	s_barrier_signal -1
	s_barrier_wait -1
	s_clause 0xa
	scratch_load_b128 v[92:95], off, off offset:200
	scratch_load_b128 v[96:99], off, off offset:216
	scratch_load_b128 v[100:103], off, off offset:232
	scratch_load_b128 v[104:107], off, off offset:248
	scratch_load_b128 v[108:111], off, off offset:264
	scratch_load_b128 v[112:115], off, off offset:280
	scratch_load_b128 v[116:119], off, off offset:296
	scratch_load_b128 v[120:123], off, off offset:312
	scratch_load_b128 v[124:127], off, off offset:328
	scratch_load_b128 v[128:131], off, off offset:344
	scratch_load_b64 v[172:173], off, off offset:192
	ds_load_2addr_b64 v[132:135], v7 offset0:83 offset1:84
	ds_load_2addr_b64 v[136:139], v7 offset0:85 offset1:86
	;; [unrolled: 1-line block ×10, first 2 shown]
	s_mov_b32 s0, exec_lo
	s_wait_dscnt 0x9
	v_dual_mov_b32 v174, v135 :: v_dual_mov_b32 v175, v134
	s_wait_dscnt 0x8
	v_dual_mov_b32 v176, v139 :: v_dual_mov_b32 v177, v138
	;; [unrolled: 2-line block ×4, first 2 shown]
	s_wait_loadcnt_dscnt 0xa05
	v_dual_mul_f32 v7, v148, v93 :: v_dual_mul_f32 v9, v150, v95
	v_dual_mul_f32 v27, v149, v93 :: v_dual_mul_f32 v29, v151, v95
	s_wait_loadcnt_dscnt 0x904
	v_dual_mul_f32 v11, v152, v97 :: v_dual_mul_f32 v13, v154, v99
	s_delay_alu instid0(VALU_DEP_3) | instskip(SKIP_3) | instid1(VALU_DEP_3)
	v_dual_fmac_f32 v7, v149, v92 :: v_dual_fmac_f32 v9, v151, v94
	s_wait_loadcnt_dscnt 0x702
	v_dual_fma_f32 v27, v148, v92, -v27 :: v_dual_mul_f32 v39, v161, v105
	v_dual_mul_f32 v31, v153, v97 :: v_dual_mul_f32 v33, v155, v99
	v_dual_fma_f32 v29, v150, v94, -v29 :: v_dual_add_f32 v7, 0, v7
	s_delay_alu instid0(VALU_DEP_3) | instskip(SKIP_1) | instid1(VALU_DEP_4)
	v_dual_add_f32 v27, 0, v27 :: v_dual_fmac_f32 v11, v153, v96
	v_dual_mul_f32 v15, v156, v101 :: v_dual_mul_f32 v17, v158, v103
	v_dual_mul_f32 v41, v163, v107 :: v_dual_fma_f32 v31, v152, v96, -v31
	s_delay_alu instid0(VALU_DEP_4) | instskip(NEXT) | instid1(VALU_DEP_3)
	v_add_f32_e32 v7, v7, v9
	v_dual_add_f32 v9, v27, v29 :: v_dual_fmac_f32 v15, v157, v100
	v_dual_mul_f32 v35, v157, v101 :: v_dual_mul_f32 v37, v159, v103
	s_wait_loadcnt_dscnt 0x601
	v_dual_mul_f32 v27, v165, v109 :: v_dual_fmac_f32 v13, v155, v98
	v_dual_fma_f32 v29, v154, v98, -v33 :: v_dual_add_f32 v7, v7, v11
	s_delay_alu instid0(VALU_DEP_3) | instskip(SKIP_1) | instid1(VALU_DEP_3)
	v_dual_add_f32 v9, v9, v31 :: v_dual_fma_f32 v31, v156, v100, -v35
	v_dual_mul_f32 v19, v160, v105 :: v_dual_mul_f32 v21, v162, v107
	v_add_f32_e32 v7, v7, v13
	s_delay_alu instid0(VALU_DEP_3) | instskip(SKIP_2) | instid1(VALU_DEP_3)
	v_dual_mul_f32 v11, v167, v111 :: v_dual_add_f32 v9, v9, v29
	s_wait_loadcnt_dscnt 0x500
	v_dual_mul_f32 v13, v169, v113 :: v_dual_fmac_f32 v17, v159, v102
	v_dual_fma_f32 v29, v158, v102, -v37 :: v_dual_add_f32 v7, v7, v15
	s_delay_alu instid0(VALU_DEP_3) | instskip(SKIP_1) | instid1(VALU_DEP_3)
	v_dual_add_f32 v9, v9, v31 :: v_dual_fma_f32 v31, v160, v104, -v39
	v_dual_mul_f32 v15, v171, v115 :: v_dual_fmac_f32 v19, v161, v104
	v_dual_add_f32 v7, v7, v17 :: v_dual_fma_f32 v17, v162, v106, -v41
	s_delay_alu instid0(VALU_DEP_3) | instskip(SKIP_1) | instid1(VALU_DEP_3)
	v_dual_add_f32 v9, v9, v29 :: v_dual_fmac_f32 v21, v163, v106
	v_dual_mul_f32 v23, v164, v109 :: v_dual_mul_f32 v25, v166, v111
	v_add_f32_e32 v7, v7, v19
	s_wait_loadcnt 0x4
	s_delay_alu instid0(VALU_DEP_3) | instskip(NEXT) | instid1(VALU_DEP_3)
	v_dual_add_f32 v9, v9, v31 :: v_dual_mov_b32 v94, v119
	v_fmac_f32_e32 v23, v165, v108
	s_delay_alu instid0(VALU_DEP_3) | instskip(NEXT) | instid1(VALU_DEP_3)
	v_dual_fma_f32 v19, v164, v108, -v27 :: v_dual_add_f32 v7, v7, v21
	v_dual_add_f32 v9, v9, v17 :: v_dual_fmac_f32 v25, v167, v110
	v_dual_mul_f32 v183, v168, v113 :: v_dual_mul_f32 v185, v170, v115
	s_delay_alu instid0(VALU_DEP_3) | instskip(SKIP_1) | instid1(VALU_DEP_3)
	v_dual_fma_f32 v11, v166, v110, -v11 :: v_dual_add_f32 v7, v7, v23
	s_wait_loadcnt 0x3
	v_dual_add_f32 v9, v9, v19 :: v_dual_mov_b32 v98, v123
	v_pk_mul_f32 v[92:93], v[132:133], v[116:117] op_sel:[1,1] op_sel_hi:[0,1]
	v_dual_fmac_f32 v183, v169, v112 :: v_dual_fma_f32 v182, v168, v112, -v13
	s_delay_alu instid0(VALU_DEP_3) | instskip(SKIP_1) | instid1(VALU_DEP_4)
	v_dual_add_f32 v101, v7, v25 :: v_dual_add_f32 v100, v9, v11
	v_dual_fmac_f32 v185, v171, v114 :: v_dual_fma_f32 v184, v170, v114, -v15
	v_pk_fma_f32 v[102:103], v[132:133], v[116:117], v[92:93] op_sel_hi:[1,0,1]
	v_pk_mul_f32 v[94:95], v[174:175], v[94:95] op_sel_hi:[1,0]
	s_delay_alu instid0(VALU_DEP_4)
	v_pk_add_f32 v[100:101], v[100:101], v[182:183]
	v_pk_fma_f32 v[92:93], v[132:133], v[116:117], v[92:93] neg_lo:[0,0,1] neg_hi:[0,0,1]
	v_pk_mul_f32 v[96:97], v[136:137], v[120:121] op_sel:[1,1] op_sel_hi:[0,1]
	v_mov_b32_e32 v93, v103
	v_pk_fma_f32 v[102:103], v[134:135], v[118:119], v[94:95] op_sel_hi:[1,0,1]
	v_pk_add_f32 v[100:101], v[100:101], v[184:185]
	v_pk_fma_f32 v[94:95], v[134:135], v[118:119], v[94:95] neg_lo:[0,0,1] neg_hi:[0,0,1]
	v_pk_fma_f32 v[106:107], v[136:137], v[120:121], v[96:97] op_sel_hi:[1,0,1]
	v_pk_mul_f32 v[98:99], v[176:177], v[98:99] op_sel_hi:[1,0]
	v_mov_b32_e32 v95, v103
	v_pk_add_f32 v[92:93], v[100:101], v[92:93]
	s_wait_loadcnt 0x2
	v_pk_mul_f32 v[104:105], v[140:141], v[124:125] op_sel:[1,1] op_sel_hi:[0,1]
	v_mov_b32_e32 v100, v127
	v_pk_fma_f32 v[96:97], v[136:137], v[120:121], v[96:97] neg_lo:[0,0,1] neg_hi:[0,0,1]
	v_mov_b32_e32 v97, v107
	v_pk_fma_f32 v[102:103], v[138:139], v[122:123], v[98:99] op_sel_hi:[1,0,1]
	v_pk_add_f32 v[92:93], v[92:93], v[94:95]
	v_pk_fma_f32 v[94:95], v[140:141], v[124:125], v[104:105] op_sel_hi:[1,0,1]
	v_pk_mul_f32 v[100:101], v[178:179], v[100:101] op_sel_hi:[1,0]
	v_pk_fma_f32 v[98:99], v[138:139], v[122:123], v[98:99] neg_lo:[0,0,1] neg_hi:[0,0,1]
	v_mov_b32_e32 v99, v103
	v_pk_add_f32 v[92:93], v[92:93], v[96:97]
	v_pk_fma_f32 v[102:103], v[140:141], v[124:125], v[104:105] neg_lo:[0,0,1] neg_hi:[0,0,1]
	v_mov_b32_e32 v103, v95
	v_pk_fma_f32 v[94:95], v[142:143], v[126:127], v[100:101] op_sel_hi:[1,0,1]
	s_wait_loadcnt 0x1
	v_pk_mul_f32 v[96:97], v[144:145], v[128:129] op_sel:[1,1] op_sel_hi:[0,1]
	v_pk_add_f32 v[92:93], v[92:93], v[98:99]
	v_mov_b32_e32 v94, v131
	v_pk_fma_f32 v[100:101], v[142:143], v[126:127], v[100:101] neg_lo:[0,0,1] neg_hi:[0,0,1]
	v_mov_b32_e32 v101, v95
	v_pk_fma_f32 v[98:99], v[144:145], v[128:129], v[96:97] op_sel_hi:[1,0,1]
	v_pk_add_f32 v[92:93], v[92:93], v[102:103]
	v_pk_mul_f32 v[94:95], v[180:181], v[94:95] op_sel_hi:[1,0]
	v_pk_fma_f32 v[96:97], v[144:145], v[128:129], v[96:97] neg_lo:[0,0,1] neg_hi:[0,0,1]
	s_delay_alu instid0(VALU_DEP_4) | instskip(NEXT) | instid1(VALU_DEP_4)
	v_mov_b32_e32 v97, v99
	v_pk_add_f32 v[92:93], v[92:93], v[100:101]
	s_delay_alu instid0(VALU_DEP_4) | instskip(SKIP_1) | instid1(VALU_DEP_2)
	v_pk_fma_f32 v[98:99], v[146:147], v[130:131], v[94:95] op_sel_hi:[1,0,1]
	v_pk_fma_f32 v[94:95], v[146:147], v[130:131], v[94:95] neg_lo:[0,0,1] neg_hi:[0,0,1]
	v_mov_b32_e32 v95, v99
	s_delay_alu instid0(VALU_DEP_4) | instskip(NEXT) | instid1(VALU_DEP_1)
	v_pk_add_f32 v[92:93], v[92:93], v[96:97]
	v_pk_add_f32 v[92:93], v[92:93], v[94:95]
	s_wait_loadcnt 0x0
	s_delay_alu instid0(VALU_DEP_1)
	v_pk_add_f32 v[92:93], v[172:173], v[92:93] neg_lo:[0,1] neg_hi:[0,1]
	scratch_store_b64 off, v[92:93], off offset:192
	s_wait_xcnt 0x0
	v_cmpx_lt_u32_e32 23, v0
	s_cbranch_execz .LBB108_237
; %bb.236:
	scratch_load_b64 v[92:93], off, off offset:184
	v_mov_b64_e32 v[94:95], 0
	scratch_store_b64 off, v[94:95], off offset:184
	s_wait_loadcnt 0x0
	ds_store_b64 v1, v[92:93]
.LBB108_237:
	s_wait_xcnt 0x0
	s_or_b32 exec_lo, exec_lo, s0
	s_wait_storecnt_dscnt 0x0
	s_barrier_signal -1
	s_barrier_wait -1
	s_clause 0xb
	scratch_load_b128 v[92:95], off, off offset:192
	scratch_load_b128 v[96:99], off, off offset:208
	;; [unrolled: 1-line block ×10, first 2 shown]
	scratch_load_b64 v[172:173], off, off offset:352
	scratch_load_b64 v[174:175], off, off offset:184
	v_mov_b32_e32 v7, 0
	ds_load_b128 v[132:135], v7 offset:656
	ds_load_b128 v[136:139], v7 offset:672
	;; [unrolled: 1-line block ×10, first 2 shown]
	ds_load_b64 v[176:177], v7 offset:720
	s_mov_b32 s0, exec_lo
	s_wait_dscnt 0xa
	v_dual_mov_b32 v178, v135 :: v_dual_mov_b32 v179, v134
	s_wait_dscnt 0x7
	v_dual_mov_b32 v180, v139 :: v_dual_mov_b32 v185, v146
	v_dual_mov_b32 v181, v138 :: v_dual_mov_b32 v182, v143
	;; [unrolled: 1-line block ×3, first 2 shown]
	s_wait_loadcnt_dscnt 0xb06
	v_dual_mul_f32 v9, v148, v93 :: v_dual_mul_f32 v31, v149, v93
	v_dual_mul_f32 v33, v151, v95 :: v_dual_mul_f32 v11, v150, v95
	s_wait_loadcnt_dscnt 0xa05
	v_mul_f32_e32 v13, v152, v97
	s_wait_loadcnt_dscnt 0x803
	v_dual_mul_f32 v43, v161, v105 :: v_dual_fma_f32 v31, v148, v92, -v31
	v_dual_fmac_f32 v9, v149, v92 :: v_dual_mul_f32 v45, v163, v107
	v_dual_mul_f32 v35, v153, v97 :: v_dual_mul_f32 v37, v155, v99
	v_dual_fmac_f32 v11, v151, v94 :: v_dual_fma_f32 v33, v150, v94, -v33
	s_delay_alu instid0(VALU_DEP_3) | instskip(SKIP_4) | instid1(VALU_DEP_3)
	v_dual_add_f32 v9, 0, v9 :: v_dual_add_f32 v31, 0, v31
	v_dual_mul_f32 v15, v154, v99 :: v_dual_mul_f32 v17, v156, v101
	s_wait_loadcnt_dscnt 0x702
	v_dual_mul_f32 v47, v165, v109 :: v_dual_fma_f32 v35, v152, v96, -v35
	v_fmac_f32_e32 v13, v153, v96
	v_dual_add_f32 v9, v9, v11 :: v_dual_fmac_f32 v15, v155, v98
	v_add_f32_e32 v11, v31, v33
	v_dual_mul_f32 v39, v157, v101 :: v_dual_mul_f32 v41, v159, v103
	v_dual_mul_f32 v31, v167, v111 :: v_dual_fma_f32 v33, v154, v98, -v37
	s_delay_alu instid0(VALU_DEP_3) | instskip(SKIP_3) | instid1(VALU_DEP_3)
	v_dual_add_f32 v9, v9, v13 :: v_dual_add_f32 v11, v11, v35
	v_dual_mul_f32 v19, v158, v103 :: v_dual_mul_f32 v21, v160, v105
	s_wait_loadcnt_dscnt 0x601
	v_dual_mul_f32 v13, v169, v113 :: v_dual_fma_f32 v35, v156, v100, -v39
	v_dual_fmac_f32 v17, v157, v100 :: v_dual_add_f32 v11, v11, v33
	s_delay_alu instid0(VALU_DEP_3) | instskip(SKIP_1) | instid1(VALU_DEP_2)
	v_dual_add_f32 v9, v9, v15 :: v_dual_fmac_f32 v19, v159, v102
	v_dual_mul_f32 v15, v171, v115 :: v_dual_fma_f32 v33, v158, v102, -v41
	v_dual_add_f32 v11, v11, v35 :: v_dual_add_f32 v9, v9, v17
	v_dual_mul_f32 v23, v162, v107 :: v_dual_mul_f32 v25, v164, v109
	s_wait_loadcnt 0x5
	v_dual_mul_f32 v17, v133, v117 :: v_dual_fma_f32 v35, v160, v104, -v43
	s_delay_alu instid0(VALU_DEP_3) | instskip(SKIP_2) | instid1(VALU_DEP_2)
	v_dual_fmac_f32 v21, v161, v104 :: v_dual_add_f32 v11, v11, v33
	v_dual_add_f32 v9, v9, v19 :: v_dual_mov_b32 v92, v119
	v_dual_fmac_f32 v23, v163, v106 :: v_dual_fma_f32 v19, v162, v106, -v45
	v_dual_add_f32 v11, v11, v35 :: v_dual_add_f32 v9, v9, v21
	v_dual_mul_f32 v27, v166, v111 :: v_dual_mul_f32 v29, v168, v113
	v_dual_fmac_f32 v25, v165, v108 :: v_dual_fma_f32 v21, v164, v108, -v47
	s_wait_loadcnt 0x4
	s_delay_alu instid0(VALU_DEP_3) | instskip(SKIP_1) | instid1(VALU_DEP_2)
	v_dual_add_f32 v9, v9, v23 :: v_dual_mov_b32 v96, v123
	v_dual_add_f32 v11, v11, v19 :: v_dual_fma_f32 v19, v166, v110, -v31
	v_dual_fmac_f32 v27, v167, v110 :: v_dual_add_f32 v9, v9, v25
	v_dual_mul_f32 v187, v170, v115 :: v_dual_mul_f32 v189, v132, v117
	s_delay_alu instid0(VALU_DEP_3) | instskip(NEXT) | instid1(VALU_DEP_3)
	v_dual_add_f32 v11, v11, v21 :: v_dual_fmac_f32 v29, v169, v112
	v_dual_fma_f32 v13, v168, v112, -v13 :: v_dual_add_f32 v9, v9, v27
	s_delay_alu instid0(VALU_DEP_3) | instskip(NEXT) | instid1(VALU_DEP_3)
	v_fmac_f32_e32 v187, v171, v114
	v_dual_add_f32 v11, v11, v19 :: v_dual_fma_f32 v186, v170, v114, -v15
	v_pk_mul_f32 v[92:93], v[178:179], v[92:93] op_sel_hi:[1,0]
	s_delay_alu instid0(VALU_DEP_4) | instskip(SKIP_1) | instid1(VALU_DEP_4)
	v_add_f32_e32 v101, v9, v29
	v_pk_mul_f32 v[94:95], v[136:137], v[120:121] op_sel:[1,1] op_sel_hi:[0,1]
	v_dual_add_f32 v100, v11, v13 :: v_dual_fmac_f32 v189, v133, v116
	s_wait_loadcnt 0x3
	v_dual_mov_b32 v102, v127 :: v_dual_fma_f32 v188, v132, v116, -v17
	v_pk_fma_f32 v[104:105], v[134:135], v[118:119], v[92:93] op_sel_hi:[1,0,1]
	s_delay_alu instid0(VALU_DEP_3)
	v_pk_add_f32 v[100:101], v[100:101], v[186:187]
	v_pk_fma_f32 v[92:93], v[134:135], v[118:119], v[92:93] neg_lo:[0,0,1] neg_hi:[0,0,1]
	v_pk_fma_f32 v[106:107], v[136:137], v[120:121], v[94:95] op_sel_hi:[1,0,1]
	v_pk_mul_f32 v[96:97], v[180:181], v[96:97] op_sel_hi:[1,0]
	v_mov_b32_e32 v93, v105
	v_pk_add_f32 v[100:101], v[100:101], v[188:189]
	v_pk_fma_f32 v[94:95], v[136:137], v[120:121], v[94:95] neg_lo:[0,0,1] neg_hi:[0,0,1]
	v_pk_mul_f32 v[98:99], v[140:141], v[124:125] op_sel:[1,1] op_sel_hi:[0,1]
	v_mov_b32_e32 v95, v107
	v_pk_fma_f32 v[106:107], v[138:139], v[122:123], v[96:97] op_sel_hi:[1,0,1]
	v_pk_add_f32 v[92:93], v[100:101], v[92:93]
	v_pk_fma_f32 v[96:97], v[138:139], v[122:123], v[96:97] neg_lo:[0,0,1] neg_hi:[0,0,1]
	v_pk_fma_f32 v[100:101], v[140:141], v[124:125], v[98:99] op_sel_hi:[1,0,1]
	v_pk_mul_f32 v[102:103], v[182:183], v[102:103] op_sel_hi:[1,0]
	v_mov_b32_e32 v97, v107
	v_pk_add_f32 v[92:93], v[92:93], v[94:95]
	v_pk_fma_f32 v[98:99], v[140:141], v[124:125], v[98:99] neg_lo:[0,0,1] neg_hi:[0,0,1]
	s_wait_loadcnt 0x2
	v_pk_mul_f32 v[104:105], v[144:145], v[128:129] op_sel:[1,1] op_sel_hi:[0,1]
	v_dual_mov_b32 v94, v131 :: v_dual_mov_b32 v99, v101
	v_pk_fma_f32 v[100:101], v[142:143], v[126:127], v[102:103] op_sel_hi:[1,0,1]
	v_pk_add_f32 v[92:93], v[92:93], v[96:97]
	v_pk_fma_f32 v[102:103], v[142:143], v[126:127], v[102:103] neg_lo:[0,0,1] neg_hi:[0,0,1]
	v_pk_fma_f32 v[96:97], v[144:145], v[128:129], v[104:105] op_sel_hi:[1,0,1]
	v_pk_mul_f32 v[94:95], v[184:185], v[94:95] op_sel_hi:[1,0]
	v_mov_b32_e32 v103, v101
	v_pk_add_f32 v[92:93], v[92:93], v[98:99]
	v_pk_fma_f32 v[98:99], v[144:145], v[128:129], v[104:105] neg_lo:[0,0,1] neg_hi:[0,0,1]
	v_mov_b32_e32 v99, v97
	v_pk_fma_f32 v[96:97], v[146:147], v[130:131], v[94:95] op_sel_hi:[1,0,1]
	s_wait_loadcnt_dscnt 0x100
	v_pk_mul_f32 v[100:101], v[176:177], v[172:173] op_sel:[1,1] op_sel_hi:[0,1]
	v_pk_add_f32 v[92:93], v[92:93], v[102:103]
	v_pk_fma_f32 v[94:95], v[146:147], v[130:131], v[94:95] neg_lo:[0,0,1] neg_hi:[0,0,1]
	v_mov_b32_e32 v95, v97
	s_delay_alu instid0(VALU_DEP_4) | instskip(NEXT) | instid1(VALU_DEP_4)
	v_pk_fma_f32 v[96:97], v[176:177], v[172:173], v[100:101] op_sel_hi:[1,0,1]
	v_pk_add_f32 v[92:93], v[92:93], v[98:99]
	v_pk_fma_f32 v[98:99], v[176:177], v[172:173], v[100:101] neg_lo:[0,0,1] neg_hi:[0,0,1]
	s_delay_alu instid0(VALU_DEP_3) | instskip(NEXT) | instid1(VALU_DEP_3)
	v_mov_b32_e32 v99, v97
	v_pk_add_f32 v[92:93], v[92:93], v[94:95]
	s_delay_alu instid0(VALU_DEP_1) | instskip(SKIP_1) | instid1(VALU_DEP_1)
	v_pk_add_f32 v[92:93], v[92:93], v[98:99]
	s_wait_loadcnt 0x0
	v_pk_add_f32 v[92:93], v[174:175], v[92:93] neg_lo:[0,1] neg_hi:[0,1]
	scratch_store_b64 off, v[92:93], off offset:184
	s_wait_xcnt 0x0
	v_cmpx_lt_u32_e32 22, v0
	s_cbranch_execz .LBB108_239
; %bb.238:
	scratch_load_b64 v[92:93], off, off offset:176
	v_mov_b64_e32 v[94:95], 0
	scratch_store_b64 off, v[94:95], off offset:176
	s_wait_loadcnt 0x0
	ds_store_b64 v1, v[92:93]
.LBB108_239:
	s_wait_xcnt 0x0
	s_or_b32 exec_lo, exec_lo, s0
	s_wait_storecnt_dscnt 0x0
	s_barrier_signal -1
	s_barrier_wait -1
	s_clause 0xb
	scratch_load_b128 v[92:95], off, off offset:184
	scratch_load_b128 v[96:99], off, off offset:200
	;; [unrolled: 1-line block ×11, first 2 shown]
	scratch_load_b64 v[180:181], off, off offset:176
	ds_load_2addr_b64 v[136:139], v7 offset0:83 offset1:84
	ds_load_2addr_b64 v[140:143], v7 offset0:85 offset1:86
	;; [unrolled: 1-line block ×11, first 2 shown]
	s_mov_b32 s0, exec_lo
	s_wait_dscnt 0xa
	v_dual_mov_b32 v182, v139 :: v_dual_mov_b32 v183, v138
	s_wait_dscnt 0x9
	v_dual_mov_b32 v184, v143 :: v_dual_mov_b32 v185, v142
	;; [unrolled: 2-line block ×4, first 2 shown]
	s_wait_loadcnt_dscnt 0xb06
	v_dual_mul_f32 v7, v152, v93 :: v_dual_mul_f32 v9, v154, v95
	v_dual_mul_f32 v31, v153, v93 :: v_dual_mul_f32 v33, v155, v95
	s_wait_loadcnt_dscnt 0xa05
	v_dual_mul_f32 v11, v156, v97 :: v_dual_mul_f32 v13, v158, v99
	s_delay_alu instid0(VALU_DEP_3) | instskip(SKIP_3) | instid1(VALU_DEP_3)
	v_dual_fmac_f32 v7, v153, v92 :: v_dual_fmac_f32 v9, v155, v94
	s_wait_loadcnt_dscnt 0x803
	v_dual_fma_f32 v31, v152, v92, -v31 :: v_dual_mul_f32 v43, v165, v105
	v_dual_mul_f32 v35, v157, v97 :: v_dual_mul_f32 v37, v159, v99
	v_dual_fma_f32 v33, v154, v94, -v33 :: v_dual_add_f32 v7, 0, v7
	s_delay_alu instid0(VALU_DEP_3) | instskip(SKIP_1) | instid1(VALU_DEP_4)
	v_dual_add_f32 v31, 0, v31 :: v_dual_fmac_f32 v11, v157, v96
	v_dual_mul_f32 v15, v160, v101 :: v_dual_mul_f32 v17, v162, v103
	v_dual_mul_f32 v45, v167, v107 :: v_dual_fma_f32 v35, v156, v96, -v35
	s_delay_alu instid0(VALU_DEP_4) | instskip(NEXT) | instid1(VALU_DEP_3)
	v_add_f32_e32 v7, v7, v9
	v_dual_add_f32 v9, v31, v33 :: v_dual_fmac_f32 v15, v161, v100
	v_dual_mul_f32 v39, v161, v101 :: v_dual_mul_f32 v41, v163, v103
	s_wait_loadcnt_dscnt 0x702
	v_dual_mul_f32 v31, v169, v109 :: v_dual_fmac_f32 v13, v159, v98
	v_dual_fma_f32 v33, v158, v98, -v37 :: v_dual_add_f32 v7, v7, v11
	s_delay_alu instid0(VALU_DEP_3) | instskip(SKIP_1) | instid1(VALU_DEP_3)
	v_dual_add_f32 v9, v9, v35 :: v_dual_fma_f32 v35, v160, v100, -v39
	v_dual_mul_f32 v19, v164, v105 :: v_dual_mul_f32 v21, v166, v107
	v_add_f32_e32 v7, v7, v13
	s_delay_alu instid0(VALU_DEP_3) | instskip(SKIP_2) | instid1(VALU_DEP_3)
	v_dual_mul_f32 v11, v171, v111 :: v_dual_add_f32 v9, v9, v33
	s_wait_loadcnt_dscnt 0x601
	v_dual_mul_f32 v13, v173, v113 :: v_dual_fmac_f32 v17, v163, v102
	v_dual_fma_f32 v33, v162, v102, -v41 :: v_dual_add_f32 v7, v7, v15
	s_delay_alu instid0(VALU_DEP_3) | instskip(SKIP_1) | instid1(VALU_DEP_3)
	v_dual_add_f32 v9, v9, v35 :: v_dual_fma_f32 v35, v164, v104, -v43
	v_dual_mul_f32 v15, v175, v115 :: v_dual_fmac_f32 v19, v165, v104
	v_add_f32_e32 v7, v7, v17
	s_delay_alu instid0(VALU_DEP_3)
	v_dual_add_f32 v9, v9, v33 :: v_dual_fmac_f32 v21, v167, v106
	v_dual_mul_f32 v23, v168, v109 :: v_dual_mul_f32 v25, v170, v111
	s_wait_loadcnt_dscnt 0x500
	v_dual_fma_f32 v33, v166, v106, -v45 :: v_dual_mul_f32 v17, v177, v117
	v_add_f32_e32 v7, v7, v19
	v_dual_add_f32 v9, v9, v35 :: v_dual_fma_f32 v31, v168, v108, -v31
	v_dual_mul_f32 v19, v179, v119 :: v_dual_fmac_f32 v23, v169, v108
	s_delay_alu instid0(VALU_DEP_3) | instskip(NEXT) | instid1(VALU_DEP_3)
	v_dual_add_f32 v7, v7, v21 :: v_dual_fma_f32 v11, v170, v110, -v11
	v_dual_add_f32 v9, v9, v33 :: v_dual_fmac_f32 v25, v171, v110
	v_dual_mul_f32 v27, v172, v113 :: v_dual_mul_f32 v29, v174, v115
	s_delay_alu instid0(VALU_DEP_3) | instskip(SKIP_1) | instid1(VALU_DEP_3)
	v_add_f32_e32 v7, v7, v23
	s_wait_loadcnt 0x4
	v_dual_add_f32 v9, v9, v31 :: v_dual_mov_b32 v94, v123
	s_delay_alu instid0(VALU_DEP_3) | instskip(NEXT) | instid1(VALU_DEP_2)
	v_dual_fmac_f32 v27, v173, v112 :: v_dual_fma_f32 v13, v172, v112, -v13
	v_dual_add_f32 v7, v7, v25 :: v_dual_add_f32 v9, v9, v11
	v_dual_fmac_f32 v29, v175, v114 :: v_dual_mul_f32 v191, v176, v117
	v_mul_f32_e32 v193, v178, v119
	s_delay_alu instid0(VALU_DEP_3) | instskip(SKIP_4) | instid1(VALU_DEP_3)
	v_dual_fma_f32 v11, v174, v114, -v15 :: v_dual_add_f32 v7, v7, v27
	s_wait_loadcnt 0x3
	v_dual_add_f32 v9, v9, v13 :: v_dual_mov_b32 v98, v127
	v_pk_mul_f32 v[92:93], v[136:137], v[120:121] op_sel:[1,1] op_sel_hi:[0,1]
	v_dual_fmac_f32 v191, v177, v116 :: v_dual_fma_f32 v190, v176, v116, -v17
	v_dual_add_f32 v101, v7, v29 :: v_dual_add_f32 v100, v9, v11
	v_dual_fmac_f32 v193, v179, v118 :: v_dual_fma_f32 v192, v178, v118, -v19
	s_delay_alu instid0(VALU_DEP_4) | instskip(SKIP_1) | instid1(VALU_DEP_4)
	v_pk_fma_f32 v[102:103], v[136:137], v[120:121], v[92:93] op_sel_hi:[1,0,1]
	v_pk_mul_f32 v[94:95], v[182:183], v[94:95] op_sel_hi:[1,0]
	v_pk_add_f32 v[100:101], v[100:101], v[190:191]
	v_pk_fma_f32 v[92:93], v[136:137], v[120:121], v[92:93] neg_lo:[0,0,1] neg_hi:[0,0,1]
	v_pk_mul_f32 v[96:97], v[140:141], v[124:125] op_sel:[1,1] op_sel_hi:[0,1]
	v_mov_b32_e32 v93, v103
	v_pk_fma_f32 v[102:103], v[138:139], v[122:123], v[94:95] op_sel_hi:[1,0,1]
	v_pk_add_f32 v[100:101], v[100:101], v[192:193]
	v_pk_fma_f32 v[94:95], v[138:139], v[122:123], v[94:95] neg_lo:[0,0,1] neg_hi:[0,0,1]
	v_pk_fma_f32 v[106:107], v[140:141], v[124:125], v[96:97] op_sel_hi:[1,0,1]
	v_pk_mul_f32 v[98:99], v[184:185], v[98:99] op_sel_hi:[1,0]
	v_mov_b32_e32 v95, v103
	v_pk_add_f32 v[92:93], v[100:101], v[92:93]
	s_wait_loadcnt 0x2
	v_pk_mul_f32 v[104:105], v[144:145], v[128:129] op_sel:[1,1] op_sel_hi:[0,1]
	v_mov_b32_e32 v100, v131
	v_pk_fma_f32 v[96:97], v[140:141], v[124:125], v[96:97] neg_lo:[0,0,1] neg_hi:[0,0,1]
	v_mov_b32_e32 v97, v107
	v_pk_fma_f32 v[102:103], v[142:143], v[126:127], v[98:99] op_sel_hi:[1,0,1]
	v_pk_add_f32 v[92:93], v[92:93], v[94:95]
	v_pk_fma_f32 v[94:95], v[144:145], v[128:129], v[104:105] op_sel_hi:[1,0,1]
	v_pk_mul_f32 v[100:101], v[186:187], v[100:101] op_sel_hi:[1,0]
	v_pk_fma_f32 v[98:99], v[142:143], v[126:127], v[98:99] neg_lo:[0,0,1] neg_hi:[0,0,1]
	v_mov_b32_e32 v99, v103
	v_pk_add_f32 v[92:93], v[92:93], v[96:97]
	v_pk_fma_f32 v[102:103], v[144:145], v[128:129], v[104:105] neg_lo:[0,0,1] neg_hi:[0,0,1]
	v_mov_b32_e32 v103, v95
	v_pk_fma_f32 v[94:95], v[146:147], v[130:131], v[100:101] op_sel_hi:[1,0,1]
	s_wait_loadcnt 0x1
	v_pk_mul_f32 v[96:97], v[148:149], v[132:133] op_sel:[1,1] op_sel_hi:[0,1]
	v_pk_add_f32 v[92:93], v[92:93], v[98:99]
	v_mov_b32_e32 v94, v135
	v_pk_fma_f32 v[100:101], v[146:147], v[130:131], v[100:101] neg_lo:[0,0,1] neg_hi:[0,0,1]
	v_mov_b32_e32 v101, v95
	v_pk_fma_f32 v[98:99], v[148:149], v[132:133], v[96:97] op_sel_hi:[1,0,1]
	v_pk_add_f32 v[92:93], v[92:93], v[102:103]
	v_pk_mul_f32 v[94:95], v[188:189], v[94:95] op_sel_hi:[1,0]
	v_pk_fma_f32 v[96:97], v[148:149], v[132:133], v[96:97] neg_lo:[0,0,1] neg_hi:[0,0,1]
	s_delay_alu instid0(VALU_DEP_4) | instskip(NEXT) | instid1(VALU_DEP_4)
	v_mov_b32_e32 v97, v99
	v_pk_add_f32 v[92:93], v[92:93], v[100:101]
	s_delay_alu instid0(VALU_DEP_4) | instskip(SKIP_1) | instid1(VALU_DEP_2)
	v_pk_fma_f32 v[98:99], v[150:151], v[134:135], v[94:95] op_sel_hi:[1,0,1]
	v_pk_fma_f32 v[94:95], v[150:151], v[134:135], v[94:95] neg_lo:[0,0,1] neg_hi:[0,0,1]
	v_mov_b32_e32 v95, v99
	s_delay_alu instid0(VALU_DEP_4) | instskip(NEXT) | instid1(VALU_DEP_1)
	v_pk_add_f32 v[92:93], v[92:93], v[96:97]
	v_pk_add_f32 v[92:93], v[92:93], v[94:95]
	s_wait_loadcnt 0x0
	s_delay_alu instid0(VALU_DEP_1)
	v_pk_add_f32 v[92:93], v[180:181], v[92:93] neg_lo:[0,1] neg_hi:[0,1]
	scratch_store_b64 off, v[92:93], off offset:176
	s_wait_xcnt 0x0
	v_cmpx_lt_u32_e32 21, v0
	s_cbranch_execz .LBB108_241
; %bb.240:
	scratch_load_b64 v[92:93], off, off offset:168
	v_mov_b64_e32 v[94:95], 0
	scratch_store_b64 off, v[94:95], off offset:168
	s_wait_loadcnt 0x0
	ds_store_b64 v1, v[92:93]
.LBB108_241:
	s_wait_xcnt 0x0
	s_or_b32 exec_lo, exec_lo, s0
	s_wait_storecnt_dscnt 0x0
	s_barrier_signal -1
	s_barrier_wait -1
	s_clause 0xc
	scratch_load_b128 v[92:95], off, off offset:176
	scratch_load_b128 v[96:99], off, off offset:192
	;; [unrolled: 1-line block ×11, first 2 shown]
	scratch_load_b64 v[180:181], off, off offset:352
	scratch_load_b64 v[182:183], off, off offset:168
	v_mov_b32_e32 v7, 0
	ds_load_b128 v[136:139], v7 offset:656
	ds_load_b128 v[140:143], v7 offset:672
	;; [unrolled: 1-line block ×11, first 2 shown]
	ds_load_b64 v[184:185], v7 offset:720
	s_mov_b32 s0, exec_lo
	s_wait_dscnt 0xb
	v_dual_mov_b32 v186, v139 :: v_dual_mov_b32 v187, v138
	s_wait_dscnt 0x8
	v_dual_mov_b32 v188, v143 :: v_dual_mov_b32 v193, v150
	v_dual_mov_b32 v189, v142 :: v_dual_mov_b32 v190, v147
	;; [unrolled: 1-line block ×3, first 2 shown]
	s_wait_loadcnt_dscnt 0xc07
	v_dual_mul_f32 v9, v152, v93 :: v_dual_mul_f32 v35, v153, v93
	v_dual_mul_f32 v37, v155, v95 :: v_dual_mul_f32 v11, v154, v95
	s_wait_loadcnt_dscnt 0xb06
	v_mul_f32_e32 v13, v156, v97
	s_wait_loadcnt_dscnt 0x904
	v_dual_mul_f32 v47, v165, v105 :: v_dual_fma_f32 v35, v152, v92, -v35
	v_dual_fmac_f32 v9, v153, v92 :: v_dual_mul_f32 v49, v167, v107
	v_dual_mul_f32 v39, v157, v97 :: v_dual_mul_f32 v41, v159, v99
	v_dual_fmac_f32 v11, v155, v94 :: v_dual_fma_f32 v37, v154, v94, -v37
	s_delay_alu instid0(VALU_DEP_3) | instskip(SKIP_4) | instid1(VALU_DEP_3)
	v_dual_add_f32 v9, 0, v9 :: v_dual_add_f32 v35, 0, v35
	v_dual_mul_f32 v15, v158, v99 :: v_dual_mul_f32 v17, v160, v101
	s_wait_loadcnt_dscnt 0x803
	v_dual_mul_f32 v51, v169, v109 :: v_dual_fma_f32 v39, v156, v96, -v39
	v_fmac_f32_e32 v13, v157, v96
	v_dual_add_f32 v9, v9, v11 :: v_dual_fmac_f32 v15, v159, v98
	v_add_f32_e32 v11, v35, v37
	v_dual_mul_f32 v43, v161, v101 :: v_dual_mul_f32 v45, v163, v103
	v_dual_mul_f32 v35, v171, v111 :: v_dual_fma_f32 v37, v158, v98, -v41
	s_delay_alu instid0(VALU_DEP_3) | instskip(SKIP_3) | instid1(VALU_DEP_3)
	v_dual_add_f32 v9, v9, v13 :: v_dual_add_f32 v11, v11, v39
	v_dual_mul_f32 v19, v162, v103 :: v_dual_mul_f32 v21, v164, v105
	s_wait_loadcnt_dscnt 0x701
	v_dual_mul_f32 v13, v177, v113 :: v_dual_fma_f32 v39, v160, v100, -v43
	v_dual_fmac_f32 v17, v161, v100 :: v_dual_add_f32 v11, v11, v37
	s_delay_alu instid0(VALU_DEP_3) | instskip(SKIP_1) | instid1(VALU_DEP_2)
	v_dual_add_f32 v9, v9, v15 :: v_dual_fmac_f32 v19, v163, v102
	v_dual_mul_f32 v15, v179, v115 :: v_dual_fma_f32 v37, v162, v102, -v45
	v_dual_add_f32 v11, v11, v39 :: v_dual_add_f32 v9, v9, v17
	v_dual_mul_f32 v23, v166, v107 :: v_dual_mul_f32 v25, v168, v109
	s_wait_loadcnt 0x6
	v_dual_mul_f32 v17, v173, v117 :: v_dual_fma_f32 v39, v164, v104, -v47
	s_delay_alu instid0(VALU_DEP_3) | instskip(NEXT) | instid1(VALU_DEP_3)
	v_dual_fmac_f32 v21, v165, v104 :: v_dual_add_f32 v11, v11, v37
	v_dual_add_f32 v9, v9, v19 :: v_dual_fmac_f32 v23, v167, v106
	v_dual_mul_f32 v19, v175, v119 :: v_dual_fma_f32 v37, v166, v106, -v49
	s_delay_alu instid0(VALU_DEP_2) | instskip(SKIP_3) | instid1(VALU_DEP_3)
	v_dual_add_f32 v11, v11, v39 :: v_dual_add_f32 v9, v9, v21
	v_dual_mul_f32 v27, v170, v111 :: v_dual_mul_f32 v29, v176, v113
	s_wait_loadcnt 0x5
	v_dual_mul_f32 v21, v137, v121 :: v_dual_fma_f32 v39, v168, v108, -v51
	v_dual_fmac_f32 v25, v169, v108 :: v_dual_add_f32 v11, v11, v37
	v_dual_add_f32 v9, v9, v23 :: v_dual_mov_b32 v92, v123
	v_fmac_f32_e32 v27, v171, v110
	s_delay_alu instid0(VALU_DEP_3) | instskip(NEXT) | instid1(VALU_DEP_3)
	v_dual_fma_f32 v23, v170, v110, -v35 :: v_dual_add_f32 v11, v11, v39
	v_dual_add_f32 v9, v9, v25 :: v_dual_mul_f32 v31, v178, v115
	v_dual_mul_f32 v33, v172, v117 :: v_dual_fmac_f32 v29, v177, v112
	s_delay_alu instid0(VALU_DEP_3) | instskip(SKIP_1) | instid1(VALU_DEP_3)
	v_dual_add_f32 v11, v11, v23 :: v_dual_fma_f32 v13, v176, v112, -v13
	s_wait_loadcnt 0x4
	v_dual_add_f32 v9, v9, v27 :: v_dual_mov_b32 v96, v127
	v_fma_f32 v15, v178, v114, -v15
	v_fmac_f32_e32 v31, v179, v114
	v_dual_add_f32 v11, v11, v13 :: v_dual_fmac_f32 v33, v173, v116
	s_delay_alu instid0(VALU_DEP_4) | instskip(SKIP_1) | instid1(VALU_DEP_3)
	v_dual_add_f32 v9, v9, v29 :: v_dual_mul_f32 v195, v174, v119
	v_mul_f32_e32 v197, v136, v121
	v_dual_fma_f32 v13, v172, v116, -v17 :: v_dual_add_f32 v11, v11, v15
	s_delay_alu instid0(VALU_DEP_3) | instskip(NEXT) | instid1(VALU_DEP_4)
	v_dual_fma_f32 v194, v174, v118, -v19 :: v_dual_add_f32 v9, v9, v31
	v_fmac_f32_e32 v195, v175, v118
	v_pk_mul_f32 v[92:93], v[186:187], v[92:93] op_sel_hi:[1,0]
	s_delay_alu instid0(VALU_DEP_4) | instskip(NEXT) | instid1(VALU_DEP_4)
	v_dual_add_f32 v100, v11, v13 :: v_dual_fmac_f32 v197, v137, v120
	v_add_f32_e32 v101, v9, v33
	v_pk_mul_f32 v[94:95], v[140:141], v[124:125] op_sel:[1,1] op_sel_hi:[0,1]
	s_wait_loadcnt 0x3
	v_dual_mov_b32 v102, v131 :: v_dual_fma_f32 v196, v136, v120, -v21
	v_pk_fma_f32 v[104:105], v[138:139], v[122:123], v[92:93] op_sel_hi:[1,0,1]
	v_pk_add_f32 v[100:101], v[100:101], v[194:195]
	v_pk_fma_f32 v[92:93], v[138:139], v[122:123], v[92:93] neg_lo:[0,0,1] neg_hi:[0,0,1]
	v_pk_fma_f32 v[106:107], v[140:141], v[124:125], v[94:95] op_sel_hi:[1,0,1]
	v_pk_mul_f32 v[96:97], v[188:189], v[96:97] op_sel_hi:[1,0]
	v_mov_b32_e32 v93, v105
	v_pk_add_f32 v[100:101], v[100:101], v[196:197]
	v_pk_fma_f32 v[94:95], v[140:141], v[124:125], v[94:95] neg_lo:[0,0,1] neg_hi:[0,0,1]
	v_pk_mul_f32 v[98:99], v[144:145], v[128:129] op_sel:[1,1] op_sel_hi:[0,1]
	v_mov_b32_e32 v95, v107
	v_pk_fma_f32 v[106:107], v[142:143], v[126:127], v[96:97] op_sel_hi:[1,0,1]
	v_pk_add_f32 v[92:93], v[100:101], v[92:93]
	v_pk_fma_f32 v[96:97], v[142:143], v[126:127], v[96:97] neg_lo:[0,0,1] neg_hi:[0,0,1]
	v_pk_fma_f32 v[100:101], v[144:145], v[128:129], v[98:99] op_sel_hi:[1,0,1]
	v_pk_mul_f32 v[102:103], v[190:191], v[102:103] op_sel_hi:[1,0]
	v_mov_b32_e32 v97, v107
	v_pk_add_f32 v[92:93], v[92:93], v[94:95]
	v_pk_fma_f32 v[98:99], v[144:145], v[128:129], v[98:99] neg_lo:[0,0,1] neg_hi:[0,0,1]
	s_wait_loadcnt 0x2
	v_pk_mul_f32 v[104:105], v[148:149], v[132:133] op_sel:[1,1] op_sel_hi:[0,1]
	v_dual_mov_b32 v94, v135 :: v_dual_mov_b32 v99, v101
	v_pk_fma_f32 v[100:101], v[146:147], v[130:131], v[102:103] op_sel_hi:[1,0,1]
	v_pk_add_f32 v[92:93], v[92:93], v[96:97]
	v_pk_fma_f32 v[102:103], v[146:147], v[130:131], v[102:103] neg_lo:[0,0,1] neg_hi:[0,0,1]
	v_pk_fma_f32 v[96:97], v[148:149], v[132:133], v[104:105] op_sel_hi:[1,0,1]
	v_pk_mul_f32 v[94:95], v[192:193], v[94:95] op_sel_hi:[1,0]
	v_mov_b32_e32 v103, v101
	v_pk_add_f32 v[92:93], v[92:93], v[98:99]
	v_pk_fma_f32 v[98:99], v[148:149], v[132:133], v[104:105] neg_lo:[0,0,1] neg_hi:[0,0,1]
	v_mov_b32_e32 v99, v97
	v_pk_fma_f32 v[96:97], v[150:151], v[134:135], v[94:95] op_sel_hi:[1,0,1]
	s_wait_loadcnt_dscnt 0x100
	v_pk_mul_f32 v[100:101], v[184:185], v[180:181] op_sel:[1,1] op_sel_hi:[0,1]
	v_pk_add_f32 v[92:93], v[92:93], v[102:103]
	v_pk_fma_f32 v[94:95], v[150:151], v[134:135], v[94:95] neg_lo:[0,0,1] neg_hi:[0,0,1]
	v_mov_b32_e32 v95, v97
	s_delay_alu instid0(VALU_DEP_4) | instskip(NEXT) | instid1(VALU_DEP_4)
	v_pk_fma_f32 v[96:97], v[184:185], v[180:181], v[100:101] op_sel_hi:[1,0,1]
	v_pk_add_f32 v[92:93], v[92:93], v[98:99]
	v_pk_fma_f32 v[98:99], v[184:185], v[180:181], v[100:101] neg_lo:[0,0,1] neg_hi:[0,0,1]
	s_delay_alu instid0(VALU_DEP_3) | instskip(NEXT) | instid1(VALU_DEP_3)
	v_mov_b32_e32 v99, v97
	v_pk_add_f32 v[92:93], v[92:93], v[94:95]
	s_delay_alu instid0(VALU_DEP_1) | instskip(SKIP_1) | instid1(VALU_DEP_1)
	v_pk_add_f32 v[92:93], v[92:93], v[98:99]
	s_wait_loadcnt 0x0
	v_pk_add_f32 v[92:93], v[182:183], v[92:93] neg_lo:[0,1] neg_hi:[0,1]
	scratch_store_b64 off, v[92:93], off offset:168
	s_wait_xcnt 0x0
	v_cmpx_lt_u32_e32 20, v0
	s_cbranch_execz .LBB108_243
; %bb.242:
	scratch_load_b64 v[92:93], off, off offset:160
	v_mov_b64_e32 v[94:95], 0
	scratch_store_b64 off, v[94:95], off offset:160
	s_wait_loadcnt 0x0
	ds_store_b64 v1, v[92:93]
.LBB108_243:
	s_wait_xcnt 0x0
	s_or_b32 exec_lo, exec_lo, s0
	s_wait_storecnt_dscnt 0x0
	s_barrier_signal -1
	s_barrier_wait -1
	s_clause 0xc
	scratch_load_b128 v[92:95], off, off offset:168
	scratch_load_b128 v[96:99], off, off offset:184
	;; [unrolled: 1-line block ×12, first 2 shown]
	scratch_load_b64 v[188:189], off, off offset:160
	ds_load_2addr_b64 v[140:143], v7 offset0:83 offset1:84
	ds_load_2addr_b64 v[144:147], v7 offset0:85 offset1:86
	;; [unrolled: 1-line block ×12, first 2 shown]
	s_mov_b32 s0, exec_lo
	s_wait_dscnt 0xb
	v_dual_mov_b32 v190, v143 :: v_dual_mov_b32 v191, v142
	s_wait_dscnt 0xa
	v_dual_mov_b32 v192, v147 :: v_dual_mov_b32 v193, v146
	;; [unrolled: 2-line block ×4, first 2 shown]
	s_wait_loadcnt_dscnt 0xc07
	v_dual_mul_f32 v7, v156, v93 :: v_dual_mul_f32 v9, v158, v95
	v_dual_mul_f32 v35, v157, v93 :: v_dual_mul_f32 v37, v159, v95
	s_wait_loadcnt_dscnt 0xb06
	v_dual_mul_f32 v11, v160, v97 :: v_dual_mul_f32 v13, v162, v99
	s_delay_alu instid0(VALU_DEP_3) | instskip(SKIP_3) | instid1(VALU_DEP_3)
	v_dual_fmac_f32 v7, v157, v92 :: v_dual_fmac_f32 v9, v159, v94
	s_wait_loadcnt_dscnt 0x904
	v_dual_fma_f32 v35, v156, v92, -v35 :: v_dual_mul_f32 v47, v169, v105
	v_dual_mul_f32 v39, v161, v97 :: v_dual_mul_f32 v41, v163, v99
	v_dual_fma_f32 v37, v158, v94, -v37 :: v_dual_add_f32 v7, 0, v7
	s_delay_alu instid0(VALU_DEP_3) | instskip(SKIP_1) | instid1(VALU_DEP_4)
	v_dual_add_f32 v35, 0, v35 :: v_dual_fmac_f32 v11, v161, v96
	v_dual_mul_f32 v15, v164, v101 :: v_dual_mul_f32 v17, v166, v103
	v_dual_mul_f32 v49, v171, v107 :: v_dual_fma_f32 v39, v160, v96, -v39
	s_delay_alu instid0(VALU_DEP_4) | instskip(NEXT) | instid1(VALU_DEP_3)
	v_add_f32_e32 v7, v7, v9
	v_dual_add_f32 v9, v35, v37 :: v_dual_fmac_f32 v15, v165, v100
	v_dual_mul_f32 v43, v165, v101 :: v_dual_mul_f32 v45, v167, v103
	s_wait_loadcnt_dscnt 0x803
	v_dual_mul_f32 v35, v173, v109 :: v_dual_fmac_f32 v13, v163, v98
	v_dual_fma_f32 v37, v162, v98, -v41 :: v_dual_add_f32 v7, v7, v11
	s_delay_alu instid0(VALU_DEP_3) | instskip(SKIP_1) | instid1(VALU_DEP_3)
	v_dual_add_f32 v9, v9, v39 :: v_dual_fma_f32 v39, v164, v100, -v43
	v_dual_mul_f32 v19, v168, v105 :: v_dual_mul_f32 v21, v170, v107
	v_add_f32_e32 v7, v7, v13
	s_delay_alu instid0(VALU_DEP_3) | instskip(SKIP_2) | instid1(VALU_DEP_3)
	v_dual_mul_f32 v11, v175, v111 :: v_dual_add_f32 v9, v9, v37
	s_wait_loadcnt_dscnt 0x702
	v_dual_mul_f32 v13, v177, v113 :: v_dual_fmac_f32 v17, v167, v102
	v_dual_fma_f32 v37, v166, v102, -v45 :: v_dual_add_f32 v7, v7, v15
	s_delay_alu instid0(VALU_DEP_3) | instskip(SKIP_1) | instid1(VALU_DEP_3)
	v_dual_add_f32 v9, v9, v39 :: v_dual_fma_f32 v39, v168, v104, -v47
	v_dual_mul_f32 v15, v179, v115 :: v_dual_fmac_f32 v19, v169, v104
	v_add_f32_e32 v7, v7, v17
	s_delay_alu instid0(VALU_DEP_3)
	v_dual_add_f32 v9, v9, v37 :: v_dual_fmac_f32 v21, v171, v106
	v_dual_mul_f32 v23, v172, v109 :: v_dual_mul_f32 v25, v174, v111
	s_wait_loadcnt_dscnt 0x601
	v_dual_fma_f32 v37, v170, v106, -v49 :: v_dual_mul_f32 v17, v181, v117
	v_add_f32_e32 v7, v7, v19
	v_dual_add_f32 v9, v9, v39 :: v_dual_fma_f32 v35, v172, v108, -v35
	v_dual_mul_f32 v19, v183, v119 :: v_dual_fmac_f32 v23, v173, v108
	s_delay_alu instid0(VALU_DEP_3) | instskip(NEXT) | instid1(VALU_DEP_3)
	v_dual_add_f32 v7, v7, v21 :: v_dual_fma_f32 v11, v174, v110, -v11
	v_dual_add_f32 v9, v9, v37 :: v_dual_fmac_f32 v25, v175, v110
	v_dual_mul_f32 v27, v176, v113 :: v_dual_mul_f32 v29, v178, v115
	s_wait_loadcnt_dscnt 0x500
	s_delay_alu instid0(VALU_DEP_3) | instskip(NEXT) | instid1(VALU_DEP_3)
	v_dual_mul_f32 v21, v185, v121 :: v_dual_add_f32 v7, v7, v23
	v_dual_add_f32 v9, v9, v35 :: v_dual_fma_f32 v13, v176, v112, -v13
	s_delay_alu instid0(VALU_DEP_3) | instskip(NEXT) | instid1(VALU_DEP_2)
	v_dual_mul_f32 v23, v187, v123 :: v_dual_fmac_f32 v27, v177, v112
	v_dual_add_f32 v7, v7, v25 :: v_dual_add_f32 v9, v9, v11
	v_dual_mul_f32 v31, v180, v117 :: v_dual_mul_f32 v33, v182, v119
	v_dual_fmac_f32 v29, v179, v114 :: v_dual_fma_f32 v11, v178, v114, -v15
	s_delay_alu instid0(VALU_DEP_3) | instskip(SKIP_1) | instid1(VALU_DEP_3)
	v_dual_add_f32 v7, v7, v27 :: v_dual_add_f32 v9, v9, v13
	s_wait_loadcnt 0x4
	v_dual_mov_b32 v94, v127 :: v_dual_fmac_f32 v31, v181, v116
	s_delay_alu instid0(VALU_DEP_2) | instskip(NEXT) | instid1(VALU_DEP_3)
	v_dual_fma_f32 v13, v180, v116, -v17 :: v_dual_add_f32 v7, v7, v29
	v_dual_add_f32 v9, v9, v11 :: v_dual_fmac_f32 v33, v183, v118
	v_dual_mul_f32 v199, v184, v121 :: v_dual_mul_f32 v201, v186, v123
	s_delay_alu instid0(VALU_DEP_3) | instskip(SKIP_1) | instid1(VALU_DEP_3)
	v_dual_fma_f32 v11, v182, v118, -v19 :: v_dual_add_f32 v7, v7, v31
	s_wait_loadcnt 0x3
	v_dual_add_f32 v9, v9, v13 :: v_dual_mov_b32 v98, v131
	v_pk_mul_f32 v[92:93], v[140:141], v[124:125] op_sel:[1,1] op_sel_hi:[0,1]
	v_dual_fmac_f32 v199, v185, v120 :: v_dual_fma_f32 v198, v184, v120, -v21
	s_delay_alu instid0(VALU_DEP_3) | instskip(SKIP_1) | instid1(VALU_DEP_4)
	v_dual_add_f32 v101, v7, v33 :: v_dual_add_f32 v100, v9, v11
	v_dual_fmac_f32 v201, v187, v122 :: v_dual_fma_f32 v200, v186, v122, -v23
	v_pk_fma_f32 v[102:103], v[140:141], v[124:125], v[92:93] op_sel_hi:[1,0,1]
	v_pk_mul_f32 v[94:95], v[190:191], v[94:95] op_sel_hi:[1,0]
	s_delay_alu instid0(VALU_DEP_4)
	v_pk_add_f32 v[100:101], v[100:101], v[198:199]
	v_pk_fma_f32 v[92:93], v[140:141], v[124:125], v[92:93] neg_lo:[0,0,1] neg_hi:[0,0,1]
	v_pk_mul_f32 v[96:97], v[144:145], v[128:129] op_sel:[1,1] op_sel_hi:[0,1]
	v_mov_b32_e32 v93, v103
	v_pk_fma_f32 v[102:103], v[142:143], v[126:127], v[94:95] op_sel_hi:[1,0,1]
	v_pk_add_f32 v[100:101], v[100:101], v[200:201]
	v_pk_fma_f32 v[94:95], v[142:143], v[126:127], v[94:95] neg_lo:[0,0,1] neg_hi:[0,0,1]
	v_pk_fma_f32 v[106:107], v[144:145], v[128:129], v[96:97] op_sel_hi:[1,0,1]
	v_pk_mul_f32 v[98:99], v[192:193], v[98:99] op_sel_hi:[1,0]
	v_mov_b32_e32 v95, v103
	v_pk_add_f32 v[92:93], v[100:101], v[92:93]
	s_wait_loadcnt 0x2
	v_pk_mul_f32 v[104:105], v[148:149], v[132:133] op_sel:[1,1] op_sel_hi:[0,1]
	v_mov_b32_e32 v100, v135
	v_pk_fma_f32 v[96:97], v[144:145], v[128:129], v[96:97] neg_lo:[0,0,1] neg_hi:[0,0,1]
	v_mov_b32_e32 v97, v107
	v_pk_fma_f32 v[102:103], v[146:147], v[130:131], v[98:99] op_sel_hi:[1,0,1]
	v_pk_add_f32 v[92:93], v[92:93], v[94:95]
	v_pk_fma_f32 v[94:95], v[148:149], v[132:133], v[104:105] op_sel_hi:[1,0,1]
	v_pk_mul_f32 v[100:101], v[194:195], v[100:101] op_sel_hi:[1,0]
	v_pk_fma_f32 v[98:99], v[146:147], v[130:131], v[98:99] neg_lo:[0,0,1] neg_hi:[0,0,1]
	v_mov_b32_e32 v99, v103
	v_pk_add_f32 v[92:93], v[92:93], v[96:97]
	v_pk_fma_f32 v[102:103], v[148:149], v[132:133], v[104:105] neg_lo:[0,0,1] neg_hi:[0,0,1]
	v_mov_b32_e32 v103, v95
	v_pk_fma_f32 v[94:95], v[150:151], v[134:135], v[100:101] op_sel_hi:[1,0,1]
	s_wait_loadcnt 0x1
	v_pk_mul_f32 v[96:97], v[152:153], v[136:137] op_sel:[1,1] op_sel_hi:[0,1]
	v_pk_add_f32 v[92:93], v[92:93], v[98:99]
	v_mov_b32_e32 v94, v139
	v_pk_fma_f32 v[100:101], v[150:151], v[134:135], v[100:101] neg_lo:[0,0,1] neg_hi:[0,0,1]
	v_mov_b32_e32 v101, v95
	v_pk_fma_f32 v[98:99], v[152:153], v[136:137], v[96:97] op_sel_hi:[1,0,1]
	v_pk_add_f32 v[92:93], v[92:93], v[102:103]
	v_pk_mul_f32 v[94:95], v[196:197], v[94:95] op_sel_hi:[1,0]
	v_pk_fma_f32 v[96:97], v[152:153], v[136:137], v[96:97] neg_lo:[0,0,1] neg_hi:[0,0,1]
	s_delay_alu instid0(VALU_DEP_4) | instskip(NEXT) | instid1(VALU_DEP_4)
	v_mov_b32_e32 v97, v99
	v_pk_add_f32 v[92:93], v[92:93], v[100:101]
	s_delay_alu instid0(VALU_DEP_4) | instskip(SKIP_1) | instid1(VALU_DEP_2)
	v_pk_fma_f32 v[98:99], v[154:155], v[138:139], v[94:95] op_sel_hi:[1,0,1]
	v_pk_fma_f32 v[94:95], v[154:155], v[138:139], v[94:95] neg_lo:[0,0,1] neg_hi:[0,0,1]
	v_mov_b32_e32 v95, v99
	s_delay_alu instid0(VALU_DEP_4) | instskip(NEXT) | instid1(VALU_DEP_1)
	v_pk_add_f32 v[92:93], v[92:93], v[96:97]
	v_pk_add_f32 v[92:93], v[92:93], v[94:95]
	s_wait_loadcnt 0x0
	s_delay_alu instid0(VALU_DEP_1)
	v_pk_add_f32 v[92:93], v[188:189], v[92:93] neg_lo:[0,1] neg_hi:[0,1]
	scratch_store_b64 off, v[92:93], off offset:160
	s_wait_xcnt 0x0
	v_cmpx_lt_u32_e32 19, v0
	s_cbranch_execz .LBB108_245
; %bb.244:
	scratch_load_b64 v[92:93], off, off offset:152
	v_mov_b64_e32 v[94:95], 0
	scratch_store_b64 off, v[94:95], off offset:152
	s_wait_loadcnt 0x0
	ds_store_b64 v1, v[92:93]
.LBB108_245:
	s_wait_xcnt 0x0
	s_or_b32 exec_lo, exec_lo, s0
	s_wait_storecnt_dscnt 0x0
	s_barrier_signal -1
	s_barrier_wait -1
	s_clause 0xd
	scratch_load_b128 v[92:95], off, off offset:160
	scratch_load_b128 v[96:99], off, off offset:176
	;; [unrolled: 1-line block ×12, first 2 shown]
	scratch_load_b64 v[188:189], off, off offset:352
	scratch_load_b64 v[190:191], off, off offset:152
	v_mov_b32_e32 v7, 0
	ds_load_b128 v[140:143], v7 offset:656
	ds_load_b128 v[144:147], v7 offset:672
	;; [unrolled: 1-line block ×12, first 2 shown]
	ds_load_b64 v[192:193], v7 offset:720
	s_mov_b32 s0, exec_lo
	s_wait_dscnt 0xc
	v_dual_mov_b32 v194, v143 :: v_dual_mov_b32 v195, v142
	s_wait_dscnt 0x9
	v_dual_mov_b32 v196, v147 :: v_dual_mov_b32 v201, v154
	v_dual_mov_b32 v197, v146 :: v_dual_mov_b32 v198, v151
	;; [unrolled: 1-line block ×3, first 2 shown]
	s_wait_loadcnt_dscnt 0xd08
	v_dual_mul_f32 v9, v156, v93 :: v_dual_mul_f32 v39, v157, v93
	v_dual_mul_f32 v41, v159, v95 :: v_dual_mul_f32 v11, v158, v95
	s_wait_loadcnt_dscnt 0xc07
	v_mul_f32_e32 v13, v160, v97
	s_wait_loadcnt_dscnt 0xa05
	v_dual_mul_f32 v51, v169, v105 :: v_dual_fma_f32 v39, v156, v92, -v39
	v_dual_fmac_f32 v9, v157, v92 :: v_dual_mul_f32 v53, v171, v107
	v_dual_mul_f32 v43, v161, v97 :: v_dual_mul_f32 v45, v163, v99
	v_dual_fmac_f32 v11, v159, v94 :: v_dual_fma_f32 v41, v158, v94, -v41
	s_delay_alu instid0(VALU_DEP_3) | instskip(SKIP_4) | instid1(VALU_DEP_3)
	v_dual_add_f32 v9, 0, v9 :: v_dual_add_f32 v39, 0, v39
	v_dual_mul_f32 v15, v162, v99 :: v_dual_mul_f32 v17, v164, v101
	s_wait_loadcnt_dscnt 0x904
	v_dual_mul_f32 v55, v173, v109 :: v_dual_fma_f32 v43, v160, v96, -v43
	v_fmac_f32_e32 v13, v161, v96
	v_dual_add_f32 v9, v9, v11 :: v_dual_fmac_f32 v15, v163, v98
	v_add_f32_e32 v11, v39, v41
	v_dual_mul_f32 v47, v165, v101 :: v_dual_mul_f32 v49, v167, v103
	v_dual_mul_f32 v39, v175, v111 :: v_dual_fma_f32 v41, v162, v98, -v45
	s_delay_alu instid0(VALU_DEP_3) | instskip(SKIP_3) | instid1(VALU_DEP_3)
	v_dual_add_f32 v9, v9, v13 :: v_dual_add_f32 v11, v11, v43
	v_dual_mul_f32 v19, v166, v103 :: v_dual_mul_f32 v21, v168, v105
	s_wait_loadcnt_dscnt 0x803
	v_dual_mul_f32 v13, v177, v113 :: v_dual_fma_f32 v43, v164, v100, -v47
	v_dual_fmac_f32 v17, v165, v100 :: v_dual_add_f32 v11, v11, v41
	s_delay_alu instid0(VALU_DEP_3) | instskip(SKIP_1) | instid1(VALU_DEP_2)
	v_dual_add_f32 v9, v9, v15 :: v_dual_fmac_f32 v19, v167, v102
	v_dual_mul_f32 v15, v179, v115 :: v_dual_fma_f32 v41, v166, v102, -v49
	v_dual_add_f32 v11, v11, v43 :: v_dual_add_f32 v9, v9, v17
	v_dual_mul_f32 v23, v170, v107 :: v_dual_mul_f32 v25, v172, v109
	s_wait_loadcnt_dscnt 0x702
	v_dual_mul_f32 v17, v181, v117 :: v_dual_fma_f32 v43, v168, v104, -v51
	s_delay_alu instid0(VALU_DEP_3) | instskip(NEXT) | instid1(VALU_DEP_3)
	v_dual_fmac_f32 v21, v169, v104 :: v_dual_add_f32 v11, v11, v41
	v_dual_add_f32 v9, v9, v19 :: v_dual_fmac_f32 v23, v171, v106
	v_dual_mul_f32 v19, v183, v119 :: v_dual_fma_f32 v41, v170, v106, -v53
	s_delay_alu instid0(VALU_DEP_2) | instskip(SKIP_3) | instid1(VALU_DEP_3)
	v_dual_add_f32 v11, v11, v43 :: v_dual_add_f32 v9, v9, v21
	v_dual_mul_f32 v27, v174, v111 :: v_dual_mul_f32 v29, v176, v113
	s_wait_loadcnt_dscnt 0x601
	v_dual_mul_f32 v21, v185, v121 :: v_dual_fma_f32 v43, v172, v108, -v55
	v_dual_fmac_f32 v25, v173, v108 :: v_dual_add_f32 v11, v11, v41
	s_delay_alu instid0(VALU_DEP_3) | instskip(SKIP_1) | instid1(VALU_DEP_2)
	v_dual_add_f32 v9, v9, v23 :: v_dual_fmac_f32 v27, v175, v110
	v_dual_mul_f32 v23, v187, v123 :: v_dual_fma_f32 v39, v174, v110, -v39
	v_dual_add_f32 v11, v11, v43 :: v_dual_add_f32 v9, v9, v25
	v_dual_mul_f32 v31, v178, v115 :: v_dual_mul_f32 v33, v180, v117
	s_wait_loadcnt 0x5
	v_dual_mul_f32 v25, v141, v125 :: v_dual_fma_f32 v13, v176, v112, -v13
	s_delay_alu instid0(VALU_DEP_3) | instskip(SKIP_2) | instid1(VALU_DEP_3)
	v_dual_fmac_f32 v29, v177, v112 :: v_dual_add_f32 v11, v11, v39
	v_dual_add_f32 v9, v9, v27 :: v_dual_mov_b32 v92, v127
	v_fmac_f32_e32 v31, v179, v114
	v_dual_fma_f32 v15, v178, v114, -v15 :: v_dual_add_f32 v11, v11, v13
	s_delay_alu instid0(VALU_DEP_3) | instskip(SKIP_1) | instid1(VALU_DEP_3)
	v_dual_add_f32 v9, v9, v29 :: v_dual_mul_f32 v35, v182, v119
	v_dual_mul_f32 v37, v184, v121 :: v_dual_fmac_f32 v33, v181, v116
	v_dual_add_f32 v11, v11, v15 :: v_dual_fma_f32 v13, v180, v116, -v17
	s_wait_loadcnt 0x4
	s_delay_alu instid0(VALU_DEP_3) | instskip(SKIP_3) | instid1(VALU_DEP_4)
	v_dual_add_f32 v9, v9, v31 :: v_dual_mov_b32 v96, v131
	v_fma_f32 v15, v182, v118, -v19
	v_fmac_f32_e32 v35, v183, v118
	v_dual_add_f32 v11, v11, v13 :: v_dual_fmac_f32 v37, v185, v120
	v_dual_add_f32 v9, v9, v33 :: v_dual_mul_f32 v203, v186, v123
	v_mul_f32_e32 v205, v140, v125
	s_delay_alu instid0(VALU_DEP_3) | instskip(NEXT) | instid1(VALU_DEP_3)
	v_dual_fma_f32 v13, v184, v120, -v21 :: v_dual_add_f32 v11, v11, v15
	v_dual_fma_f32 v202, v186, v122, -v23 :: v_dual_add_f32 v9, v9, v35
	s_delay_alu instid0(VALU_DEP_4) | instskip(SKIP_1) | instid1(VALU_DEP_4)
	v_fmac_f32_e32 v203, v187, v122
	v_pk_mul_f32 v[92:93], v[194:195], v[92:93] op_sel_hi:[1,0]
	v_dual_add_f32 v100, v11, v13 :: v_dual_fmac_f32 v205, v141, v124
	s_delay_alu instid0(VALU_DEP_4)
	v_add_f32_e32 v101, v9, v37
	v_pk_mul_f32 v[94:95], v[144:145], v[128:129] op_sel:[1,1] op_sel_hi:[0,1]
	s_wait_loadcnt 0x3
	v_dual_mov_b32 v102, v135 :: v_dual_fma_f32 v204, v140, v124, -v25
	v_pk_fma_f32 v[104:105], v[142:143], v[126:127], v[92:93] op_sel_hi:[1,0,1]
	v_pk_add_f32 v[100:101], v[100:101], v[202:203]
	v_pk_fma_f32 v[92:93], v[142:143], v[126:127], v[92:93] neg_lo:[0,0,1] neg_hi:[0,0,1]
	v_pk_fma_f32 v[106:107], v[144:145], v[128:129], v[94:95] op_sel_hi:[1,0,1]
	v_pk_mul_f32 v[96:97], v[196:197], v[96:97] op_sel_hi:[1,0]
	v_mov_b32_e32 v93, v105
	v_pk_add_f32 v[100:101], v[100:101], v[204:205]
	v_pk_fma_f32 v[94:95], v[144:145], v[128:129], v[94:95] neg_lo:[0,0,1] neg_hi:[0,0,1]
	v_pk_mul_f32 v[98:99], v[148:149], v[132:133] op_sel:[1,1] op_sel_hi:[0,1]
	v_mov_b32_e32 v95, v107
	v_pk_fma_f32 v[106:107], v[146:147], v[130:131], v[96:97] op_sel_hi:[1,0,1]
	v_pk_add_f32 v[92:93], v[100:101], v[92:93]
	v_pk_fma_f32 v[96:97], v[146:147], v[130:131], v[96:97] neg_lo:[0,0,1] neg_hi:[0,0,1]
	v_pk_fma_f32 v[100:101], v[148:149], v[132:133], v[98:99] op_sel_hi:[1,0,1]
	v_pk_mul_f32 v[102:103], v[198:199], v[102:103] op_sel_hi:[1,0]
	v_mov_b32_e32 v97, v107
	v_pk_add_f32 v[92:93], v[92:93], v[94:95]
	v_pk_fma_f32 v[98:99], v[148:149], v[132:133], v[98:99] neg_lo:[0,0,1] neg_hi:[0,0,1]
	s_wait_loadcnt 0x2
	v_pk_mul_f32 v[104:105], v[152:153], v[136:137] op_sel:[1,1] op_sel_hi:[0,1]
	v_dual_mov_b32 v94, v139 :: v_dual_mov_b32 v99, v101
	v_pk_fma_f32 v[100:101], v[150:151], v[134:135], v[102:103] op_sel_hi:[1,0,1]
	v_pk_add_f32 v[92:93], v[92:93], v[96:97]
	v_pk_fma_f32 v[102:103], v[150:151], v[134:135], v[102:103] neg_lo:[0,0,1] neg_hi:[0,0,1]
	v_pk_fma_f32 v[96:97], v[152:153], v[136:137], v[104:105] op_sel_hi:[1,0,1]
	v_pk_mul_f32 v[94:95], v[200:201], v[94:95] op_sel_hi:[1,0]
	v_mov_b32_e32 v103, v101
	v_pk_add_f32 v[92:93], v[92:93], v[98:99]
	v_pk_fma_f32 v[98:99], v[152:153], v[136:137], v[104:105] neg_lo:[0,0,1] neg_hi:[0,0,1]
	v_mov_b32_e32 v99, v97
	v_pk_fma_f32 v[96:97], v[154:155], v[138:139], v[94:95] op_sel_hi:[1,0,1]
	s_wait_loadcnt_dscnt 0x100
	v_pk_mul_f32 v[100:101], v[192:193], v[188:189] op_sel:[1,1] op_sel_hi:[0,1]
	v_pk_add_f32 v[92:93], v[92:93], v[102:103]
	v_pk_fma_f32 v[94:95], v[154:155], v[138:139], v[94:95] neg_lo:[0,0,1] neg_hi:[0,0,1]
	v_mov_b32_e32 v95, v97
	s_delay_alu instid0(VALU_DEP_4) | instskip(NEXT) | instid1(VALU_DEP_4)
	v_pk_fma_f32 v[96:97], v[192:193], v[188:189], v[100:101] op_sel_hi:[1,0,1]
	v_pk_add_f32 v[92:93], v[92:93], v[98:99]
	v_pk_fma_f32 v[98:99], v[192:193], v[188:189], v[100:101] neg_lo:[0,0,1] neg_hi:[0,0,1]
	s_delay_alu instid0(VALU_DEP_3) | instskip(NEXT) | instid1(VALU_DEP_3)
	v_mov_b32_e32 v99, v97
	v_pk_add_f32 v[92:93], v[92:93], v[94:95]
	s_delay_alu instid0(VALU_DEP_1) | instskip(SKIP_1) | instid1(VALU_DEP_1)
	v_pk_add_f32 v[92:93], v[92:93], v[98:99]
	s_wait_loadcnt 0x0
	v_pk_add_f32 v[92:93], v[190:191], v[92:93] neg_lo:[0,1] neg_hi:[0,1]
	scratch_store_b64 off, v[92:93], off offset:152
	s_wait_xcnt 0x0
	v_cmpx_lt_u32_e32 18, v0
	s_cbranch_execz .LBB108_247
; %bb.246:
	scratch_load_b64 v[92:93], off, off offset:144
	v_mov_b64_e32 v[94:95], 0
	scratch_store_b64 off, v[94:95], off offset:144
	s_wait_loadcnt 0x0
	ds_store_b64 v1, v[92:93]
.LBB108_247:
	s_wait_xcnt 0x0
	s_or_b32 exec_lo, exec_lo, s0
	s_wait_storecnt_dscnt 0x0
	s_barrier_signal -1
	s_barrier_wait -1
	s_clause 0xd
	scratch_load_b128 v[92:95], off, off offset:152
	scratch_load_b128 v[96:99], off, off offset:168
	;; [unrolled: 1-line block ×13, first 2 shown]
	scratch_load_b64 v[196:197], off, off offset:144
	ds_load_2addr_b64 v[144:147], v7 offset0:83 offset1:84
	ds_load_2addr_b64 v[148:151], v7 offset0:85 offset1:86
	;; [unrolled: 1-line block ×13, first 2 shown]
	s_mov_b32 s0, exec_lo
	s_wait_dscnt 0xc
	v_dual_mov_b32 v198, v147 :: v_dual_mov_b32 v199, v146
	s_wait_dscnt 0xb
	v_dual_mov_b32 v200, v151 :: v_dual_mov_b32 v201, v150
	;; [unrolled: 2-line block ×4, first 2 shown]
	s_wait_loadcnt_dscnt 0xd08
	v_dual_mul_f32 v7, v160, v93 :: v_dual_mul_f32 v9, v162, v95
	v_dual_mul_f32 v39, v161, v93 :: v_dual_mul_f32 v41, v163, v95
	s_wait_loadcnt_dscnt 0xc07
	v_dual_mul_f32 v11, v164, v97 :: v_dual_mul_f32 v13, v166, v99
	s_delay_alu instid0(VALU_DEP_3) | instskip(SKIP_3) | instid1(VALU_DEP_3)
	v_dual_fmac_f32 v7, v161, v92 :: v_dual_fmac_f32 v9, v163, v94
	s_wait_loadcnt_dscnt 0xa05
	v_dual_fma_f32 v39, v160, v92, -v39 :: v_dual_mul_f32 v51, v173, v105
	v_dual_mul_f32 v43, v165, v97 :: v_dual_mul_f32 v45, v167, v99
	v_dual_fma_f32 v41, v162, v94, -v41 :: v_dual_add_f32 v7, 0, v7
	s_delay_alu instid0(VALU_DEP_3) | instskip(SKIP_1) | instid1(VALU_DEP_4)
	v_dual_add_f32 v39, 0, v39 :: v_dual_fmac_f32 v11, v165, v96
	v_dual_mul_f32 v15, v168, v101 :: v_dual_mul_f32 v17, v170, v103
	v_dual_mul_f32 v53, v175, v107 :: v_dual_fma_f32 v43, v164, v96, -v43
	s_delay_alu instid0(VALU_DEP_4) | instskip(NEXT) | instid1(VALU_DEP_3)
	v_add_f32_e32 v7, v7, v9
	v_dual_add_f32 v9, v39, v41 :: v_dual_fmac_f32 v15, v169, v100
	v_dual_mul_f32 v47, v169, v101 :: v_dual_mul_f32 v49, v171, v103
	s_wait_loadcnt_dscnt 0x903
	v_dual_mul_f32 v39, v181, v109 :: v_dual_fmac_f32 v13, v167, v98
	v_dual_fma_f32 v41, v166, v98, -v45 :: v_dual_add_f32 v7, v7, v11
	s_delay_alu instid0(VALU_DEP_3) | instskip(SKIP_1) | instid1(VALU_DEP_3)
	v_dual_add_f32 v9, v9, v43 :: v_dual_fma_f32 v43, v168, v100, -v47
	v_dual_mul_f32 v19, v172, v105 :: v_dual_mul_f32 v21, v174, v107
	v_add_f32_e32 v7, v7, v13
	s_delay_alu instid0(VALU_DEP_3) | instskip(SKIP_2) | instid1(VALU_DEP_3)
	v_dual_mul_f32 v11, v183, v111 :: v_dual_add_f32 v9, v9, v41
	s_wait_loadcnt_dscnt 0x802
	v_dual_mul_f32 v13, v185, v113 :: v_dual_fmac_f32 v17, v171, v102
	v_dual_fma_f32 v41, v170, v102, -v49 :: v_dual_add_f32 v7, v7, v15
	s_delay_alu instid0(VALU_DEP_3) | instskip(SKIP_1) | instid1(VALU_DEP_3)
	v_dual_add_f32 v9, v9, v43 :: v_dual_fma_f32 v43, v172, v104, -v51
	v_dual_mul_f32 v15, v187, v115 :: v_dual_fmac_f32 v19, v173, v104
	v_add_f32_e32 v7, v7, v17
	s_delay_alu instid0(VALU_DEP_3)
	v_dual_add_f32 v9, v9, v41 :: v_dual_fmac_f32 v21, v175, v106
	v_dual_mul_f32 v23, v180, v109 :: v_dual_mul_f32 v25, v182, v111
	s_wait_loadcnt_dscnt 0x701
	v_dual_fma_f32 v41, v174, v106, -v53 :: v_dual_mul_f32 v17, v189, v117
	v_add_f32_e32 v7, v7, v19
	v_dual_add_f32 v9, v9, v43 :: v_dual_fma_f32 v39, v180, v108, -v39
	v_dual_mul_f32 v19, v191, v119 :: v_dual_fmac_f32 v23, v181, v108
	s_delay_alu instid0(VALU_DEP_3) | instskip(NEXT) | instid1(VALU_DEP_3)
	v_dual_add_f32 v7, v7, v21 :: v_dual_fma_f32 v11, v182, v110, -v11
	v_dual_add_f32 v9, v9, v41 :: v_dual_fmac_f32 v25, v183, v110
	v_dual_mul_f32 v27, v184, v113 :: v_dual_mul_f32 v29, v186, v115
	s_wait_loadcnt_dscnt 0x600
	s_delay_alu instid0(VALU_DEP_3) | instskip(NEXT) | instid1(VALU_DEP_3)
	v_dual_mul_f32 v21, v193, v121 :: v_dual_add_f32 v7, v7, v23
	v_dual_add_f32 v9, v9, v39 :: v_dual_fma_f32 v13, v184, v112, -v13
	s_delay_alu instid0(VALU_DEP_3) | instskip(NEXT) | instid1(VALU_DEP_2)
	v_dual_mul_f32 v23, v195, v123 :: v_dual_fmac_f32 v27, v185, v112
	v_dual_add_f32 v7, v7, v25 :: v_dual_add_f32 v9, v9, v11
	v_dual_mul_f32 v31, v188, v117 :: v_dual_mul_f32 v33, v190, v119
	s_wait_loadcnt 0x5
	v_dual_mul_f32 v11, v177, v125 :: v_dual_fmac_f32 v29, v187, v114
	s_delay_alu instid0(VALU_DEP_3) | instskip(SKIP_2) | instid1(VALU_DEP_2)
	v_dual_fma_f32 v15, v186, v114, -v15 :: v_dual_add_f32 v7, v7, v27
	v_dual_add_f32 v9, v9, v13 :: v_dual_mul_f32 v13, v179, v127
	v_dual_fmac_f32 v31, v189, v116 :: v_dual_fma_f32 v17, v188, v116, -v17
	v_dual_add_f32 v7, v7, v29 :: v_dual_add_f32 v9, v9, v15
	v_dual_mul_f32 v35, v192, v121 :: v_dual_mul_f32 v37, v194, v123
	v_dual_fmac_f32 v33, v191, v118 :: v_dual_fma_f32 v15, v190, v118, -v19
	s_delay_alu instid0(VALU_DEP_3) | instskip(SKIP_1) | instid1(VALU_DEP_3)
	v_dual_add_f32 v7, v7, v31 :: v_dual_add_f32 v9, v9, v17
	s_wait_loadcnt 0x4
	v_dual_mov_b32 v94, v131 :: v_dual_fmac_f32 v35, v193, v120
	s_delay_alu instid0(VALU_DEP_2) | instskip(NEXT) | instid1(VALU_DEP_3)
	v_dual_fma_f32 v17, v192, v120, -v21 :: v_dual_add_f32 v7, v7, v33
	v_dual_add_f32 v9, v9, v15 :: v_dual_fmac_f32 v37, v195, v122
	v_dual_mul_f32 v207, v176, v125 :: v_dual_mul_f32 v209, v178, v127
	s_delay_alu instid0(VALU_DEP_3) | instskip(SKIP_1) | instid1(VALU_DEP_3)
	v_dual_fma_f32 v15, v194, v122, -v23 :: v_dual_add_f32 v7, v7, v35
	s_wait_loadcnt 0x3
	v_dual_add_f32 v9, v9, v17 :: v_dual_mov_b32 v98, v135
	v_pk_mul_f32 v[92:93], v[144:145], v[128:129] op_sel:[1,1] op_sel_hi:[0,1]
	s_delay_alu instid0(VALU_DEP_3) | instskip(NEXT) | instid1(VALU_DEP_3)
	v_dual_fmac_f32 v207, v177, v124 :: v_dual_add_f32 v101, v7, v37
	v_dual_fma_f32 v206, v176, v124, -v11 :: v_dual_add_f32 v100, v9, v15
	v_fmac_f32_e32 v209, v179, v126
	s_delay_alu instid0(VALU_DEP_4)
	v_pk_fma_f32 v[102:103], v[144:145], v[128:129], v[92:93] op_sel_hi:[1,0,1]
	v_fma_f32 v208, v178, v126, -v13
	v_pk_mul_f32 v[94:95], v[198:199], v[94:95] op_sel_hi:[1,0]
	v_pk_add_f32 v[100:101], v[100:101], v[206:207]
	v_pk_fma_f32 v[92:93], v[144:145], v[128:129], v[92:93] neg_lo:[0,0,1] neg_hi:[0,0,1]
	v_pk_mul_f32 v[96:97], v[148:149], v[132:133] op_sel:[1,1] op_sel_hi:[0,1]
	v_mov_b32_e32 v93, v103
	v_pk_fma_f32 v[102:103], v[146:147], v[130:131], v[94:95] op_sel_hi:[1,0,1]
	v_pk_add_f32 v[100:101], v[100:101], v[208:209]
	v_pk_fma_f32 v[94:95], v[146:147], v[130:131], v[94:95] neg_lo:[0,0,1] neg_hi:[0,0,1]
	v_pk_fma_f32 v[106:107], v[148:149], v[132:133], v[96:97] op_sel_hi:[1,0,1]
	v_pk_mul_f32 v[98:99], v[200:201], v[98:99] op_sel_hi:[1,0]
	v_mov_b32_e32 v95, v103
	v_pk_add_f32 v[92:93], v[100:101], v[92:93]
	s_wait_loadcnt 0x2
	v_pk_mul_f32 v[104:105], v[152:153], v[136:137] op_sel:[1,1] op_sel_hi:[0,1]
	v_mov_b32_e32 v100, v139
	v_pk_fma_f32 v[96:97], v[148:149], v[132:133], v[96:97] neg_lo:[0,0,1] neg_hi:[0,0,1]
	v_pk_fma_f32 v[102:103], v[150:151], v[134:135], v[98:99] op_sel_hi:[1,0,1]
	v_mov_b32_e32 v97, v107
	v_pk_add_f32 v[92:93], v[92:93], v[94:95]
	v_pk_fma_f32 v[94:95], v[152:153], v[136:137], v[104:105] op_sel_hi:[1,0,1]
	v_pk_mul_f32 v[100:101], v[202:203], v[100:101] op_sel_hi:[1,0]
	v_pk_fma_f32 v[98:99], v[150:151], v[134:135], v[98:99] neg_lo:[0,0,1] neg_hi:[0,0,1]
	v_mov_b32_e32 v99, v103
	v_pk_add_f32 v[92:93], v[92:93], v[96:97]
	v_pk_fma_f32 v[102:103], v[152:153], v[136:137], v[104:105] neg_lo:[0,0,1] neg_hi:[0,0,1]
	v_mov_b32_e32 v103, v95
	v_pk_fma_f32 v[94:95], v[154:155], v[138:139], v[100:101] op_sel_hi:[1,0,1]
	s_wait_loadcnt 0x1
	v_pk_mul_f32 v[96:97], v[156:157], v[140:141] op_sel:[1,1] op_sel_hi:[0,1]
	v_pk_add_f32 v[92:93], v[92:93], v[98:99]
	v_mov_b32_e32 v94, v143
	v_pk_fma_f32 v[100:101], v[154:155], v[138:139], v[100:101] neg_lo:[0,0,1] neg_hi:[0,0,1]
	s_delay_alu instid0(VALU_DEP_4)
	v_pk_fma_f32 v[98:99], v[156:157], v[140:141], v[96:97] op_sel_hi:[1,0,1]
	v_mov_b32_e32 v101, v95
	v_pk_add_f32 v[92:93], v[92:93], v[102:103]
	v_pk_mul_f32 v[94:95], v[204:205], v[94:95] op_sel_hi:[1,0]
	v_pk_fma_f32 v[96:97], v[156:157], v[140:141], v[96:97] neg_lo:[0,0,1] neg_hi:[0,0,1]
	v_mov_b32_e32 v97, v99
	s_delay_alu instid0(VALU_DEP_4) | instskip(NEXT) | instid1(VALU_DEP_4)
	v_pk_add_f32 v[92:93], v[92:93], v[100:101]
	v_pk_fma_f32 v[98:99], v[158:159], v[142:143], v[94:95] op_sel_hi:[1,0,1]
	v_pk_fma_f32 v[94:95], v[158:159], v[142:143], v[94:95] neg_lo:[0,0,1] neg_hi:[0,0,1]
	s_delay_alu instid0(VALU_DEP_3) | instskip(NEXT) | instid1(VALU_DEP_3)
	v_pk_add_f32 v[92:93], v[92:93], v[96:97]
	v_mov_b32_e32 v95, v99
	s_delay_alu instid0(VALU_DEP_1) | instskip(SKIP_1) | instid1(VALU_DEP_1)
	v_pk_add_f32 v[92:93], v[92:93], v[94:95]
	s_wait_loadcnt 0x0
	v_pk_add_f32 v[92:93], v[196:197], v[92:93] neg_lo:[0,1] neg_hi:[0,1]
	scratch_store_b64 off, v[92:93], off offset:144
	s_wait_xcnt 0x0
	v_cmpx_lt_u32_e32 17, v0
	s_cbranch_execz .LBB108_249
; %bb.248:
	scratch_load_b64 v[92:93], off, off offset:136
	v_mov_b64_e32 v[94:95], 0
	scratch_store_b64 off, v[94:95], off offset:136
	s_wait_loadcnt 0x0
	ds_store_b64 v1, v[92:93]
.LBB108_249:
	s_wait_xcnt 0x0
	s_or_b32 exec_lo, exec_lo, s0
	s_wait_storecnt_dscnt 0x0
	s_barrier_signal -1
	s_barrier_wait -1
	s_clause 0xe
	scratch_load_b128 v[92:95], off, off offset:144
	scratch_load_b128 v[96:99], off, off offset:160
	;; [unrolled: 1-line block ×13, first 2 shown]
	scratch_load_b64 v[196:197], off, off offset:352
	scratch_load_b64 v[198:199], off, off offset:136
	v_mov_b32_e32 v7, 0
	ds_load_b128 v[144:147], v7 offset:656
	ds_load_b128 v[148:151], v7 offset:672
	ds_load_b128 v[152:155], v7 offset:688
	ds_load_b128 v[156:159], v7 offset:704
	ds_load_b128 v[160:163], v7 offset:512
	ds_load_b128 v[164:167], v7 offset:528
	ds_load_b128 v[168:171], v7 offset:544
	ds_load_b128 v[172:175], v7 offset:640
	ds_load_b128 v[176:179], v7 offset:560
	ds_load_b128 v[180:183], v7 offset:576
	ds_load_b128 v[184:187], v7 offset:592
	ds_load_b128 v[188:191], v7 offset:608
	ds_load_b128 v[192:195], v7 offset:624
	ds_load_b64 v[200:201], v7 offset:720
	s_mov_b32 s0, exec_lo
	s_wait_dscnt 0xd
	v_dual_mov_b32 v202, v147 :: v_dual_mov_b32 v203, v146
	s_wait_dscnt 0xa
	v_dual_mov_b32 v204, v151 :: v_dual_mov_b32 v209, v158
	v_dual_mov_b32 v205, v150 :: v_dual_mov_b32 v206, v155
	;; [unrolled: 1-line block ×3, first 2 shown]
	s_wait_loadcnt_dscnt 0xe09
	v_dual_mul_f32 v9, v160, v93 :: v_dual_mul_f32 v43, v161, v93
	v_dual_mul_f32 v45, v163, v95 :: v_dual_mul_f32 v11, v162, v95
	s_wait_loadcnt_dscnt 0xd08
	v_mul_f32_e32 v13, v164, v97
	s_wait_loadcnt_dscnt 0xb05
	v_dual_mul_f32 v55, v177, v105 :: v_dual_fma_f32 v43, v160, v92, -v43
	v_dual_fmac_f32 v9, v161, v92 :: v_dual_mul_f32 v57, v179, v107
	v_dual_mul_f32 v47, v165, v97 :: v_dual_mul_f32 v49, v167, v99
	v_dual_fmac_f32 v11, v163, v94 :: v_dual_fma_f32 v45, v162, v94, -v45
	s_delay_alu instid0(VALU_DEP_3) | instskip(SKIP_4) | instid1(VALU_DEP_3)
	v_dual_add_f32 v9, 0, v9 :: v_dual_add_f32 v43, 0, v43
	v_dual_mul_f32 v15, v166, v99 :: v_dual_mul_f32 v17, v168, v101
	s_wait_loadcnt_dscnt 0xa04
	v_dual_mul_f32 v59, v181, v109 :: v_dual_fma_f32 v47, v164, v96, -v47
	v_fmac_f32_e32 v13, v165, v96
	v_dual_add_f32 v9, v9, v11 :: v_dual_fmac_f32 v15, v167, v98
	v_add_f32_e32 v11, v43, v45
	v_dual_mul_f32 v51, v169, v101 :: v_dual_mul_f32 v53, v171, v103
	v_dual_mul_f32 v43, v183, v111 :: v_dual_fma_f32 v45, v166, v98, -v49
	s_delay_alu instid0(VALU_DEP_3) | instskip(SKIP_3) | instid1(VALU_DEP_3)
	v_dual_add_f32 v9, v9, v13 :: v_dual_add_f32 v11, v11, v47
	v_dual_mul_f32 v19, v170, v103 :: v_dual_mul_f32 v21, v176, v105
	s_wait_loadcnt_dscnt 0x903
	v_dual_mul_f32 v13, v185, v113 :: v_dual_fma_f32 v47, v168, v100, -v51
	v_dual_fmac_f32 v17, v169, v100 :: v_dual_add_f32 v11, v11, v45
	s_delay_alu instid0(VALU_DEP_3) | instskip(SKIP_1) | instid1(VALU_DEP_2)
	v_dual_add_f32 v9, v9, v15 :: v_dual_fmac_f32 v19, v171, v102
	v_dual_mul_f32 v15, v187, v115 :: v_dual_fma_f32 v45, v170, v102, -v53
	v_dual_add_f32 v11, v11, v47 :: v_dual_add_f32 v9, v9, v17
	v_dual_mul_f32 v23, v178, v107 :: v_dual_mul_f32 v25, v180, v109
	s_wait_loadcnt_dscnt 0x802
	v_dual_mul_f32 v17, v189, v117 :: v_dual_fma_f32 v47, v176, v104, -v55
	s_delay_alu instid0(VALU_DEP_3) | instskip(NEXT) | instid1(VALU_DEP_3)
	v_dual_fmac_f32 v21, v177, v104 :: v_dual_add_f32 v11, v11, v45
	v_dual_add_f32 v9, v9, v19 :: v_dual_fmac_f32 v23, v179, v106
	v_dual_mul_f32 v19, v191, v119 :: v_dual_fma_f32 v45, v178, v106, -v57
	s_delay_alu instid0(VALU_DEP_2) | instskip(SKIP_3) | instid1(VALU_DEP_3)
	v_dual_add_f32 v11, v11, v47 :: v_dual_add_f32 v9, v9, v21
	v_dual_mul_f32 v27, v182, v111 :: v_dual_mul_f32 v29, v184, v113
	s_wait_loadcnt_dscnt 0x701
	v_dual_mul_f32 v21, v193, v121 :: v_dual_fma_f32 v47, v180, v108, -v59
	v_dual_fmac_f32 v25, v181, v108 :: v_dual_add_f32 v11, v11, v45
	s_delay_alu instid0(VALU_DEP_3) | instskip(SKIP_1) | instid1(VALU_DEP_2)
	v_dual_add_f32 v9, v9, v23 :: v_dual_fmac_f32 v27, v183, v110
	v_dual_mul_f32 v23, v195, v123 :: v_dual_fma_f32 v43, v182, v110, -v43
	v_dual_add_f32 v11, v11, v47 :: v_dual_add_f32 v9, v9, v25
	v_dual_mul_f32 v31, v186, v115 :: v_dual_mul_f32 v33, v188, v117
	s_wait_loadcnt 0x6
	v_dual_mul_f32 v25, v173, v125 :: v_dual_fma_f32 v13, v184, v112, -v13
	s_delay_alu instid0(VALU_DEP_3) | instskip(NEXT) | instid1(VALU_DEP_3)
	v_dual_fmac_f32 v29, v185, v112 :: v_dual_add_f32 v11, v11, v43
	v_dual_add_f32 v9, v9, v27 :: v_dual_fmac_f32 v31, v187, v114
	v_dual_mul_f32 v27, v175, v127 :: v_dual_fma_f32 v15, v186, v114, -v15
	s_delay_alu instid0(VALU_DEP_3) | instskip(NEXT) | instid1(VALU_DEP_3)
	v_dual_add_f32 v11, v11, v13 :: v_dual_fmac_f32 v33, v189, v116
	v_dual_add_f32 v9, v9, v29 :: v_dual_fma_f32 v17, v188, v116, -v17
	v_dual_mul_f32 v35, v190, v119 :: v_dual_mul_f32 v37, v192, v121
	s_wait_loadcnt 0x5
	s_delay_alu instid0(VALU_DEP_3) | instskip(NEXT) | instid1(VALU_DEP_3)
	v_dual_mul_f32 v13, v145, v129 :: v_dual_add_f32 v11, v11, v15
	v_dual_add_f32 v9, v9, v31 :: v_dual_mov_b32 v92, v131
	s_delay_alu instid0(VALU_DEP_3) | instskip(NEXT) | instid1(VALU_DEP_3)
	v_fmac_f32_e32 v35, v191, v118
	v_dual_fma_f32 v15, v190, v118, -v19 :: v_dual_add_f32 v11, v11, v17
	s_delay_alu instid0(VALU_DEP_3) | instskip(SKIP_1) | instid1(VALU_DEP_3)
	v_dual_add_f32 v9, v9, v33 :: v_dual_mul_f32 v39, v194, v123
	v_dual_mul_f32 v41, v172, v125 :: v_dual_fmac_f32 v37, v193, v120
	v_dual_add_f32 v11, v11, v15 :: v_dual_fma_f32 v17, v192, v120, -v21
	s_wait_loadcnt 0x4
	s_delay_alu instid0(VALU_DEP_3) | instskip(SKIP_3) | instid1(VALU_DEP_4)
	v_dual_add_f32 v9, v9, v35 :: v_dual_mov_b32 v96, v135
	v_fma_f32 v15, v194, v122, -v23
	v_fmac_f32_e32 v39, v195, v122
	v_dual_add_f32 v11, v11, v17 :: v_dual_fmac_f32 v41, v173, v124
	v_dual_add_f32 v9, v9, v37 :: v_dual_mul_f32 v211, v174, v127
	v_mul_f32_e32 v213, v144, v129
	s_delay_alu instid0(VALU_DEP_3) | instskip(NEXT) | instid1(VALU_DEP_3)
	v_dual_fma_f32 v17, v172, v124, -v25 :: v_dual_add_f32 v11, v11, v15
	v_dual_fma_f32 v210, v174, v126, -v27 :: v_dual_add_f32 v9, v9, v39
	s_delay_alu instid0(VALU_DEP_4) | instskip(SKIP_1) | instid1(VALU_DEP_4)
	v_fmac_f32_e32 v211, v175, v126
	v_pk_mul_f32 v[92:93], v[202:203], v[92:93] op_sel_hi:[1,0]
	v_dual_add_f32 v100, v11, v17 :: v_dual_fmac_f32 v213, v145, v128
	s_delay_alu instid0(VALU_DEP_4)
	v_add_f32_e32 v101, v9, v41
	v_pk_mul_f32 v[94:95], v[148:149], v[132:133] op_sel:[1,1] op_sel_hi:[0,1]
	s_wait_loadcnt 0x3
	v_dual_mov_b32 v102, v139 :: v_dual_fma_f32 v212, v144, v128, -v13
	v_pk_fma_f32 v[104:105], v[146:147], v[130:131], v[92:93] op_sel_hi:[1,0,1]
	v_pk_add_f32 v[100:101], v[100:101], v[210:211]
	v_pk_fma_f32 v[92:93], v[146:147], v[130:131], v[92:93] neg_lo:[0,0,1] neg_hi:[0,0,1]
	v_pk_fma_f32 v[106:107], v[148:149], v[132:133], v[94:95] op_sel_hi:[1,0,1]
	v_pk_mul_f32 v[96:97], v[204:205], v[96:97] op_sel_hi:[1,0]
	v_mov_b32_e32 v93, v105
	v_pk_add_f32 v[100:101], v[100:101], v[212:213]
	v_pk_fma_f32 v[94:95], v[148:149], v[132:133], v[94:95] neg_lo:[0,0,1] neg_hi:[0,0,1]
	v_pk_mul_f32 v[98:99], v[152:153], v[136:137] op_sel:[1,1] op_sel_hi:[0,1]
	v_mov_b32_e32 v95, v107
	v_pk_fma_f32 v[106:107], v[150:151], v[134:135], v[96:97] op_sel_hi:[1,0,1]
	v_pk_add_f32 v[92:93], v[100:101], v[92:93]
	v_pk_fma_f32 v[96:97], v[150:151], v[134:135], v[96:97] neg_lo:[0,0,1] neg_hi:[0,0,1]
	v_pk_fma_f32 v[100:101], v[152:153], v[136:137], v[98:99] op_sel_hi:[1,0,1]
	v_pk_mul_f32 v[102:103], v[206:207], v[102:103] op_sel_hi:[1,0]
	v_mov_b32_e32 v97, v107
	v_pk_add_f32 v[92:93], v[92:93], v[94:95]
	v_pk_fma_f32 v[98:99], v[152:153], v[136:137], v[98:99] neg_lo:[0,0,1] neg_hi:[0,0,1]
	s_wait_loadcnt 0x2
	v_pk_mul_f32 v[104:105], v[156:157], v[140:141] op_sel:[1,1] op_sel_hi:[0,1]
	v_dual_mov_b32 v94, v143 :: v_dual_mov_b32 v99, v101
	v_pk_fma_f32 v[100:101], v[154:155], v[138:139], v[102:103] op_sel_hi:[1,0,1]
	v_pk_add_f32 v[92:93], v[92:93], v[96:97]
	v_pk_fma_f32 v[102:103], v[154:155], v[138:139], v[102:103] neg_lo:[0,0,1] neg_hi:[0,0,1]
	v_pk_fma_f32 v[96:97], v[156:157], v[140:141], v[104:105] op_sel_hi:[1,0,1]
	v_pk_mul_f32 v[94:95], v[208:209], v[94:95] op_sel_hi:[1,0]
	v_mov_b32_e32 v103, v101
	v_pk_add_f32 v[92:93], v[92:93], v[98:99]
	v_pk_fma_f32 v[98:99], v[156:157], v[140:141], v[104:105] neg_lo:[0,0,1] neg_hi:[0,0,1]
	v_mov_b32_e32 v99, v97
	v_pk_fma_f32 v[96:97], v[158:159], v[142:143], v[94:95] op_sel_hi:[1,0,1]
	s_wait_loadcnt_dscnt 0x100
	v_pk_mul_f32 v[100:101], v[200:201], v[196:197] op_sel:[1,1] op_sel_hi:[0,1]
	v_pk_add_f32 v[92:93], v[92:93], v[102:103]
	v_pk_fma_f32 v[94:95], v[158:159], v[142:143], v[94:95] neg_lo:[0,0,1] neg_hi:[0,0,1]
	v_mov_b32_e32 v95, v97
	s_delay_alu instid0(VALU_DEP_4) | instskip(NEXT) | instid1(VALU_DEP_4)
	v_pk_fma_f32 v[96:97], v[200:201], v[196:197], v[100:101] op_sel_hi:[1,0,1]
	v_pk_add_f32 v[92:93], v[92:93], v[98:99]
	v_pk_fma_f32 v[98:99], v[200:201], v[196:197], v[100:101] neg_lo:[0,0,1] neg_hi:[0,0,1]
	s_delay_alu instid0(VALU_DEP_3) | instskip(NEXT) | instid1(VALU_DEP_3)
	v_mov_b32_e32 v99, v97
	v_pk_add_f32 v[92:93], v[92:93], v[94:95]
	s_delay_alu instid0(VALU_DEP_1) | instskip(SKIP_1) | instid1(VALU_DEP_1)
	v_pk_add_f32 v[92:93], v[92:93], v[98:99]
	s_wait_loadcnt 0x0
	v_pk_add_f32 v[92:93], v[198:199], v[92:93] neg_lo:[0,1] neg_hi:[0,1]
	scratch_store_b64 off, v[92:93], off offset:136
	s_wait_xcnt 0x0
	v_cmpx_lt_u32_e32 16, v0
	s_cbranch_execz .LBB108_251
; %bb.250:
	scratch_load_b64 v[92:93], off, off offset:128
	v_mov_b64_e32 v[94:95], 0
	scratch_store_b64 off, v[94:95], off offset:128
	s_wait_loadcnt 0x0
	ds_store_b64 v1, v[92:93]
.LBB108_251:
	s_wait_xcnt 0x0
	s_or_b32 exec_lo, exec_lo, s0
	s_wait_storecnt_dscnt 0x0
	s_barrier_signal -1
	s_barrier_wait -1
	s_clause 0xe
	scratch_load_b128 v[92:95], off, off offset:136
	scratch_load_b128 v[96:99], off, off offset:152
	;; [unrolled: 1-line block ×14, first 2 shown]
	scratch_load_b64 v[204:205], off, off offset:128
	ds_load_2addr_b64 v[148:151], v7 offset0:83 offset1:84
	ds_load_2addr_b64 v[152:155], v7 offset0:85 offset1:86
	;; [unrolled: 1-line block ×14, first 2 shown]
	s_mov_b32 s0, exec_lo
	s_wait_dscnt 0xd
	v_dual_mov_b32 v206, v151 :: v_dual_mov_b32 v207, v150
	s_wait_dscnt 0xc
	v_dual_mov_b32 v208, v155 :: v_dual_mov_b32 v209, v154
	;; [unrolled: 2-line block ×4, first 2 shown]
	s_wait_loadcnt_dscnt 0xe09
	v_dual_mul_f32 v7, v164, v93 :: v_dual_mul_f32 v9, v166, v95
	v_dual_mul_f32 v43, v165, v93 :: v_dual_mul_f32 v45, v167, v95
	s_wait_loadcnt_dscnt 0xd08
	v_dual_mul_f32 v11, v168, v97 :: v_dual_mul_f32 v13, v170, v99
	s_delay_alu instid0(VALU_DEP_3) | instskip(SKIP_3) | instid1(VALU_DEP_3)
	v_dual_fmac_f32 v7, v165, v92 :: v_dual_fmac_f32 v9, v167, v94
	s_wait_loadcnt_dscnt 0xb06
	v_dual_fma_f32 v43, v164, v92, -v43 :: v_dual_mul_f32 v55, v177, v105
	v_dual_mul_f32 v47, v169, v97 :: v_dual_mul_f32 v49, v171, v99
	v_dual_fma_f32 v45, v166, v94, -v45 :: v_dual_add_f32 v7, 0, v7
	s_delay_alu instid0(VALU_DEP_3) | instskip(SKIP_1) | instid1(VALU_DEP_4)
	v_dual_add_f32 v43, 0, v43 :: v_dual_fmac_f32 v11, v169, v96
	v_dual_mul_f32 v15, v172, v101 :: v_dual_mul_f32 v17, v174, v103
	v_dual_mul_f32 v57, v179, v107 :: v_dual_fma_f32 v47, v168, v96, -v47
	s_delay_alu instid0(VALU_DEP_4) | instskip(NEXT) | instid1(VALU_DEP_3)
	v_add_f32_e32 v7, v7, v9
	v_dual_add_f32 v9, v43, v45 :: v_dual_fmac_f32 v15, v173, v100
	v_dual_mul_f32 v51, v173, v101 :: v_dual_mul_f32 v53, v175, v103
	s_wait_loadcnt_dscnt 0xa05
	v_dual_mul_f32 v43, v181, v109 :: v_dual_fmac_f32 v13, v171, v98
	v_dual_fma_f32 v45, v170, v98, -v49 :: v_dual_add_f32 v7, v7, v11
	s_delay_alu instid0(VALU_DEP_3) | instskip(SKIP_1) | instid1(VALU_DEP_3)
	v_dual_add_f32 v9, v9, v47 :: v_dual_fma_f32 v47, v172, v100, -v51
	v_dual_mul_f32 v19, v176, v105 :: v_dual_mul_f32 v21, v178, v107
	v_add_f32_e32 v7, v7, v13
	s_delay_alu instid0(VALU_DEP_3) | instskip(SKIP_2) | instid1(VALU_DEP_3)
	v_dual_mul_f32 v11, v183, v111 :: v_dual_add_f32 v9, v9, v45
	s_wait_loadcnt_dscnt 0x904
	v_dual_mul_f32 v13, v185, v113 :: v_dual_fmac_f32 v17, v175, v102
	v_dual_fma_f32 v45, v174, v102, -v53 :: v_dual_add_f32 v7, v7, v15
	s_delay_alu instid0(VALU_DEP_3) | instskip(SKIP_1) | instid1(VALU_DEP_3)
	v_dual_add_f32 v9, v9, v47 :: v_dual_fma_f32 v47, v176, v104, -v55
	v_dual_mul_f32 v15, v187, v115 :: v_dual_fmac_f32 v19, v177, v104
	v_add_f32_e32 v7, v7, v17
	s_delay_alu instid0(VALU_DEP_3)
	v_dual_add_f32 v9, v9, v45 :: v_dual_fmac_f32 v21, v179, v106
	v_dual_mul_f32 v23, v180, v109 :: v_dual_mul_f32 v25, v182, v111
	s_wait_loadcnt_dscnt 0x803
	v_dual_fma_f32 v45, v178, v106, -v57 :: v_dual_mul_f32 v17, v189, v117
	v_add_f32_e32 v7, v7, v19
	v_dual_add_f32 v9, v9, v47 :: v_dual_fma_f32 v43, v180, v108, -v43
	v_dual_mul_f32 v19, v191, v119 :: v_dual_fmac_f32 v23, v181, v108
	s_delay_alu instid0(VALU_DEP_3) | instskip(NEXT) | instid1(VALU_DEP_3)
	v_dual_add_f32 v7, v7, v21 :: v_dual_fma_f32 v11, v182, v110, -v11
	v_dual_add_f32 v9, v9, v45 :: v_dual_fmac_f32 v25, v183, v110
	v_dual_mul_f32 v27, v184, v113 :: v_dual_mul_f32 v29, v186, v115
	s_wait_loadcnt_dscnt 0x702
	s_delay_alu instid0(VALU_DEP_3) | instskip(NEXT) | instid1(VALU_DEP_3)
	v_dual_mul_f32 v21, v193, v121 :: v_dual_add_f32 v7, v7, v23
	v_dual_add_f32 v9, v9, v43 :: v_dual_fma_f32 v13, v184, v112, -v13
	s_delay_alu instid0(VALU_DEP_3) | instskip(NEXT) | instid1(VALU_DEP_2)
	v_dual_mul_f32 v23, v195, v123 :: v_dual_fmac_f32 v27, v185, v112
	v_dual_add_f32 v7, v7, v25 :: v_dual_add_f32 v9, v9, v11
	v_dual_mul_f32 v31, v188, v117 :: v_dual_mul_f32 v33, v190, v119
	s_wait_loadcnt_dscnt 0x601
	v_dual_mul_f32 v11, v197, v125 :: v_dual_fmac_f32 v29, v187, v114
	s_delay_alu instid0(VALU_DEP_3) | instskip(SKIP_2) | instid1(VALU_DEP_2)
	v_dual_fma_f32 v15, v186, v114, -v15 :: v_dual_add_f32 v7, v7, v27
	v_dual_add_f32 v9, v9, v13 :: v_dual_mul_f32 v13, v199, v127
	v_dual_fmac_f32 v31, v189, v116 :: v_dual_fma_f32 v17, v188, v116, -v17
	v_dual_add_f32 v7, v7, v29 :: v_dual_add_f32 v9, v9, v15
	v_dual_mul_f32 v35, v192, v121 :: v_dual_mul_f32 v37, v194, v123
	s_wait_loadcnt_dscnt 0x500
	v_dual_mul_f32 v15, v201, v129 :: v_dual_fmac_f32 v33, v191, v118
	s_delay_alu instid0(VALU_DEP_3) | instskip(SKIP_2) | instid1(VALU_DEP_2)
	v_dual_fma_f32 v19, v190, v118, -v19 :: v_dual_add_f32 v7, v7, v31
	v_dual_add_f32 v9, v9, v17 :: v_dual_mul_f32 v17, v203, v131
	v_dual_fmac_f32 v35, v193, v120 :: v_dual_fma_f32 v21, v192, v120, -v21
	v_dual_add_f32 v7, v7, v33 :: v_dual_add_f32 v9, v9, v19
	v_dual_mul_f32 v39, v196, v125 :: v_dual_mul_f32 v41, v198, v127
	v_dual_fmac_f32 v37, v195, v122 :: v_dual_fma_f32 v19, v194, v122, -v23
	s_delay_alu instid0(VALU_DEP_3) | instskip(SKIP_1) | instid1(VALU_DEP_3)
	v_dual_add_f32 v7, v7, v35 :: v_dual_add_f32 v9, v9, v21
	s_wait_loadcnt 0x4
	v_dual_mov_b32 v94, v135 :: v_dual_fmac_f32 v39, v197, v124
	s_delay_alu instid0(VALU_DEP_2) | instskip(NEXT) | instid1(VALU_DEP_3)
	v_dual_fma_f32 v11, v196, v124, -v11 :: v_dual_add_f32 v7, v7, v37
	v_dual_add_f32 v9, v9, v19 :: v_dual_fmac_f32 v41, v199, v126
	v_dual_mul_f32 v215, v200, v129 :: v_dual_mul_f32 v217, v202, v131
	s_delay_alu instid0(VALU_DEP_3) | instskip(SKIP_1) | instid1(VALU_DEP_3)
	v_dual_fma_f32 v13, v198, v126, -v13 :: v_dual_add_f32 v7, v7, v39
	s_wait_loadcnt 0x3
	v_dual_add_f32 v9, v9, v11 :: v_dual_mov_b32 v98, v139
	v_pk_mul_f32 v[92:93], v[148:149], v[132:133] op_sel:[1,1] op_sel_hi:[0,1]
	s_delay_alu instid0(VALU_DEP_3) | instskip(NEXT) | instid1(VALU_DEP_3)
	v_dual_fmac_f32 v215, v201, v128 :: v_dual_add_f32 v101, v7, v41
	v_dual_fma_f32 v214, v200, v128, -v15 :: v_dual_add_f32 v100, v9, v13
	v_fmac_f32_e32 v217, v203, v130
	s_delay_alu instid0(VALU_DEP_4)
	v_pk_fma_f32 v[102:103], v[148:149], v[132:133], v[92:93] op_sel_hi:[1,0,1]
	v_fma_f32 v216, v202, v130, -v17
	v_pk_mul_f32 v[94:95], v[206:207], v[94:95] op_sel_hi:[1,0]
	v_pk_add_f32 v[100:101], v[100:101], v[214:215]
	v_pk_fma_f32 v[92:93], v[148:149], v[132:133], v[92:93] neg_lo:[0,0,1] neg_hi:[0,0,1]
	v_pk_mul_f32 v[96:97], v[152:153], v[136:137] op_sel:[1,1] op_sel_hi:[0,1]
	v_mov_b32_e32 v93, v103
	v_pk_fma_f32 v[102:103], v[150:151], v[134:135], v[94:95] op_sel_hi:[1,0,1]
	v_pk_add_f32 v[100:101], v[100:101], v[216:217]
	v_pk_fma_f32 v[94:95], v[150:151], v[134:135], v[94:95] neg_lo:[0,0,1] neg_hi:[0,0,1]
	v_pk_fma_f32 v[106:107], v[152:153], v[136:137], v[96:97] op_sel_hi:[1,0,1]
	v_pk_mul_f32 v[98:99], v[208:209], v[98:99] op_sel_hi:[1,0]
	v_mov_b32_e32 v95, v103
	v_pk_add_f32 v[92:93], v[100:101], v[92:93]
	s_wait_loadcnt 0x2
	v_pk_mul_f32 v[104:105], v[156:157], v[140:141] op_sel:[1,1] op_sel_hi:[0,1]
	v_mov_b32_e32 v100, v143
	v_pk_fma_f32 v[96:97], v[152:153], v[136:137], v[96:97] neg_lo:[0,0,1] neg_hi:[0,0,1]
	v_pk_fma_f32 v[102:103], v[154:155], v[138:139], v[98:99] op_sel_hi:[1,0,1]
	v_mov_b32_e32 v97, v107
	v_pk_add_f32 v[92:93], v[92:93], v[94:95]
	v_pk_fma_f32 v[94:95], v[156:157], v[140:141], v[104:105] op_sel_hi:[1,0,1]
	v_pk_mul_f32 v[100:101], v[210:211], v[100:101] op_sel_hi:[1,0]
	v_pk_fma_f32 v[98:99], v[154:155], v[138:139], v[98:99] neg_lo:[0,0,1] neg_hi:[0,0,1]
	v_mov_b32_e32 v99, v103
	v_pk_add_f32 v[92:93], v[92:93], v[96:97]
	v_pk_fma_f32 v[102:103], v[156:157], v[140:141], v[104:105] neg_lo:[0,0,1] neg_hi:[0,0,1]
	v_mov_b32_e32 v103, v95
	v_pk_fma_f32 v[94:95], v[158:159], v[142:143], v[100:101] op_sel_hi:[1,0,1]
	s_wait_loadcnt 0x1
	v_pk_mul_f32 v[96:97], v[160:161], v[144:145] op_sel:[1,1] op_sel_hi:[0,1]
	v_pk_add_f32 v[92:93], v[92:93], v[98:99]
	v_mov_b32_e32 v94, v147
	v_pk_fma_f32 v[100:101], v[158:159], v[142:143], v[100:101] neg_lo:[0,0,1] neg_hi:[0,0,1]
	s_delay_alu instid0(VALU_DEP_4)
	v_pk_fma_f32 v[98:99], v[160:161], v[144:145], v[96:97] op_sel_hi:[1,0,1]
	v_mov_b32_e32 v101, v95
	v_pk_add_f32 v[92:93], v[92:93], v[102:103]
	v_pk_mul_f32 v[94:95], v[212:213], v[94:95] op_sel_hi:[1,0]
	v_pk_fma_f32 v[96:97], v[160:161], v[144:145], v[96:97] neg_lo:[0,0,1] neg_hi:[0,0,1]
	v_mov_b32_e32 v97, v99
	s_delay_alu instid0(VALU_DEP_4) | instskip(NEXT) | instid1(VALU_DEP_4)
	v_pk_add_f32 v[92:93], v[92:93], v[100:101]
	v_pk_fma_f32 v[98:99], v[162:163], v[146:147], v[94:95] op_sel_hi:[1,0,1]
	v_pk_fma_f32 v[94:95], v[162:163], v[146:147], v[94:95] neg_lo:[0,0,1] neg_hi:[0,0,1]
	s_delay_alu instid0(VALU_DEP_3) | instskip(NEXT) | instid1(VALU_DEP_3)
	v_pk_add_f32 v[92:93], v[92:93], v[96:97]
	v_mov_b32_e32 v95, v99
	s_delay_alu instid0(VALU_DEP_1) | instskip(SKIP_1) | instid1(VALU_DEP_1)
	v_pk_add_f32 v[92:93], v[92:93], v[94:95]
	s_wait_loadcnt 0x0
	v_pk_add_f32 v[92:93], v[204:205], v[92:93] neg_lo:[0,1] neg_hi:[0,1]
	scratch_store_b64 off, v[92:93], off offset:128
	s_wait_xcnt 0x0
	v_cmpx_lt_u32_e32 15, v0
	s_cbranch_execz .LBB108_253
; %bb.252:
	scratch_load_b64 v[92:93], off, off offset:120
	v_mov_b64_e32 v[94:95], 0
	scratch_store_b64 off, v[94:95], off offset:120
	s_wait_loadcnt 0x0
	ds_store_b64 v1, v[92:93]
.LBB108_253:
	s_wait_xcnt 0x0
	s_or_b32 exec_lo, exec_lo, s0
	s_wait_storecnt_dscnt 0x0
	s_barrier_signal -1
	s_barrier_wait -1
	s_clause 0xf
	scratch_load_b128 v[92:95], off, off offset:128
	scratch_load_b128 v[96:99], off, off offset:144
	;; [unrolled: 1-line block ×14, first 2 shown]
	scratch_load_b64 v[204:205], off, off offset:352
	scratch_load_b64 v[206:207], off, off offset:120
	v_mov_b32_e32 v7, 0
	ds_load_b128 v[148:151], v7 offset:656
	ds_load_b128 v[152:155], v7 offset:672
	ds_load_b128 v[156:159], v7 offset:688
	ds_load_b128 v[160:163], v7 offset:704
	ds_load_b128 v[164:167], v7 offset:496
	ds_load_b128 v[168:171], v7 offset:512
	ds_load_b128 v[172:175], v7 offset:528
	ds_load_b128 v[176:179], v7 offset:544
	ds_load_b128 v[180:183], v7 offset:560
	ds_load_b128 v[184:187], v7 offset:576
	ds_load_b128 v[188:191], v7 offset:592
	ds_load_b128 v[192:195], v7 offset:608
	ds_load_b128 v[196:199], v7 offset:624
	ds_load_b128 v[200:203], v7 offset:640
	ds_load_b64 v[208:209], v7 offset:720
	s_mov_b32 s0, exec_lo
	s_wait_dscnt 0xe
	v_dual_mov_b32 v210, v151 :: v_dual_mov_b32 v211, v150
	s_wait_dscnt 0xb
	v_dual_mov_b32 v212, v155 :: v_dual_mov_b32 v217, v162
	v_dual_mov_b32 v213, v154 :: v_dual_mov_b32 v214, v159
	;; [unrolled: 1-line block ×3, first 2 shown]
	s_wait_loadcnt_dscnt 0xf0a
	v_dual_mul_f32 v9, v164, v93 :: v_dual_mul_f32 v47, v165, v93
	v_dual_mul_f32 v49, v167, v95 :: v_dual_mul_f32 v11, v166, v95
	s_wait_loadcnt_dscnt 0xe09
	v_mul_f32_e32 v13, v168, v97
	s_wait_loadcnt_dscnt 0xc07
	v_dual_mul_f32 v59, v177, v105 :: v_dual_fma_f32 v47, v164, v92, -v47
	v_dual_fmac_f32 v9, v165, v92 :: v_dual_mul_f32 v61, v179, v107
	v_dual_mul_f32 v51, v169, v97 :: v_dual_mul_f32 v53, v171, v99
	v_dual_fmac_f32 v11, v167, v94 :: v_dual_fma_f32 v49, v166, v94, -v49
	s_delay_alu instid0(VALU_DEP_3) | instskip(SKIP_4) | instid1(VALU_DEP_3)
	v_dual_add_f32 v9, 0, v9 :: v_dual_add_f32 v47, 0, v47
	v_dual_mul_f32 v15, v170, v99 :: v_dual_mul_f32 v17, v172, v101
	s_wait_loadcnt_dscnt 0xb06
	v_dual_mul_f32 v63, v181, v109 :: v_dual_fma_f32 v51, v168, v96, -v51
	v_fmac_f32_e32 v13, v169, v96
	v_dual_add_f32 v9, v9, v11 :: v_dual_fmac_f32 v15, v171, v98
	v_add_f32_e32 v11, v47, v49
	v_dual_mul_f32 v55, v173, v101 :: v_dual_mul_f32 v57, v175, v103
	v_dual_mul_f32 v47, v183, v111 :: v_dual_fma_f32 v49, v170, v98, -v53
	s_delay_alu instid0(VALU_DEP_3) | instskip(SKIP_3) | instid1(VALU_DEP_3)
	v_dual_add_f32 v9, v9, v13 :: v_dual_add_f32 v11, v11, v51
	v_dual_mul_f32 v19, v174, v103 :: v_dual_mul_f32 v21, v176, v105
	s_wait_loadcnt_dscnt 0xa05
	v_dual_mul_f32 v13, v185, v113 :: v_dual_fma_f32 v51, v172, v100, -v55
	v_dual_fmac_f32 v17, v173, v100 :: v_dual_add_f32 v11, v11, v49
	s_delay_alu instid0(VALU_DEP_3) | instskip(SKIP_1) | instid1(VALU_DEP_2)
	v_dual_add_f32 v9, v9, v15 :: v_dual_fmac_f32 v19, v175, v102
	v_dual_mul_f32 v15, v187, v115 :: v_dual_fma_f32 v49, v174, v102, -v57
	v_dual_add_f32 v11, v11, v51 :: v_dual_add_f32 v9, v9, v17
	v_dual_mul_f32 v23, v178, v107 :: v_dual_mul_f32 v25, v180, v109
	s_wait_loadcnt_dscnt 0x904
	v_dual_mul_f32 v17, v189, v117 :: v_dual_fma_f32 v51, v176, v104, -v59
	s_delay_alu instid0(VALU_DEP_3) | instskip(NEXT) | instid1(VALU_DEP_3)
	v_dual_fmac_f32 v21, v177, v104 :: v_dual_add_f32 v11, v11, v49
	v_dual_add_f32 v9, v9, v19 :: v_dual_fmac_f32 v23, v179, v106
	v_dual_mul_f32 v19, v191, v119 :: v_dual_fma_f32 v49, v178, v106, -v61
	s_delay_alu instid0(VALU_DEP_2) | instskip(SKIP_3) | instid1(VALU_DEP_3)
	v_dual_add_f32 v11, v11, v51 :: v_dual_add_f32 v9, v9, v21
	v_dual_mul_f32 v27, v182, v111 :: v_dual_mul_f32 v29, v184, v113
	s_wait_loadcnt_dscnt 0x803
	v_dual_mul_f32 v21, v193, v121 :: v_dual_fma_f32 v51, v180, v108, -v63
	v_dual_fmac_f32 v25, v181, v108 :: v_dual_add_f32 v11, v11, v49
	s_delay_alu instid0(VALU_DEP_3) | instskip(SKIP_1) | instid1(VALU_DEP_2)
	v_dual_add_f32 v9, v9, v23 :: v_dual_fmac_f32 v27, v183, v110
	v_dual_mul_f32 v23, v195, v123 :: v_dual_fma_f32 v47, v182, v110, -v47
	v_dual_add_f32 v11, v11, v51 :: v_dual_add_f32 v9, v9, v25
	v_dual_mul_f32 v31, v186, v115 :: v_dual_mul_f32 v33, v188, v117
	s_wait_loadcnt_dscnt 0x702
	v_dual_mul_f32 v25, v197, v125 :: v_dual_fma_f32 v13, v184, v112, -v13
	s_delay_alu instid0(VALU_DEP_3) | instskip(NEXT) | instid1(VALU_DEP_3)
	v_dual_fmac_f32 v29, v185, v112 :: v_dual_add_f32 v11, v11, v47
	v_dual_add_f32 v9, v9, v27 :: v_dual_fmac_f32 v31, v187, v114
	v_dual_mul_f32 v27, v199, v127 :: v_dual_fma_f32 v15, v186, v114, -v15
	s_delay_alu instid0(VALU_DEP_3) | instskip(NEXT) | instid1(VALU_DEP_3)
	v_dual_add_f32 v11, v11, v13 :: v_dual_fmac_f32 v33, v189, v116
	v_dual_add_f32 v9, v9, v29 :: v_dual_fma_f32 v17, v188, v116, -v17
	v_dual_mul_f32 v35, v190, v119 :: v_dual_mul_f32 v37, v192, v121
	s_wait_loadcnt_dscnt 0x601
	s_delay_alu instid0(VALU_DEP_3) | instskip(NEXT) | instid1(VALU_DEP_2)
	v_dual_mul_f32 v13, v201, v129 :: v_dual_add_f32 v11, v11, v15
	v_dual_add_f32 v9, v9, v31 :: v_dual_fmac_f32 v35, v191, v118
	v_dual_mul_f32 v15, v203, v131 :: v_dual_fma_f32 v19, v190, v118, -v19
	s_delay_alu instid0(VALU_DEP_3) | instskip(NEXT) | instid1(VALU_DEP_3)
	v_dual_add_f32 v11, v11, v17 :: v_dual_fmac_f32 v37, v193, v120
	v_dual_add_f32 v9, v9, v33 :: v_dual_fma_f32 v21, v192, v120, -v21
	v_dual_mul_f32 v39, v194, v123 :: v_dual_mul_f32 v41, v196, v125
	s_wait_loadcnt 0x5
	s_delay_alu instid0(VALU_DEP_3) | instskip(NEXT) | instid1(VALU_DEP_3)
	v_dual_mul_f32 v17, v149, v133 :: v_dual_add_f32 v11, v11, v19
	v_dual_add_f32 v9, v9, v35 :: v_dual_mov_b32 v92, v135
	s_delay_alu instid0(VALU_DEP_3) | instskip(NEXT) | instid1(VALU_DEP_3)
	v_fmac_f32_e32 v39, v195, v122
	v_dual_fma_f32 v19, v194, v122, -v23 :: v_dual_add_f32 v11, v11, v21
	s_delay_alu instid0(VALU_DEP_3) | instskip(SKIP_1) | instid1(VALU_DEP_3)
	v_dual_add_f32 v9, v9, v37 :: v_dual_mul_f32 v43, v198, v127
	v_dual_mul_f32 v45, v200, v129 :: v_dual_fmac_f32 v41, v197, v124
	v_dual_add_f32 v11, v11, v19 :: v_dual_fma_f32 v21, v196, v124, -v25
	s_wait_loadcnt 0x4
	s_delay_alu instid0(VALU_DEP_3) | instskip(SKIP_3) | instid1(VALU_DEP_4)
	v_dual_add_f32 v9, v9, v39 :: v_dual_mov_b32 v96, v139
	v_fma_f32 v19, v198, v126, -v27
	v_fmac_f32_e32 v43, v199, v126
	v_dual_add_f32 v11, v11, v21 :: v_dual_fmac_f32 v45, v201, v128
	v_dual_add_f32 v9, v9, v41 :: v_dual_mul_f32 v219, v202, v131
	v_mul_f32_e32 v221, v148, v133
	s_delay_alu instid0(VALU_DEP_3) | instskip(NEXT) | instid1(VALU_DEP_3)
	v_dual_fma_f32 v13, v200, v128, -v13 :: v_dual_add_f32 v11, v11, v19
	v_dual_fma_f32 v218, v202, v130, -v15 :: v_dual_add_f32 v9, v9, v43
	s_delay_alu instid0(VALU_DEP_4) | instskip(SKIP_1) | instid1(VALU_DEP_4)
	v_fmac_f32_e32 v219, v203, v130
	v_pk_mul_f32 v[92:93], v[210:211], v[92:93] op_sel_hi:[1,0]
	v_dual_add_f32 v100, v11, v13 :: v_dual_fmac_f32 v221, v149, v132
	s_delay_alu instid0(VALU_DEP_4)
	v_add_f32_e32 v101, v9, v45
	v_pk_mul_f32 v[94:95], v[152:153], v[136:137] op_sel:[1,1] op_sel_hi:[0,1]
	s_wait_loadcnt 0x3
	v_dual_mov_b32 v102, v143 :: v_dual_fma_f32 v220, v148, v132, -v17
	v_pk_fma_f32 v[104:105], v[150:151], v[134:135], v[92:93] op_sel_hi:[1,0,1]
	v_pk_add_f32 v[100:101], v[100:101], v[218:219]
	v_pk_fma_f32 v[92:93], v[150:151], v[134:135], v[92:93] neg_lo:[0,0,1] neg_hi:[0,0,1]
	v_pk_fma_f32 v[106:107], v[152:153], v[136:137], v[94:95] op_sel_hi:[1,0,1]
	v_pk_mul_f32 v[96:97], v[212:213], v[96:97] op_sel_hi:[1,0]
	v_mov_b32_e32 v93, v105
	v_pk_add_f32 v[100:101], v[100:101], v[220:221]
	v_pk_fma_f32 v[94:95], v[152:153], v[136:137], v[94:95] neg_lo:[0,0,1] neg_hi:[0,0,1]
	v_pk_mul_f32 v[98:99], v[156:157], v[140:141] op_sel:[1,1] op_sel_hi:[0,1]
	v_mov_b32_e32 v95, v107
	v_pk_fma_f32 v[106:107], v[154:155], v[138:139], v[96:97] op_sel_hi:[1,0,1]
	v_pk_add_f32 v[92:93], v[100:101], v[92:93]
	v_pk_fma_f32 v[96:97], v[154:155], v[138:139], v[96:97] neg_lo:[0,0,1] neg_hi:[0,0,1]
	v_pk_fma_f32 v[100:101], v[156:157], v[140:141], v[98:99] op_sel_hi:[1,0,1]
	v_pk_mul_f32 v[102:103], v[214:215], v[102:103] op_sel_hi:[1,0]
	v_mov_b32_e32 v97, v107
	v_pk_add_f32 v[92:93], v[92:93], v[94:95]
	v_pk_fma_f32 v[98:99], v[156:157], v[140:141], v[98:99] neg_lo:[0,0,1] neg_hi:[0,0,1]
	s_wait_loadcnt 0x2
	v_pk_mul_f32 v[104:105], v[160:161], v[144:145] op_sel:[1,1] op_sel_hi:[0,1]
	v_dual_mov_b32 v94, v147 :: v_dual_mov_b32 v99, v101
	v_pk_fma_f32 v[100:101], v[158:159], v[142:143], v[102:103] op_sel_hi:[1,0,1]
	v_pk_add_f32 v[92:93], v[92:93], v[96:97]
	v_pk_fma_f32 v[102:103], v[158:159], v[142:143], v[102:103] neg_lo:[0,0,1] neg_hi:[0,0,1]
	v_pk_fma_f32 v[96:97], v[160:161], v[144:145], v[104:105] op_sel_hi:[1,0,1]
	v_pk_mul_f32 v[94:95], v[216:217], v[94:95] op_sel_hi:[1,0]
	v_mov_b32_e32 v103, v101
	v_pk_add_f32 v[92:93], v[92:93], v[98:99]
	v_pk_fma_f32 v[98:99], v[160:161], v[144:145], v[104:105] neg_lo:[0,0,1] neg_hi:[0,0,1]
	v_mov_b32_e32 v99, v97
	v_pk_fma_f32 v[96:97], v[162:163], v[146:147], v[94:95] op_sel_hi:[1,0,1]
	s_wait_loadcnt_dscnt 0x100
	v_pk_mul_f32 v[100:101], v[208:209], v[204:205] op_sel:[1,1] op_sel_hi:[0,1]
	v_pk_add_f32 v[92:93], v[92:93], v[102:103]
	v_pk_fma_f32 v[94:95], v[162:163], v[146:147], v[94:95] neg_lo:[0,0,1] neg_hi:[0,0,1]
	v_mov_b32_e32 v95, v97
	s_delay_alu instid0(VALU_DEP_4) | instskip(NEXT) | instid1(VALU_DEP_4)
	v_pk_fma_f32 v[96:97], v[208:209], v[204:205], v[100:101] op_sel_hi:[1,0,1]
	v_pk_add_f32 v[92:93], v[92:93], v[98:99]
	v_pk_fma_f32 v[98:99], v[208:209], v[204:205], v[100:101] neg_lo:[0,0,1] neg_hi:[0,0,1]
	s_delay_alu instid0(VALU_DEP_3) | instskip(NEXT) | instid1(VALU_DEP_3)
	v_mov_b32_e32 v99, v97
	v_pk_add_f32 v[92:93], v[92:93], v[94:95]
	s_delay_alu instid0(VALU_DEP_1) | instskip(SKIP_1) | instid1(VALU_DEP_1)
	v_pk_add_f32 v[92:93], v[92:93], v[98:99]
	s_wait_loadcnt 0x0
	v_pk_add_f32 v[92:93], v[206:207], v[92:93] neg_lo:[0,1] neg_hi:[0,1]
	scratch_store_b64 off, v[92:93], off offset:120
	s_wait_xcnt 0x0
	v_cmpx_lt_u32_e32 14, v0
	s_cbranch_execz .LBB108_255
; %bb.254:
	scratch_load_b64 v[92:93], off, off offset:112
	v_mov_b64_e32 v[94:95], 0
	scratch_store_b64 off, v[94:95], off offset:112
	s_wait_loadcnt 0x0
	ds_store_b64 v1, v[92:93]
.LBB108_255:
	s_wait_xcnt 0x0
	s_or_b32 exec_lo, exec_lo, s0
	s_wait_storecnt_dscnt 0x0
	s_barrier_signal -1
	s_barrier_wait -1
	s_clause 0xf
	scratch_load_b128 v[92:95], off, off offset:120
	scratch_load_b128 v[96:99], off, off offset:136
	;; [unrolled: 1-line block ×15, first 2 shown]
	scratch_load_b64 v[212:213], off, off offset:112
	ds_load_2addr_b64 v[152:155], v7 offset0:83 offset1:84
	ds_load_2addr_b64 v[156:159], v7 offset0:85 offset1:86
	;; [unrolled: 1-line block ×15, first 2 shown]
	s_mov_b32 s0, exec_lo
	s_wait_dscnt 0xe
	v_dual_mov_b32 v214, v155 :: v_dual_mov_b32 v215, v154
	s_wait_dscnt 0xd
	v_dual_mov_b32 v216, v159 :: v_dual_mov_b32 v217, v158
	;; [unrolled: 2-line block ×4, first 2 shown]
	s_wait_loadcnt_dscnt 0xf0a
	v_dual_mul_f32 v7, v168, v93 :: v_dual_mul_f32 v9, v170, v95
	v_dual_mul_f32 v47, v169, v93 :: v_dual_mul_f32 v49, v171, v95
	s_wait_loadcnt_dscnt 0xe09
	v_dual_mul_f32 v11, v172, v97 :: v_dual_mul_f32 v13, v174, v99
	s_delay_alu instid0(VALU_DEP_3) | instskip(SKIP_3) | instid1(VALU_DEP_3)
	v_dual_fmac_f32 v7, v169, v92 :: v_dual_fmac_f32 v9, v171, v94
	s_wait_loadcnt_dscnt 0xc06
	v_dual_fma_f32 v47, v168, v92, -v47 :: v_dual_mul_f32 v59, v185, v105
	v_dual_mul_f32 v51, v173, v97 :: v_dual_mul_f32 v53, v175, v99
	v_dual_fma_f32 v49, v170, v94, -v49 :: v_dual_add_f32 v7, 0, v7
	s_delay_alu instid0(VALU_DEP_3) | instskip(SKIP_1) | instid1(VALU_DEP_4)
	v_dual_add_f32 v47, 0, v47 :: v_dual_fmac_f32 v11, v173, v96
	v_dual_mul_f32 v15, v180, v101 :: v_dual_mul_f32 v17, v182, v103
	v_dual_mul_f32 v61, v187, v107 :: v_dual_fma_f32 v51, v172, v96, -v51
	s_delay_alu instid0(VALU_DEP_4) | instskip(NEXT) | instid1(VALU_DEP_3)
	v_add_f32_e32 v7, v7, v9
	v_dual_add_f32 v9, v47, v49 :: v_dual_fmac_f32 v15, v181, v100
	v_dual_mul_f32 v55, v181, v101 :: v_dual_mul_f32 v57, v183, v103
	s_wait_loadcnt_dscnt 0xb05
	v_dual_mul_f32 v47, v189, v109 :: v_dual_fmac_f32 v13, v175, v98
	v_dual_fma_f32 v49, v174, v98, -v53 :: v_dual_add_f32 v7, v7, v11
	s_delay_alu instid0(VALU_DEP_3) | instskip(SKIP_1) | instid1(VALU_DEP_3)
	v_dual_add_f32 v9, v9, v51 :: v_dual_fma_f32 v51, v180, v100, -v55
	v_dual_mul_f32 v19, v184, v105 :: v_dual_mul_f32 v21, v186, v107
	v_add_f32_e32 v7, v7, v13
	s_delay_alu instid0(VALU_DEP_3) | instskip(SKIP_2) | instid1(VALU_DEP_3)
	v_dual_mul_f32 v11, v191, v111 :: v_dual_add_f32 v9, v9, v49
	s_wait_loadcnt_dscnt 0xa04
	v_dual_mul_f32 v13, v193, v113 :: v_dual_fmac_f32 v17, v183, v102
	v_dual_fma_f32 v49, v182, v102, -v57 :: v_dual_add_f32 v7, v7, v15
	s_delay_alu instid0(VALU_DEP_3) | instskip(SKIP_1) | instid1(VALU_DEP_3)
	v_dual_add_f32 v9, v9, v51 :: v_dual_fma_f32 v51, v184, v104, -v59
	v_dual_mul_f32 v15, v195, v115 :: v_dual_fmac_f32 v19, v185, v104
	v_add_f32_e32 v7, v7, v17
	s_delay_alu instid0(VALU_DEP_3)
	v_dual_add_f32 v9, v9, v49 :: v_dual_fmac_f32 v21, v187, v106
	v_dual_mul_f32 v23, v188, v109 :: v_dual_mul_f32 v25, v190, v111
	s_wait_loadcnt_dscnt 0x903
	v_dual_fma_f32 v49, v186, v106, -v61 :: v_dual_mul_f32 v17, v197, v117
	v_add_f32_e32 v7, v7, v19
	v_dual_add_f32 v9, v9, v51 :: v_dual_fma_f32 v47, v188, v108, -v47
	v_dual_mul_f32 v19, v199, v119 :: v_dual_fmac_f32 v23, v189, v108
	s_delay_alu instid0(VALU_DEP_3) | instskip(NEXT) | instid1(VALU_DEP_3)
	v_dual_add_f32 v7, v7, v21 :: v_dual_fma_f32 v11, v190, v110, -v11
	v_dual_add_f32 v9, v9, v49 :: v_dual_fmac_f32 v25, v191, v110
	v_dual_mul_f32 v27, v192, v113 :: v_dual_mul_f32 v29, v194, v115
	s_wait_loadcnt_dscnt 0x802
	s_delay_alu instid0(VALU_DEP_3) | instskip(NEXT) | instid1(VALU_DEP_3)
	v_dual_mul_f32 v21, v201, v121 :: v_dual_add_f32 v7, v7, v23
	v_dual_add_f32 v9, v9, v47 :: v_dual_fma_f32 v13, v192, v112, -v13
	s_delay_alu instid0(VALU_DEP_3) | instskip(NEXT) | instid1(VALU_DEP_2)
	v_dual_mul_f32 v23, v203, v123 :: v_dual_fmac_f32 v27, v193, v112
	v_dual_add_f32 v7, v7, v25 :: v_dual_add_f32 v9, v9, v11
	v_dual_mul_f32 v31, v196, v117 :: v_dual_mul_f32 v33, v198, v119
	s_wait_loadcnt_dscnt 0x701
	v_dual_mul_f32 v11, v205, v125 :: v_dual_fmac_f32 v29, v195, v114
	s_delay_alu instid0(VALU_DEP_3) | instskip(SKIP_2) | instid1(VALU_DEP_2)
	v_dual_fma_f32 v15, v194, v114, -v15 :: v_dual_add_f32 v7, v7, v27
	v_dual_add_f32 v9, v9, v13 :: v_dual_mul_f32 v13, v207, v127
	v_dual_fmac_f32 v31, v197, v116 :: v_dual_fma_f32 v17, v196, v116, -v17
	v_dual_add_f32 v7, v7, v29 :: v_dual_add_f32 v9, v9, v15
	v_dual_mul_f32 v35, v200, v121 :: v_dual_mul_f32 v37, v202, v123
	s_wait_loadcnt_dscnt 0x600
	v_dual_mul_f32 v15, v209, v129 :: v_dual_fmac_f32 v33, v199, v118
	s_delay_alu instid0(VALU_DEP_3) | instskip(SKIP_2) | instid1(VALU_DEP_2)
	v_dual_fma_f32 v19, v198, v118, -v19 :: v_dual_add_f32 v7, v7, v31
	v_dual_add_f32 v9, v9, v17 :: v_dual_mul_f32 v17, v211, v131
	v_dual_fmac_f32 v35, v201, v120 :: v_dual_fma_f32 v21, v200, v120, -v21
	v_dual_add_f32 v7, v7, v33 :: v_dual_add_f32 v9, v9, v19
	v_dual_mul_f32 v39, v204, v125 :: v_dual_mul_f32 v41, v206, v127
	s_wait_loadcnt 0x5
	v_dual_mul_f32 v19, v177, v133 :: v_dual_fmac_f32 v37, v203, v122
	s_delay_alu instid0(VALU_DEP_3) | instskip(SKIP_2) | instid1(VALU_DEP_3)
	v_dual_fma_f32 v23, v202, v122, -v23 :: v_dual_add_f32 v7, v7, v35
	v_dual_add_f32 v9, v9, v21 :: v_dual_mul_f32 v21, v179, v135
	v_fmac_f32_e32 v39, v205, v124
	v_dual_fma_f32 v11, v204, v124, -v11 :: v_dual_add_f32 v7, v7, v37
	s_delay_alu instid0(VALU_DEP_3) | instskip(SKIP_1) | instid1(VALU_DEP_3)
	v_dual_add_f32 v9, v9, v23 :: v_dual_mul_f32 v43, v208, v129
	v_dual_mul_f32 v45, v210, v131 :: v_dual_fmac_f32 v41, v207, v126
	v_dual_fma_f32 v13, v206, v126, -v13 :: v_dual_add_f32 v7, v7, v39
	s_wait_loadcnt 0x4
	s_delay_alu instid0(VALU_DEP_3) | instskip(SKIP_1) | instid1(VALU_DEP_3)
	v_dual_add_f32 v9, v9, v11 :: v_dual_mov_b32 v94, v139
	v_fmac_f32_e32 v43, v209, v128
	v_dual_fma_f32 v11, v208, v128, -v15 :: v_dual_add_f32 v7, v7, v41
	s_delay_alu instid0(VALU_DEP_3) | instskip(SKIP_1) | instid1(VALU_DEP_3)
	v_dual_add_f32 v9, v9, v13 :: v_dual_fmac_f32 v45, v211, v130
	v_dual_mul_f32 v223, v176, v133 :: v_dual_mul_f32 v225, v178, v135
	v_dual_fma_f32 v13, v210, v130, -v17 :: v_dual_add_f32 v7, v7, v43
	s_wait_loadcnt 0x3
	s_delay_alu instid0(VALU_DEP_3) | instskip(SKIP_1) | instid1(VALU_DEP_3)
	v_dual_add_f32 v9, v9, v11 :: v_dual_mov_b32 v98, v143
	v_pk_mul_f32 v[92:93], v[152:153], v[136:137] op_sel:[1,1] op_sel_hi:[0,1]
	v_dual_fmac_f32 v223, v177, v132 :: v_dual_add_f32 v101, v7, v45
	s_delay_alu instid0(VALU_DEP_3) | instskip(SKIP_1) | instid1(VALU_DEP_4)
	v_dual_fma_f32 v222, v176, v132, -v19 :: v_dual_add_f32 v100, v9, v13
	v_fmac_f32_e32 v225, v179, v134
	v_pk_fma_f32 v[102:103], v[152:153], v[136:137], v[92:93] op_sel_hi:[1,0,1]
	v_fma_f32 v224, v178, v134, -v21
	v_pk_mul_f32 v[94:95], v[214:215], v[94:95] op_sel_hi:[1,0]
	v_pk_add_f32 v[100:101], v[100:101], v[222:223]
	v_pk_fma_f32 v[92:93], v[152:153], v[136:137], v[92:93] neg_lo:[0,0,1] neg_hi:[0,0,1]
	v_pk_mul_f32 v[96:97], v[156:157], v[140:141] op_sel:[1,1] op_sel_hi:[0,1]
	v_mov_b32_e32 v93, v103
	v_pk_fma_f32 v[102:103], v[154:155], v[138:139], v[94:95] op_sel_hi:[1,0,1]
	v_pk_add_f32 v[100:101], v[100:101], v[224:225]
	v_pk_fma_f32 v[94:95], v[154:155], v[138:139], v[94:95] neg_lo:[0,0,1] neg_hi:[0,0,1]
	v_pk_fma_f32 v[106:107], v[156:157], v[140:141], v[96:97] op_sel_hi:[1,0,1]
	v_pk_mul_f32 v[98:99], v[216:217], v[98:99] op_sel_hi:[1,0]
	v_mov_b32_e32 v95, v103
	v_pk_add_f32 v[92:93], v[100:101], v[92:93]
	s_wait_loadcnt 0x2
	v_pk_mul_f32 v[104:105], v[160:161], v[144:145] op_sel:[1,1] op_sel_hi:[0,1]
	v_mov_b32_e32 v100, v147
	v_pk_fma_f32 v[96:97], v[156:157], v[140:141], v[96:97] neg_lo:[0,0,1] neg_hi:[0,0,1]
	v_pk_fma_f32 v[102:103], v[158:159], v[142:143], v[98:99] op_sel_hi:[1,0,1]
	v_mov_b32_e32 v97, v107
	v_pk_add_f32 v[92:93], v[92:93], v[94:95]
	v_pk_fma_f32 v[94:95], v[160:161], v[144:145], v[104:105] op_sel_hi:[1,0,1]
	v_pk_mul_f32 v[100:101], v[218:219], v[100:101] op_sel_hi:[1,0]
	v_pk_fma_f32 v[98:99], v[158:159], v[142:143], v[98:99] neg_lo:[0,0,1] neg_hi:[0,0,1]
	v_mov_b32_e32 v99, v103
	v_pk_add_f32 v[92:93], v[92:93], v[96:97]
	v_pk_fma_f32 v[102:103], v[160:161], v[144:145], v[104:105] neg_lo:[0,0,1] neg_hi:[0,0,1]
	v_mov_b32_e32 v103, v95
	v_pk_fma_f32 v[94:95], v[162:163], v[146:147], v[100:101] op_sel_hi:[1,0,1]
	s_wait_loadcnt 0x1
	v_pk_mul_f32 v[96:97], v[164:165], v[148:149] op_sel:[1,1] op_sel_hi:[0,1]
	v_pk_add_f32 v[92:93], v[92:93], v[98:99]
	v_mov_b32_e32 v94, v151
	v_pk_fma_f32 v[100:101], v[162:163], v[146:147], v[100:101] neg_lo:[0,0,1] neg_hi:[0,0,1]
	s_delay_alu instid0(VALU_DEP_4)
	v_pk_fma_f32 v[98:99], v[164:165], v[148:149], v[96:97] op_sel_hi:[1,0,1]
	v_mov_b32_e32 v101, v95
	v_pk_add_f32 v[92:93], v[92:93], v[102:103]
	v_pk_mul_f32 v[94:95], v[220:221], v[94:95] op_sel_hi:[1,0]
	v_pk_fma_f32 v[96:97], v[164:165], v[148:149], v[96:97] neg_lo:[0,0,1] neg_hi:[0,0,1]
	v_mov_b32_e32 v97, v99
	s_delay_alu instid0(VALU_DEP_4) | instskip(NEXT) | instid1(VALU_DEP_4)
	v_pk_add_f32 v[92:93], v[92:93], v[100:101]
	v_pk_fma_f32 v[98:99], v[166:167], v[150:151], v[94:95] op_sel_hi:[1,0,1]
	v_pk_fma_f32 v[94:95], v[166:167], v[150:151], v[94:95] neg_lo:[0,0,1] neg_hi:[0,0,1]
	s_delay_alu instid0(VALU_DEP_3) | instskip(NEXT) | instid1(VALU_DEP_3)
	v_pk_add_f32 v[92:93], v[92:93], v[96:97]
	v_mov_b32_e32 v95, v99
	s_delay_alu instid0(VALU_DEP_1) | instskip(SKIP_1) | instid1(VALU_DEP_1)
	v_pk_add_f32 v[92:93], v[92:93], v[94:95]
	s_wait_loadcnt 0x0
	v_pk_add_f32 v[92:93], v[212:213], v[92:93] neg_lo:[0,1] neg_hi:[0,1]
	scratch_store_b64 off, v[92:93], off offset:112
	s_wait_xcnt 0x0
	v_cmpx_lt_u32_e32 13, v0
	s_cbranch_execz .LBB108_257
; %bb.256:
	scratch_load_b64 v[92:93], off, off offset:104
	v_mov_b64_e32 v[94:95], 0
	scratch_store_b64 off, v[94:95], off offset:104
	s_wait_loadcnt 0x0
	ds_store_b64 v1, v[92:93]
.LBB108_257:
	s_wait_xcnt 0x0
	s_or_b32 exec_lo, exec_lo, s0
	s_wait_storecnt_dscnt 0x0
	s_barrier_signal -1
	s_barrier_wait -1
	s_clause 0x10
	scratch_load_b128 v[92:95], off, off offset:112
	scratch_load_b128 v[96:99], off, off offset:128
	;; [unrolled: 1-line block ×15, first 2 shown]
	scratch_load_b64 v[212:213], off, off offset:352
	scratch_load_b64 v[214:215], off, off offset:104
	v_mov_b32_e32 v7, 0
	ds_load_b128 v[152:155], v7 offset:656
	ds_load_b128 v[156:159], v7 offset:672
	;; [unrolled: 1-line block ×15, first 2 shown]
	ds_load_b64 v[216:217], v7 offset:720
	s_mov_b32 s0, exec_lo
	s_wait_dscnt 0xf
	v_dual_mov_b32 v218, v155 :: v_dual_mov_b32 v219, v154
	s_wait_dscnt 0xc
	v_dual_mov_b32 v220, v159 :: v_dual_mov_b32 v225, v166
	v_dual_mov_b32 v221, v158 :: v_dual_mov_b32 v222, v163
	;; [unrolled: 1-line block ×3, first 2 shown]
	s_wait_loadcnt_dscnt 0x100b
	v_dual_mul_f32 v9, v168, v93 :: v_dual_mul_f32 v51, v169, v93
	v_dual_mul_f32 v53, v171, v95 :: v_dual_mul_f32 v11, v170, v95
	s_wait_loadcnt_dscnt 0xf09
	v_mul_f32_e32 v13, v176, v97
	s_wait_loadcnt_dscnt 0xd07
	v_dual_mul_f32 v63, v185, v105 :: v_dual_fma_f32 v51, v168, v92, -v51
	v_dual_fmac_f32 v9, v169, v92 :: v_dual_mul_f32 v65, v187, v107
	v_dual_mul_f32 v55, v177, v97 :: v_dual_mul_f32 v57, v179, v99
	v_dual_fmac_f32 v11, v171, v94 :: v_dual_fma_f32 v53, v170, v94, -v53
	s_delay_alu instid0(VALU_DEP_3) | instskip(SKIP_4) | instid1(VALU_DEP_3)
	v_dual_add_f32 v9, 0, v9 :: v_dual_add_f32 v51, 0, v51
	v_dual_mul_f32 v15, v178, v99 :: v_dual_mul_f32 v17, v180, v101
	s_wait_loadcnt_dscnt 0xc06
	v_dual_mul_f32 v67, v189, v109 :: v_dual_fma_f32 v55, v176, v96, -v55
	v_fmac_f32_e32 v13, v177, v96
	v_dual_add_f32 v9, v9, v11 :: v_dual_fmac_f32 v15, v179, v98
	v_add_f32_e32 v11, v51, v53
	v_dual_mul_f32 v59, v181, v101 :: v_dual_mul_f32 v61, v183, v103
	v_dual_mul_f32 v51, v191, v111 :: v_dual_fma_f32 v53, v178, v98, -v57
	s_delay_alu instid0(VALU_DEP_3) | instskip(SKIP_3) | instid1(VALU_DEP_3)
	v_dual_add_f32 v9, v9, v13 :: v_dual_add_f32 v11, v11, v55
	v_dual_mul_f32 v19, v182, v103 :: v_dual_mul_f32 v21, v184, v105
	s_wait_loadcnt_dscnt 0xb05
	v_dual_mul_f32 v13, v193, v113 :: v_dual_fma_f32 v55, v180, v100, -v59
	v_dual_fmac_f32 v17, v181, v100 :: v_dual_add_f32 v11, v11, v53
	s_delay_alu instid0(VALU_DEP_3) | instskip(SKIP_1) | instid1(VALU_DEP_2)
	v_dual_add_f32 v9, v9, v15 :: v_dual_fmac_f32 v19, v183, v102
	v_dual_mul_f32 v15, v195, v115 :: v_dual_fma_f32 v53, v182, v102, -v61
	v_dual_add_f32 v11, v11, v55 :: v_dual_add_f32 v9, v9, v17
	v_dual_mul_f32 v23, v186, v107 :: v_dual_mul_f32 v25, v188, v109
	s_wait_loadcnt_dscnt 0xa04
	v_dual_mul_f32 v17, v197, v117 :: v_dual_fma_f32 v55, v184, v104, -v63
	s_delay_alu instid0(VALU_DEP_3) | instskip(NEXT) | instid1(VALU_DEP_3)
	v_dual_fmac_f32 v21, v185, v104 :: v_dual_add_f32 v11, v11, v53
	v_dual_add_f32 v9, v9, v19 :: v_dual_fmac_f32 v23, v187, v106
	v_dual_mul_f32 v19, v199, v119 :: v_dual_fma_f32 v53, v186, v106, -v65
	s_delay_alu instid0(VALU_DEP_2) | instskip(SKIP_3) | instid1(VALU_DEP_3)
	v_dual_add_f32 v11, v11, v55 :: v_dual_add_f32 v9, v9, v21
	v_dual_mul_f32 v27, v190, v111 :: v_dual_mul_f32 v29, v192, v113
	s_wait_loadcnt_dscnt 0x903
	v_dual_mul_f32 v21, v201, v121 :: v_dual_fma_f32 v55, v188, v108, -v67
	v_dual_fmac_f32 v25, v189, v108 :: v_dual_add_f32 v11, v11, v53
	s_delay_alu instid0(VALU_DEP_3) | instskip(SKIP_1) | instid1(VALU_DEP_2)
	v_dual_add_f32 v9, v9, v23 :: v_dual_fmac_f32 v27, v191, v110
	v_dual_mul_f32 v23, v203, v123 :: v_dual_fma_f32 v51, v190, v110, -v51
	v_dual_add_f32 v11, v11, v55 :: v_dual_add_f32 v9, v9, v25
	v_dual_mul_f32 v31, v194, v115 :: v_dual_mul_f32 v33, v196, v117
	s_wait_loadcnt_dscnt 0x802
	v_dual_mul_f32 v25, v205, v125 :: v_dual_fma_f32 v13, v192, v112, -v13
	s_delay_alu instid0(VALU_DEP_3) | instskip(NEXT) | instid1(VALU_DEP_3)
	v_dual_fmac_f32 v29, v193, v112 :: v_dual_add_f32 v11, v11, v51
	v_dual_add_f32 v9, v9, v27 :: v_dual_fmac_f32 v31, v195, v114
	v_dual_mul_f32 v27, v207, v127 :: v_dual_fma_f32 v15, v194, v114, -v15
	s_delay_alu instid0(VALU_DEP_3) | instskip(NEXT) | instid1(VALU_DEP_3)
	v_dual_add_f32 v11, v11, v13 :: v_dual_fmac_f32 v33, v197, v116
	v_dual_add_f32 v9, v9, v29 :: v_dual_fma_f32 v17, v196, v116, -v17
	v_dual_mul_f32 v35, v198, v119 :: v_dual_mul_f32 v37, v200, v121
	s_wait_loadcnt_dscnt 0x701
	s_delay_alu instid0(VALU_DEP_3) | instskip(NEXT) | instid1(VALU_DEP_2)
	v_dual_mul_f32 v13, v209, v129 :: v_dual_add_f32 v11, v11, v15
	v_dual_add_f32 v9, v9, v31 :: v_dual_fmac_f32 v35, v199, v118
	v_dual_mul_f32 v15, v211, v131 :: v_dual_fma_f32 v19, v198, v118, -v19
	s_delay_alu instid0(VALU_DEP_3) | instskip(NEXT) | instid1(VALU_DEP_3)
	v_dual_add_f32 v11, v11, v17 :: v_dual_fmac_f32 v37, v201, v120
	v_dual_add_f32 v9, v9, v33 :: v_dual_fma_f32 v21, v200, v120, -v21
	v_dual_mul_f32 v39, v202, v123 :: v_dual_mul_f32 v41, v204, v125
	s_wait_loadcnt 0x6
	s_delay_alu instid0(VALU_DEP_3) | instskip(NEXT) | instid1(VALU_DEP_2)
	v_dual_mul_f32 v17, v173, v133 :: v_dual_add_f32 v11, v11, v19
	v_dual_add_f32 v9, v9, v35 :: v_dual_fmac_f32 v39, v203, v122
	v_dual_mul_f32 v19, v175, v135 :: v_dual_fma_f32 v23, v202, v122, -v23
	s_delay_alu instid0(VALU_DEP_3) | instskip(NEXT) | instid1(VALU_DEP_3)
	v_dual_add_f32 v11, v11, v21 :: v_dual_fmac_f32 v41, v205, v124
	v_dual_add_f32 v9, v9, v37 :: v_dual_fma_f32 v25, v204, v124, -v25
	v_dual_mul_f32 v43, v206, v127 :: v_dual_mul_f32 v45, v208, v129
	s_wait_loadcnt 0x5
	s_delay_alu instid0(VALU_DEP_3) | instskip(NEXT) | instid1(VALU_DEP_3)
	v_dual_mul_f32 v21, v153, v137 :: v_dual_add_f32 v11, v11, v23
	v_dual_add_f32 v9, v9, v39 :: v_dual_mov_b32 v92, v139
	s_delay_alu instid0(VALU_DEP_3) | instskip(NEXT) | instid1(VALU_DEP_3)
	v_fmac_f32_e32 v43, v207, v126
	v_dual_fma_f32 v23, v206, v126, -v27 :: v_dual_add_f32 v11, v11, v25
	s_delay_alu instid0(VALU_DEP_3) | instskip(SKIP_1) | instid1(VALU_DEP_3)
	v_dual_add_f32 v9, v9, v41 :: v_dual_mul_f32 v47, v210, v131
	v_dual_mul_f32 v49, v172, v133 :: v_dual_fmac_f32 v45, v209, v128
	v_dual_add_f32 v11, v11, v23 :: v_dual_fma_f32 v13, v208, v128, -v13
	s_wait_loadcnt 0x4
	s_delay_alu instid0(VALU_DEP_3) | instskip(SKIP_3) | instid1(VALU_DEP_4)
	v_dual_add_f32 v9, v9, v43 :: v_dual_mov_b32 v96, v143
	v_fma_f32 v15, v210, v130, -v15
	v_fmac_f32_e32 v47, v211, v130
	v_dual_add_f32 v11, v11, v13 :: v_dual_fmac_f32 v49, v173, v132
	v_dual_add_f32 v9, v9, v45 :: v_dual_mul_f32 v227, v174, v135
	v_mul_f32_e32 v229, v152, v137
	s_delay_alu instid0(VALU_DEP_3) | instskip(NEXT) | instid1(VALU_DEP_3)
	v_dual_fma_f32 v13, v172, v132, -v17 :: v_dual_add_f32 v11, v11, v15
	v_dual_fma_f32 v226, v174, v134, -v19 :: v_dual_add_f32 v9, v9, v47
	s_delay_alu instid0(VALU_DEP_4) | instskip(SKIP_1) | instid1(VALU_DEP_4)
	v_fmac_f32_e32 v227, v175, v134
	v_pk_mul_f32 v[92:93], v[218:219], v[92:93] op_sel_hi:[1,0]
	v_dual_add_f32 v100, v11, v13 :: v_dual_fmac_f32 v229, v153, v136
	s_delay_alu instid0(VALU_DEP_4)
	v_add_f32_e32 v101, v9, v49
	v_pk_mul_f32 v[94:95], v[156:157], v[140:141] op_sel:[1,1] op_sel_hi:[0,1]
	s_wait_loadcnt 0x3
	v_dual_mov_b32 v102, v147 :: v_dual_fma_f32 v228, v152, v136, -v21
	v_pk_fma_f32 v[104:105], v[154:155], v[138:139], v[92:93] op_sel_hi:[1,0,1]
	v_pk_add_f32 v[100:101], v[100:101], v[226:227]
	v_pk_fma_f32 v[92:93], v[154:155], v[138:139], v[92:93] neg_lo:[0,0,1] neg_hi:[0,0,1]
	v_pk_fma_f32 v[106:107], v[156:157], v[140:141], v[94:95] op_sel_hi:[1,0,1]
	v_pk_mul_f32 v[96:97], v[220:221], v[96:97] op_sel_hi:[1,0]
	v_mov_b32_e32 v93, v105
	v_pk_add_f32 v[100:101], v[100:101], v[228:229]
	v_pk_fma_f32 v[94:95], v[156:157], v[140:141], v[94:95] neg_lo:[0,0,1] neg_hi:[0,0,1]
	v_pk_mul_f32 v[98:99], v[160:161], v[144:145] op_sel:[1,1] op_sel_hi:[0,1]
	v_mov_b32_e32 v95, v107
	v_pk_fma_f32 v[106:107], v[158:159], v[142:143], v[96:97] op_sel_hi:[1,0,1]
	v_pk_add_f32 v[92:93], v[100:101], v[92:93]
	v_pk_fma_f32 v[96:97], v[158:159], v[142:143], v[96:97] neg_lo:[0,0,1] neg_hi:[0,0,1]
	v_pk_fma_f32 v[100:101], v[160:161], v[144:145], v[98:99] op_sel_hi:[1,0,1]
	v_pk_mul_f32 v[102:103], v[222:223], v[102:103] op_sel_hi:[1,0]
	v_mov_b32_e32 v97, v107
	v_pk_add_f32 v[92:93], v[92:93], v[94:95]
	v_pk_fma_f32 v[98:99], v[160:161], v[144:145], v[98:99] neg_lo:[0,0,1] neg_hi:[0,0,1]
	s_wait_loadcnt 0x2
	v_pk_mul_f32 v[104:105], v[164:165], v[148:149] op_sel:[1,1] op_sel_hi:[0,1]
	v_dual_mov_b32 v94, v151 :: v_dual_mov_b32 v99, v101
	v_pk_fma_f32 v[100:101], v[162:163], v[146:147], v[102:103] op_sel_hi:[1,0,1]
	v_pk_add_f32 v[92:93], v[92:93], v[96:97]
	v_pk_fma_f32 v[102:103], v[162:163], v[146:147], v[102:103] neg_lo:[0,0,1] neg_hi:[0,0,1]
	v_pk_fma_f32 v[96:97], v[164:165], v[148:149], v[104:105] op_sel_hi:[1,0,1]
	v_pk_mul_f32 v[94:95], v[224:225], v[94:95] op_sel_hi:[1,0]
	v_mov_b32_e32 v103, v101
	v_pk_add_f32 v[92:93], v[92:93], v[98:99]
	v_pk_fma_f32 v[98:99], v[164:165], v[148:149], v[104:105] neg_lo:[0,0,1] neg_hi:[0,0,1]
	v_mov_b32_e32 v99, v97
	v_pk_fma_f32 v[96:97], v[166:167], v[150:151], v[94:95] op_sel_hi:[1,0,1]
	s_wait_loadcnt_dscnt 0x100
	v_pk_mul_f32 v[100:101], v[216:217], v[212:213] op_sel:[1,1] op_sel_hi:[0,1]
	v_pk_add_f32 v[92:93], v[92:93], v[102:103]
	v_pk_fma_f32 v[94:95], v[166:167], v[150:151], v[94:95] neg_lo:[0,0,1] neg_hi:[0,0,1]
	v_mov_b32_e32 v95, v97
	s_delay_alu instid0(VALU_DEP_4) | instskip(NEXT) | instid1(VALU_DEP_4)
	v_pk_fma_f32 v[96:97], v[216:217], v[212:213], v[100:101] op_sel_hi:[1,0,1]
	v_pk_add_f32 v[92:93], v[92:93], v[98:99]
	v_pk_fma_f32 v[98:99], v[216:217], v[212:213], v[100:101] neg_lo:[0,0,1] neg_hi:[0,0,1]
	s_delay_alu instid0(VALU_DEP_3) | instskip(NEXT) | instid1(VALU_DEP_3)
	v_mov_b32_e32 v99, v97
	v_pk_add_f32 v[92:93], v[92:93], v[94:95]
	s_delay_alu instid0(VALU_DEP_1) | instskip(SKIP_1) | instid1(VALU_DEP_1)
	v_pk_add_f32 v[92:93], v[92:93], v[98:99]
	s_wait_loadcnt 0x0
	v_pk_add_f32 v[92:93], v[214:215], v[92:93] neg_lo:[0,1] neg_hi:[0,1]
	scratch_store_b64 off, v[92:93], off offset:104
	s_wait_xcnt 0x0
	v_cmpx_lt_u32_e32 12, v0
	s_cbranch_execz .LBB108_259
; %bb.258:
	scratch_load_b64 v[92:93], off, off offset:96
	v_mov_b64_e32 v[94:95], 0
	scratch_store_b64 off, v[94:95], off offset:96
	s_wait_loadcnt 0x0
	ds_store_b64 v1, v[92:93]
.LBB108_259:
	s_wait_xcnt 0x0
	s_or_b32 exec_lo, exec_lo, s0
	s_wait_storecnt_dscnt 0x0
	s_barrier_signal -1
	s_barrier_wait -1
	s_clause 0x10
	scratch_load_b128 v[92:95], off, off offset:104
	scratch_load_b128 v[96:99], off, off offset:120
	;; [unrolled: 1-line block ×16, first 2 shown]
	scratch_load_b64 v[220:221], off, off offset:96
	ds_load_2addr_b64 v[156:159], v7 offset0:83 offset1:84
	ds_load_2addr_b64 v[160:163], v7 offset0:85 offset1:86
	;; [unrolled: 1-line block ×16, first 2 shown]
	s_mov_b32 s0, exec_lo
	s_wait_dscnt 0xf
	v_dual_mov_b32 v222, v159 :: v_dual_mov_b32 v223, v158
	s_wait_dscnt 0xe
	v_dual_mov_b32 v224, v163 :: v_dual_mov_b32 v225, v162
	s_wait_dscnt 0xd
	v_dual_mov_b32 v226, v167 :: v_dual_mov_b32 v227, v166
	s_wait_dscnt 0xc
	v_dual_mov_b32 v228, v171 :: v_dual_mov_b32 v229, v170
	s_wait_loadcnt_dscnt 0x100b
	v_dual_mul_f32 v7, v172, v93 :: v_dual_mul_f32 v9, v174, v95
	v_dual_mul_f32 v51, v173, v93 :: v_dual_mul_f32 v53, v175, v95
	s_wait_loadcnt_dscnt 0xf0a
	v_dual_mul_f32 v11, v176, v97 :: v_dual_mul_f32 v13, v178, v99
	s_delay_alu instid0(VALU_DEP_3) | instskip(SKIP_3) | instid1(VALU_DEP_3)
	v_dual_fmac_f32 v7, v173, v92 :: v_dual_fmac_f32 v9, v175, v94
	s_wait_loadcnt_dscnt 0xd08
	v_dual_fma_f32 v51, v172, v92, -v51 :: v_dual_mul_f32 v63, v185, v105
	v_dual_mul_f32 v55, v177, v97 :: v_dual_mul_f32 v57, v179, v99
	v_dual_fma_f32 v53, v174, v94, -v53 :: v_dual_add_f32 v7, 0, v7
	s_delay_alu instid0(VALU_DEP_3) | instskip(SKIP_1) | instid1(VALU_DEP_4)
	v_dual_add_f32 v51, 0, v51 :: v_dual_fmac_f32 v11, v177, v96
	v_dual_mul_f32 v15, v180, v101 :: v_dual_mul_f32 v17, v182, v103
	v_dual_mul_f32 v65, v187, v107 :: v_dual_fma_f32 v55, v176, v96, -v55
	s_delay_alu instid0(VALU_DEP_4) | instskip(NEXT) | instid1(VALU_DEP_3)
	v_add_f32_e32 v7, v7, v9
	v_dual_add_f32 v9, v51, v53 :: v_dual_fmac_f32 v15, v181, v100
	v_dual_mul_f32 v59, v181, v101 :: v_dual_mul_f32 v61, v183, v103
	s_wait_loadcnt_dscnt 0xc07
	v_dual_mul_f32 v51, v189, v109 :: v_dual_fmac_f32 v13, v179, v98
	v_dual_fma_f32 v53, v178, v98, -v57 :: v_dual_add_f32 v7, v7, v11
	s_delay_alu instid0(VALU_DEP_3) | instskip(SKIP_1) | instid1(VALU_DEP_3)
	v_dual_add_f32 v9, v9, v55 :: v_dual_fma_f32 v55, v180, v100, -v59
	v_dual_mul_f32 v19, v184, v105 :: v_dual_mul_f32 v21, v186, v107
	v_add_f32_e32 v7, v7, v13
	s_delay_alu instid0(VALU_DEP_3) | instskip(SKIP_2) | instid1(VALU_DEP_3)
	v_dual_mul_f32 v11, v191, v111 :: v_dual_add_f32 v9, v9, v53
	s_wait_loadcnt_dscnt 0xb06
	v_dual_mul_f32 v13, v193, v113 :: v_dual_fmac_f32 v17, v183, v102
	v_dual_fma_f32 v53, v182, v102, -v61 :: v_dual_add_f32 v7, v7, v15
	s_delay_alu instid0(VALU_DEP_3) | instskip(SKIP_1) | instid1(VALU_DEP_3)
	v_dual_add_f32 v9, v9, v55 :: v_dual_fma_f32 v55, v184, v104, -v63
	v_dual_mul_f32 v15, v195, v115 :: v_dual_fmac_f32 v19, v185, v104
	v_add_f32_e32 v7, v7, v17
	s_delay_alu instid0(VALU_DEP_3)
	v_dual_add_f32 v9, v9, v53 :: v_dual_fmac_f32 v21, v187, v106
	v_dual_mul_f32 v23, v188, v109 :: v_dual_mul_f32 v25, v190, v111
	s_wait_loadcnt_dscnt 0xa05
	v_dual_fma_f32 v53, v186, v106, -v65 :: v_dual_mul_f32 v17, v197, v117
	v_add_f32_e32 v7, v7, v19
	v_dual_add_f32 v9, v9, v55 :: v_dual_fma_f32 v51, v188, v108, -v51
	v_dual_mul_f32 v19, v199, v119 :: v_dual_fmac_f32 v23, v189, v108
	s_delay_alu instid0(VALU_DEP_3) | instskip(NEXT) | instid1(VALU_DEP_3)
	v_dual_add_f32 v7, v7, v21 :: v_dual_fma_f32 v11, v190, v110, -v11
	v_dual_add_f32 v9, v9, v53 :: v_dual_fmac_f32 v25, v191, v110
	v_dual_mul_f32 v27, v192, v113 :: v_dual_mul_f32 v29, v194, v115
	s_wait_loadcnt_dscnt 0x904
	s_delay_alu instid0(VALU_DEP_3) | instskip(NEXT) | instid1(VALU_DEP_3)
	v_dual_mul_f32 v21, v201, v121 :: v_dual_add_f32 v7, v7, v23
	v_dual_add_f32 v9, v9, v51 :: v_dual_fma_f32 v13, v192, v112, -v13
	s_delay_alu instid0(VALU_DEP_3) | instskip(NEXT) | instid1(VALU_DEP_2)
	v_dual_mul_f32 v23, v203, v123 :: v_dual_fmac_f32 v27, v193, v112
	v_dual_add_f32 v7, v7, v25 :: v_dual_add_f32 v9, v9, v11
	v_dual_mul_f32 v31, v196, v117 :: v_dual_mul_f32 v33, v198, v119
	s_wait_loadcnt_dscnt 0x803
	v_dual_mul_f32 v11, v205, v125 :: v_dual_fmac_f32 v29, v195, v114
	s_delay_alu instid0(VALU_DEP_3) | instskip(SKIP_2) | instid1(VALU_DEP_2)
	v_dual_fma_f32 v15, v194, v114, -v15 :: v_dual_add_f32 v7, v7, v27
	v_dual_add_f32 v9, v9, v13 :: v_dual_mul_f32 v13, v207, v127
	v_dual_fmac_f32 v31, v197, v116 :: v_dual_fma_f32 v17, v196, v116, -v17
	v_dual_add_f32 v7, v7, v29 :: v_dual_add_f32 v9, v9, v15
	v_dual_mul_f32 v35, v200, v121 :: v_dual_mul_f32 v37, v202, v123
	s_wait_loadcnt_dscnt 0x702
	v_dual_mul_f32 v15, v209, v129 :: v_dual_fmac_f32 v33, v199, v118
	s_delay_alu instid0(VALU_DEP_3) | instskip(SKIP_2) | instid1(VALU_DEP_2)
	v_dual_fma_f32 v19, v198, v118, -v19 :: v_dual_add_f32 v7, v7, v31
	v_dual_add_f32 v9, v9, v17 :: v_dual_mul_f32 v17, v211, v131
	v_dual_fmac_f32 v35, v201, v120 :: v_dual_fma_f32 v21, v200, v120, -v21
	v_dual_add_f32 v7, v7, v33 :: v_dual_add_f32 v9, v9, v19
	v_dual_mul_f32 v39, v204, v125 :: v_dual_mul_f32 v41, v206, v127
	s_wait_loadcnt_dscnt 0x601
	v_dual_mul_f32 v19, v213, v133 :: v_dual_fmac_f32 v37, v203, v122
	s_delay_alu instid0(VALU_DEP_3) | instskip(SKIP_2) | instid1(VALU_DEP_3)
	v_dual_fma_f32 v23, v202, v122, -v23 :: v_dual_add_f32 v7, v7, v35
	v_dual_add_f32 v9, v9, v21 :: v_dual_mul_f32 v21, v215, v135
	v_fmac_f32_e32 v39, v205, v124
	v_dual_fma_f32 v11, v204, v124, -v11 :: v_dual_add_f32 v7, v7, v37
	s_delay_alu instid0(VALU_DEP_3)
	v_dual_add_f32 v9, v9, v23 :: v_dual_mul_f32 v43, v208, v129
	s_wait_loadcnt_dscnt 0x500
	v_dual_mul_f32 v45, v210, v131 :: v_dual_mul_f32 v23, v217, v137
	v_fmac_f32_e32 v41, v207, v126
	v_dual_fma_f32 v13, v206, v126, -v13 :: v_dual_add_f32 v7, v7, v39
	v_dual_add_f32 v9, v9, v11 :: v_dual_fma_f32 v15, v208, v128, -v15
	v_dual_mul_f32 v11, v219, v139 :: v_dual_fmac_f32 v43, v209, v128
	s_delay_alu instid0(VALU_DEP_3) | instskip(NEXT) | instid1(VALU_DEP_3)
	v_add_f32_e32 v7, v7, v41
	v_dual_add_f32 v9, v9, v13 :: v_dual_fmac_f32 v45, v211, v130
	v_dual_mul_f32 v47, v212, v133 :: v_dual_mul_f32 v49, v214, v135
	s_delay_alu instid0(VALU_DEP_3) | instskip(SKIP_1) | instid1(VALU_DEP_3)
	v_dual_fma_f32 v13, v210, v130, -v17 :: v_dual_add_f32 v7, v7, v43
	s_wait_loadcnt 0x4
	v_dual_add_f32 v9, v9, v15 :: v_dual_mov_b32 v94, v143
	s_delay_alu instid0(VALU_DEP_3) | instskip(NEXT) | instid1(VALU_DEP_3)
	v_fmac_f32_e32 v47, v213, v132
	v_dual_fma_f32 v15, v212, v132, -v19 :: v_dual_add_f32 v7, v7, v45
	s_delay_alu instid0(VALU_DEP_3) | instskip(SKIP_1) | instid1(VALU_DEP_3)
	v_dual_add_f32 v9, v9, v13 :: v_dual_fmac_f32 v49, v215, v134
	v_dual_mul_f32 v231, v216, v137 :: v_dual_mul_f32 v233, v218, v139
	v_dual_fma_f32 v13, v214, v134, -v21 :: v_dual_add_f32 v7, v7, v47
	s_wait_loadcnt 0x3
	s_delay_alu instid0(VALU_DEP_3) | instskip(SKIP_1) | instid1(VALU_DEP_3)
	v_dual_add_f32 v9, v9, v15 :: v_dual_mov_b32 v98, v147
	v_pk_mul_f32 v[92:93], v[156:157], v[140:141] op_sel:[1,1] op_sel_hi:[0,1]
	v_dual_fmac_f32 v231, v217, v136 :: v_dual_add_f32 v101, v7, v49
	s_delay_alu instid0(VALU_DEP_3) | instskip(SKIP_1) | instid1(VALU_DEP_4)
	v_dual_fma_f32 v230, v216, v136, -v23 :: v_dual_add_f32 v100, v9, v13
	v_dual_fmac_f32 v233, v219, v138 :: v_dual_fma_f32 v232, v218, v138, -v11
	v_pk_fma_f32 v[102:103], v[156:157], v[140:141], v[92:93] op_sel_hi:[1,0,1]
	v_pk_mul_f32 v[94:95], v[222:223], v[94:95] op_sel_hi:[1,0]
	s_delay_alu instid0(VALU_DEP_4)
	v_pk_add_f32 v[100:101], v[100:101], v[230:231]
	v_pk_fma_f32 v[92:93], v[156:157], v[140:141], v[92:93] neg_lo:[0,0,1] neg_hi:[0,0,1]
	v_pk_mul_f32 v[96:97], v[160:161], v[144:145] op_sel:[1,1] op_sel_hi:[0,1]
	v_mov_b32_e32 v93, v103
	v_pk_fma_f32 v[102:103], v[158:159], v[142:143], v[94:95] op_sel_hi:[1,0,1]
	v_pk_add_f32 v[100:101], v[100:101], v[232:233]
	v_pk_fma_f32 v[94:95], v[158:159], v[142:143], v[94:95] neg_lo:[0,0,1] neg_hi:[0,0,1]
	v_pk_fma_f32 v[106:107], v[160:161], v[144:145], v[96:97] op_sel_hi:[1,0,1]
	v_pk_mul_f32 v[98:99], v[224:225], v[98:99] op_sel_hi:[1,0]
	v_mov_b32_e32 v95, v103
	v_pk_add_f32 v[92:93], v[100:101], v[92:93]
	s_wait_loadcnt 0x2
	v_pk_mul_f32 v[104:105], v[164:165], v[148:149] op_sel:[1,1] op_sel_hi:[0,1]
	v_mov_b32_e32 v100, v151
	v_pk_fma_f32 v[96:97], v[160:161], v[144:145], v[96:97] neg_lo:[0,0,1] neg_hi:[0,0,1]
	v_mov_b32_e32 v97, v107
	v_pk_fma_f32 v[102:103], v[162:163], v[146:147], v[98:99] op_sel_hi:[1,0,1]
	v_pk_add_f32 v[92:93], v[92:93], v[94:95]
	v_pk_fma_f32 v[94:95], v[164:165], v[148:149], v[104:105] op_sel_hi:[1,0,1]
	v_pk_mul_f32 v[100:101], v[226:227], v[100:101] op_sel_hi:[1,0]
	v_pk_fma_f32 v[98:99], v[162:163], v[146:147], v[98:99] neg_lo:[0,0,1] neg_hi:[0,0,1]
	v_mov_b32_e32 v99, v103
	v_pk_add_f32 v[92:93], v[92:93], v[96:97]
	v_pk_fma_f32 v[102:103], v[164:165], v[148:149], v[104:105] neg_lo:[0,0,1] neg_hi:[0,0,1]
	v_mov_b32_e32 v103, v95
	v_pk_fma_f32 v[94:95], v[166:167], v[150:151], v[100:101] op_sel_hi:[1,0,1]
	s_wait_loadcnt 0x1
	v_pk_mul_f32 v[96:97], v[168:169], v[152:153] op_sel:[1,1] op_sel_hi:[0,1]
	v_pk_add_f32 v[92:93], v[92:93], v[98:99]
	v_mov_b32_e32 v94, v155
	v_pk_fma_f32 v[100:101], v[166:167], v[150:151], v[100:101] neg_lo:[0,0,1] neg_hi:[0,0,1]
	v_mov_b32_e32 v101, v95
	v_pk_fma_f32 v[98:99], v[168:169], v[152:153], v[96:97] op_sel_hi:[1,0,1]
	v_pk_add_f32 v[92:93], v[92:93], v[102:103]
	v_pk_mul_f32 v[94:95], v[228:229], v[94:95] op_sel_hi:[1,0]
	v_pk_fma_f32 v[96:97], v[168:169], v[152:153], v[96:97] neg_lo:[0,0,1] neg_hi:[0,0,1]
	s_delay_alu instid0(VALU_DEP_4) | instskip(NEXT) | instid1(VALU_DEP_4)
	v_mov_b32_e32 v97, v99
	v_pk_add_f32 v[92:93], v[92:93], v[100:101]
	s_delay_alu instid0(VALU_DEP_4) | instskip(SKIP_1) | instid1(VALU_DEP_2)
	v_pk_fma_f32 v[98:99], v[170:171], v[154:155], v[94:95] op_sel_hi:[1,0,1]
	v_pk_fma_f32 v[94:95], v[170:171], v[154:155], v[94:95] neg_lo:[0,0,1] neg_hi:[0,0,1]
	v_mov_b32_e32 v95, v99
	s_delay_alu instid0(VALU_DEP_4) | instskip(NEXT) | instid1(VALU_DEP_1)
	v_pk_add_f32 v[92:93], v[92:93], v[96:97]
	v_pk_add_f32 v[92:93], v[92:93], v[94:95]
	s_wait_loadcnt 0x0
	s_delay_alu instid0(VALU_DEP_1)
	v_pk_add_f32 v[92:93], v[220:221], v[92:93] neg_lo:[0,1] neg_hi:[0,1]
	scratch_store_b64 off, v[92:93], off offset:96
	s_wait_xcnt 0x0
	v_cmpx_lt_u32_e32 11, v0
	s_cbranch_execz .LBB108_261
; %bb.260:
	scratch_load_b64 v[92:93], off, off offset:88
	v_mov_b64_e32 v[94:95], 0
	scratch_store_b64 off, v[94:95], off offset:88
	s_wait_loadcnt 0x0
	ds_store_b64 v1, v[92:93]
.LBB108_261:
	s_wait_xcnt 0x0
	s_or_b32 exec_lo, exec_lo, s0
	s_wait_storecnt_dscnt 0x0
	s_barrier_signal -1
	s_barrier_wait -1
	s_clause 0x11
	scratch_load_b128 v[92:95], off, off offset:96
	scratch_load_b128 v[96:99], off, off offset:112
	scratch_load_b128 v[100:103], off, off offset:128
	scratch_load_b128 v[104:107], off, off offset:144
	scratch_load_b128 v[108:111], off, off offset:160
	scratch_load_b128 v[112:115], off, off offset:176
	scratch_load_b128 v[116:119], off, off offset:192
	scratch_load_b128 v[120:123], off, off offset:208
	scratch_load_b128 v[124:127], off, off offset:224
	scratch_load_b128 v[128:131], off, off offset:240
	scratch_load_b128 v[132:135], off, off offset:256
	scratch_load_b128 v[136:139], off, off offset:272
	scratch_load_b128 v[140:143], off, off offset:288
	scratch_load_b128 v[144:147], off, off offset:304
	scratch_load_b128 v[148:151], off, off offset:320
	scratch_load_b128 v[152:155], off, off offset:336
	scratch_load_b64 v[220:221], off, off offset:352
	scratch_load_b64 v[222:223], off, off offset:88
	v_mov_b32_e32 v7, 0
	ds_load_b128 v[156:159], v7 offset:656
	ds_load_b128 v[160:163], v7 offset:672
	;; [unrolled: 1-line block ×16, first 2 shown]
	ds_load_b64 v[224:225], v7 offset:720
	s_mov_b32 s0, exec_lo
	s_wait_dscnt 0x10
	v_dual_mov_b32 v226, v159 :: v_dual_mov_b32 v227, v158
	s_wait_dscnt 0xd
	v_dual_mov_b32 v228, v163 :: v_dual_mov_b32 v233, v170
	v_dual_mov_b32 v229, v162 :: v_dual_mov_b32 v230, v167
	;; [unrolled: 1-line block ×3, first 2 shown]
	s_wait_loadcnt_dscnt 0x110c
	v_dual_mul_f32 v9, v172, v93 :: v_dual_mul_f32 v55, v173, v93
	v_dual_mul_f32 v57, v175, v95 :: v_dual_mul_f32 v11, v174, v95
	s_wait_loadcnt_dscnt 0x100b
	v_mul_f32_e32 v13, v176, v97
	s_wait_loadcnt_dscnt 0xe09
	v_dual_mul_f32 v67, v185, v105 :: v_dual_fma_f32 v55, v172, v92, -v55
	v_dual_fmac_f32 v9, v173, v92 :: v_dual_mul_f32 v69, v187, v107
	v_dual_mul_f32 v59, v177, v97 :: v_dual_mul_f32 v61, v179, v99
	v_dual_fmac_f32 v11, v175, v94 :: v_dual_fma_f32 v57, v174, v94, -v57
	s_delay_alu instid0(VALU_DEP_3) | instskip(SKIP_4) | instid1(VALU_DEP_3)
	v_dual_add_f32 v9, 0, v9 :: v_dual_add_f32 v55, 0, v55
	v_dual_mul_f32 v15, v178, v99 :: v_dual_mul_f32 v17, v180, v101
	s_wait_loadcnt_dscnt 0xd08
	v_dual_mul_f32 v71, v189, v109 :: v_dual_fma_f32 v59, v176, v96, -v59
	v_fmac_f32_e32 v13, v177, v96
	v_dual_add_f32 v9, v9, v11 :: v_dual_fmac_f32 v15, v179, v98
	v_add_f32_e32 v11, v55, v57
	v_dual_mul_f32 v63, v181, v101 :: v_dual_mul_f32 v65, v183, v103
	v_dual_mul_f32 v55, v191, v111 :: v_dual_fma_f32 v57, v178, v98, -v61
	s_delay_alu instid0(VALU_DEP_3) | instskip(SKIP_3) | instid1(VALU_DEP_3)
	v_dual_add_f32 v9, v9, v13 :: v_dual_add_f32 v11, v11, v59
	v_dual_mul_f32 v19, v182, v103 :: v_dual_mul_f32 v21, v184, v105
	s_wait_loadcnt_dscnt 0xc07
	v_dual_mul_f32 v13, v193, v113 :: v_dual_fma_f32 v59, v180, v100, -v63
	v_dual_fmac_f32 v17, v181, v100 :: v_dual_add_f32 v11, v11, v57
	s_delay_alu instid0(VALU_DEP_3) | instskip(SKIP_1) | instid1(VALU_DEP_2)
	v_dual_add_f32 v9, v9, v15 :: v_dual_fmac_f32 v19, v183, v102
	v_dual_mul_f32 v15, v195, v115 :: v_dual_fma_f32 v57, v182, v102, -v65
	v_dual_add_f32 v11, v11, v59 :: v_dual_add_f32 v9, v9, v17
	v_dual_mul_f32 v23, v186, v107 :: v_dual_mul_f32 v25, v188, v109
	s_wait_loadcnt_dscnt 0xb06
	v_dual_mul_f32 v17, v197, v117 :: v_dual_fma_f32 v59, v184, v104, -v67
	s_delay_alu instid0(VALU_DEP_3) | instskip(NEXT) | instid1(VALU_DEP_3)
	v_dual_fmac_f32 v21, v185, v104 :: v_dual_add_f32 v11, v11, v57
	v_dual_add_f32 v9, v9, v19 :: v_dual_fmac_f32 v23, v187, v106
	v_dual_mul_f32 v19, v199, v119 :: v_dual_fma_f32 v57, v186, v106, -v69
	s_delay_alu instid0(VALU_DEP_2) | instskip(SKIP_3) | instid1(VALU_DEP_3)
	v_dual_add_f32 v11, v11, v59 :: v_dual_add_f32 v9, v9, v21
	v_dual_mul_f32 v27, v190, v111 :: v_dual_mul_f32 v29, v192, v113
	s_wait_loadcnt_dscnt 0xa05
	v_dual_mul_f32 v21, v201, v121 :: v_dual_fma_f32 v59, v188, v108, -v71
	v_dual_fmac_f32 v25, v189, v108 :: v_dual_add_f32 v11, v11, v57
	s_delay_alu instid0(VALU_DEP_3) | instskip(SKIP_1) | instid1(VALU_DEP_2)
	v_dual_add_f32 v9, v9, v23 :: v_dual_fmac_f32 v27, v191, v110
	v_dual_mul_f32 v23, v203, v123 :: v_dual_fma_f32 v55, v190, v110, -v55
	v_dual_add_f32 v11, v11, v59 :: v_dual_add_f32 v9, v9, v25
	v_dual_mul_f32 v31, v194, v115 :: v_dual_mul_f32 v33, v196, v117
	s_wait_loadcnt_dscnt 0x904
	v_dual_mul_f32 v25, v205, v125 :: v_dual_fma_f32 v13, v192, v112, -v13
	s_delay_alu instid0(VALU_DEP_3) | instskip(NEXT) | instid1(VALU_DEP_3)
	v_dual_fmac_f32 v29, v193, v112 :: v_dual_add_f32 v11, v11, v55
	v_dual_add_f32 v9, v9, v27 :: v_dual_fmac_f32 v31, v195, v114
	v_dual_mul_f32 v27, v207, v127 :: v_dual_fma_f32 v15, v194, v114, -v15
	s_delay_alu instid0(VALU_DEP_3) | instskip(NEXT) | instid1(VALU_DEP_3)
	v_dual_add_f32 v11, v11, v13 :: v_dual_fmac_f32 v33, v197, v116
	v_dual_add_f32 v9, v9, v29 :: v_dual_fma_f32 v17, v196, v116, -v17
	v_dual_mul_f32 v35, v198, v119 :: v_dual_mul_f32 v37, v200, v121
	s_wait_loadcnt_dscnt 0x803
	s_delay_alu instid0(VALU_DEP_3) | instskip(NEXT) | instid1(VALU_DEP_2)
	v_dual_mul_f32 v13, v209, v129 :: v_dual_add_f32 v11, v11, v15
	v_dual_add_f32 v9, v9, v31 :: v_dual_fmac_f32 v35, v199, v118
	v_dual_mul_f32 v15, v211, v131 :: v_dual_fma_f32 v19, v198, v118, -v19
	s_delay_alu instid0(VALU_DEP_3) | instskip(NEXT) | instid1(VALU_DEP_3)
	v_dual_add_f32 v11, v11, v17 :: v_dual_fmac_f32 v37, v201, v120
	v_dual_add_f32 v9, v9, v33 :: v_dual_fma_f32 v21, v200, v120, -v21
	v_dual_mul_f32 v39, v202, v123 :: v_dual_mul_f32 v41, v204, v125
	s_wait_loadcnt_dscnt 0x702
	s_delay_alu instid0(VALU_DEP_3) | instskip(NEXT) | instid1(VALU_DEP_2)
	v_dual_mul_f32 v17, v213, v133 :: v_dual_add_f32 v11, v11, v19
	;; [unrolled: 9-line block ×3, first 2 shown]
	v_dual_add_f32 v9, v9, v39 :: v_dual_fmac_f32 v43, v207, v126
	v_dual_mul_f32 v23, v219, v139 :: v_dual_fma_f32 v27, v206, v126, -v27
	s_delay_alu instid0(VALU_DEP_3) | instskip(NEXT) | instid1(VALU_DEP_3)
	v_dual_add_f32 v11, v11, v25 :: v_dual_fmac_f32 v45, v209, v128
	v_dual_add_f32 v9, v9, v41 :: v_dual_fma_f32 v13, v208, v128, -v13
	v_dual_mul_f32 v47, v210, v131 :: v_dual_mul_f32 v49, v212, v133
	s_wait_loadcnt 0x5
	s_delay_alu instid0(VALU_DEP_3) | instskip(NEXT) | instid1(VALU_DEP_3)
	v_dual_mul_f32 v25, v157, v141 :: v_dual_add_f32 v11, v11, v27
	v_dual_add_f32 v9, v9, v43 :: v_dual_mov_b32 v92, v143
	s_delay_alu instid0(VALU_DEP_3) | instskip(NEXT) | instid1(VALU_DEP_3)
	v_fmac_f32_e32 v47, v211, v130
	v_dual_fma_f32 v15, v210, v130, -v15 :: v_dual_add_f32 v11, v11, v13
	s_delay_alu instid0(VALU_DEP_3) | instskip(SKIP_1) | instid1(VALU_DEP_3)
	v_dual_add_f32 v9, v9, v45 :: v_dual_mul_f32 v51, v214, v135
	v_dual_mul_f32 v53, v216, v137 :: v_dual_fmac_f32 v49, v213, v132
	v_dual_add_f32 v11, v11, v15 :: v_dual_fma_f32 v13, v212, v132, -v17
	s_wait_loadcnt 0x4
	s_delay_alu instid0(VALU_DEP_3) | instskip(SKIP_3) | instid1(VALU_DEP_4)
	v_dual_add_f32 v9, v9, v47 :: v_dual_mov_b32 v96, v147
	v_fma_f32 v15, v214, v134, -v19
	v_fmac_f32_e32 v51, v215, v134
	v_dual_add_f32 v11, v11, v13 :: v_dual_fmac_f32 v53, v217, v136
	v_dual_add_f32 v9, v9, v49 :: v_dual_mul_f32 v235, v218, v139
	v_mul_f32_e32 v237, v156, v141
	s_delay_alu instid0(VALU_DEP_3) | instskip(NEXT) | instid1(VALU_DEP_3)
	v_dual_fma_f32 v13, v216, v136, -v21 :: v_dual_add_f32 v11, v11, v15
	v_dual_fma_f32 v234, v218, v138, -v23 :: v_dual_add_f32 v9, v9, v51
	s_delay_alu instid0(VALU_DEP_4) | instskip(SKIP_1) | instid1(VALU_DEP_4)
	v_fmac_f32_e32 v235, v219, v138
	v_pk_mul_f32 v[92:93], v[226:227], v[92:93] op_sel_hi:[1,0]
	v_dual_add_f32 v100, v11, v13 :: v_dual_fmac_f32 v237, v157, v140
	s_delay_alu instid0(VALU_DEP_4)
	v_add_f32_e32 v101, v9, v53
	v_pk_mul_f32 v[94:95], v[160:161], v[144:145] op_sel:[1,1] op_sel_hi:[0,1]
	s_wait_loadcnt 0x3
	v_dual_mov_b32 v102, v151 :: v_dual_fma_f32 v236, v156, v140, -v25
	v_pk_fma_f32 v[104:105], v[158:159], v[142:143], v[92:93] op_sel_hi:[1,0,1]
	v_pk_add_f32 v[100:101], v[100:101], v[234:235]
	v_pk_fma_f32 v[92:93], v[158:159], v[142:143], v[92:93] neg_lo:[0,0,1] neg_hi:[0,0,1]
	v_pk_fma_f32 v[106:107], v[160:161], v[144:145], v[94:95] op_sel_hi:[1,0,1]
	v_pk_mul_f32 v[96:97], v[228:229], v[96:97] op_sel_hi:[1,0]
	v_mov_b32_e32 v93, v105
	v_pk_add_f32 v[100:101], v[100:101], v[236:237]
	v_pk_fma_f32 v[94:95], v[160:161], v[144:145], v[94:95] neg_lo:[0,0,1] neg_hi:[0,0,1]
	v_pk_mul_f32 v[98:99], v[164:165], v[148:149] op_sel:[1,1] op_sel_hi:[0,1]
	v_mov_b32_e32 v95, v107
	v_pk_fma_f32 v[106:107], v[162:163], v[146:147], v[96:97] op_sel_hi:[1,0,1]
	v_pk_add_f32 v[92:93], v[100:101], v[92:93]
	v_pk_fma_f32 v[96:97], v[162:163], v[146:147], v[96:97] neg_lo:[0,0,1] neg_hi:[0,0,1]
	v_pk_fma_f32 v[100:101], v[164:165], v[148:149], v[98:99] op_sel_hi:[1,0,1]
	v_pk_mul_f32 v[102:103], v[230:231], v[102:103] op_sel_hi:[1,0]
	v_mov_b32_e32 v97, v107
	v_pk_add_f32 v[92:93], v[92:93], v[94:95]
	v_pk_fma_f32 v[98:99], v[164:165], v[148:149], v[98:99] neg_lo:[0,0,1] neg_hi:[0,0,1]
	s_wait_loadcnt 0x2
	v_pk_mul_f32 v[104:105], v[168:169], v[152:153] op_sel:[1,1] op_sel_hi:[0,1]
	v_dual_mov_b32 v94, v155 :: v_dual_mov_b32 v99, v101
	v_pk_fma_f32 v[100:101], v[166:167], v[150:151], v[102:103] op_sel_hi:[1,0,1]
	v_pk_add_f32 v[92:93], v[92:93], v[96:97]
	v_pk_fma_f32 v[102:103], v[166:167], v[150:151], v[102:103] neg_lo:[0,0,1] neg_hi:[0,0,1]
	v_pk_fma_f32 v[96:97], v[168:169], v[152:153], v[104:105] op_sel_hi:[1,0,1]
	v_pk_mul_f32 v[94:95], v[232:233], v[94:95] op_sel_hi:[1,0]
	v_mov_b32_e32 v103, v101
	v_pk_add_f32 v[92:93], v[92:93], v[98:99]
	v_pk_fma_f32 v[98:99], v[168:169], v[152:153], v[104:105] neg_lo:[0,0,1] neg_hi:[0,0,1]
	v_mov_b32_e32 v99, v97
	v_pk_fma_f32 v[96:97], v[170:171], v[154:155], v[94:95] op_sel_hi:[1,0,1]
	s_wait_loadcnt_dscnt 0x100
	v_pk_mul_f32 v[100:101], v[224:225], v[220:221] op_sel:[1,1] op_sel_hi:[0,1]
	v_pk_add_f32 v[92:93], v[92:93], v[102:103]
	v_pk_fma_f32 v[94:95], v[170:171], v[154:155], v[94:95] neg_lo:[0,0,1] neg_hi:[0,0,1]
	v_mov_b32_e32 v95, v97
	s_delay_alu instid0(VALU_DEP_4) | instskip(NEXT) | instid1(VALU_DEP_4)
	v_pk_fma_f32 v[96:97], v[224:225], v[220:221], v[100:101] op_sel_hi:[1,0,1]
	v_pk_add_f32 v[92:93], v[92:93], v[98:99]
	v_pk_fma_f32 v[98:99], v[224:225], v[220:221], v[100:101] neg_lo:[0,0,1] neg_hi:[0,0,1]
	s_delay_alu instid0(VALU_DEP_3) | instskip(NEXT) | instid1(VALU_DEP_3)
	v_mov_b32_e32 v99, v97
	v_pk_add_f32 v[92:93], v[92:93], v[94:95]
	s_delay_alu instid0(VALU_DEP_1) | instskip(SKIP_1) | instid1(VALU_DEP_1)
	v_pk_add_f32 v[92:93], v[92:93], v[98:99]
	s_wait_loadcnt 0x0
	v_pk_add_f32 v[92:93], v[222:223], v[92:93] neg_lo:[0,1] neg_hi:[0,1]
	scratch_store_b64 off, v[92:93], off offset:88
	s_wait_xcnt 0x0
	v_cmpx_lt_u32_e32 10, v0
	s_cbranch_execz .LBB108_263
; %bb.262:
	scratch_load_b64 v[92:93], off, off offset:80
	v_mov_b64_e32 v[94:95], 0
	scratch_store_b64 off, v[94:95], off offset:80
	s_wait_loadcnt 0x0
	ds_store_b64 v1, v[92:93]
.LBB108_263:
	s_wait_xcnt 0x0
	s_or_b32 exec_lo, exec_lo, s0
	s_wait_storecnt_dscnt 0x0
	s_barrier_signal -1
	s_barrier_wait -1
	s_clause 0x11
	scratch_load_b128 v[92:95], off, off offset:88
	scratch_load_b128 v[96:99], off, off offset:104
	;; [unrolled: 1-line block ×17, first 2 shown]
	scratch_load_b64 v[228:229], off, off offset:80
	ds_load_2addr_b64 v[160:163], v7 offset0:83 offset1:84
	ds_load_2addr_b64 v[164:167], v7 offset0:85 offset1:86
	;; [unrolled: 1-line block ×17, first 2 shown]
	s_mov_b32 s0, exec_lo
	s_wait_dscnt 0x10
	v_dual_mov_b32 v230, v163 :: v_dual_mov_b32 v231, v162
	s_wait_dscnt 0xf
	v_dual_mov_b32 v232, v167 :: v_dual_mov_b32 v233, v166
	s_wait_dscnt 0xe
	v_dual_mov_b32 v234, v171 :: v_dual_mov_b32 v235, v170
	s_wait_dscnt 0xd
	v_dual_mov_b32 v236, v175 :: v_dual_mov_b32 v237, v174
	s_wait_loadcnt_dscnt 0x110b
	v_dual_mul_f32 v7, v180, v93 :: v_dual_mul_f32 v9, v182, v95
	v_dual_mul_f32 v55, v181, v93 :: v_dual_mul_f32 v57, v183, v95
	s_wait_loadcnt_dscnt 0x100a
	v_dual_mul_f32 v11, v184, v97 :: v_dual_mul_f32 v13, v186, v99
	s_delay_alu instid0(VALU_DEP_3) | instskip(SKIP_3) | instid1(VALU_DEP_3)
	v_dual_fmac_f32 v7, v181, v92 :: v_dual_fmac_f32 v9, v183, v94
	s_wait_loadcnt_dscnt 0xe08
	v_dual_fma_f32 v55, v180, v92, -v55 :: v_dual_mul_f32 v67, v193, v105
	v_dual_mul_f32 v59, v185, v97 :: v_dual_mul_f32 v61, v187, v99
	v_dual_fma_f32 v57, v182, v94, -v57 :: v_dual_add_f32 v7, 0, v7
	s_delay_alu instid0(VALU_DEP_3) | instskip(SKIP_1) | instid1(VALU_DEP_4)
	v_dual_add_f32 v55, 0, v55 :: v_dual_fmac_f32 v11, v185, v96
	v_dual_mul_f32 v15, v188, v101 :: v_dual_mul_f32 v17, v190, v103
	v_dual_mul_f32 v69, v195, v107 :: v_dual_fma_f32 v59, v184, v96, -v59
	s_delay_alu instid0(VALU_DEP_4) | instskip(NEXT) | instid1(VALU_DEP_3)
	v_add_f32_e32 v7, v7, v9
	v_dual_add_f32 v9, v55, v57 :: v_dual_fmac_f32 v15, v189, v100
	v_dual_mul_f32 v63, v189, v101 :: v_dual_mul_f32 v65, v191, v103
	s_wait_loadcnt_dscnt 0xd07
	v_dual_mul_f32 v55, v197, v109 :: v_dual_fmac_f32 v13, v187, v98
	v_dual_fma_f32 v57, v186, v98, -v61 :: v_dual_add_f32 v7, v7, v11
	s_delay_alu instid0(VALU_DEP_3) | instskip(SKIP_1) | instid1(VALU_DEP_3)
	v_dual_add_f32 v9, v9, v59 :: v_dual_fma_f32 v59, v188, v100, -v63
	v_dual_mul_f32 v19, v192, v105 :: v_dual_mul_f32 v21, v194, v107
	v_add_f32_e32 v7, v7, v13
	s_delay_alu instid0(VALU_DEP_3) | instskip(SKIP_2) | instid1(VALU_DEP_3)
	v_dual_mul_f32 v11, v199, v111 :: v_dual_add_f32 v9, v9, v57
	s_wait_loadcnt_dscnt 0xc06
	v_dual_mul_f32 v13, v201, v113 :: v_dual_fmac_f32 v17, v191, v102
	v_dual_fma_f32 v57, v190, v102, -v65 :: v_dual_add_f32 v7, v7, v15
	s_delay_alu instid0(VALU_DEP_3) | instskip(SKIP_1) | instid1(VALU_DEP_3)
	v_dual_add_f32 v9, v9, v59 :: v_dual_fma_f32 v59, v192, v104, -v67
	v_dual_mul_f32 v15, v203, v115 :: v_dual_fmac_f32 v19, v193, v104
	v_add_f32_e32 v7, v7, v17
	s_delay_alu instid0(VALU_DEP_3)
	v_dual_add_f32 v9, v9, v57 :: v_dual_fmac_f32 v21, v195, v106
	v_dual_mul_f32 v23, v196, v109 :: v_dual_mul_f32 v25, v198, v111
	s_wait_loadcnt_dscnt 0xb05
	v_dual_fma_f32 v57, v194, v106, -v69 :: v_dual_mul_f32 v17, v205, v117
	v_add_f32_e32 v7, v7, v19
	v_dual_add_f32 v9, v9, v59 :: v_dual_fma_f32 v55, v196, v108, -v55
	v_dual_mul_f32 v19, v207, v119 :: v_dual_fmac_f32 v23, v197, v108
	s_delay_alu instid0(VALU_DEP_3) | instskip(NEXT) | instid1(VALU_DEP_3)
	v_dual_add_f32 v7, v7, v21 :: v_dual_fma_f32 v11, v198, v110, -v11
	v_dual_add_f32 v9, v9, v57 :: v_dual_fmac_f32 v25, v199, v110
	v_dual_mul_f32 v27, v200, v113 :: v_dual_mul_f32 v29, v202, v115
	s_wait_loadcnt_dscnt 0xa04
	s_delay_alu instid0(VALU_DEP_3) | instskip(NEXT) | instid1(VALU_DEP_3)
	v_dual_mul_f32 v21, v209, v121 :: v_dual_add_f32 v7, v7, v23
	v_dual_add_f32 v9, v9, v55 :: v_dual_fma_f32 v13, v200, v112, -v13
	s_delay_alu instid0(VALU_DEP_3) | instskip(NEXT) | instid1(VALU_DEP_2)
	v_dual_mul_f32 v23, v211, v123 :: v_dual_fmac_f32 v27, v201, v112
	v_dual_add_f32 v7, v7, v25 :: v_dual_add_f32 v9, v9, v11
	v_dual_mul_f32 v31, v204, v117 :: v_dual_mul_f32 v33, v206, v119
	s_wait_loadcnt_dscnt 0x903
	v_dual_mul_f32 v11, v213, v125 :: v_dual_fmac_f32 v29, v203, v114
	s_delay_alu instid0(VALU_DEP_3) | instskip(SKIP_2) | instid1(VALU_DEP_2)
	v_dual_fma_f32 v15, v202, v114, -v15 :: v_dual_add_f32 v7, v7, v27
	v_dual_add_f32 v9, v9, v13 :: v_dual_mul_f32 v13, v215, v127
	v_dual_fmac_f32 v31, v205, v116 :: v_dual_fma_f32 v17, v204, v116, -v17
	v_dual_add_f32 v7, v7, v29 :: v_dual_add_f32 v9, v9, v15
	v_dual_mul_f32 v35, v208, v121 :: v_dual_mul_f32 v37, v210, v123
	s_wait_loadcnt_dscnt 0x802
	v_dual_mul_f32 v15, v217, v129 :: v_dual_fmac_f32 v33, v207, v118
	s_delay_alu instid0(VALU_DEP_3) | instskip(SKIP_2) | instid1(VALU_DEP_2)
	v_dual_fma_f32 v19, v206, v118, -v19 :: v_dual_add_f32 v7, v7, v31
	v_dual_add_f32 v9, v9, v17 :: v_dual_mul_f32 v17, v219, v131
	v_dual_fmac_f32 v35, v209, v120 :: v_dual_fma_f32 v21, v208, v120, -v21
	v_dual_add_f32 v7, v7, v33 :: v_dual_add_f32 v9, v9, v19
	v_dual_mul_f32 v39, v212, v125 :: v_dual_mul_f32 v41, v214, v127
	s_wait_loadcnt_dscnt 0x701
	v_dual_mul_f32 v19, v221, v133 :: v_dual_fmac_f32 v37, v211, v122
	s_delay_alu instid0(VALU_DEP_3) | instskip(SKIP_2) | instid1(VALU_DEP_3)
	v_dual_fma_f32 v23, v210, v122, -v23 :: v_dual_add_f32 v7, v7, v35
	v_dual_add_f32 v9, v9, v21 :: v_dual_mul_f32 v21, v223, v135
	v_fmac_f32_e32 v39, v213, v124
	v_dual_fma_f32 v11, v212, v124, -v11 :: v_dual_add_f32 v7, v7, v37
	s_delay_alu instid0(VALU_DEP_3)
	v_dual_add_f32 v9, v9, v23 :: v_dual_mul_f32 v43, v216, v129
	s_wait_loadcnt_dscnt 0x600
	v_dual_mul_f32 v45, v218, v131 :: v_dual_mul_f32 v23, v225, v137
	v_fmac_f32_e32 v41, v215, v126
	v_dual_fma_f32 v13, v214, v126, -v13 :: v_dual_add_f32 v7, v7, v39
	v_dual_add_f32 v9, v9, v11 :: v_dual_fma_f32 v15, v216, v128, -v15
	v_dual_mul_f32 v11, v227, v139 :: v_dual_fmac_f32 v43, v217, v128
	s_delay_alu instid0(VALU_DEP_3) | instskip(NEXT) | instid1(VALU_DEP_3)
	v_dual_add_f32 v7, v7, v41 :: v_dual_fma_f32 v17, v218, v130, -v17
	v_dual_add_f32 v9, v9, v13 :: v_dual_fmac_f32 v45, v219, v130
	v_dual_mul_f32 v47, v220, v133 :: v_dual_mul_f32 v49, v222, v135
	s_wait_loadcnt 0x5
	s_delay_alu instid0(VALU_DEP_3) | instskip(NEXT) | instid1(VALU_DEP_3)
	v_dual_mul_f32 v13, v177, v141 :: v_dual_add_f32 v7, v7, v43
	v_dual_add_f32 v9, v9, v15 :: v_dual_fma_f32 v19, v220, v132, -v19
	s_delay_alu instid0(VALU_DEP_3) | instskip(NEXT) | instid1(VALU_DEP_3)
	v_dual_mul_f32 v15, v179, v143 :: v_dual_fmac_f32 v47, v221, v132
	v_add_f32_e32 v7, v7, v45
	s_delay_alu instid0(VALU_DEP_3) | instskip(SKIP_1) | instid1(VALU_DEP_3)
	v_dual_add_f32 v9, v9, v17 :: v_dual_fmac_f32 v49, v223, v134
	v_dual_mul_f32 v51, v224, v137 :: v_dual_mul_f32 v53, v226, v139
	v_dual_fma_f32 v17, v222, v134, -v21 :: v_dual_add_f32 v7, v7, v47
	s_wait_loadcnt 0x4
	s_delay_alu instid0(VALU_DEP_3) | instskip(NEXT) | instid1(VALU_DEP_3)
	v_dual_add_f32 v9, v9, v19 :: v_dual_mov_b32 v94, v147
	v_fmac_f32_e32 v51, v225, v136
	s_delay_alu instid0(VALU_DEP_3) | instskip(NEXT) | instid1(VALU_DEP_3)
	v_dual_fma_f32 v19, v224, v136, -v23 :: v_dual_add_f32 v7, v7, v49
	v_dual_add_f32 v9, v9, v17 :: v_dual_fmac_f32 v53, v227, v138
	v_dual_mul_f32 v239, v176, v141 :: v_dual_mul_f32 v241, v178, v143
	s_delay_alu instid0(VALU_DEP_3) | instskip(SKIP_1) | instid1(VALU_DEP_3)
	v_dual_fma_f32 v11, v226, v138, -v11 :: v_dual_add_f32 v7, v7, v51
	s_wait_loadcnt 0x3
	v_dual_add_f32 v9, v9, v19 :: v_dual_mov_b32 v98, v151
	v_pk_mul_f32 v[92:93], v[160:161], v[144:145] op_sel:[1,1] op_sel_hi:[0,1]
	v_dual_fmac_f32 v239, v177, v140 :: v_dual_fma_f32 v238, v176, v140, -v13
	s_delay_alu instid0(VALU_DEP_3) | instskip(SKIP_1) | instid1(VALU_DEP_4)
	v_dual_add_f32 v101, v7, v53 :: v_dual_add_f32 v100, v9, v11
	v_dual_fmac_f32 v241, v179, v142 :: v_dual_fma_f32 v240, v178, v142, -v15
	v_pk_fma_f32 v[102:103], v[160:161], v[144:145], v[92:93] op_sel_hi:[1,0,1]
	v_pk_mul_f32 v[94:95], v[230:231], v[94:95] op_sel_hi:[1,0]
	s_delay_alu instid0(VALU_DEP_4)
	v_pk_add_f32 v[100:101], v[100:101], v[238:239]
	v_pk_fma_f32 v[92:93], v[160:161], v[144:145], v[92:93] neg_lo:[0,0,1] neg_hi:[0,0,1]
	v_pk_mul_f32 v[96:97], v[164:165], v[148:149] op_sel:[1,1] op_sel_hi:[0,1]
	v_mov_b32_e32 v93, v103
	v_pk_fma_f32 v[102:103], v[162:163], v[146:147], v[94:95] op_sel_hi:[1,0,1]
	v_pk_add_f32 v[100:101], v[100:101], v[240:241]
	v_pk_fma_f32 v[94:95], v[162:163], v[146:147], v[94:95] neg_lo:[0,0,1] neg_hi:[0,0,1]
	v_pk_fma_f32 v[106:107], v[164:165], v[148:149], v[96:97] op_sel_hi:[1,0,1]
	v_pk_mul_f32 v[98:99], v[232:233], v[98:99] op_sel_hi:[1,0]
	v_mov_b32_e32 v95, v103
	v_pk_add_f32 v[92:93], v[100:101], v[92:93]
	s_wait_loadcnt 0x2
	v_pk_mul_f32 v[104:105], v[168:169], v[152:153] op_sel:[1,1] op_sel_hi:[0,1]
	v_mov_b32_e32 v100, v155
	v_pk_fma_f32 v[96:97], v[164:165], v[148:149], v[96:97] neg_lo:[0,0,1] neg_hi:[0,0,1]
	v_mov_b32_e32 v97, v107
	v_pk_fma_f32 v[102:103], v[166:167], v[150:151], v[98:99] op_sel_hi:[1,0,1]
	v_pk_add_f32 v[92:93], v[92:93], v[94:95]
	v_pk_fma_f32 v[94:95], v[168:169], v[152:153], v[104:105] op_sel_hi:[1,0,1]
	v_pk_mul_f32 v[100:101], v[234:235], v[100:101] op_sel_hi:[1,0]
	v_pk_fma_f32 v[98:99], v[166:167], v[150:151], v[98:99] neg_lo:[0,0,1] neg_hi:[0,0,1]
	v_mov_b32_e32 v99, v103
	v_pk_add_f32 v[92:93], v[92:93], v[96:97]
	v_pk_fma_f32 v[102:103], v[168:169], v[152:153], v[104:105] neg_lo:[0,0,1] neg_hi:[0,0,1]
	v_mov_b32_e32 v103, v95
	v_pk_fma_f32 v[94:95], v[170:171], v[154:155], v[100:101] op_sel_hi:[1,0,1]
	s_wait_loadcnt 0x1
	v_pk_mul_f32 v[96:97], v[172:173], v[156:157] op_sel:[1,1] op_sel_hi:[0,1]
	v_pk_add_f32 v[92:93], v[92:93], v[98:99]
	v_mov_b32_e32 v94, v159
	v_pk_fma_f32 v[100:101], v[170:171], v[154:155], v[100:101] neg_lo:[0,0,1] neg_hi:[0,0,1]
	v_mov_b32_e32 v101, v95
	v_pk_fma_f32 v[98:99], v[172:173], v[156:157], v[96:97] op_sel_hi:[1,0,1]
	v_pk_add_f32 v[92:93], v[92:93], v[102:103]
	v_pk_mul_f32 v[94:95], v[236:237], v[94:95] op_sel_hi:[1,0]
	v_pk_fma_f32 v[96:97], v[172:173], v[156:157], v[96:97] neg_lo:[0,0,1] neg_hi:[0,0,1]
	s_delay_alu instid0(VALU_DEP_4) | instskip(NEXT) | instid1(VALU_DEP_4)
	v_mov_b32_e32 v97, v99
	v_pk_add_f32 v[92:93], v[92:93], v[100:101]
	s_delay_alu instid0(VALU_DEP_4) | instskip(SKIP_1) | instid1(VALU_DEP_2)
	v_pk_fma_f32 v[98:99], v[174:175], v[158:159], v[94:95] op_sel_hi:[1,0,1]
	v_pk_fma_f32 v[94:95], v[174:175], v[158:159], v[94:95] neg_lo:[0,0,1] neg_hi:[0,0,1]
	v_mov_b32_e32 v95, v99
	s_delay_alu instid0(VALU_DEP_4) | instskip(NEXT) | instid1(VALU_DEP_1)
	v_pk_add_f32 v[92:93], v[92:93], v[96:97]
	v_pk_add_f32 v[92:93], v[92:93], v[94:95]
	s_wait_loadcnt 0x0
	s_delay_alu instid0(VALU_DEP_1)
	v_pk_add_f32 v[92:93], v[228:229], v[92:93] neg_lo:[0,1] neg_hi:[0,1]
	scratch_store_b64 off, v[92:93], off offset:80
	s_wait_xcnt 0x0
	v_cmpx_lt_u32_e32 9, v0
	s_cbranch_execz .LBB108_265
; %bb.264:
	scratch_load_b64 v[92:93], off, off offset:72
	v_mov_b64_e32 v[94:95], 0
	scratch_store_b64 off, v[94:95], off offset:72
	s_wait_loadcnt 0x0
	ds_store_b64 v1, v[92:93]
.LBB108_265:
	s_wait_xcnt 0x0
	s_or_b32 exec_lo, exec_lo, s0
	s_wait_storecnt_dscnt 0x0
	s_barrier_signal -1
	s_barrier_wait -1
	s_clause 0x12
	scratch_load_b128 v[92:95], off, off offset:80
	scratch_load_b128 v[96:99], off, off offset:96
	;; [unrolled: 1-line block ×17, first 2 shown]
	scratch_load_b64 v[228:229], off, off offset:352
	scratch_load_b64 v[230:231], off, off offset:72
	v_mov_b32_e32 v7, 0
	ds_load_b128 v[160:163], v7 offset:656
	ds_load_b128 v[164:167], v7 offset:672
	ds_load_b128 v[168:171], v7 offset:688
	ds_load_b128 v[172:175], v7 offset:640
	ds_load_b128 v[176:179], v7 offset:704
	ds_load_b128 v[180:183], v7 offset:448
	ds_load_b128 v[184:187], v7 offset:464
	ds_load_b128 v[188:191], v7 offset:480
	ds_load_b128 v[192:195], v7 offset:496
	ds_load_b128 v[196:199], v7 offset:512
	ds_load_b128 v[200:203], v7 offset:528
	ds_load_b128 v[204:207], v7 offset:544
	ds_load_b128 v[208:211], v7 offset:560
	ds_load_b128 v[212:215], v7 offset:576
	ds_load_b128 v[216:219], v7 offset:592
	ds_load_b128 v[220:223], v7 offset:608
	ds_load_b128 v[224:227], v7 offset:624
	ds_load_b64 v[232:233], v7 offset:720
	s_mov_b32 s0, exec_lo
	s_wait_dscnt 0x11
	v_dual_mov_b32 v234, v163 :: v_dual_mov_b32 v235, v162
	s_wait_dscnt 0x10
	v_dual_mov_b32 v236, v167 :: v_dual_mov_b32 v237, v166
	;; [unrolled: 2-line block ×3, first 2 shown]
	v_dual_mov_b32 v239, v170 :: v_dual_mov_b32 v240, v179
	s_wait_loadcnt_dscnt 0x120c
	v_dual_mul_f32 v9, v180, v93 :: v_dual_mul_f32 v59, v181, v93
	v_dual_mul_f32 v61, v183, v95 :: v_dual_mul_f32 v11, v182, v95
	s_wait_loadcnt_dscnt 0x110b
	v_mul_f32_e32 v13, v184, v97
	s_wait_loadcnt_dscnt 0xf09
	v_dual_mul_f32 v71, v193, v105 :: v_dual_fma_f32 v59, v180, v92, -v59
	v_dual_fmac_f32 v9, v181, v92 :: v_dual_mul_f32 v73, v195, v107
	v_dual_mul_f32 v63, v185, v97 :: v_dual_mul_f32 v65, v187, v99
	v_dual_fmac_f32 v11, v183, v94 :: v_dual_fma_f32 v61, v182, v94, -v61
	s_delay_alu instid0(VALU_DEP_3) | instskip(SKIP_4) | instid1(VALU_DEP_3)
	v_dual_add_f32 v9, 0, v9 :: v_dual_add_f32 v59, 0, v59
	v_dual_mul_f32 v15, v186, v99 :: v_dual_mul_f32 v17, v188, v101
	s_wait_loadcnt_dscnt 0xe08
	v_dual_mul_f32 v75, v197, v109 :: v_dual_fma_f32 v63, v184, v96, -v63
	v_fmac_f32_e32 v13, v185, v96
	v_dual_add_f32 v9, v9, v11 :: v_dual_fmac_f32 v15, v187, v98
	v_add_f32_e32 v11, v59, v61
	v_dual_mul_f32 v67, v189, v101 :: v_dual_mul_f32 v69, v191, v103
	v_dual_mul_f32 v59, v199, v111 :: v_dual_fma_f32 v61, v186, v98, -v65
	s_delay_alu instid0(VALU_DEP_3) | instskip(SKIP_3) | instid1(VALU_DEP_3)
	v_dual_add_f32 v9, v9, v13 :: v_dual_add_f32 v11, v11, v63
	v_dual_mul_f32 v19, v190, v103 :: v_dual_mul_f32 v21, v192, v105
	s_wait_loadcnt_dscnt 0xd07
	v_dual_mul_f32 v13, v201, v113 :: v_dual_fma_f32 v63, v188, v100, -v67
	v_dual_fmac_f32 v17, v189, v100 :: v_dual_add_f32 v11, v11, v61
	s_delay_alu instid0(VALU_DEP_3) | instskip(SKIP_1) | instid1(VALU_DEP_2)
	v_dual_add_f32 v9, v9, v15 :: v_dual_fmac_f32 v19, v191, v102
	v_dual_mul_f32 v15, v203, v115 :: v_dual_fma_f32 v61, v190, v102, -v69
	v_dual_add_f32 v11, v11, v63 :: v_dual_add_f32 v9, v9, v17
	v_dual_mul_f32 v23, v194, v107 :: v_dual_mul_f32 v25, v196, v109
	s_wait_loadcnt_dscnt 0xc06
	v_dual_mul_f32 v17, v205, v117 :: v_dual_fma_f32 v63, v192, v104, -v71
	s_delay_alu instid0(VALU_DEP_3) | instskip(NEXT) | instid1(VALU_DEP_3)
	v_dual_fmac_f32 v21, v193, v104 :: v_dual_add_f32 v11, v11, v61
	v_dual_add_f32 v9, v9, v19 :: v_dual_fmac_f32 v23, v195, v106
	v_dual_mul_f32 v19, v207, v119 :: v_dual_fma_f32 v61, v194, v106, -v73
	s_delay_alu instid0(VALU_DEP_2) | instskip(SKIP_3) | instid1(VALU_DEP_3)
	v_dual_add_f32 v11, v11, v63 :: v_dual_add_f32 v9, v9, v21
	v_dual_mul_f32 v27, v198, v111 :: v_dual_mul_f32 v29, v200, v113
	s_wait_loadcnt_dscnt 0xb05
	v_dual_mul_f32 v21, v209, v121 :: v_dual_fma_f32 v63, v196, v108, -v75
	v_dual_fmac_f32 v25, v197, v108 :: v_dual_add_f32 v11, v11, v61
	s_delay_alu instid0(VALU_DEP_3) | instskip(SKIP_1) | instid1(VALU_DEP_2)
	v_dual_add_f32 v9, v9, v23 :: v_dual_fmac_f32 v27, v199, v110
	v_dual_mul_f32 v23, v211, v123 :: v_dual_fma_f32 v59, v198, v110, -v59
	v_dual_add_f32 v11, v11, v63 :: v_dual_add_f32 v9, v9, v25
	v_dual_mul_f32 v31, v202, v115 :: v_dual_mul_f32 v33, v204, v117
	s_wait_loadcnt_dscnt 0xa04
	v_dual_mul_f32 v25, v213, v125 :: v_dual_fma_f32 v13, v200, v112, -v13
	s_delay_alu instid0(VALU_DEP_3) | instskip(NEXT) | instid1(VALU_DEP_3)
	v_dual_fmac_f32 v29, v201, v112 :: v_dual_add_f32 v11, v11, v59
	v_dual_add_f32 v9, v9, v27 :: v_dual_fmac_f32 v31, v203, v114
	v_dual_mul_f32 v27, v215, v127 :: v_dual_fma_f32 v15, v202, v114, -v15
	s_delay_alu instid0(VALU_DEP_3) | instskip(NEXT) | instid1(VALU_DEP_3)
	v_dual_add_f32 v11, v11, v13 :: v_dual_fmac_f32 v33, v205, v116
	v_dual_add_f32 v9, v9, v29 :: v_dual_fma_f32 v17, v204, v116, -v17
	v_dual_mul_f32 v35, v206, v119 :: v_dual_mul_f32 v37, v208, v121
	s_wait_loadcnt_dscnt 0x903
	s_delay_alu instid0(VALU_DEP_3) | instskip(NEXT) | instid1(VALU_DEP_2)
	v_dual_mul_f32 v13, v217, v129 :: v_dual_add_f32 v11, v11, v15
	v_dual_add_f32 v9, v9, v31 :: v_dual_fmac_f32 v35, v207, v118
	v_dual_mul_f32 v15, v219, v131 :: v_dual_fma_f32 v19, v206, v118, -v19
	s_delay_alu instid0(VALU_DEP_3) | instskip(NEXT) | instid1(VALU_DEP_3)
	v_dual_add_f32 v11, v11, v17 :: v_dual_fmac_f32 v37, v209, v120
	v_dual_add_f32 v9, v9, v33 :: v_dual_fma_f32 v21, v208, v120, -v21
	v_dual_mul_f32 v39, v210, v123 :: v_dual_mul_f32 v41, v212, v125
	s_wait_loadcnt_dscnt 0x802
	s_delay_alu instid0(VALU_DEP_3) | instskip(NEXT) | instid1(VALU_DEP_2)
	v_dual_mul_f32 v17, v221, v133 :: v_dual_add_f32 v11, v11, v19
	;; [unrolled: 9-line block ×3, first 2 shown]
	v_dual_add_f32 v9, v9, v39 :: v_dual_fmac_f32 v43, v215, v126
	v_dual_mul_f32 v23, v227, v139 :: v_dual_fma_f32 v27, v214, v126, -v27
	s_delay_alu instid0(VALU_DEP_3) | instskip(NEXT) | instid1(VALU_DEP_3)
	v_dual_add_f32 v11, v11, v25 :: v_dual_fmac_f32 v45, v217, v128
	v_dual_add_f32 v9, v9, v41 :: v_dual_fma_f32 v13, v216, v128, -v13
	v_dual_mul_f32 v47, v218, v131 :: v_dual_mul_f32 v49, v220, v133
	s_wait_loadcnt 0x6
	s_delay_alu instid0(VALU_DEP_3) | instskip(NEXT) | instid1(VALU_DEP_2)
	v_dual_mul_f32 v25, v173, v141 :: v_dual_add_f32 v11, v11, v27
	v_dual_add_f32 v9, v9, v43 :: v_dual_fmac_f32 v47, v219, v130
	v_dual_mul_f32 v27, v175, v143 :: v_dual_fma_f32 v15, v218, v130, -v15
	s_delay_alu instid0(VALU_DEP_3) | instskip(NEXT) | instid1(VALU_DEP_3)
	v_dual_add_f32 v11, v11, v13 :: v_dual_fmac_f32 v49, v221, v132
	v_dual_add_f32 v9, v9, v45 :: v_dual_fma_f32 v17, v220, v132, -v17
	v_dual_mul_f32 v51, v222, v135 :: v_dual_mul_f32 v53, v224, v137
	s_wait_loadcnt 0x5
	s_delay_alu instid0(VALU_DEP_3) | instskip(NEXT) | instid1(VALU_DEP_3)
	v_dual_mul_f32 v13, v161, v145 :: v_dual_add_f32 v11, v11, v15
	v_dual_add_f32 v9, v9, v47 :: v_dual_mov_b32 v92, v147
	s_delay_alu instid0(VALU_DEP_3) | instskip(NEXT) | instid1(VALU_DEP_3)
	v_fmac_f32_e32 v51, v223, v134
	v_dual_fma_f32 v15, v222, v134, -v19 :: v_dual_add_f32 v11, v11, v17
	s_delay_alu instid0(VALU_DEP_3) | instskip(SKIP_1) | instid1(VALU_DEP_3)
	v_dual_add_f32 v9, v9, v49 :: v_dual_mul_f32 v55, v226, v139
	v_dual_mul_f32 v57, v172, v141 :: v_dual_fmac_f32 v53, v225, v136
	v_dual_add_f32 v11, v11, v15 :: v_dual_fma_f32 v17, v224, v136, -v21
	s_wait_loadcnt 0x4
	s_delay_alu instid0(VALU_DEP_3) | instskip(SKIP_3) | instid1(VALU_DEP_4)
	v_dual_add_f32 v9, v9, v51 :: v_dual_mov_b32 v96, v151
	v_fma_f32 v15, v226, v138, -v23
	v_fmac_f32_e32 v55, v227, v138
	v_dual_add_f32 v11, v11, v17 :: v_dual_fmac_f32 v57, v173, v140
	v_dual_add_f32 v9, v9, v53 :: v_dual_mul_f32 v243, v174, v143
	v_mul_f32_e32 v245, v160, v145
	s_delay_alu instid0(VALU_DEP_3) | instskip(NEXT) | instid1(VALU_DEP_3)
	v_dual_fma_f32 v17, v172, v140, -v25 :: v_dual_add_f32 v11, v11, v15
	v_dual_fma_f32 v242, v174, v142, -v27 :: v_dual_add_f32 v9, v9, v55
	s_delay_alu instid0(VALU_DEP_4) | instskip(SKIP_1) | instid1(VALU_DEP_4)
	v_fmac_f32_e32 v243, v175, v142
	v_pk_mul_f32 v[92:93], v[234:235], v[92:93] op_sel_hi:[1,0]
	v_dual_add_f32 v100, v11, v17 :: v_dual_fmac_f32 v245, v161, v144
	s_delay_alu instid0(VALU_DEP_4)
	v_add_f32_e32 v101, v9, v57
	v_pk_mul_f32 v[94:95], v[164:165], v[148:149] op_sel:[1,1] op_sel_hi:[0,1]
	s_wait_loadcnt 0x3
	v_dual_mov_b32 v102, v155 :: v_dual_fma_f32 v244, v160, v144, -v13
	v_pk_fma_f32 v[104:105], v[162:163], v[146:147], v[92:93] op_sel_hi:[1,0,1]
	v_pk_add_f32 v[100:101], v[100:101], v[242:243]
	v_pk_fma_f32 v[92:93], v[162:163], v[146:147], v[92:93] neg_lo:[0,0,1] neg_hi:[0,0,1]
	v_pk_fma_f32 v[106:107], v[164:165], v[148:149], v[94:95] op_sel_hi:[1,0,1]
	v_pk_mul_f32 v[96:97], v[236:237], v[96:97] op_sel_hi:[1,0]
	v_mov_b32_e32 v93, v105
	v_pk_add_f32 v[100:101], v[100:101], v[244:245]
	v_pk_fma_f32 v[94:95], v[164:165], v[148:149], v[94:95] neg_lo:[0,0,1] neg_hi:[0,0,1]
	v_pk_mul_f32 v[98:99], v[168:169], v[152:153] op_sel:[1,1] op_sel_hi:[0,1]
	v_mov_b32_e32 v95, v107
	v_pk_fma_f32 v[106:107], v[166:167], v[150:151], v[96:97] op_sel_hi:[1,0,1]
	v_pk_add_f32 v[92:93], v[100:101], v[92:93]
	v_pk_fma_f32 v[96:97], v[166:167], v[150:151], v[96:97] neg_lo:[0,0,1] neg_hi:[0,0,1]
	v_pk_fma_f32 v[100:101], v[168:169], v[152:153], v[98:99] op_sel_hi:[1,0,1]
	v_pk_mul_f32 v[102:103], v[238:239], v[102:103] op_sel_hi:[1,0]
	v_mov_b32_e32 v97, v107
	v_pk_add_f32 v[92:93], v[92:93], v[94:95]
	v_pk_fma_f32 v[98:99], v[168:169], v[152:153], v[98:99] neg_lo:[0,0,1] neg_hi:[0,0,1]
	s_wait_loadcnt 0x2
	v_pk_mul_f32 v[104:105], v[176:177], v[156:157] op_sel:[1,1] op_sel_hi:[0,1]
	v_dual_mov_b32 v94, v159 :: v_dual_mov_b32 v99, v101
	v_pk_fma_f32 v[100:101], v[170:171], v[154:155], v[102:103] op_sel_hi:[1,0,1]
	v_pk_add_f32 v[92:93], v[92:93], v[96:97]
	v_pk_fma_f32 v[102:103], v[170:171], v[154:155], v[102:103] neg_lo:[0,0,1] neg_hi:[0,0,1]
	v_pk_fma_f32 v[96:97], v[176:177], v[156:157], v[104:105] op_sel_hi:[1,0,1]
	v_pk_mul_f32 v[94:95], v[240:241], v[94:95] op_sel_hi:[1,0]
	v_mov_b32_e32 v103, v101
	v_pk_add_f32 v[92:93], v[92:93], v[98:99]
	v_pk_fma_f32 v[98:99], v[176:177], v[156:157], v[104:105] neg_lo:[0,0,1] neg_hi:[0,0,1]
	v_mov_b32_e32 v99, v97
	v_pk_fma_f32 v[96:97], v[178:179], v[158:159], v[94:95] op_sel_hi:[1,0,1]
	s_wait_loadcnt_dscnt 0x100
	v_pk_mul_f32 v[100:101], v[232:233], v[228:229] op_sel:[1,1] op_sel_hi:[0,1]
	v_pk_add_f32 v[92:93], v[92:93], v[102:103]
	v_pk_fma_f32 v[94:95], v[178:179], v[158:159], v[94:95] neg_lo:[0,0,1] neg_hi:[0,0,1]
	v_mov_b32_e32 v95, v97
	s_delay_alu instid0(VALU_DEP_4) | instskip(NEXT) | instid1(VALU_DEP_4)
	v_pk_fma_f32 v[96:97], v[232:233], v[228:229], v[100:101] op_sel_hi:[1,0,1]
	v_pk_add_f32 v[92:93], v[92:93], v[98:99]
	v_pk_fma_f32 v[98:99], v[232:233], v[228:229], v[100:101] neg_lo:[0,0,1] neg_hi:[0,0,1]
	s_delay_alu instid0(VALU_DEP_3) | instskip(NEXT) | instid1(VALU_DEP_3)
	v_mov_b32_e32 v99, v97
	v_pk_add_f32 v[92:93], v[92:93], v[94:95]
	s_delay_alu instid0(VALU_DEP_1) | instskip(SKIP_1) | instid1(VALU_DEP_1)
	v_pk_add_f32 v[92:93], v[92:93], v[98:99]
	s_wait_loadcnt 0x0
	v_pk_add_f32 v[92:93], v[230:231], v[92:93] neg_lo:[0,1] neg_hi:[0,1]
	scratch_store_b64 off, v[92:93], off offset:72
	s_wait_xcnt 0x0
	v_cmpx_lt_u32_e32 8, v0
	s_cbranch_execz .LBB108_267
; %bb.266:
	scratch_load_b64 v[92:93], off, off offset:64
	v_mov_b64_e32 v[94:95], 0
	scratch_store_b64 off, v[94:95], off offset:64
	s_wait_loadcnt 0x0
	ds_store_b64 v1, v[92:93]
.LBB108_267:
	s_wait_xcnt 0x0
	s_or_b32 exec_lo, exec_lo, s0
	s_wait_storecnt_dscnt 0x0
	s_barrier_signal -1
	s_barrier_wait -1
	s_clause 0x12
	scratch_load_b128 v[92:95], off, off offset:72
	scratch_load_b128 v[96:99], off, off offset:88
	;; [unrolled: 1-line block ×18, first 2 shown]
	scratch_load_b64 v[236:237], off, off offset:64
	ds_load_2addr_b64 v[164:167], v7 offset0:83 offset1:84
	ds_load_2addr_b64 v[168:171], v7 offset0:85 offset1:86
	;; [unrolled: 1-line block ×18, first 2 shown]
	s_mov_b32 s0, exec_lo
	s_wait_dscnt 0x11
	v_dual_mov_b32 v238, v167 :: v_dual_mov_b32 v239, v166
	s_wait_dscnt 0x10
	v_dual_mov_b32 v240, v171 :: v_dual_mov_b32 v241, v170
	;; [unrolled: 2-line block ×4, first 2 shown]
	s_wait_loadcnt_dscnt 0x120d
	v_dual_mul_f32 v7, v180, v93 :: v_dual_mul_f32 v9, v182, v95
	v_dual_mul_f32 v59, v181, v93 :: v_dual_mul_f32 v61, v183, v95
	s_wait_loadcnt_dscnt 0x110c
	v_dual_mul_f32 v11, v184, v97 :: v_dual_mul_f32 v13, v186, v99
	s_delay_alu instid0(VALU_DEP_3) | instskip(SKIP_3) | instid1(VALU_DEP_3)
	v_dual_fmac_f32 v7, v181, v92 :: v_dual_fmac_f32 v9, v183, v94
	s_wait_loadcnt_dscnt 0xf0a
	v_dual_fma_f32 v59, v180, v92, -v59 :: v_dual_mul_f32 v71, v193, v105
	v_dual_mul_f32 v63, v185, v97 :: v_dual_mul_f32 v65, v187, v99
	v_dual_fma_f32 v61, v182, v94, -v61 :: v_dual_add_f32 v7, 0, v7
	s_delay_alu instid0(VALU_DEP_3) | instskip(SKIP_1) | instid1(VALU_DEP_4)
	v_dual_add_f32 v59, 0, v59 :: v_dual_fmac_f32 v11, v185, v96
	v_dual_mul_f32 v15, v188, v101 :: v_dual_mul_f32 v17, v190, v103
	v_dual_mul_f32 v73, v195, v107 :: v_dual_fma_f32 v63, v184, v96, -v63
	s_delay_alu instid0(VALU_DEP_4) | instskip(NEXT) | instid1(VALU_DEP_3)
	v_add_f32_e32 v7, v7, v9
	v_dual_add_f32 v9, v59, v61 :: v_dual_fmac_f32 v15, v189, v100
	v_dual_mul_f32 v67, v189, v101 :: v_dual_mul_f32 v69, v191, v103
	s_wait_loadcnt_dscnt 0xe09
	v_dual_mul_f32 v59, v197, v109 :: v_dual_fmac_f32 v13, v187, v98
	v_dual_fma_f32 v61, v186, v98, -v65 :: v_dual_add_f32 v7, v7, v11
	s_delay_alu instid0(VALU_DEP_3) | instskip(SKIP_1) | instid1(VALU_DEP_3)
	v_dual_add_f32 v9, v9, v63 :: v_dual_fma_f32 v63, v188, v100, -v67
	v_dual_mul_f32 v19, v192, v105 :: v_dual_mul_f32 v21, v194, v107
	v_add_f32_e32 v7, v7, v13
	s_delay_alu instid0(VALU_DEP_3) | instskip(SKIP_2) | instid1(VALU_DEP_3)
	v_dual_mul_f32 v11, v199, v111 :: v_dual_add_f32 v9, v9, v61
	s_wait_loadcnt_dscnt 0xd08
	v_dual_mul_f32 v13, v201, v113 :: v_dual_fmac_f32 v17, v191, v102
	v_dual_fma_f32 v61, v190, v102, -v69 :: v_dual_add_f32 v7, v7, v15
	s_delay_alu instid0(VALU_DEP_3) | instskip(SKIP_1) | instid1(VALU_DEP_3)
	v_dual_add_f32 v9, v9, v63 :: v_dual_fma_f32 v63, v192, v104, -v71
	v_dual_mul_f32 v15, v203, v115 :: v_dual_fmac_f32 v19, v193, v104
	v_add_f32_e32 v7, v7, v17
	s_delay_alu instid0(VALU_DEP_3)
	v_dual_add_f32 v9, v9, v61 :: v_dual_fmac_f32 v21, v195, v106
	v_dual_mul_f32 v23, v196, v109 :: v_dual_mul_f32 v25, v198, v111
	s_wait_loadcnt_dscnt 0xc07
	v_dual_fma_f32 v61, v194, v106, -v73 :: v_dual_mul_f32 v17, v205, v117
	v_add_f32_e32 v7, v7, v19
	v_dual_add_f32 v9, v9, v63 :: v_dual_fma_f32 v59, v196, v108, -v59
	v_dual_mul_f32 v19, v207, v119 :: v_dual_fmac_f32 v23, v197, v108
	s_delay_alu instid0(VALU_DEP_3) | instskip(NEXT) | instid1(VALU_DEP_3)
	v_dual_add_f32 v7, v7, v21 :: v_dual_fma_f32 v11, v198, v110, -v11
	v_dual_add_f32 v9, v9, v61 :: v_dual_fmac_f32 v25, v199, v110
	v_dual_mul_f32 v27, v200, v113 :: v_dual_mul_f32 v29, v202, v115
	s_wait_loadcnt_dscnt 0xb06
	s_delay_alu instid0(VALU_DEP_3) | instskip(NEXT) | instid1(VALU_DEP_3)
	v_dual_mul_f32 v21, v209, v121 :: v_dual_add_f32 v7, v7, v23
	v_dual_add_f32 v9, v9, v59 :: v_dual_fma_f32 v13, v200, v112, -v13
	s_delay_alu instid0(VALU_DEP_3) | instskip(NEXT) | instid1(VALU_DEP_2)
	v_dual_mul_f32 v23, v211, v123 :: v_dual_fmac_f32 v27, v201, v112
	v_dual_add_f32 v7, v7, v25 :: v_dual_add_f32 v9, v9, v11
	v_dual_mul_f32 v31, v204, v117 :: v_dual_mul_f32 v33, v206, v119
	s_wait_loadcnt_dscnt 0xa05
	v_dual_mul_f32 v11, v213, v125 :: v_dual_fmac_f32 v29, v203, v114
	s_delay_alu instid0(VALU_DEP_3) | instskip(SKIP_2) | instid1(VALU_DEP_2)
	v_dual_fma_f32 v15, v202, v114, -v15 :: v_dual_add_f32 v7, v7, v27
	v_dual_add_f32 v9, v9, v13 :: v_dual_mul_f32 v13, v215, v127
	v_dual_fmac_f32 v31, v205, v116 :: v_dual_fma_f32 v17, v204, v116, -v17
	v_dual_add_f32 v7, v7, v29 :: v_dual_add_f32 v9, v9, v15
	v_dual_mul_f32 v35, v208, v121 :: v_dual_mul_f32 v37, v210, v123
	s_wait_loadcnt_dscnt 0x904
	v_dual_mul_f32 v15, v217, v129 :: v_dual_fmac_f32 v33, v207, v118
	s_delay_alu instid0(VALU_DEP_3) | instskip(SKIP_2) | instid1(VALU_DEP_2)
	v_dual_fma_f32 v19, v206, v118, -v19 :: v_dual_add_f32 v7, v7, v31
	v_dual_add_f32 v9, v9, v17 :: v_dual_mul_f32 v17, v219, v131
	v_dual_fmac_f32 v35, v209, v120 :: v_dual_fma_f32 v21, v208, v120, -v21
	v_dual_add_f32 v7, v7, v33 :: v_dual_add_f32 v9, v9, v19
	v_dual_mul_f32 v39, v212, v125 :: v_dual_mul_f32 v41, v214, v127
	s_wait_loadcnt_dscnt 0x803
	v_dual_mul_f32 v19, v221, v133 :: v_dual_fmac_f32 v37, v211, v122
	s_delay_alu instid0(VALU_DEP_3) | instskip(SKIP_2) | instid1(VALU_DEP_3)
	v_dual_fma_f32 v23, v210, v122, -v23 :: v_dual_add_f32 v7, v7, v35
	v_dual_add_f32 v9, v9, v21 :: v_dual_mul_f32 v21, v223, v135
	v_fmac_f32_e32 v39, v213, v124
	v_dual_fma_f32 v11, v212, v124, -v11 :: v_dual_add_f32 v7, v7, v37
	s_delay_alu instid0(VALU_DEP_3)
	v_dual_add_f32 v9, v9, v23 :: v_dual_mul_f32 v43, v216, v129
	s_wait_loadcnt_dscnt 0x702
	v_dual_mul_f32 v45, v218, v131 :: v_dual_mul_f32 v23, v225, v137
	v_fmac_f32_e32 v41, v215, v126
	v_dual_fma_f32 v13, v214, v126, -v13 :: v_dual_add_f32 v7, v7, v39
	v_dual_add_f32 v9, v9, v11 :: v_dual_fma_f32 v15, v216, v128, -v15
	v_dual_mul_f32 v11, v227, v139 :: v_dual_fmac_f32 v43, v217, v128
	s_delay_alu instid0(VALU_DEP_3) | instskip(NEXT) | instid1(VALU_DEP_3)
	v_dual_add_f32 v7, v7, v41 :: v_dual_fma_f32 v17, v218, v130, -v17
	v_dual_add_f32 v9, v9, v13 :: v_dual_fmac_f32 v45, v219, v130
	v_dual_mul_f32 v47, v220, v133 :: v_dual_mul_f32 v49, v222, v135
	s_wait_loadcnt_dscnt 0x601
	s_delay_alu instid0(VALU_DEP_3) | instskip(NEXT) | instid1(VALU_DEP_3)
	v_dual_mul_f32 v13, v229, v141 :: v_dual_add_f32 v7, v7, v43
	v_dual_add_f32 v9, v9, v15 :: v_dual_fma_f32 v19, v220, v132, -v19
	s_delay_alu instid0(VALU_DEP_3) | instskip(NEXT) | instid1(VALU_DEP_3)
	v_dual_mul_f32 v15, v231, v143 :: v_dual_fmac_f32 v47, v221, v132
	v_dual_add_f32 v7, v7, v45 :: v_dual_fma_f32 v21, v222, v134, -v21
	s_delay_alu instid0(VALU_DEP_3) | instskip(SKIP_2) | instid1(VALU_DEP_3)
	v_dual_add_f32 v9, v9, v17 :: v_dual_fmac_f32 v49, v223, v134
	v_dual_mul_f32 v51, v224, v137 :: v_dual_mul_f32 v53, v226, v139
	s_wait_loadcnt_dscnt 0x500
	v_dual_mul_f32 v17, v233, v145 :: v_dual_add_f32 v7, v7, v47
	s_delay_alu instid0(VALU_DEP_3) | instskip(NEXT) | instid1(VALU_DEP_3)
	v_dual_add_f32 v9, v9, v19 :: v_dual_fma_f32 v23, v224, v136, -v23
	v_dual_mul_f32 v19, v235, v147 :: v_dual_fmac_f32 v51, v225, v136
	s_delay_alu instid0(VALU_DEP_3) | instskip(NEXT) | instid1(VALU_DEP_3)
	v_dual_add_f32 v7, v7, v49 :: v_dual_fma_f32 v11, v226, v138, -v11
	v_dual_add_f32 v9, v9, v21 :: v_dual_fmac_f32 v53, v227, v138
	v_dual_mul_f32 v55, v228, v141 :: v_dual_mul_f32 v57, v230, v143
	s_delay_alu instid0(VALU_DEP_3) | instskip(SKIP_1) | instid1(VALU_DEP_3)
	v_add_f32_e32 v7, v7, v51
	s_wait_loadcnt 0x4
	v_dual_add_f32 v9, v9, v23 :: v_dual_mov_b32 v94, v151
	s_delay_alu instid0(VALU_DEP_3) | instskip(NEXT) | instid1(VALU_DEP_2)
	v_dual_fmac_f32 v55, v229, v140 :: v_dual_fma_f32 v13, v228, v140, -v13
	v_dual_add_f32 v7, v7, v53 :: v_dual_add_f32 v9, v9, v11
	v_dual_fmac_f32 v57, v231, v142 :: v_dual_mul_f32 v247, v232, v145
	v_mul_f32_e32 v249, v234, v147
	s_delay_alu instid0(VALU_DEP_3) | instskip(SKIP_4) | instid1(VALU_DEP_3)
	v_dual_fma_f32 v11, v230, v142, -v15 :: v_dual_add_f32 v7, v7, v55
	s_wait_loadcnt 0x3
	v_dual_add_f32 v9, v9, v13 :: v_dual_mov_b32 v98, v155
	v_pk_mul_f32 v[92:93], v[164:165], v[148:149] op_sel:[1,1] op_sel_hi:[0,1]
	v_dual_fmac_f32 v247, v233, v144 :: v_dual_fma_f32 v246, v232, v144, -v17
	v_dual_add_f32 v101, v7, v57 :: v_dual_add_f32 v100, v9, v11
	v_dual_fmac_f32 v249, v235, v146 :: v_dual_fma_f32 v248, v234, v146, -v19
	s_delay_alu instid0(VALU_DEP_4) | instskip(SKIP_1) | instid1(VALU_DEP_4)
	v_pk_fma_f32 v[102:103], v[164:165], v[148:149], v[92:93] op_sel_hi:[1,0,1]
	v_pk_mul_f32 v[94:95], v[238:239], v[94:95] op_sel_hi:[1,0]
	v_pk_add_f32 v[100:101], v[100:101], v[246:247]
	v_pk_fma_f32 v[92:93], v[164:165], v[148:149], v[92:93] neg_lo:[0,0,1] neg_hi:[0,0,1]
	v_pk_mul_f32 v[96:97], v[168:169], v[152:153] op_sel:[1,1] op_sel_hi:[0,1]
	v_mov_b32_e32 v93, v103
	v_pk_fma_f32 v[102:103], v[166:167], v[150:151], v[94:95] op_sel_hi:[1,0,1]
	v_pk_add_f32 v[100:101], v[100:101], v[248:249]
	v_pk_fma_f32 v[94:95], v[166:167], v[150:151], v[94:95] neg_lo:[0,0,1] neg_hi:[0,0,1]
	v_pk_fma_f32 v[106:107], v[168:169], v[152:153], v[96:97] op_sel_hi:[1,0,1]
	v_pk_mul_f32 v[98:99], v[240:241], v[98:99] op_sel_hi:[1,0]
	v_mov_b32_e32 v95, v103
	v_pk_add_f32 v[92:93], v[100:101], v[92:93]
	s_wait_loadcnt 0x2
	v_pk_mul_f32 v[104:105], v[172:173], v[156:157] op_sel:[1,1] op_sel_hi:[0,1]
	v_mov_b32_e32 v100, v159
	v_pk_fma_f32 v[96:97], v[168:169], v[152:153], v[96:97] neg_lo:[0,0,1] neg_hi:[0,0,1]
	v_mov_b32_e32 v97, v107
	v_pk_fma_f32 v[102:103], v[170:171], v[154:155], v[98:99] op_sel_hi:[1,0,1]
	v_pk_add_f32 v[92:93], v[92:93], v[94:95]
	v_pk_fma_f32 v[94:95], v[172:173], v[156:157], v[104:105] op_sel_hi:[1,0,1]
	v_pk_mul_f32 v[100:101], v[242:243], v[100:101] op_sel_hi:[1,0]
	v_pk_fma_f32 v[98:99], v[170:171], v[154:155], v[98:99] neg_lo:[0,0,1] neg_hi:[0,0,1]
	v_mov_b32_e32 v99, v103
	v_pk_add_f32 v[92:93], v[92:93], v[96:97]
	v_pk_fma_f32 v[102:103], v[172:173], v[156:157], v[104:105] neg_lo:[0,0,1] neg_hi:[0,0,1]
	v_mov_b32_e32 v103, v95
	v_pk_fma_f32 v[94:95], v[174:175], v[158:159], v[100:101] op_sel_hi:[1,0,1]
	s_wait_loadcnt 0x1
	v_pk_mul_f32 v[96:97], v[176:177], v[160:161] op_sel:[1,1] op_sel_hi:[0,1]
	v_pk_add_f32 v[92:93], v[92:93], v[98:99]
	v_mov_b32_e32 v94, v163
	v_pk_fma_f32 v[100:101], v[174:175], v[158:159], v[100:101] neg_lo:[0,0,1] neg_hi:[0,0,1]
	v_mov_b32_e32 v101, v95
	v_pk_fma_f32 v[98:99], v[176:177], v[160:161], v[96:97] op_sel_hi:[1,0,1]
	v_pk_add_f32 v[92:93], v[92:93], v[102:103]
	v_pk_mul_f32 v[94:95], v[244:245], v[94:95] op_sel_hi:[1,0]
	v_pk_fma_f32 v[96:97], v[176:177], v[160:161], v[96:97] neg_lo:[0,0,1] neg_hi:[0,0,1]
	s_delay_alu instid0(VALU_DEP_4) | instskip(NEXT) | instid1(VALU_DEP_4)
	v_mov_b32_e32 v97, v99
	v_pk_add_f32 v[92:93], v[92:93], v[100:101]
	s_delay_alu instid0(VALU_DEP_4) | instskip(SKIP_1) | instid1(VALU_DEP_2)
	v_pk_fma_f32 v[98:99], v[178:179], v[162:163], v[94:95] op_sel_hi:[1,0,1]
	v_pk_fma_f32 v[94:95], v[178:179], v[162:163], v[94:95] neg_lo:[0,0,1] neg_hi:[0,0,1]
	v_mov_b32_e32 v95, v99
	s_delay_alu instid0(VALU_DEP_4) | instskip(NEXT) | instid1(VALU_DEP_1)
	v_pk_add_f32 v[92:93], v[92:93], v[96:97]
	v_pk_add_f32 v[92:93], v[92:93], v[94:95]
	s_wait_loadcnt 0x0
	s_delay_alu instid0(VALU_DEP_1)
	v_pk_add_f32 v[92:93], v[236:237], v[92:93] neg_lo:[0,1] neg_hi:[0,1]
	scratch_store_b64 off, v[92:93], off offset:64
	s_wait_xcnt 0x0
	v_cmpx_lt_u32_e32 7, v0
	s_cbranch_execz .LBB108_269
; %bb.268:
	scratch_load_b64 v[92:93], off, off offset:56
	v_mov_b64_e32 v[94:95], 0
	scratch_store_b64 off, v[94:95], off offset:56
	s_wait_loadcnt 0x0
	ds_store_b64 v1, v[92:93]
.LBB108_269:
	s_wait_xcnt 0x0
	s_or_b32 exec_lo, exec_lo, s0
	s_wait_storecnt_dscnt 0x0
	s_barrier_signal -1
	s_barrier_wait -1
	s_clause 0x13
	scratch_load_b128 v[92:95], off, off offset:64
	scratch_load_b128 v[96:99], off, off offset:80
	;; [unrolled: 1-line block ×18, first 2 shown]
	scratch_load_b64 v[236:237], off, off offset:352
	scratch_load_b64 v[238:239], off, off offset:56
	v_mov_b32_e32 v7, 0
	ds_load_b128 v[164:167], v7 offset:656
	ds_load_b128 v[168:171], v7 offset:672
	;; [unrolled: 1-line block ×18, first 2 shown]
	ds_load_b64 v[240:241], v7 offset:720
	s_mov_b32 s0, exec_lo
	s_wait_dscnt 0x12
	v_dual_mov_b32 v242, v167 :: v_dual_mov_b32 v243, v166
	s_wait_dscnt 0x11
	v_dual_mov_b32 v244, v171 :: v_dual_mov_b32 v245, v170
	;; [unrolled: 2-line block ×3, first 2 shown]
	v_dual_mov_b32 v247, v174 :: v_dual_mov_b32 v248, v187
	s_wait_loadcnt 0x13
	v_dual_mul_f32 v9, v176, v93 :: v_dual_mul_f32 v63, v177, v93
	v_dual_mul_f32 v65, v179, v95 :: v_dual_mul_f32 v11, v178, v95
	s_wait_loadcnt 0x12
	v_mul_f32_e32 v13, v180, v97
	s_wait_loadcnt_dscnt 0x100b
	v_dual_mul_f32 v75, v193, v105 :: v_dual_fma_f32 v63, v176, v92, -v63
	v_dual_fmac_f32 v9, v177, v92 :: v_dual_mul_f32 v77, v195, v107
	v_dual_mul_f32 v67, v181, v97 :: v_dual_mul_f32 v69, v183, v99
	v_dual_fmac_f32 v11, v179, v94 :: v_dual_fma_f32 v65, v178, v94, -v65
	s_delay_alu instid0(VALU_DEP_3) | instskip(SKIP_4) | instid1(VALU_DEP_3)
	v_dual_add_f32 v9, 0, v9 :: v_dual_add_f32 v63, 0, v63
	v_dual_mul_f32 v15, v182, v99 :: v_dual_mul_f32 v17, v188, v101
	s_wait_loadcnt_dscnt 0xf0a
	v_dual_mul_f32 v79, v197, v109 :: v_dual_fma_f32 v67, v180, v96, -v67
	v_fmac_f32_e32 v13, v181, v96
	v_dual_add_f32 v9, v9, v11 :: v_dual_fmac_f32 v15, v183, v98
	v_add_f32_e32 v11, v63, v65
	v_dual_mul_f32 v71, v189, v101 :: v_dual_mul_f32 v73, v191, v103
	v_dual_mul_f32 v63, v199, v111 :: v_dual_fma_f32 v65, v182, v98, -v69
	s_delay_alu instid0(VALU_DEP_3) | instskip(SKIP_3) | instid1(VALU_DEP_3)
	v_dual_add_f32 v9, v9, v13 :: v_dual_add_f32 v11, v11, v67
	v_dual_mul_f32 v19, v190, v103 :: v_dual_mul_f32 v21, v192, v105
	s_wait_loadcnt_dscnt 0xe09
	v_dual_mul_f32 v13, v201, v113 :: v_dual_fma_f32 v67, v188, v100, -v71
	v_dual_fmac_f32 v17, v189, v100 :: v_dual_add_f32 v11, v11, v65
	s_delay_alu instid0(VALU_DEP_3) | instskip(SKIP_1) | instid1(VALU_DEP_2)
	v_dual_add_f32 v9, v9, v15 :: v_dual_fmac_f32 v19, v191, v102
	v_dual_mul_f32 v15, v203, v115 :: v_dual_fma_f32 v65, v190, v102, -v73
	v_dual_add_f32 v11, v11, v67 :: v_dual_add_f32 v9, v9, v17
	v_dual_mul_f32 v23, v194, v107 :: v_dual_mul_f32 v25, v196, v109
	s_wait_loadcnt_dscnt 0xd08
	v_dual_mul_f32 v17, v205, v117 :: v_dual_fma_f32 v67, v192, v104, -v75
	s_delay_alu instid0(VALU_DEP_3) | instskip(NEXT) | instid1(VALU_DEP_3)
	v_dual_fmac_f32 v21, v193, v104 :: v_dual_add_f32 v11, v11, v65
	v_dual_add_f32 v9, v9, v19 :: v_dual_fmac_f32 v23, v195, v106
	v_dual_mul_f32 v19, v207, v119 :: v_dual_fma_f32 v65, v194, v106, -v77
	s_delay_alu instid0(VALU_DEP_2) | instskip(SKIP_3) | instid1(VALU_DEP_3)
	v_dual_add_f32 v11, v11, v67 :: v_dual_add_f32 v9, v9, v21
	v_dual_mul_f32 v27, v198, v111 :: v_dual_mul_f32 v29, v200, v113
	s_wait_loadcnt_dscnt 0xc07
	v_dual_mul_f32 v21, v209, v121 :: v_dual_fma_f32 v67, v196, v108, -v79
	v_dual_fmac_f32 v25, v197, v108 :: v_dual_add_f32 v11, v11, v65
	s_delay_alu instid0(VALU_DEP_3) | instskip(SKIP_1) | instid1(VALU_DEP_2)
	v_dual_add_f32 v9, v9, v23 :: v_dual_fmac_f32 v27, v199, v110
	v_dual_mul_f32 v23, v211, v123 :: v_dual_fma_f32 v63, v198, v110, -v63
	v_dual_add_f32 v11, v11, v67 :: v_dual_add_f32 v9, v9, v25
	v_dual_mul_f32 v31, v202, v115 :: v_dual_mul_f32 v33, v204, v117
	s_wait_loadcnt_dscnt 0xb06
	v_dual_mul_f32 v25, v213, v125 :: v_dual_fma_f32 v13, v200, v112, -v13
	s_delay_alu instid0(VALU_DEP_3) | instskip(NEXT) | instid1(VALU_DEP_3)
	v_dual_fmac_f32 v29, v201, v112 :: v_dual_add_f32 v11, v11, v63
	v_dual_add_f32 v9, v9, v27 :: v_dual_fmac_f32 v31, v203, v114
	v_dual_mul_f32 v27, v215, v127 :: v_dual_fma_f32 v15, v202, v114, -v15
	s_delay_alu instid0(VALU_DEP_3) | instskip(NEXT) | instid1(VALU_DEP_3)
	v_dual_add_f32 v11, v11, v13 :: v_dual_fmac_f32 v33, v205, v116
	v_dual_add_f32 v9, v9, v29 :: v_dual_fma_f32 v17, v204, v116, -v17
	v_dual_mul_f32 v35, v206, v119 :: v_dual_mul_f32 v37, v208, v121
	s_wait_loadcnt_dscnt 0xa05
	s_delay_alu instid0(VALU_DEP_3) | instskip(NEXT) | instid1(VALU_DEP_2)
	v_dual_mul_f32 v13, v217, v129 :: v_dual_add_f32 v11, v11, v15
	v_dual_add_f32 v9, v9, v31 :: v_dual_fmac_f32 v35, v207, v118
	v_dual_mul_f32 v15, v219, v131 :: v_dual_fma_f32 v19, v206, v118, -v19
	s_delay_alu instid0(VALU_DEP_3) | instskip(NEXT) | instid1(VALU_DEP_3)
	v_dual_add_f32 v11, v11, v17 :: v_dual_fmac_f32 v37, v209, v120
	v_dual_add_f32 v9, v9, v33 :: v_dual_fma_f32 v21, v208, v120, -v21
	v_dual_mul_f32 v39, v210, v123 :: v_dual_mul_f32 v41, v212, v125
	s_wait_loadcnt_dscnt 0x904
	s_delay_alu instid0(VALU_DEP_3) | instskip(NEXT) | instid1(VALU_DEP_2)
	v_dual_mul_f32 v17, v221, v133 :: v_dual_add_f32 v11, v11, v19
	;; [unrolled: 9-line block ×5, first 2 shown]
	v_dual_add_f32 v9, v9, v47 :: v_dual_fmac_f32 v51, v223, v134
	v_dual_mul_f32 v15, v235, v147 :: v_dual_fma_f32 v19, v222, v134, -v19
	s_delay_alu instid0(VALU_DEP_3) | instskip(NEXT) | instid1(VALU_DEP_3)
	v_dual_add_f32 v11, v11, v17 :: v_dual_fmac_f32 v53, v225, v136
	v_dual_add_f32 v9, v9, v49 :: v_dual_fma_f32 v21, v224, v136, -v21
	v_dual_mul_f32 v55, v226, v139 :: v_dual_mul_f32 v57, v228, v141
	s_wait_loadcnt 0x5
	s_delay_alu instid0(VALU_DEP_3) | instskip(NEXT) | instid1(VALU_DEP_3)
	v_dual_mul_f32 v17, v165, v149 :: v_dual_add_f32 v11, v11, v19
	v_dual_add_f32 v9, v9, v51 :: v_dual_mov_b32 v92, v151
	s_delay_alu instid0(VALU_DEP_3) | instskip(NEXT) | instid1(VALU_DEP_3)
	v_fmac_f32_e32 v55, v227, v138
	v_dual_fma_f32 v19, v226, v138, -v23 :: v_dual_add_f32 v11, v11, v21
	s_delay_alu instid0(VALU_DEP_3) | instskip(SKIP_1) | instid1(VALU_DEP_3)
	v_dual_add_f32 v9, v9, v53 :: v_dual_mul_f32 v59, v230, v143
	v_dual_mul_f32 v61, v232, v145 :: v_dual_fmac_f32 v57, v229, v140
	v_dual_add_f32 v11, v11, v19 :: v_dual_fma_f32 v21, v228, v140, -v25
	s_wait_loadcnt 0x4
	s_delay_alu instid0(VALU_DEP_3) | instskip(SKIP_3) | instid1(VALU_DEP_4)
	v_dual_add_f32 v9, v9, v55 :: v_dual_mov_b32 v96, v155
	v_fma_f32 v19, v230, v142, -v27
	v_fmac_f32_e32 v59, v231, v142
	v_dual_add_f32 v11, v11, v21 :: v_dual_fmac_f32 v61, v233, v144
	v_dual_add_f32 v9, v9, v57 :: v_dual_mul_f32 v251, v234, v147
	v_mul_f32_e32 v253, v164, v149
	s_delay_alu instid0(VALU_DEP_3) | instskip(NEXT) | instid1(VALU_DEP_3)
	v_dual_fma_f32 v13, v232, v144, -v13 :: v_dual_add_f32 v11, v11, v19
	v_dual_fma_f32 v250, v234, v146, -v15 :: v_dual_add_f32 v9, v9, v59
	s_delay_alu instid0(VALU_DEP_4) | instskip(SKIP_1) | instid1(VALU_DEP_4)
	v_fmac_f32_e32 v251, v235, v146
	v_pk_mul_f32 v[92:93], v[242:243], v[92:93] op_sel_hi:[1,0]
	v_dual_add_f32 v100, v11, v13 :: v_dual_fmac_f32 v253, v165, v148
	s_delay_alu instid0(VALU_DEP_4)
	v_add_f32_e32 v101, v9, v61
	v_pk_mul_f32 v[94:95], v[168:169], v[152:153] op_sel:[1,1] op_sel_hi:[0,1]
	s_wait_loadcnt 0x3
	v_dual_mov_b32 v102, v159 :: v_dual_fma_f32 v252, v164, v148, -v17
	v_pk_fma_f32 v[104:105], v[166:167], v[150:151], v[92:93] op_sel_hi:[1,0,1]
	v_pk_add_f32 v[100:101], v[100:101], v[250:251]
	v_pk_fma_f32 v[92:93], v[166:167], v[150:151], v[92:93] neg_lo:[0,0,1] neg_hi:[0,0,1]
	v_pk_fma_f32 v[106:107], v[168:169], v[152:153], v[94:95] op_sel_hi:[1,0,1]
	v_pk_mul_f32 v[96:97], v[244:245], v[96:97] op_sel_hi:[1,0]
	v_mov_b32_e32 v93, v105
	v_pk_add_f32 v[100:101], v[100:101], v[252:253]
	v_pk_fma_f32 v[94:95], v[168:169], v[152:153], v[94:95] neg_lo:[0,0,1] neg_hi:[0,0,1]
	v_pk_mul_f32 v[98:99], v[172:173], v[156:157] op_sel:[1,1] op_sel_hi:[0,1]
	v_mov_b32_e32 v95, v107
	v_pk_fma_f32 v[106:107], v[170:171], v[154:155], v[96:97] op_sel_hi:[1,0,1]
	v_pk_add_f32 v[92:93], v[100:101], v[92:93]
	v_pk_fma_f32 v[96:97], v[170:171], v[154:155], v[96:97] neg_lo:[0,0,1] neg_hi:[0,0,1]
	v_pk_fma_f32 v[100:101], v[172:173], v[156:157], v[98:99] op_sel_hi:[1,0,1]
	v_pk_mul_f32 v[102:103], v[246:247], v[102:103] op_sel_hi:[1,0]
	v_mov_b32_e32 v97, v107
	v_pk_add_f32 v[92:93], v[92:93], v[94:95]
	v_pk_fma_f32 v[98:99], v[172:173], v[156:157], v[98:99] neg_lo:[0,0,1] neg_hi:[0,0,1]
	s_wait_loadcnt 0x2
	v_pk_mul_f32 v[104:105], v[184:185], v[160:161] op_sel:[1,1] op_sel_hi:[0,1]
	v_dual_mov_b32 v94, v163 :: v_dual_mov_b32 v99, v101
	v_pk_fma_f32 v[100:101], v[174:175], v[158:159], v[102:103] op_sel_hi:[1,0,1]
	v_pk_add_f32 v[92:93], v[92:93], v[96:97]
	v_pk_fma_f32 v[102:103], v[174:175], v[158:159], v[102:103] neg_lo:[0,0,1] neg_hi:[0,0,1]
	v_pk_fma_f32 v[96:97], v[184:185], v[160:161], v[104:105] op_sel_hi:[1,0,1]
	v_pk_mul_f32 v[94:95], v[248:249], v[94:95] op_sel_hi:[1,0]
	v_mov_b32_e32 v103, v101
	v_pk_add_f32 v[92:93], v[92:93], v[98:99]
	v_pk_fma_f32 v[98:99], v[184:185], v[160:161], v[104:105] neg_lo:[0,0,1] neg_hi:[0,0,1]
	v_mov_b32_e32 v99, v97
	v_pk_fma_f32 v[96:97], v[186:187], v[162:163], v[94:95] op_sel_hi:[1,0,1]
	s_wait_loadcnt_dscnt 0x100
	v_pk_mul_f32 v[100:101], v[240:241], v[236:237] op_sel:[1,1] op_sel_hi:[0,1]
	v_pk_add_f32 v[92:93], v[92:93], v[102:103]
	v_pk_fma_f32 v[94:95], v[186:187], v[162:163], v[94:95] neg_lo:[0,0,1] neg_hi:[0,0,1]
	v_mov_b32_e32 v95, v97
	s_delay_alu instid0(VALU_DEP_4) | instskip(NEXT) | instid1(VALU_DEP_4)
	v_pk_fma_f32 v[96:97], v[240:241], v[236:237], v[100:101] op_sel_hi:[1,0,1]
	v_pk_add_f32 v[92:93], v[92:93], v[98:99]
	v_pk_fma_f32 v[98:99], v[240:241], v[236:237], v[100:101] neg_lo:[0,0,1] neg_hi:[0,0,1]
	s_delay_alu instid0(VALU_DEP_3) | instskip(NEXT) | instid1(VALU_DEP_3)
	v_mov_b32_e32 v99, v97
	v_pk_add_f32 v[92:93], v[92:93], v[94:95]
	s_delay_alu instid0(VALU_DEP_1) | instskip(SKIP_1) | instid1(VALU_DEP_1)
	v_pk_add_f32 v[92:93], v[92:93], v[98:99]
	s_wait_loadcnt 0x0
	v_pk_add_f32 v[92:93], v[238:239], v[92:93] neg_lo:[0,1] neg_hi:[0,1]
	scratch_store_b64 off, v[92:93], off offset:56
	s_wait_xcnt 0x0
	v_cmpx_lt_u32_e32 6, v0
	s_cbranch_execz .LBB108_271
; %bb.270:
	scratch_load_b64 v[92:93], off, off offset:48
	v_mov_b64_e32 v[94:95], 0
	scratch_store_b64 off, v[94:95], off offset:48
	s_wait_loadcnt 0x0
	ds_store_b64 v1, v[92:93]
.LBB108_271:
	s_wait_xcnt 0x0
	s_or_b32 exec_lo, exec_lo, s0
	s_wait_storecnt_dscnt 0x0
	s_barrier_signal -1
	s_barrier_wait -1
	s_clause 0x13
	scratch_load_b128 v[92:95], off, off offset:56
	scratch_load_b128 v[96:99], off, off offset:72
	;; [unrolled: 1-line block ×19, first 2 shown]
	scratch_load_b64 v[244:245], off, off offset:48
	ds_load_2addr_b64 v[168:171], v7 offset0:83 offset1:84
	ds_load_2addr_b64 v[172:175], v7 offset0:85 offset1:86
	;; [unrolled: 1-line block ×19, first 2 shown]
	s_mov_b32 s0, exec_lo
	s_wait_dscnt 0x12
	v_dual_mov_b32 v246, v171 :: v_dual_mov_b32 v247, v170
	s_wait_dscnt 0x11
	v_dual_mov_b32 v248, v175 :: v_dual_mov_b32 v249, v174
	;; [unrolled: 2-line block ×4, first 2 shown]
	s_wait_loadcnt_dscnt 0x130d
	v_dual_mul_f32 v7, v188, v93 :: v_dual_mul_f32 v9, v190, v95
	s_wait_loadcnt_dscnt 0x120c
	v_dual_mul_f32 v63, v189, v93 :: v_dual_mul_f32 v69, v195, v99
	s_wait_loadcnt_dscnt 0x110b
	v_mul_f32_e32 v71, v197, v101
	v_dual_fmac_f32 v7, v189, v92 :: v_dual_fmac_f32 v9, v191, v94
	s_delay_alu instid0(VALU_DEP_3)
	v_fma_f32 v63, v188, v92, -v63
	v_dual_mul_f32 v11, v192, v97 :: v_dual_mul_f32 v13, v194, v99
	v_dual_mul_f32 v65, v191, v95 :: v_dual_mul_f32 v67, v193, v97
	s_wait_loadcnt_dscnt 0x100a
	v_dual_mul_f32 v73, v199, v103 :: v_dual_mul_f32 v75, v201, v105
	s_wait_loadcnt 0x5
	s_delay_alu instid0(VALU_DEP_2) | instskip(SKIP_3) | instid1(VALU_DEP_3)
	v_dual_mul_f32 v255, v176, v149 :: v_dual_fma_f32 v65, v190, v94, -v65
	v_dual_add_f32 v7, 0, v7 :: v_dual_fmac_f32 v11, v193, v96
	v_dual_add_f32 v63, 0, v63 :: v_dual_fma_f32 v67, v192, v96, -v67
	v_dual_mul_f32 v15, v196, v101 :: v_dual_mul_f32 v17, v198, v103
	v_add_f32_e32 v7, v7, v9
	s_delay_alu instid0(VALU_DEP_3) | instskip(NEXT) | instid1(VALU_DEP_3)
	v_dual_add_f32 v9, v63, v65 :: v_dual_fma_f32 v65, v194, v98, -v69
	v_dual_fmac_f32 v15, v197, v100 :: v_dual_fmac_f32 v13, v195, v98
	s_delay_alu instid0(VALU_DEP_3) | instskip(NEXT) | instid1(VALU_DEP_3)
	v_add_f32_e32 v7, v7, v11
	v_add_f32_e32 v9, v9, v67
	s_wait_dscnt 0x9
	v_dual_mul_f32 v11, v207, v111 :: v_dual_fma_f32 v67, v196, v100, -v71
	v_dual_mul_f32 v19, v200, v105 :: v_dual_mul_f32 v21, v202, v107
	v_add_f32_e32 v7, v7, v13
	v_add_f32_e32 v9, v9, v65
	s_wait_dscnt 0x8
	v_dual_mul_f32 v13, v209, v113 :: v_dual_fmac_f32 v17, v199, v102
	s_delay_alu instid0(VALU_DEP_3) | instskip(SKIP_3) | instid1(VALU_DEP_2)
	v_dual_fma_f32 v65, v198, v102, -v73 :: v_dual_add_f32 v7, v7, v15
	v_fmac_f32_e32 v19, v201, v104
	v_dual_add_f32 v9, v9, v67 :: v_dual_fma_f32 v67, v200, v104, -v75
	v_dual_mul_f32 v77, v203, v107 :: v_dual_mul_f32 v63, v205, v109
	v_dual_mul_f32 v15, v211, v115 :: v_dual_add_f32 v9, v9, v65
	s_delay_alu instid0(VALU_DEP_2) | instskip(SKIP_3) | instid1(VALU_DEP_2)
	v_dual_add_f32 v7, v7, v17 :: v_dual_fma_f32 v65, v202, v106, -v77
	v_dual_mul_f32 v23, v204, v109 :: v_dual_mul_f32 v25, v206, v111
	s_wait_dscnt 0x7
	v_dual_mul_f32 v17, v213, v117 :: v_dual_fmac_f32 v21, v203, v106
	v_dual_add_f32 v7, v7, v19 :: v_dual_fmac_f32 v23, v205, v108
	v_dual_add_f32 v9, v9, v67 :: v_dual_fma_f32 v63, v204, v108, -v63
	v_mul_f32_e32 v19, v215, v119
	s_delay_alu instid0(VALU_DEP_3) | instskip(NEXT) | instid1(VALU_DEP_3)
	v_dual_add_f32 v7, v7, v21 :: v_dual_fma_f32 v11, v206, v110, -v11
	v_add_f32_e32 v9, v9, v65
	v_dual_mul_f32 v27, v208, v113 :: v_dual_mul_f32 v29, v210, v115
	s_wait_dscnt 0x6
	v_dual_mul_f32 v21, v217, v121 :: v_dual_fmac_f32 v25, v207, v110
	s_delay_alu instid0(VALU_DEP_2) | instskip(SKIP_2) | instid1(VALU_DEP_2)
	v_dual_add_f32 v7, v7, v23 :: v_dual_fmac_f32 v27, v209, v112
	v_dual_add_f32 v9, v9, v63 :: v_dual_fma_f32 v13, v208, v112, -v13
	v_dual_mul_f32 v31, v212, v117 :: v_dual_mul_f32 v33, v214, v119
	v_dual_add_f32 v7, v7, v25 :: v_dual_add_f32 v9, v9, v11
	v_dual_fmac_f32 v29, v211, v114 :: v_dual_fma_f32 v15, v210, v114, -v15
	s_delay_alu instid0(VALU_DEP_2) | instskip(SKIP_1) | instid1(VALU_DEP_3)
	v_dual_fmac_f32 v31, v213, v116 :: v_dual_add_f32 v7, v7, v27
	s_wait_dscnt 0x5
	v_dual_add_f32 v9, v9, v13 :: v_dual_mul_f32 v13, v223, v127
	v_fma_f32 v17, v212, v116, -v17
	v_dual_mul_f32 v35, v216, v121 :: v_dual_mul_f32 v37, v218, v123
	s_delay_alu instid0(VALU_DEP_3) | instskip(SKIP_2) | instid1(VALU_DEP_2)
	v_dual_add_f32 v7, v7, v29 :: v_dual_add_f32 v9, v9, v15
	s_wait_dscnt 0x4
	v_dual_fmac_f32 v33, v215, v118 :: v_dual_mul_f32 v15, v225, v129
	v_dual_fma_f32 v19, v214, v118, -v19 :: v_dual_add_f32 v7, v7, v31
	s_delay_alu instid0(VALU_DEP_3) | instskip(SKIP_2) | instid1(VALU_DEP_3)
	v_dual_add_f32 v9, v9, v17 :: v_dual_mul_f32 v23, v219, v123
	v_dual_mul_f32 v11, v221, v125 :: v_dual_mul_f32 v17, v227, v131
	v_dual_fmac_f32 v35, v217, v120 :: v_dual_fma_f32 v21, v216, v120, -v21
	v_dual_add_f32 v7, v7, v33 :: v_dual_add_f32 v9, v9, v19
	v_dual_fmac_f32 v37, v219, v122 :: v_dual_mul_f32 v39, v220, v125
	s_wait_dscnt 0x3
	v_dual_mul_f32 v41, v222, v127 :: v_dual_mul_f32 v19, v229, v133
	s_delay_alu instid0(VALU_DEP_3) | instskip(SKIP_2) | instid1(VALU_DEP_3)
	v_dual_fma_f32 v23, v218, v122, -v23 :: v_dual_add_f32 v7, v7, v35
	v_dual_add_f32 v9, v9, v21 :: v_dual_mul_f32 v21, v231, v135
	v_fmac_f32_e32 v39, v221, v124
	v_dual_fma_f32 v11, v220, v124, -v11 :: v_dual_add_f32 v7, v7, v37
	s_delay_alu instid0(VALU_DEP_3) | instskip(SKIP_3) | instid1(VALU_DEP_2)
	v_dual_add_f32 v9, v9, v23 :: v_dual_fmac_f32 v41, v223, v126
	v_dual_mul_f32 v43, v224, v129 :: v_dual_mul_f32 v45, v226, v131
	s_wait_dscnt 0x2
	v_dual_mul_f32 v23, v233, v137 :: v_dual_fma_f32 v13, v222, v126, -v13
	v_dual_add_f32 v7, v7, v39 :: v_dual_fmac_f32 v43, v225, v128
	v_dual_add_f32 v9, v9, v11 :: v_dual_fma_f32 v15, v224, v128, -v15
	v_mul_f32_e32 v11, v235, v139
	s_delay_alu instid0(VALU_DEP_3) | instskip(NEXT) | instid1(VALU_DEP_3)
	v_dual_add_f32 v7, v7, v41 :: v_dual_fma_f32 v17, v226, v130, -v17
	v_add_f32_e32 v9, v9, v13
	v_dual_mul_f32 v47, v228, v133 :: v_dual_mul_f32 v49, v230, v135
	s_wait_dscnt 0x1
	v_dual_mul_f32 v13, v237, v141 :: v_dual_fmac_f32 v45, v227, v130
	s_delay_alu instid0(VALU_DEP_2) | instskip(SKIP_2) | instid1(VALU_DEP_3)
	v_dual_add_f32 v7, v7, v43 :: v_dual_fmac_f32 v47, v229, v132
	v_dual_add_f32 v9, v9, v15 :: v_dual_fma_f32 v19, v228, v132, -v19
	v_mul_f32_e32 v15, v239, v143
	v_dual_add_f32 v7, v7, v45 :: v_dual_fma_f32 v21, v230, v134, -v21
	s_delay_alu instid0(VALU_DEP_3) | instskip(SKIP_3) | instid1(VALU_DEP_2)
	v_add_f32_e32 v9, v9, v17
	v_dual_mul_f32 v51, v232, v137 :: v_dual_mul_f32 v53, v234, v139
	s_wait_dscnt 0x0
	v_dual_mul_f32 v17, v241, v145 :: v_dual_fmac_f32 v49, v231, v134
	v_dual_add_f32 v7, v7, v47 :: v_dual_fmac_f32 v51, v233, v136
	v_dual_add_f32 v9, v9, v19 :: v_dual_fma_f32 v23, v232, v136, -v23
	v_mul_f32_e32 v19, v243, v147
	s_delay_alu instid0(VALU_DEP_3) | instskip(NEXT) | instid1(VALU_DEP_3)
	v_dual_add_f32 v7, v7, v49 :: v_dual_fma_f32 v11, v234, v138, -v11
	v_add_f32_e32 v9, v9, v21
	v_dual_mul_f32 v55, v236, v141 :: v_dual_mul_f32 v57, v238, v143
	v_dual_mul_f32 v21, v177, v149 :: v_dual_fmac_f32 v53, v235, v138
	s_delay_alu instid0(VALU_DEP_2) | instskip(NEXT) | instid1(VALU_DEP_4)
	v_dual_add_f32 v7, v7, v51 :: v_dual_fmac_f32 v55, v237, v140
	v_dual_add_f32 v9, v9, v23 :: v_dual_fma_f32 v13, v236, v140, -v13
	v_dual_mul_f32 v59, v240, v145 :: v_dual_mul_f32 v61, v242, v147
	s_delay_alu instid0(VALU_DEP_2) | instskip(SKIP_2) | instid1(VALU_DEP_3)
	v_dual_add_f32 v7, v7, v53 :: v_dual_add_f32 v9, v9, v11
	v_dual_mul_f32 v23, v179, v151 :: v_dual_fma_f32 v11, v238, v142, -v15
	v_fmac_f32_e32 v57, v239, v142
	v_dual_add_f32 v7, v7, v55 :: v_dual_fmac_f32 v59, v241, v144
	s_wait_loadcnt 0x4
	v_dual_add_f32 v9, v9, v13 :: v_dual_mov_b32 v94, v155
	s_delay_alu instid0(VALU_DEP_2) | instskip(SKIP_1) | instid1(VALU_DEP_3)
	v_dual_fma_f32 v13, v240, v144, -v17 :: v_dual_add_f32 v7, v7, v57
	v_pk_mul_f32 v[92:93], v[168:169], v[152:153] op_sel:[1,1] op_sel_hi:[0,1]
	v_dual_add_f32 v9, v9, v11 :: v_dual_fmac_f32 v61, v243, v146
	s_delay_alu instid0(VALU_DEP_3)
	v_dual_fma_f32 v11, v242, v146, -v19 :: v_dual_add_f32 v7, v7, v59
	s_set_vgpr_msb 64                       ;  msbs: dst=1 src0=0 src1=0 src2=0
	v_dual_mul_f32 v1 /*v257*/, v178, v151 :: v_dual_fma_f32 v0 /*v256*/, v178, v150, -v23
	s_wait_loadcnt 0x3
	s_set_vgpr_msb 0                        ;  msbs: dst=0 src0=0 src1=0 src2=0
	v_dual_add_f32 v9, v9, v13 :: v_dual_mov_b32 v98, v159
	v_dual_fmac_f32 v255, v177, v148 :: v_dual_fma_f32 v254, v176, v148, -v21
	v_add_f32_e32 v101, v7, v61
	v_pk_fma_f32 v[102:103], v[168:169], v[152:153], v[92:93] op_sel_hi:[1,0,1]
	s_delay_alu instid0(VALU_DEP_4)
	v_add_f32_e32 v100, v9, v11
	v_pk_fma_f32 v[92:93], v[168:169], v[152:153], v[92:93] neg_lo:[0,0,1] neg_hi:[0,0,1]
	s_set_vgpr_msb 64                       ;  msbs: dst=1 src0=0 src1=0 src2=0
	v_fmac_f32_e32 v1 /*v257*/, v179, v150
	s_set_vgpr_msb 0                        ;  msbs: dst=0 src0=0 src1=0 src2=0
	v_pk_mul_f32 v[94:95], v[246:247], v[94:95] op_sel_hi:[1,0]
	v_mov_b32_e32 v93, v103
	v_pk_add_f32 v[100:101], v[100:101], v[254:255]
	v_pk_mul_f32 v[96:97], v[172:173], v[156:157] op_sel:[1,1] op_sel_hi:[0,1]
	v_pk_mul_f32 v[98:99], v[248:249], v[98:99] op_sel_hi:[1,0]
	v_pk_fma_f32 v[102:103], v[170:171], v[154:155], v[94:95] op_sel_hi:[1,0,1]
	v_pk_fma_f32 v[94:95], v[170:171], v[154:155], v[94:95] neg_lo:[0,0,1] neg_hi:[0,0,1]
	s_set_vgpr_msb 4                        ;  msbs: dst=0 src0=0 src1=1 src2=0
	v_pk_add_f32 v[100:101], v[100:101], v[0:1] /*v[256:257]*/
	s_set_vgpr_msb 0                        ;  msbs: dst=0 src0=0 src1=0 src2=0
	v_pk_fma_f32 v[106:107], v[172:173], v[156:157], v[96:97] op_sel_hi:[1,0,1]
	s_wait_loadcnt 0x2
	v_pk_mul_f32 v[104:105], v[180:181], v[160:161] op_sel:[1,1] op_sel_hi:[0,1]
	v_mov_b32_e32 v95, v103
	v_pk_fma_f32 v[96:97], v[172:173], v[156:157], v[96:97] neg_lo:[0,0,1] neg_hi:[0,0,1]
	v_pk_add_f32 v[92:93], v[100:101], v[92:93]
	v_mov_b32_e32 v100, v163
	v_pk_fma_f32 v[102:103], v[174:175], v[158:159], v[98:99] op_sel_hi:[1,0,1]
	v_mov_b32_e32 v97, v107
	v_pk_fma_f32 v[98:99], v[174:175], v[158:159], v[98:99] neg_lo:[0,0,1] neg_hi:[0,0,1]
	v_pk_add_f32 v[92:93], v[92:93], v[94:95]
	v_pk_fma_f32 v[94:95], v[180:181], v[160:161], v[104:105] op_sel_hi:[1,0,1]
	v_pk_mul_f32 v[100:101], v[250:251], v[100:101] op_sel_hi:[1,0]
	v_mov_b32_e32 v99, v103
	v_pk_fma_f32 v[102:103], v[180:181], v[160:161], v[104:105] neg_lo:[0,0,1] neg_hi:[0,0,1]
	v_pk_add_f32 v[92:93], v[92:93], v[96:97]
	v_mov_b32_e32 v103, v95
	v_pk_fma_f32 v[94:95], v[182:183], v[162:163], v[100:101] op_sel_hi:[1,0,1]
	s_wait_loadcnt 0x1
	v_pk_mul_f32 v[96:97], v[184:185], v[164:165] op_sel:[1,1] op_sel_hi:[0,1]
	v_mov_b32_e32 v94, v167
	v_pk_add_f32 v[92:93], v[92:93], v[98:99]
	v_pk_fma_f32 v[100:101], v[182:183], v[162:163], v[100:101] neg_lo:[0,0,1] neg_hi:[0,0,1]
	s_delay_alu instid0(VALU_DEP_4) | instskip(SKIP_1) | instid1(VALU_DEP_4)
	v_pk_fma_f32 v[98:99], v[184:185], v[164:165], v[96:97] op_sel_hi:[1,0,1]
	v_mov_b32_e32 v101, v95
	v_pk_add_f32 v[92:93], v[92:93], v[102:103]
	v_pk_mul_f32 v[94:95], v[252:253], v[94:95] op_sel_hi:[1,0]
	v_pk_fma_f32 v[96:97], v[184:185], v[164:165], v[96:97] neg_lo:[0,0,1] neg_hi:[0,0,1]
	v_mov_b32_e32 v97, v99
	s_delay_alu instid0(VALU_DEP_4) | instskip(NEXT) | instid1(VALU_DEP_4)
	v_pk_add_f32 v[92:93], v[92:93], v[100:101]
	v_pk_fma_f32 v[98:99], v[186:187], v[166:167], v[94:95] op_sel_hi:[1,0,1]
	v_pk_fma_f32 v[94:95], v[186:187], v[166:167], v[94:95] neg_lo:[0,0,1] neg_hi:[0,0,1]
	s_delay_alu instid0(VALU_DEP_3) | instskip(NEXT) | instid1(VALU_DEP_3)
	v_pk_add_f32 v[92:93], v[92:93], v[96:97]
	v_mov_b32_e32 v95, v99
	s_delay_alu instid0(VALU_DEP_1) | instskip(SKIP_1) | instid1(VALU_DEP_1)
	v_pk_add_f32 v[92:93], v[92:93], v[94:95]
	s_wait_loadcnt 0x0
	v_pk_add_f32 v[92:93], v[244:245], v[92:93] neg_lo:[0,1] neg_hi:[0,1]
	scratch_store_b64 off, v[92:93], off offset:48
	s_wait_xcnt 0x0
	v_cmpx_lt_u32_e32 5, v0
	s_cbranch_execz .LBB108_273
; %bb.272:
	scratch_load_b64 v[92:93], off, off offset:40
	v_mov_b64_e32 v[94:95], 0
	scratch_store_b64 off, v[94:95], off offset:40
	s_wait_loadcnt 0x0
	ds_store_b64 v1, v[92:93]
.LBB108_273:
	s_wait_xcnt 0x0
	s_or_b32 exec_lo, exec_lo, s0
	s_wait_storecnt_dscnt 0x0
	s_barrier_signal -1
	s_barrier_wait -1
	s_clause 0x14
	scratch_load_b128 v[92:95], off, off offset:48
	scratch_load_b128 v[96:99], off, off offset:64
	;; [unrolled: 1-line block ×19, first 2 shown]
	scratch_load_b64 v[244:245], off, off offset:352
	scratch_load_b64 v[246:247], off, off offset:40
	v_mov_b32_e32 v7, 0
	ds_load_b128 v[168:171], v7 offset:656
	ds_load_b128 v[172:175], v7 offset:640
	;; [unrolled: 1-line block ×19, first 2 shown]
	ds_load_b64 v[248:249], v7 offset:720
	s_wait_dscnt 0x13
	v_dual_mov_b32 v250, v171 :: v_dual_mov_b32 v251, v170
	s_wait_dscnt 0x10
	v_dual_mov_b32 v252, v179 :: v_dual_mov_b32 v255, v182
	v_dual_mov_b32 v253, v178 :: v_dual_mov_b32 v254, v183
	s_wait_dscnt 0xd
	s_set_vgpr_msb 64                       ;  msbs: dst=1 src0=0 src1=0 src2=0
	v_dual_mov_b32 v0 /*v256*/, v195 :: v_dual_mov_b32 v1 /*v257*/, v194
	s_mov_b32 s0, exec_lo
	s_wait_loadcnt 0x14
	s_set_vgpr_msb 0                        ;  msbs: dst=0 src0=0 src1=0 src2=0
	v_dual_mul_f32 v9, v184, v93 :: v_dual_mul_f32 v67, v185, v93
	v_dual_mul_f32 v69, v187, v95 :: v_dual_mul_f32 v11, v186, v95
	s_wait_loadcnt 0x13
	v_mul_f32_e32 v13, v188, v97
	s_wait_loadcnt_dscnt 0x110b
	v_dual_mul_f32 v79, v201, v105 :: v_dual_fma_f32 v67, v184, v92, -v67
	v_dual_fmac_f32 v9, v185, v92 :: v_dual_mul_f32 v81, v203, v107
	v_dual_mul_f32 v71, v189, v97 :: v_dual_mul_f32 v73, v191, v99
	v_dual_fmac_f32 v11, v187, v94 :: v_dual_fma_f32 v69, v186, v94, -v69
	s_delay_alu instid0(VALU_DEP_3) | instskip(SKIP_4) | instid1(VALU_DEP_3)
	v_dual_add_f32 v9, 0, v9 :: v_dual_add_f32 v67, 0, v67
	v_dual_mul_f32 v15, v190, v99 :: v_dual_mul_f32 v17, v196, v101
	s_wait_loadcnt_dscnt 0x100a
	v_dual_mul_f32 v83, v205, v109 :: v_dual_fma_f32 v71, v188, v96, -v71
	v_fmac_f32_e32 v13, v189, v96
	v_dual_add_f32 v9, v9, v11 :: v_dual_fmac_f32 v15, v191, v98
	v_add_f32_e32 v11, v67, v69
	v_dual_mul_f32 v75, v197, v101 :: v_dual_mul_f32 v77, v199, v103
	v_dual_mul_f32 v67, v207, v111 :: v_dual_fma_f32 v69, v190, v98, -v73
	s_delay_alu instid0(VALU_DEP_3) | instskip(SKIP_3) | instid1(VALU_DEP_3)
	v_dual_add_f32 v9, v9, v13 :: v_dual_add_f32 v11, v11, v71
	v_dual_mul_f32 v19, v198, v103 :: v_dual_mul_f32 v21, v200, v105
	s_wait_loadcnt_dscnt 0xf09
	v_dual_mul_f32 v13, v209, v113 :: v_dual_fma_f32 v71, v196, v100, -v75
	v_dual_fmac_f32 v17, v197, v100 :: v_dual_add_f32 v11, v11, v69
	s_delay_alu instid0(VALU_DEP_3) | instskip(SKIP_1) | instid1(VALU_DEP_2)
	v_dual_add_f32 v9, v9, v15 :: v_dual_fmac_f32 v19, v199, v102
	v_dual_mul_f32 v15, v211, v115 :: v_dual_fma_f32 v69, v198, v102, -v77
	v_dual_add_f32 v11, v11, v71 :: v_dual_add_f32 v9, v9, v17
	v_dual_mul_f32 v23, v202, v107 :: v_dual_mul_f32 v25, v204, v109
	s_wait_loadcnt_dscnt 0xe08
	v_dual_mul_f32 v17, v213, v117 :: v_dual_fma_f32 v71, v200, v104, -v79
	s_delay_alu instid0(VALU_DEP_3) | instskip(NEXT) | instid1(VALU_DEP_3)
	v_dual_fmac_f32 v21, v201, v104 :: v_dual_add_f32 v11, v11, v69
	v_dual_add_f32 v9, v9, v19 :: v_dual_fmac_f32 v23, v203, v106
	v_dual_mul_f32 v19, v215, v119 :: v_dual_fma_f32 v69, v202, v106, -v81
	s_delay_alu instid0(VALU_DEP_2) | instskip(SKIP_3) | instid1(VALU_DEP_3)
	v_dual_add_f32 v11, v11, v71 :: v_dual_add_f32 v9, v9, v21
	v_dual_mul_f32 v27, v206, v111 :: v_dual_mul_f32 v29, v208, v113
	s_wait_loadcnt_dscnt 0xd07
	v_dual_mul_f32 v21, v217, v121 :: v_dual_fma_f32 v71, v204, v108, -v83
	v_dual_fmac_f32 v25, v205, v108 :: v_dual_add_f32 v11, v11, v69
	s_delay_alu instid0(VALU_DEP_3) | instskip(SKIP_1) | instid1(VALU_DEP_2)
	v_dual_add_f32 v9, v9, v23 :: v_dual_fmac_f32 v27, v207, v110
	v_dual_mul_f32 v23, v219, v123 :: v_dual_fma_f32 v67, v206, v110, -v67
	v_dual_add_f32 v11, v11, v71 :: v_dual_add_f32 v9, v9, v25
	v_dual_mul_f32 v31, v210, v115 :: v_dual_mul_f32 v33, v212, v117
	s_wait_loadcnt_dscnt 0xc06
	v_dual_mul_f32 v25, v221, v125 :: v_dual_fma_f32 v13, v208, v112, -v13
	s_delay_alu instid0(VALU_DEP_3) | instskip(NEXT) | instid1(VALU_DEP_3)
	v_dual_fmac_f32 v29, v209, v112 :: v_dual_add_f32 v11, v11, v67
	v_dual_add_f32 v9, v9, v27 :: v_dual_fmac_f32 v31, v211, v114
	v_dual_mul_f32 v27, v223, v127 :: v_dual_fma_f32 v15, v210, v114, -v15
	s_delay_alu instid0(VALU_DEP_3) | instskip(NEXT) | instid1(VALU_DEP_3)
	v_dual_add_f32 v11, v11, v13 :: v_dual_fmac_f32 v33, v213, v116
	v_dual_add_f32 v9, v9, v29 :: v_dual_fma_f32 v17, v212, v116, -v17
	v_dual_mul_f32 v35, v214, v119 :: v_dual_mul_f32 v37, v216, v121
	s_wait_loadcnt_dscnt 0xb05
	s_delay_alu instid0(VALU_DEP_3) | instskip(NEXT) | instid1(VALU_DEP_2)
	v_dual_mul_f32 v13, v225, v129 :: v_dual_add_f32 v11, v11, v15
	v_dual_add_f32 v9, v9, v31 :: v_dual_fmac_f32 v35, v215, v118
	v_dual_mul_f32 v15, v227, v131 :: v_dual_fma_f32 v19, v214, v118, -v19
	s_delay_alu instid0(VALU_DEP_3) | instskip(NEXT) | instid1(VALU_DEP_3)
	v_dual_add_f32 v11, v11, v17 :: v_dual_fmac_f32 v37, v217, v120
	v_dual_add_f32 v9, v9, v33 :: v_dual_fma_f32 v21, v216, v120, -v21
	v_dual_mul_f32 v39, v218, v123 :: v_dual_mul_f32 v41, v220, v125
	s_wait_loadcnt_dscnt 0xa04
	s_delay_alu instid0(VALU_DEP_3) | instskip(NEXT) | instid1(VALU_DEP_2)
	v_dual_mul_f32 v17, v229, v133 :: v_dual_add_f32 v11, v11, v19
	;; [unrolled: 9-line block ×5, first 2 shown]
	v_dual_add_f32 v9, v9, v47 :: v_dual_fmac_f32 v51, v231, v134
	v_dual_mul_f32 v15, v243, v147 :: v_dual_fma_f32 v19, v230, v134, -v19
	s_delay_alu instid0(VALU_DEP_3) | instskip(NEXT) | instid1(VALU_DEP_3)
	v_dual_add_f32 v11, v11, v17 :: v_dual_fmac_f32 v53, v233, v136
	v_dual_add_f32 v9, v9, v49 :: v_dual_fma_f32 v21, v232, v136, -v21
	v_dual_mul_f32 v55, v234, v139 :: v_dual_mul_f32 v57, v236, v141
	s_wait_loadcnt 0x6
	s_delay_alu instid0(VALU_DEP_3) | instskip(NEXT) | instid1(VALU_DEP_2)
	v_dual_mul_f32 v17, v173, v149 :: v_dual_add_f32 v11, v11, v19
	v_dual_add_f32 v9, v9, v51 :: v_dual_fmac_f32 v55, v235, v138
	v_dual_mul_f32 v19, v175, v151 :: v_dual_fma_f32 v23, v234, v138, -v23
	s_delay_alu instid0(VALU_DEP_3) | instskip(NEXT) | instid1(VALU_DEP_3)
	v_dual_add_f32 v11, v11, v21 :: v_dual_fmac_f32 v57, v237, v140
	v_dual_add_f32 v9, v9, v53 :: v_dual_fma_f32 v25, v236, v140, -v25
	v_dual_mul_f32 v59, v238, v143 :: v_dual_mul_f32 v61, v240, v145
	s_wait_loadcnt 0x5
	s_delay_alu instid0(VALU_DEP_3) | instskip(NEXT) | instid1(VALU_DEP_3)
	v_dual_mul_f32 v21, v169, v153 :: v_dual_add_f32 v11, v11, v23
	v_dual_add_f32 v9, v9, v55 :: v_dual_mov_b32 v92, v155
	s_delay_alu instid0(VALU_DEP_3) | instskip(NEXT) | instid1(VALU_DEP_3)
	v_fmac_f32_e32 v59, v239, v142
	v_dual_fma_f32 v23, v238, v142, -v27 :: v_dual_add_f32 v11, v11, v25
	s_delay_alu instid0(VALU_DEP_3) | instskip(SKIP_1) | instid1(VALU_DEP_3)
	v_dual_add_f32 v9, v9, v57 :: v_dual_mul_f32 v63, v242, v147
	v_dual_mul_f32 v65, v172, v149 :: v_dual_fmac_f32 v61, v241, v144
	v_dual_add_f32 v11, v11, v23 :: v_dual_fma_f32 v13, v240, v144, -v13
	s_wait_loadcnt 0x4
	s_delay_alu instid0(VALU_DEP_3) | instskip(SKIP_3) | instid1(VALU_DEP_4)
	v_dual_add_f32 v9, v9, v59 :: v_dual_mov_b32 v96, v159
	v_fma_f32 v15, v242, v146, -v15
	v_fmac_f32_e32 v63, v243, v146
	v_dual_add_f32 v11, v11, v13 :: v_dual_fmac_f32 v65, v173, v148
	v_add_f32_e32 v9, v9, v61
	s_set_vgpr_msb 64                       ;  msbs: dst=1 src0=0 src1=0 src2=0
	v_dual_mul_f32 v3 /*v259*/, v174, v151 :: v_dual_mul_f32 v5 /*v261*/, v168, v153
	s_set_vgpr_msb 0                        ;  msbs: dst=0 src0=0 src1=0 src2=0
	v_fma_f32 v13, v172, v148, -v17
	v_pk_mul_f32 v[92:93], v[250:251], v[92:93] op_sel_hi:[1,0]
	v_add_f32_e32 v9, v9, v63
	v_add_f32_e32 v11, v11, v15
	s_set_vgpr_msb 64                       ;  msbs: dst=1 src0=0 src1=0 src2=0
	v_dual_fmac_f32 v3 /*v259*/, v175, v150 :: v_dual_fmac_f32 v5 /*v261*/, v169, v152
	v_dual_fma_f32 v2 /*v258*/, v174, v150, -v19 :: v_dual_fma_f32 v4 /*v260*/, v168, v152, -v21
	s_set_vgpr_msb 0                        ;  msbs: dst=0 src0=0 src1=0 src2=0
	v_add_f32_e32 v101, v9, v65
	v_pk_fma_f32 v[104:105], v[170:171], v[154:155], v[92:93] op_sel_hi:[1,0,1]
	v_add_f32_e32 v100, v11, v13
	v_pk_fma_f32 v[92:93], v[170:171], v[154:155], v[92:93] neg_lo:[0,0,1] neg_hi:[0,0,1]
	v_pk_mul_f32 v[94:95], v[176:177], v[156:157] op_sel:[1,1] op_sel_hi:[0,1]
	v_pk_mul_f32 v[96:97], v[252:253], v[96:97] op_sel_hi:[1,0]
	v_mov_b32_e32 v93, v105
	s_set_vgpr_msb 4                        ;  msbs: dst=0 src0=0 src1=1 src2=0
	v_pk_add_f32 v[100:101], v[100:101], v[2:3] /*v[258:259]*/
	s_wait_loadcnt 0x3
	s_set_vgpr_msb 0                        ;  msbs: dst=0 src0=0 src1=0 src2=0
	v_pk_mul_f32 v[98:99], v[180:181], v[160:161] op_sel:[1,1] op_sel_hi:[0,1]
	v_pk_fma_f32 v[106:107], v[176:177], v[156:157], v[94:95] op_sel_hi:[1,0,1]
	v_pk_fma_f32 v[94:95], v[176:177], v[156:157], v[94:95] neg_lo:[0,0,1] neg_hi:[0,0,1]
	v_mov_b32_e32 v102, v163
	s_set_vgpr_msb 4                        ;  msbs: dst=0 src0=0 src1=1 src2=0
	v_pk_add_f32 v[100:101], v[100:101], v[4:5] /*v[260:261]*/
	s_wait_loadcnt 0x2
	s_set_vgpr_msb 0                        ;  msbs: dst=0 src0=0 src1=0 src2=0
	v_pk_mul_f32 v[104:105], v[192:193], v[164:165] op_sel:[1,1] op_sel_hi:[0,1]
	v_mov_b32_e32 v95, v107
	v_pk_fma_f32 v[106:107], v[178:179], v[158:159], v[96:97] op_sel_hi:[1,0,1]
	v_pk_fma_f32 v[96:97], v[178:179], v[158:159], v[96:97] neg_lo:[0,0,1] neg_hi:[0,0,1]
	v_pk_add_f32 v[92:93], v[100:101], v[92:93]
	v_pk_fma_f32 v[100:101], v[180:181], v[160:161], v[98:99] op_sel_hi:[1,0,1]
	v_pk_mul_f32 v[102:103], v[254:255], v[102:103] op_sel_hi:[1,0]
	v_mov_b32_e32 v97, v107
	v_pk_fma_f32 v[98:99], v[180:181], v[160:161], v[98:99] neg_lo:[0,0,1] neg_hi:[0,0,1]
	v_pk_add_f32 v[92:93], v[92:93], v[94:95]
	v_dual_mov_b32 v94, v167 :: v_dual_mov_b32 v99, v101
	v_pk_fma_f32 v[100:101], v[182:183], v[162:163], v[102:103] op_sel_hi:[1,0,1]
	v_pk_fma_f32 v[102:103], v[182:183], v[162:163], v[102:103] neg_lo:[0,0,1] neg_hi:[0,0,1]
	s_delay_alu instid0(VALU_DEP_4)
	v_pk_add_f32 v[92:93], v[92:93], v[96:97]
	v_pk_fma_f32 v[96:97], v[192:193], v[164:165], v[104:105] op_sel_hi:[1,0,1]
	s_set_vgpr_msb 1                        ;  msbs: dst=0 src0=1 src1=0 src2=0
	v_pk_mul_f32 v[94:95], v[0:1] /*v[256:257]*/, v[94:95] op_sel_hi:[1,0]
	s_set_vgpr_msb 0                        ;  msbs: dst=0 src0=0 src1=0 src2=0
	v_mov_b32_e32 v103, v101
	s_wait_loadcnt_dscnt 0x100
	v_pk_mul_f32 v[100:101], v[248:249], v[244:245] op_sel:[1,1] op_sel_hi:[0,1]
	v_pk_add_f32 v[92:93], v[92:93], v[98:99]
	v_pk_fma_f32 v[98:99], v[192:193], v[164:165], v[104:105] neg_lo:[0,0,1] neg_hi:[0,0,1]
	v_mov_b32_e32 v99, v97
	v_pk_fma_f32 v[96:97], v[194:195], v[166:167], v[94:95] op_sel_hi:[1,0,1]
	v_pk_fma_f32 v[94:95], v[194:195], v[166:167], v[94:95] neg_lo:[0,0,1] neg_hi:[0,0,1]
	v_pk_add_f32 v[92:93], v[92:93], v[102:103]
	s_delay_alu instid0(VALU_DEP_3) | instskip(SKIP_1) | instid1(VALU_DEP_3)
	v_mov_b32_e32 v95, v97
	v_pk_fma_f32 v[96:97], v[248:249], v[244:245], v[100:101] op_sel_hi:[1,0,1]
	v_pk_add_f32 v[92:93], v[92:93], v[98:99]
	v_pk_fma_f32 v[98:99], v[248:249], v[244:245], v[100:101] neg_lo:[0,0,1] neg_hi:[0,0,1]
	s_delay_alu instid0(VALU_DEP_3) | instskip(NEXT) | instid1(VALU_DEP_3)
	v_mov_b32_e32 v99, v97
	v_pk_add_f32 v[92:93], v[92:93], v[94:95]
	s_delay_alu instid0(VALU_DEP_1) | instskip(SKIP_1) | instid1(VALU_DEP_1)
	v_pk_add_f32 v[92:93], v[92:93], v[98:99]
	s_wait_loadcnt 0x0
	v_pk_add_f32 v[92:93], v[246:247], v[92:93] neg_lo:[0,1] neg_hi:[0,1]
	scratch_store_b64 off, v[92:93], off offset:40
	s_wait_xcnt 0x0
	v_cmpx_lt_u32_e32 4, v0
	s_cbranch_execz .LBB108_275
; %bb.274:
	scratch_load_b64 v[92:93], off, off offset:32
	v_mov_b64_e32 v[94:95], 0
	scratch_store_b64 off, v[94:95], off offset:32
	s_wait_loadcnt 0x0
	ds_store_b64 v1, v[92:93]
.LBB108_275:
	s_wait_xcnt 0x0
	s_or_b32 exec_lo, exec_lo, s0
	s_wait_storecnt_dscnt 0x0
	s_barrier_signal -1
	s_barrier_wait -1
	s_clause 0x14
	scratch_load_b128 v[92:95], off, off offset:40
	scratch_load_b128 v[96:99], off, off offset:56
	;; [unrolled: 1-line block ×20, first 2 shown]
	scratch_load_b64 v[252:253], off, off offset:32
	ds_load_2addr_b64 v[172:175], v7 offset0:83 offset1:84
	ds_load_2addr_b64 v[176:179], v7 offset0:85 offset1:86
	;; [unrolled: 1-line block ×20, first 2 shown]
	s_wait_dscnt 0x13
	v_dual_mov_b32 v254, v175 :: v_dual_mov_b32 v255, v174
	s_wait_dscnt 0x12
	s_set_vgpr_msb 64                       ;  msbs: dst=1 src0=0 src1=0 src2=0
	v_dual_mov_b32 v0 /*v256*/, v179 :: v_dual_mov_b32 v1 /*v257*/, v178
	s_wait_dscnt 0xf
	v_dual_mov_b32 v2 /*v258*/, v191 :: v_dual_mov_b32 v3 /*v259*/, v190
	s_wait_dscnt 0xe
	v_dual_mov_b32 v4 /*v260*/, v195 :: v_dual_mov_b32 v5 /*v261*/, v194
	s_mov_b32 s0, exec_lo
	s_wait_loadcnt 0x14
	s_set_vgpr_msb 0                        ;  msbs: dst=0 src0=0 src1=0 src2=0
	v_dual_mul_f32 v7, v180, v93 :: v_dual_mul_f32 v9, v182, v95
	v_dual_mul_f32 v67, v181, v93 :: v_dual_mul_f32 v69, v183, v95
	s_wait_loadcnt 0x13
	v_dual_mul_f32 v11, v184, v97 :: v_dual_mul_f32 v13, v186, v99
	s_delay_alu instid0(VALU_DEP_3) | instskip(SKIP_3) | instid1(VALU_DEP_3)
	v_dual_fmac_f32 v7, v181, v92 :: v_dual_fmac_f32 v9, v183, v94
	s_wait_loadcnt_dscnt 0x110c
	v_dual_fma_f32 v67, v180, v92, -v67 :: v_dual_mul_f32 v79, v201, v105
	v_dual_mul_f32 v71, v185, v97 :: v_dual_mul_f32 v73, v187, v99
	v_dual_fma_f32 v69, v182, v94, -v69 :: v_dual_add_f32 v7, 0, v7
	s_delay_alu instid0(VALU_DEP_3) | instskip(SKIP_1) | instid1(VALU_DEP_4)
	v_dual_add_f32 v67, 0, v67 :: v_dual_fmac_f32 v11, v185, v96
	v_dual_mul_f32 v15, v196, v101 :: v_dual_mul_f32 v17, v198, v103
	v_dual_mul_f32 v81, v203, v107 :: v_dual_fma_f32 v71, v184, v96, -v71
	s_delay_alu instid0(VALU_DEP_4) | instskip(NEXT) | instid1(VALU_DEP_3)
	v_add_f32_e32 v7, v7, v9
	v_dual_add_f32 v9, v67, v69 :: v_dual_fmac_f32 v15, v197, v100
	v_dual_mul_f32 v75, v197, v101 :: v_dual_mul_f32 v77, v199, v103
	s_wait_loadcnt_dscnt 0x100b
	v_dual_mul_f32 v67, v205, v109 :: v_dual_fmac_f32 v13, v187, v98
	v_dual_fma_f32 v69, v186, v98, -v73 :: v_dual_add_f32 v7, v7, v11
	s_delay_alu instid0(VALU_DEP_3) | instskip(SKIP_1) | instid1(VALU_DEP_3)
	v_dual_add_f32 v9, v9, v71 :: v_dual_fma_f32 v71, v196, v100, -v75
	v_dual_mul_f32 v19, v200, v105 :: v_dual_mul_f32 v21, v202, v107
	v_add_f32_e32 v7, v7, v13
	s_delay_alu instid0(VALU_DEP_3) | instskip(SKIP_2) | instid1(VALU_DEP_3)
	v_dual_mul_f32 v11, v207, v111 :: v_dual_add_f32 v9, v9, v69
	s_wait_loadcnt_dscnt 0xf0a
	v_dual_mul_f32 v13, v209, v113 :: v_dual_fmac_f32 v17, v199, v102
	v_dual_fma_f32 v69, v198, v102, -v77 :: v_dual_add_f32 v7, v7, v15
	s_delay_alu instid0(VALU_DEP_3) | instskip(SKIP_1) | instid1(VALU_DEP_3)
	v_dual_add_f32 v9, v9, v71 :: v_dual_fma_f32 v71, v200, v104, -v79
	v_dual_mul_f32 v15, v211, v115 :: v_dual_fmac_f32 v19, v201, v104
	v_add_f32_e32 v7, v7, v17
	s_delay_alu instid0(VALU_DEP_3)
	v_dual_add_f32 v9, v9, v69 :: v_dual_fmac_f32 v21, v203, v106
	v_dual_mul_f32 v23, v204, v109 :: v_dual_mul_f32 v25, v206, v111
	s_wait_loadcnt_dscnt 0xe09
	v_dual_fma_f32 v69, v202, v106, -v81 :: v_dual_mul_f32 v17, v213, v117
	v_add_f32_e32 v7, v7, v19
	v_dual_add_f32 v9, v9, v71 :: v_dual_fma_f32 v67, v204, v108, -v67
	v_dual_mul_f32 v19, v215, v119 :: v_dual_fmac_f32 v23, v205, v108
	s_delay_alu instid0(VALU_DEP_3) | instskip(NEXT) | instid1(VALU_DEP_3)
	v_dual_add_f32 v7, v7, v21 :: v_dual_fma_f32 v11, v206, v110, -v11
	v_dual_add_f32 v9, v9, v69 :: v_dual_fmac_f32 v25, v207, v110
	v_dual_mul_f32 v27, v208, v113 :: v_dual_mul_f32 v29, v210, v115
	s_wait_loadcnt_dscnt 0xd08
	s_delay_alu instid0(VALU_DEP_3) | instskip(NEXT) | instid1(VALU_DEP_3)
	v_dual_mul_f32 v21, v217, v121 :: v_dual_add_f32 v7, v7, v23
	v_dual_add_f32 v9, v9, v67 :: v_dual_fma_f32 v13, v208, v112, -v13
	s_delay_alu instid0(VALU_DEP_3) | instskip(NEXT) | instid1(VALU_DEP_2)
	v_dual_mul_f32 v23, v219, v123 :: v_dual_fmac_f32 v27, v209, v112
	v_dual_add_f32 v7, v7, v25 :: v_dual_add_f32 v9, v9, v11
	v_dual_mul_f32 v31, v212, v117 :: v_dual_mul_f32 v33, v214, v119
	s_wait_loadcnt_dscnt 0xc07
	v_dual_mul_f32 v11, v221, v125 :: v_dual_fmac_f32 v29, v211, v114
	s_delay_alu instid0(VALU_DEP_3) | instskip(SKIP_2) | instid1(VALU_DEP_2)
	v_dual_fma_f32 v15, v210, v114, -v15 :: v_dual_add_f32 v7, v7, v27
	v_dual_add_f32 v9, v9, v13 :: v_dual_mul_f32 v13, v223, v127
	v_dual_fmac_f32 v31, v213, v116 :: v_dual_fma_f32 v17, v212, v116, -v17
	v_dual_add_f32 v7, v7, v29 :: v_dual_add_f32 v9, v9, v15
	v_dual_mul_f32 v35, v216, v121 :: v_dual_mul_f32 v37, v218, v123
	s_wait_loadcnt_dscnt 0xb06
	v_dual_mul_f32 v15, v225, v129 :: v_dual_fmac_f32 v33, v215, v118
	s_delay_alu instid0(VALU_DEP_3) | instskip(SKIP_2) | instid1(VALU_DEP_2)
	v_dual_fma_f32 v19, v214, v118, -v19 :: v_dual_add_f32 v7, v7, v31
	v_dual_add_f32 v9, v9, v17 :: v_dual_mul_f32 v17, v227, v131
	v_dual_fmac_f32 v35, v217, v120 :: v_dual_fma_f32 v21, v216, v120, -v21
	v_dual_add_f32 v7, v7, v33 :: v_dual_add_f32 v9, v9, v19
	v_dual_mul_f32 v39, v220, v125 :: v_dual_mul_f32 v41, v222, v127
	s_wait_loadcnt_dscnt 0xa05
	v_dual_mul_f32 v19, v229, v133 :: v_dual_fmac_f32 v37, v219, v122
	s_delay_alu instid0(VALU_DEP_3) | instskip(SKIP_2) | instid1(VALU_DEP_3)
	v_dual_fma_f32 v23, v218, v122, -v23 :: v_dual_add_f32 v7, v7, v35
	v_dual_add_f32 v9, v9, v21 :: v_dual_mul_f32 v21, v231, v135
	v_fmac_f32_e32 v39, v221, v124
	v_dual_fma_f32 v11, v220, v124, -v11 :: v_dual_add_f32 v7, v7, v37
	s_delay_alu instid0(VALU_DEP_3)
	v_dual_add_f32 v9, v9, v23 :: v_dual_mul_f32 v43, v224, v129
	s_wait_loadcnt_dscnt 0x904
	v_dual_mul_f32 v45, v226, v131 :: v_dual_mul_f32 v23, v233, v137
	v_fmac_f32_e32 v41, v223, v126
	v_dual_fma_f32 v13, v222, v126, -v13 :: v_dual_add_f32 v7, v7, v39
	v_dual_add_f32 v9, v9, v11 :: v_dual_fma_f32 v15, v224, v128, -v15
	v_dual_mul_f32 v11, v235, v139 :: v_dual_fmac_f32 v43, v225, v128
	s_delay_alu instid0(VALU_DEP_3) | instskip(NEXT) | instid1(VALU_DEP_3)
	v_dual_add_f32 v7, v7, v41 :: v_dual_fma_f32 v17, v226, v130, -v17
	v_dual_add_f32 v9, v9, v13 :: v_dual_fmac_f32 v45, v227, v130
	v_dual_mul_f32 v47, v228, v133 :: v_dual_mul_f32 v49, v230, v135
	s_wait_loadcnt_dscnt 0x803
	s_delay_alu instid0(VALU_DEP_3) | instskip(NEXT) | instid1(VALU_DEP_3)
	v_dual_mul_f32 v13, v237, v141 :: v_dual_add_f32 v7, v7, v43
	v_dual_add_f32 v9, v9, v15 :: v_dual_fma_f32 v19, v228, v132, -v19
	s_delay_alu instid0(VALU_DEP_3) | instskip(NEXT) | instid1(VALU_DEP_3)
	v_dual_mul_f32 v15, v239, v143 :: v_dual_fmac_f32 v47, v229, v132
	v_dual_add_f32 v7, v7, v45 :: v_dual_fma_f32 v21, v230, v134, -v21
	s_delay_alu instid0(VALU_DEP_3) | instskip(SKIP_2) | instid1(VALU_DEP_3)
	v_dual_add_f32 v9, v9, v17 :: v_dual_fmac_f32 v49, v231, v134
	v_dual_mul_f32 v51, v232, v137 :: v_dual_mul_f32 v53, v234, v139
	s_wait_loadcnt_dscnt 0x702
	v_dual_mul_f32 v17, v241, v145 :: v_dual_add_f32 v7, v7, v47
	s_delay_alu instid0(VALU_DEP_3) | instskip(NEXT) | instid1(VALU_DEP_3)
	v_dual_add_f32 v9, v9, v19 :: v_dual_fma_f32 v23, v232, v136, -v23
	v_dual_mul_f32 v19, v243, v147 :: v_dual_fmac_f32 v51, v233, v136
	s_delay_alu instid0(VALU_DEP_3) | instskip(NEXT) | instid1(VALU_DEP_3)
	v_dual_add_f32 v7, v7, v49 :: v_dual_fma_f32 v11, v234, v138, -v11
	v_dual_add_f32 v9, v9, v21 :: v_dual_fmac_f32 v53, v235, v138
	v_dual_mul_f32 v55, v236, v141 :: v_dual_mul_f32 v57, v238, v143
	s_wait_loadcnt_dscnt 0x601
	s_delay_alu instid0(VALU_DEP_3) | instskip(NEXT) | instid1(VALU_DEP_3)
	v_dual_mul_f32 v21, v245, v149 :: v_dual_add_f32 v7, v7, v51
	v_dual_add_f32 v9, v9, v23 :: v_dual_fma_f32 v13, v236, v140, -v13
	s_delay_alu instid0(VALU_DEP_3) | instskip(NEXT) | instid1(VALU_DEP_2)
	v_dual_mul_f32 v23, v247, v151 :: v_dual_fmac_f32 v55, v237, v140
	v_dual_add_f32 v7, v7, v53 :: v_dual_add_f32 v9, v9, v11
	v_dual_mul_f32 v59, v240, v145 :: v_dual_mul_f32 v61, v242, v147
	s_wait_loadcnt_dscnt 0x500
	v_dual_mul_f32 v11, v249, v153 :: v_dual_fmac_f32 v57, v239, v142
	s_delay_alu instid0(VALU_DEP_3) | instskip(SKIP_2) | instid1(VALU_DEP_2)
	v_dual_fma_f32 v15, v238, v142, -v15 :: v_dual_add_f32 v7, v7, v55
	v_dual_add_f32 v9, v9, v13 :: v_dual_mul_f32 v13, v251, v155
	v_dual_fmac_f32 v59, v241, v144 :: v_dual_fma_f32 v17, v240, v144, -v17
	v_dual_add_f32 v7, v7, v57 :: v_dual_add_f32 v9, v9, v15
	v_dual_mul_f32 v63, v244, v149 :: v_dual_mul_f32 v65, v246, v151
	v_dual_fmac_f32 v61, v243, v146 :: v_dual_fma_f32 v15, v242, v146, -v19
	s_delay_alu instid0(VALU_DEP_3) | instskip(SKIP_1) | instid1(VALU_DEP_3)
	v_dual_add_f32 v7, v7, v59 :: v_dual_add_f32 v9, v9, v17
	s_wait_loadcnt 0x4
	v_dual_mov_b32 v94, v159 :: v_dual_fmac_f32 v63, v245, v148
	s_delay_alu instid0(VALU_DEP_2) | instskip(NEXT) | instid1(VALU_DEP_3)
	v_dual_fma_f32 v17, v244, v148, -v21 :: v_dual_add_f32 v7, v7, v61
	v_dual_add_f32 v9, v9, v15 :: v_dual_fmac_f32 v65, v247, v150
	s_set_vgpr_msb 64                       ;  msbs: dst=1 src0=0 src1=0 src2=0
	v_dual_mul_f32 v7 /*v263*/, v248, v153 :: v_dual_mul_f32 v9 /*v265*/, v250, v155
	s_set_vgpr_msb 0                        ;  msbs: dst=0 src0=0 src1=0 src2=0
	v_dual_fma_f32 v15, v246, v150, -v23 :: v_dual_add_f32 v7, v7, v63
	s_wait_loadcnt 0x3
	v_dual_add_f32 v9, v9, v17 :: v_dual_mov_b32 v98, v163
	v_pk_mul_f32 v[92:93], v[172:173], v[156:157] op_sel:[1,1] op_sel_hi:[0,1]
	s_set_vgpr_msb 64                       ;  msbs: dst=1 src0=0 src1=0 src2=0
	v_dual_fmac_f32 v7 /*v263*/, v249, v152 :: v_dual_fmac_f32 v9 /*v265*/, v251, v154
	v_dual_fma_f32 v6 /*v262*/, v248, v152, -v11 :: v_dual_fma_f32 v8 /*v264*/, v250, v154, -v13
	s_set_vgpr_msb 0                        ;  msbs: dst=0 src0=0 src1=0 src2=0
	v_dual_add_f32 v101, v7, v65 :: v_dual_add_f32 v100, v9, v15
	v_pk_fma_f32 v[102:103], v[172:173], v[156:157], v[92:93] op_sel_hi:[1,0,1]
	v_pk_mul_f32 v[94:95], v[254:255], v[94:95] op_sel_hi:[1,0]
	v_pk_fma_f32 v[92:93], v[172:173], v[156:157], v[92:93] neg_lo:[0,0,1] neg_hi:[0,0,1]
	v_pk_mul_f32 v[96:97], v[176:177], v[160:161] op_sel:[1,1] op_sel_hi:[0,1]
	s_set_vgpr_msb 4                        ;  msbs: dst=0 src0=0 src1=1 src2=0
	v_pk_add_f32 v[100:101], v[100:101], v[6:7] /*v[262:263]*/
	v_mov_b32_e32 v93, v103
	s_set_vgpr_msb 0                        ;  msbs: dst=0 src0=0 src1=0 src2=0
	v_pk_fma_f32 v[102:103], v[174:175], v[158:159], v[94:95] op_sel_hi:[1,0,1]
	v_pk_fma_f32 v[94:95], v[174:175], v[158:159], v[94:95] neg_lo:[0,0,1] neg_hi:[0,0,1]
	v_pk_fma_f32 v[106:107], v[176:177], v[160:161], v[96:97] op_sel_hi:[1,0,1]
	s_set_vgpr_msb 4                        ;  msbs: dst=0 src0=0 src1=1 src2=0
	v_pk_add_f32 v[100:101], v[100:101], v[8:9] /*v[264:265]*/
	s_set_vgpr_msb 1                        ;  msbs: dst=0 src0=1 src1=0 src2=0
	v_pk_mul_f32 v[98:99], v[0:1] /*v[256:257]*/, v[98:99] op_sel_hi:[1,0]
	s_set_vgpr_msb 0                        ;  msbs: dst=0 src0=0 src1=0 src2=0
	v_mov_b32_e32 v95, v103
	s_wait_loadcnt 0x2
	v_pk_mul_f32 v[104:105], v[188:189], v[164:165] op_sel:[1,1] op_sel_hi:[0,1]
	v_pk_fma_f32 v[96:97], v[176:177], v[160:161], v[96:97] neg_lo:[0,0,1] neg_hi:[0,0,1]
	v_pk_add_f32 v[92:93], v[100:101], v[92:93]
	v_dual_mov_b32 v100, v167 :: v_dual_mov_b32 v97, v107
	v_pk_fma_f32 v[102:103], v[178:179], v[162:163], v[98:99] op_sel_hi:[1,0,1]
	v_pk_fma_f32 v[98:99], v[178:179], v[162:163], v[98:99] neg_lo:[0,0,1] neg_hi:[0,0,1]
	s_delay_alu instid0(VALU_DEP_4)
	v_pk_add_f32 v[92:93], v[92:93], v[94:95]
	v_pk_fma_f32 v[94:95], v[188:189], v[164:165], v[104:105] op_sel_hi:[1,0,1]
	s_set_vgpr_msb 1                        ;  msbs: dst=0 src0=1 src1=0 src2=0
	v_pk_mul_f32 v[100:101], v[2:3] /*v[258:259]*/, v[100:101] op_sel_hi:[1,0]
	s_set_vgpr_msb 0                        ;  msbs: dst=0 src0=0 src1=0 src2=0
	v_mov_b32_e32 v99, v103
	v_pk_fma_f32 v[102:103], v[188:189], v[164:165], v[104:105] neg_lo:[0,0,1] neg_hi:[0,0,1]
	v_pk_add_f32 v[92:93], v[92:93], v[96:97]
	v_mov_b32_e32 v103, v95
	v_pk_fma_f32 v[94:95], v[190:191], v[166:167], v[100:101] op_sel_hi:[1,0,1]
	s_wait_loadcnt 0x1
	v_pk_mul_f32 v[96:97], v[192:193], v[168:169] op_sel:[1,1] op_sel_hi:[0,1]
	v_mov_b32_e32 v94, v171
	v_pk_add_f32 v[92:93], v[92:93], v[98:99]
	v_pk_fma_f32 v[100:101], v[190:191], v[166:167], v[100:101] neg_lo:[0,0,1] neg_hi:[0,0,1]
	v_mov_b32_e32 v101, v95
	v_pk_fma_f32 v[98:99], v[192:193], v[168:169], v[96:97] op_sel_hi:[1,0,1]
	s_set_vgpr_msb 1                        ;  msbs: dst=0 src0=1 src1=0 src2=0
	v_pk_mul_f32 v[94:95], v[4:5] /*v[260:261]*/, v[94:95] op_sel_hi:[1,0]
	s_set_vgpr_msb 0                        ;  msbs: dst=0 src0=0 src1=0 src2=0
	v_pk_add_f32 v[92:93], v[92:93], v[102:103]
	v_pk_fma_f32 v[96:97], v[192:193], v[168:169], v[96:97] neg_lo:[0,0,1] neg_hi:[0,0,1]
	v_mov_b32_e32 v97, v99
	v_pk_fma_f32 v[98:99], v[194:195], v[170:171], v[94:95] op_sel_hi:[1,0,1]
	s_delay_alu instid0(VALU_DEP_4) | instskip(SKIP_1) | instid1(VALU_DEP_3)
	v_pk_add_f32 v[92:93], v[92:93], v[100:101]
	v_pk_fma_f32 v[94:95], v[194:195], v[170:171], v[94:95] neg_lo:[0,0,1] neg_hi:[0,0,1]
	v_mov_b32_e32 v95, v99
	s_delay_alu instid0(VALU_DEP_3) | instskip(NEXT) | instid1(VALU_DEP_1)
	v_pk_add_f32 v[92:93], v[92:93], v[96:97]
	v_pk_add_f32 v[92:93], v[92:93], v[94:95]
	s_wait_loadcnt 0x0
	s_delay_alu instid0(VALU_DEP_1)
	v_pk_add_f32 v[92:93], v[252:253], v[92:93] neg_lo:[0,1] neg_hi:[0,1]
	scratch_store_b64 off, v[92:93], off offset:32
	s_wait_xcnt 0x0
	v_cmpx_lt_u32_e32 3, v0
	s_cbranch_execz .LBB108_277
; %bb.276:
	scratch_load_b64 v[92:93], off, off offset:24
	v_mov_b64_e32 v[94:95], 0
	scratch_store_b64 off, v[94:95], off offset:24
	s_wait_loadcnt 0x0
	ds_store_b64 v1, v[92:93]
.LBB108_277:
	s_wait_xcnt 0x0
	s_or_b32 exec_lo, exec_lo, s0
	v_mov_b32_e32 v7, 0
	s_wait_storecnt_dscnt 0x0
	s_barrier_signal -1
	s_barrier_wait -1
	ds_load_b128 v[92:95], v7 offset:400
	ds_load_b128 v[96:99], v7 offset:416
	;; [unrolled: 1-line block ×4, first 2 shown]
	s_clause 0x10
	scratch_load_b128 v[108:111], off, off offset:32
	scratch_load_b128 v[112:115], off, off offset:48
	scratch_load_b128 v[208:211], off, off offset:256
	scratch_load_b128 v[216:219], off, off offset:272
	scratch_load_b128 v[116:119], off, off offset:64
	scratch_load_b128 v[120:123], off, off offset:80
	scratch_load_b128 v[224:227], off, off offset:288
	scratch_load_b128 v[128:131], off, off offset:96
	scratch_load_b128 v[136:139], off, off offset:112
	scratch_load_b128 v[144:147], off, off offset:128
	scratch_load_b128 v[152:155], off, off offset:144
	scratch_load_b128 v[160:163], off, off offset:160
	scratch_load_b128 v[168:171], off, off offset:176
	scratch_load_b128 v[176:179], off, off offset:192
	scratch_load_b128 v[184:187], off, off offset:208
	scratch_load_b128 v[192:195], off, off offset:224
	scratch_load_b128 v[200:203], off, off offset:240
	s_mov_b32 s0, exec_lo
	s_wait_loadcnt_dscnt 0x1003
	v_mul_f32_e32 v9, v92, v109
	ds_load_b128 v[204:207], v7 offset:624
	ds_load_b128 v[212:215], v7 offset:640
	;; [unrolled: 1-line block ×3, first 2 shown]
	v_dual_mul_f32 v11, v94, v111 :: v_dual_fmac_f32 v9, v93, v108
	ds_load_b128 v[124:127], v7 offset:464
	ds_load_b128 v[132:135], v7 offset:480
	;; [unrolled: 1-line block ×4, first 2 shown]
	v_dual_add_f32 v9, 0, v9 :: v_dual_fmac_f32 v11, v95, v110
	ds_load_b128 v[156:159], v7 offset:528
	ds_load_b128 v[164:167], v7 offset:544
	ds_load_b128 v[172:175], v7 offset:560
	ds_load_b128 v[180:183], v7 offset:576
	s_wait_loadcnt_dscnt 0xf0d
	v_dual_add_f32 v9, v9, v11 :: v_dual_mul_f32 v11, v96, v113
	ds_load_b128 v[188:191], v7 offset:592
	ds_load_b128 v[196:199], v7 offset:608
	s_clause 0x3
	scratch_load_b128 v[228:231], off, off offset:304
	scratch_load_b128 v[232:235], off, off offset:320
	;; [unrolled: 1-line block ×3, first 2 shown]
	scratch_load_b64 v[246:247], off, off offset:352
	s_wait_loadcnt_dscnt 0x110b
	v_dual_fmac_f32 v11, v97, v112 :: v_dual_mul_f32 v243, v214, v219
	s_wait_loadcnt_dscnt 0xe0a
	s_delay_alu instid0(VALU_DEP_1) | instskip(NEXT) | instid1(VALU_DEP_2)
	v_dual_mul_f32 v245, v220, v225 :: v_dual_add_f32 v9, v9, v11
	v_dual_mul_f32 v11, v98, v115 :: v_dual_fmac_f32 v243, v215, v218
	s_delay_alu instid0(VALU_DEP_1) | instskip(NEXT) | instid1(VALU_DEP_1)
	v_dual_fmac_f32 v245, v221, v224 :: v_dual_fmac_f32 v11, v99, v114
	v_dual_add_f32 v9, v9, v11 :: v_dual_mul_f32 v11, v100, v117
	s_delay_alu instid0(VALU_DEP_1) | instskip(NEXT) | instid1(VALU_DEP_1)
	v_fmac_f32_e32 v11, v101, v116
	v_add_f32_e32 v9, v9, v11
	v_mul_f32_e32 v11, v102, v119
	s_delay_alu instid0(VALU_DEP_1) | instskip(NEXT) | instid1(VALU_DEP_1)
	v_fmac_f32_e32 v11, v103, v118
	v_dual_add_f32 v9, v9, v11 :: v_dual_mul_f32 v11, v104, v121
	s_delay_alu instid0(VALU_DEP_1) | instskip(NEXT) | instid1(VALU_DEP_1)
	v_fmac_f32_e32 v11, v105, v120
	v_add_f32_e32 v9, v9, v11
	v_mul_f32_e32 v11, v106, v123
	s_delay_alu instid0(VALU_DEP_1) | instskip(SKIP_1) | instid1(VALU_DEP_1)
	v_fmac_f32_e32 v11, v107, v122
	s_wait_loadcnt_dscnt 0xd09
	v_dual_add_f32 v9, v9, v11 :: v_dual_mul_f32 v11, v124, v129
	s_delay_alu instid0(VALU_DEP_1) | instskip(NEXT) | instid1(VALU_DEP_1)
	v_fmac_f32_e32 v11, v125, v128
	v_add_f32_e32 v9, v9, v11
	v_mul_f32_e32 v11, v126, v131
	s_delay_alu instid0(VALU_DEP_1) | instskip(SKIP_1) | instid1(VALU_DEP_1)
	v_fmac_f32_e32 v11, v127, v130
	s_wait_loadcnt_dscnt 0xc08
	;; [unrolled: 8-line block ×10, first 2 shown]
	v_dual_add_f32 v9, v9, v11 :: v_dual_mul_f32 v11, v196, v201
	s_delay_alu instid0(VALU_DEP_1) | instskip(NEXT) | instid1(VALU_DEP_1)
	v_fmac_f32_e32 v11, v197, v200
	v_add_f32_e32 v9, v9, v11
	v_mul_f32_e32 v11, v198, v203
	s_delay_alu instid0(VALU_DEP_1) | instskip(NEXT) | instid1(VALU_DEP_1)
	v_fmac_f32_e32 v11, v199, v202
	v_dual_add_f32 v9, v9, v11 :: v_dual_mul_f32 v11, v204, v209
	s_delay_alu instid0(VALU_DEP_1) | instskip(NEXT) | instid1(VALU_DEP_1)
	v_fmac_f32_e32 v11, v205, v208
	v_add_f32_e32 v9, v9, v11
	v_mul_f32_e32 v11, v206, v211
	s_delay_alu instid0(VALU_DEP_1) | instskip(NEXT) | instid1(VALU_DEP_1)
	v_fmac_f32_e32 v11, v207, v210
	v_dual_add_f32 v9, v9, v11 :: v_dual_mul_f32 v11, v212, v217
	s_delay_alu instid0(VALU_DEP_1) | instskip(NEXT) | instid1(VALU_DEP_1)
	v_fmac_f32_e32 v11, v213, v216
	v_add_f32_e32 v241, v9, v11
	v_dual_mul_f32 v9, v93, v109 :: v_dual_mul_f32 v11, v95, v111
	s_delay_alu instid0(VALU_DEP_1) | instskip(NEXT) | instid1(VALU_DEP_2)
	v_dual_mov_b32 v109, v222 :: v_dual_fma_f32 v9, v92, v108, -v9
	v_dual_fma_f32 v11, v94, v110, -v11 :: v_dual_mov_b32 v108, v223
	s_delay_alu instid0(VALU_DEP_2) | instskip(NEXT) | instid1(VALU_DEP_1)
	v_dual_mov_b32 v110, v227 :: v_dual_add_f32 v9, 0, v9
	v_pk_mul_f32 v[108:109], v[108:109], v[110:111] op_sel_hi:[1,0]
	s_delay_alu instid0(VALU_DEP_2) | instskip(SKIP_1) | instid1(VALU_DEP_3)
	v_add_f32_e32 v9, v9, v11
	v_mul_f32_e32 v11, v97, v113
	v_pk_fma_f32 v[110:111], v[222:223], v[226:227], v[108:109] neg_lo:[0,0,1] neg_hi:[0,0,1]
	v_pk_fma_f32 v[108:109], v[222:223], v[226:227], v[108:109] op_sel_hi:[1,0,1]
	s_delay_alu instid0(VALU_DEP_1) | instskip(NEXT) | instid1(VALU_DEP_1)
	v_dual_fma_f32 v11, v96, v112, -v11 :: v_dual_mov_b32 v111, v109
	v_add_f32_e32 v9, v9, v11
	v_mul_f32_e32 v11, v99, v115
	s_delay_alu instid0(VALU_DEP_1) | instskip(NEXT) | instid1(VALU_DEP_1)
	v_fma_f32 v11, v98, v114, -v11
	v_add_f32_e32 v9, v9, v11
	v_mul_f32_e32 v11, v101, v117
	s_delay_alu instid0(VALU_DEP_1) | instskip(NEXT) | instid1(VALU_DEP_1)
	v_fma_f32 v11, v100, v116, -v11
	;; [unrolled: 4-line block ×3, first 2 shown]
	v_add_f32_e32 v9, v9, v11
	v_mul_f32_e32 v11, v105, v121
	s_delay_alu instid0(VALU_DEP_1)
	v_fma_f32 v11, v104, v120, -v11
	ds_load_b128 v[92:95], v7 offset:672
	ds_load_b128 v[96:99], v7 offset:688
	ds_load_b128 v[100:103], v7 offset:704
	ds_load_b64 v[104:105], v7 offset:720
	v_add_f32_e32 v9, v9, v11
	v_mul_f32_e32 v11, v107, v123
	s_delay_alu instid0(VALU_DEP_1) | instskip(NEXT) | instid1(VALU_DEP_1)
	v_fma_f32 v11, v106, v122, -v11
	v_add_f32_e32 v9, v9, v11
	v_mul_f32_e32 v11, v125, v129
	s_wait_loadcnt_dscnt 0x303
	v_pk_mul_f32 v[108:109], v[92:93], v[228:229] op_sel:[1,1] op_sel_hi:[0,1]
	s_delay_alu instid0(VALU_DEP_2) | instskip(NEXT) | instid1(VALU_DEP_1)
	v_fma_f32 v11, v124, v128, -v11
	v_add_f32_e32 v9, v9, v11
	v_mul_f32_e32 v11, v127, v131
	s_delay_alu instid0(VALU_DEP_1) | instskip(NEXT) | instid1(VALU_DEP_1)
	v_fma_f32 v11, v126, v130, -v11
	v_add_f32_e32 v9, v9, v11
	v_mul_f32_e32 v11, v133, v137
	s_delay_alu instid0(VALU_DEP_1) | instskip(NEXT) | instid1(VALU_DEP_1)
	;; [unrolled: 4-line block ×23, first 2 shown]
	v_dual_fma_f32 v242, v214, v218, -v9 :: v_dual_mul_f32 v9, v221, v225
	v_pk_add_f32 v[106:107], v[240:241], v[242:243]
	s_delay_alu instid0(VALU_DEP_2) | instskip(NEXT) | instid1(VALU_DEP_1)
	v_fma_f32 v244, v220, v224, -v9
	v_pk_add_f32 v[106:107], v[106:107], v[244:245]
	s_delay_alu instid0(VALU_DEP_1) | instskip(SKIP_2) | instid1(VALU_DEP_1)
	v_pk_add_f32 v[106:107], v[106:107], v[110:111]
	v_pk_fma_f32 v[110:111], v[92:93], v[228:229], v[108:109] neg_lo:[0,0,1] neg_hi:[0,0,1]
	v_pk_fma_f32 v[92:93], v[92:93], v[228:229], v[108:109] op_sel_hi:[1,0,1]
	v_dual_mov_b32 v108, v231 :: v_dual_mov_b32 v111, v93
	s_delay_alu instid0(VALU_DEP_1) | instskip(SKIP_1) | instid1(VALU_DEP_1)
	v_pk_add_f32 v[92:93], v[106:107], v[110:111]
	v_dual_mov_b32 v106, v95 :: v_dual_mov_b32 v107, v94
	v_pk_mul_f32 v[106:107], v[106:107], v[108:109] op_sel_hi:[1,0]
	s_delay_alu instid0(VALU_DEP_1) | instskip(SKIP_1) | instid1(VALU_DEP_1)
	v_pk_fma_f32 v[108:109], v[94:95], v[230:231], v[106:107] neg_lo:[0,0,1] neg_hi:[0,0,1]
	v_pk_fma_f32 v[94:95], v[94:95], v[230:231], v[106:107] op_sel_hi:[1,0,1]
	v_mov_b32_e32 v109, v95
	s_wait_loadcnt_dscnt 0x202
	v_pk_mul_f32 v[94:95], v[96:97], v[232:233] op_sel:[1,1] op_sel_hi:[0,1]
	s_delay_alu instid0(VALU_DEP_2) | instskip(NEXT) | instid1(VALU_DEP_2)
	v_pk_add_f32 v[92:93], v[92:93], v[108:109]
	v_pk_fma_f32 v[106:107], v[96:97], v[232:233], v[94:95] neg_lo:[0,0,1] neg_hi:[0,0,1]
	v_pk_fma_f32 v[94:95], v[96:97], v[232:233], v[94:95] op_sel_hi:[1,0,1]
	v_dual_mov_b32 v94, v99 :: v_dual_mov_b32 v96, v235
	s_delay_alu instid0(VALU_DEP_2) | instskip(NEXT) | instid1(VALU_DEP_1)
	v_dual_mov_b32 v107, v95 :: v_dual_mov_b32 v95, v98
	v_pk_add_f32 v[92:93], v[92:93], v[106:107]
	s_delay_alu instid0(VALU_DEP_2) | instskip(NEXT) | instid1(VALU_DEP_1)
	v_pk_mul_f32 v[94:95], v[94:95], v[96:97] op_sel_hi:[1,0]
	v_pk_fma_f32 v[96:97], v[98:99], v[234:235], v[94:95] neg_lo:[0,0,1] neg_hi:[0,0,1]
	v_pk_fma_f32 v[94:95], v[98:99], v[234:235], v[94:95] op_sel_hi:[1,0,1]
	s_delay_alu instid0(VALU_DEP_1) | instskip(SKIP_2) | instid1(VALU_DEP_2)
	v_mov_b32_e32 v97, v95
	s_wait_loadcnt_dscnt 0x101
	v_pk_mul_f32 v[94:95], v[100:101], v[236:237] op_sel:[1,1] op_sel_hi:[0,1]
	v_pk_add_f32 v[92:93], v[92:93], v[96:97]
	s_delay_alu instid0(VALU_DEP_2) | instskip(SKIP_1) | instid1(VALU_DEP_1)
	v_pk_fma_f32 v[96:97], v[100:101], v[236:237], v[94:95] neg_lo:[0,0,1] neg_hi:[0,0,1]
	v_pk_fma_f32 v[94:95], v[100:101], v[236:237], v[94:95] op_sel_hi:[1,0,1]
	v_dual_mov_b32 v94, v103 :: v_dual_mov_b32 v97, v95
	v_mov_b32_e32 v95, v102
	s_delay_alu instid0(VALU_DEP_2) | instskip(SKIP_1) | instid1(VALU_DEP_1)
	v_pk_add_f32 v[92:93], v[92:93], v[96:97]
	v_mov_b32_e32 v96, v239
	v_pk_mul_f32 v[94:95], v[94:95], v[96:97] op_sel_hi:[1,0]
	s_delay_alu instid0(VALU_DEP_1) | instskip(SKIP_1) | instid1(VALU_DEP_1)
	v_pk_fma_f32 v[96:97], v[102:103], v[238:239], v[94:95] neg_lo:[0,0,1] neg_hi:[0,0,1]
	v_pk_fma_f32 v[94:95], v[102:103], v[238:239], v[94:95] op_sel_hi:[1,0,1]
	v_mov_b32_e32 v97, v95
	s_wait_loadcnt_dscnt 0x0
	v_pk_mul_f32 v[94:95], v[104:105], v[246:247] op_sel:[1,1] op_sel_hi:[0,1]
	s_delay_alu instid0(VALU_DEP_2) | instskip(NEXT) | instid1(VALU_DEP_2)
	v_pk_add_f32 v[92:93], v[92:93], v[96:97]
	v_pk_fma_f32 v[96:97], v[104:105], v[246:247], v[94:95] neg_lo:[0,0,1] neg_hi:[0,0,1]
	v_pk_fma_f32 v[94:95], v[104:105], v[246:247], v[94:95] op_sel_hi:[1,0,1]
	s_delay_alu instid0(VALU_DEP_1) | instskip(SKIP_3) | instid1(VALU_DEP_1)
	v_mov_b32_e32 v97, v95
	scratch_load_b64 v[94:95], off, off offset:24
	v_pk_add_f32 v[92:93], v[92:93], v[96:97]
	s_wait_loadcnt 0x0
	v_pk_add_f32 v[92:93], v[94:95], v[92:93] neg_lo:[0,1] neg_hi:[0,1]
	scratch_store_b64 off, v[92:93], off offset:24
	s_wait_xcnt 0x0
	v_cmpx_lt_u32_e32 2, v0
	s_cbranch_execz .LBB108_279
; %bb.278:
	scratch_load_b64 v[92:93], off, off offset:16
	v_mov_b64_e32 v[94:95], 0
	scratch_store_b64 off, v[94:95], off offset:16
	s_wait_loadcnt 0x0
	ds_store_b64 v1, v[92:93]
.LBB108_279:
	s_wait_xcnt 0x0
	s_or_b32 exec_lo, exec_lo, s0
	s_wait_storecnt_dscnt 0x0
	s_barrier_signal -1
	s_barrier_wait -1
	s_clause 0x10
	scratch_load_b128 v[96:99], off, off offset:24
	scratch_load_b128 v[104:107], off, off offset:40
	;; [unrolled: 1-line block ×17, first 2 shown]
	ds_load_2addr_b64 v[92:95], v7 offset0:49 offset1:50
	ds_load_2addr_b64 v[100:103], v7 offset0:51 offset1:52
	ds_load_2addr_b64 v[220:223], v7 offset0:81 offset1:82
	ds_load_2addr_b64 v[108:111], v7 offset0:53 offset1:54
	ds_load_2addr_b64 v[116:119], v7 offset0:55 offset1:56
	ds_load_2addr_b64 v[124:127], v7 offset0:57 offset1:58
	ds_load_2addr_b64 v[132:135], v7 offset0:59 offset1:60
	ds_load_2addr_b64 v[140:143], v7 offset0:61 offset1:62
	ds_load_2addr_b64 v[148:151], v7 offset0:63 offset1:64
	ds_load_2addr_b64 v[156:159], v7 offset0:65 offset1:66
	ds_load_2addr_b64 v[164:167], v7 offset0:67 offset1:68
	ds_load_2addr_b64 v[172:175], v7 offset0:69 offset1:70
	ds_load_2addr_b64 v[180:183], v7 offset0:71 offset1:72
	ds_load_2addr_b64 v[188:191], v7 offset0:73 offset1:74
	ds_load_2addr_b64 v[196:199], v7 offset0:75 offset1:76
	ds_load_2addr_b64 v[204:207], v7 offset0:77 offset1:78
	ds_load_2addr_b64 v[212:215], v7 offset0:79 offset1:80
	s_clause 0x3
	scratch_load_b128 v[228:231], off, off offset:296
	scratch_load_b128 v[232:235], off, off offset:312
	;; [unrolled: 1-line block ×4, first 2 shown]
	s_mov_b32 s0, exec_lo
	s_wait_loadcnt_dscnt 0x1410
	v_dual_mul_f32 v9, v92, v97 :: v_dual_mul_f32 v11, v94, v99
	s_wait_loadcnt_dscnt 0x120e
	v_dual_mul_f32 v247, v220, v225 :: v_dual_mul_f32 v249, v222, v227
	s_delay_alu instid0(VALU_DEP_2) | instskip(NEXT) | instid1(VALU_DEP_2)
	v_dual_fmac_f32 v9, v93, v96 :: v_dual_fmac_f32 v11, v95, v98
	v_dual_fmac_f32 v247, v221, v224 :: v_dual_fmac_f32 v249, v223, v226
	s_delay_alu instid0(VALU_DEP_2) | instskip(NEXT) | instid1(VALU_DEP_1)
	v_add_f32_e32 v9, 0, v9
	v_dual_add_f32 v9, v9, v11 :: v_dual_mul_f32 v11, v100, v105
	s_delay_alu instid0(VALU_DEP_1) | instskip(NEXT) | instid1(VALU_DEP_1)
	v_fmac_f32_e32 v11, v101, v104
	v_add_f32_e32 v9, v9, v11
	v_mul_f32_e32 v11, v102, v107
	s_delay_alu instid0(VALU_DEP_1) | instskip(SKIP_1) | instid1(VALU_DEP_1)
	v_fmac_f32_e32 v11, v103, v106
	s_wait_loadcnt_dscnt 0x110d
	v_dual_add_f32 v9, v9, v11 :: v_dual_mul_f32 v11, v108, v113
	s_delay_alu instid0(VALU_DEP_1) | instskip(NEXT) | instid1(VALU_DEP_1)
	v_fmac_f32_e32 v11, v109, v112
	v_add_f32_e32 v9, v9, v11
	v_mul_f32_e32 v11, v110, v115
	s_delay_alu instid0(VALU_DEP_1) | instskip(SKIP_1) | instid1(VALU_DEP_1)
	v_fmac_f32_e32 v11, v111, v114
	s_wait_loadcnt_dscnt 0x100c
	;; [unrolled: 8-line block ×14, first 2 shown]
	v_dual_add_f32 v9, v9, v11 :: v_dual_mul_f32 v11, v212, v217
	s_delay_alu instid0(VALU_DEP_1) | instskip(NEXT) | instid1(VALU_DEP_1)
	v_fmac_f32_e32 v11, v213, v216
	v_add_f32_e32 v9, v9, v11
	v_mul_f32_e32 v11, v214, v219
	s_delay_alu instid0(VALU_DEP_1) | instskip(NEXT) | instid1(VALU_DEP_1)
	v_fmac_f32_e32 v11, v215, v218
	v_add_f32_e32 v245, v9, v11
	v_dual_mul_f32 v9, v93, v97 :: v_dual_mul_f32 v11, v95, v99
	s_delay_alu instid0(VALU_DEP_1) | instskip(NEXT) | instid1(VALU_DEP_1)
	v_dual_fma_f32 v9, v92, v96, -v9 :: v_dual_fma_f32 v11, v94, v98, -v11
	v_add_f32_e32 v9, 0, v9
	s_delay_alu instid0(VALU_DEP_1) | instskip(SKIP_1) | instid1(VALU_DEP_1)
	v_add_f32_e32 v9, v9, v11
	v_mul_f32_e32 v11, v101, v105
	v_fma_f32 v11, v100, v104, -v11
	s_delay_alu instid0(VALU_DEP_1) | instskip(SKIP_1) | instid1(VALU_DEP_1)
	v_add_f32_e32 v9, v9, v11
	v_mul_f32_e32 v11, v103, v107
	v_fma_f32 v11, v102, v106, -v11
	ds_load_2addr_b64 v[92:95], v7 offset0:83 offset1:84
	ds_load_2addr_b64 v[96:99], v7 offset0:85 offset1:86
	ds_load_2addr_b64 v[100:103], v7 offset0:87 offset1:88
	ds_load_2addr_b64 v[104:107], v7 offset0:89 offset1:90
	v_add_f32_e32 v9, v9, v11
	v_mul_f32_e32 v11, v109, v113
	s_delay_alu instid0(VALU_DEP_1) | instskip(NEXT) | instid1(VALU_DEP_1)
	v_fma_f32 v11, v108, v112, -v11
	v_add_f32_e32 v9, v9, v11
	v_mul_f32_e32 v11, v111, v115
	s_delay_alu instid0(VALU_DEP_1) | instskip(SKIP_2) | instid1(VALU_DEP_2)
	v_fma_f32 v11, v110, v114, -v11
	s_wait_loadcnt_dscnt 0x303
	v_pk_mul_f32 v[110:111], v[92:93], v[228:229] op_sel:[1,1] op_sel_hi:[0,1]
	v_add_f32_e32 v9, v9, v11
	v_mul_f32_e32 v11, v117, v121
	s_delay_alu instid0(VALU_DEP_3) | instskip(SKIP_1) | instid1(VALU_DEP_3)
	v_pk_fma_f32 v[112:113], v[92:93], v[228:229], v[110:111] neg_lo:[0,0,1] neg_hi:[0,0,1]
	v_pk_fma_f32 v[92:93], v[92:93], v[228:229], v[110:111] op_sel_hi:[1,0,1]
	v_dual_mov_b32 v110, v231 :: v_dual_fma_f32 v11, v116, v120, -v11
	s_delay_alu instid0(VALU_DEP_2) | instskip(NEXT) | instid1(VALU_DEP_2)
	v_mov_b32_e32 v113, v93
	v_add_f32_e32 v9, v9, v11
	v_mul_f32_e32 v11, v119, v123
	s_delay_alu instid0(VALU_DEP_1) | instskip(NEXT) | instid1(VALU_DEP_1)
	v_fma_f32 v11, v118, v122, -v11
	v_add_f32_e32 v9, v9, v11
	v_mul_f32_e32 v11, v125, v129
	s_delay_alu instid0(VALU_DEP_1) | instskip(NEXT) | instid1(VALU_DEP_1)
	v_fma_f32 v11, v124, v128, -v11
	;; [unrolled: 4-line block ×25, first 2 shown]
	v_add_f32_e32 v244, v9, v11
	v_mul_f32_e32 v9, v221, v225
	s_delay_alu instid0(VALU_DEP_1) | instskip(NEXT) | instid1(VALU_DEP_1)
	v_dual_fma_f32 v246, v220, v224, -v9 :: v_dual_mul_f32 v9, v223, v227
	v_pk_add_f32 v[108:109], v[244:245], v[246:247]
	s_delay_alu instid0(VALU_DEP_2) | instskip(NEXT) | instid1(VALU_DEP_1)
	v_fma_f32 v248, v222, v226, -v9
	v_pk_add_f32 v[108:109], v[108:109], v[248:249]
	s_delay_alu instid0(VALU_DEP_1) | instskip(SKIP_1) | instid1(VALU_DEP_1)
	v_pk_add_f32 v[92:93], v[108:109], v[112:113]
	v_dual_mov_b32 v108, v95 :: v_dual_mov_b32 v109, v94
	v_pk_mul_f32 v[108:109], v[108:109], v[110:111] op_sel_hi:[1,0]
	s_delay_alu instid0(VALU_DEP_1) | instskip(SKIP_1) | instid1(VALU_DEP_1)
	v_pk_fma_f32 v[110:111], v[94:95], v[230:231], v[108:109] neg_lo:[0,0,1] neg_hi:[0,0,1]
	v_pk_fma_f32 v[94:95], v[94:95], v[230:231], v[108:109] op_sel_hi:[1,0,1]
	v_mov_b32_e32 v111, v95
	s_wait_loadcnt_dscnt 0x202
	v_pk_mul_f32 v[94:95], v[96:97], v[232:233] op_sel:[1,1] op_sel_hi:[0,1]
	s_delay_alu instid0(VALU_DEP_2) | instskip(NEXT) | instid1(VALU_DEP_2)
	v_pk_add_f32 v[92:93], v[92:93], v[110:111]
	v_pk_fma_f32 v[108:109], v[96:97], v[232:233], v[94:95] neg_lo:[0,0,1] neg_hi:[0,0,1]
	v_pk_fma_f32 v[94:95], v[96:97], v[232:233], v[94:95] op_sel_hi:[1,0,1]
	v_dual_mov_b32 v94, v99 :: v_dual_mov_b32 v96, v235
	s_delay_alu instid0(VALU_DEP_2) | instskip(NEXT) | instid1(VALU_DEP_1)
	v_dual_mov_b32 v109, v95 :: v_dual_mov_b32 v95, v98
	v_pk_add_f32 v[92:93], v[92:93], v[108:109]
	s_delay_alu instid0(VALU_DEP_2) | instskip(NEXT) | instid1(VALU_DEP_1)
	v_pk_mul_f32 v[94:95], v[94:95], v[96:97] op_sel_hi:[1,0]
	v_pk_fma_f32 v[96:97], v[98:99], v[234:235], v[94:95] neg_lo:[0,0,1] neg_hi:[0,0,1]
	v_pk_fma_f32 v[94:95], v[98:99], v[234:235], v[94:95] op_sel_hi:[1,0,1]
	s_delay_alu instid0(VALU_DEP_1) | instskip(SKIP_2) | instid1(VALU_DEP_2)
	v_mov_b32_e32 v97, v95
	s_wait_loadcnt_dscnt 0x101
	v_pk_mul_f32 v[94:95], v[100:101], v[236:237] op_sel:[1,1] op_sel_hi:[0,1]
	v_pk_add_f32 v[92:93], v[92:93], v[96:97]
	s_delay_alu instid0(VALU_DEP_2) | instskip(SKIP_1) | instid1(VALU_DEP_1)
	v_pk_fma_f32 v[96:97], v[100:101], v[236:237], v[94:95] neg_lo:[0,0,1] neg_hi:[0,0,1]
	v_pk_fma_f32 v[94:95], v[100:101], v[236:237], v[94:95] op_sel_hi:[1,0,1]
	v_dual_mov_b32 v94, v103 :: v_dual_mov_b32 v97, v95
	v_mov_b32_e32 v95, v102
	s_delay_alu instid0(VALU_DEP_2) | instskip(SKIP_1) | instid1(VALU_DEP_1)
	v_pk_add_f32 v[92:93], v[92:93], v[96:97]
	v_mov_b32_e32 v96, v239
	v_pk_mul_f32 v[94:95], v[94:95], v[96:97] op_sel_hi:[1,0]
	s_delay_alu instid0(VALU_DEP_1) | instskip(SKIP_1) | instid1(VALU_DEP_1)
	v_pk_fma_f32 v[96:97], v[102:103], v[238:239], v[94:95] neg_lo:[0,0,1] neg_hi:[0,0,1]
	v_pk_fma_f32 v[94:95], v[102:103], v[238:239], v[94:95] op_sel_hi:[1,0,1]
	v_mov_b32_e32 v97, v95
	s_wait_loadcnt_dscnt 0x0
	v_pk_mul_f32 v[94:95], v[104:105], v[240:241] op_sel:[1,1] op_sel_hi:[0,1]
	s_delay_alu instid0(VALU_DEP_2) | instskip(NEXT) | instid1(VALU_DEP_2)
	v_pk_add_f32 v[92:93], v[92:93], v[96:97]
	v_pk_fma_f32 v[96:97], v[104:105], v[240:241], v[94:95] neg_lo:[0,0,1] neg_hi:[0,0,1]
	v_pk_fma_f32 v[94:95], v[104:105], v[240:241], v[94:95] op_sel_hi:[1,0,1]
	s_delay_alu instid0(VALU_DEP_1) | instskip(SKIP_1) | instid1(VALU_DEP_2)
	v_dual_mov_b32 v94, v107 :: v_dual_mov_b32 v97, v95
	v_mov_b32_e32 v95, v106
	v_pk_add_f32 v[92:93], v[92:93], v[96:97]
	v_mov_b32_e32 v96, v243
	s_delay_alu instid0(VALU_DEP_1) | instskip(NEXT) | instid1(VALU_DEP_1)
	v_pk_mul_f32 v[94:95], v[94:95], v[96:97] op_sel_hi:[1,0]
	v_pk_fma_f32 v[96:97], v[106:107], v[242:243], v[94:95] neg_lo:[0,0,1] neg_hi:[0,0,1]
	v_pk_fma_f32 v[94:95], v[106:107], v[242:243], v[94:95] op_sel_hi:[1,0,1]
	s_delay_alu instid0(VALU_DEP_1) | instskip(SKIP_3) | instid1(VALU_DEP_1)
	v_mov_b32_e32 v97, v95
	scratch_load_b64 v[94:95], off, off offset:16
	v_pk_add_f32 v[92:93], v[92:93], v[96:97]
	s_wait_loadcnt 0x0
	v_pk_add_f32 v[92:93], v[94:95], v[92:93] neg_lo:[0,1] neg_hi:[0,1]
	scratch_store_b64 off, v[92:93], off offset:16
	s_wait_xcnt 0x0
	v_cmpx_lt_u32_e32 1, v0
	s_cbranch_execz .LBB108_281
; %bb.280:
	scratch_load_b64 v[92:93], off, off offset:8
	v_mov_b64_e32 v[94:95], 0
	scratch_store_b64 off, v[94:95], off offset:8
	s_wait_loadcnt 0x0
	ds_store_b64 v1, v[92:93]
.LBB108_281:
	s_wait_xcnt 0x0
	s_or_b32 exec_lo, exec_lo, s0
	s_wait_storecnt_dscnt 0x0
	s_barrier_signal -1
	s_barrier_wait -1
	s_clause 0x16
	scratch_load_b128 v[94:97], off, off offset:16
	scratch_load_b128 v[98:101], off, off offset:32
	;; [unrolled: 1-line block ×21, first 2 shown]
	scratch_load_b64 v[250:251], off, off offset:352
	scratch_load_b64 v[252:253], off, off offset:8
	v_dual_mov_b32 v92, 0 :: v_dual_ashrrev_i32 v51, 31, v50
	v_dual_ashrrev_i32 v7, 31, v6 :: v_dual_ashrrev_i32 v9, 31, v8
	v_dual_ashrrev_i32 v11, 31, v10 :: v_dual_ashrrev_i32 v13, 31, v12
	ds_load_b128 v[178:181], v92 offset:384
	ds_load_b128 v[182:185], v92 offset:400
	;; [unrolled: 1-line block ×18, first 2 shown]
	v_dual_ashrrev_i32 v15, 31, v14 :: v_dual_ashrrev_i32 v17, 31, v16
	v_dual_ashrrev_i32 v19, 31, v18 :: v_dual_ashrrev_i32 v21, 31, v20
	;; [unrolled: 1-line block ×13, first 2 shown]
	s_mov_b32 s0, exec_lo
	s_wait_loadcnt_dscnt 0x1611
	v_dual_mul_f32 v69, v178, v95 :: v_dual_mul_f32 v71, v180, v97
	v_dual_mul_f32 v73, v179, v95 :: v_dual_mul_f32 v75, v181, v97
	s_wait_loadcnt_dscnt 0x140f
	v_dual_mul_f32 v81, v186, v103 :: v_dual_mul_f32 v83, v188, v105
	s_delay_alu instid0(VALU_DEP_3) | instskip(NEXT) | instid1(VALU_DEP_3)
	v_dual_fmac_f32 v69, v179, v94 :: v_dual_fmac_f32 v71, v181, v96
	v_dual_fma_f32 v73, v178, v94, -v73 :: v_dual_fma_f32 v75, v180, v96, -v75
	s_wait_loadcnt_dscnt 0x130e
	v_dual_mul_f32 v85, v190, v107 :: v_dual_mul_f32 v89, v185, v101
	v_dual_mul_f32 v87, v183, v99 :: v_dual_mul_f32 v91, v192, v109
	;; [unrolled: 1-line block ×5, first 2 shown]
	s_delay_alu instid0(VALU_DEP_4) | instskip(SKIP_1) | instid1(VALU_DEP_4)
	v_dual_fma_f32 v87, v182, v98, -v87 :: v_dual_fma_f32 v89, v184, v100, -v89
	v_dual_fmac_f32 v85, v191, v106 :: v_dual_fmac_f32 v91, v193, v108
	v_dual_fma_f32 v179, v190, v106, -v103 :: v_dual_fma_f32 v180, v192, v108, -v105
	s_wait_loadcnt_dscnt 0x1202
	v_dual_mov_b32 v108, v241 :: v_dual_mul_f32 v181, v194, v111
	v_dual_mul_f32 v182, v196, v113 :: v_dual_mul_f32 v111, v195, v111
	v_dual_mul_f32 v113, v197, v113 :: v_dual_mov_b32 v109, v240
	v_dual_fmac_f32 v77, v183, v98 :: v_dual_fmac_f32 v79, v185, v100
	v_dual_fmac_f32 v81, v187, v102 :: v_dual_fmac_f32 v83, v189, v104
	v_dual_fma_f32 v93, v186, v102, -v93 :: v_dual_fma_f32 v178, v188, v104, -v94
	ds_load_b128 v[94:97], v92 offset:608
	ds_load_b128 v[98:101], v92 offset:624
	;; [unrolled: 1-line block ×3, first 2 shown]
	ds_load_b64 v[106:107], v92 offset:720
	v_dual_fmac_f32 v181, v195, v110 :: v_dual_fmac_f32 v182, v197, v112
	v_dual_fma_f32 v183, v194, v110, -v111 :: v_dual_fma_f32 v184, v196, v112, -v113
	s_wait_loadcnt_dscnt 0x1104
	v_dual_mov_b32 v112, v249 :: v_dual_mul_f32 v185, v198, v115
	v_dual_mul_f32 v186, v200, v117 :: v_dual_mul_f32 v117, v201, v117
	v_add_f32_e32 v69, 0, v69
	s_delay_alu instid0(VALU_DEP_3) | instskip(SKIP_1) | instid1(VALU_DEP_4)
	v_dual_add_f32 v73, 0, v73 :: v_dual_fmac_f32 v185, v199, v114
	v_dual_mov_b32 v113, v248 :: v_dual_mul_f32 v115, v199, v115
	v_dual_fmac_f32 v186, v201, v116 :: v_dual_fma_f32 v116, v200, v116, -v117
	s_delay_alu instid0(VALU_DEP_4)
	v_add_f32_e32 v69, v69, v71
	s_wait_loadcnt 0x10
	v_dual_add_f32 v71, v73, v75 :: v_dual_mul_f32 v75, v204, v121
	s_wait_dscnt 0x1
	v_dual_fma_f32 v187, v198, v114, -v115 :: v_dual_mov_b32 v115, v104
	s_wait_loadcnt 0xf
	v_dual_add_f32 v69, v69, v77 :: v_dual_mul_f32 v77, v206, v123
	v_dual_add_f32 v71, v71, v87 :: v_dual_mul_f32 v87, v208, v125
	s_wait_loadcnt 0xe
	s_delay_alu instid0(VALU_DEP_2) | instskip(NEXT) | instid1(VALU_DEP_2)
	v_dual_mul_f32 v188, v212, v129 :: v_dual_add_f32 v69, v69, v79
	v_dual_mul_f32 v79, v210, v127 :: v_dual_add_f32 v71, v71, v89
	s_wait_loadcnt 0xd
	v_dual_mul_f32 v89, v214, v131 :: v_dual_mov_b32 v114, v105
	s_delay_alu instid0(VALU_DEP_3) | instskip(NEXT) | instid1(VALU_DEP_3)
	v_dual_mul_f32 v73, v202, v119 :: v_dual_add_f32 v69, v69, v81
	v_add_f32_e32 v71, v71, v93
	s_wait_loadcnt 0x8
	v_dual_mul_f32 v192, v96, v153 :: v_dual_mul_f32 v117, v203, v119
	v_mul_f32_e32 v119, v205, v121
	v_dual_add_f32 v69, v69, v83 :: v_dual_mul_f32 v190, v224, v141
	v_dual_add_f32 v71, v71, v178 :: v_dual_mul_f32 v178, v226, v143
	v_dual_fmac_f32 v73, v203, v118 :: v_dual_fmac_f32 v75, v205, v120
	s_delay_alu instid0(VALU_DEP_2) | instskip(SKIP_3) | instid1(VALU_DEP_3)
	v_dual_add_f32 v69, v69, v85 :: v_dual_add_f32 v71, v71, v179
	v_dual_mul_f32 v179, v232, v149 :: v_dual_mul_f32 v121, v207, v123
	s_wait_loadcnt 0x5
	v_dual_fma_f32 v120, v204, v120, -v119 :: v_dual_mul_f32 v119, v238, v163
	v_add_f32_e32 v69, v69, v91
	v_dual_mul_f32 v91, v94, v151 :: v_dual_add_f32 v71, v71, v180
	v_dual_mul_f32 v180, v98, v155 :: v_dual_mul_f32 v123, v209, v125
	s_delay_alu instid0(VALU_DEP_3) | instskip(NEXT) | instid1(VALU_DEP_3)
	v_dual_mul_f32 v125, v211, v127 :: v_dual_add_f32 v69, v69, v181
	v_add_f32_e32 v71, v71, v183
	v_fmac_f32_e32 v79, v211, v126
	v_dual_mul_f32 v127, v215, v131 :: v_dual_mul_f32 v81, v216, v133
	s_delay_alu instid0(VALU_DEP_4) | instskip(NEXT) | instid1(VALU_DEP_4)
	v_dual_mul_f32 v189, v218, v135 :: v_dual_add_f32 v69, v69, v182
	v_dual_fma_f32 v118, v202, v118, -v117 :: v_dual_add_f32 v71, v71, v184
	v_dual_mul_f32 v117, v236, v161 :: v_dual_fmac_f32 v89, v215, v130
	s_delay_alu instid0(VALU_DEP_3) | instskip(NEXT) | instid1(VALU_DEP_3)
	v_add_f32_e32 v69, v69, v185
	v_dual_fmac_f32 v81, v217, v132 :: v_dual_add_f32 v71, v71, v187
	v_dual_mul_f32 v93, v220, v137 :: v_dual_mul_f32 v83, v222, v139
	s_delay_alu instid0(VALU_DEP_3) | instskip(NEXT) | instid1(VALU_DEP_3)
	v_dual_add_f32 v69, v69, v186 :: v_dual_mul_f32 v85, v228, v145
	v_dual_mul_f32 v191, v230, v147 :: v_dual_add_f32 v71, v71, v116
	v_mul_f32_e32 v116, v213, v129
	v_mul_f32_e32 v129, v217, v133
	s_delay_alu instid0(VALU_DEP_4) | instskip(NEXT) | instid1(VALU_DEP_4)
	v_dual_add_f32 v69, v69, v73 :: v_dual_mul_f32 v73, v219, v135
	v_add_f32_e32 v71, v71, v118
	v_fmac_f32_e32 v77, v207, v122
	s_delay_alu instid0(VALU_DEP_3) | instskip(NEXT) | instid1(VALU_DEP_3)
	v_dual_fma_f32 v118, v206, v122, -v121 :: v_dual_add_f32 v69, v69, v75
	v_dual_mul_f32 v75, v221, v137 :: v_dual_add_f32 v71, v71, v120
	v_fmac_f32_e32 v87, v209, v124
	s_delay_alu instid0(VALU_DEP_3) | instskip(SKIP_1) | instid1(VALU_DEP_4)
	v_dual_fma_f32 v120, v208, v124, -v123 :: v_dual_add_f32 v69, v69, v77
	v_mul_f32_e32 v77, v223, v139
	v_add_f32_e32 v71, v71, v118
	v_dual_fma_f32 v118, v210, v126, -v125 :: v_dual_fma_f32 v116, v212, v128, -v116
	s_delay_alu instid0(VALU_DEP_4) | instskip(NEXT) | instid1(VALU_DEP_3)
	v_add_f32_e32 v69, v69, v87
	v_dual_mul_f32 v87, v225, v141 :: v_dual_add_f32 v71, v71, v120
	v_fmac_f32_e32 v188, v213, v128
	s_delay_alu instid0(VALU_DEP_3) | instskip(SKIP_1) | instid1(VALU_DEP_4)
	v_dual_fma_f32 v75, v220, v136, -v75 :: v_dual_add_f32 v69, v69, v79
	v_mul_f32_e32 v79, v227, v143
	v_add_f32_e32 v71, v71, v118
	v_fma_f32 v118, v214, v130, -v127
	v_dual_fmac_f32 v83, v223, v138 :: v_dual_fma_f32 v77, v222, v138, -v77
	v_fma_f32 v87, v224, v140, -v87
	s_delay_alu instid0(VALU_DEP_4) | instskip(SKIP_2) | instid1(VALU_DEP_3)
	v_dual_add_f32 v71, v71, v116 :: v_dual_mul_f32 v116, v229, v145
	v_dual_add_f32 v69, v69, v188 :: v_dual_fmac_f32 v178, v227, v142
	v_fma_f32 v79, v226, v142, -v79
	v_dual_add_f32 v71, v71, v118 :: v_dual_fma_f32 v120, v216, v132, -v129
	s_delay_alu instid0(VALU_DEP_3) | instskip(SKIP_1) | instid1(VALU_DEP_3)
	v_dual_add_f32 v69, v69, v89 :: v_dual_mul_f32 v89, v231, v147
	v_fmac_f32_e32 v189, v219, v134
	v_dual_fma_f32 v73, v218, v134, -v73 :: v_dual_add_f32 v71, v71, v120
	s_delay_alu instid0(VALU_DEP_3) | instskip(SKIP_2) | instid1(VALU_DEP_3)
	v_add_f32_e32 v69, v69, v81
	v_mul_f32_e32 v81, v233, v149
	v_dual_fmac_f32 v93, v221, v136 :: v_dual_fmac_f32 v191, v231, v146
	v_dual_fma_f32 v89, v230, v146, -v89 :: v_dual_add_f32 v69, v69, v189
	v_add_f32_e32 v71, v71, v73
	s_delay_alu instid0(VALU_DEP_4) | instskip(NEXT) | instid1(VALU_DEP_3)
	v_dual_mul_f32 v73, v95, v151 :: v_dual_fma_f32 v81, v232, v148, -v81
	v_dual_fmac_f32 v91, v95, v150 :: v_dual_add_f32 v69, v69, v93
	s_delay_alu instid0(VALU_DEP_3) | instskip(NEXT) | instid1(VALU_DEP_3)
	v_dual_add_f32 v71, v71, v75 :: v_dual_mul_f32 v75, v97, v153
	v_dual_fmac_f32 v190, v225, v140 :: v_dual_fma_f32 v73, v94, v150, -v73
	s_delay_alu instid0(VALU_DEP_2) | instskip(SKIP_1) | instid1(VALU_DEP_4)
	v_dual_add_f32 v69, v69, v83 :: v_dual_add_f32 v71, v71, v77
	v_dual_mul_f32 v77, v99, v155 :: v_dual_mul_f32 v83, v101, v157
	v_dual_mov_b32 v94, v165 :: v_dual_fma_f32 v75, v96, v152, -v75
	s_delay_alu instid0(VALU_DEP_3) | instskip(SKIP_2) | instid1(VALU_DEP_3)
	v_dual_add_f32 v69, v69, v190 :: v_dual_add_f32 v71, v71, v87
	v_dual_fmac_f32 v85, v229, v144 :: v_dual_fma_f32 v87, v228, v144, -v116
	v_dual_mul_f32 v181, v100, v157 :: v_dual_mul_f32 v193, v234, v159
	v_dual_add_f32 v69, v69, v178 :: v_dual_add_f32 v71, v71, v79
	v_mul_f32_e32 v79, v235, v159
	s_delay_alu instid0(VALU_DEP_3) | instskip(NEXT) | instid1(VALU_DEP_3)
	v_dual_fmac_f32 v180, v99, v154 :: v_dual_fmac_f32 v181, v101, v156
	v_dual_add_f32 v69, v69, v85 :: v_dual_add_f32 v71, v71, v87
	v_mul_f32_e32 v85, v237, v161
	v_dual_fmac_f32 v179, v233, v148 :: v_dual_mul_f32 v87, v239, v163
	s_delay_alu instid0(VALU_DEP_3) | instskip(SKIP_3) | instid1(VALU_DEP_4)
	v_dual_add_f32 v69, v69, v191 :: v_dual_add_f32 v71, v71, v89
	v_fmac_f32_e32 v193, v235, v158
	v_pk_mul_f32 v[94:95], v[108:109], v[94:95] op_sel_hi:[1,0]
	v_dual_mov_b32 v110, v245 :: v_dual_mov_b32 v111, v244
	v_dual_add_f32 v69, v69, v179 :: v_dual_add_f32 v71, v71, v81
	v_fmac_f32_e32 v192, v97, v152
	s_wait_loadcnt 0x4
	v_pk_mul_f32 v[96:97], v[242:243], v[166:167] op_sel:[1,1] op_sel_hi:[0,1]
	s_wait_loadcnt 0x3
	v_dual_mov_b32 v120, v173 :: v_dual_fmac_f32 v119, v239, v162
	v_dual_add_f32 v69, v69, v91 :: v_dual_add_f32 v71, v71, v73
	v_dual_fma_f32 v73, v98, v154, -v77 :: v_dual_mov_b32 v98, v169
	v_pk_fma_f32 v[122:123], v[240:241], v[164:165], v[94:95] op_sel_hi:[1,0,1]
	s_delay_alu instid0(VALU_DEP_3) | instskip(SKIP_3) | instid1(VALU_DEP_4)
	v_dual_add_f32 v69, v69, v192 :: v_dual_add_f32 v71, v71, v75
	v_fma_f32 v75, v100, v156, -v83
	v_fma_f32 v118, v238, v162, -v87
	v_pk_fma_f32 v[94:95], v[240:241], v[164:165], v[94:95] neg_lo:[0,0,1] neg_hi:[0,0,1]
	v_dual_add_f32 v69, v69, v180 :: v_dual_add_f32 v71, v71, v73
	v_fma_f32 v73, v234, v158, -v79
	v_pk_mul_f32 v[98:99], v[110:111], v[98:99] op_sel_hi:[1,0]
	s_delay_alu instid0(VALU_DEP_3) | instskip(NEXT) | instid1(VALU_DEP_4)
	v_dual_mov_b32 v95, v123 :: v_dual_add_f32 v69, v69, v181
	v_dual_add_f32 v71, v71, v75 :: v_dual_fmac_f32 v117, v237, v160
	v_fma_f32 v116, v236, v160, -v85
	v_pk_mul_f32 v[100:101], v[246:247], v[170:171] op_sel:[1,1] op_sel_hi:[0,1]
	s_delay_alu instid0(VALU_DEP_4) | instskip(NEXT) | instid1(VALU_DEP_4)
	v_add_f32_e32 v109, v69, v193
	v_add_f32_e32 v108, v71, v73
	v_pk_mul_f32 v[112:113], v[112:113], v[120:121] op_sel_hi:[1,0]
	s_wait_loadcnt 0x2
	v_pk_mul_f32 v[110:111], v[102:103], v[174:175] op_sel:[1,1] op_sel_hi:[0,1]
	v_dual_ashrrev_i32 v69, 31, v68 :: v_dual_ashrrev_i32 v71, 31, v70
	v_pk_add_f32 v[108:109], v[108:109], v[116:117]
	v_pk_fma_f32 v[116:117], v[242:243], v[166:167], v[96:97] op_sel_hi:[1,0,1]
	v_pk_fma_f32 v[96:97], v[242:243], v[166:167], v[96:97] neg_lo:[0,0,1] neg_hi:[0,0,1]
	v_ashrrev_i32_e32 v73, 31, v72
	v_dual_ashrrev_i32 v77, 31, v76 :: v_dual_ashrrev_i32 v79, 31, v78
	v_pk_add_f32 v[108:109], v[108:109], v[118:119]
	v_mov_b32_e32 v97, v117
	v_pk_fma_f32 v[116:117], v[244:245], v[168:169], v[98:99] op_sel_hi:[1,0,1]
	v_pk_fma_f32 v[98:99], v[244:245], v[168:169], v[98:99] neg_lo:[0,0,1] neg_hi:[0,0,1]
	v_dual_ashrrev_i32 v81, 31, v80 :: v_dual_ashrrev_i32 v83, 31, v82
	v_pk_add_f32 v[94:95], v[108:109], v[94:95]
	v_pk_fma_f32 v[108:109], v[246:247], v[170:171], v[100:101] op_sel_hi:[1,0,1]
	v_mov_b32_e32 v99, v117
	v_pk_fma_f32 v[100:101], v[246:247], v[170:171], v[100:101] neg_lo:[0,0,1] neg_hi:[0,0,1]
	v_dual_ashrrev_i32 v85, 31, v84 :: v_dual_ashrrev_i32 v87, 31, v86
	v_pk_add_f32 v[94:95], v[94:95], v[96:97]
	v_dual_mov_b32 v96, v177 :: v_dual_mov_b32 v101, v109
	v_pk_fma_f32 v[108:109], v[248:249], v[172:173], v[112:113] op_sel_hi:[1,0,1]
	v_pk_fma_f32 v[112:113], v[248:249], v[172:173], v[112:113] neg_lo:[0,0,1] neg_hi:[0,0,1]
	s_delay_alu instid0(VALU_DEP_4)
	v_pk_add_f32 v[94:95], v[94:95], v[98:99]
	v_pk_fma_f32 v[98:99], v[102:103], v[174:175], v[110:111] op_sel_hi:[1,0,1]
	v_pk_mul_f32 v[96:97], v[114:115], v[96:97] op_sel_hi:[1,0]
	v_dual_mov_b32 v113, v109 :: v_dual_ashrrev_i32 v89, 31, v88
	v_ashrrev_i32_e32 v91, 31, v90
	v_pk_add_f32 v[94:95], v[94:95], v[100:101]
	v_pk_fma_f32 v[100:101], v[102:103], v[174:175], v[110:111] neg_lo:[0,0,1] neg_hi:[0,0,1]
	v_mov_b32_e32 v101, v99
	v_pk_fma_f32 v[98:99], v[104:105], v[176:177], v[96:97] op_sel_hi:[1,0,1]
	s_wait_loadcnt_dscnt 0x100
	v_pk_mul_f32 v[102:103], v[106:107], v[250:251] op_sel:[1,1] op_sel_hi:[0,1]
	v_pk_add_f32 v[94:95], v[94:95], v[112:113]
	v_pk_fma_f32 v[96:97], v[104:105], v[176:177], v[96:97] neg_lo:[0,0,1] neg_hi:[0,0,1]
	v_mov_b32_e32 v97, v99
	s_delay_alu instid0(VALU_DEP_4) | instskip(NEXT) | instid1(VALU_DEP_4)
	v_pk_fma_f32 v[98:99], v[106:107], v[250:251], v[102:103] op_sel_hi:[1,0,1]
	v_pk_add_f32 v[94:95], v[94:95], v[100:101]
	v_pk_fma_f32 v[100:101], v[106:107], v[250:251], v[102:103] neg_lo:[0,0,1] neg_hi:[0,0,1]
	s_delay_alu instid0(VALU_DEP_3) | instskip(NEXT) | instid1(VALU_DEP_3)
	v_dual_ashrrev_i32 v75, 31, v74 :: v_dual_mov_b32 v101, v99
	v_pk_add_f32 v[94:95], v[94:95], v[96:97]
	s_delay_alu instid0(VALU_DEP_1) | instskip(SKIP_1) | instid1(VALU_DEP_1)
	v_pk_add_f32 v[94:95], v[94:95], v[100:101]
	s_wait_loadcnt 0x0
	v_pk_add_f32 v[94:95], v[252:253], v[94:95] neg_lo:[0,1] neg_hi:[0,1]
	scratch_store_b64 off, v[94:95], off offset:8
	s_wait_xcnt 0x0
	v_cmpx_ne_u32_e32 0, v0
	s_cbranch_execz .LBB108_283
; %bb.282:
	scratch_load_b64 v[94:95], off, off
	v_mov_b64_e32 v[96:97], 0
	scratch_store_b64 off, v[96:97], off
	s_wait_loadcnt 0x0
	ds_store_b64 v1, v[94:95]
.LBB108_283:
	s_wait_xcnt 0x0
	s_or_b32 exec_lo, exec_lo, s0
	s_wait_storecnt_dscnt 0x0
	s_barrier_signal -1
	s_barrier_wait -1
	s_clause 0x11
	scratch_load_b128 v[98:101], off, off offset:8
	scratch_load_b128 v[106:109], off, off offset:24
	;; [unrolled: 1-line block ×18, first 2 shown]
	ds_load_2addr_b64 v[94:97], v92 offset0:47 offset1:48
	ds_load_2addr_b64 v[102:105], v92 offset0:49 offset1:50
	;; [unrolled: 1-line block ×18, first 2 shown]
	s_clause 0x3
	scratch_load_b128 v[238:241], off, off offset:296
	scratch_load_b128 v[242:245], off, off offset:312
	;; [unrolled: 1-line block ×4, first 2 shown]
	s_and_b32 vcc_lo, exec_lo, s12
	s_wait_loadcnt_dscnt 0x1511
	v_dual_mul_f32 v0, v94, v99 :: v_dual_mul_f32 v1, v96, v101
	s_wait_loadcnt_dscnt 0x120e
	v_dual_mul_f32 v93, v97, v101 :: v_dual_mul_f32 v255, v230, v235
	s_delay_alu instid0(VALU_DEP_2) | instskip(NEXT) | instid1(VALU_DEP_2)
	v_dual_fmac_f32 v0, v95, v98 :: v_dual_fmac_f32 v1, v97, v100
	v_dual_fma_f32 v93, v96, v100, -v93 :: v_dual_fmac_f32 v255, v231, v234
	s_delay_alu instid0(VALU_DEP_2) | instskip(NEXT) | instid1(VALU_DEP_1)
	v_add_f32_e32 v0, 0, v0
	v_dual_add_f32 v0, v0, v1 :: v_dual_mul_f32 v1, v102, v107
	s_delay_alu instid0(VALU_DEP_1) | instskip(NEXT) | instid1(VALU_DEP_1)
	v_fmac_f32_e32 v1, v103, v106
	v_add_f32_e32 v0, v0, v1
	v_mul_f32_e32 v1, v104, v109
	s_delay_alu instid0(VALU_DEP_1) | instskip(SKIP_1) | instid1(VALU_DEP_1)
	v_fmac_f32_e32 v1, v105, v108
	s_wait_loadcnt_dscnt 0x110d
	v_dual_add_f32 v0, v0, v1 :: v_dual_mul_f32 v1, v110, v115
	s_delay_alu instid0(VALU_DEP_1) | instskip(NEXT) | instid1(VALU_DEP_1)
	v_fmac_f32_e32 v1, v111, v114
	v_add_f32_e32 v0, v0, v1
	v_mul_f32_e32 v1, v112, v117
	s_delay_alu instid0(VALU_DEP_1) | instskip(SKIP_1) | instid1(VALU_DEP_1)
	v_fmac_f32_e32 v1, v113, v116
	s_wait_loadcnt_dscnt 0x100c
	;; [unrolled: 8-line block ×14, first 2 shown]
	v_dual_add_f32 v0, v0, v1 :: v_dual_mul_f32 v1, v214, v219
	s_delay_alu instid0(VALU_DEP_1) | instskip(NEXT) | instid1(VALU_DEP_1)
	v_fmac_f32_e32 v1, v215, v218
	v_add_f32_e32 v0, v0, v1
	v_mul_f32_e32 v1, v216, v221
	s_delay_alu instid0(VALU_DEP_1) | instskip(NEXT) | instid1(VALU_DEP_1)
	v_fmac_f32_e32 v1, v217, v220
	v_dual_add_f32 v0, v0, v1 :: v_dual_mul_f32 v1, v222, v227
	s_delay_alu instid0(VALU_DEP_1) | instskip(NEXT) | instid1(VALU_DEP_1)
	v_fmac_f32_e32 v1, v223, v226
	v_add_f32_e32 v0, v0, v1
	v_mul_f32_e32 v1, v224, v229
	s_delay_alu instid0(VALU_DEP_1) | instskip(NEXT) | instid1(VALU_DEP_1)
	v_fmac_f32_e32 v1, v225, v228
	v_dual_add_f32 v1, v0, v1 :: v_dual_mul_f32 v0, v95, v99
	s_delay_alu instid0(VALU_DEP_1) | instskip(NEXT) | instid1(VALU_DEP_1)
	v_fma_f32 v0, v94, v98, -v0
	v_add_f32_e32 v0, 0, v0
	s_delay_alu instid0(VALU_DEP_1) | instskip(NEXT) | instid1(VALU_DEP_1)
	v_dual_add_f32 v0, v0, v93 :: v_dual_mul_f32 v93, v103, v107
	v_fma_f32 v93, v102, v106, -v93
	s_delay_alu instid0(VALU_DEP_1) | instskip(SKIP_1) | instid1(VALU_DEP_1)
	v_add_f32_e32 v0, v0, v93
	v_mul_f32_e32 v93, v105, v109
	v_fma_f32 v93, v104, v108, -v93
	ds_load_2addr_b64 v[94:97], v92 offset0:83 offset1:84
	ds_load_2addr_b64 v[98:101], v92 offset0:85 offset1:86
	;; [unrolled: 1-line block ×4, first 2 shown]
	v_dual_add_f32 v0, v0, v93 :: v_dual_mul_f32 v93, v111, v115
	s_delay_alu instid0(VALU_DEP_1) | instskip(NEXT) | instid1(VALU_DEP_1)
	v_fma_f32 v93, v110, v114, -v93
	v_add_f32_e32 v0, v0, v93
	v_mul_f32_e32 v93, v113, v117
	s_delay_alu instid0(VALU_DEP_1) | instskip(NEXT) | instid1(VALU_DEP_1)
	v_fma_f32 v93, v112, v116, -v93
	v_dual_add_f32 v0, v0, v93 :: v_dual_mul_f32 v93, v119, v123
	s_delay_alu instid0(VALU_DEP_1) | instskip(NEXT) | instid1(VALU_DEP_1)
	v_fma_f32 v93, v118, v122, -v93
	v_add_f32_e32 v0, v0, v93
	v_mul_f32_e32 v93, v121, v125
	s_delay_alu instid0(VALU_DEP_1) | instskip(NEXT) | instid1(VALU_DEP_1)
	v_fma_f32 v93, v120, v124, -v93
	;; [unrolled: 7-line block ×15, first 2 shown]
	v_dual_add_f32 v0, v0, v93 :: v_dual_mul_f32 v93, v231, v235
	s_delay_alu instid0(VALU_DEP_1) | instskip(SKIP_3) | instid1(VALU_DEP_2)
	v_dual_fma_f32 v254, v230, v234, -v93 :: v_dual_mul_f32 v93, v233, v237
	s_set_vgpr_msb 64                       ;  msbs: dst=1 src0=0 src1=0 src2=0
	v_mul_f32_e32 v1 /*v257*/, v232, v237
	s_set_vgpr_msb 0                        ;  msbs: dst=0 src0=0 src1=0 src2=0
	v_pk_add_f32 v[0:1], v[0:1], v[254:255]
	s_set_vgpr_msb 64                       ;  msbs: dst=1 src0=0 src1=0 src2=0
	v_fma_f32 v0 /*v256*/, v232, v236, -v93
	s_wait_loadcnt_dscnt 0x303
	s_set_vgpr_msb 0                        ;  msbs: dst=0 src0=0 src1=0 src2=0
	v_pk_mul_f32 v[92:93], v[94:95], v[238:239] op_sel:[1,1] op_sel_hi:[0,1]
	s_set_vgpr_msb 64                       ;  msbs: dst=1 src0=0 src1=0 src2=0
	v_fmac_f32_e32 v1 /*v257*/, v233, v236
	s_set_vgpr_msb 0                        ;  msbs: dst=0 src0=0 src1=0 src2=0
	s_delay_alu instid0(VALU_DEP_2) | instskip(SKIP_4) | instid1(VALU_DEP_3)
	v_pk_fma_f32 v[110:111], v[94:95], v[238:239], v[92:93] neg_lo:[0,0,1] neg_hi:[0,0,1]
	v_pk_fma_f32 v[92:93], v[94:95], v[238:239], v[92:93] op_sel_hi:[1,0,1]
	v_dual_mov_b32 v92, v97 :: v_dual_mov_b32 v94, v241
	s_set_vgpr_msb 4                        ;  msbs: dst=0 src0=0 src1=1 src2=0
	v_pk_add_f32 v[0:1], v[0:1], v[0:1] /*v[256:257]*/
	v_dual_mov_b32 v111, v93 :: v_dual_mov_b32 v93, v96
	s_set_vgpr_msb 0                        ;  msbs: dst=0 src0=0 src1=0 src2=0
	s_delay_alu instid0(VALU_DEP_1) | instskip(NEXT) | instid1(VALU_DEP_2)
	v_pk_add_f32 v[0:1], v[0:1], v[110:111]
	v_pk_mul_f32 v[92:93], v[92:93], v[94:95] op_sel_hi:[1,0]
	s_delay_alu instid0(VALU_DEP_1) | instskip(SKIP_1) | instid1(VALU_DEP_1)
	v_pk_fma_f32 v[94:95], v[96:97], v[240:241], v[92:93] neg_lo:[0,0,1] neg_hi:[0,0,1]
	v_pk_fma_f32 v[92:93], v[96:97], v[240:241], v[92:93] op_sel_hi:[1,0,1]
	v_mov_b32_e32 v95, v93
	s_wait_loadcnt_dscnt 0x202
	v_pk_mul_f32 v[92:93], v[98:99], v[242:243] op_sel:[1,1] op_sel_hi:[0,1]
	s_delay_alu instid0(VALU_DEP_2) | instskip(NEXT) | instid1(VALU_DEP_2)
	v_pk_add_f32 v[0:1], v[0:1], v[94:95]
	v_pk_fma_f32 v[94:95], v[98:99], v[242:243], v[92:93] neg_lo:[0,0,1] neg_hi:[0,0,1]
	v_pk_fma_f32 v[92:93], v[98:99], v[242:243], v[92:93] op_sel_hi:[1,0,1]
	s_delay_alu instid0(VALU_DEP_1) | instskip(SKIP_1) | instid1(VALU_DEP_2)
	v_dual_mov_b32 v92, v101 :: v_dual_mov_b32 v95, v93
	v_mov_b32_e32 v93, v100
	v_pk_add_f32 v[0:1], v[0:1], v[94:95]
	v_mov_b32_e32 v94, v245
	s_delay_alu instid0(VALU_DEP_1) | instskip(NEXT) | instid1(VALU_DEP_1)
	v_pk_mul_f32 v[92:93], v[92:93], v[94:95] op_sel_hi:[1,0]
	v_pk_fma_f32 v[94:95], v[100:101], v[244:245], v[92:93] neg_lo:[0,0,1] neg_hi:[0,0,1]
	v_pk_fma_f32 v[92:93], v[100:101], v[244:245], v[92:93] op_sel_hi:[1,0,1]
	s_delay_alu instid0(VALU_DEP_1) | instskip(SKIP_2) | instid1(VALU_DEP_2)
	v_mov_b32_e32 v95, v93
	s_wait_loadcnt_dscnt 0x101
	v_pk_mul_f32 v[92:93], v[102:103], v[246:247] op_sel:[1,1] op_sel_hi:[0,1]
	v_pk_add_f32 v[0:1], v[0:1], v[94:95]
	s_delay_alu instid0(VALU_DEP_2) | instskip(SKIP_1) | instid1(VALU_DEP_1)
	v_pk_fma_f32 v[94:95], v[102:103], v[246:247], v[92:93] neg_lo:[0,0,1] neg_hi:[0,0,1]
	v_pk_fma_f32 v[92:93], v[102:103], v[246:247], v[92:93] op_sel_hi:[1,0,1]
	v_dual_mov_b32 v92, v105 :: v_dual_mov_b32 v95, v93
	v_mov_b32_e32 v93, v104
	s_delay_alu instid0(VALU_DEP_2) | instskip(SKIP_1) | instid1(VALU_DEP_1)
	v_pk_add_f32 v[0:1], v[0:1], v[94:95]
	v_mov_b32_e32 v94, v249
	v_pk_mul_f32 v[92:93], v[92:93], v[94:95] op_sel_hi:[1,0]
	s_delay_alu instid0(VALU_DEP_1) | instskip(SKIP_1) | instid1(VALU_DEP_1)
	v_pk_fma_f32 v[94:95], v[104:105], v[248:249], v[92:93] neg_lo:[0,0,1] neg_hi:[0,0,1]
	v_pk_fma_f32 v[92:93], v[104:105], v[248:249], v[92:93] op_sel_hi:[1,0,1]
	v_mov_b32_e32 v95, v93
	s_wait_loadcnt_dscnt 0x0
	v_pk_mul_f32 v[92:93], v[106:107], v[250:251] op_sel:[1,1] op_sel_hi:[0,1]
	s_delay_alu instid0(VALU_DEP_2) | instskip(NEXT) | instid1(VALU_DEP_2)
	v_pk_add_f32 v[0:1], v[0:1], v[94:95]
	v_pk_fma_f32 v[94:95], v[106:107], v[250:251], v[92:93] neg_lo:[0,0,1] neg_hi:[0,0,1]
	v_pk_fma_f32 v[92:93], v[106:107], v[250:251], v[92:93] op_sel_hi:[1,0,1]
	s_delay_alu instid0(VALU_DEP_1) | instskip(SKIP_1) | instid1(VALU_DEP_2)
	v_dual_mov_b32 v92, v109 :: v_dual_mov_b32 v95, v93
	v_mov_b32_e32 v93, v108
	v_pk_add_f32 v[0:1], v[0:1], v[94:95]
	v_mov_b32_e32 v94, v253
	s_delay_alu instid0(VALU_DEP_1) | instskip(NEXT) | instid1(VALU_DEP_1)
	v_pk_mul_f32 v[92:93], v[92:93], v[94:95] op_sel_hi:[1,0]
	v_pk_fma_f32 v[94:95], v[108:109], v[252:253], v[92:93] neg_lo:[0,0,1] neg_hi:[0,0,1]
	v_pk_fma_f32 v[92:93], v[108:109], v[252:253], v[92:93] op_sel_hi:[1,0,1]
	s_delay_alu instid0(VALU_DEP_1) | instskip(SKIP_3) | instid1(VALU_DEP_1)
	v_mov_b32_e32 v95, v93
	scratch_load_b64 v[92:93], off, off
	v_pk_add_f32 v[0:1], v[0:1], v[94:95]
	s_wait_loadcnt 0x0
	v_pk_add_f32 v[92:93], v[92:93], v[0:1] neg_lo:[0,1] neg_hi:[0,1]
	scratch_store_b64 off, v[92:93], off
	s_cbranch_vccz .LBB108_372
; %bb.284:
	v_mov_b32_e32 v0, 0
	global_load_b32 v1, v0, s[8:9] offset:172
	s_wait_loadcnt 0x0
	v_cmp_ne_u32_e32 vcc_lo, 44, v1
	s_cbranch_vccz .LBB108_286
; %bb.285:
	v_lshlrev_b32_e32 v1, 3, v1
	scratch_load_b64 v[92:93], v1, off offset:-8
	scratch_load_b64 v[94:95], off, off offset:344
	s_wait_loadcnt 0x1
	scratch_store_b64 off, v[92:93], off offset:344
	s_wait_loadcnt 0x0
	scratch_store_b64 v1, v[94:95], off offset:-8
.LBB108_286:
	global_load_b32 v0, v0, s[8:9] offset:168
	s_wait_loadcnt 0x0
	v_cmp_eq_u32_e32 vcc_lo, 43, v0
	s_cbranch_vccnz .LBB108_288
; %bb.287:
	s_wait_xcnt 0x0
	v_lshlrev_b32_e32 v0, 3, v0
	s_delay_alu instid0(VALU_DEP_1)
	v_mov_b32_e32 v94, v0
	scratch_load_b64 v[0:1], v94, off offset:-8
	scratch_load_b64 v[92:93], off, off offset:336
	s_wait_loadcnt 0x1
	scratch_store_b64 off, v[0:1], off offset:336
	s_wait_loadcnt 0x0
	scratch_store_b64 v94, v[92:93], off offset:-8
.LBB108_288:
	s_wait_xcnt 0x0
	v_mov_b32_e32 v0, 0
	global_load_b32 v1, v0, s[8:9] offset:164
	s_wait_loadcnt 0x0
	v_cmp_eq_u32_e32 vcc_lo, 42, v1
	s_cbranch_vccnz .LBB108_290
; %bb.289:
	v_lshlrev_b32_e32 v1, 3, v1
	scratch_load_b64 v[92:93], v1, off offset:-8
	scratch_load_b64 v[94:95], off, off offset:328
	s_wait_loadcnt 0x1
	scratch_store_b64 off, v[92:93], off offset:328
	s_wait_loadcnt 0x0
	scratch_store_b64 v1, v[94:95], off offset:-8
.LBB108_290:
	global_load_b32 v0, v0, s[8:9] offset:160
	s_wait_loadcnt 0x0
	v_cmp_eq_u32_e32 vcc_lo, 41, v0
	s_cbranch_vccnz .LBB108_292
; %bb.291:
	s_wait_xcnt 0x0
	v_lshlrev_b32_e32 v0, 3, v0
	s_delay_alu instid0(VALU_DEP_1)
	v_mov_b32_e32 v94, v0
	scratch_load_b64 v[0:1], v94, off offset:-8
	scratch_load_b64 v[92:93], off, off offset:320
	s_wait_loadcnt 0x1
	scratch_store_b64 off, v[0:1], off offset:320
	s_wait_loadcnt 0x0
	scratch_store_b64 v94, v[92:93], off offset:-8
.LBB108_292:
	s_wait_xcnt 0x0
	v_mov_b32_e32 v0, 0
	global_load_b32 v1, v0, s[8:9] offset:156
	s_wait_loadcnt 0x0
	v_cmp_eq_u32_e32 vcc_lo, 40, v1
	s_cbranch_vccnz .LBB108_294
; %bb.293:
	v_lshlrev_b32_e32 v1, 3, v1
	scratch_load_b64 v[92:93], v1, off offset:-8
	scratch_load_b64 v[94:95], off, off offset:312
	s_wait_loadcnt 0x1
	scratch_store_b64 off, v[92:93], off offset:312
	s_wait_loadcnt 0x0
	scratch_store_b64 v1, v[94:95], off offset:-8
.LBB108_294:
	;; [unrolled: 31-line block ×21, first 2 shown]
	global_load_b32 v0, v0, s[8:9]
	scratch_load_b64 v[92:93], off, off
	s_wait_loadcnt 0x1
	v_cmp_eq_u32_e32 vcc_lo, 1, v0
	s_cbranch_vccnz .LBB108_372
; %bb.371:
	s_wait_xcnt 0x1
	v_lshlrev_b32_e32 v0, 3, v0
	s_delay_alu instid0(VALU_DEP_1)
	v_mov_b32_e32 v94, v0
	scratch_load_b64 v[0:1], v94, off offset:-8
	s_wait_loadcnt 0x0
	scratch_store_b64 off, v[0:1], off
	scratch_store_b64 v94, v[92:93], off offset:-8
	scratch_load_b64 v[92:93], off, off
.LBB108_372:
	s_wait_loadcnt 0x0
	flat_store_b64 v[2:3], v[92:93]
	scratch_load_b64 v[2:3], off, off offset:8
	v_lshl_add_u64 v[134:135], v[6:7], 3, s[2:3]
	v_lshl_add_u64 v[132:133], v[8:9], 3, s[2:3]
	;; [unrolled: 1-line block ×43, first 2 shown]
	s_wait_loadcnt 0x0
	flat_store_b64 v[4:5], v[2:3]
	scratch_load_b64 v[2:3], off, off offset:16
	s_wait_loadcnt 0x0
	flat_store_b64 v[134:135], v[2:3]
	scratch_load_b64 v[2:3], off, off offset:24
	;; [unrolled: 3-line block ×43, first 2 shown]
	s_wait_loadcnt 0x0
	flat_store_b64 v[0:1], v[2:3]
	s_sendmsg sendmsg(MSG_DEALLOC_VGPRS)
	s_endpgm
	.section	.rodata,"a",@progbits
	.p2align	6, 0x0
	.amdhsa_kernel _ZN9rocsolver6v33100L18getri_kernel_smallILi45E19rocblas_complex_numIfEPKPS3_EEvT1_iilPiilS8_bb
		.amdhsa_group_segment_fixed_size 728
		.amdhsa_private_segment_fixed_size 368
		.amdhsa_kernarg_size 60
		.amdhsa_user_sgpr_count 2
		.amdhsa_user_sgpr_dispatch_ptr 0
		.amdhsa_user_sgpr_queue_ptr 0
		.amdhsa_user_sgpr_kernarg_segment_ptr 1
		.amdhsa_user_sgpr_dispatch_id 0
		.amdhsa_user_sgpr_kernarg_preload_length 0
		.amdhsa_user_sgpr_kernarg_preload_offset 0
		.amdhsa_user_sgpr_private_segment_size 0
		.amdhsa_wavefront_size32 1
		.amdhsa_uses_dynamic_stack 0
		.amdhsa_enable_private_segment 1
		.amdhsa_system_sgpr_workgroup_id_x 1
		.amdhsa_system_sgpr_workgroup_id_y 0
		.amdhsa_system_sgpr_workgroup_id_z 0
		.amdhsa_system_sgpr_workgroup_info 0
		.amdhsa_system_vgpr_workitem_id 0
		.amdhsa_next_free_vgpr 266
		.amdhsa_next_free_sgpr 19
		.amdhsa_named_barrier_count 0
		.amdhsa_reserve_vcc 1
		.amdhsa_float_round_mode_32 0
		.amdhsa_float_round_mode_16_64 0
		.amdhsa_float_denorm_mode_32 3
		.amdhsa_float_denorm_mode_16_64 3
		.amdhsa_fp16_overflow 0
		.amdhsa_memory_ordered 1
		.amdhsa_forward_progress 1
		.amdhsa_inst_pref_size 255
		.amdhsa_round_robin_scheduling 0
		.amdhsa_exception_fp_ieee_invalid_op 0
		.amdhsa_exception_fp_denorm_src 0
		.amdhsa_exception_fp_ieee_div_zero 0
		.amdhsa_exception_fp_ieee_overflow 0
		.amdhsa_exception_fp_ieee_underflow 0
		.amdhsa_exception_fp_ieee_inexact 0
		.amdhsa_exception_int_div_zero 0
	.end_amdhsa_kernel
	.section	.text._ZN9rocsolver6v33100L18getri_kernel_smallILi45E19rocblas_complex_numIfEPKPS3_EEvT1_iilPiilS8_bb,"axG",@progbits,_ZN9rocsolver6v33100L18getri_kernel_smallILi45E19rocblas_complex_numIfEPKPS3_EEvT1_iilPiilS8_bb,comdat
.Lfunc_end108:
	.size	_ZN9rocsolver6v33100L18getri_kernel_smallILi45E19rocblas_complex_numIfEPKPS3_EEvT1_iilPiilS8_bb, .Lfunc_end108-_ZN9rocsolver6v33100L18getri_kernel_smallILi45E19rocblas_complex_numIfEPKPS3_EEvT1_iilPiilS8_bb
                                        ; -- End function
	.set _ZN9rocsolver6v33100L18getri_kernel_smallILi45E19rocblas_complex_numIfEPKPS3_EEvT1_iilPiilS8_bb.num_vgpr, 266
	.set _ZN9rocsolver6v33100L18getri_kernel_smallILi45E19rocblas_complex_numIfEPKPS3_EEvT1_iilPiilS8_bb.num_agpr, 0
	.set _ZN9rocsolver6v33100L18getri_kernel_smallILi45E19rocblas_complex_numIfEPKPS3_EEvT1_iilPiilS8_bb.numbered_sgpr, 19
	.set _ZN9rocsolver6v33100L18getri_kernel_smallILi45E19rocblas_complex_numIfEPKPS3_EEvT1_iilPiilS8_bb.num_named_barrier, 0
	.set _ZN9rocsolver6v33100L18getri_kernel_smallILi45E19rocblas_complex_numIfEPKPS3_EEvT1_iilPiilS8_bb.private_seg_size, 368
	.set _ZN9rocsolver6v33100L18getri_kernel_smallILi45E19rocblas_complex_numIfEPKPS3_EEvT1_iilPiilS8_bb.uses_vcc, 1
	.set _ZN9rocsolver6v33100L18getri_kernel_smallILi45E19rocblas_complex_numIfEPKPS3_EEvT1_iilPiilS8_bb.uses_flat_scratch, 1
	.set _ZN9rocsolver6v33100L18getri_kernel_smallILi45E19rocblas_complex_numIfEPKPS3_EEvT1_iilPiilS8_bb.has_dyn_sized_stack, 0
	.set _ZN9rocsolver6v33100L18getri_kernel_smallILi45E19rocblas_complex_numIfEPKPS3_EEvT1_iilPiilS8_bb.has_recursion, 0
	.set _ZN9rocsolver6v33100L18getri_kernel_smallILi45E19rocblas_complex_numIfEPKPS3_EEvT1_iilPiilS8_bb.has_indirect_call, 0
	.section	.AMDGPU.csdata,"",@progbits
; Kernel info:
; codeLenInByte = 77948
; TotalNumSgprs: 21
; NumVgprs: 266
; ScratchSize: 368
; MemoryBound: 0
; FloatMode: 240
; IeeeMode: 1
; LDSByteSize: 728 bytes/workgroup (compile time only)
; SGPRBlocks: 0
; VGPRBlocks: 16
; NumSGPRsForWavesPerEU: 21
; NumVGPRsForWavesPerEU: 266
; NamedBarCnt: 0
; Occupancy: 3
; WaveLimiterHint : 1
; COMPUTE_PGM_RSRC2:SCRATCH_EN: 1
; COMPUTE_PGM_RSRC2:USER_SGPR: 2
; COMPUTE_PGM_RSRC2:TRAP_HANDLER: 0
; COMPUTE_PGM_RSRC2:TGID_X_EN: 1
; COMPUTE_PGM_RSRC2:TGID_Y_EN: 0
; COMPUTE_PGM_RSRC2:TGID_Z_EN: 0
; COMPUTE_PGM_RSRC2:TIDIG_COMP_CNT: 0
	.section	.text._ZN9rocsolver6v33100L18getri_kernel_smallILi46E19rocblas_complex_numIfEPKPS3_EEvT1_iilPiilS8_bb,"axG",@progbits,_ZN9rocsolver6v33100L18getri_kernel_smallILi46E19rocblas_complex_numIfEPKPS3_EEvT1_iilPiilS8_bb,comdat
	.globl	_ZN9rocsolver6v33100L18getri_kernel_smallILi46E19rocblas_complex_numIfEPKPS3_EEvT1_iilPiilS8_bb ; -- Begin function _ZN9rocsolver6v33100L18getri_kernel_smallILi46E19rocblas_complex_numIfEPKPS3_EEvT1_iilPiilS8_bb
	.p2align	8
	.type	_ZN9rocsolver6v33100L18getri_kernel_smallILi46E19rocblas_complex_numIfEPKPS3_EEvT1_iilPiilS8_bb,@function
_ZN9rocsolver6v33100L18getri_kernel_smallILi46E19rocblas_complex_numIfEPKPS3_EEvT1_iilPiilS8_bb: ; @_ZN9rocsolver6v33100L18getri_kernel_smallILi46E19rocblas_complex_numIfEPKPS3_EEvT1_iilPiilS8_bb
; %bb.0:
	s_mov_b32 s2, exec_lo
	v_cmpx_gt_u32_e32 46, v0
	s_cbranch_execz .LBB109_198
; %bb.1:
	s_clause 0x1
	s_load_b32 s13, s[0:1], 0x38
	s_load_b64 s[2:3], s[0:1], 0x0
	s_getreg_b32 s6, hwreg(HW_REG_IB_STS2, 6, 4)
	s_wait_kmcnt 0x0
	s_bitcmp1_b32 s13, 8
	s_cselect_b32 s12, -1, 0
	s_bfe_u32 s4, ttmp6, 0x4000c
	s_and_b32 s5, ttmp6, 15
	s_add_co_i32 s4, s4, 1
	s_delay_alu instid0(SALU_CYCLE_1) | instskip(NEXT) | instid1(SALU_CYCLE_1)
	s_mul_i32 s4, ttmp9, s4
	s_add_co_i32 s5, s5, s4
	s_cmp_eq_u32 s6, 0
	s_cselect_b32 s10, ttmp9, s5
	s_load_b128 s[4:7], s[0:1], 0x28
	s_ashr_i32 s11, s10, 31
	s_delay_alu instid0(SALU_CYCLE_1) | instskip(NEXT) | instid1(SALU_CYCLE_1)
	s_lshl_b64 s[8:9], s[10:11], 3
	s_add_nc_u64 s[2:3], s[2:3], s[8:9]
	s_bfe_u32 s8, s13, 0x10008
	s_load_b64 s[2:3], s[2:3], 0x0
	s_cmp_eq_u32 s8, 0
                                        ; implicit-def: $sgpr8_sgpr9
	s_cbranch_scc1 .LBB109_3
; %bb.2:
	s_load_b96 s[16:18], s[0:1], 0x18
	s_wait_kmcnt 0x0
	s_mul_u64 s[4:5], s[4:5], s[10:11]
	s_delay_alu instid0(SALU_CYCLE_1) | instskip(SKIP_4) | instid1(SALU_CYCLE_1)
	s_lshl_b64 s[4:5], s[4:5], 2
	s_ashr_i32 s9, s18, 31
	s_mov_b32 s8, s18
	s_add_nc_u64 s[4:5], s[16:17], s[4:5]
	s_lshl_b64 s[8:9], s[8:9], 2
	s_add_nc_u64 s[8:9], s[4:5], s[8:9]
.LBB109_3:
	s_wait_kmcnt 0x0
	s_clause 0x1
	s_load_b64 s[4:5], s[0:1], 0x8
	s_load_b32 s13, s[0:1], 0x38
	v_dual_mov_b32 v95, 0 :: v_dual_lshlrev_b32 v94, 3, v0
	s_wait_kmcnt 0x0
	s_ashr_i32 s1, s4, 31
	s_mov_b32 s0, s4
	s_delay_alu instid0(SALU_CYCLE_1) | instskip(NEXT) | instid1(SALU_CYCLE_1)
	s_lshl_b64 s[0:1], s[0:1], 3
	s_add_nc_u64 s[2:3], s[2:3], s[0:1]
	s_ashr_i32 s1, s5, 31
	flat_load_b64 v[6:7], v0, s[2:3] scale_offset
	v_add_nc_u64_e32 v[2:3], s[2:3], v[94:95]
	s_mov_b32 s0, s5
	s_bitcmp0_b32 s13, 0
	s_delay_alu instid0(VALU_DEP_1)
	v_lshl_add_u64 v[4:5], s[0:1], 3, v[2:3]
	s_mov_b32 s1, -1
	s_wait_loadcnt_dscnt 0x0
	scratch_store_b64 off, v[6:7], off
	flat_load_b64 v[8:9], v[4:5]
	s_wait_xcnt 0x1
	v_add3_u32 v6, s5, s5, v0
	s_wait_loadcnt_dscnt 0x0
	scratch_store_b64 off, v[8:9], off offset:8
	flat_load_b64 v[10:11], v6, s[2:3] scale_offset
	s_wait_xcnt 0x1
	v_add_nc_u32_e32 v8, s5, v6
	s_wait_loadcnt_dscnt 0x0
	scratch_store_b64 off, v[10:11], off offset:16
	flat_load_b64 v[12:13], v8, s[2:3] scale_offset
	s_wait_xcnt 0x1
	v_add_nc_u32_e32 v10, s5, v8
	;; [unrolled: 5-line block ×43, first 2 shown]
	s_wait_loadcnt_dscnt 0x0
	scratch_store_b64 off, v[96:97], off offset:352
	flat_load_b64 v[96:97], v92, s[2:3] scale_offset
	s_wait_loadcnt_dscnt 0x0
	scratch_store_b64 off, v[96:97], off offset:360
	s_cbranch_scc1 .LBB109_196
; %bb.4:
	v_cmp_eq_u32_e64 s0, 0, v0
	s_wait_xcnt 0x0
	s_and_saveexec_b32 s1, s0
; %bb.5:
	v_mov_b32_e32 v1, 0
	ds_store_b32 v1, v1 offset:736
; %bb.6:
	s_or_b32 exec_lo, exec_lo, s1
	s_wait_storecnt_dscnt 0x0
	s_barrier_signal -1
	s_barrier_wait -1
	scratch_load_b64 v[96:97], v0, off scale_offset
	s_wait_loadcnt 0x0
	v_cmp_eq_f32_e32 vcc_lo, 0, v96
	v_cmp_eq_f32_e64 s1, 0, v97
	s_and_b32 s1, vcc_lo, s1
	s_delay_alu instid0(SALU_CYCLE_1)
	s_and_saveexec_b32 s4, s1
	s_cbranch_execz .LBB109_10
; %bb.7:
	v_mov_b32_e32 v1, 0
	s_mov_b32 s5, 0
	ds_load_b32 v7, v1 offset:736
	s_wait_dscnt 0x0
	v_readfirstlane_b32 s1, v7
	v_add_nc_u32_e32 v7, 1, v0
	s_cmp_eq_u32 s1, 0
	s_delay_alu instid0(VALU_DEP_1) | instskip(SKIP_1) | instid1(SALU_CYCLE_1)
	v_cmp_gt_i32_e32 vcc_lo, s1, v7
	s_cselect_b32 s13, -1, 0
	s_or_b32 s13, s13, vcc_lo
	s_delay_alu instid0(SALU_CYCLE_1)
	s_and_b32 exec_lo, exec_lo, s13
	s_cbranch_execz .LBB109_10
; %bb.8:
	v_mov_b32_e32 v9, s1
.LBB109_9:                              ; =>This Inner Loop Header: Depth=1
	ds_cmpstore_rtn_b32 v9, v1, v7, v9 offset:736
	s_wait_dscnt 0x0
	v_cmp_ne_u32_e32 vcc_lo, 0, v9
	v_cmp_le_i32_e64 s1, v9, v7
	s_and_b32 s1, vcc_lo, s1
	s_delay_alu instid0(SALU_CYCLE_1) | instskip(NEXT) | instid1(SALU_CYCLE_1)
	s_and_b32 s1, exec_lo, s1
	s_or_b32 s5, s1, s5
	s_delay_alu instid0(SALU_CYCLE_1)
	s_and_not1_b32 exec_lo, exec_lo, s5
	s_cbranch_execnz .LBB109_9
.LBB109_10:
	s_or_b32 exec_lo, exec_lo, s4
	v_mov_b32_e32 v1, 0
	s_barrier_signal -1
	s_barrier_wait -1
	ds_load_b32 v7, v1 offset:736
	s_and_saveexec_b32 s1, s0
	s_cbranch_execz .LBB109_12
; %bb.11:
	s_lshl_b64 s[4:5], s[10:11], 2
	s_delay_alu instid0(SALU_CYCLE_1)
	s_add_nc_u64 s[4:5], s[6:7], s[4:5]
	s_wait_dscnt 0x0
	global_store_b32 v1, v7, s[4:5]
.LBB109_12:
	s_wait_xcnt 0x0
	s_or_b32 exec_lo, exec_lo, s1
	s_wait_dscnt 0x0
	v_cmp_ne_u32_e32 vcc_lo, 0, v7
	s_mov_b32 s1, 0
	s_cbranch_vccnz .LBB109_196
; %bb.13:
	v_lshl_add_u32 v7, v0, 3, 0
                                        ; implicit-def: $vgpr99
                                        ; implicit-def: $vgpr100
	scratch_load_b64 v[96:97], v7, off
	s_wait_loadcnt 0x0
	v_cmp_ngt_f32_e64 s1, |v96|, |v97|
	s_wait_xcnt 0x0
	s_and_saveexec_b32 s4, s1
	s_delay_alu instid0(SALU_CYCLE_1)
	s_xor_b32 s1, exec_lo, s4
	s_cbranch_execz .LBB109_15
; %bb.14:
	v_div_scale_f32 v1, null, v97, v97, v96
	v_div_scale_f32 v13, vcc_lo, v96, v97, v96
	s_delay_alu instid0(VALU_DEP_2) | instskip(SKIP_1) | instid1(TRANS32_DEP_1)
	v_rcp_f32_e32 v9, v1
	v_nop
	v_fma_f32 v11, -v1, v9, 1.0
	s_delay_alu instid0(VALU_DEP_1) | instskip(NEXT) | instid1(VALU_DEP_1)
	v_fmac_f32_e32 v9, v11, v9
	v_mul_f32_e32 v11, v13, v9
	s_delay_alu instid0(VALU_DEP_1) | instskip(NEXT) | instid1(VALU_DEP_1)
	v_fma_f32 v15, -v1, v11, v13
	v_fmac_f32_e32 v11, v15, v9
	s_delay_alu instid0(VALU_DEP_1) | instskip(NEXT) | instid1(VALU_DEP_1)
	v_fma_f32 v1, -v1, v11, v13
	v_div_fmas_f32 v1, v1, v9, v11
	s_delay_alu instid0(VALU_DEP_1) | instskip(NEXT) | instid1(VALU_DEP_1)
	v_div_fixup_f32 v1, v1, v97, v96
	v_fmac_f32_e32 v97, v96, v1
	s_delay_alu instid0(VALU_DEP_1) | instskip(NEXT) | instid1(VALU_DEP_1)
	v_div_scale_f32 v9, null, v97, v97, -1.0
	v_rcp_f32_e32 v11, v9
	v_nop
	s_delay_alu instid0(TRANS32_DEP_1) | instskip(NEXT) | instid1(VALU_DEP_1)
	v_fma_f32 v13, -v9, v11, 1.0
	v_fmac_f32_e32 v11, v13, v11
	v_div_scale_f32 v13, vcc_lo, -1.0, v97, -1.0
	s_delay_alu instid0(VALU_DEP_1) | instskip(NEXT) | instid1(VALU_DEP_1)
	v_mul_f32_e32 v15, v13, v11
	v_fma_f32 v17, -v9, v15, v13
	s_delay_alu instid0(VALU_DEP_1) | instskip(NEXT) | instid1(VALU_DEP_1)
	v_fmac_f32_e32 v15, v17, v11
	v_fma_f32 v9, -v9, v15, v13
	s_delay_alu instid0(VALU_DEP_1) | instskip(NEXT) | instid1(VALU_DEP_1)
	v_div_fmas_f32 v9, v9, v11, v15
	v_div_fixup_f32 v99, v9, v97, -1.0
                                        ; implicit-def: $vgpr96_vgpr97
	s_delay_alu instid0(VALU_DEP_1) | instskip(NEXT) | instid1(VALU_DEP_1)
	v_mul_f32_e32 v100, v1, v99
	v_xor_b32_e32 v98, 0x80000000, v100
.LBB109_15:
	s_and_not1_saveexec_b32 s1, s1
	s_cbranch_execz .LBB109_17
; %bb.16:
	v_div_scale_f32 v1, null, v96, v96, v97
	v_div_scale_f32 v13, vcc_lo, v97, v96, v97
	s_delay_alu instid0(VALU_DEP_2) | instskip(SKIP_1) | instid1(TRANS32_DEP_1)
	v_rcp_f32_e32 v9, v1
	v_nop
	v_fma_f32 v11, -v1, v9, 1.0
	s_delay_alu instid0(VALU_DEP_1) | instskip(NEXT) | instid1(VALU_DEP_1)
	v_fmac_f32_e32 v9, v11, v9
	v_mul_f32_e32 v11, v13, v9
	s_delay_alu instid0(VALU_DEP_1) | instskip(NEXT) | instid1(VALU_DEP_1)
	v_fma_f32 v15, -v1, v11, v13
	v_fmac_f32_e32 v11, v15, v9
	s_delay_alu instid0(VALU_DEP_1) | instskip(NEXT) | instid1(VALU_DEP_1)
	v_fma_f32 v1, -v1, v11, v13
	v_div_fmas_f32 v1, v1, v9, v11
	s_delay_alu instid0(VALU_DEP_1) | instskip(NEXT) | instid1(VALU_DEP_1)
	v_div_fixup_f32 v1, v1, v96, v97
	v_fmac_f32_e32 v96, v97, v1
	s_delay_alu instid0(VALU_DEP_1) | instskip(SKIP_1) | instid1(VALU_DEP_2)
	v_div_scale_f32 v9, null, v96, v96, 1.0
	v_div_scale_f32 v15, vcc_lo, 1.0, v96, 1.0
	v_rcp_f32_e32 v11, v9
	v_nop
	s_delay_alu instid0(TRANS32_DEP_1) | instskip(NEXT) | instid1(VALU_DEP_1)
	v_fma_f32 v13, -v9, v11, 1.0
	v_fmac_f32_e32 v11, v13, v11
	s_delay_alu instid0(VALU_DEP_1) | instskip(NEXT) | instid1(VALU_DEP_1)
	v_mul_f32_e32 v13, v15, v11
	v_fma_f32 v17, -v9, v13, v15
	s_delay_alu instid0(VALU_DEP_1) | instskip(NEXT) | instid1(VALU_DEP_1)
	v_fmac_f32_e32 v13, v17, v11
	v_fma_f32 v9, -v9, v13, v15
	s_delay_alu instid0(VALU_DEP_1) | instskip(NEXT) | instid1(VALU_DEP_1)
	v_div_fmas_f32 v9, v9, v11, v13
	v_div_fixup_f32 v98, v9, v96, 1.0
	s_delay_alu instid0(VALU_DEP_1)
	v_xor_b32_e32 v100, 0x80000000, v98
	v_mul_f32_e64 v99, v1, -v98
.LBB109_17:
	s_or_b32 exec_lo, exec_lo, s1
	scratch_store_b64 v7, v[98:99], off
	scratch_load_b64 v[96:97], off, off offset:8
	v_xor_b32_e32 v101, 0x80000000, v99
	v_add_nc_u32_e32 v1, 0x170, v94
	s_wait_loadcnt 0x0
	ds_store_2addr_b64 v94, v[100:101], v[96:97] offset1:46
	s_wait_storecnt_dscnt 0x0
	s_barrier_signal -1
	s_barrier_wait -1
	s_wait_xcnt 0x0
	s_and_saveexec_b32 s1, s0
	s_cbranch_execz .LBB109_19
; %bb.18:
	scratch_load_b64 v[96:97], v7, off
	ds_load_b64 v[98:99], v1
	s_wait_loadcnt_dscnt 0x0
	v_pk_mul_f32 v[102:103], v[98:99], v[96:97] op_sel:[1,1] op_sel_hi:[0,1]
	s_delay_alu instid0(VALU_DEP_1) | instskip(SKIP_2) | instid1(VALU_DEP_3)
	v_pk_fma_f32 v[104:105], v[98:99], v[96:97], v[102:103] op_sel_hi:[1,0,1]
	v_mov_b32_e32 v9, 0
	v_pk_fma_f32 v[96:97], v[98:99], v[96:97], v[102:103] neg_lo:[0,0,1] neg_hi:[0,0,1]
	v_mov_b32_e32 v97, v105
	ds_load_b64 v[100:101], v9 offset:8
	v_pk_add_f32 v[96:97], v[96:97], 0 op_sel_hi:[1,0]
	s_wait_dscnt 0x0
	s_delay_alu instid0(VALU_DEP_1) | instskip(NEXT) | instid1(VALU_DEP_1)
	v_pk_mul_f32 v[98:99], v[96:97], v[100:101] op_sel:[1,1] op_sel_hi:[0,1]
	v_pk_fma_f32 v[102:103], v[96:97], v[100:101], v[98:99] op_sel_hi:[1,0,1]
	v_pk_fma_f32 v[96:97], v[96:97], v[100:101], v[98:99] neg_lo:[0,0,1] neg_hi:[0,0,1]
	s_delay_alu instid0(VALU_DEP_2)
	v_mov_b32_e32 v97, v103
	scratch_store_b64 off, v[96:97], off offset:8
.LBB109_19:
	s_wait_xcnt 0x0
	s_or_b32 exec_lo, exec_lo, s1
	s_wait_storecnt 0x0
	s_barrier_signal -1
	s_barrier_wait -1
	scratch_load_b64 v[96:97], off, off offset:16
	s_mov_b32 s1, exec_lo
	s_wait_loadcnt 0x0
	ds_store_b64 v1, v[96:97]
	s_wait_dscnt 0x0
	s_barrier_signal -1
	s_barrier_wait -1
	v_cmpx_gt_u32_e32 2, v0
	s_cbranch_execz .LBB109_23
; %bb.20:
	scratch_load_b64 v[96:97], v7, off
	ds_load_b64 v[98:99], v1
	s_wait_loadcnt_dscnt 0x0
	v_pk_mul_f32 v[100:101], v[98:99], v[96:97] op_sel:[1,1] op_sel_hi:[0,1]
	s_delay_alu instid0(VALU_DEP_1) | instskip(SKIP_1) | instid1(VALU_DEP_2)
	v_pk_fma_f32 v[102:103], v[98:99], v[96:97], v[100:101] op_sel_hi:[1,0,1]
	v_pk_fma_f32 v[96:97], v[98:99], v[96:97], v[100:101] neg_lo:[0,0,1] neg_hi:[0,0,1]
	v_mov_b32_e32 v97, v103
	s_delay_alu instid0(VALU_DEP_1)
	v_pk_add_f32 v[96:97], v[96:97], 0 op_sel_hi:[1,0]
	s_and_saveexec_b32 s4, s0
	s_cbranch_execz .LBB109_22
; %bb.21:
	scratch_load_b64 v[98:99], off, off offset:8
	v_mov_b32_e32 v7, 0
	ds_load_b64 v[100:101], v7 offset:376
	s_wait_loadcnt_dscnt 0x0
	v_pk_mul_f32 v[102:103], v[100:101], v[98:99] op_sel:[1,1] op_sel_hi:[0,1]
	s_delay_alu instid0(VALU_DEP_1) | instskip(SKIP_1) | instid1(VALU_DEP_2)
	v_pk_fma_f32 v[104:105], v[100:101], v[98:99], v[102:103] op_sel_hi:[1,0,1]
	v_pk_fma_f32 v[98:99], v[100:101], v[98:99], v[102:103] neg_lo:[0,0,1] neg_hi:[0,0,1]
	v_mov_b32_e32 v99, v105
	s_delay_alu instid0(VALU_DEP_1)
	v_pk_add_f32 v[96:97], v[96:97], v[98:99]
.LBB109_22:
	s_or_b32 exec_lo, exec_lo, s4
	v_mov_b32_e32 v7, 0
	ds_load_b64 v[98:99], v7 offset:16
	s_wait_dscnt 0x0
	v_pk_mul_f32 v[100:101], v[96:97], v[98:99] op_sel:[1,1] op_sel_hi:[0,1]
	s_delay_alu instid0(VALU_DEP_1) | instskip(SKIP_1) | instid1(VALU_DEP_2)
	v_pk_fma_f32 v[102:103], v[96:97], v[98:99], v[100:101] op_sel_hi:[1,0,1]
	v_pk_fma_f32 v[96:97], v[96:97], v[98:99], v[100:101] neg_lo:[0,0,1] neg_hi:[0,0,1]
	v_mov_b32_e32 v97, v103
	scratch_store_b64 off, v[96:97], off offset:16
.LBB109_23:
	s_wait_xcnt 0x0
	s_or_b32 exec_lo, exec_lo, s1
	s_wait_storecnt 0x0
	s_barrier_signal -1
	s_barrier_wait -1
	scratch_load_b64 v[96:97], off, off offset:24
	v_add_nc_u32_e32 v7, -1, v0
	s_mov_b32 s0, exec_lo
	s_wait_loadcnt 0x0
	ds_store_b64 v1, v[96:97]
	s_wait_dscnt 0x0
	s_barrier_signal -1
	s_barrier_wait -1
	v_cmpx_gt_u32_e32 3, v0
	s_cbranch_execz .LBB109_27
; %bb.24:
	v_dual_mov_b32 v96, 0 :: v_dual_add_nc_u32 v9, -1, v0
	v_add_nc_u32_e32 v11, 0x170, v94
	v_mov_b32_e32 v13, v94
	s_mov_b32 s1, 0
	s_delay_alu instid0(VALU_DEP_3)
	v_mov_b32_e32 v97, v96
.LBB109_25:                             ; =>This Inner Loop Header: Depth=1
	scratch_load_b64 v[98:99], v13, off
	ds_load_b64 v[100:101], v11
	s_wait_xcnt 0x0
	v_dual_add_nc_u32 v11, 8, v11 :: v_dual_add_nc_u32 v13, 8, v13
	s_wait_loadcnt_dscnt 0x0
	v_pk_mul_f32 v[102:103], v[100:101], v[98:99] op_sel:[1,1] op_sel_hi:[0,1]
	s_delay_alu instid0(VALU_DEP_1) | instskip(SKIP_2) | instid1(VALU_DEP_3)
	v_pk_fma_f32 v[104:105], v[100:101], v[98:99], v[102:103] op_sel_hi:[1,0,1]
	v_add_nc_u32_e32 v9, 1, v9
	v_pk_fma_f32 v[98:99], v[100:101], v[98:99], v[102:103] neg_lo:[0,0,1] neg_hi:[0,0,1]
	v_mov_b32_e32 v99, v105
	s_delay_alu instid0(VALU_DEP_3) | instskip(NEXT) | instid1(VALU_DEP_2)
	v_cmp_lt_u32_e32 vcc_lo, 1, v9
	v_pk_add_f32 v[96:97], v[96:97], v[98:99]
	s_or_b32 s1, vcc_lo, s1
	s_delay_alu instid0(SALU_CYCLE_1)
	s_and_not1_b32 exec_lo, exec_lo, s1
	s_cbranch_execnz .LBB109_25
; %bb.26:
	s_or_b32 exec_lo, exec_lo, s1
	v_mov_b32_e32 v9, 0
	ds_load_b64 v[98:99], v9 offset:24
	s_wait_dscnt 0x0
	v_pk_mul_f32 v[100:101], v[96:97], v[98:99] op_sel:[1,1] op_sel_hi:[0,1]
	s_delay_alu instid0(VALU_DEP_1) | instskip(SKIP_1) | instid1(VALU_DEP_2)
	v_pk_fma_f32 v[102:103], v[96:97], v[98:99], v[100:101] op_sel_hi:[1,0,1]
	v_pk_fma_f32 v[96:97], v[96:97], v[98:99], v[100:101] neg_lo:[0,0,1] neg_hi:[0,0,1]
	v_mov_b32_e32 v97, v103
	scratch_store_b64 off, v[96:97], off offset:24
.LBB109_27:
	s_wait_xcnt 0x0
	s_or_b32 exec_lo, exec_lo, s0
	s_wait_storecnt 0x0
	s_barrier_signal -1
	s_barrier_wait -1
	scratch_load_b64 v[96:97], off, off offset:32
	s_mov_b32 s0, exec_lo
	s_wait_loadcnt 0x0
	ds_store_b64 v1, v[96:97]
	s_wait_dscnt 0x0
	s_barrier_signal -1
	s_barrier_wait -1
	v_cmpx_gt_u32_e32 4, v0
	s_cbranch_execz .LBB109_31
; %bb.28:
	v_dual_mov_b32 v96, 0 :: v_dual_add_nc_u32 v9, -1, v0
	v_add_nc_u32_e32 v11, 0x170, v94
	v_mov_b32_e32 v13, v94
	s_mov_b32 s1, 0
	s_delay_alu instid0(VALU_DEP_3)
	v_mov_b32_e32 v97, v96
.LBB109_29:                             ; =>This Inner Loop Header: Depth=1
	scratch_load_b64 v[98:99], v13, off
	ds_load_b64 v[100:101], v11
	s_wait_xcnt 0x0
	v_dual_add_nc_u32 v11, 8, v11 :: v_dual_add_nc_u32 v13, 8, v13
	s_wait_loadcnt_dscnt 0x0
	v_pk_mul_f32 v[102:103], v[100:101], v[98:99] op_sel:[1,1] op_sel_hi:[0,1]
	s_delay_alu instid0(VALU_DEP_1) | instskip(SKIP_2) | instid1(VALU_DEP_3)
	v_pk_fma_f32 v[104:105], v[100:101], v[98:99], v[102:103] op_sel_hi:[1,0,1]
	v_add_nc_u32_e32 v9, 1, v9
	v_pk_fma_f32 v[98:99], v[100:101], v[98:99], v[102:103] neg_lo:[0,0,1] neg_hi:[0,0,1]
	v_mov_b32_e32 v99, v105
	s_delay_alu instid0(VALU_DEP_3) | instskip(NEXT) | instid1(VALU_DEP_2)
	v_cmp_lt_u32_e32 vcc_lo, 2, v9
	v_pk_add_f32 v[96:97], v[96:97], v[98:99]
	s_or_b32 s1, vcc_lo, s1
	s_delay_alu instid0(SALU_CYCLE_1)
	s_and_not1_b32 exec_lo, exec_lo, s1
	s_cbranch_execnz .LBB109_29
; %bb.30:
	s_or_b32 exec_lo, exec_lo, s1
	v_mov_b32_e32 v9, 0
	ds_load_b64 v[98:99], v9 offset:32
	s_wait_dscnt 0x0
	v_pk_mul_f32 v[100:101], v[96:97], v[98:99] op_sel:[1,1] op_sel_hi:[0,1]
	s_delay_alu instid0(VALU_DEP_1) | instskip(SKIP_1) | instid1(VALU_DEP_2)
	v_pk_fma_f32 v[102:103], v[96:97], v[98:99], v[100:101] op_sel_hi:[1,0,1]
	v_pk_fma_f32 v[96:97], v[96:97], v[98:99], v[100:101] neg_lo:[0,0,1] neg_hi:[0,0,1]
	v_mov_b32_e32 v97, v103
	scratch_store_b64 off, v[96:97], off offset:32
.LBB109_31:
	s_wait_xcnt 0x0
	s_or_b32 exec_lo, exec_lo, s0
	s_wait_storecnt 0x0
	s_barrier_signal -1
	s_barrier_wait -1
	scratch_load_b64 v[96:97], off, off offset:40
	;; [unrolled: 52-line block ×19, first 2 shown]
	s_mov_b32 s0, exec_lo
	s_wait_loadcnt 0x0
	ds_store_b64 v1, v[96:97]
	s_wait_dscnt 0x0
	s_barrier_signal -1
	s_barrier_wait -1
	v_cmpx_gt_u32_e32 22, v0
	s_cbranch_execz .LBB109_103
; %bb.100:
	v_dual_mov_b32 v96, 0 :: v_dual_add_nc_u32 v9, -1, v0
	v_add_nc_u32_e32 v11, 0x170, v94
	v_mov_b32_e32 v13, v94
	s_mov_b32 s1, 0
	s_delay_alu instid0(VALU_DEP_3)
	v_mov_b32_e32 v97, v96
.LBB109_101:                            ; =>This Inner Loop Header: Depth=1
	scratch_load_b64 v[98:99], v13, off
	ds_load_b64 v[100:101], v11
	s_wait_xcnt 0x0
	v_dual_add_nc_u32 v11, 8, v11 :: v_dual_add_nc_u32 v13, 8, v13
	s_wait_loadcnt_dscnt 0x0
	v_pk_mul_f32 v[102:103], v[100:101], v[98:99] op_sel:[1,1] op_sel_hi:[0,1]
	s_delay_alu instid0(VALU_DEP_1) | instskip(SKIP_2) | instid1(VALU_DEP_3)
	v_pk_fma_f32 v[104:105], v[100:101], v[98:99], v[102:103] op_sel_hi:[1,0,1]
	v_add_nc_u32_e32 v9, 1, v9
	v_pk_fma_f32 v[98:99], v[100:101], v[98:99], v[102:103] neg_lo:[0,0,1] neg_hi:[0,0,1]
	v_mov_b32_e32 v99, v105
	s_delay_alu instid0(VALU_DEP_3) | instskip(NEXT) | instid1(VALU_DEP_2)
	v_cmp_lt_u32_e32 vcc_lo, 20, v9
	v_pk_add_f32 v[96:97], v[96:97], v[98:99]
	s_or_b32 s1, vcc_lo, s1
	s_delay_alu instid0(SALU_CYCLE_1)
	s_and_not1_b32 exec_lo, exec_lo, s1
	s_cbranch_execnz .LBB109_101
; %bb.102:
	s_or_b32 exec_lo, exec_lo, s1
	v_mov_b32_e32 v9, 0
	ds_load_b64 v[98:99], v9 offset:176
	s_wait_dscnt 0x0
	v_pk_mul_f32 v[100:101], v[96:97], v[98:99] op_sel:[1,1] op_sel_hi:[0,1]
	s_delay_alu instid0(VALU_DEP_1) | instskip(SKIP_1) | instid1(VALU_DEP_2)
	v_pk_fma_f32 v[102:103], v[96:97], v[98:99], v[100:101] op_sel_hi:[1,0,1]
	v_pk_fma_f32 v[96:97], v[96:97], v[98:99], v[100:101] neg_lo:[0,0,1] neg_hi:[0,0,1]
	v_mov_b32_e32 v97, v103
	scratch_store_b64 off, v[96:97], off offset:176
.LBB109_103:
	s_wait_xcnt 0x0
	s_or_b32 exec_lo, exec_lo, s0
	s_wait_storecnt 0x0
	s_barrier_signal -1
	s_barrier_wait -1
	scratch_load_b64 v[96:97], off, off offset:184
	s_mov_b32 s0, exec_lo
	s_wait_loadcnt 0x0
	ds_store_b64 v1, v[96:97]
	s_wait_dscnt 0x0
	s_barrier_signal -1
	s_barrier_wait -1
	v_cmpx_gt_u32_e32 23, v0
	s_cbranch_execz .LBB109_107
; %bb.104:
	v_dual_mov_b32 v96, 0 :: v_dual_add_nc_u32 v9, -1, v0
	v_add_nc_u32_e32 v11, 0x170, v94
	v_mov_b32_e32 v13, v94
	s_mov_b32 s1, 0
	s_delay_alu instid0(VALU_DEP_3)
	v_mov_b32_e32 v97, v96
.LBB109_105:                            ; =>This Inner Loop Header: Depth=1
	scratch_load_b64 v[98:99], v13, off
	ds_load_b64 v[100:101], v11
	s_wait_xcnt 0x0
	v_dual_add_nc_u32 v11, 8, v11 :: v_dual_add_nc_u32 v13, 8, v13
	s_wait_loadcnt_dscnt 0x0
	v_pk_mul_f32 v[102:103], v[100:101], v[98:99] op_sel:[1,1] op_sel_hi:[0,1]
	s_delay_alu instid0(VALU_DEP_1) | instskip(SKIP_2) | instid1(VALU_DEP_3)
	v_pk_fma_f32 v[104:105], v[100:101], v[98:99], v[102:103] op_sel_hi:[1,0,1]
	v_add_nc_u32_e32 v9, 1, v9
	v_pk_fma_f32 v[98:99], v[100:101], v[98:99], v[102:103] neg_lo:[0,0,1] neg_hi:[0,0,1]
	v_mov_b32_e32 v99, v105
	s_delay_alu instid0(VALU_DEP_3) | instskip(NEXT) | instid1(VALU_DEP_2)
	v_cmp_lt_u32_e32 vcc_lo, 21, v9
	v_pk_add_f32 v[96:97], v[96:97], v[98:99]
	s_or_b32 s1, vcc_lo, s1
	s_delay_alu instid0(SALU_CYCLE_1)
	s_and_not1_b32 exec_lo, exec_lo, s1
	s_cbranch_execnz .LBB109_105
; %bb.106:
	s_or_b32 exec_lo, exec_lo, s1
	v_mov_b32_e32 v9, 0
	ds_load_b64 v[98:99], v9 offset:184
	s_wait_dscnt 0x0
	v_pk_mul_f32 v[100:101], v[96:97], v[98:99] op_sel:[1,1] op_sel_hi:[0,1]
	s_delay_alu instid0(VALU_DEP_1) | instskip(SKIP_1) | instid1(VALU_DEP_2)
	v_pk_fma_f32 v[102:103], v[96:97], v[98:99], v[100:101] op_sel_hi:[1,0,1]
	v_pk_fma_f32 v[96:97], v[96:97], v[98:99], v[100:101] neg_lo:[0,0,1] neg_hi:[0,0,1]
	v_mov_b32_e32 v97, v103
	scratch_store_b64 off, v[96:97], off offset:184
.LBB109_107:
	s_wait_xcnt 0x0
	s_or_b32 exec_lo, exec_lo, s0
	s_wait_storecnt 0x0
	s_barrier_signal -1
	s_barrier_wait -1
	scratch_load_b64 v[96:97], off, off offset:192
	s_mov_b32 s0, exec_lo
	s_wait_loadcnt 0x0
	ds_store_b64 v1, v[96:97]
	s_wait_dscnt 0x0
	s_barrier_signal -1
	s_barrier_wait -1
	v_cmpx_gt_u32_e32 24, v0
	s_cbranch_execz .LBB109_111
; %bb.108:
	v_dual_mov_b32 v96, 0 :: v_dual_add_nc_u32 v9, -1, v0
	v_add_nc_u32_e32 v11, 0x170, v94
	v_mov_b32_e32 v13, v94
	s_mov_b32 s1, 0
	s_delay_alu instid0(VALU_DEP_3)
	v_mov_b32_e32 v97, v96
.LBB109_109:                            ; =>This Inner Loop Header: Depth=1
	scratch_load_b64 v[98:99], v13, off
	ds_load_b64 v[100:101], v11
	s_wait_xcnt 0x0
	v_dual_add_nc_u32 v11, 8, v11 :: v_dual_add_nc_u32 v13, 8, v13
	s_wait_loadcnt_dscnt 0x0
	v_pk_mul_f32 v[102:103], v[100:101], v[98:99] op_sel:[1,1] op_sel_hi:[0,1]
	s_delay_alu instid0(VALU_DEP_1) | instskip(SKIP_2) | instid1(VALU_DEP_3)
	v_pk_fma_f32 v[104:105], v[100:101], v[98:99], v[102:103] op_sel_hi:[1,0,1]
	v_add_nc_u32_e32 v9, 1, v9
	v_pk_fma_f32 v[98:99], v[100:101], v[98:99], v[102:103] neg_lo:[0,0,1] neg_hi:[0,0,1]
	v_mov_b32_e32 v99, v105
	s_delay_alu instid0(VALU_DEP_3) | instskip(NEXT) | instid1(VALU_DEP_2)
	v_cmp_lt_u32_e32 vcc_lo, 22, v9
	v_pk_add_f32 v[96:97], v[96:97], v[98:99]
	s_or_b32 s1, vcc_lo, s1
	s_delay_alu instid0(SALU_CYCLE_1)
	s_and_not1_b32 exec_lo, exec_lo, s1
	s_cbranch_execnz .LBB109_109
; %bb.110:
	s_or_b32 exec_lo, exec_lo, s1
	v_mov_b32_e32 v9, 0
	ds_load_b64 v[98:99], v9 offset:192
	s_wait_dscnt 0x0
	v_pk_mul_f32 v[100:101], v[96:97], v[98:99] op_sel:[1,1] op_sel_hi:[0,1]
	s_delay_alu instid0(VALU_DEP_1) | instskip(SKIP_1) | instid1(VALU_DEP_2)
	v_pk_fma_f32 v[102:103], v[96:97], v[98:99], v[100:101] op_sel_hi:[1,0,1]
	v_pk_fma_f32 v[96:97], v[96:97], v[98:99], v[100:101] neg_lo:[0,0,1] neg_hi:[0,0,1]
	v_mov_b32_e32 v97, v103
	scratch_store_b64 off, v[96:97], off offset:192
.LBB109_111:
	s_wait_xcnt 0x0
	s_or_b32 exec_lo, exec_lo, s0
	s_wait_storecnt 0x0
	s_barrier_signal -1
	s_barrier_wait -1
	scratch_load_b64 v[96:97], off, off offset:200
	s_mov_b32 s0, exec_lo
	s_wait_loadcnt 0x0
	ds_store_b64 v1, v[96:97]
	s_wait_dscnt 0x0
	s_barrier_signal -1
	s_barrier_wait -1
	v_cmpx_gt_u32_e32 25, v0
	s_cbranch_execz .LBB109_115
; %bb.112:
	v_dual_mov_b32 v96, 0 :: v_dual_add_nc_u32 v9, -1, v0
	v_add_nc_u32_e32 v11, 0x170, v94
	v_mov_b32_e32 v13, v94
	s_mov_b32 s1, 0
	s_delay_alu instid0(VALU_DEP_3)
	v_mov_b32_e32 v97, v96
.LBB109_113:                            ; =>This Inner Loop Header: Depth=1
	scratch_load_b64 v[98:99], v13, off
	ds_load_b64 v[100:101], v11
	s_wait_xcnt 0x0
	v_dual_add_nc_u32 v11, 8, v11 :: v_dual_add_nc_u32 v13, 8, v13
	s_wait_loadcnt_dscnt 0x0
	v_pk_mul_f32 v[102:103], v[100:101], v[98:99] op_sel:[1,1] op_sel_hi:[0,1]
	s_delay_alu instid0(VALU_DEP_1) | instskip(SKIP_2) | instid1(VALU_DEP_3)
	v_pk_fma_f32 v[104:105], v[100:101], v[98:99], v[102:103] op_sel_hi:[1,0,1]
	v_add_nc_u32_e32 v9, 1, v9
	v_pk_fma_f32 v[98:99], v[100:101], v[98:99], v[102:103] neg_lo:[0,0,1] neg_hi:[0,0,1]
	v_mov_b32_e32 v99, v105
	s_delay_alu instid0(VALU_DEP_3) | instskip(NEXT) | instid1(VALU_DEP_2)
	v_cmp_lt_u32_e32 vcc_lo, 23, v9
	v_pk_add_f32 v[96:97], v[96:97], v[98:99]
	s_or_b32 s1, vcc_lo, s1
	s_delay_alu instid0(SALU_CYCLE_1)
	s_and_not1_b32 exec_lo, exec_lo, s1
	s_cbranch_execnz .LBB109_113
; %bb.114:
	s_or_b32 exec_lo, exec_lo, s1
	v_mov_b32_e32 v9, 0
	ds_load_b64 v[98:99], v9 offset:200
	s_wait_dscnt 0x0
	v_pk_mul_f32 v[100:101], v[96:97], v[98:99] op_sel:[1,1] op_sel_hi:[0,1]
	s_delay_alu instid0(VALU_DEP_1) | instskip(SKIP_1) | instid1(VALU_DEP_2)
	v_pk_fma_f32 v[102:103], v[96:97], v[98:99], v[100:101] op_sel_hi:[1,0,1]
	v_pk_fma_f32 v[96:97], v[96:97], v[98:99], v[100:101] neg_lo:[0,0,1] neg_hi:[0,0,1]
	v_mov_b32_e32 v97, v103
	scratch_store_b64 off, v[96:97], off offset:200
.LBB109_115:
	s_wait_xcnt 0x0
	s_or_b32 exec_lo, exec_lo, s0
	s_wait_storecnt 0x0
	s_barrier_signal -1
	s_barrier_wait -1
	scratch_load_b64 v[96:97], off, off offset:208
	s_mov_b32 s0, exec_lo
	s_wait_loadcnt 0x0
	ds_store_b64 v1, v[96:97]
	s_wait_dscnt 0x0
	s_barrier_signal -1
	s_barrier_wait -1
	v_cmpx_gt_u32_e32 26, v0
	s_cbranch_execz .LBB109_119
; %bb.116:
	v_dual_mov_b32 v96, 0 :: v_dual_add_nc_u32 v9, -1, v0
	v_add_nc_u32_e32 v11, 0x170, v94
	v_mov_b32_e32 v13, v94
	s_mov_b32 s1, 0
	s_delay_alu instid0(VALU_DEP_3)
	v_mov_b32_e32 v97, v96
.LBB109_117:                            ; =>This Inner Loop Header: Depth=1
	scratch_load_b64 v[98:99], v13, off
	ds_load_b64 v[100:101], v11
	s_wait_xcnt 0x0
	v_dual_add_nc_u32 v11, 8, v11 :: v_dual_add_nc_u32 v13, 8, v13
	s_wait_loadcnt_dscnt 0x0
	v_pk_mul_f32 v[102:103], v[100:101], v[98:99] op_sel:[1,1] op_sel_hi:[0,1]
	s_delay_alu instid0(VALU_DEP_1) | instskip(SKIP_2) | instid1(VALU_DEP_3)
	v_pk_fma_f32 v[104:105], v[100:101], v[98:99], v[102:103] op_sel_hi:[1,0,1]
	v_add_nc_u32_e32 v9, 1, v9
	v_pk_fma_f32 v[98:99], v[100:101], v[98:99], v[102:103] neg_lo:[0,0,1] neg_hi:[0,0,1]
	v_mov_b32_e32 v99, v105
	s_delay_alu instid0(VALU_DEP_3) | instskip(NEXT) | instid1(VALU_DEP_2)
	v_cmp_lt_u32_e32 vcc_lo, 24, v9
	v_pk_add_f32 v[96:97], v[96:97], v[98:99]
	s_or_b32 s1, vcc_lo, s1
	s_delay_alu instid0(SALU_CYCLE_1)
	s_and_not1_b32 exec_lo, exec_lo, s1
	s_cbranch_execnz .LBB109_117
; %bb.118:
	s_or_b32 exec_lo, exec_lo, s1
	v_mov_b32_e32 v9, 0
	ds_load_b64 v[98:99], v9 offset:208
	s_wait_dscnt 0x0
	v_pk_mul_f32 v[100:101], v[96:97], v[98:99] op_sel:[1,1] op_sel_hi:[0,1]
	s_delay_alu instid0(VALU_DEP_1) | instskip(SKIP_1) | instid1(VALU_DEP_2)
	v_pk_fma_f32 v[102:103], v[96:97], v[98:99], v[100:101] op_sel_hi:[1,0,1]
	v_pk_fma_f32 v[96:97], v[96:97], v[98:99], v[100:101] neg_lo:[0,0,1] neg_hi:[0,0,1]
	v_mov_b32_e32 v97, v103
	scratch_store_b64 off, v[96:97], off offset:208
.LBB109_119:
	s_wait_xcnt 0x0
	s_or_b32 exec_lo, exec_lo, s0
	s_wait_storecnt 0x0
	s_barrier_signal -1
	s_barrier_wait -1
	scratch_load_b64 v[96:97], off, off offset:216
	s_mov_b32 s0, exec_lo
	s_wait_loadcnt 0x0
	ds_store_b64 v1, v[96:97]
	s_wait_dscnt 0x0
	s_barrier_signal -1
	s_barrier_wait -1
	v_cmpx_gt_u32_e32 27, v0
	s_cbranch_execz .LBB109_123
; %bb.120:
	v_dual_mov_b32 v96, 0 :: v_dual_add_nc_u32 v9, -1, v0
	v_add_nc_u32_e32 v11, 0x170, v94
	v_mov_b32_e32 v13, v94
	s_mov_b32 s1, 0
	s_delay_alu instid0(VALU_DEP_3)
	v_mov_b32_e32 v97, v96
.LBB109_121:                            ; =>This Inner Loop Header: Depth=1
	scratch_load_b64 v[98:99], v13, off
	ds_load_b64 v[100:101], v11
	s_wait_xcnt 0x0
	v_dual_add_nc_u32 v11, 8, v11 :: v_dual_add_nc_u32 v13, 8, v13
	s_wait_loadcnt_dscnt 0x0
	v_pk_mul_f32 v[102:103], v[100:101], v[98:99] op_sel:[1,1] op_sel_hi:[0,1]
	s_delay_alu instid0(VALU_DEP_1) | instskip(SKIP_2) | instid1(VALU_DEP_3)
	v_pk_fma_f32 v[104:105], v[100:101], v[98:99], v[102:103] op_sel_hi:[1,0,1]
	v_add_nc_u32_e32 v9, 1, v9
	v_pk_fma_f32 v[98:99], v[100:101], v[98:99], v[102:103] neg_lo:[0,0,1] neg_hi:[0,0,1]
	v_mov_b32_e32 v99, v105
	s_delay_alu instid0(VALU_DEP_3) | instskip(NEXT) | instid1(VALU_DEP_2)
	v_cmp_lt_u32_e32 vcc_lo, 25, v9
	v_pk_add_f32 v[96:97], v[96:97], v[98:99]
	s_or_b32 s1, vcc_lo, s1
	s_delay_alu instid0(SALU_CYCLE_1)
	s_and_not1_b32 exec_lo, exec_lo, s1
	s_cbranch_execnz .LBB109_121
; %bb.122:
	s_or_b32 exec_lo, exec_lo, s1
	v_mov_b32_e32 v9, 0
	ds_load_b64 v[98:99], v9 offset:216
	s_wait_dscnt 0x0
	v_pk_mul_f32 v[100:101], v[96:97], v[98:99] op_sel:[1,1] op_sel_hi:[0,1]
	s_delay_alu instid0(VALU_DEP_1) | instskip(SKIP_1) | instid1(VALU_DEP_2)
	v_pk_fma_f32 v[102:103], v[96:97], v[98:99], v[100:101] op_sel_hi:[1,0,1]
	v_pk_fma_f32 v[96:97], v[96:97], v[98:99], v[100:101] neg_lo:[0,0,1] neg_hi:[0,0,1]
	v_mov_b32_e32 v97, v103
	scratch_store_b64 off, v[96:97], off offset:216
.LBB109_123:
	s_wait_xcnt 0x0
	s_or_b32 exec_lo, exec_lo, s0
	s_wait_storecnt 0x0
	s_barrier_signal -1
	s_barrier_wait -1
	scratch_load_b64 v[96:97], off, off offset:224
	s_mov_b32 s0, exec_lo
	s_wait_loadcnt 0x0
	ds_store_b64 v1, v[96:97]
	s_wait_dscnt 0x0
	s_barrier_signal -1
	s_barrier_wait -1
	v_cmpx_gt_u32_e32 28, v0
	s_cbranch_execz .LBB109_127
; %bb.124:
	v_dual_mov_b32 v96, 0 :: v_dual_add_nc_u32 v9, -1, v0
	v_add_nc_u32_e32 v11, 0x170, v94
	v_mov_b32_e32 v13, v94
	s_mov_b32 s1, 0
	s_delay_alu instid0(VALU_DEP_3)
	v_mov_b32_e32 v97, v96
.LBB109_125:                            ; =>This Inner Loop Header: Depth=1
	scratch_load_b64 v[98:99], v13, off
	ds_load_b64 v[100:101], v11
	s_wait_xcnt 0x0
	v_dual_add_nc_u32 v11, 8, v11 :: v_dual_add_nc_u32 v13, 8, v13
	s_wait_loadcnt_dscnt 0x0
	v_pk_mul_f32 v[102:103], v[100:101], v[98:99] op_sel:[1,1] op_sel_hi:[0,1]
	s_delay_alu instid0(VALU_DEP_1) | instskip(SKIP_2) | instid1(VALU_DEP_3)
	v_pk_fma_f32 v[104:105], v[100:101], v[98:99], v[102:103] op_sel_hi:[1,0,1]
	v_add_nc_u32_e32 v9, 1, v9
	v_pk_fma_f32 v[98:99], v[100:101], v[98:99], v[102:103] neg_lo:[0,0,1] neg_hi:[0,0,1]
	v_mov_b32_e32 v99, v105
	s_delay_alu instid0(VALU_DEP_3) | instskip(NEXT) | instid1(VALU_DEP_2)
	v_cmp_lt_u32_e32 vcc_lo, 26, v9
	v_pk_add_f32 v[96:97], v[96:97], v[98:99]
	s_or_b32 s1, vcc_lo, s1
	s_delay_alu instid0(SALU_CYCLE_1)
	s_and_not1_b32 exec_lo, exec_lo, s1
	s_cbranch_execnz .LBB109_125
; %bb.126:
	s_or_b32 exec_lo, exec_lo, s1
	v_mov_b32_e32 v9, 0
	ds_load_b64 v[98:99], v9 offset:224
	s_wait_dscnt 0x0
	v_pk_mul_f32 v[100:101], v[96:97], v[98:99] op_sel:[1,1] op_sel_hi:[0,1]
	s_delay_alu instid0(VALU_DEP_1) | instskip(SKIP_1) | instid1(VALU_DEP_2)
	v_pk_fma_f32 v[102:103], v[96:97], v[98:99], v[100:101] op_sel_hi:[1,0,1]
	v_pk_fma_f32 v[96:97], v[96:97], v[98:99], v[100:101] neg_lo:[0,0,1] neg_hi:[0,0,1]
	v_mov_b32_e32 v97, v103
	scratch_store_b64 off, v[96:97], off offset:224
.LBB109_127:
	s_wait_xcnt 0x0
	s_or_b32 exec_lo, exec_lo, s0
	s_wait_storecnt 0x0
	s_barrier_signal -1
	s_barrier_wait -1
	scratch_load_b64 v[96:97], off, off offset:232
	s_mov_b32 s0, exec_lo
	s_wait_loadcnt 0x0
	ds_store_b64 v1, v[96:97]
	s_wait_dscnt 0x0
	s_barrier_signal -1
	s_barrier_wait -1
	v_cmpx_gt_u32_e32 29, v0
	s_cbranch_execz .LBB109_131
; %bb.128:
	v_dual_mov_b32 v96, 0 :: v_dual_add_nc_u32 v9, -1, v0
	v_add_nc_u32_e32 v11, 0x170, v94
	v_mov_b32_e32 v13, v94
	s_mov_b32 s1, 0
	s_delay_alu instid0(VALU_DEP_3)
	v_mov_b32_e32 v97, v96
.LBB109_129:                            ; =>This Inner Loop Header: Depth=1
	scratch_load_b64 v[98:99], v13, off
	ds_load_b64 v[100:101], v11
	s_wait_xcnt 0x0
	v_dual_add_nc_u32 v11, 8, v11 :: v_dual_add_nc_u32 v13, 8, v13
	s_wait_loadcnt_dscnt 0x0
	v_pk_mul_f32 v[102:103], v[100:101], v[98:99] op_sel:[1,1] op_sel_hi:[0,1]
	s_delay_alu instid0(VALU_DEP_1) | instskip(SKIP_2) | instid1(VALU_DEP_3)
	v_pk_fma_f32 v[104:105], v[100:101], v[98:99], v[102:103] op_sel_hi:[1,0,1]
	v_add_nc_u32_e32 v9, 1, v9
	v_pk_fma_f32 v[98:99], v[100:101], v[98:99], v[102:103] neg_lo:[0,0,1] neg_hi:[0,0,1]
	v_mov_b32_e32 v99, v105
	s_delay_alu instid0(VALU_DEP_3) | instskip(NEXT) | instid1(VALU_DEP_2)
	v_cmp_lt_u32_e32 vcc_lo, 27, v9
	v_pk_add_f32 v[96:97], v[96:97], v[98:99]
	s_or_b32 s1, vcc_lo, s1
	s_delay_alu instid0(SALU_CYCLE_1)
	s_and_not1_b32 exec_lo, exec_lo, s1
	s_cbranch_execnz .LBB109_129
; %bb.130:
	s_or_b32 exec_lo, exec_lo, s1
	v_mov_b32_e32 v9, 0
	ds_load_b64 v[98:99], v9 offset:232
	s_wait_dscnt 0x0
	v_pk_mul_f32 v[100:101], v[96:97], v[98:99] op_sel:[1,1] op_sel_hi:[0,1]
	s_delay_alu instid0(VALU_DEP_1) | instskip(SKIP_1) | instid1(VALU_DEP_2)
	v_pk_fma_f32 v[102:103], v[96:97], v[98:99], v[100:101] op_sel_hi:[1,0,1]
	v_pk_fma_f32 v[96:97], v[96:97], v[98:99], v[100:101] neg_lo:[0,0,1] neg_hi:[0,0,1]
	v_mov_b32_e32 v97, v103
	scratch_store_b64 off, v[96:97], off offset:232
.LBB109_131:
	s_wait_xcnt 0x0
	s_or_b32 exec_lo, exec_lo, s0
	s_wait_storecnt 0x0
	s_barrier_signal -1
	s_barrier_wait -1
	scratch_load_b64 v[96:97], off, off offset:240
	s_mov_b32 s0, exec_lo
	s_wait_loadcnt 0x0
	ds_store_b64 v1, v[96:97]
	s_wait_dscnt 0x0
	s_barrier_signal -1
	s_barrier_wait -1
	v_cmpx_gt_u32_e32 30, v0
	s_cbranch_execz .LBB109_135
; %bb.132:
	v_dual_mov_b32 v96, 0 :: v_dual_add_nc_u32 v9, -1, v0
	v_add_nc_u32_e32 v11, 0x170, v94
	v_mov_b32_e32 v13, v94
	s_mov_b32 s1, 0
	s_delay_alu instid0(VALU_DEP_3)
	v_mov_b32_e32 v97, v96
.LBB109_133:                            ; =>This Inner Loop Header: Depth=1
	scratch_load_b64 v[98:99], v13, off
	ds_load_b64 v[100:101], v11
	s_wait_xcnt 0x0
	v_dual_add_nc_u32 v11, 8, v11 :: v_dual_add_nc_u32 v13, 8, v13
	s_wait_loadcnt_dscnt 0x0
	v_pk_mul_f32 v[102:103], v[100:101], v[98:99] op_sel:[1,1] op_sel_hi:[0,1]
	s_delay_alu instid0(VALU_DEP_1) | instskip(SKIP_2) | instid1(VALU_DEP_3)
	v_pk_fma_f32 v[104:105], v[100:101], v[98:99], v[102:103] op_sel_hi:[1,0,1]
	v_add_nc_u32_e32 v9, 1, v9
	v_pk_fma_f32 v[98:99], v[100:101], v[98:99], v[102:103] neg_lo:[0,0,1] neg_hi:[0,0,1]
	v_mov_b32_e32 v99, v105
	s_delay_alu instid0(VALU_DEP_3) | instskip(NEXT) | instid1(VALU_DEP_2)
	v_cmp_lt_u32_e32 vcc_lo, 28, v9
	v_pk_add_f32 v[96:97], v[96:97], v[98:99]
	s_or_b32 s1, vcc_lo, s1
	s_delay_alu instid0(SALU_CYCLE_1)
	s_and_not1_b32 exec_lo, exec_lo, s1
	s_cbranch_execnz .LBB109_133
; %bb.134:
	s_or_b32 exec_lo, exec_lo, s1
	v_mov_b32_e32 v9, 0
	ds_load_b64 v[98:99], v9 offset:240
	s_wait_dscnt 0x0
	v_pk_mul_f32 v[100:101], v[96:97], v[98:99] op_sel:[1,1] op_sel_hi:[0,1]
	s_delay_alu instid0(VALU_DEP_1) | instskip(SKIP_1) | instid1(VALU_DEP_2)
	v_pk_fma_f32 v[102:103], v[96:97], v[98:99], v[100:101] op_sel_hi:[1,0,1]
	v_pk_fma_f32 v[96:97], v[96:97], v[98:99], v[100:101] neg_lo:[0,0,1] neg_hi:[0,0,1]
	v_mov_b32_e32 v97, v103
	scratch_store_b64 off, v[96:97], off offset:240
.LBB109_135:
	s_wait_xcnt 0x0
	s_or_b32 exec_lo, exec_lo, s0
	s_wait_storecnt 0x0
	s_barrier_signal -1
	s_barrier_wait -1
	scratch_load_b64 v[96:97], off, off offset:248
	s_mov_b32 s0, exec_lo
	s_wait_loadcnt 0x0
	ds_store_b64 v1, v[96:97]
	s_wait_dscnt 0x0
	s_barrier_signal -1
	s_barrier_wait -1
	v_cmpx_gt_u32_e32 31, v0
	s_cbranch_execz .LBB109_139
; %bb.136:
	v_dual_mov_b32 v96, 0 :: v_dual_add_nc_u32 v9, -1, v0
	v_add_nc_u32_e32 v11, 0x170, v94
	v_mov_b32_e32 v13, v94
	s_mov_b32 s1, 0
	s_delay_alu instid0(VALU_DEP_3)
	v_mov_b32_e32 v97, v96
.LBB109_137:                            ; =>This Inner Loop Header: Depth=1
	scratch_load_b64 v[98:99], v13, off
	ds_load_b64 v[100:101], v11
	s_wait_xcnt 0x0
	v_dual_add_nc_u32 v11, 8, v11 :: v_dual_add_nc_u32 v13, 8, v13
	s_wait_loadcnt_dscnt 0x0
	v_pk_mul_f32 v[102:103], v[100:101], v[98:99] op_sel:[1,1] op_sel_hi:[0,1]
	s_delay_alu instid0(VALU_DEP_1) | instskip(SKIP_2) | instid1(VALU_DEP_3)
	v_pk_fma_f32 v[104:105], v[100:101], v[98:99], v[102:103] op_sel_hi:[1,0,1]
	v_add_nc_u32_e32 v9, 1, v9
	v_pk_fma_f32 v[98:99], v[100:101], v[98:99], v[102:103] neg_lo:[0,0,1] neg_hi:[0,0,1]
	v_mov_b32_e32 v99, v105
	s_delay_alu instid0(VALU_DEP_3) | instskip(NEXT) | instid1(VALU_DEP_2)
	v_cmp_lt_u32_e32 vcc_lo, 29, v9
	v_pk_add_f32 v[96:97], v[96:97], v[98:99]
	s_or_b32 s1, vcc_lo, s1
	s_delay_alu instid0(SALU_CYCLE_1)
	s_and_not1_b32 exec_lo, exec_lo, s1
	s_cbranch_execnz .LBB109_137
; %bb.138:
	s_or_b32 exec_lo, exec_lo, s1
	v_mov_b32_e32 v9, 0
	ds_load_b64 v[98:99], v9 offset:248
	s_wait_dscnt 0x0
	v_pk_mul_f32 v[100:101], v[96:97], v[98:99] op_sel:[1,1] op_sel_hi:[0,1]
	s_delay_alu instid0(VALU_DEP_1) | instskip(SKIP_1) | instid1(VALU_DEP_2)
	v_pk_fma_f32 v[102:103], v[96:97], v[98:99], v[100:101] op_sel_hi:[1,0,1]
	v_pk_fma_f32 v[96:97], v[96:97], v[98:99], v[100:101] neg_lo:[0,0,1] neg_hi:[0,0,1]
	v_mov_b32_e32 v97, v103
	scratch_store_b64 off, v[96:97], off offset:248
.LBB109_139:
	s_wait_xcnt 0x0
	s_or_b32 exec_lo, exec_lo, s0
	s_wait_storecnt 0x0
	s_barrier_signal -1
	s_barrier_wait -1
	scratch_load_b64 v[96:97], off, off offset:256
	s_mov_b32 s0, exec_lo
	s_wait_loadcnt 0x0
	ds_store_b64 v1, v[96:97]
	s_wait_dscnt 0x0
	s_barrier_signal -1
	s_barrier_wait -1
	v_cmpx_gt_u32_e32 32, v0
	s_cbranch_execz .LBB109_143
; %bb.140:
	v_dual_mov_b32 v96, 0 :: v_dual_add_nc_u32 v9, -1, v0
	v_add_nc_u32_e32 v11, 0x170, v94
	v_mov_b32_e32 v13, v94
	s_mov_b32 s1, 0
	s_delay_alu instid0(VALU_DEP_3)
	v_mov_b32_e32 v97, v96
.LBB109_141:                            ; =>This Inner Loop Header: Depth=1
	scratch_load_b64 v[98:99], v13, off
	ds_load_b64 v[100:101], v11
	s_wait_xcnt 0x0
	v_dual_add_nc_u32 v11, 8, v11 :: v_dual_add_nc_u32 v13, 8, v13
	s_wait_loadcnt_dscnt 0x0
	v_pk_mul_f32 v[102:103], v[100:101], v[98:99] op_sel:[1,1] op_sel_hi:[0,1]
	s_delay_alu instid0(VALU_DEP_1) | instskip(SKIP_2) | instid1(VALU_DEP_3)
	v_pk_fma_f32 v[104:105], v[100:101], v[98:99], v[102:103] op_sel_hi:[1,0,1]
	v_add_nc_u32_e32 v9, 1, v9
	v_pk_fma_f32 v[98:99], v[100:101], v[98:99], v[102:103] neg_lo:[0,0,1] neg_hi:[0,0,1]
	v_mov_b32_e32 v99, v105
	s_delay_alu instid0(VALU_DEP_3) | instskip(NEXT) | instid1(VALU_DEP_2)
	v_cmp_lt_u32_e32 vcc_lo, 30, v9
	v_pk_add_f32 v[96:97], v[96:97], v[98:99]
	s_or_b32 s1, vcc_lo, s1
	s_delay_alu instid0(SALU_CYCLE_1)
	s_and_not1_b32 exec_lo, exec_lo, s1
	s_cbranch_execnz .LBB109_141
; %bb.142:
	s_or_b32 exec_lo, exec_lo, s1
	v_mov_b32_e32 v9, 0
	ds_load_b64 v[98:99], v9 offset:256
	s_wait_dscnt 0x0
	v_pk_mul_f32 v[100:101], v[96:97], v[98:99] op_sel:[1,1] op_sel_hi:[0,1]
	s_delay_alu instid0(VALU_DEP_1) | instskip(SKIP_1) | instid1(VALU_DEP_2)
	v_pk_fma_f32 v[102:103], v[96:97], v[98:99], v[100:101] op_sel_hi:[1,0,1]
	v_pk_fma_f32 v[96:97], v[96:97], v[98:99], v[100:101] neg_lo:[0,0,1] neg_hi:[0,0,1]
	v_mov_b32_e32 v97, v103
	scratch_store_b64 off, v[96:97], off offset:256
.LBB109_143:
	s_wait_xcnt 0x0
	s_or_b32 exec_lo, exec_lo, s0
	s_wait_storecnt 0x0
	s_barrier_signal -1
	s_barrier_wait -1
	scratch_load_b64 v[96:97], off, off offset:264
	s_mov_b32 s0, exec_lo
	s_wait_loadcnt 0x0
	ds_store_b64 v1, v[96:97]
	s_wait_dscnt 0x0
	s_barrier_signal -1
	s_barrier_wait -1
	v_cmpx_gt_u32_e32 33, v0
	s_cbranch_execz .LBB109_147
; %bb.144:
	v_dual_mov_b32 v96, 0 :: v_dual_add_nc_u32 v9, -1, v0
	v_add_nc_u32_e32 v11, 0x170, v94
	v_mov_b32_e32 v13, v94
	s_mov_b32 s1, 0
	s_delay_alu instid0(VALU_DEP_3)
	v_mov_b32_e32 v97, v96
.LBB109_145:                            ; =>This Inner Loop Header: Depth=1
	scratch_load_b64 v[98:99], v13, off
	ds_load_b64 v[100:101], v11
	s_wait_xcnt 0x0
	v_dual_add_nc_u32 v11, 8, v11 :: v_dual_add_nc_u32 v13, 8, v13
	s_wait_loadcnt_dscnt 0x0
	v_pk_mul_f32 v[102:103], v[100:101], v[98:99] op_sel:[1,1] op_sel_hi:[0,1]
	s_delay_alu instid0(VALU_DEP_1) | instskip(SKIP_2) | instid1(VALU_DEP_3)
	v_pk_fma_f32 v[104:105], v[100:101], v[98:99], v[102:103] op_sel_hi:[1,0,1]
	v_add_nc_u32_e32 v9, 1, v9
	v_pk_fma_f32 v[98:99], v[100:101], v[98:99], v[102:103] neg_lo:[0,0,1] neg_hi:[0,0,1]
	v_mov_b32_e32 v99, v105
	s_delay_alu instid0(VALU_DEP_3) | instskip(NEXT) | instid1(VALU_DEP_2)
	v_cmp_lt_u32_e32 vcc_lo, 31, v9
	v_pk_add_f32 v[96:97], v[96:97], v[98:99]
	s_or_b32 s1, vcc_lo, s1
	s_delay_alu instid0(SALU_CYCLE_1)
	s_and_not1_b32 exec_lo, exec_lo, s1
	s_cbranch_execnz .LBB109_145
; %bb.146:
	s_or_b32 exec_lo, exec_lo, s1
	v_mov_b32_e32 v9, 0
	ds_load_b64 v[98:99], v9 offset:264
	s_wait_dscnt 0x0
	v_pk_mul_f32 v[100:101], v[96:97], v[98:99] op_sel:[1,1] op_sel_hi:[0,1]
	s_delay_alu instid0(VALU_DEP_1) | instskip(SKIP_1) | instid1(VALU_DEP_2)
	v_pk_fma_f32 v[102:103], v[96:97], v[98:99], v[100:101] op_sel_hi:[1,0,1]
	v_pk_fma_f32 v[96:97], v[96:97], v[98:99], v[100:101] neg_lo:[0,0,1] neg_hi:[0,0,1]
	v_mov_b32_e32 v97, v103
	scratch_store_b64 off, v[96:97], off offset:264
.LBB109_147:
	s_wait_xcnt 0x0
	s_or_b32 exec_lo, exec_lo, s0
	s_wait_storecnt 0x0
	s_barrier_signal -1
	s_barrier_wait -1
	scratch_load_b64 v[96:97], off, off offset:272
	s_mov_b32 s0, exec_lo
	s_wait_loadcnt 0x0
	ds_store_b64 v1, v[96:97]
	s_wait_dscnt 0x0
	s_barrier_signal -1
	s_barrier_wait -1
	v_cmpx_gt_u32_e32 34, v0
	s_cbranch_execz .LBB109_151
; %bb.148:
	v_dual_mov_b32 v96, 0 :: v_dual_add_nc_u32 v9, -1, v0
	v_add_nc_u32_e32 v11, 0x170, v94
	v_mov_b32_e32 v13, v94
	s_mov_b32 s1, 0
	s_delay_alu instid0(VALU_DEP_3)
	v_mov_b32_e32 v97, v96
.LBB109_149:                            ; =>This Inner Loop Header: Depth=1
	scratch_load_b64 v[98:99], v13, off
	ds_load_b64 v[100:101], v11
	s_wait_xcnt 0x0
	v_dual_add_nc_u32 v11, 8, v11 :: v_dual_add_nc_u32 v13, 8, v13
	s_wait_loadcnt_dscnt 0x0
	v_pk_mul_f32 v[102:103], v[100:101], v[98:99] op_sel:[1,1] op_sel_hi:[0,1]
	s_delay_alu instid0(VALU_DEP_1) | instskip(SKIP_2) | instid1(VALU_DEP_3)
	v_pk_fma_f32 v[104:105], v[100:101], v[98:99], v[102:103] op_sel_hi:[1,0,1]
	v_add_nc_u32_e32 v9, 1, v9
	v_pk_fma_f32 v[98:99], v[100:101], v[98:99], v[102:103] neg_lo:[0,0,1] neg_hi:[0,0,1]
	v_mov_b32_e32 v99, v105
	s_delay_alu instid0(VALU_DEP_3) | instskip(NEXT) | instid1(VALU_DEP_2)
	v_cmp_lt_u32_e32 vcc_lo, 32, v9
	v_pk_add_f32 v[96:97], v[96:97], v[98:99]
	s_or_b32 s1, vcc_lo, s1
	s_delay_alu instid0(SALU_CYCLE_1)
	s_and_not1_b32 exec_lo, exec_lo, s1
	s_cbranch_execnz .LBB109_149
; %bb.150:
	s_or_b32 exec_lo, exec_lo, s1
	v_mov_b32_e32 v9, 0
	ds_load_b64 v[98:99], v9 offset:272
	s_wait_dscnt 0x0
	v_pk_mul_f32 v[100:101], v[96:97], v[98:99] op_sel:[1,1] op_sel_hi:[0,1]
	s_delay_alu instid0(VALU_DEP_1) | instskip(SKIP_1) | instid1(VALU_DEP_2)
	v_pk_fma_f32 v[102:103], v[96:97], v[98:99], v[100:101] op_sel_hi:[1,0,1]
	v_pk_fma_f32 v[96:97], v[96:97], v[98:99], v[100:101] neg_lo:[0,0,1] neg_hi:[0,0,1]
	v_mov_b32_e32 v97, v103
	scratch_store_b64 off, v[96:97], off offset:272
.LBB109_151:
	s_wait_xcnt 0x0
	s_or_b32 exec_lo, exec_lo, s0
	s_wait_storecnt 0x0
	s_barrier_signal -1
	s_barrier_wait -1
	scratch_load_b64 v[96:97], off, off offset:280
	s_mov_b32 s0, exec_lo
	s_wait_loadcnt 0x0
	ds_store_b64 v1, v[96:97]
	s_wait_dscnt 0x0
	s_barrier_signal -1
	s_barrier_wait -1
	v_cmpx_gt_u32_e32 35, v0
	s_cbranch_execz .LBB109_155
; %bb.152:
	v_dual_mov_b32 v96, 0 :: v_dual_add_nc_u32 v9, -1, v0
	v_add_nc_u32_e32 v11, 0x170, v94
	v_mov_b32_e32 v13, v94
	s_mov_b32 s1, 0
	s_delay_alu instid0(VALU_DEP_3)
	v_mov_b32_e32 v97, v96
.LBB109_153:                            ; =>This Inner Loop Header: Depth=1
	scratch_load_b64 v[98:99], v13, off
	ds_load_b64 v[100:101], v11
	s_wait_xcnt 0x0
	v_dual_add_nc_u32 v11, 8, v11 :: v_dual_add_nc_u32 v13, 8, v13
	s_wait_loadcnt_dscnt 0x0
	v_pk_mul_f32 v[102:103], v[100:101], v[98:99] op_sel:[1,1] op_sel_hi:[0,1]
	s_delay_alu instid0(VALU_DEP_1) | instskip(SKIP_2) | instid1(VALU_DEP_3)
	v_pk_fma_f32 v[104:105], v[100:101], v[98:99], v[102:103] op_sel_hi:[1,0,1]
	v_add_nc_u32_e32 v9, 1, v9
	v_pk_fma_f32 v[98:99], v[100:101], v[98:99], v[102:103] neg_lo:[0,0,1] neg_hi:[0,0,1]
	v_mov_b32_e32 v99, v105
	s_delay_alu instid0(VALU_DEP_3) | instskip(NEXT) | instid1(VALU_DEP_2)
	v_cmp_lt_u32_e32 vcc_lo, 33, v9
	v_pk_add_f32 v[96:97], v[96:97], v[98:99]
	s_or_b32 s1, vcc_lo, s1
	s_delay_alu instid0(SALU_CYCLE_1)
	s_and_not1_b32 exec_lo, exec_lo, s1
	s_cbranch_execnz .LBB109_153
; %bb.154:
	s_or_b32 exec_lo, exec_lo, s1
	v_mov_b32_e32 v9, 0
	ds_load_b64 v[98:99], v9 offset:280
	s_wait_dscnt 0x0
	v_pk_mul_f32 v[100:101], v[96:97], v[98:99] op_sel:[1,1] op_sel_hi:[0,1]
	s_delay_alu instid0(VALU_DEP_1) | instskip(SKIP_1) | instid1(VALU_DEP_2)
	v_pk_fma_f32 v[102:103], v[96:97], v[98:99], v[100:101] op_sel_hi:[1,0,1]
	v_pk_fma_f32 v[96:97], v[96:97], v[98:99], v[100:101] neg_lo:[0,0,1] neg_hi:[0,0,1]
	v_mov_b32_e32 v97, v103
	scratch_store_b64 off, v[96:97], off offset:280
.LBB109_155:
	s_wait_xcnt 0x0
	s_or_b32 exec_lo, exec_lo, s0
	s_wait_storecnt 0x0
	s_barrier_signal -1
	s_barrier_wait -1
	scratch_load_b64 v[96:97], off, off offset:288
	s_mov_b32 s0, exec_lo
	s_wait_loadcnt 0x0
	ds_store_b64 v1, v[96:97]
	s_wait_dscnt 0x0
	s_barrier_signal -1
	s_barrier_wait -1
	v_cmpx_gt_u32_e32 36, v0
	s_cbranch_execz .LBB109_159
; %bb.156:
	v_dual_mov_b32 v96, 0 :: v_dual_add_nc_u32 v9, -1, v0
	v_add_nc_u32_e32 v11, 0x170, v94
	v_mov_b32_e32 v13, v94
	s_mov_b32 s1, 0
	s_delay_alu instid0(VALU_DEP_3)
	v_mov_b32_e32 v97, v96
.LBB109_157:                            ; =>This Inner Loop Header: Depth=1
	scratch_load_b64 v[98:99], v13, off
	ds_load_b64 v[100:101], v11
	s_wait_xcnt 0x0
	v_dual_add_nc_u32 v11, 8, v11 :: v_dual_add_nc_u32 v13, 8, v13
	s_wait_loadcnt_dscnt 0x0
	v_pk_mul_f32 v[102:103], v[100:101], v[98:99] op_sel:[1,1] op_sel_hi:[0,1]
	s_delay_alu instid0(VALU_DEP_1) | instskip(SKIP_2) | instid1(VALU_DEP_3)
	v_pk_fma_f32 v[104:105], v[100:101], v[98:99], v[102:103] op_sel_hi:[1,0,1]
	v_add_nc_u32_e32 v9, 1, v9
	v_pk_fma_f32 v[98:99], v[100:101], v[98:99], v[102:103] neg_lo:[0,0,1] neg_hi:[0,0,1]
	v_mov_b32_e32 v99, v105
	s_delay_alu instid0(VALU_DEP_3) | instskip(NEXT) | instid1(VALU_DEP_2)
	v_cmp_lt_u32_e32 vcc_lo, 34, v9
	v_pk_add_f32 v[96:97], v[96:97], v[98:99]
	s_or_b32 s1, vcc_lo, s1
	s_delay_alu instid0(SALU_CYCLE_1)
	s_and_not1_b32 exec_lo, exec_lo, s1
	s_cbranch_execnz .LBB109_157
; %bb.158:
	s_or_b32 exec_lo, exec_lo, s1
	v_mov_b32_e32 v9, 0
	ds_load_b64 v[98:99], v9 offset:288
	s_wait_dscnt 0x0
	v_pk_mul_f32 v[100:101], v[96:97], v[98:99] op_sel:[1,1] op_sel_hi:[0,1]
	s_delay_alu instid0(VALU_DEP_1) | instskip(SKIP_1) | instid1(VALU_DEP_2)
	v_pk_fma_f32 v[102:103], v[96:97], v[98:99], v[100:101] op_sel_hi:[1,0,1]
	v_pk_fma_f32 v[96:97], v[96:97], v[98:99], v[100:101] neg_lo:[0,0,1] neg_hi:[0,0,1]
	v_mov_b32_e32 v97, v103
	scratch_store_b64 off, v[96:97], off offset:288
.LBB109_159:
	s_wait_xcnt 0x0
	s_or_b32 exec_lo, exec_lo, s0
	s_wait_storecnt 0x0
	s_barrier_signal -1
	s_barrier_wait -1
	scratch_load_b64 v[96:97], off, off offset:296
	s_mov_b32 s0, exec_lo
	s_wait_loadcnt 0x0
	ds_store_b64 v1, v[96:97]
	s_wait_dscnt 0x0
	s_barrier_signal -1
	s_barrier_wait -1
	v_cmpx_gt_u32_e32 37, v0
	s_cbranch_execz .LBB109_163
; %bb.160:
	v_dual_mov_b32 v96, 0 :: v_dual_add_nc_u32 v9, -1, v0
	v_add_nc_u32_e32 v11, 0x170, v94
	v_mov_b32_e32 v13, v94
	s_mov_b32 s1, 0
	s_delay_alu instid0(VALU_DEP_3)
	v_mov_b32_e32 v97, v96
.LBB109_161:                            ; =>This Inner Loop Header: Depth=1
	scratch_load_b64 v[98:99], v13, off
	ds_load_b64 v[100:101], v11
	s_wait_xcnt 0x0
	v_dual_add_nc_u32 v11, 8, v11 :: v_dual_add_nc_u32 v13, 8, v13
	s_wait_loadcnt_dscnt 0x0
	v_pk_mul_f32 v[102:103], v[100:101], v[98:99] op_sel:[1,1] op_sel_hi:[0,1]
	s_delay_alu instid0(VALU_DEP_1) | instskip(SKIP_2) | instid1(VALU_DEP_3)
	v_pk_fma_f32 v[104:105], v[100:101], v[98:99], v[102:103] op_sel_hi:[1,0,1]
	v_add_nc_u32_e32 v9, 1, v9
	v_pk_fma_f32 v[98:99], v[100:101], v[98:99], v[102:103] neg_lo:[0,0,1] neg_hi:[0,0,1]
	v_mov_b32_e32 v99, v105
	s_delay_alu instid0(VALU_DEP_3) | instskip(NEXT) | instid1(VALU_DEP_2)
	v_cmp_lt_u32_e32 vcc_lo, 35, v9
	v_pk_add_f32 v[96:97], v[96:97], v[98:99]
	s_or_b32 s1, vcc_lo, s1
	s_delay_alu instid0(SALU_CYCLE_1)
	s_and_not1_b32 exec_lo, exec_lo, s1
	s_cbranch_execnz .LBB109_161
; %bb.162:
	s_or_b32 exec_lo, exec_lo, s1
	v_mov_b32_e32 v9, 0
	ds_load_b64 v[98:99], v9 offset:296
	s_wait_dscnt 0x0
	v_pk_mul_f32 v[100:101], v[96:97], v[98:99] op_sel:[1,1] op_sel_hi:[0,1]
	s_delay_alu instid0(VALU_DEP_1) | instskip(SKIP_1) | instid1(VALU_DEP_2)
	v_pk_fma_f32 v[102:103], v[96:97], v[98:99], v[100:101] op_sel_hi:[1,0,1]
	v_pk_fma_f32 v[96:97], v[96:97], v[98:99], v[100:101] neg_lo:[0,0,1] neg_hi:[0,0,1]
	v_mov_b32_e32 v97, v103
	scratch_store_b64 off, v[96:97], off offset:296
.LBB109_163:
	s_wait_xcnt 0x0
	s_or_b32 exec_lo, exec_lo, s0
	s_wait_storecnt 0x0
	s_barrier_signal -1
	s_barrier_wait -1
	scratch_load_b64 v[96:97], off, off offset:304
	s_mov_b32 s0, exec_lo
	s_wait_loadcnt 0x0
	ds_store_b64 v1, v[96:97]
	s_wait_dscnt 0x0
	s_barrier_signal -1
	s_barrier_wait -1
	v_cmpx_gt_u32_e32 38, v0
	s_cbranch_execz .LBB109_167
; %bb.164:
	v_dual_mov_b32 v96, 0 :: v_dual_add_nc_u32 v9, -1, v0
	v_add_nc_u32_e32 v11, 0x170, v94
	v_mov_b32_e32 v13, v94
	s_mov_b32 s1, 0
	s_delay_alu instid0(VALU_DEP_3)
	v_mov_b32_e32 v97, v96
.LBB109_165:                            ; =>This Inner Loop Header: Depth=1
	scratch_load_b64 v[98:99], v13, off
	ds_load_b64 v[100:101], v11
	s_wait_xcnt 0x0
	v_dual_add_nc_u32 v11, 8, v11 :: v_dual_add_nc_u32 v13, 8, v13
	s_wait_loadcnt_dscnt 0x0
	v_pk_mul_f32 v[102:103], v[100:101], v[98:99] op_sel:[1,1] op_sel_hi:[0,1]
	s_delay_alu instid0(VALU_DEP_1) | instskip(SKIP_2) | instid1(VALU_DEP_3)
	v_pk_fma_f32 v[104:105], v[100:101], v[98:99], v[102:103] op_sel_hi:[1,0,1]
	v_add_nc_u32_e32 v9, 1, v9
	v_pk_fma_f32 v[98:99], v[100:101], v[98:99], v[102:103] neg_lo:[0,0,1] neg_hi:[0,0,1]
	v_mov_b32_e32 v99, v105
	s_delay_alu instid0(VALU_DEP_3) | instskip(NEXT) | instid1(VALU_DEP_2)
	v_cmp_lt_u32_e32 vcc_lo, 36, v9
	v_pk_add_f32 v[96:97], v[96:97], v[98:99]
	s_or_b32 s1, vcc_lo, s1
	s_delay_alu instid0(SALU_CYCLE_1)
	s_and_not1_b32 exec_lo, exec_lo, s1
	s_cbranch_execnz .LBB109_165
; %bb.166:
	s_or_b32 exec_lo, exec_lo, s1
	v_mov_b32_e32 v9, 0
	ds_load_b64 v[98:99], v9 offset:304
	s_wait_dscnt 0x0
	v_pk_mul_f32 v[100:101], v[96:97], v[98:99] op_sel:[1,1] op_sel_hi:[0,1]
	s_delay_alu instid0(VALU_DEP_1) | instskip(SKIP_1) | instid1(VALU_DEP_2)
	v_pk_fma_f32 v[102:103], v[96:97], v[98:99], v[100:101] op_sel_hi:[1,0,1]
	v_pk_fma_f32 v[96:97], v[96:97], v[98:99], v[100:101] neg_lo:[0,0,1] neg_hi:[0,0,1]
	v_mov_b32_e32 v97, v103
	scratch_store_b64 off, v[96:97], off offset:304
.LBB109_167:
	s_wait_xcnt 0x0
	s_or_b32 exec_lo, exec_lo, s0
	s_wait_storecnt 0x0
	s_barrier_signal -1
	s_barrier_wait -1
	scratch_load_b64 v[96:97], off, off offset:312
	s_mov_b32 s0, exec_lo
	s_wait_loadcnt 0x0
	ds_store_b64 v1, v[96:97]
	s_wait_dscnt 0x0
	s_barrier_signal -1
	s_barrier_wait -1
	v_cmpx_gt_u32_e32 39, v0
	s_cbranch_execz .LBB109_171
; %bb.168:
	v_dual_mov_b32 v96, 0 :: v_dual_add_nc_u32 v9, -1, v0
	v_add_nc_u32_e32 v11, 0x170, v94
	v_mov_b32_e32 v13, v94
	s_mov_b32 s1, 0
	s_delay_alu instid0(VALU_DEP_3)
	v_mov_b32_e32 v97, v96
.LBB109_169:                            ; =>This Inner Loop Header: Depth=1
	scratch_load_b64 v[98:99], v13, off
	ds_load_b64 v[100:101], v11
	s_wait_xcnt 0x0
	v_dual_add_nc_u32 v11, 8, v11 :: v_dual_add_nc_u32 v13, 8, v13
	s_wait_loadcnt_dscnt 0x0
	v_pk_mul_f32 v[102:103], v[100:101], v[98:99] op_sel:[1,1] op_sel_hi:[0,1]
	s_delay_alu instid0(VALU_DEP_1) | instskip(SKIP_2) | instid1(VALU_DEP_3)
	v_pk_fma_f32 v[104:105], v[100:101], v[98:99], v[102:103] op_sel_hi:[1,0,1]
	v_add_nc_u32_e32 v9, 1, v9
	v_pk_fma_f32 v[98:99], v[100:101], v[98:99], v[102:103] neg_lo:[0,0,1] neg_hi:[0,0,1]
	v_mov_b32_e32 v99, v105
	s_delay_alu instid0(VALU_DEP_3) | instskip(NEXT) | instid1(VALU_DEP_2)
	v_cmp_lt_u32_e32 vcc_lo, 37, v9
	v_pk_add_f32 v[96:97], v[96:97], v[98:99]
	s_or_b32 s1, vcc_lo, s1
	s_delay_alu instid0(SALU_CYCLE_1)
	s_and_not1_b32 exec_lo, exec_lo, s1
	s_cbranch_execnz .LBB109_169
; %bb.170:
	s_or_b32 exec_lo, exec_lo, s1
	v_mov_b32_e32 v9, 0
	ds_load_b64 v[98:99], v9 offset:312
	s_wait_dscnt 0x0
	v_pk_mul_f32 v[100:101], v[96:97], v[98:99] op_sel:[1,1] op_sel_hi:[0,1]
	s_delay_alu instid0(VALU_DEP_1) | instskip(SKIP_1) | instid1(VALU_DEP_2)
	v_pk_fma_f32 v[102:103], v[96:97], v[98:99], v[100:101] op_sel_hi:[1,0,1]
	v_pk_fma_f32 v[96:97], v[96:97], v[98:99], v[100:101] neg_lo:[0,0,1] neg_hi:[0,0,1]
	v_mov_b32_e32 v97, v103
	scratch_store_b64 off, v[96:97], off offset:312
.LBB109_171:
	s_wait_xcnt 0x0
	s_or_b32 exec_lo, exec_lo, s0
	s_wait_storecnt 0x0
	s_barrier_signal -1
	s_barrier_wait -1
	scratch_load_b64 v[96:97], off, off offset:320
	s_mov_b32 s0, exec_lo
	s_wait_loadcnt 0x0
	ds_store_b64 v1, v[96:97]
	s_wait_dscnt 0x0
	s_barrier_signal -1
	s_barrier_wait -1
	v_cmpx_gt_u32_e32 40, v0
	s_cbranch_execz .LBB109_175
; %bb.172:
	v_dual_mov_b32 v96, 0 :: v_dual_add_nc_u32 v9, -1, v0
	v_add_nc_u32_e32 v11, 0x170, v94
	v_mov_b32_e32 v13, v94
	s_mov_b32 s1, 0
	s_delay_alu instid0(VALU_DEP_3)
	v_mov_b32_e32 v97, v96
.LBB109_173:                            ; =>This Inner Loop Header: Depth=1
	scratch_load_b64 v[98:99], v13, off
	ds_load_b64 v[100:101], v11
	s_wait_xcnt 0x0
	v_dual_add_nc_u32 v11, 8, v11 :: v_dual_add_nc_u32 v13, 8, v13
	s_wait_loadcnt_dscnt 0x0
	v_pk_mul_f32 v[102:103], v[100:101], v[98:99] op_sel:[1,1] op_sel_hi:[0,1]
	s_delay_alu instid0(VALU_DEP_1) | instskip(SKIP_2) | instid1(VALU_DEP_3)
	v_pk_fma_f32 v[104:105], v[100:101], v[98:99], v[102:103] op_sel_hi:[1,0,1]
	v_add_nc_u32_e32 v9, 1, v9
	v_pk_fma_f32 v[98:99], v[100:101], v[98:99], v[102:103] neg_lo:[0,0,1] neg_hi:[0,0,1]
	v_mov_b32_e32 v99, v105
	s_delay_alu instid0(VALU_DEP_3) | instskip(NEXT) | instid1(VALU_DEP_2)
	v_cmp_lt_u32_e32 vcc_lo, 38, v9
	v_pk_add_f32 v[96:97], v[96:97], v[98:99]
	s_or_b32 s1, vcc_lo, s1
	s_delay_alu instid0(SALU_CYCLE_1)
	s_and_not1_b32 exec_lo, exec_lo, s1
	s_cbranch_execnz .LBB109_173
; %bb.174:
	s_or_b32 exec_lo, exec_lo, s1
	v_mov_b32_e32 v9, 0
	ds_load_b64 v[98:99], v9 offset:320
	s_wait_dscnt 0x0
	v_pk_mul_f32 v[100:101], v[96:97], v[98:99] op_sel:[1,1] op_sel_hi:[0,1]
	s_delay_alu instid0(VALU_DEP_1) | instskip(SKIP_1) | instid1(VALU_DEP_2)
	v_pk_fma_f32 v[102:103], v[96:97], v[98:99], v[100:101] op_sel_hi:[1,0,1]
	v_pk_fma_f32 v[96:97], v[96:97], v[98:99], v[100:101] neg_lo:[0,0,1] neg_hi:[0,0,1]
	v_mov_b32_e32 v97, v103
	scratch_store_b64 off, v[96:97], off offset:320
.LBB109_175:
	s_wait_xcnt 0x0
	s_or_b32 exec_lo, exec_lo, s0
	s_wait_storecnt 0x0
	s_barrier_signal -1
	s_barrier_wait -1
	scratch_load_b64 v[96:97], off, off offset:328
	s_mov_b32 s0, exec_lo
	s_wait_loadcnt 0x0
	ds_store_b64 v1, v[96:97]
	s_wait_dscnt 0x0
	s_barrier_signal -1
	s_barrier_wait -1
	v_cmpx_gt_u32_e32 41, v0
	s_cbranch_execz .LBB109_179
; %bb.176:
	v_dual_mov_b32 v96, 0 :: v_dual_add_nc_u32 v9, -1, v0
	v_add_nc_u32_e32 v11, 0x170, v94
	v_mov_b32_e32 v13, v94
	s_mov_b32 s1, 0
	s_delay_alu instid0(VALU_DEP_3)
	v_mov_b32_e32 v97, v96
.LBB109_177:                            ; =>This Inner Loop Header: Depth=1
	scratch_load_b64 v[98:99], v13, off
	ds_load_b64 v[100:101], v11
	s_wait_xcnt 0x0
	v_dual_add_nc_u32 v11, 8, v11 :: v_dual_add_nc_u32 v13, 8, v13
	s_wait_loadcnt_dscnt 0x0
	v_pk_mul_f32 v[102:103], v[100:101], v[98:99] op_sel:[1,1] op_sel_hi:[0,1]
	s_delay_alu instid0(VALU_DEP_1) | instskip(SKIP_2) | instid1(VALU_DEP_3)
	v_pk_fma_f32 v[104:105], v[100:101], v[98:99], v[102:103] op_sel_hi:[1,0,1]
	v_add_nc_u32_e32 v9, 1, v9
	v_pk_fma_f32 v[98:99], v[100:101], v[98:99], v[102:103] neg_lo:[0,0,1] neg_hi:[0,0,1]
	v_mov_b32_e32 v99, v105
	s_delay_alu instid0(VALU_DEP_3) | instskip(NEXT) | instid1(VALU_DEP_2)
	v_cmp_lt_u32_e32 vcc_lo, 39, v9
	v_pk_add_f32 v[96:97], v[96:97], v[98:99]
	s_or_b32 s1, vcc_lo, s1
	s_delay_alu instid0(SALU_CYCLE_1)
	s_and_not1_b32 exec_lo, exec_lo, s1
	s_cbranch_execnz .LBB109_177
; %bb.178:
	s_or_b32 exec_lo, exec_lo, s1
	v_mov_b32_e32 v9, 0
	ds_load_b64 v[98:99], v9 offset:328
	s_wait_dscnt 0x0
	v_pk_mul_f32 v[100:101], v[96:97], v[98:99] op_sel:[1,1] op_sel_hi:[0,1]
	s_delay_alu instid0(VALU_DEP_1) | instskip(SKIP_1) | instid1(VALU_DEP_2)
	v_pk_fma_f32 v[102:103], v[96:97], v[98:99], v[100:101] op_sel_hi:[1,0,1]
	v_pk_fma_f32 v[96:97], v[96:97], v[98:99], v[100:101] neg_lo:[0,0,1] neg_hi:[0,0,1]
	v_mov_b32_e32 v97, v103
	scratch_store_b64 off, v[96:97], off offset:328
.LBB109_179:
	s_wait_xcnt 0x0
	s_or_b32 exec_lo, exec_lo, s0
	s_wait_storecnt 0x0
	s_barrier_signal -1
	s_barrier_wait -1
	scratch_load_b64 v[96:97], off, off offset:336
	s_mov_b32 s0, exec_lo
	s_wait_loadcnt 0x0
	ds_store_b64 v1, v[96:97]
	s_wait_dscnt 0x0
	s_barrier_signal -1
	s_barrier_wait -1
	v_cmpx_gt_u32_e32 42, v0
	s_cbranch_execz .LBB109_183
; %bb.180:
	v_dual_mov_b32 v96, 0 :: v_dual_add_nc_u32 v9, -1, v0
	v_add_nc_u32_e32 v11, 0x170, v94
	v_mov_b32_e32 v13, v94
	s_mov_b32 s1, 0
	s_delay_alu instid0(VALU_DEP_3)
	v_mov_b32_e32 v97, v96
.LBB109_181:                            ; =>This Inner Loop Header: Depth=1
	scratch_load_b64 v[98:99], v13, off
	ds_load_b64 v[100:101], v11
	s_wait_xcnt 0x0
	v_dual_add_nc_u32 v11, 8, v11 :: v_dual_add_nc_u32 v13, 8, v13
	s_wait_loadcnt_dscnt 0x0
	v_pk_mul_f32 v[102:103], v[100:101], v[98:99] op_sel:[1,1] op_sel_hi:[0,1]
	s_delay_alu instid0(VALU_DEP_1) | instskip(SKIP_2) | instid1(VALU_DEP_3)
	v_pk_fma_f32 v[104:105], v[100:101], v[98:99], v[102:103] op_sel_hi:[1,0,1]
	v_add_nc_u32_e32 v9, 1, v9
	v_pk_fma_f32 v[98:99], v[100:101], v[98:99], v[102:103] neg_lo:[0,0,1] neg_hi:[0,0,1]
	v_mov_b32_e32 v99, v105
	s_delay_alu instid0(VALU_DEP_3) | instskip(NEXT) | instid1(VALU_DEP_2)
	v_cmp_lt_u32_e32 vcc_lo, 40, v9
	v_pk_add_f32 v[96:97], v[96:97], v[98:99]
	s_or_b32 s1, vcc_lo, s1
	s_delay_alu instid0(SALU_CYCLE_1)
	s_and_not1_b32 exec_lo, exec_lo, s1
	s_cbranch_execnz .LBB109_181
; %bb.182:
	s_or_b32 exec_lo, exec_lo, s1
	v_mov_b32_e32 v9, 0
	ds_load_b64 v[98:99], v9 offset:336
	s_wait_dscnt 0x0
	v_pk_mul_f32 v[100:101], v[96:97], v[98:99] op_sel:[1,1] op_sel_hi:[0,1]
	s_delay_alu instid0(VALU_DEP_1) | instskip(SKIP_1) | instid1(VALU_DEP_2)
	v_pk_fma_f32 v[102:103], v[96:97], v[98:99], v[100:101] op_sel_hi:[1,0,1]
	v_pk_fma_f32 v[96:97], v[96:97], v[98:99], v[100:101] neg_lo:[0,0,1] neg_hi:[0,0,1]
	v_mov_b32_e32 v97, v103
	scratch_store_b64 off, v[96:97], off offset:336
.LBB109_183:
	s_wait_xcnt 0x0
	s_or_b32 exec_lo, exec_lo, s0
	s_wait_storecnt 0x0
	s_barrier_signal -1
	s_barrier_wait -1
	scratch_load_b64 v[96:97], off, off offset:344
	s_mov_b32 s0, exec_lo
	s_wait_loadcnt 0x0
	ds_store_b64 v1, v[96:97]
	s_wait_dscnt 0x0
	s_barrier_signal -1
	s_barrier_wait -1
	v_cmpx_gt_u32_e32 43, v0
	s_cbranch_execz .LBB109_187
; %bb.184:
	v_dual_mov_b32 v96, 0 :: v_dual_add_nc_u32 v9, -1, v0
	v_add_nc_u32_e32 v11, 0x170, v94
	v_mov_b32_e32 v13, v94
	s_mov_b32 s1, 0
	s_delay_alu instid0(VALU_DEP_3)
	v_mov_b32_e32 v97, v96
.LBB109_185:                            ; =>This Inner Loop Header: Depth=1
	scratch_load_b64 v[98:99], v13, off
	ds_load_b64 v[100:101], v11
	s_wait_xcnt 0x0
	v_dual_add_nc_u32 v11, 8, v11 :: v_dual_add_nc_u32 v13, 8, v13
	s_wait_loadcnt_dscnt 0x0
	v_pk_mul_f32 v[102:103], v[100:101], v[98:99] op_sel:[1,1] op_sel_hi:[0,1]
	s_delay_alu instid0(VALU_DEP_1) | instskip(SKIP_2) | instid1(VALU_DEP_3)
	v_pk_fma_f32 v[104:105], v[100:101], v[98:99], v[102:103] op_sel_hi:[1,0,1]
	v_add_nc_u32_e32 v9, 1, v9
	v_pk_fma_f32 v[98:99], v[100:101], v[98:99], v[102:103] neg_lo:[0,0,1] neg_hi:[0,0,1]
	v_mov_b32_e32 v99, v105
	s_delay_alu instid0(VALU_DEP_3) | instskip(NEXT) | instid1(VALU_DEP_2)
	v_cmp_lt_u32_e32 vcc_lo, 41, v9
	v_pk_add_f32 v[96:97], v[96:97], v[98:99]
	s_or_b32 s1, vcc_lo, s1
	s_delay_alu instid0(SALU_CYCLE_1)
	s_and_not1_b32 exec_lo, exec_lo, s1
	s_cbranch_execnz .LBB109_185
; %bb.186:
	s_or_b32 exec_lo, exec_lo, s1
	v_mov_b32_e32 v9, 0
	ds_load_b64 v[98:99], v9 offset:344
	s_wait_dscnt 0x0
	v_pk_mul_f32 v[100:101], v[96:97], v[98:99] op_sel:[1,1] op_sel_hi:[0,1]
	s_delay_alu instid0(VALU_DEP_1) | instskip(SKIP_1) | instid1(VALU_DEP_2)
	v_pk_fma_f32 v[102:103], v[96:97], v[98:99], v[100:101] op_sel_hi:[1,0,1]
	v_pk_fma_f32 v[96:97], v[96:97], v[98:99], v[100:101] neg_lo:[0,0,1] neg_hi:[0,0,1]
	v_mov_b32_e32 v97, v103
	scratch_store_b64 off, v[96:97], off offset:344
.LBB109_187:
	s_wait_xcnt 0x0
	s_or_b32 exec_lo, exec_lo, s0
	s_wait_storecnt 0x0
	s_barrier_signal -1
	s_barrier_wait -1
	scratch_load_b64 v[96:97], off, off offset:352
	s_mov_b32 s0, exec_lo
	s_wait_loadcnt 0x0
	ds_store_b64 v1, v[96:97]
	s_wait_dscnt 0x0
	s_barrier_signal -1
	s_barrier_wait -1
	v_cmpx_gt_u32_e32 44, v0
	s_cbranch_execz .LBB109_191
; %bb.188:
	v_dual_mov_b32 v96, 0 :: v_dual_add_nc_u32 v9, -1, v0
	v_add_nc_u32_e32 v11, 0x170, v94
	v_mov_b32_e32 v13, v94
	s_mov_b32 s1, 0
	s_delay_alu instid0(VALU_DEP_3)
	v_mov_b32_e32 v97, v96
.LBB109_189:                            ; =>This Inner Loop Header: Depth=1
	scratch_load_b64 v[98:99], v13, off
	ds_load_b64 v[100:101], v11
	s_wait_xcnt 0x0
	v_dual_add_nc_u32 v11, 8, v11 :: v_dual_add_nc_u32 v13, 8, v13
	s_wait_loadcnt_dscnt 0x0
	v_pk_mul_f32 v[102:103], v[100:101], v[98:99] op_sel:[1,1] op_sel_hi:[0,1]
	s_delay_alu instid0(VALU_DEP_1) | instskip(SKIP_2) | instid1(VALU_DEP_3)
	v_pk_fma_f32 v[104:105], v[100:101], v[98:99], v[102:103] op_sel_hi:[1,0,1]
	v_add_nc_u32_e32 v9, 1, v9
	v_pk_fma_f32 v[98:99], v[100:101], v[98:99], v[102:103] neg_lo:[0,0,1] neg_hi:[0,0,1]
	v_mov_b32_e32 v99, v105
	s_delay_alu instid0(VALU_DEP_3) | instskip(NEXT) | instid1(VALU_DEP_2)
	v_cmp_lt_u32_e32 vcc_lo, 42, v9
	v_pk_add_f32 v[96:97], v[96:97], v[98:99]
	s_or_b32 s1, vcc_lo, s1
	s_delay_alu instid0(SALU_CYCLE_1)
	s_and_not1_b32 exec_lo, exec_lo, s1
	s_cbranch_execnz .LBB109_189
; %bb.190:
	s_or_b32 exec_lo, exec_lo, s1
	v_mov_b32_e32 v9, 0
	ds_load_b64 v[98:99], v9 offset:352
	s_wait_dscnt 0x0
	v_pk_mul_f32 v[100:101], v[96:97], v[98:99] op_sel:[1,1] op_sel_hi:[0,1]
	s_delay_alu instid0(VALU_DEP_1) | instskip(SKIP_1) | instid1(VALU_DEP_2)
	v_pk_fma_f32 v[102:103], v[96:97], v[98:99], v[100:101] op_sel_hi:[1,0,1]
	v_pk_fma_f32 v[96:97], v[96:97], v[98:99], v[100:101] neg_lo:[0,0,1] neg_hi:[0,0,1]
	v_mov_b32_e32 v97, v103
	scratch_store_b64 off, v[96:97], off offset:352
.LBB109_191:
	s_wait_xcnt 0x0
	s_or_b32 exec_lo, exec_lo, s0
	s_wait_storecnt 0x0
	s_barrier_signal -1
	s_barrier_wait -1
	scratch_load_b64 v[96:97], off, off offset:360
	s_mov_b32 s0, exec_lo
	s_wait_loadcnt 0x0
	ds_store_b64 v1, v[96:97]
	s_wait_dscnt 0x0
	s_barrier_signal -1
	s_barrier_wait -1
	v_cmpx_ne_u32_e32 45, v0
	s_cbranch_execz .LBB109_195
; %bb.192:
	v_dual_mov_b32 v96, 0 :: v_dual_mov_b32 v9, v94
	s_mov_b32 s1, 0
	s_delay_alu instid0(VALU_DEP_1)
	v_mov_b32_e32 v97, v96
.LBB109_193:                            ; =>This Inner Loop Header: Depth=1
	scratch_load_b64 v[94:95], v9, off
	ds_load_b64 v[98:99], v1
	v_add_nc_u32_e32 v1, 8, v1
	s_wait_xcnt 0x0
	v_add_nc_u32_e32 v9, 8, v9
	s_wait_loadcnt_dscnt 0x0
	v_pk_mul_f32 v[100:101], v[98:99], v[94:95] op_sel:[1,1] op_sel_hi:[0,1]
	s_delay_alu instid0(VALU_DEP_1) | instskip(SKIP_2) | instid1(VALU_DEP_3)
	v_pk_fma_f32 v[102:103], v[98:99], v[94:95], v[100:101] op_sel_hi:[1,0,1]
	v_add_nc_u32_e32 v7, 1, v7
	v_pk_fma_f32 v[94:95], v[98:99], v[94:95], v[100:101] neg_lo:[0,0,1] neg_hi:[0,0,1]
	v_mov_b32_e32 v95, v103
	s_delay_alu instid0(VALU_DEP_3) | instskip(NEXT) | instid1(VALU_DEP_2)
	v_cmp_lt_u32_e32 vcc_lo, 43, v7
	v_pk_add_f32 v[96:97], v[96:97], v[94:95]
	s_or_b32 s1, vcc_lo, s1
	s_delay_alu instid0(SALU_CYCLE_1)
	s_and_not1_b32 exec_lo, exec_lo, s1
	s_cbranch_execnz .LBB109_193
; %bb.194:
	s_or_b32 exec_lo, exec_lo, s1
	v_mov_b32_e32 v1, 0
	ds_load_b64 v[94:95], v1 offset:360
	s_wait_dscnt 0x0
	v_pk_mul_f32 v[98:99], v[96:97], v[94:95] op_sel:[1,1] op_sel_hi:[0,1]
	s_delay_alu instid0(VALU_DEP_1) | instskip(SKIP_1) | instid1(VALU_DEP_2)
	v_pk_fma_f32 v[100:101], v[96:97], v[94:95], v[98:99] op_sel_hi:[1,0,1]
	v_pk_fma_f32 v[94:95], v[96:97], v[94:95], v[98:99] neg_lo:[0,0,1] neg_hi:[0,0,1]
	v_mov_b32_e32 v95, v101
	scratch_store_b64 off, v[94:95], off offset:360
.LBB109_195:
	s_wait_xcnt 0x0
	s_or_b32 exec_lo, exec_lo, s0
	s_mov_b32 s1, -1
	s_wait_storecnt 0x0
	s_barrier_signal -1
	s_barrier_wait -1
.LBB109_196:
	s_and_b32 vcc_lo, exec_lo, s1
	s_cbranch_vccz .LBB109_198
; %bb.197:
	v_mov_b32_e32 v1, 0
	s_lshl_b64 s[0:1], s[10:11], 2
	s_delay_alu instid0(SALU_CYCLE_1)
	s_add_nc_u64 s[0:1], s[6:7], s[0:1]
	global_load_b32 v1, v1, s[0:1]
	s_wait_loadcnt 0x0
	v_cmp_ne_u32_e32 vcc_lo, 0, v1
	s_cbranch_vccz .LBB109_199
.LBB109_198:
	s_sendmsg sendmsg(MSG_DEALLOC_VGPRS)
	s_endpgm
.LBB109_199:
	s_wait_xcnt 0x0
	v_lshl_add_u32 v1, v0, 3, 0x170
	s_mov_b32 s0, exec_lo
	v_cmpx_eq_u32_e32 45, v0
	s_cbranch_execz .LBB109_201
; %bb.200:
	scratch_load_b64 v[94:95], off, off offset:352
	v_mov_b64_e32 v[96:97], 0
	scratch_store_b64 off, v[96:97], off offset:352
	s_wait_loadcnt 0x0
	ds_store_b64 v1, v[94:95]
.LBB109_201:
	s_wait_xcnt 0x0
	s_or_b32 exec_lo, exec_lo, s0
	s_wait_storecnt_dscnt 0x0
	s_barrier_signal -1
	s_barrier_wait -1
	s_clause 0x1
	scratch_load_b64 v[94:95], off, off offset:360
	scratch_load_b64 v[96:97], off, off offset:352
	v_mov_b32_e32 v7, 0
	s_mov_b32 s0, exec_lo
	ds_load_b64 v[98:99], v7 offset:728
	s_wait_loadcnt_dscnt 0x100
	v_pk_mul_f32 v[100:101], v[98:99], v[94:95] op_sel:[1,1] op_sel_hi:[0,1]
	s_delay_alu instid0(VALU_DEP_1) | instskip(SKIP_1) | instid1(VALU_DEP_2)
	v_pk_fma_f32 v[102:103], v[98:99], v[94:95], v[100:101] op_sel_hi:[1,0,1]
	v_pk_fma_f32 v[94:95], v[98:99], v[94:95], v[100:101] neg_lo:[0,0,1] neg_hi:[0,0,1]
	v_mov_b32_e32 v95, v103
	s_delay_alu instid0(VALU_DEP_1) | instskip(SKIP_1) | instid1(VALU_DEP_1)
	v_pk_add_f32 v[94:95], v[94:95], 0 op_sel_hi:[1,0]
	s_wait_loadcnt 0x0
	v_pk_add_f32 v[94:95], v[96:97], v[94:95] neg_lo:[0,1] neg_hi:[0,1]
	scratch_store_b64 off, v[94:95], off offset:352
	s_wait_xcnt 0x0
	v_cmpx_lt_u32_e32 43, v0
	s_cbranch_execz .LBB109_203
; %bb.202:
	scratch_load_b64 v[94:95], off, off offset:344
	v_mov_b64_e32 v[96:97], 0
	scratch_store_b64 off, v[96:97], off offset:344
	s_wait_loadcnt 0x0
	ds_store_b64 v1, v[94:95]
.LBB109_203:
	s_wait_xcnt 0x0
	s_or_b32 exec_lo, exec_lo, s0
	s_wait_storecnt_dscnt 0x0
	s_barrier_signal -1
	s_barrier_wait -1
	s_clause 0x1
	scratch_load_b128 v[94:97], off, off offset:352
	scratch_load_b64 v[102:103], off, off offset:344
	ds_load_b128 v[98:101], v7 offset:720
	s_mov_b32 s0, exec_lo
	s_wait_dscnt 0x0
	v_dual_mov_b32 v104, v101 :: v_dual_mov_b32 v105, v100
	s_wait_loadcnt 0x1
	v_pk_mul_f32 v[106:107], v[98:99], v[94:95] op_sel:[1,1] op_sel_hi:[0,1]
	s_delay_alu instid0(VALU_DEP_1) | instskip(SKIP_2) | instid1(VALU_DEP_3)
	v_pk_fma_f32 v[110:111], v[98:99], v[94:95], v[106:107] op_sel_hi:[1,0,1]
	v_mov_b32_e32 v108, v97
	v_pk_fma_f32 v[94:95], v[98:99], v[94:95], v[106:107] neg_lo:[0,0,1] neg_hi:[0,0,1]
	v_mov_b32_e32 v95, v111
	s_delay_alu instid0(VALU_DEP_3) | instskip(NEXT) | instid1(VALU_DEP_2)
	v_pk_mul_f32 v[104:105], v[104:105], v[108:109] op_sel_hi:[1,0]
	v_pk_add_f32 v[94:95], v[94:95], 0 op_sel_hi:[1,0]
	s_delay_alu instid0(VALU_DEP_2) | instskip(SKIP_1) | instid1(VALU_DEP_2)
	v_pk_fma_f32 v[98:99], v[100:101], v[96:97], v[104:105] op_sel_hi:[1,0,1]
	v_pk_fma_f32 v[96:97], v[100:101], v[96:97], v[104:105] neg_lo:[0,0,1] neg_hi:[0,0,1]
	v_mov_b32_e32 v97, v99
	s_delay_alu instid0(VALU_DEP_1) | instskip(SKIP_1) | instid1(VALU_DEP_1)
	v_pk_add_f32 v[94:95], v[94:95], v[96:97]
	s_wait_loadcnt 0x0
	v_pk_add_f32 v[94:95], v[102:103], v[94:95] neg_lo:[0,1] neg_hi:[0,1]
	scratch_store_b64 off, v[94:95], off offset:344
	s_wait_xcnt 0x0
	v_cmpx_lt_u32_e32 42, v0
	s_cbranch_execz .LBB109_205
; %bb.204:
	scratch_load_b64 v[94:95], off, off offset:336
	v_mov_b64_e32 v[96:97], 0
	scratch_store_b64 off, v[96:97], off offset:336
	s_wait_loadcnt 0x0
	ds_store_b64 v1, v[94:95]
.LBB109_205:
	s_wait_xcnt 0x0
	s_or_b32 exec_lo, exec_lo, s0
	s_wait_storecnt_dscnt 0x0
	s_barrier_signal -1
	s_barrier_wait -1
	s_clause 0x2
	scratch_load_b128 v[94:97], off, off offset:344
	scratch_load_b64 v[102:103], off, off offset:360
	scratch_load_b64 v[104:105], off, off offset:336
	v_mov_b32_e32 v7, 0
	ds_load_2addr_b64 v[98:101], v7 offset0:89 offset1:90
	ds_load_b64 v[106:107], v7 offset:728
	s_mov_b32 s0, exec_lo
	s_wait_dscnt 0x1
	v_dual_mov_b32 v108, v101 :: v_dual_mov_b32 v109, v100
	s_wait_loadcnt 0x2
	v_mov_b32_e32 v112, v97
	v_pk_mul_f32 v[110:111], v[98:99], v[94:95] op_sel:[1,1] op_sel_hi:[0,1]
	s_delay_alu instid0(VALU_DEP_2) | instskip(NEXT) | instid1(VALU_DEP_2)
	v_pk_mul_f32 v[108:109], v[108:109], v[112:113] op_sel_hi:[1,0]
	v_pk_fma_f32 v[114:115], v[98:99], v[94:95], v[110:111] op_sel_hi:[1,0,1]
	v_pk_fma_f32 v[94:95], v[98:99], v[94:95], v[110:111] neg_lo:[0,0,1] neg_hi:[0,0,1]
	s_wait_loadcnt_dscnt 0x100
	v_pk_mul_f32 v[110:111], v[106:107], v[102:103] op_sel:[1,1] op_sel_hi:[0,1]
	v_pk_fma_f32 v[98:99], v[100:101], v[96:97], v[108:109] op_sel_hi:[1,0,1]
	v_mov_b32_e32 v95, v115
	v_pk_fma_f32 v[96:97], v[100:101], v[96:97], v[108:109] neg_lo:[0,0,1] neg_hi:[0,0,1]
	s_delay_alu instid0(VALU_DEP_4) | instskip(NEXT) | instid1(VALU_DEP_4)
	v_pk_fma_f32 v[100:101], v[106:107], v[102:103], v[110:111] neg_lo:[0,0,1] neg_hi:[0,0,1]
	v_mov_b32_e32 v97, v99
	s_delay_alu instid0(VALU_DEP_4) | instskip(SKIP_1) | instid1(VALU_DEP_2)
	v_pk_add_f32 v[94:95], v[94:95], 0 op_sel_hi:[1,0]
	v_pk_fma_f32 v[98:99], v[106:107], v[102:103], v[110:111] op_sel_hi:[1,0,1]
	v_pk_add_f32 v[94:95], v[94:95], v[96:97]
	s_delay_alu instid0(VALU_DEP_2) | instskip(NEXT) | instid1(VALU_DEP_1)
	v_mov_b32_e32 v101, v99
	v_pk_add_f32 v[94:95], v[94:95], v[100:101]
	s_wait_loadcnt 0x0
	s_delay_alu instid0(VALU_DEP_1)
	v_pk_add_f32 v[94:95], v[104:105], v[94:95] neg_lo:[0,1] neg_hi:[0,1]
	scratch_store_b64 off, v[94:95], off offset:336
	s_wait_xcnt 0x0
	v_cmpx_lt_u32_e32 41, v0
	s_cbranch_execz .LBB109_207
; %bb.206:
	scratch_load_b64 v[94:95], off, off offset:328
	v_mov_b64_e32 v[96:97], 0
	scratch_store_b64 off, v[96:97], off offset:328
	s_wait_loadcnt 0x0
	ds_store_b64 v1, v[94:95]
.LBB109_207:
	s_wait_xcnt 0x0
	s_or_b32 exec_lo, exec_lo, s0
	s_wait_storecnt_dscnt 0x0
	s_barrier_signal -1
	s_barrier_wait -1
	s_clause 0x2
	scratch_load_b128 v[94:97], off, off offset:336
	scratch_load_b128 v[98:101], off, off offset:352
	scratch_load_b64 v[110:111], off, off offset:328
	ds_load_b128 v[102:105], v7 offset:704
	ds_load_b128 v[106:109], v7 offset:720
	s_mov_b32 s0, exec_lo
	s_wait_dscnt 0x1
	v_dual_mov_b32 v112, v105 :: v_dual_mov_b32 v113, v104
	s_wait_loadcnt_dscnt 0x200
	v_dual_mov_b32 v118, v109 :: v_dual_mov_b32 v116, v97
	v_pk_mul_f32 v[114:115], v[102:103], v[94:95] op_sel:[1,1] op_sel_hi:[0,1]
	s_delay_alu instid0(VALU_DEP_2) | instskip(NEXT) | instid1(VALU_DEP_2)
	v_pk_mul_f32 v[112:113], v[112:113], v[116:117] op_sel_hi:[1,0]
	v_pk_fma_f32 v[120:121], v[102:103], v[94:95], v[114:115] op_sel_hi:[1,0,1]
	v_pk_fma_f32 v[94:95], v[102:103], v[94:95], v[114:115] neg_lo:[0,0,1] neg_hi:[0,0,1]
	v_mov_b32_e32 v119, v108
	s_wait_loadcnt 0x1
	v_pk_mul_f32 v[116:117], v[106:107], v[98:99] op_sel:[1,1] op_sel_hi:[0,1]
	v_pk_fma_f32 v[102:103], v[104:105], v[96:97], v[112:113] op_sel_hi:[1,0,1]
	v_dual_mov_b32 v95, v121 :: v_dual_mov_b32 v102, v101
	v_pk_fma_f32 v[96:97], v[104:105], v[96:97], v[112:113] neg_lo:[0,0,1] neg_hi:[0,0,1]
	s_delay_alu instid0(VALU_DEP_4) | instskip(NEXT) | instid1(VALU_DEP_4)
	v_pk_fma_f32 v[114:115], v[106:107], v[98:99], v[116:117] op_sel_hi:[1,0,1]
	v_mov_b32_e32 v97, v103
	s_delay_alu instid0(VALU_DEP_4) | instskip(SKIP_2) | instid1(VALU_DEP_3)
	v_pk_add_f32 v[94:95], v[94:95], 0 op_sel_hi:[1,0]
	v_pk_mul_f32 v[102:103], v[118:119], v[102:103] op_sel_hi:[1,0]
	v_pk_fma_f32 v[98:99], v[106:107], v[98:99], v[116:117] neg_lo:[0,0,1] neg_hi:[0,0,1]
	v_pk_add_f32 v[94:95], v[94:95], v[96:97]
	s_delay_alu instid0(VALU_DEP_3) | instskip(SKIP_2) | instid1(VALU_DEP_3)
	v_pk_fma_f32 v[96:97], v[108:109], v[100:101], v[102:103] op_sel_hi:[1,0,1]
	v_mov_b32_e32 v99, v115
	v_pk_fma_f32 v[100:101], v[108:109], v[100:101], v[102:103] neg_lo:[0,0,1] neg_hi:[0,0,1]
	v_mov_b32_e32 v101, v97
	s_delay_alu instid0(VALU_DEP_3) | instskip(NEXT) | instid1(VALU_DEP_1)
	v_pk_add_f32 v[94:95], v[94:95], v[98:99]
	v_pk_add_f32 v[94:95], v[94:95], v[100:101]
	s_wait_loadcnt 0x0
	s_delay_alu instid0(VALU_DEP_1)
	v_pk_add_f32 v[94:95], v[110:111], v[94:95] neg_lo:[0,1] neg_hi:[0,1]
	scratch_store_b64 off, v[94:95], off offset:328
	s_wait_xcnt 0x0
	v_cmpx_lt_u32_e32 40, v0
	s_cbranch_execz .LBB109_209
; %bb.208:
	scratch_load_b64 v[94:95], off, off offset:320
	v_mov_b64_e32 v[96:97], 0
	scratch_store_b64 off, v[96:97], off offset:320
	s_wait_loadcnt 0x0
	ds_store_b64 v1, v[94:95]
.LBB109_209:
	s_wait_xcnt 0x0
	s_or_b32 exec_lo, exec_lo, s0
	s_wait_storecnt_dscnt 0x0
	s_barrier_signal -1
	s_barrier_wait -1
	s_clause 0x3
	scratch_load_b128 v[94:97], off, off offset:328
	scratch_load_b128 v[98:101], off, off offset:344
	scratch_load_b64 v[110:111], off, off offset:360
	scratch_load_b64 v[112:113], off, off offset:320
	v_mov_b32_e32 v7, 0
	ds_load_2addr_b64 v[102:105], v7 offset0:87 offset1:88
	ds_load_2addr_b64 v[106:109], v7 offset0:89 offset1:90
	s_mov_b32 s0, exec_lo
	s_wait_dscnt 0x1
	v_dual_mov_b32 v114, v105 :: v_dual_mov_b32 v115, v104
	ds_load_b64 v[120:121], v7 offset:728
	s_wait_dscnt 0x1
	v_dual_mov_b32 v122, v109 :: v_dual_mov_b32 v123, v108
	s_wait_loadcnt 0x3
	v_pk_mul_f32 v[116:117], v[102:103], v[94:95] op_sel:[1,1] op_sel_hi:[0,1]
	v_mov_b32_e32 v118, v97
	s_delay_alu instid0(VALU_DEP_2) | instskip(NEXT) | instid1(VALU_DEP_2)
	v_pk_fma_f32 v[124:125], v[102:103], v[94:95], v[116:117] op_sel_hi:[1,0,1]
	v_pk_mul_f32 v[114:115], v[114:115], v[118:119] op_sel_hi:[1,0]
	v_pk_fma_f32 v[94:95], v[102:103], v[94:95], v[116:117] neg_lo:[0,0,1] neg_hi:[0,0,1]
	s_wait_loadcnt 0x2
	v_pk_mul_f32 v[118:119], v[106:107], v[98:99] op_sel:[1,1] op_sel_hi:[0,1]
	v_dual_mov_b32 v124, v101 :: v_dual_mov_b32 v95, v125
	v_pk_fma_f32 v[102:103], v[104:105], v[96:97], v[114:115] op_sel_hi:[1,0,1]
	v_pk_fma_f32 v[96:97], v[104:105], v[96:97], v[114:115] neg_lo:[0,0,1] neg_hi:[0,0,1]
	s_delay_alu instid0(VALU_DEP_4) | instskip(NEXT) | instid1(VALU_DEP_4)
	v_pk_fma_f32 v[116:117], v[106:107], v[98:99], v[118:119] op_sel_hi:[1,0,1]
	v_pk_mul_f32 v[122:123], v[122:123], v[124:125] op_sel_hi:[1,0]
	v_pk_add_f32 v[94:95], v[94:95], 0 op_sel_hi:[1,0]
	v_mov_b32_e32 v97, v103
	v_pk_fma_f32 v[98:99], v[106:107], v[98:99], v[118:119] neg_lo:[0,0,1] neg_hi:[0,0,1]
	v_mov_b32_e32 v99, v117
	v_pk_fma_f32 v[102:103], v[108:109], v[100:101], v[122:123] op_sel_hi:[1,0,1]
	v_pk_fma_f32 v[100:101], v[108:109], v[100:101], v[122:123] neg_lo:[0,0,1] neg_hi:[0,0,1]
	v_pk_add_f32 v[94:95], v[94:95], v[96:97]
	s_wait_loadcnt_dscnt 0x100
	v_pk_mul_f32 v[96:97], v[120:121], v[110:111] op_sel:[1,1] op_sel_hi:[0,1]
	s_delay_alu instid0(VALU_DEP_2) | instskip(NEXT) | instid1(VALU_DEP_2)
	v_pk_add_f32 v[94:95], v[94:95], v[98:99]
	v_pk_fma_f32 v[98:99], v[120:121], v[110:111], v[96:97] op_sel_hi:[1,0,1]
	v_mov_b32_e32 v101, v103
	v_pk_fma_f32 v[96:97], v[120:121], v[110:111], v[96:97] neg_lo:[0,0,1] neg_hi:[0,0,1]
	s_delay_alu instid0(VALU_DEP_3) | instskip(NEXT) | instid1(VALU_DEP_3)
	v_mov_b32_e32 v97, v99
	v_pk_add_f32 v[94:95], v[94:95], v[100:101]
	s_delay_alu instid0(VALU_DEP_1) | instskip(SKIP_1) | instid1(VALU_DEP_1)
	v_pk_add_f32 v[94:95], v[94:95], v[96:97]
	s_wait_loadcnt 0x0
	v_pk_add_f32 v[94:95], v[112:113], v[94:95] neg_lo:[0,1] neg_hi:[0,1]
	scratch_store_b64 off, v[94:95], off offset:320
	s_wait_xcnt 0x0
	v_cmpx_lt_u32_e32 39, v0
	s_cbranch_execz .LBB109_211
; %bb.210:
	scratch_load_b64 v[94:95], off, off offset:312
	v_mov_b64_e32 v[96:97], 0
	scratch_store_b64 off, v[96:97], off offset:312
	s_wait_loadcnt 0x0
	ds_store_b64 v1, v[94:95]
.LBB109_211:
	s_wait_xcnt 0x0
	s_or_b32 exec_lo, exec_lo, s0
	s_wait_storecnt_dscnt 0x0
	s_barrier_signal -1
	s_barrier_wait -1
	s_clause 0x3
	scratch_load_b128 v[94:97], off, off offset:320
	scratch_load_b128 v[98:101], off, off offset:336
	;; [unrolled: 1-line block ×3, first 2 shown]
	scratch_load_b64 v[118:119], off, off offset:312
	ds_load_b128 v[106:109], v7 offset:688
	ds_load_b128 v[110:113], v7 offset:704
	;; [unrolled: 1-line block ×3, first 2 shown]
	s_mov_b32 s0, exec_lo
	s_wait_dscnt 0x2
	v_dual_mov_b32 v120, v109 :: v_dual_mov_b32 v121, v108
	s_wait_dscnt 0x1
	v_dual_mov_b32 v122, v113 :: v_dual_mov_b32 v123, v112
	;; [unrolled: 2-line block ×3, first 2 shown]
	s_wait_loadcnt 0x3
	v_pk_mul_f32 v[124:125], v[106:107], v[94:95] op_sel:[1,1] op_sel_hi:[0,1]
	v_mov_b32_e32 v126, v97
	s_delay_alu instid0(VALU_DEP_2) | instskip(NEXT) | instid1(VALU_DEP_2)
	v_pk_fma_f32 v[130:131], v[106:107], v[94:95], v[124:125] op_sel_hi:[1,0,1]
	v_pk_mul_f32 v[120:121], v[120:121], v[126:127] op_sel_hi:[1,0]
	v_pk_fma_f32 v[94:95], v[106:107], v[94:95], v[124:125] neg_lo:[0,0,1] neg_hi:[0,0,1]
	s_wait_loadcnt 0x2
	v_pk_mul_f32 v[126:127], v[110:111], v[98:99] op_sel:[1,1] op_sel_hi:[0,1]
	v_mov_b32_e32 v130, v101
	v_pk_fma_f32 v[106:107], v[108:109], v[96:97], v[120:121] op_sel_hi:[1,0,1]
	v_mov_b32_e32 v95, v131
	v_pk_fma_f32 v[96:97], v[108:109], v[96:97], v[120:121] neg_lo:[0,0,1] neg_hi:[0,0,1]
	v_pk_fma_f32 v[124:125], v[110:111], v[98:99], v[126:127] op_sel_hi:[1,0,1]
	v_pk_mul_f32 v[122:123], v[122:123], v[130:131] op_sel_hi:[1,0]
	v_mov_b32_e32 v97, v107
	v_pk_add_f32 v[94:95], v[94:95], 0 op_sel_hi:[1,0]
	v_pk_fma_f32 v[98:99], v[110:111], v[98:99], v[126:127] neg_lo:[0,0,1] neg_hi:[0,0,1]
	s_wait_loadcnt 0x1
	v_pk_mul_f32 v[106:107], v[114:115], v[102:103] op_sel:[1,1] op_sel_hi:[0,1]
	v_mov_b32_e32 v99, v125
	v_pk_fma_f32 v[108:109], v[112:113], v[100:101], v[122:123] op_sel_hi:[1,0,1]
	v_pk_add_f32 v[94:95], v[94:95], v[96:97]
	v_mov_b32_e32 v96, v105
	v_pk_fma_f32 v[100:101], v[112:113], v[100:101], v[122:123] neg_lo:[0,0,1] neg_hi:[0,0,1]
	v_pk_fma_f32 v[110:111], v[114:115], v[102:103], v[106:107] op_sel_hi:[1,0,1]
	v_mov_b32_e32 v101, v109
	v_pk_add_f32 v[94:95], v[94:95], v[98:99]
	v_pk_mul_f32 v[96:97], v[128:129], v[96:97] op_sel_hi:[1,0]
	v_pk_fma_f32 v[98:99], v[114:115], v[102:103], v[106:107] neg_lo:[0,0,1] neg_hi:[0,0,1]
	v_mov_b32_e32 v99, v111
	s_delay_alu instid0(VALU_DEP_4) | instskip(NEXT) | instid1(VALU_DEP_4)
	v_pk_add_f32 v[94:95], v[94:95], v[100:101]
	v_pk_fma_f32 v[100:101], v[116:117], v[104:105], v[96:97] op_sel_hi:[1,0,1]
	v_pk_fma_f32 v[96:97], v[116:117], v[104:105], v[96:97] neg_lo:[0,0,1] neg_hi:[0,0,1]
	s_delay_alu instid0(VALU_DEP_3) | instskip(NEXT) | instid1(VALU_DEP_3)
	v_pk_add_f32 v[94:95], v[94:95], v[98:99]
	v_mov_b32_e32 v97, v101
	s_delay_alu instid0(VALU_DEP_1) | instskip(SKIP_1) | instid1(VALU_DEP_1)
	v_pk_add_f32 v[94:95], v[94:95], v[96:97]
	s_wait_loadcnt 0x0
	v_pk_add_f32 v[94:95], v[118:119], v[94:95] neg_lo:[0,1] neg_hi:[0,1]
	scratch_store_b64 off, v[94:95], off offset:312
	s_wait_xcnt 0x0
	v_cmpx_lt_u32_e32 38, v0
	s_cbranch_execz .LBB109_213
; %bb.212:
	scratch_load_b64 v[94:95], off, off offset:304
	v_mov_b64_e32 v[96:97], 0
	scratch_store_b64 off, v[96:97], off offset:304
	s_wait_loadcnt 0x0
	ds_store_b64 v1, v[94:95]
.LBB109_213:
	s_wait_xcnt 0x0
	s_or_b32 exec_lo, exec_lo, s0
	s_wait_storecnt_dscnt 0x0
	s_barrier_signal -1
	s_barrier_wait -1
	s_clause 0x4
	scratch_load_b128 v[94:97], off, off offset:312
	scratch_load_b128 v[98:101], off, off offset:328
	;; [unrolled: 1-line block ×3, first 2 shown]
	scratch_load_b64 v[118:119], off, off offset:360
	scratch_load_b64 v[120:121], off, off offset:304
	v_mov_b32_e32 v7, 0
	ds_load_2addr_b64 v[106:109], v7 offset0:85 offset1:86
	ds_load_2addr_b64 v[110:113], v7 offset0:87 offset1:88
	;; [unrolled: 1-line block ×3, first 2 shown]
	ds_load_b64 v[122:123], v7 offset:728
	s_mov_b32 s0, exec_lo
	s_wait_dscnt 0x3
	v_dual_mov_b32 v124, v109 :: v_dual_mov_b32 v125, v108
	s_wait_dscnt 0x2
	v_dual_mov_b32 v126, v113 :: v_dual_mov_b32 v127, v112
	;; [unrolled: 2-line block ×3, first 2 shown]
	s_wait_loadcnt 0x4
	v_pk_mul_f32 v[128:129], v[106:107], v[94:95] op_sel:[1,1] op_sel_hi:[0,1]
	v_mov_b32_e32 v130, v97
	s_wait_loadcnt 0x3
	v_pk_mul_f32 v[134:135], v[110:111], v[98:99] op_sel:[1,1] op_sel_hi:[0,1]
	s_wait_loadcnt 0x2
	v_pk_mul_f32 v[138:139], v[114:115], v[102:103] op_sel:[1,1] op_sel_hi:[0,1]
	v_pk_fma_f32 v[136:137], v[106:107], v[94:95], v[128:129] op_sel_hi:[1,0,1]
	v_pk_mul_f32 v[124:125], v[124:125], v[130:131] op_sel_hi:[1,0]
	v_pk_fma_f32 v[94:95], v[106:107], v[94:95], v[128:129] neg_lo:[0,0,1] neg_hi:[0,0,1]
	v_mov_b32_e32 v130, v101
	v_pk_fma_f32 v[128:129], v[110:111], v[98:99], v[134:135] op_sel_hi:[1,0,1]
	v_mov_b32_e32 v95, v137
	v_pk_fma_f32 v[106:107], v[108:109], v[96:97], v[124:125] op_sel_hi:[1,0,1]
	v_pk_fma_f32 v[96:97], v[108:109], v[96:97], v[124:125] neg_lo:[0,0,1] neg_hi:[0,0,1]
	v_pk_mul_f32 v[126:127], v[126:127], v[130:131] op_sel_hi:[1,0]
	v_pk_fma_f32 v[98:99], v[110:111], v[98:99], v[134:135] neg_lo:[0,0,1] neg_hi:[0,0,1]
	v_pk_add_f32 v[94:95], v[94:95], 0 op_sel_hi:[1,0]
	v_dual_mov_b32 v97, v107 :: v_dual_mov_b32 v106, v105
	s_delay_alu instid0(VALU_DEP_4) | instskip(SKIP_2) | instid1(VALU_DEP_4)
	v_pk_fma_f32 v[108:109], v[112:113], v[100:101], v[126:127] op_sel_hi:[1,0,1]
	v_mov_b32_e32 v99, v129
	v_pk_fma_f32 v[100:101], v[112:113], v[100:101], v[126:127] neg_lo:[0,0,1] neg_hi:[0,0,1]
	v_pk_add_f32 v[94:95], v[94:95], v[96:97]
	v_pk_fma_f32 v[96:97], v[114:115], v[102:103], v[138:139] op_sel_hi:[1,0,1]
	v_pk_mul_f32 v[106:107], v[132:133], v[106:107] op_sel_hi:[1,0]
	v_mov_b32_e32 v101, v109
	s_delay_alu instid0(VALU_DEP_4)
	v_pk_add_f32 v[94:95], v[94:95], v[98:99]
	v_pk_fma_f32 v[98:99], v[114:115], v[102:103], v[138:139] neg_lo:[0,0,1] neg_hi:[0,0,1]
	v_mov_b32_e32 v99, v97
	v_pk_fma_f32 v[96:97], v[116:117], v[104:105], v[106:107] op_sel_hi:[1,0,1]
	v_pk_fma_f32 v[102:103], v[116:117], v[104:105], v[106:107] neg_lo:[0,0,1] neg_hi:[0,0,1]
	v_pk_add_f32 v[94:95], v[94:95], v[100:101]
	s_wait_loadcnt_dscnt 0x100
	v_pk_mul_f32 v[100:101], v[122:123], v[118:119] op_sel:[1,1] op_sel_hi:[0,1]
	v_mov_b32_e32 v103, v97
	s_delay_alu instid0(VALU_DEP_3) | instskip(NEXT) | instid1(VALU_DEP_3)
	v_pk_add_f32 v[94:95], v[94:95], v[98:99]
	v_pk_fma_f32 v[96:97], v[122:123], v[118:119], v[100:101] op_sel_hi:[1,0,1]
	v_pk_fma_f32 v[98:99], v[122:123], v[118:119], v[100:101] neg_lo:[0,0,1] neg_hi:[0,0,1]
	s_delay_alu instid0(VALU_DEP_3) | instskip(NEXT) | instid1(VALU_DEP_3)
	v_pk_add_f32 v[94:95], v[94:95], v[102:103]
	v_mov_b32_e32 v99, v97
	s_delay_alu instid0(VALU_DEP_1) | instskip(SKIP_1) | instid1(VALU_DEP_1)
	v_pk_add_f32 v[94:95], v[94:95], v[98:99]
	s_wait_loadcnt 0x0
	v_pk_add_f32 v[94:95], v[120:121], v[94:95] neg_lo:[0,1] neg_hi:[0,1]
	scratch_store_b64 off, v[94:95], off offset:304
	s_wait_xcnt 0x0
	v_cmpx_lt_u32_e32 37, v0
	s_cbranch_execz .LBB109_215
; %bb.214:
	scratch_load_b64 v[94:95], off, off offset:296
	v_mov_b64_e32 v[96:97], 0
	scratch_store_b64 off, v[96:97], off offset:296
	s_wait_loadcnt 0x0
	ds_store_b64 v1, v[94:95]
.LBB109_215:
	s_wait_xcnt 0x0
	s_or_b32 exec_lo, exec_lo, s0
	s_wait_storecnt_dscnt 0x0
	s_barrier_signal -1
	s_barrier_wait -1
	s_clause 0x4
	scratch_load_b128 v[94:97], off, off offset:304
	scratch_load_b128 v[98:101], off, off offset:320
	;; [unrolled: 1-line block ×4, first 2 shown]
	scratch_load_b64 v[126:127], off, off offset:296
	ds_load_b128 v[110:113], v7 offset:672
	ds_load_b128 v[114:117], v7 offset:688
	;; [unrolled: 1-line block ×4, first 2 shown]
	s_mov_b32 s0, exec_lo
	s_wait_dscnt 0x3
	v_dual_mov_b32 v128, v113 :: v_dual_mov_b32 v129, v112
	s_wait_dscnt 0x2
	v_dual_mov_b32 v130, v117 :: v_dual_mov_b32 v131, v116
	;; [unrolled: 2-line block ×3, first 2 shown]
	v_dual_mov_b32 v133, v120 :: v_dual_mov_b32 v138, v125
	s_wait_loadcnt 0x4
	v_mov_b32_e32 v136, v97
	v_pk_mul_f32 v[134:135], v[110:111], v[94:95] op_sel:[1,1] op_sel_hi:[0,1]
	s_wait_loadcnt 0x3
	v_pk_mul_f32 v[140:141], v[114:115], v[98:99] op_sel:[1,1] op_sel_hi:[0,1]
	s_wait_loadcnt 0x2
	v_pk_mul_f32 v[144:145], v[118:119], v[102:103] op_sel:[1,1] op_sel_hi:[0,1]
	v_pk_mul_f32 v[128:129], v[128:129], v[136:137] op_sel_hi:[1,0]
	v_pk_fma_f32 v[142:143], v[110:111], v[94:95], v[134:135] op_sel_hi:[1,0,1]
	v_pk_fma_f32 v[94:95], v[110:111], v[94:95], v[134:135] neg_lo:[0,0,1] neg_hi:[0,0,1]
	v_mov_b32_e32 v136, v101
	v_pk_fma_f32 v[134:135], v[114:115], v[98:99], v[140:141] op_sel_hi:[1,0,1]
	v_pk_fma_f32 v[110:111], v[112:113], v[96:97], v[128:129] op_sel_hi:[1,0,1]
	v_mov_b32_e32 v95, v143
	v_pk_fma_f32 v[96:97], v[112:113], v[96:97], v[128:129] neg_lo:[0,0,1] neg_hi:[0,0,1]
	v_pk_mul_f32 v[130:131], v[130:131], v[136:137] op_sel_hi:[1,0]
	s_delay_alu instid0(VALU_DEP_4) | instskip(NEXT) | instid1(VALU_DEP_4)
	v_dual_mov_b32 v110, v105 :: v_dual_mov_b32 v97, v111
	v_pk_add_f32 v[94:95], v[94:95], 0 op_sel_hi:[1,0]
	v_pk_fma_f32 v[98:99], v[114:115], v[98:99], v[140:141] neg_lo:[0,0,1] neg_hi:[0,0,1]
	v_mov_b32_e32 v99, v135
	v_pk_fma_f32 v[112:113], v[116:117], v[100:101], v[130:131] op_sel_hi:[1,0,1]
	v_pk_mul_f32 v[110:111], v[132:133], v[110:111] op_sel_hi:[1,0]
	v_pk_add_f32 v[94:95], v[94:95], v[96:97]
	v_pk_fma_f32 v[96:97], v[118:119], v[102:103], v[144:145] op_sel_hi:[1,0,1]
	v_pk_fma_f32 v[100:101], v[116:117], v[100:101], v[130:131] neg_lo:[0,0,1] neg_hi:[0,0,1]
	v_mov_b32_e32 v101, v113
	v_pk_fma_f32 v[102:103], v[118:119], v[102:103], v[144:145] neg_lo:[0,0,1] neg_hi:[0,0,1]
	v_pk_add_f32 v[94:95], v[94:95], v[98:99]
	v_mov_b32_e32 v103, v97
	v_pk_fma_f32 v[96:97], v[120:121], v[104:105], v[110:111] op_sel_hi:[1,0,1]
	s_wait_loadcnt 0x1
	v_pk_mul_f32 v[98:99], v[122:123], v[106:107] op_sel:[1,1] op_sel_hi:[0,1]
	v_mov_b32_e32 v96, v109
	v_pk_add_f32 v[94:95], v[94:95], v[100:101]
	v_pk_fma_f32 v[104:105], v[120:121], v[104:105], v[110:111] neg_lo:[0,0,1] neg_hi:[0,0,1]
	v_mov_b32_e32 v105, v97
	v_pk_fma_f32 v[100:101], v[122:123], v[106:107], v[98:99] op_sel_hi:[1,0,1]
	v_pk_mul_f32 v[96:97], v[138:139], v[96:97] op_sel_hi:[1,0]
	v_pk_add_f32 v[94:95], v[94:95], v[102:103]
	v_pk_fma_f32 v[98:99], v[122:123], v[106:107], v[98:99] neg_lo:[0,0,1] neg_hi:[0,0,1]
	s_delay_alu instid0(VALU_DEP_4) | instskip(NEXT) | instid1(VALU_DEP_4)
	v_mov_b32_e32 v99, v101
	v_pk_fma_f32 v[100:101], v[124:125], v[108:109], v[96:97] op_sel_hi:[1,0,1]
	s_delay_alu instid0(VALU_DEP_4) | instskip(SKIP_1) | instid1(VALU_DEP_3)
	v_pk_add_f32 v[94:95], v[94:95], v[104:105]
	v_pk_fma_f32 v[96:97], v[124:125], v[108:109], v[96:97] neg_lo:[0,0,1] neg_hi:[0,0,1]
	v_mov_b32_e32 v97, v101
	s_delay_alu instid0(VALU_DEP_3) | instskip(NEXT) | instid1(VALU_DEP_1)
	v_pk_add_f32 v[94:95], v[94:95], v[98:99]
	v_pk_add_f32 v[94:95], v[94:95], v[96:97]
	s_wait_loadcnt 0x0
	s_delay_alu instid0(VALU_DEP_1)
	v_pk_add_f32 v[94:95], v[126:127], v[94:95] neg_lo:[0,1] neg_hi:[0,1]
	scratch_store_b64 off, v[94:95], off offset:296
	s_wait_xcnt 0x0
	v_cmpx_lt_u32_e32 36, v0
	s_cbranch_execz .LBB109_217
; %bb.216:
	scratch_load_b64 v[94:95], off, off offset:288
	v_mov_b64_e32 v[96:97], 0
	scratch_store_b64 off, v[96:97], off offset:288
	s_wait_loadcnt 0x0
	ds_store_b64 v1, v[94:95]
.LBB109_217:
	s_wait_xcnt 0x0
	s_or_b32 exec_lo, exec_lo, s0
	s_wait_storecnt_dscnt 0x0
	s_barrier_signal -1
	s_barrier_wait -1
	s_clause 0x5
	scratch_load_b128 v[94:97], off, off offset:296
	scratch_load_b128 v[98:101], off, off offset:312
	;; [unrolled: 1-line block ×4, first 2 shown]
	scratch_load_b64 v[126:127], off, off offset:360
	scratch_load_b64 v[128:129], off, off offset:288
	v_mov_b32_e32 v7, 0
	ds_load_2addr_b64 v[110:113], v7 offset0:83 offset1:84
	ds_load_2addr_b64 v[114:117], v7 offset0:85 offset1:86
	;; [unrolled: 1-line block ×4, first 2 shown]
	ds_load_b64 v[130:131], v7 offset:728
	s_mov_b32 s0, exec_lo
	s_wait_dscnt 0x4
	v_dual_mov_b32 v132, v113 :: v_dual_mov_b32 v133, v112
	s_wait_dscnt 0x1
	v_dual_mov_b32 v134, v117 :: v_dual_mov_b32 v139, v124
	v_dual_mov_b32 v135, v116 :: v_dual_mov_b32 v136, v121
	;; [unrolled: 1-line block ×3, first 2 shown]
	s_wait_loadcnt 0x5
	v_dual_mov_b32 v140, v97 :: v_dual_mul_f32 v141, v110, v95
	v_mul_f32_e32 v9, v111, v95
	s_wait_loadcnt 0x4
	v_pk_mul_f32 v[142:143], v[114:115], v[98:99] op_sel:[1,1] op_sel_hi:[0,1]
	v_mov_b32_e32 v144, v101
	s_wait_loadcnt 0x3
	v_pk_mul_f32 v[146:147], v[118:119], v[102:103] op_sel:[1,1] op_sel_hi:[0,1]
	v_pk_mul_f32 v[132:133], v[132:133], v[140:141] op_sel_hi:[1,0]
	v_fmac_f32_e32 v141, v111, v94
	v_dual_fma_f32 v140, v110, v94, -v9 :: v_dual_mov_b32 v94, v105
	v_pk_fma_f32 v[148:149], v[114:115], v[98:99], v[142:143] op_sel_hi:[1,0,1]
	s_delay_alu instid0(VALU_DEP_4)
	v_pk_fma_f32 v[110:111], v[112:113], v[96:97], v[132:133] op_sel_hi:[1,0,1]
	v_pk_fma_f32 v[96:97], v[112:113], v[96:97], v[132:133] neg_lo:[0,0,1] neg_hi:[0,0,1]
	v_pk_mul_f32 v[134:135], v[134:135], v[144:145] op_sel_hi:[1,0]
	v_pk_add_f32 v[140:141], v[140:141], 0 op_sel_hi:[1,0]
	v_pk_fma_f32 v[98:99], v[114:115], v[98:99], v[142:143] neg_lo:[0,0,1] neg_hi:[0,0,1]
	v_dual_mov_b32 v97, v111 :: v_dual_mov_b32 v99, v149
	s_delay_alu instid0(VALU_DEP_4) | instskip(SKIP_2) | instid1(VALU_DEP_4)
	v_pk_fma_f32 v[112:113], v[116:117], v[100:101], v[134:135] op_sel_hi:[1,0,1]
	v_pk_fma_f32 v[100:101], v[116:117], v[100:101], v[134:135] neg_lo:[0,0,1] neg_hi:[0,0,1]
	v_pk_fma_f32 v[114:115], v[118:119], v[102:103], v[146:147] op_sel_hi:[1,0,1]
	v_pk_add_f32 v[96:97], v[140:141], v[96:97]
	v_pk_mul_f32 v[94:95], v[136:137], v[94:95] op_sel_hi:[1,0]
	v_mov_b32_e32 v101, v113
	v_pk_fma_f32 v[102:103], v[118:119], v[102:103], v[146:147] neg_lo:[0,0,1] neg_hi:[0,0,1]
	s_wait_loadcnt 0x2
	v_pk_mul_f32 v[110:111], v[122:123], v[106:107] op_sel:[1,1] op_sel_hi:[0,1]
	v_pk_add_f32 v[96:97], v[96:97], v[98:99]
	v_mov_b32_e32 v98, v109
	v_pk_fma_f32 v[112:113], v[120:121], v[104:105], v[94:95] op_sel_hi:[1,0,1]
	v_mov_b32_e32 v103, v115
	v_pk_fma_f32 v[94:95], v[120:121], v[104:105], v[94:95] neg_lo:[0,0,1] neg_hi:[0,0,1]
	v_pk_add_f32 v[96:97], v[96:97], v[100:101]
	v_pk_fma_f32 v[100:101], v[122:123], v[106:107], v[110:111] op_sel_hi:[1,0,1]
	v_pk_mul_f32 v[98:99], v[138:139], v[98:99] op_sel_hi:[1,0]
	v_mov_b32_e32 v95, v113
	s_delay_alu instid0(VALU_DEP_4)
	v_pk_add_f32 v[96:97], v[96:97], v[102:103]
	v_pk_fma_f32 v[102:103], v[122:123], v[106:107], v[110:111] neg_lo:[0,0,1] neg_hi:[0,0,1]
	v_mov_b32_e32 v103, v101
	v_pk_fma_f32 v[100:101], v[124:125], v[108:109], v[98:99] op_sel_hi:[1,0,1]
	v_pk_fma_f32 v[98:99], v[124:125], v[108:109], v[98:99] neg_lo:[0,0,1] neg_hi:[0,0,1]
	v_pk_add_f32 v[94:95], v[96:97], v[94:95]
	s_wait_loadcnt_dscnt 0x100
	v_pk_mul_f32 v[96:97], v[130:131], v[126:127] op_sel:[1,1] op_sel_hi:[0,1]
	v_mov_b32_e32 v99, v101
	s_delay_alu instid0(VALU_DEP_3) | instskip(NEXT) | instid1(VALU_DEP_3)
	v_pk_add_f32 v[94:95], v[94:95], v[102:103]
	v_pk_fma_f32 v[100:101], v[130:131], v[126:127], v[96:97] op_sel_hi:[1,0,1]
	v_pk_fma_f32 v[96:97], v[130:131], v[126:127], v[96:97] neg_lo:[0,0,1] neg_hi:[0,0,1]
	s_delay_alu instid0(VALU_DEP_3) | instskip(NEXT) | instid1(VALU_DEP_3)
	v_pk_add_f32 v[94:95], v[94:95], v[98:99]
	v_mov_b32_e32 v97, v101
	s_delay_alu instid0(VALU_DEP_1) | instskip(SKIP_1) | instid1(VALU_DEP_1)
	v_pk_add_f32 v[94:95], v[94:95], v[96:97]
	s_wait_loadcnt 0x0
	v_pk_add_f32 v[94:95], v[128:129], v[94:95] neg_lo:[0,1] neg_hi:[0,1]
	scratch_store_b64 off, v[94:95], off offset:288
	s_wait_xcnt 0x0
	v_cmpx_lt_u32_e32 35, v0
	s_cbranch_execz .LBB109_219
; %bb.218:
	scratch_load_b64 v[94:95], off, off offset:280
	v_mov_b64_e32 v[96:97], 0
	scratch_store_b64 off, v[96:97], off offset:280
	s_wait_loadcnt 0x0
	ds_store_b64 v1, v[94:95]
.LBB109_219:
	s_wait_xcnt 0x0
	s_or_b32 exec_lo, exec_lo, s0
	s_wait_storecnt_dscnt 0x0
	s_barrier_signal -1
	s_barrier_wait -1
	s_clause 0x5
	scratch_load_b128 v[94:97], off, off offset:288
	scratch_load_b128 v[98:101], off, off offset:304
	;; [unrolled: 1-line block ×5, first 2 shown]
	scratch_load_b64 v[134:135], off, off offset:280
	ds_load_b128 v[114:117], v7 offset:672
	ds_load_b128 v[118:121], v7 offset:688
	;; [unrolled: 1-line block ×5, first 2 shown]
	s_mov_b32 s0, exec_lo
	s_wait_dscnt 0x4
	v_dual_mov_b32 v136, v117 :: v_dual_mov_b32 v137, v116
	s_wait_dscnt 0x3
	v_dual_mov_b32 v138, v121 :: v_dual_mov_b32 v139, v120
	;; [unrolled: 2-line block ×4, first 2 shown]
	s_wait_loadcnt_dscnt 0x500
	v_dual_mul_f32 v145, v130, v95 :: v_dual_mul_f32 v147, v132, v97
	v_dual_mul_f32 v7, v131, v95 :: v_dual_mul_f32 v9, v133, v97
	s_wait_loadcnt 0x4
	v_pk_mul_f32 v[148:149], v[114:115], v[98:99] op_sel:[1,1] op_sel_hi:[0,1]
	s_wait_loadcnt 0x3
	v_dual_mov_b32 v150, v101 :: v_dual_mov_b32 v154, v105
	v_dual_fmac_f32 v145, v131, v94 :: v_dual_fma_f32 v144, v130, v94, -v7
	v_dual_fmac_f32 v147, v133, v96 :: v_dual_fma_f32 v146, v132, v96, -v9
	v_pk_fma_f32 v[94:95], v[114:115], v[98:99], v[148:149] op_sel_hi:[1,0,1]
	s_delay_alu instid0(VALU_DEP_4) | instskip(NEXT) | instid1(VALU_DEP_4)
	v_pk_mul_f32 v[96:97], v[136:137], v[150:151] op_sel_hi:[1,0]
	v_pk_add_f32 v[130:131], v[144:145], 0 op_sel_hi:[1,0]
	v_pk_fma_f32 v[98:99], v[114:115], v[98:99], v[148:149] neg_lo:[0,0,1] neg_hi:[0,0,1]
	v_pk_mul_f32 v[152:153], v[118:119], v[102:103] op_sel:[1,1] op_sel_hi:[0,1]
	v_mov_b32_e32 v99, v95
	v_pk_fma_f32 v[94:95], v[116:117], v[100:101], v[96:97] op_sel_hi:[1,0,1]
	v_pk_add_f32 v[114:115], v[130:131], v[146:147]
	v_pk_fma_f32 v[96:97], v[116:117], v[100:101], v[96:97] neg_lo:[0,0,1] neg_hi:[0,0,1]
	v_pk_fma_f32 v[130:131], v[118:119], v[102:103], v[152:153] op_sel_hi:[1,0,1]
	v_pk_mul_f32 v[136:137], v[138:139], v[154:155] op_sel_hi:[1,0]
	v_mov_b32_e32 v97, v95
	v_pk_add_f32 v[94:95], v[114:115], v[98:99]
	s_wait_loadcnt 0x2
	v_pk_mul_f32 v[132:133], v[122:123], v[106:107] op_sel:[1,1] op_sel_hi:[0,1]
	v_mov_b32_e32 v98, v109
	v_pk_fma_f32 v[100:101], v[118:119], v[102:103], v[152:153] neg_lo:[0,0,1] neg_hi:[0,0,1]
	v_mov_b32_e32 v101, v131
	v_pk_fma_f32 v[102:103], v[120:121], v[104:105], v[136:137] op_sel_hi:[1,0,1]
	v_pk_add_f32 v[94:95], v[94:95], v[96:97]
	v_pk_fma_f32 v[96:97], v[122:123], v[106:107], v[132:133] op_sel_hi:[1,0,1]
	v_pk_mul_f32 v[98:99], v[140:141], v[98:99] op_sel_hi:[1,0]
	v_pk_fma_f32 v[104:105], v[120:121], v[104:105], v[136:137] neg_lo:[0,0,1] neg_hi:[0,0,1]
	v_mov_b32_e32 v105, v103
	v_pk_add_f32 v[94:95], v[94:95], v[100:101]
	v_pk_fma_f32 v[102:103], v[122:123], v[106:107], v[132:133] neg_lo:[0,0,1] neg_hi:[0,0,1]
	v_mov_b32_e32 v103, v97
	v_pk_fma_f32 v[96:97], v[124:125], v[108:109], v[98:99] op_sel_hi:[1,0,1]
	s_wait_loadcnt 0x1
	v_pk_mul_f32 v[100:101], v[126:127], v[110:111] op_sel:[1,1] op_sel_hi:[0,1]
	v_pk_add_f32 v[94:95], v[94:95], v[104:105]
	v_mov_b32_e32 v96, v113
	v_pk_fma_f32 v[98:99], v[124:125], v[108:109], v[98:99] neg_lo:[0,0,1] neg_hi:[0,0,1]
	v_mov_b32_e32 v99, v97
	v_pk_fma_f32 v[104:105], v[126:127], v[110:111], v[100:101] op_sel_hi:[1,0,1]
	v_pk_add_f32 v[94:95], v[94:95], v[102:103]
	v_pk_mul_f32 v[96:97], v[142:143], v[96:97] op_sel_hi:[1,0]
	v_pk_fma_f32 v[100:101], v[126:127], v[110:111], v[100:101] neg_lo:[0,0,1] neg_hi:[0,0,1]
	s_delay_alu instid0(VALU_DEP_3) | instskip(NEXT) | instid1(VALU_DEP_3)
	v_pk_add_f32 v[94:95], v[94:95], v[98:99]
	v_pk_fma_f32 v[98:99], v[128:129], v[112:113], v[96:97] op_sel_hi:[1,0,1]
	v_mov_b32_e32 v101, v105
	v_pk_fma_f32 v[96:97], v[128:129], v[112:113], v[96:97] neg_lo:[0,0,1] neg_hi:[0,0,1]
	s_delay_alu instid0(VALU_DEP_3) | instskip(NEXT) | instid1(VALU_DEP_3)
	v_mov_b32_e32 v97, v99
	v_pk_add_f32 v[94:95], v[94:95], v[100:101]
	s_delay_alu instid0(VALU_DEP_1) | instskip(SKIP_1) | instid1(VALU_DEP_1)
	v_pk_add_f32 v[94:95], v[94:95], v[96:97]
	s_wait_loadcnt 0x0
	v_pk_add_f32 v[94:95], v[134:135], v[94:95] neg_lo:[0,1] neg_hi:[0,1]
	scratch_store_b64 off, v[94:95], off offset:280
	s_wait_xcnt 0x0
	v_cmpx_lt_u32_e32 34, v0
	s_cbranch_execz .LBB109_221
; %bb.220:
	scratch_load_b64 v[94:95], off, off offset:272
	v_mov_b64_e32 v[96:97], 0
	scratch_store_b64 off, v[96:97], off offset:272
	s_wait_loadcnt 0x0
	ds_store_b64 v1, v[94:95]
.LBB109_221:
	s_wait_xcnt 0x0
	s_or_b32 exec_lo, exec_lo, s0
	s_wait_storecnt_dscnt 0x0
	s_barrier_signal -1
	s_barrier_wait -1
	s_clause 0x6
	scratch_load_b128 v[94:97], off, off offset:280
	scratch_load_b128 v[98:101], off, off offset:296
	;; [unrolled: 1-line block ×5, first 2 shown]
	scratch_load_b64 v[134:135], off, off offset:360
	scratch_load_b64 v[136:137], off, off offset:272
	v_mov_b32_e32 v7, 0
	ds_load_2addr_b64 v[114:117], v7 offset0:83 offset1:84
	ds_load_2addr_b64 v[118:121], v7 offset0:85 offset1:86
	ds_load_2addr_b64 v[122:125], v7 offset0:87 offset1:88
	ds_load_2addr_b64 v[126:129], v7 offset0:89 offset1:90
	ds_load_2addr_b64 v[130:133], v7 offset0:81 offset1:82
	ds_load_b64 v[138:139], v7 offset:728
	s_mov_b32 s0, exec_lo
	s_wait_dscnt 0x5
	v_dual_mov_b32 v140, v117 :: v_dual_mov_b32 v141, v116
	s_wait_dscnt 0x2
	v_dual_mov_b32 v142, v121 :: v_dual_mov_b32 v147, v128
	v_dual_mov_b32 v143, v120 :: v_dual_mov_b32 v144, v125
	;; [unrolled: 1-line block ×3, first 2 shown]
	s_wait_loadcnt_dscnt 0x601
	v_dual_mul_f32 v9, v130, v95 :: v_dual_mul_f32 v11, v131, v95
	v_dual_mul_f32 v13, v133, v97 :: v_dual_mul_f32 v149, v132, v97
	s_wait_loadcnt 0x5
	v_dual_mul_f32 v151, v114, v99 :: v_dual_mul_f32 v15, v115, v99
	s_wait_loadcnt 0x4
	v_dual_mov_b32 v150, v101 :: v_dual_mov_b32 v154, v105
	v_dual_fmac_f32 v9, v131, v94 :: v_dual_fma_f32 v11, v130, v94, -v11
	v_fmac_f32_e32 v149, v133, v96
	v_pk_mul_f32 v[152:153], v[118:119], v[102:103] op_sel:[1,1] op_sel_hi:[0,1]
	s_delay_alu instid0(VALU_DEP_3)
	v_dual_fma_f32 v148, v132, v96, -v13 :: v_dual_add_f32 v97, 0, v9
	v_pk_mul_f32 v[94:95], v[140:141], v[150:151] op_sel_hi:[1,0]
	s_wait_loadcnt 0x3
	v_dual_add_f32 v96, 0, v11 :: v_dual_mov_b32 v130, v109
	v_fmac_f32_e32 v151, v115, v98
	v_fma_f32 v150, v114, v98, -v15
	v_pk_fma_f32 v[98:99], v[116:117], v[100:101], v[94:95] op_sel_hi:[1,0,1]
	s_delay_alu instid0(VALU_DEP_4) | instskip(SKIP_4) | instid1(VALU_DEP_4)
	v_pk_add_f32 v[96:97], v[96:97], v[148:149]
	v_pk_fma_f32 v[114:115], v[118:119], v[102:103], v[152:153] op_sel_hi:[1,0,1]
	v_pk_fma_f32 v[94:95], v[116:117], v[100:101], v[94:95] neg_lo:[0,0,1] neg_hi:[0,0,1]
	v_pk_fma_f32 v[100:101], v[118:119], v[102:103], v[152:153] neg_lo:[0,0,1] neg_hi:[0,0,1]
	v_pk_mul_f32 v[132:133], v[142:143], v[154:155] op_sel_hi:[1,0]
	v_dual_mov_b32 v95, v99 :: v_dual_mov_b32 v101, v115
	v_pk_add_f32 v[96:97], v[96:97], v[150:151]
	v_pk_mul_f32 v[156:157], v[122:123], v[106:107] op_sel:[1,1] op_sel_hi:[0,1]
	s_delay_alu instid0(VALU_DEP_4)
	v_pk_fma_f32 v[102:103], v[120:121], v[104:105], v[132:133] op_sel_hi:[1,0,1]
	v_pk_fma_f32 v[104:105], v[120:121], v[104:105], v[132:133] neg_lo:[0,0,1] neg_hi:[0,0,1]
	v_pk_mul_f32 v[114:115], v[144:145], v[130:131] op_sel_hi:[1,0]
	v_pk_add_f32 v[94:95], v[96:97], v[94:95]
	v_pk_fma_f32 v[96:97], v[122:123], v[106:107], v[156:157] op_sel_hi:[1,0,1]
	s_wait_loadcnt 0x2
	v_dual_mov_b32 v105, v103 :: v_dual_mov_b32 v96, v113
	v_pk_mul_f32 v[98:99], v[126:127], v[110:111] op_sel:[1,1] op_sel_hi:[0,1]
	v_pk_add_f32 v[94:95], v[94:95], v[100:101]
	v_pk_fma_f32 v[100:101], v[122:123], v[106:107], v[156:157] neg_lo:[0,0,1] neg_hi:[0,0,1]
	v_pk_fma_f32 v[102:103], v[124:125], v[108:109], v[114:115] op_sel_hi:[1,0,1]
	v_mov_b32_e32 v101, v97
	v_pk_fma_f32 v[106:107], v[124:125], v[108:109], v[114:115] neg_lo:[0,0,1] neg_hi:[0,0,1]
	v_pk_add_f32 v[94:95], v[94:95], v[104:105]
	v_pk_fma_f32 v[104:105], v[126:127], v[110:111], v[98:99] op_sel_hi:[1,0,1]
	v_pk_mul_f32 v[96:97], v[146:147], v[96:97] op_sel_hi:[1,0]
	v_mov_b32_e32 v107, v103
	v_pk_fma_f32 v[98:99], v[126:127], v[110:111], v[98:99] neg_lo:[0,0,1] neg_hi:[0,0,1]
	v_pk_add_f32 v[94:95], v[94:95], v[100:101]
	s_wait_loadcnt_dscnt 0x100
	v_pk_mul_f32 v[102:103], v[138:139], v[134:135] op_sel:[1,1] op_sel_hi:[0,1]
	v_pk_fma_f32 v[100:101], v[128:129], v[112:113], v[96:97] op_sel_hi:[1,0,1]
	v_mov_b32_e32 v99, v105
	v_pk_fma_f32 v[96:97], v[128:129], v[112:113], v[96:97] neg_lo:[0,0,1] neg_hi:[0,0,1]
	v_pk_add_f32 v[94:95], v[94:95], v[106:107]
	s_delay_alu instid0(VALU_DEP_4) | instskip(SKIP_1) | instid1(VALU_DEP_3)
	v_mov_b32_e32 v97, v101
	v_pk_fma_f32 v[100:101], v[138:139], v[134:135], v[102:103] neg_lo:[0,0,1] neg_hi:[0,0,1]
	v_pk_add_f32 v[94:95], v[94:95], v[98:99]
	v_pk_fma_f32 v[98:99], v[138:139], v[134:135], v[102:103] op_sel_hi:[1,0,1]
	s_delay_alu instid0(VALU_DEP_2) | instskip(NEXT) | instid1(VALU_DEP_2)
	v_pk_add_f32 v[94:95], v[94:95], v[96:97]
	v_mov_b32_e32 v101, v99
	s_delay_alu instid0(VALU_DEP_1) | instskip(SKIP_1) | instid1(VALU_DEP_1)
	v_pk_add_f32 v[94:95], v[94:95], v[100:101]
	s_wait_loadcnt 0x0
	v_pk_add_f32 v[94:95], v[136:137], v[94:95] neg_lo:[0,1] neg_hi:[0,1]
	scratch_store_b64 off, v[94:95], off offset:272
	s_wait_xcnt 0x0
	v_cmpx_lt_u32_e32 33, v0
	s_cbranch_execz .LBB109_223
; %bb.222:
	scratch_load_b64 v[94:95], off, off offset:264
	v_mov_b64_e32 v[96:97], 0
	scratch_store_b64 off, v[96:97], off offset:264
	s_wait_loadcnt 0x0
	ds_store_b64 v1, v[94:95]
.LBB109_223:
	s_wait_xcnt 0x0
	s_or_b32 exec_lo, exec_lo, s0
	s_wait_storecnt_dscnt 0x0
	s_barrier_signal -1
	s_barrier_wait -1
	s_clause 0x6
	scratch_load_b128 v[94:97], off, off offset:272
	scratch_load_b128 v[98:101], off, off offset:288
	;; [unrolled: 1-line block ×6, first 2 shown]
	scratch_load_b64 v[142:143], off, off offset:264
	ds_load_b128 v[118:121], v7 offset:672
	ds_load_b128 v[122:125], v7 offset:688
	;; [unrolled: 1-line block ×6, first 2 shown]
	s_mov_b32 s0, exec_lo
	s_wait_dscnt 0x5
	v_dual_mov_b32 v144, v121 :: v_dual_mov_b32 v145, v120
	s_wait_dscnt 0x4
	v_dual_mov_b32 v146, v125 :: v_dual_mov_b32 v147, v124
	;; [unrolled: 2-line block ×4, first 2 shown]
	s_wait_loadcnt_dscnt 0x601
	v_dual_mul_f32 v7, v134, v95 :: v_dual_mul_f32 v9, v136, v97
	v_dual_mul_f32 v11, v135, v95 :: v_dual_mul_f32 v13, v137, v97
	s_wait_loadcnt 0x4
	s_delay_alu instid0(VALU_DEP_2)
	v_dual_mov_b32 v158, v105 :: v_dual_fmac_f32 v7, v135, v94
	s_wait_dscnt 0x0
	v_dual_mul_f32 v153, v138, v99 :: v_dual_mul_f32 v155, v140, v101
	v_dual_fma_f32 v11, v134, v94, -v11 :: v_dual_fmac_f32 v9, v137, v96
	v_dual_mul_f32 v15, v139, v99 :: v_dual_mul_f32 v17, v141, v101
	v_dual_fma_f32 v13, v136, v96, -v13 :: v_dual_add_f32 v7, 0, v7
	s_wait_loadcnt 0x3
	s_delay_alu instid0(VALU_DEP_3) | instskip(SKIP_3) | instid1(VALU_DEP_4)
	v_dual_add_f32 v11, 0, v11 :: v_dual_mov_b32 v96, v109
	v_pk_mul_f32 v[156:157], v[118:119], v[102:103] op_sel:[1,1] op_sel_hi:[0,1]
	v_dual_fmac_f32 v153, v139, v98 :: v_dual_fma_f32 v152, v138, v98, -v15
	v_dual_add_f32 v99, v7, v9 :: v_dual_fmac_f32 v155, v141, v100
	v_dual_add_f32 v98, v11, v13 :: v_dual_fma_f32 v154, v140, v100, -v17
	s_delay_alu instid0(VALU_DEP_4) | instskip(SKIP_2) | instid1(VALU_DEP_4)
	v_pk_fma_f32 v[100:101], v[118:119], v[102:103], v[156:157] op_sel_hi:[1,0,1]
	v_pk_mul_f32 v[134:135], v[144:145], v[158:159] op_sel_hi:[1,0]
	v_pk_fma_f32 v[102:103], v[118:119], v[102:103], v[156:157] neg_lo:[0,0,1] neg_hi:[0,0,1]
	v_pk_add_f32 v[98:99], v[98:99], v[152:153]
	v_pk_mul_f32 v[94:95], v[122:123], v[106:107] op_sel:[1,1] op_sel_hi:[0,1]
	v_mov_b32_e32 v103, v101
	v_pk_fma_f32 v[100:101], v[120:121], v[104:105], v[134:135] op_sel_hi:[1,0,1]
	v_pk_fma_f32 v[104:105], v[120:121], v[104:105], v[134:135] neg_lo:[0,0,1] neg_hi:[0,0,1]
	v_pk_add_f32 v[98:99], v[98:99], v[154:155]
	v_pk_fma_f32 v[118:119], v[122:123], v[106:107], v[94:95] op_sel_hi:[1,0,1]
	v_pk_mul_f32 v[96:97], v[146:147], v[96:97] op_sel_hi:[1,0]
	v_mov_b32_e32 v105, v101
	v_pk_fma_f32 v[94:95], v[122:123], v[106:107], v[94:95] neg_lo:[0,0,1] neg_hi:[0,0,1]
	v_pk_add_f32 v[98:99], v[98:99], v[102:103]
	s_wait_loadcnt 0x2
	v_pk_mul_f32 v[136:137], v[126:127], v[110:111] op_sel:[1,1] op_sel_hi:[0,1]
	v_dual_mov_b32 v100, v113 :: v_dual_mov_b32 v95, v119
	v_pk_fma_f32 v[102:103], v[124:125], v[108:109], v[96:97] op_sel_hi:[1,0,1]
	v_pk_add_f32 v[98:99], v[98:99], v[104:105]
	v_pk_fma_f32 v[96:97], v[124:125], v[108:109], v[96:97] neg_lo:[0,0,1] neg_hi:[0,0,1]
	v_pk_fma_f32 v[104:105], v[126:127], v[110:111], v[136:137] op_sel_hi:[1,0,1]
	v_pk_mul_f32 v[100:101], v[148:149], v[100:101] op_sel_hi:[1,0]
	v_mov_b32_e32 v97, v103
	v_pk_add_f32 v[94:95], v[98:99], v[94:95]
	v_pk_fma_f32 v[102:103], v[126:127], v[110:111], v[136:137] neg_lo:[0,0,1] neg_hi:[0,0,1]
	s_wait_loadcnt 0x1
	v_pk_mul_f32 v[98:99], v[130:131], v[114:115] op_sel:[1,1] op_sel_hi:[0,1]
	v_mov_b32_e32 v103, v105
	v_pk_fma_f32 v[104:105], v[128:129], v[112:113], v[100:101] op_sel_hi:[1,0,1]
	v_pk_add_f32 v[94:95], v[94:95], v[96:97]
	v_mov_b32_e32 v96, v117
	v_pk_fma_f32 v[100:101], v[128:129], v[112:113], v[100:101] neg_lo:[0,0,1] neg_hi:[0,0,1]
	v_pk_fma_f32 v[106:107], v[130:131], v[114:115], v[98:99] op_sel_hi:[1,0,1]
	v_mov_b32_e32 v101, v105
	v_pk_add_f32 v[94:95], v[94:95], v[102:103]
	v_pk_mul_f32 v[96:97], v[150:151], v[96:97] op_sel_hi:[1,0]
	v_pk_fma_f32 v[98:99], v[130:131], v[114:115], v[98:99] neg_lo:[0,0,1] neg_hi:[0,0,1]
	s_delay_alu instid0(VALU_DEP_3) | instskip(NEXT) | instid1(VALU_DEP_3)
	v_pk_add_f32 v[94:95], v[94:95], v[100:101]
	v_pk_fma_f32 v[100:101], v[132:133], v[116:117], v[96:97] op_sel_hi:[1,0,1]
	v_mov_b32_e32 v99, v107
	v_pk_fma_f32 v[96:97], v[132:133], v[116:117], v[96:97] neg_lo:[0,0,1] neg_hi:[0,0,1]
	s_delay_alu instid0(VALU_DEP_3) | instskip(NEXT) | instid1(VALU_DEP_3)
	v_mov_b32_e32 v97, v101
	v_pk_add_f32 v[94:95], v[94:95], v[98:99]
	s_delay_alu instid0(VALU_DEP_1) | instskip(SKIP_1) | instid1(VALU_DEP_1)
	v_pk_add_f32 v[94:95], v[94:95], v[96:97]
	s_wait_loadcnt 0x0
	v_pk_add_f32 v[94:95], v[142:143], v[94:95] neg_lo:[0,1] neg_hi:[0,1]
	scratch_store_b64 off, v[94:95], off offset:264
	s_wait_xcnt 0x0
	v_cmpx_lt_u32_e32 32, v0
	s_cbranch_execz .LBB109_225
; %bb.224:
	scratch_load_b64 v[94:95], off, off offset:256
	v_mov_b64_e32 v[96:97], 0
	scratch_store_b64 off, v[96:97], off offset:256
	s_wait_loadcnt 0x0
	ds_store_b64 v1, v[94:95]
.LBB109_225:
	s_wait_xcnt 0x0
	s_or_b32 exec_lo, exec_lo, s0
	s_wait_storecnt_dscnt 0x0
	s_barrier_signal -1
	s_barrier_wait -1
	s_clause 0x7
	scratch_load_b128 v[94:97], off, off offset:264
	scratch_load_b128 v[98:101], off, off offset:280
	;; [unrolled: 1-line block ×6, first 2 shown]
	scratch_load_b64 v[142:143], off, off offset:360
	scratch_load_b64 v[144:145], off, off offset:256
	v_mov_b32_e32 v7, 0
	ds_load_2addr_b64 v[118:121], v7 offset0:83 offset1:84
	ds_load_2addr_b64 v[122:125], v7 offset0:85 offset1:86
	;; [unrolled: 1-line block ×6, first 2 shown]
	ds_load_b64 v[146:147], v7 offset:728
	s_mov_b32 s0, exec_lo
	s_wait_dscnt 0x6
	v_dual_mov_b32 v148, v121 :: v_dual_mov_b32 v149, v120
	s_wait_dscnt 0x3
	v_dual_mov_b32 v150, v125 :: v_dual_mov_b32 v155, v132
	v_dual_mov_b32 v151, v124 :: v_dual_mov_b32 v152, v129
	;; [unrolled: 1-line block ×3, first 2 shown]
	s_wait_loadcnt_dscnt 0x702
	v_dual_mul_f32 v9, v134, v95 :: v_dual_mul_f32 v15, v135, v95
	v_dual_mul_f32 v17, v137, v97 :: v_dual_mul_f32 v11, v136, v97
	s_wait_loadcnt_dscnt 0x601
	s_delay_alu instid0(VALU_DEP_2) | instskip(NEXT) | instid1(VALU_DEP_3)
	v_dual_mul_f32 v13, v138, v99 :: v_dual_fmac_f32 v9, v135, v94
	v_dual_fma_f32 v15, v134, v94, -v15 :: v_dual_mul_f32 v19, v139, v99
	v_mul_f32_e32 v21, v141, v101
	s_wait_loadcnt 0x4
	v_dual_mov_b32 v94, v109 :: v_dual_fma_f32 v17, v136, v96, -v17
	v_dual_fmac_f32 v11, v137, v96 :: v_dual_add_f32 v9, 0, v9
	v_dual_add_f32 v15, 0, v15 :: v_dual_fmac_f32 v13, v139, v98
	v_dual_mul_f32 v157, v140, v101 :: v_dual_mul_f32 v159, v118, v103
	v_dual_mul_f32 v23, v119, v103 :: v_dual_mov_b32 v158, v105
	s_delay_alu instid0(VALU_DEP_4) | instskip(NEXT) | instid1(VALU_DEP_3)
	v_dual_fma_f32 v19, v138, v98, -v19 :: v_dual_add_f32 v9, v9, v11
	v_dual_add_f32 v11, v15, v17 :: v_dual_fmac_f32 v157, v141, v100
	v_pk_mul_f32 v[160:161], v[122:123], v[106:107] op_sel:[1,1] op_sel_hi:[0,1]
	s_delay_alu instid0(VALU_DEP_3)
	v_dual_fma_f32 v156, v140, v100, -v21 :: v_dual_add_f32 v101, v9, v13
	v_pk_mul_f32 v[98:99], v[148:149], v[158:159] op_sel_hi:[1,0]
	s_wait_loadcnt 0x3
	v_dual_add_f32 v100, v11, v19 :: v_dual_mov_b32 v134, v113
	v_fmac_f32_e32 v159, v119, v102
	v_fma_f32 v158, v118, v102, -v23
	v_pk_fma_f32 v[102:103], v[120:121], v[104:105], v[98:99] op_sel_hi:[1,0,1]
	s_delay_alu instid0(VALU_DEP_4) | instskip(SKIP_4) | instid1(VALU_DEP_4)
	v_pk_add_f32 v[100:101], v[100:101], v[156:157]
	v_pk_fma_f32 v[118:119], v[122:123], v[106:107], v[160:161] op_sel_hi:[1,0,1]
	v_pk_fma_f32 v[98:99], v[120:121], v[104:105], v[98:99] neg_lo:[0,0,1] neg_hi:[0,0,1]
	v_pk_fma_f32 v[104:105], v[122:123], v[106:107], v[160:161] neg_lo:[0,0,1] neg_hi:[0,0,1]
	v_pk_mul_f32 v[94:95], v[150:151], v[94:95] op_sel_hi:[1,0]
	v_dual_mov_b32 v99, v103 :: v_dual_mov_b32 v105, v119
	v_pk_add_f32 v[100:101], v[100:101], v[158:159]
	v_pk_mul_f32 v[96:97], v[126:127], v[110:111] op_sel:[1,1] op_sel_hi:[0,1]
	s_delay_alu instid0(VALU_DEP_4)
	v_pk_fma_f32 v[106:107], v[124:125], v[108:109], v[94:95] op_sel_hi:[1,0,1]
	v_pk_fma_f32 v[94:95], v[124:125], v[108:109], v[94:95] neg_lo:[0,0,1] neg_hi:[0,0,1]
	v_pk_mul_f32 v[118:119], v[152:153], v[134:135] op_sel_hi:[1,0]
	v_pk_add_f32 v[98:99], v[100:101], v[98:99]
	v_pk_fma_f32 v[100:101], v[126:127], v[110:111], v[96:97] op_sel_hi:[1,0,1]
	s_wait_loadcnt 0x2
	v_dual_mov_b32 v95, v107 :: v_dual_mov_b32 v100, v117
	v_pk_fma_f32 v[96:97], v[126:127], v[110:111], v[96:97] neg_lo:[0,0,1] neg_hi:[0,0,1]
	v_pk_add_f32 v[98:99], v[98:99], v[104:105]
	v_pk_mul_f32 v[102:103], v[130:131], v[114:115] op_sel:[1,1] op_sel_hi:[0,1]
	v_pk_fma_f32 v[104:105], v[128:129], v[112:113], v[118:119] op_sel_hi:[1,0,1]
	v_mov_b32_e32 v97, v101
	v_pk_fma_f32 v[106:107], v[128:129], v[112:113], v[118:119] neg_lo:[0,0,1] neg_hi:[0,0,1]
	v_pk_add_f32 v[94:95], v[98:99], v[94:95]
	v_pk_fma_f32 v[98:99], v[130:131], v[114:115], v[102:103] op_sel_hi:[1,0,1]
	v_pk_mul_f32 v[100:101], v[154:155], v[100:101] op_sel_hi:[1,0]
	v_mov_b32_e32 v107, v105
	s_delay_alu instid0(VALU_DEP_4)
	v_pk_add_f32 v[94:95], v[94:95], v[96:97]
	v_pk_fma_f32 v[96:97], v[130:131], v[114:115], v[102:103] neg_lo:[0,0,1] neg_hi:[0,0,1]
	v_mov_b32_e32 v97, v99
	v_pk_fma_f32 v[98:99], v[132:133], v[116:117], v[100:101] op_sel_hi:[1,0,1]
	s_wait_loadcnt_dscnt 0x100
	v_pk_mul_f32 v[102:103], v[146:147], v[142:143] op_sel:[1,1] op_sel_hi:[0,1]
	v_pk_add_f32 v[94:95], v[94:95], v[106:107]
	v_pk_fma_f32 v[100:101], v[132:133], v[116:117], v[100:101] neg_lo:[0,0,1] neg_hi:[0,0,1]
	v_mov_b32_e32 v101, v99
	s_delay_alu instid0(VALU_DEP_4) | instskip(NEXT) | instid1(VALU_DEP_4)
	v_pk_fma_f32 v[98:99], v[146:147], v[142:143], v[102:103] neg_lo:[0,0,1] neg_hi:[0,0,1]
	v_pk_add_f32 v[94:95], v[94:95], v[96:97]
	v_pk_fma_f32 v[96:97], v[146:147], v[142:143], v[102:103] op_sel_hi:[1,0,1]
	s_delay_alu instid0(VALU_DEP_2) | instskip(NEXT) | instid1(VALU_DEP_2)
	v_pk_add_f32 v[94:95], v[94:95], v[100:101]
	v_mov_b32_e32 v99, v97
	s_delay_alu instid0(VALU_DEP_1) | instskip(SKIP_1) | instid1(VALU_DEP_1)
	v_pk_add_f32 v[94:95], v[94:95], v[98:99]
	s_wait_loadcnt 0x0
	v_pk_add_f32 v[94:95], v[144:145], v[94:95] neg_lo:[0,1] neg_hi:[0,1]
	scratch_store_b64 off, v[94:95], off offset:256
	s_wait_xcnt 0x0
	v_cmpx_lt_u32_e32 31, v0
	s_cbranch_execz .LBB109_227
; %bb.226:
	scratch_load_b64 v[94:95], off, off offset:248
	v_mov_b64_e32 v[96:97], 0
	scratch_store_b64 off, v[96:97], off offset:248
	s_wait_loadcnt 0x0
	ds_store_b64 v1, v[94:95]
.LBB109_227:
	s_wait_xcnt 0x0
	s_or_b32 exec_lo, exec_lo, s0
	s_wait_storecnt_dscnt 0x0
	s_barrier_signal -1
	s_barrier_wait -1
	s_clause 0x7
	scratch_load_b128 v[94:97], off, off offset:256
	scratch_load_b128 v[98:101], off, off offset:272
	scratch_load_b128 v[102:105], off, off offset:288
	scratch_load_b128 v[106:109], off, off offset:304
	scratch_load_b128 v[110:113], off, off offset:320
	scratch_load_b128 v[114:117], off, off offset:336
	scratch_load_b128 v[118:121], off, off offset:352
	scratch_load_b64 v[150:151], off, off offset:248
	ds_load_b128 v[122:125], v7 offset:672
	ds_load_b128 v[126:129], v7 offset:688
	;; [unrolled: 1-line block ×7, first 2 shown]
	s_mov_b32 s0, exec_lo
	s_wait_dscnt 0x6
	v_dual_mov_b32 v152, v125 :: v_dual_mov_b32 v153, v124
	s_wait_dscnt 0x5
	v_dual_mov_b32 v154, v129 :: v_dual_mov_b32 v155, v128
	;; [unrolled: 2-line block ×4, first 2 shown]
	s_wait_loadcnt_dscnt 0x702
	v_dual_mul_f32 v7, v138, v95 :: v_dual_mul_f32 v9, v140, v97
	v_dual_mul_f32 v15, v139, v95 :: v_dual_mul_f32 v17, v141, v97
	s_wait_loadcnt_dscnt 0x601
	v_dual_mul_f32 v11, v142, v99 :: v_dual_mul_f32 v13, v144, v101
	s_delay_alu instid0(VALU_DEP_3) | instskip(NEXT) | instid1(VALU_DEP_3)
	v_dual_fmac_f32 v7, v139, v94 :: v_dual_fmac_f32 v9, v141, v96
	v_dual_fma_f32 v15, v138, v94, -v15 :: v_dual_fma_f32 v17, v140, v96, -v17
	v_dual_mul_f32 v19, v143, v99 :: v_dual_mul_f32 v21, v145, v101
	s_wait_loadcnt 0x4
	s_delay_alu instid0(VALU_DEP_3) | instskip(NEXT) | instid1(VALU_DEP_3)
	v_dual_add_f32 v7, 0, v7 :: v_dual_mov_b32 v96, v109
	v_dual_add_f32 v15, 0, v15 :: v_dual_fmac_f32 v11, v143, v98
	s_delay_alu instid0(VALU_DEP_2) | instskip(SKIP_2) | instid1(VALU_DEP_3)
	v_dual_fma_f32 v19, v142, v98, -v19 :: v_dual_add_f32 v7, v7, v9
	s_wait_dscnt 0x0
	v_dual_mul_f32 v161, v146, v103 :: v_dual_mul_f32 v163, v148, v105
	v_dual_add_f32 v9, v15, v17 :: v_dual_fmac_f32 v13, v145, v100
	v_dual_mul_f32 v23, v147, v103 :: v_dual_mul_f32 v25, v149, v105
	v_dual_fma_f32 v15, v144, v100, -v21 :: v_dual_add_f32 v7, v7, v11
	s_delay_alu instid0(VALU_DEP_3) | instskip(SKIP_3) | instid1(VALU_DEP_3)
	v_dual_add_f32 v9, v9, v19 :: v_dual_fmac_f32 v161, v147, v102
	v_pk_mul_f32 v[94:95], v[122:123], v[106:107] op_sel:[1,1] op_sel_hi:[0,1]
	s_wait_loadcnt 0x3
	v_dual_mov_b32 v100, v113 :: v_dual_fma_f32 v160, v146, v102, -v23
	v_dual_add_f32 v103, v7, v13 :: v_dual_add_f32 v102, v9, v15
	v_dual_fmac_f32 v163, v149, v104 :: v_dual_fma_f32 v162, v148, v104, -v25
	v_pk_fma_f32 v[104:105], v[122:123], v[106:107], v[94:95] op_sel_hi:[1,0,1]
	v_pk_mul_f32 v[96:97], v[152:153], v[96:97] op_sel_hi:[1,0]
	s_delay_alu instid0(VALU_DEP_4)
	v_pk_add_f32 v[102:103], v[102:103], v[160:161]
	v_pk_fma_f32 v[94:95], v[122:123], v[106:107], v[94:95] neg_lo:[0,0,1] neg_hi:[0,0,1]
	v_pk_mul_f32 v[98:99], v[126:127], v[110:111] op_sel:[1,1] op_sel_hi:[0,1]
	v_mov_b32_e32 v95, v105
	v_pk_fma_f32 v[104:105], v[124:125], v[108:109], v[96:97] op_sel_hi:[1,0,1]
	v_pk_add_f32 v[102:103], v[102:103], v[162:163]
	v_pk_fma_f32 v[96:97], v[124:125], v[108:109], v[96:97] neg_lo:[0,0,1] neg_hi:[0,0,1]
	v_pk_fma_f32 v[106:107], v[126:127], v[110:111], v[98:99] op_sel_hi:[1,0,1]
	v_pk_mul_f32 v[100:101], v[154:155], v[100:101] op_sel_hi:[1,0]
	v_mov_b32_e32 v97, v105
	v_pk_add_f32 v[94:95], v[102:103], v[94:95]
	s_wait_loadcnt 0x2
	v_pk_mul_f32 v[138:139], v[130:131], v[114:115] op_sel:[1,1] op_sel_hi:[0,1]
	v_mov_b32_e32 v102, v117
	v_pk_fma_f32 v[98:99], v[126:127], v[110:111], v[98:99] neg_lo:[0,0,1] neg_hi:[0,0,1]
	v_mov_b32_e32 v99, v107
	v_pk_fma_f32 v[104:105], v[128:129], v[112:113], v[100:101] op_sel_hi:[1,0,1]
	v_pk_add_f32 v[94:95], v[94:95], v[96:97]
	v_pk_fma_f32 v[96:97], v[130:131], v[114:115], v[138:139] op_sel_hi:[1,0,1]
	v_pk_mul_f32 v[102:103], v[156:157], v[102:103] op_sel_hi:[1,0]
	v_pk_fma_f32 v[100:101], v[128:129], v[112:113], v[100:101] neg_lo:[0,0,1] neg_hi:[0,0,1]
	v_mov_b32_e32 v101, v105
	v_pk_add_f32 v[94:95], v[94:95], v[98:99]
	v_pk_fma_f32 v[104:105], v[130:131], v[114:115], v[138:139] neg_lo:[0,0,1] neg_hi:[0,0,1]
	v_mov_b32_e32 v105, v97
	v_pk_fma_f32 v[96:97], v[132:133], v[116:117], v[102:103] op_sel_hi:[1,0,1]
	s_wait_loadcnt 0x1
	v_pk_mul_f32 v[98:99], v[134:135], v[118:119] op_sel:[1,1] op_sel_hi:[0,1]
	v_pk_add_f32 v[94:95], v[94:95], v[100:101]
	v_mov_b32_e32 v96, v121
	v_pk_fma_f32 v[102:103], v[132:133], v[116:117], v[102:103] neg_lo:[0,0,1] neg_hi:[0,0,1]
	v_mov_b32_e32 v103, v97
	v_pk_fma_f32 v[100:101], v[134:135], v[118:119], v[98:99] op_sel_hi:[1,0,1]
	v_pk_add_f32 v[94:95], v[94:95], v[104:105]
	v_pk_mul_f32 v[96:97], v[158:159], v[96:97] op_sel_hi:[1,0]
	v_pk_fma_f32 v[98:99], v[134:135], v[118:119], v[98:99] neg_lo:[0,0,1] neg_hi:[0,0,1]
	s_delay_alu instid0(VALU_DEP_4) | instskip(NEXT) | instid1(VALU_DEP_4)
	v_mov_b32_e32 v99, v101
	v_pk_add_f32 v[94:95], v[94:95], v[102:103]
	s_delay_alu instid0(VALU_DEP_4) | instskip(SKIP_1) | instid1(VALU_DEP_2)
	v_pk_fma_f32 v[100:101], v[136:137], v[120:121], v[96:97] op_sel_hi:[1,0,1]
	v_pk_fma_f32 v[96:97], v[136:137], v[120:121], v[96:97] neg_lo:[0,0,1] neg_hi:[0,0,1]
	v_mov_b32_e32 v97, v101
	s_delay_alu instid0(VALU_DEP_4) | instskip(NEXT) | instid1(VALU_DEP_1)
	v_pk_add_f32 v[94:95], v[94:95], v[98:99]
	v_pk_add_f32 v[94:95], v[94:95], v[96:97]
	s_wait_loadcnt 0x0
	s_delay_alu instid0(VALU_DEP_1)
	v_pk_add_f32 v[94:95], v[150:151], v[94:95] neg_lo:[0,1] neg_hi:[0,1]
	scratch_store_b64 off, v[94:95], off offset:248
	s_wait_xcnt 0x0
	v_cmpx_lt_u32_e32 30, v0
	s_cbranch_execz .LBB109_229
; %bb.228:
	scratch_load_b64 v[94:95], off, off offset:240
	v_mov_b64_e32 v[96:97], 0
	scratch_store_b64 off, v[96:97], off offset:240
	s_wait_loadcnt 0x0
	ds_store_b64 v1, v[94:95]
.LBB109_229:
	s_wait_xcnt 0x0
	s_or_b32 exec_lo, exec_lo, s0
	s_wait_storecnt_dscnt 0x0
	s_barrier_signal -1
	s_barrier_wait -1
	s_clause 0x8
	scratch_load_b128 v[94:97], off, off offset:248
	scratch_load_b128 v[98:101], off, off offset:264
	;; [unrolled: 1-line block ×7, first 2 shown]
	scratch_load_b64 v[150:151], off, off offset:360
	scratch_load_b64 v[152:153], off, off offset:240
	v_mov_b32_e32 v7, 0
	ds_load_2addr_b64 v[122:125], v7 offset0:83 offset1:84
	ds_load_2addr_b64 v[126:129], v7 offset0:85 offset1:86
	;; [unrolled: 1-line block ×7, first 2 shown]
	ds_load_b64 v[154:155], v7 offset:728
	s_mov_b32 s0, exec_lo
	s_wait_dscnt 0x7
	v_dual_mov_b32 v156, v125 :: v_dual_mov_b32 v157, v124
	s_wait_dscnt 0x4
	v_dual_mov_b32 v158, v129 :: v_dual_mov_b32 v163, v136
	v_dual_mov_b32 v159, v128 :: v_dual_mov_b32 v160, v133
	;; [unrolled: 1-line block ×3, first 2 shown]
	s_wait_loadcnt_dscnt 0x803
	v_dual_mul_f32 v9, v138, v95 :: v_dual_mul_f32 v19, v139, v95
	v_dual_mul_f32 v21, v141, v97 :: v_dual_mul_f32 v11, v140, v97
	s_wait_loadcnt_dscnt 0x702
	v_mul_f32_e32 v13, v142, v99
	s_wait_loadcnt 0x5
	v_dual_mul_f32 v31, v123, v107 :: v_dual_fma_f32 v19, v138, v94, -v19
	v_dual_fmac_f32 v9, v139, v94 :: v_dual_mov_b32 v94, v109
	v_dual_mul_f32 v23, v143, v99 :: v_dual_mul_f32 v25, v145, v101
	v_dual_fmac_f32 v11, v141, v96 :: v_dual_fma_f32 v21, v140, v96, -v21
	s_delay_alu instid0(VALU_DEP_3) | instskip(SKIP_3) | instid1(VALU_DEP_3)
	v_dual_add_f32 v9, 0, v9 :: v_dual_add_f32 v19, 0, v19
	s_wait_dscnt 0x1
	v_dual_mul_f32 v15, v144, v101 :: v_dual_mul_f32 v17, v146, v103
	v_dual_fmac_f32 v13, v143, v98 :: v_dual_fma_f32 v23, v142, v98, -v23
	v_dual_add_f32 v9, v9, v11 :: v_dual_add_f32 v11, v19, v21
	v_dual_mul_f32 v27, v147, v103 :: v_dual_mul_f32 v29, v149, v105
	s_wait_loadcnt 0x4
	v_dual_mov_b32 v98, v113 :: v_dual_fma_f32 v19, v144, v100, -v25
	s_delay_alu instid0(VALU_DEP_3) | instskip(SKIP_2) | instid1(VALU_DEP_2)
	v_dual_fmac_f32 v15, v145, v100 :: v_dual_add_f32 v11, v11, v23
	v_dual_add_f32 v9, v9, v13 :: v_dual_fmac_f32 v17, v147, v102
	v_dual_mul_f32 v165, v148, v105 :: v_dual_mul_f32 v167, v122, v107
	v_dual_fma_f32 v13, v146, v102, -v27 :: v_dual_add_f32 v9, v9, v15
	s_delay_alu instid0(VALU_DEP_2) | instskip(SKIP_1) | instid1(VALU_DEP_3)
	v_dual_add_f32 v11, v11, v19 :: v_dual_fmac_f32 v165, v149, v104
	v_pk_mul_f32 v[96:97], v[126:127], v[110:111] op_sel:[1,1] op_sel_hi:[0,1]
	v_dual_fma_f32 v164, v148, v104, -v29 :: v_dual_add_f32 v103, v9, v17
	v_pk_mul_f32 v[94:95], v[156:157], v[94:95] op_sel_hi:[1,0]
	s_wait_loadcnt 0x3
	v_dual_add_f32 v102, v11, v13 :: v_dual_mov_b32 v104, v117
	v_fmac_f32_e32 v167, v123, v106
	v_fma_f32 v166, v122, v106, -v31
	v_pk_fma_f32 v[106:107], v[124:125], v[108:109], v[94:95] op_sel_hi:[1,0,1]
	s_delay_alu instid0(VALU_DEP_4) | instskip(SKIP_4) | instid1(VALU_DEP_4)
	v_pk_add_f32 v[102:103], v[102:103], v[164:165]
	v_pk_fma_f32 v[122:123], v[126:127], v[110:111], v[96:97] op_sel_hi:[1,0,1]
	v_pk_fma_f32 v[94:95], v[124:125], v[108:109], v[94:95] neg_lo:[0,0,1] neg_hi:[0,0,1]
	v_pk_fma_f32 v[96:97], v[126:127], v[110:111], v[96:97] neg_lo:[0,0,1] neg_hi:[0,0,1]
	v_pk_mul_f32 v[98:99], v[158:159], v[98:99] op_sel_hi:[1,0]
	v_dual_mov_b32 v95, v107 :: v_dual_mov_b32 v97, v123
	v_pk_add_f32 v[102:103], v[102:103], v[166:167]
	v_pk_mul_f32 v[100:101], v[130:131], v[114:115] op_sel:[1,1] op_sel_hi:[0,1]
	s_delay_alu instid0(VALU_DEP_4)
	v_pk_fma_f32 v[108:109], v[128:129], v[112:113], v[98:99] op_sel_hi:[1,0,1]
	v_pk_fma_f32 v[98:99], v[128:129], v[112:113], v[98:99] neg_lo:[0,0,1] neg_hi:[0,0,1]
	v_pk_mul_f32 v[104:105], v[160:161], v[104:105] op_sel_hi:[1,0]
	v_pk_add_f32 v[94:95], v[102:103], v[94:95]
	v_pk_fma_f32 v[102:103], v[130:131], v[114:115], v[100:101] op_sel_hi:[1,0,1]
	v_mov_b32_e32 v99, v109
	v_pk_fma_f32 v[100:101], v[130:131], v[114:115], v[100:101] neg_lo:[0,0,1] neg_hi:[0,0,1]
	s_wait_loadcnt 0x2
	v_pk_mul_f32 v[106:107], v[134:135], v[118:119] op_sel:[1,1] op_sel_hi:[0,1]
	v_pk_add_f32 v[94:95], v[94:95], v[96:97]
	v_dual_mov_b32 v96, v121 :: v_dual_mov_b32 v101, v103
	v_pk_fma_f32 v[102:103], v[132:133], v[116:117], v[104:105] op_sel_hi:[1,0,1]
	v_pk_fma_f32 v[104:105], v[132:133], v[116:117], v[104:105] neg_lo:[0,0,1] neg_hi:[0,0,1]
	s_delay_alu instid0(VALU_DEP_4)
	v_pk_add_f32 v[94:95], v[94:95], v[98:99]
	v_pk_fma_f32 v[98:99], v[134:135], v[118:119], v[106:107] op_sel_hi:[1,0,1]
	v_pk_mul_f32 v[96:97], v[162:163], v[96:97] op_sel_hi:[1,0]
	v_mov_b32_e32 v105, v103
	s_wait_loadcnt_dscnt 0x100
	v_pk_mul_f32 v[102:103], v[154:155], v[150:151] op_sel:[1,1] op_sel_hi:[0,1]
	v_pk_add_f32 v[94:95], v[94:95], v[100:101]
	v_pk_fma_f32 v[100:101], v[134:135], v[118:119], v[106:107] neg_lo:[0,0,1] neg_hi:[0,0,1]
	v_mov_b32_e32 v101, v99
	v_pk_fma_f32 v[98:99], v[136:137], v[120:121], v[96:97] op_sel_hi:[1,0,1]
	v_pk_fma_f32 v[96:97], v[136:137], v[120:121], v[96:97] neg_lo:[0,0,1] neg_hi:[0,0,1]
	v_pk_add_f32 v[94:95], v[94:95], v[104:105]
	s_delay_alu instid0(VALU_DEP_3) | instskip(SKIP_1) | instid1(VALU_DEP_3)
	v_mov_b32_e32 v97, v99
	v_pk_fma_f32 v[98:99], v[154:155], v[150:151], v[102:103] op_sel_hi:[1,0,1]
	v_pk_add_f32 v[94:95], v[94:95], v[100:101]
	v_pk_fma_f32 v[100:101], v[154:155], v[150:151], v[102:103] neg_lo:[0,0,1] neg_hi:[0,0,1]
	s_delay_alu instid0(VALU_DEP_3) | instskip(NEXT) | instid1(VALU_DEP_3)
	v_mov_b32_e32 v101, v99
	v_pk_add_f32 v[94:95], v[94:95], v[96:97]
	s_delay_alu instid0(VALU_DEP_1) | instskip(SKIP_1) | instid1(VALU_DEP_1)
	v_pk_add_f32 v[94:95], v[94:95], v[100:101]
	s_wait_loadcnt 0x0
	v_pk_add_f32 v[94:95], v[152:153], v[94:95] neg_lo:[0,1] neg_hi:[0,1]
	scratch_store_b64 off, v[94:95], off offset:240
	s_wait_xcnt 0x0
	v_cmpx_lt_u32_e32 29, v0
	s_cbranch_execz .LBB109_231
; %bb.230:
	scratch_load_b64 v[94:95], off, off offset:232
	v_mov_b64_e32 v[96:97], 0
	scratch_store_b64 off, v[96:97], off offset:232
	s_wait_loadcnt 0x0
	ds_store_b64 v1, v[94:95]
.LBB109_231:
	s_wait_xcnt 0x0
	s_or_b32 exec_lo, exec_lo, s0
	s_wait_storecnt_dscnt 0x0
	s_barrier_signal -1
	s_barrier_wait -1
	s_clause 0x8
	scratch_load_b128 v[94:97], off, off offset:240
	scratch_load_b128 v[98:101], off, off offset:256
	;; [unrolled: 1-line block ×8, first 2 shown]
	scratch_load_b64 v[158:159], off, off offset:232
	ds_load_b128 v[126:129], v7 offset:672
	ds_load_b128 v[130:133], v7 offset:688
	;; [unrolled: 1-line block ×8, first 2 shown]
	s_mov_b32 s0, exec_lo
	s_wait_dscnt 0x7
	v_dual_mov_b32 v160, v129 :: v_dual_mov_b32 v161, v128
	s_wait_dscnt 0x6
	v_dual_mov_b32 v162, v133 :: v_dual_mov_b32 v163, v132
	;; [unrolled: 2-line block ×4, first 2 shown]
	s_wait_loadcnt_dscnt 0x803
	v_dual_mul_f32 v7, v142, v95 :: v_dual_mul_f32 v9, v144, v97
	v_dual_mul_f32 v19, v143, v95 :: v_dual_mul_f32 v21, v145, v97
	s_wait_loadcnt_dscnt 0x702
	v_dual_mul_f32 v11, v146, v99 :: v_dual_mul_f32 v13, v148, v101
	s_delay_alu instid0(VALU_DEP_3) | instskip(SKIP_3) | instid1(VALU_DEP_3)
	v_dual_fmac_f32 v7, v143, v94 :: v_dual_fmac_f32 v9, v145, v96
	s_wait_loadcnt_dscnt 0x500
	v_dual_fma_f32 v19, v142, v94, -v19 :: v_dual_mul_f32 v31, v155, v107
	v_dual_mul_f32 v23, v147, v99 :: v_dual_mul_f32 v25, v149, v101
	v_dual_fma_f32 v21, v144, v96, -v21 :: v_dual_add_f32 v7, 0, v7
	s_delay_alu instid0(VALU_DEP_3) | instskip(SKIP_1) | instid1(VALU_DEP_3)
	v_dual_add_f32 v19, 0, v19 :: v_dual_mul_f32 v33, v157, v109
	v_dual_fmac_f32 v11, v147, v98 :: v_dual_fmac_f32 v13, v149, v100
	v_dual_fma_f32 v23, v146, v98, -v23 :: v_dual_add_f32 v7, v7, v9
	s_delay_alu instid0(VALU_DEP_3) | instskip(SKIP_4) | instid1(VALU_DEP_3)
	v_dual_add_f32 v9, v19, v21 :: v_dual_fma_f32 v19, v148, v100, -v25
	v_dual_mul_f32 v15, v150, v103 :: v_dual_mul_f32 v17, v152, v105
	v_dual_mul_f32 v27, v151, v103 :: v_dual_mul_f32 v29, v153, v105
	s_wait_loadcnt 0x4
	v_dual_add_f32 v7, v7, v11 :: v_dual_mov_b32 v96, v113
	v_dual_add_f32 v9, v9, v23 :: v_dual_fmac_f32 v15, v151, v102
	s_delay_alu instid0(VALU_DEP_2) | instskip(SKIP_1) | instid1(VALU_DEP_3)
	v_dual_fma_f32 v11, v150, v102, -v27 :: v_dual_add_f32 v7, v7, v13
	v_dual_mul_f32 v169, v154, v107 :: v_dual_mul_f32 v171, v156, v109
	v_dual_add_f32 v9, v9, v19 :: v_dual_fma_f32 v13, v152, v104, -v29
	s_delay_alu instid0(VALU_DEP_3) | instskip(SKIP_1) | instid1(VALU_DEP_3)
	v_dual_fmac_f32 v17, v153, v104 :: v_dual_add_f32 v7, v7, v15
	v_pk_mul_f32 v[94:95], v[126:127], v[110:111] op_sel:[1,1] op_sel_hi:[0,1]
	v_dual_add_f32 v9, v9, v11 :: v_dual_fmac_f32 v169, v155, v106
	s_wait_loadcnt 0x3
	v_dual_mov_b32 v100, v117 :: v_dual_fma_f32 v168, v154, v106, -v31
	v_dual_add_f32 v103, v7, v17 :: v_dual_fmac_f32 v171, v157, v108
	s_delay_alu instid0(VALU_DEP_3) | instskip(SKIP_3) | instid1(VALU_DEP_4)
	v_dual_add_f32 v102, v9, v13 :: v_dual_fma_f32 v170, v156, v108, -v33
	v_pk_fma_f32 v[104:105], v[126:127], v[110:111], v[94:95] op_sel_hi:[1,0,1]
	v_pk_mul_f32 v[96:97], v[160:161], v[96:97] op_sel_hi:[1,0]
	v_pk_fma_f32 v[94:95], v[126:127], v[110:111], v[94:95] neg_lo:[0,0,1] neg_hi:[0,0,1]
	v_pk_add_f32 v[102:103], v[102:103], v[168:169]
	v_pk_mul_f32 v[98:99], v[130:131], v[114:115] op_sel:[1,1] op_sel_hi:[0,1]
	v_mov_b32_e32 v95, v105
	v_pk_fma_f32 v[104:105], v[128:129], v[112:113], v[96:97] op_sel_hi:[1,0,1]
	v_pk_fma_f32 v[96:97], v[128:129], v[112:113], v[96:97] neg_lo:[0,0,1] neg_hi:[0,0,1]
	v_pk_add_f32 v[102:103], v[102:103], v[170:171]
	v_pk_fma_f32 v[108:109], v[130:131], v[114:115], v[98:99] op_sel_hi:[1,0,1]
	v_pk_mul_f32 v[100:101], v[162:163], v[100:101] op_sel_hi:[1,0]
	v_mov_b32_e32 v97, v105
	s_wait_loadcnt 0x2
	v_pk_mul_f32 v[106:107], v[134:135], v[118:119] op_sel:[1,1] op_sel_hi:[0,1]
	v_pk_add_f32 v[94:95], v[102:103], v[94:95]
	v_mov_b32_e32 v102, v121
	v_pk_fma_f32 v[98:99], v[130:131], v[114:115], v[98:99] neg_lo:[0,0,1] neg_hi:[0,0,1]
	v_mov_b32_e32 v99, v109
	v_pk_fma_f32 v[104:105], v[132:133], v[116:117], v[100:101] op_sel_hi:[1,0,1]
	v_pk_add_f32 v[94:95], v[94:95], v[96:97]
	v_pk_fma_f32 v[96:97], v[134:135], v[118:119], v[106:107] op_sel_hi:[1,0,1]
	v_pk_mul_f32 v[102:103], v[164:165], v[102:103] op_sel_hi:[1,0]
	v_pk_fma_f32 v[100:101], v[132:133], v[116:117], v[100:101] neg_lo:[0,0,1] neg_hi:[0,0,1]
	v_mov_b32_e32 v101, v105
	v_pk_add_f32 v[94:95], v[94:95], v[98:99]
	v_pk_fma_f32 v[104:105], v[134:135], v[118:119], v[106:107] neg_lo:[0,0,1] neg_hi:[0,0,1]
	v_mov_b32_e32 v105, v97
	v_pk_fma_f32 v[96:97], v[136:137], v[120:121], v[102:103] op_sel_hi:[1,0,1]
	s_wait_loadcnt 0x1
	v_pk_mul_f32 v[98:99], v[138:139], v[122:123] op_sel:[1,1] op_sel_hi:[0,1]
	v_pk_add_f32 v[94:95], v[94:95], v[100:101]
	v_mov_b32_e32 v96, v125
	v_pk_fma_f32 v[102:103], v[136:137], v[120:121], v[102:103] neg_lo:[0,0,1] neg_hi:[0,0,1]
	v_mov_b32_e32 v103, v97
	v_pk_fma_f32 v[100:101], v[138:139], v[122:123], v[98:99] op_sel_hi:[1,0,1]
	v_pk_add_f32 v[94:95], v[94:95], v[104:105]
	v_pk_mul_f32 v[96:97], v[166:167], v[96:97] op_sel_hi:[1,0]
	v_pk_fma_f32 v[98:99], v[138:139], v[122:123], v[98:99] neg_lo:[0,0,1] neg_hi:[0,0,1]
	s_delay_alu instid0(VALU_DEP_4) | instskip(NEXT) | instid1(VALU_DEP_4)
	v_mov_b32_e32 v99, v101
	v_pk_add_f32 v[94:95], v[94:95], v[102:103]
	s_delay_alu instid0(VALU_DEP_4) | instskip(SKIP_1) | instid1(VALU_DEP_2)
	v_pk_fma_f32 v[100:101], v[140:141], v[124:125], v[96:97] op_sel_hi:[1,0,1]
	v_pk_fma_f32 v[96:97], v[140:141], v[124:125], v[96:97] neg_lo:[0,0,1] neg_hi:[0,0,1]
	v_mov_b32_e32 v97, v101
	s_delay_alu instid0(VALU_DEP_4) | instskip(NEXT) | instid1(VALU_DEP_1)
	v_pk_add_f32 v[94:95], v[94:95], v[98:99]
	v_pk_add_f32 v[94:95], v[94:95], v[96:97]
	s_wait_loadcnt 0x0
	s_delay_alu instid0(VALU_DEP_1)
	v_pk_add_f32 v[94:95], v[158:159], v[94:95] neg_lo:[0,1] neg_hi:[0,1]
	scratch_store_b64 off, v[94:95], off offset:232
	s_wait_xcnt 0x0
	v_cmpx_lt_u32_e32 28, v0
	s_cbranch_execz .LBB109_233
; %bb.232:
	scratch_load_b64 v[94:95], off, off offset:224
	v_mov_b64_e32 v[96:97], 0
	scratch_store_b64 off, v[96:97], off offset:224
	s_wait_loadcnt 0x0
	ds_store_b64 v1, v[94:95]
.LBB109_233:
	s_wait_xcnt 0x0
	s_or_b32 exec_lo, exec_lo, s0
	s_wait_storecnt_dscnt 0x0
	s_barrier_signal -1
	s_barrier_wait -1
	s_clause 0x9
	scratch_load_b128 v[94:97], off, off offset:232
	scratch_load_b128 v[98:101], off, off offset:248
	;; [unrolled: 1-line block ×8, first 2 shown]
	scratch_load_b64 v[158:159], off, off offset:360
	scratch_load_b64 v[160:161], off, off offset:224
	v_mov_b32_e32 v7, 0
	ds_load_2addr_b64 v[126:129], v7 offset0:83 offset1:84
	ds_load_2addr_b64 v[130:133], v7 offset0:85 offset1:86
	;; [unrolled: 1-line block ×8, first 2 shown]
	ds_load_b64 v[162:163], v7 offset:728
	s_mov_b32 s0, exec_lo
	s_wait_dscnt 0x8
	v_dual_mov_b32 v164, v129 :: v_dual_mov_b32 v165, v128
	s_wait_dscnt 0x5
	v_dual_mov_b32 v166, v133 :: v_dual_mov_b32 v171, v140
	v_dual_mov_b32 v167, v132 :: v_dual_mov_b32 v168, v137
	;; [unrolled: 1-line block ×3, first 2 shown]
	s_wait_loadcnt_dscnt 0x904
	v_dual_mul_f32 v9, v142, v95 :: v_dual_mul_f32 v23, v143, v95
	v_dual_mul_f32 v25, v145, v97 :: v_dual_mul_f32 v11, v144, v97
	s_wait_loadcnt_dscnt 0x803
	v_mul_f32_e32 v13, v146, v99
	s_wait_loadcnt_dscnt 0x601
	v_dual_mul_f32 v35, v155, v107 :: v_dual_fma_f32 v23, v142, v94, -v23
	v_dual_fmac_f32 v9, v143, v94 :: v_dual_mul_f32 v37, v157, v109
	v_dual_mul_f32 v27, v147, v99 :: v_dual_mul_f32 v29, v149, v101
	v_dual_fmac_f32 v11, v145, v96 :: v_dual_fma_f32 v25, v144, v96, -v25
	s_delay_alu instid0(VALU_DEP_3) | instskip(SKIP_3) | instid1(VALU_DEP_3)
	v_dual_add_f32 v9, 0, v9 :: v_dual_add_f32 v23, 0, v23
	v_dual_mul_f32 v15, v148, v101 :: v_dual_mul_f32 v17, v150, v103
	s_wait_loadcnt 0x5
	v_dual_mul_f32 v39, v127, v111 :: v_dual_fma_f32 v27, v146, v98, -v27
	v_dual_fmac_f32 v13, v147, v98 :: v_dual_add_f32 v9, v9, v11
	v_dual_add_f32 v11, v23, v25 :: v_dual_mov_b32 v94, v113
	v_dual_mul_f32 v31, v151, v103 :: v_dual_mul_f32 v33, v153, v105
	v_dual_fmac_f32 v15, v149, v100 :: v_dual_fma_f32 v23, v148, v100, -v29
	s_delay_alu instid0(VALU_DEP_3) | instskip(SKIP_1) | instid1(VALU_DEP_4)
	v_dual_add_f32 v9, v9, v13 :: v_dual_add_f32 v11, v11, v27
	v_dual_mul_f32 v19, v152, v105 :: v_dual_mul_f32 v21, v154, v107
	v_dual_fmac_f32 v17, v151, v102 :: v_dual_fma_f32 v13, v150, v102, -v31
	s_delay_alu instid0(VALU_DEP_3) | instskip(SKIP_3) | instid1(VALU_DEP_3)
	v_dual_add_f32 v9, v9, v15 :: v_dual_fma_f32 v15, v152, v104, -v33
	s_wait_loadcnt 0x4
	v_dual_add_f32 v11, v11, v23 :: v_dual_mov_b32 v98, v117
	v_fmac_f32_e32 v19, v153, v104
	v_dual_add_f32 v9, v9, v17 :: v_dual_fmac_f32 v21, v155, v106
	s_delay_alu instid0(VALU_DEP_3) | instskip(SKIP_1) | instid1(VALU_DEP_3)
	v_add_f32_e32 v11, v11, v13
	v_dual_mul_f32 v173, v156, v109 :: v_dual_mul_f32 v175, v126, v111
	v_dual_fma_f32 v13, v154, v106, -v35 :: v_dual_add_f32 v9, v9, v19
	s_delay_alu instid0(VALU_DEP_2) | instskip(SKIP_1) | instid1(VALU_DEP_3)
	v_dual_add_f32 v11, v11, v15 :: v_dual_fmac_f32 v173, v157, v108
	v_pk_mul_f32 v[96:97], v[130:131], v[114:115] op_sel:[1,1] op_sel_hi:[0,1]
	v_dual_fma_f32 v172, v156, v108, -v37 :: v_dual_add_f32 v103, v9, v21
	v_pk_mul_f32 v[94:95], v[164:165], v[94:95] op_sel_hi:[1,0]
	s_wait_loadcnt 0x3
	v_dual_add_f32 v102, v11, v13 :: v_dual_mov_b32 v104, v121
	v_pk_fma_f32 v[108:109], v[130:131], v[114:115], v[96:97] op_sel_hi:[1,0,1]
	v_fmac_f32_e32 v175, v127, v110
	v_pk_fma_f32 v[106:107], v[128:129], v[112:113], v[94:95] op_sel_hi:[1,0,1]
	v_fma_f32 v174, v126, v110, -v39
	v_pk_add_f32 v[102:103], v[102:103], v[172:173]
	v_pk_fma_f32 v[94:95], v[128:129], v[112:113], v[94:95] neg_lo:[0,0,1] neg_hi:[0,0,1]
	v_pk_fma_f32 v[96:97], v[130:131], v[114:115], v[96:97] neg_lo:[0,0,1] neg_hi:[0,0,1]
	v_pk_mul_f32 v[98:99], v[166:167], v[98:99] op_sel_hi:[1,0]
	v_dual_mov_b32 v95, v107 :: v_dual_mov_b32 v97, v109
	v_pk_add_f32 v[102:103], v[102:103], v[174:175]
	v_pk_mul_f32 v[100:101], v[134:135], v[118:119] op_sel:[1,1] op_sel_hi:[0,1]
	s_delay_alu instid0(VALU_DEP_4)
	v_pk_fma_f32 v[108:109], v[132:133], v[116:117], v[98:99] op_sel_hi:[1,0,1]
	v_pk_fma_f32 v[98:99], v[132:133], v[116:117], v[98:99] neg_lo:[0,0,1] neg_hi:[0,0,1]
	v_pk_mul_f32 v[104:105], v[168:169], v[104:105] op_sel_hi:[1,0]
	v_pk_add_f32 v[94:95], v[102:103], v[94:95]
	v_pk_fma_f32 v[102:103], v[134:135], v[118:119], v[100:101] op_sel_hi:[1,0,1]
	v_mov_b32_e32 v99, v109
	v_pk_fma_f32 v[100:101], v[134:135], v[118:119], v[100:101] neg_lo:[0,0,1] neg_hi:[0,0,1]
	s_wait_loadcnt 0x2
	v_pk_mul_f32 v[106:107], v[138:139], v[122:123] op_sel:[1,1] op_sel_hi:[0,1]
	v_pk_add_f32 v[94:95], v[94:95], v[96:97]
	v_dual_mov_b32 v96, v125 :: v_dual_mov_b32 v101, v103
	v_pk_fma_f32 v[102:103], v[136:137], v[120:121], v[104:105] op_sel_hi:[1,0,1]
	v_pk_fma_f32 v[104:105], v[136:137], v[120:121], v[104:105] neg_lo:[0,0,1] neg_hi:[0,0,1]
	s_delay_alu instid0(VALU_DEP_4)
	v_pk_add_f32 v[94:95], v[94:95], v[98:99]
	v_pk_fma_f32 v[98:99], v[138:139], v[122:123], v[106:107] op_sel_hi:[1,0,1]
	v_pk_mul_f32 v[96:97], v[170:171], v[96:97] op_sel_hi:[1,0]
	v_mov_b32_e32 v105, v103
	s_wait_loadcnt_dscnt 0x100
	v_pk_mul_f32 v[102:103], v[162:163], v[158:159] op_sel:[1,1] op_sel_hi:[0,1]
	v_pk_add_f32 v[94:95], v[94:95], v[100:101]
	v_pk_fma_f32 v[100:101], v[138:139], v[122:123], v[106:107] neg_lo:[0,0,1] neg_hi:[0,0,1]
	v_mov_b32_e32 v101, v99
	v_pk_fma_f32 v[98:99], v[140:141], v[124:125], v[96:97] op_sel_hi:[1,0,1]
	v_pk_fma_f32 v[96:97], v[140:141], v[124:125], v[96:97] neg_lo:[0,0,1] neg_hi:[0,0,1]
	v_pk_add_f32 v[94:95], v[94:95], v[104:105]
	s_delay_alu instid0(VALU_DEP_3) | instskip(SKIP_1) | instid1(VALU_DEP_3)
	v_mov_b32_e32 v97, v99
	v_pk_fma_f32 v[98:99], v[162:163], v[158:159], v[102:103] op_sel_hi:[1,0,1]
	v_pk_add_f32 v[94:95], v[94:95], v[100:101]
	v_pk_fma_f32 v[100:101], v[162:163], v[158:159], v[102:103] neg_lo:[0,0,1] neg_hi:[0,0,1]
	s_delay_alu instid0(VALU_DEP_3) | instskip(NEXT) | instid1(VALU_DEP_3)
	v_mov_b32_e32 v101, v99
	v_pk_add_f32 v[94:95], v[94:95], v[96:97]
	s_delay_alu instid0(VALU_DEP_1) | instskip(SKIP_1) | instid1(VALU_DEP_1)
	v_pk_add_f32 v[94:95], v[94:95], v[100:101]
	s_wait_loadcnt 0x0
	v_pk_add_f32 v[94:95], v[160:161], v[94:95] neg_lo:[0,1] neg_hi:[0,1]
	scratch_store_b64 off, v[94:95], off offset:224
	s_wait_xcnt 0x0
	v_cmpx_lt_u32_e32 27, v0
	s_cbranch_execz .LBB109_235
; %bb.234:
	scratch_load_b64 v[94:95], off, off offset:216
	v_mov_b64_e32 v[96:97], 0
	scratch_store_b64 off, v[96:97], off offset:216
	s_wait_loadcnt 0x0
	ds_store_b64 v1, v[94:95]
.LBB109_235:
	s_wait_xcnt 0x0
	s_or_b32 exec_lo, exec_lo, s0
	s_wait_storecnt_dscnt 0x0
	s_barrier_signal -1
	s_barrier_wait -1
	s_clause 0x9
	scratch_load_b128 v[94:97], off, off offset:224
	scratch_load_b128 v[98:101], off, off offset:240
	;; [unrolled: 1-line block ×9, first 2 shown]
	scratch_load_b64 v[166:167], off, off offset:216
	ds_load_b128 v[130:133], v7 offset:672
	ds_load_b128 v[134:137], v7 offset:688
	;; [unrolled: 1-line block ×9, first 2 shown]
	s_mov_b32 s0, exec_lo
	s_wait_dscnt 0x8
	v_dual_mov_b32 v168, v133 :: v_dual_mov_b32 v169, v132
	s_wait_dscnt 0x7
	v_dual_mov_b32 v170, v137 :: v_dual_mov_b32 v171, v136
	;; [unrolled: 2-line block ×4, first 2 shown]
	s_wait_loadcnt_dscnt 0x904
	v_dual_mul_f32 v7, v146, v95 :: v_dual_mul_f32 v9, v148, v97
	v_dual_mul_f32 v23, v147, v95 :: v_dual_mul_f32 v25, v149, v97
	s_wait_loadcnt_dscnt 0x803
	v_dual_mul_f32 v11, v150, v99 :: v_dual_mul_f32 v13, v152, v101
	s_delay_alu instid0(VALU_DEP_3) | instskip(SKIP_3) | instid1(VALU_DEP_3)
	v_dual_fmac_f32 v7, v147, v94 :: v_dual_fmac_f32 v9, v149, v96
	s_wait_loadcnt_dscnt 0x601
	v_dual_fma_f32 v23, v146, v94, -v23 :: v_dual_mul_f32 v35, v159, v107
	v_dual_mul_f32 v27, v151, v99 :: v_dual_mul_f32 v29, v153, v101
	v_dual_fma_f32 v25, v148, v96, -v25 :: v_dual_add_f32 v7, 0, v7
	s_delay_alu instid0(VALU_DEP_3) | instskip(SKIP_1) | instid1(VALU_DEP_3)
	v_dual_add_f32 v23, 0, v23 :: v_dual_mul_f32 v37, v161, v109
	v_dual_fmac_f32 v11, v151, v98 :: v_dual_fmac_f32 v13, v153, v100
	v_dual_fma_f32 v27, v150, v98, -v27 :: v_dual_add_f32 v7, v7, v9
	s_delay_alu instid0(VALU_DEP_3) | instskip(SKIP_2) | instid1(VALU_DEP_4)
	v_dual_add_f32 v9, v23, v25 :: v_dual_fma_f32 v25, v152, v100, -v29
	v_dual_mul_f32 v15, v154, v103 :: v_dual_mul_f32 v17, v156, v105
	v_dual_mul_f32 v31, v155, v103 :: v_dual_mul_f32 v33, v157, v105
	v_add_f32_e32 v7, v7, v11
	s_delay_alu instid0(VALU_DEP_3) | instskip(NEXT) | instid1(VALU_DEP_3)
	v_dual_add_f32 v9, v9, v27 :: v_dual_fmac_f32 v15, v155, v102
	v_fma_f32 v27, v154, v102, -v31
	v_dual_mul_f32 v19, v158, v107 :: v_dual_mul_f32 v21, v160, v109
	s_delay_alu instid0(VALU_DEP_4) | instskip(NEXT) | instid1(VALU_DEP_4)
	v_dual_add_f32 v7, v7, v13 :: v_dual_fmac_f32 v17, v157, v104
	v_dual_add_f32 v9, v9, v25 :: v_dual_fma_f32 v13, v156, v104, -v33
	s_wait_loadcnt 0x4
	s_delay_alu instid0(VALU_DEP_2) | instskip(NEXT) | instid1(VALU_DEP_2)
	v_dual_mov_b32 v96, v117 :: v_dual_add_f32 v7, v7, v15
	v_dual_fmac_f32 v19, v159, v106 :: v_dual_add_f32 v9, v9, v27
	v_fma_f32 v15, v158, v106, -v35
	s_wait_dscnt 0x0
	v_dual_mul_f32 v177, v162, v111 :: v_dual_mul_f32 v179, v164, v113
	v_add_f32_e32 v7, v7, v17
	v_dual_add_f32 v9, v9, v13 :: v_dual_fma_f32 v13, v160, v108, -v37
	v_dual_mul_f32 v23, v163, v111 :: v_dual_mul_f32 v11, v165, v113
	s_delay_alu instid0(VALU_DEP_3) | instskip(NEXT) | instid1(VALU_DEP_3)
	v_dual_fmac_f32 v21, v161, v108 :: v_dual_add_f32 v7, v7, v19
	v_dual_add_f32 v9, v9, v15 :: v_dual_fmac_f32 v177, v163, v110
	v_pk_mul_f32 v[94:95], v[130:131], v[114:115] op_sel:[1,1] op_sel_hi:[0,1]
	s_wait_loadcnt 0x3
	v_dual_mov_b32 v100, v121 :: v_dual_fma_f32 v176, v162, v110, -v23
	v_dual_add_f32 v103, v7, v21 :: v_dual_fmac_f32 v179, v165, v112
	v_dual_add_f32 v102, v9, v13 :: v_dual_fma_f32 v178, v164, v112, -v11
	v_pk_fma_f32 v[104:105], v[130:131], v[114:115], v[94:95] op_sel_hi:[1,0,1]
	v_pk_mul_f32 v[96:97], v[168:169], v[96:97] op_sel_hi:[1,0]
	v_pk_fma_f32 v[94:95], v[130:131], v[114:115], v[94:95] neg_lo:[0,0,1] neg_hi:[0,0,1]
	s_delay_alu instid0(VALU_DEP_4)
	v_pk_add_f32 v[102:103], v[102:103], v[176:177]
	v_pk_mul_f32 v[98:99], v[134:135], v[118:119] op_sel:[1,1] op_sel_hi:[0,1]
	v_mov_b32_e32 v95, v105
	v_pk_fma_f32 v[104:105], v[132:133], v[116:117], v[96:97] op_sel_hi:[1,0,1]
	v_pk_fma_f32 v[96:97], v[132:133], v[116:117], v[96:97] neg_lo:[0,0,1] neg_hi:[0,0,1]
	v_pk_add_f32 v[102:103], v[102:103], v[178:179]
	v_pk_fma_f32 v[108:109], v[134:135], v[118:119], v[98:99] op_sel_hi:[1,0,1]
	v_pk_mul_f32 v[100:101], v[170:171], v[100:101] op_sel_hi:[1,0]
	v_mov_b32_e32 v97, v105
	s_wait_loadcnt 0x2
	v_pk_mul_f32 v[106:107], v[138:139], v[122:123] op_sel:[1,1] op_sel_hi:[0,1]
	v_pk_add_f32 v[94:95], v[102:103], v[94:95]
	v_mov_b32_e32 v102, v125
	v_pk_fma_f32 v[98:99], v[134:135], v[118:119], v[98:99] neg_lo:[0,0,1] neg_hi:[0,0,1]
	v_mov_b32_e32 v99, v109
	v_pk_fma_f32 v[104:105], v[136:137], v[120:121], v[100:101] op_sel_hi:[1,0,1]
	v_pk_add_f32 v[94:95], v[94:95], v[96:97]
	v_pk_fma_f32 v[96:97], v[138:139], v[122:123], v[106:107] op_sel_hi:[1,0,1]
	v_pk_mul_f32 v[102:103], v[172:173], v[102:103] op_sel_hi:[1,0]
	v_pk_fma_f32 v[100:101], v[136:137], v[120:121], v[100:101] neg_lo:[0,0,1] neg_hi:[0,0,1]
	v_mov_b32_e32 v101, v105
	v_pk_add_f32 v[94:95], v[94:95], v[98:99]
	v_pk_fma_f32 v[104:105], v[138:139], v[122:123], v[106:107] neg_lo:[0,0,1] neg_hi:[0,0,1]
	v_mov_b32_e32 v105, v97
	v_pk_fma_f32 v[96:97], v[140:141], v[124:125], v[102:103] op_sel_hi:[1,0,1]
	s_wait_loadcnt 0x1
	v_pk_mul_f32 v[98:99], v[142:143], v[126:127] op_sel:[1,1] op_sel_hi:[0,1]
	v_pk_add_f32 v[94:95], v[94:95], v[100:101]
	v_mov_b32_e32 v96, v129
	v_pk_fma_f32 v[102:103], v[140:141], v[124:125], v[102:103] neg_lo:[0,0,1] neg_hi:[0,0,1]
	v_mov_b32_e32 v103, v97
	v_pk_fma_f32 v[100:101], v[142:143], v[126:127], v[98:99] op_sel_hi:[1,0,1]
	v_pk_add_f32 v[94:95], v[94:95], v[104:105]
	v_pk_mul_f32 v[96:97], v[174:175], v[96:97] op_sel_hi:[1,0]
	v_pk_fma_f32 v[98:99], v[142:143], v[126:127], v[98:99] neg_lo:[0,0,1] neg_hi:[0,0,1]
	s_delay_alu instid0(VALU_DEP_4) | instskip(NEXT) | instid1(VALU_DEP_4)
	v_mov_b32_e32 v99, v101
	v_pk_add_f32 v[94:95], v[94:95], v[102:103]
	s_delay_alu instid0(VALU_DEP_4) | instskip(SKIP_1) | instid1(VALU_DEP_2)
	v_pk_fma_f32 v[100:101], v[144:145], v[128:129], v[96:97] op_sel_hi:[1,0,1]
	v_pk_fma_f32 v[96:97], v[144:145], v[128:129], v[96:97] neg_lo:[0,0,1] neg_hi:[0,0,1]
	v_mov_b32_e32 v97, v101
	s_delay_alu instid0(VALU_DEP_4) | instskip(NEXT) | instid1(VALU_DEP_1)
	v_pk_add_f32 v[94:95], v[94:95], v[98:99]
	v_pk_add_f32 v[94:95], v[94:95], v[96:97]
	s_wait_loadcnt 0x0
	s_delay_alu instid0(VALU_DEP_1)
	v_pk_add_f32 v[94:95], v[166:167], v[94:95] neg_lo:[0,1] neg_hi:[0,1]
	scratch_store_b64 off, v[94:95], off offset:216
	s_wait_xcnt 0x0
	v_cmpx_lt_u32_e32 26, v0
	s_cbranch_execz .LBB109_237
; %bb.236:
	scratch_load_b64 v[94:95], off, off offset:208
	v_mov_b64_e32 v[96:97], 0
	scratch_store_b64 off, v[96:97], off offset:208
	s_wait_loadcnt 0x0
	ds_store_b64 v1, v[94:95]
.LBB109_237:
	s_wait_xcnt 0x0
	s_or_b32 exec_lo, exec_lo, s0
	s_wait_storecnt_dscnt 0x0
	s_barrier_signal -1
	s_barrier_wait -1
	s_clause 0xa
	scratch_load_b128 v[94:97], off, off offset:216
	scratch_load_b128 v[98:101], off, off offset:232
	;; [unrolled: 1-line block ×9, first 2 shown]
	scratch_load_b64 v[166:167], off, off offset:360
	scratch_load_b64 v[168:169], off, off offset:208
	v_mov_b32_e32 v7, 0
	ds_load_2addr_b64 v[130:133], v7 offset0:83 offset1:84
	ds_load_2addr_b64 v[134:137], v7 offset0:85 offset1:86
	;; [unrolled: 1-line block ×9, first 2 shown]
	ds_load_b64 v[170:171], v7 offset:728
	s_mov_b32 s0, exec_lo
	s_wait_dscnt 0x9
	v_dual_mov_b32 v172, v133 :: v_dual_mov_b32 v173, v132
	s_wait_dscnt 0x6
	v_dual_mov_b32 v174, v137 :: v_dual_mov_b32 v179, v144
	v_dual_mov_b32 v175, v136 :: v_dual_mov_b32 v176, v141
	;; [unrolled: 1-line block ×3, first 2 shown]
	s_wait_loadcnt_dscnt 0xa05
	v_dual_mul_f32 v9, v146, v95 :: v_dual_mul_f32 v27, v147, v95
	v_dual_mul_f32 v29, v149, v97 :: v_dual_mul_f32 v11, v148, v97
	s_wait_loadcnt_dscnt 0x904
	v_mul_f32_e32 v13, v150, v99
	s_wait_loadcnt_dscnt 0x702
	v_dual_mul_f32 v39, v159, v107 :: v_dual_fma_f32 v27, v146, v94, -v27
	v_dual_fmac_f32 v9, v147, v94 :: v_dual_mul_f32 v41, v161, v109
	v_dual_mul_f32 v31, v151, v99 :: v_dual_mul_f32 v33, v153, v101
	v_dual_fmac_f32 v11, v149, v96 :: v_dual_fma_f32 v29, v148, v96, -v29
	s_delay_alu instid0(VALU_DEP_3) | instskip(SKIP_3) | instid1(VALU_DEP_3)
	v_dual_add_f32 v9, 0, v9 :: v_dual_add_f32 v27, 0, v27
	v_dual_mul_f32 v15, v152, v101 :: v_dual_mul_f32 v17, v154, v103
	s_wait_loadcnt_dscnt 0x601
	v_dual_mul_f32 v43, v163, v111 :: v_dual_fma_f32 v31, v150, v98, -v31
	v_dual_fmac_f32 v13, v151, v98 :: v_dual_add_f32 v9, v9, v11
	s_delay_alu instid0(VALU_DEP_3) | instskip(SKIP_2) | instid1(VALU_DEP_3)
	v_dual_add_f32 v11, v27, v29 :: v_dual_fmac_f32 v15, v153, v100
	v_dual_mul_f32 v35, v155, v103 :: v_dual_mul_f32 v37, v157, v105
	v_dual_mul_f32 v27, v165, v113 :: v_dual_fma_f32 v29, v152, v100, -v33
	v_dual_add_f32 v9, v9, v13 :: v_dual_add_f32 v11, v11, v31
	v_dual_mul_f32 v19, v156, v105 :: v_dual_mul_f32 v21, v158, v107
	s_wait_loadcnt 0x5
	v_dual_mul_f32 v13, v131, v115 :: v_dual_fma_f32 v31, v154, v102, -v35
	s_delay_alu instid0(VALU_DEP_3) | instskip(SKIP_2) | instid1(VALU_DEP_2)
	v_dual_fmac_f32 v17, v155, v102 :: v_dual_add_f32 v9, v9, v15
	v_dual_add_f32 v11, v11, v29 :: v_dual_mov_b32 v94, v117
	v_dual_fmac_f32 v19, v157, v104 :: v_dual_fma_f32 v15, v156, v104, -v37
	v_dual_add_f32 v9, v9, v17 :: v_dual_add_f32 v11, v11, v31
	v_dual_mul_f32 v23, v160, v109 :: v_dual_mul_f32 v25, v162, v111
	v_dual_fmac_f32 v21, v159, v106 :: v_dual_fma_f32 v17, v158, v106, -v39
	s_delay_alu instid0(VALU_DEP_3) | instskip(SKIP_3) | instid1(VALU_DEP_3)
	v_add_f32_e32 v9, v9, v19
	s_wait_loadcnt 0x4
	v_dual_add_f32 v11, v11, v15 :: v_dual_mov_b32 v98, v121
	v_dual_fmac_f32 v23, v161, v108 :: v_dual_fma_f32 v15, v160, v108, -v41
	v_dual_add_f32 v9, v9, v21 :: v_dual_fmac_f32 v25, v163, v110
	s_delay_alu instid0(VALU_DEP_3) | instskip(SKIP_1) | instid1(VALU_DEP_3)
	v_add_f32_e32 v11, v11, v17
	v_dual_mul_f32 v181, v164, v113 :: v_dual_mul_f32 v183, v130, v115
	v_dual_fma_f32 v17, v162, v110, -v43 :: v_dual_add_f32 v9, v9, v23
	s_delay_alu instid0(VALU_DEP_2) | instskip(SKIP_2) | instid1(VALU_DEP_4)
	v_dual_add_f32 v11, v11, v15 :: v_dual_fmac_f32 v181, v165, v112
	v_fma_f32 v180, v164, v112, -v27
	v_pk_mul_f32 v[94:95], v[172:173], v[94:95] op_sel_hi:[1,0]
	v_add_f32_e32 v103, v9, v25
	s_wait_loadcnt 0x3
	v_dual_add_f32 v102, v11, v17 :: v_dual_mov_b32 v104, v125
	v_pk_mul_f32 v[96:97], v[134:135], v[118:119] op_sel:[1,1] op_sel_hi:[0,1]
	v_dual_fmac_f32 v183, v131, v114 :: v_dual_fma_f32 v182, v130, v114, -v13
	v_pk_fma_f32 v[106:107], v[132:133], v[116:117], v[94:95] op_sel_hi:[1,0,1]
	s_delay_alu instid0(VALU_DEP_4)
	v_pk_add_f32 v[102:103], v[102:103], v[180:181]
	v_pk_fma_f32 v[94:95], v[132:133], v[116:117], v[94:95] neg_lo:[0,0,1] neg_hi:[0,0,1]
	v_pk_fma_f32 v[108:109], v[134:135], v[118:119], v[96:97] op_sel_hi:[1,0,1]
	v_pk_mul_f32 v[98:99], v[174:175], v[98:99] op_sel_hi:[1,0]
	v_mov_b32_e32 v95, v107
	v_pk_add_f32 v[102:103], v[102:103], v[182:183]
	v_pk_fma_f32 v[96:97], v[134:135], v[118:119], v[96:97] neg_lo:[0,0,1] neg_hi:[0,0,1]
	v_pk_mul_f32 v[100:101], v[138:139], v[122:123] op_sel:[1,1] op_sel_hi:[0,1]
	v_mov_b32_e32 v97, v109
	v_pk_fma_f32 v[108:109], v[136:137], v[120:121], v[98:99] op_sel_hi:[1,0,1]
	v_pk_add_f32 v[94:95], v[102:103], v[94:95]
	v_pk_fma_f32 v[98:99], v[136:137], v[120:121], v[98:99] neg_lo:[0,0,1] neg_hi:[0,0,1]
	v_pk_fma_f32 v[102:103], v[138:139], v[122:123], v[100:101] op_sel_hi:[1,0,1]
	v_pk_mul_f32 v[104:105], v[176:177], v[104:105] op_sel_hi:[1,0]
	v_mov_b32_e32 v99, v109
	v_pk_add_f32 v[94:95], v[94:95], v[96:97]
	v_pk_fma_f32 v[100:101], v[138:139], v[122:123], v[100:101] neg_lo:[0,0,1] neg_hi:[0,0,1]
	s_wait_loadcnt 0x2
	v_pk_mul_f32 v[106:107], v[142:143], v[126:127] op_sel:[1,1] op_sel_hi:[0,1]
	v_dual_mov_b32 v96, v129 :: v_dual_mov_b32 v101, v103
	v_pk_fma_f32 v[102:103], v[140:141], v[124:125], v[104:105] op_sel_hi:[1,0,1]
	v_pk_add_f32 v[94:95], v[94:95], v[98:99]
	v_pk_fma_f32 v[104:105], v[140:141], v[124:125], v[104:105] neg_lo:[0,0,1] neg_hi:[0,0,1]
	v_pk_fma_f32 v[98:99], v[142:143], v[126:127], v[106:107] op_sel_hi:[1,0,1]
	v_pk_mul_f32 v[96:97], v[178:179], v[96:97] op_sel_hi:[1,0]
	v_mov_b32_e32 v105, v103
	v_pk_add_f32 v[94:95], v[94:95], v[100:101]
	v_pk_fma_f32 v[100:101], v[142:143], v[126:127], v[106:107] neg_lo:[0,0,1] neg_hi:[0,0,1]
	v_mov_b32_e32 v101, v99
	v_pk_fma_f32 v[98:99], v[144:145], v[128:129], v[96:97] op_sel_hi:[1,0,1]
	s_wait_loadcnt_dscnt 0x100
	v_pk_mul_f32 v[102:103], v[170:171], v[166:167] op_sel:[1,1] op_sel_hi:[0,1]
	v_pk_add_f32 v[94:95], v[94:95], v[104:105]
	v_pk_fma_f32 v[96:97], v[144:145], v[128:129], v[96:97] neg_lo:[0,0,1] neg_hi:[0,0,1]
	v_mov_b32_e32 v97, v99
	s_delay_alu instid0(VALU_DEP_4) | instskip(NEXT) | instid1(VALU_DEP_4)
	v_pk_fma_f32 v[98:99], v[170:171], v[166:167], v[102:103] op_sel_hi:[1,0,1]
	v_pk_add_f32 v[94:95], v[94:95], v[100:101]
	v_pk_fma_f32 v[100:101], v[170:171], v[166:167], v[102:103] neg_lo:[0,0,1] neg_hi:[0,0,1]
	s_delay_alu instid0(VALU_DEP_3) | instskip(NEXT) | instid1(VALU_DEP_3)
	v_mov_b32_e32 v101, v99
	v_pk_add_f32 v[94:95], v[94:95], v[96:97]
	s_delay_alu instid0(VALU_DEP_1) | instskip(SKIP_1) | instid1(VALU_DEP_1)
	v_pk_add_f32 v[94:95], v[94:95], v[100:101]
	s_wait_loadcnt 0x0
	v_pk_add_f32 v[94:95], v[168:169], v[94:95] neg_lo:[0,1] neg_hi:[0,1]
	scratch_store_b64 off, v[94:95], off offset:208
	s_wait_xcnt 0x0
	v_cmpx_lt_u32_e32 25, v0
	s_cbranch_execz .LBB109_239
; %bb.238:
	scratch_load_b64 v[94:95], off, off offset:200
	v_mov_b64_e32 v[96:97], 0
	scratch_store_b64 off, v[96:97], off offset:200
	s_wait_loadcnt 0x0
	ds_store_b64 v1, v[94:95]
.LBB109_239:
	s_wait_xcnt 0x0
	s_or_b32 exec_lo, exec_lo, s0
	s_wait_storecnt_dscnt 0x0
	s_barrier_signal -1
	s_barrier_wait -1
	s_clause 0xa
	scratch_load_b128 v[94:97], off, off offset:208
	scratch_load_b128 v[98:101], off, off offset:224
	;; [unrolled: 1-line block ×10, first 2 shown]
	scratch_load_b64 v[174:175], off, off offset:200
	ds_load_b128 v[134:137], v7 offset:672
	ds_load_b128 v[138:141], v7 offset:688
	;; [unrolled: 1-line block ×10, first 2 shown]
	s_mov_b32 s0, exec_lo
	s_wait_dscnt 0x9
	v_dual_mov_b32 v176, v137 :: v_dual_mov_b32 v177, v136
	s_wait_dscnt 0x8
	v_dual_mov_b32 v178, v141 :: v_dual_mov_b32 v179, v140
	;; [unrolled: 2-line block ×4, first 2 shown]
	s_wait_loadcnt_dscnt 0xa05
	v_dual_mul_f32 v7, v150, v95 :: v_dual_mul_f32 v9, v152, v97
	v_dual_mul_f32 v27, v151, v95 :: v_dual_mul_f32 v29, v153, v97
	s_wait_loadcnt_dscnt 0x904
	v_dual_mul_f32 v11, v154, v99 :: v_dual_mul_f32 v13, v156, v101
	s_delay_alu instid0(VALU_DEP_3) | instskip(SKIP_3) | instid1(VALU_DEP_3)
	v_dual_fmac_f32 v7, v151, v94 :: v_dual_fmac_f32 v9, v153, v96
	s_wait_loadcnt_dscnt 0x702
	v_dual_fma_f32 v27, v150, v94, -v27 :: v_dual_mul_f32 v39, v163, v107
	v_dual_mul_f32 v31, v155, v99 :: v_dual_mul_f32 v33, v157, v101
	v_dual_fma_f32 v29, v152, v96, -v29 :: v_dual_add_f32 v7, 0, v7
	s_delay_alu instid0(VALU_DEP_3) | instskip(SKIP_1) | instid1(VALU_DEP_3)
	v_dual_add_f32 v27, 0, v27 :: v_dual_mul_f32 v41, v165, v109
	v_dual_fmac_f32 v11, v155, v98 :: v_dual_fmac_f32 v13, v157, v100
	v_dual_fma_f32 v31, v154, v98, -v31 :: v_dual_add_f32 v7, v7, v9
	s_delay_alu instid0(VALU_DEP_3) | instskip(SKIP_2) | instid1(VALU_DEP_4)
	v_dual_add_f32 v9, v27, v29 :: v_dual_fma_f32 v29, v156, v100, -v33
	v_dual_mul_f32 v15, v158, v103 :: v_dual_mul_f32 v17, v160, v105
	v_dual_mul_f32 v35, v159, v103 :: v_dual_mul_f32 v37, v161, v105
	v_add_f32_e32 v7, v7, v11
	s_delay_alu instid0(VALU_DEP_3) | instskip(NEXT) | instid1(VALU_DEP_3)
	v_dual_add_f32 v9, v9, v31 :: v_dual_fmac_f32 v15, v159, v102
	v_fma_f32 v31, v158, v102, -v35
	v_dual_mul_f32 v19, v162, v107 :: v_dual_mul_f32 v21, v164, v109
	s_delay_alu instid0(VALU_DEP_4) | instskip(SKIP_2) | instid1(VALU_DEP_2)
	v_dual_add_f32 v7, v7, v13 :: v_dual_fmac_f32 v17, v161, v104
	s_wait_loadcnt_dscnt 0x500
	v_dual_add_f32 v9, v9, v29 :: v_dual_mul_f32 v13, v171, v115
	v_dual_fma_f32 v29, v160, v104, -v37 :: v_dual_add_f32 v7, v7, v15
	v_mul_f32_e32 v15, v173, v117
	s_delay_alu instid0(VALU_DEP_3) | instskip(NEXT) | instid1(VALU_DEP_3)
	v_dual_add_f32 v9, v9, v31 :: v_dual_fmac_f32 v19, v163, v106
	v_dual_fma_f32 v31, v162, v106, -v39 :: v_dual_add_f32 v7, v7, v17
	v_fmac_f32_e32 v21, v165, v108
	s_delay_alu instid0(VALU_DEP_3) | instskip(SKIP_4) | instid1(VALU_DEP_3)
	v_dual_add_f32 v9, v9, v29 :: v_dual_fma_f32 v17, v164, v108, -v41
	v_dual_mul_f32 v23, v166, v111 :: v_dual_mul_f32 v25, v168, v113
	v_dual_mul_f32 v27, v167, v111 :: v_dual_mul_f32 v11, v169, v113
	s_wait_loadcnt 0x4
	v_dual_add_f32 v7, v7, v19 :: v_dual_mov_b32 v96, v121
	v_dual_add_f32 v9, v9, v31 :: v_dual_fmac_f32 v23, v167, v110
	s_delay_alu instid0(VALU_DEP_2) | instskip(SKIP_1) | instid1(VALU_DEP_3)
	v_dual_fma_f32 v19, v166, v110, -v27 :: v_dual_add_f32 v7, v7, v21
	v_dual_mul_f32 v185, v170, v115 :: v_dual_mul_f32 v187, v172, v117
	v_dual_add_f32 v9, v9, v17 :: v_dual_fma_f32 v11, v168, v112, -v11
	s_delay_alu instid0(VALU_DEP_3) | instskip(SKIP_1) | instid1(VALU_DEP_3)
	v_dual_fmac_f32 v25, v169, v112 :: v_dual_add_f32 v7, v7, v23
	v_pk_mul_f32 v[94:95], v[134:135], v[118:119] op_sel:[1,1] op_sel_hi:[0,1]
	v_dual_add_f32 v9, v9, v19 :: v_dual_fmac_f32 v185, v171, v114
	s_wait_loadcnt 0x3
	v_dual_mov_b32 v100, v125 :: v_dual_fma_f32 v184, v170, v114, -v13
	s_delay_alu instid0(VALU_DEP_2)
	v_dual_add_f32 v103, v7, v25 :: v_dual_add_f32 v102, v9, v11
	v_fmac_f32_e32 v187, v173, v116
	v_pk_fma_f32 v[104:105], v[134:135], v[118:119], v[94:95] op_sel_hi:[1,0,1]
	v_fma_f32 v186, v172, v116, -v15
	v_pk_mul_f32 v[96:97], v[176:177], v[96:97] op_sel_hi:[1,0]
	v_pk_add_f32 v[102:103], v[102:103], v[184:185]
	v_pk_fma_f32 v[94:95], v[134:135], v[118:119], v[94:95] neg_lo:[0,0,1] neg_hi:[0,0,1]
	v_pk_mul_f32 v[98:99], v[138:139], v[122:123] op_sel:[1,1] op_sel_hi:[0,1]
	v_mov_b32_e32 v95, v105
	v_pk_fma_f32 v[104:105], v[136:137], v[120:121], v[96:97] op_sel_hi:[1,0,1]
	v_pk_add_f32 v[102:103], v[102:103], v[186:187]
	v_pk_fma_f32 v[96:97], v[136:137], v[120:121], v[96:97] neg_lo:[0,0,1] neg_hi:[0,0,1]
	v_pk_fma_f32 v[108:109], v[138:139], v[122:123], v[98:99] op_sel_hi:[1,0,1]
	v_pk_mul_f32 v[100:101], v[178:179], v[100:101] op_sel_hi:[1,0]
	v_mov_b32_e32 v97, v105
	v_pk_add_f32 v[94:95], v[102:103], v[94:95]
	s_wait_loadcnt 0x2
	v_pk_mul_f32 v[106:107], v[142:143], v[126:127] op_sel:[1,1] op_sel_hi:[0,1]
	v_mov_b32_e32 v102, v129
	v_pk_fma_f32 v[98:99], v[138:139], v[122:123], v[98:99] neg_lo:[0,0,1] neg_hi:[0,0,1]
	v_pk_fma_f32 v[104:105], v[140:141], v[124:125], v[100:101] op_sel_hi:[1,0,1]
	v_mov_b32_e32 v99, v109
	v_pk_add_f32 v[94:95], v[94:95], v[96:97]
	v_pk_fma_f32 v[96:97], v[142:143], v[126:127], v[106:107] op_sel_hi:[1,0,1]
	v_pk_mul_f32 v[102:103], v[180:181], v[102:103] op_sel_hi:[1,0]
	v_pk_fma_f32 v[100:101], v[140:141], v[124:125], v[100:101] neg_lo:[0,0,1] neg_hi:[0,0,1]
	v_mov_b32_e32 v101, v105
	v_pk_add_f32 v[94:95], v[94:95], v[98:99]
	v_pk_fma_f32 v[104:105], v[142:143], v[126:127], v[106:107] neg_lo:[0,0,1] neg_hi:[0,0,1]
	v_mov_b32_e32 v105, v97
	v_pk_fma_f32 v[96:97], v[144:145], v[128:129], v[102:103] op_sel_hi:[1,0,1]
	s_wait_loadcnt 0x1
	v_pk_mul_f32 v[98:99], v[146:147], v[130:131] op_sel:[1,1] op_sel_hi:[0,1]
	v_pk_add_f32 v[94:95], v[94:95], v[100:101]
	v_mov_b32_e32 v96, v133
	v_pk_fma_f32 v[102:103], v[144:145], v[128:129], v[102:103] neg_lo:[0,0,1] neg_hi:[0,0,1]
	s_delay_alu instid0(VALU_DEP_4)
	v_pk_fma_f32 v[100:101], v[146:147], v[130:131], v[98:99] op_sel_hi:[1,0,1]
	v_mov_b32_e32 v103, v97
	v_pk_add_f32 v[94:95], v[94:95], v[104:105]
	v_pk_mul_f32 v[96:97], v[182:183], v[96:97] op_sel_hi:[1,0]
	v_pk_fma_f32 v[98:99], v[146:147], v[130:131], v[98:99] neg_lo:[0,0,1] neg_hi:[0,0,1]
	v_mov_b32_e32 v99, v101
	s_delay_alu instid0(VALU_DEP_4) | instskip(NEXT) | instid1(VALU_DEP_4)
	v_pk_add_f32 v[94:95], v[94:95], v[102:103]
	v_pk_fma_f32 v[100:101], v[148:149], v[132:133], v[96:97] op_sel_hi:[1,0,1]
	v_pk_fma_f32 v[96:97], v[148:149], v[132:133], v[96:97] neg_lo:[0,0,1] neg_hi:[0,0,1]
	s_delay_alu instid0(VALU_DEP_3) | instskip(NEXT) | instid1(VALU_DEP_3)
	v_pk_add_f32 v[94:95], v[94:95], v[98:99]
	v_mov_b32_e32 v97, v101
	s_delay_alu instid0(VALU_DEP_1) | instskip(SKIP_1) | instid1(VALU_DEP_1)
	v_pk_add_f32 v[94:95], v[94:95], v[96:97]
	s_wait_loadcnt 0x0
	v_pk_add_f32 v[94:95], v[174:175], v[94:95] neg_lo:[0,1] neg_hi:[0,1]
	scratch_store_b64 off, v[94:95], off offset:200
	s_wait_xcnt 0x0
	v_cmpx_lt_u32_e32 24, v0
	s_cbranch_execz .LBB109_241
; %bb.240:
	scratch_load_b64 v[94:95], off, off offset:192
	v_mov_b64_e32 v[96:97], 0
	scratch_store_b64 off, v[96:97], off offset:192
	s_wait_loadcnt 0x0
	ds_store_b64 v1, v[94:95]
.LBB109_241:
	s_wait_xcnt 0x0
	s_or_b32 exec_lo, exec_lo, s0
	s_wait_storecnt_dscnt 0x0
	s_barrier_signal -1
	s_barrier_wait -1
	s_clause 0xb
	scratch_load_b128 v[94:97], off, off offset:200
	scratch_load_b128 v[98:101], off, off offset:216
	;; [unrolled: 1-line block ×10, first 2 shown]
	scratch_load_b64 v[174:175], off, off offset:360
	scratch_load_b64 v[176:177], off, off offset:192
	v_mov_b32_e32 v7, 0
	ds_load_2addr_b64 v[134:137], v7 offset0:83 offset1:84
	ds_load_2addr_b64 v[138:141], v7 offset0:85 offset1:86
	;; [unrolled: 1-line block ×10, first 2 shown]
	ds_load_b64 v[178:179], v7 offset:728
	s_mov_b32 s0, exec_lo
	s_wait_dscnt 0xa
	v_dual_mov_b32 v180, v137 :: v_dual_mov_b32 v181, v136
	s_wait_dscnt 0x7
	v_dual_mov_b32 v182, v141 :: v_dual_mov_b32 v187, v148
	v_dual_mov_b32 v183, v140 :: v_dual_mov_b32 v184, v145
	;; [unrolled: 1-line block ×3, first 2 shown]
	s_wait_loadcnt_dscnt 0xb06
	v_dual_mul_f32 v9, v150, v95 :: v_dual_mul_f32 v31, v151, v95
	v_dual_mul_f32 v33, v153, v97 :: v_dual_mul_f32 v11, v152, v97
	s_wait_loadcnt_dscnt 0xa05
	v_mul_f32_e32 v13, v154, v99
	s_wait_loadcnt_dscnt 0x803
	v_dual_mul_f32 v43, v163, v107 :: v_dual_fma_f32 v31, v150, v94, -v31
	v_dual_fmac_f32 v9, v151, v94 :: v_dual_mul_f32 v45, v165, v109
	v_dual_mul_f32 v35, v155, v99 :: v_dual_mul_f32 v37, v157, v101
	v_dual_fmac_f32 v11, v153, v96 :: v_dual_fma_f32 v33, v152, v96, -v33
	s_delay_alu instid0(VALU_DEP_3) | instskip(SKIP_3) | instid1(VALU_DEP_3)
	v_dual_add_f32 v9, 0, v9 :: v_dual_add_f32 v31, 0, v31
	v_dual_mul_f32 v15, v156, v101 :: v_dual_mul_f32 v17, v158, v103
	s_wait_loadcnt_dscnt 0x702
	v_dual_mul_f32 v47, v167, v111 :: v_dual_fma_f32 v35, v154, v98, -v35
	v_dual_fmac_f32 v13, v155, v98 :: v_dual_add_f32 v9, v9, v11
	s_delay_alu instid0(VALU_DEP_3) | instskip(SKIP_2) | instid1(VALU_DEP_3)
	v_dual_add_f32 v11, v31, v33 :: v_dual_fmac_f32 v15, v157, v100
	v_dual_mul_f32 v39, v159, v103 :: v_dual_mul_f32 v41, v161, v105
	v_dual_mul_f32 v31, v169, v113 :: v_dual_fma_f32 v33, v156, v100, -v37
	v_dual_add_f32 v9, v9, v13 :: v_dual_add_f32 v11, v11, v35
	v_dual_mul_f32 v19, v160, v105 :: v_dual_mul_f32 v21, v162, v107
	s_wait_loadcnt_dscnt 0x601
	v_dual_mul_f32 v13, v171, v115 :: v_dual_fma_f32 v35, v158, v102, -v39
	s_delay_alu instid0(VALU_DEP_3) | instskip(NEXT) | instid1(VALU_DEP_3)
	v_dual_fmac_f32 v17, v159, v102 :: v_dual_add_f32 v9, v9, v15
	v_dual_add_f32 v11, v11, v33 :: v_dual_fmac_f32 v19, v161, v104
	v_dual_mul_f32 v15, v173, v117 :: v_dual_fma_f32 v33, v160, v104, -v41
	s_delay_alu instid0(VALU_DEP_2) | instskip(SKIP_3) | instid1(VALU_DEP_3)
	v_dual_add_f32 v9, v9, v17 :: v_dual_add_f32 v11, v11, v35
	v_dual_mul_f32 v23, v164, v109 :: v_dual_mul_f32 v25, v166, v111
	s_wait_loadcnt 0x5
	v_dual_mul_f32 v17, v135, v119 :: v_dual_fma_f32 v35, v162, v106, -v43
	v_dual_fmac_f32 v21, v163, v106 :: v_dual_add_f32 v9, v9, v19
	v_dual_add_f32 v11, v11, v33 :: v_dual_mov_b32 v94, v121
	v_dual_fmac_f32 v23, v165, v108 :: v_dual_fma_f32 v19, v164, v108, -v45
	s_delay_alu instid0(VALU_DEP_2) | instskip(SKIP_2) | instid1(VALU_DEP_3)
	v_dual_add_f32 v9, v9, v21 :: v_dual_add_f32 v11, v11, v35
	v_dual_mul_f32 v27, v168, v113 :: v_dual_mul_f32 v29, v170, v115
	v_dual_fmac_f32 v25, v167, v110 :: v_dual_fma_f32 v21, v166, v110, -v47
	v_add_f32_e32 v9, v9, v23
	s_wait_loadcnt 0x4
	v_dual_add_f32 v11, v11, v19 :: v_dual_mov_b32 v98, v125
	v_fmac_f32_e32 v27, v169, v112
	s_delay_alu instid0(VALU_DEP_3) | instskip(SKIP_1) | instid1(VALU_DEP_4)
	v_dual_fma_f32 v19, v168, v112, -v31 :: v_dual_add_f32 v9, v9, v25
	v_fmac_f32_e32 v29, v171, v114
	v_add_f32_e32 v11, v11, v21
	v_dual_mul_f32 v189, v172, v117 :: v_dual_mul_f32 v191, v134, v119
	s_delay_alu instid0(VALU_DEP_4) | instskip(NEXT) | instid1(VALU_DEP_2)
	v_dual_fma_f32 v13, v170, v114, -v13 :: v_dual_add_f32 v9, v9, v27
	v_dual_add_f32 v11, v11, v19 :: v_dual_fmac_f32 v189, v173, v116
	v_fma_f32 v188, v172, v116, -v15
	v_pk_mul_f32 v[94:95], v[180:181], v[94:95] op_sel_hi:[1,0]
	s_delay_alu instid0(VALU_DEP_4)
	v_add_f32_e32 v103, v9, v29
	s_wait_loadcnt 0x3
	v_dual_add_f32 v102, v11, v13 :: v_dual_mov_b32 v104, v129
	v_pk_mul_f32 v[96:97], v[138:139], v[122:123] op_sel:[1,1] op_sel_hi:[0,1]
	v_dual_fmac_f32 v191, v135, v118 :: v_dual_fma_f32 v190, v134, v118, -v17
	v_pk_fma_f32 v[106:107], v[136:137], v[120:121], v[94:95] op_sel_hi:[1,0,1]
	s_delay_alu instid0(VALU_DEP_4)
	v_pk_add_f32 v[102:103], v[102:103], v[188:189]
	v_pk_fma_f32 v[94:95], v[136:137], v[120:121], v[94:95] neg_lo:[0,0,1] neg_hi:[0,0,1]
	v_pk_fma_f32 v[108:109], v[138:139], v[122:123], v[96:97] op_sel_hi:[1,0,1]
	v_pk_mul_f32 v[98:99], v[182:183], v[98:99] op_sel_hi:[1,0]
	v_mov_b32_e32 v95, v107
	v_pk_add_f32 v[102:103], v[102:103], v[190:191]
	v_pk_fma_f32 v[96:97], v[138:139], v[122:123], v[96:97] neg_lo:[0,0,1] neg_hi:[0,0,1]
	v_pk_mul_f32 v[100:101], v[142:143], v[126:127] op_sel:[1,1] op_sel_hi:[0,1]
	v_mov_b32_e32 v97, v109
	v_pk_fma_f32 v[108:109], v[140:141], v[124:125], v[98:99] op_sel_hi:[1,0,1]
	v_pk_add_f32 v[94:95], v[102:103], v[94:95]
	v_pk_fma_f32 v[98:99], v[140:141], v[124:125], v[98:99] neg_lo:[0,0,1] neg_hi:[0,0,1]
	v_pk_fma_f32 v[102:103], v[142:143], v[126:127], v[100:101] op_sel_hi:[1,0,1]
	v_pk_mul_f32 v[104:105], v[184:185], v[104:105] op_sel_hi:[1,0]
	v_mov_b32_e32 v99, v109
	v_pk_add_f32 v[94:95], v[94:95], v[96:97]
	v_pk_fma_f32 v[100:101], v[142:143], v[126:127], v[100:101] neg_lo:[0,0,1] neg_hi:[0,0,1]
	s_wait_loadcnt 0x2
	v_pk_mul_f32 v[106:107], v[146:147], v[130:131] op_sel:[1,1] op_sel_hi:[0,1]
	v_dual_mov_b32 v96, v133 :: v_dual_mov_b32 v101, v103
	v_pk_fma_f32 v[102:103], v[144:145], v[128:129], v[104:105] op_sel_hi:[1,0,1]
	v_pk_add_f32 v[94:95], v[94:95], v[98:99]
	v_pk_fma_f32 v[104:105], v[144:145], v[128:129], v[104:105] neg_lo:[0,0,1] neg_hi:[0,0,1]
	v_pk_fma_f32 v[98:99], v[146:147], v[130:131], v[106:107] op_sel_hi:[1,0,1]
	v_pk_mul_f32 v[96:97], v[186:187], v[96:97] op_sel_hi:[1,0]
	v_mov_b32_e32 v105, v103
	v_pk_add_f32 v[94:95], v[94:95], v[100:101]
	v_pk_fma_f32 v[100:101], v[146:147], v[130:131], v[106:107] neg_lo:[0,0,1] neg_hi:[0,0,1]
	v_mov_b32_e32 v101, v99
	v_pk_fma_f32 v[98:99], v[148:149], v[132:133], v[96:97] op_sel_hi:[1,0,1]
	s_wait_loadcnt_dscnt 0x100
	v_pk_mul_f32 v[102:103], v[178:179], v[174:175] op_sel:[1,1] op_sel_hi:[0,1]
	v_pk_add_f32 v[94:95], v[94:95], v[104:105]
	v_pk_fma_f32 v[96:97], v[148:149], v[132:133], v[96:97] neg_lo:[0,0,1] neg_hi:[0,0,1]
	v_mov_b32_e32 v97, v99
	s_delay_alu instid0(VALU_DEP_4) | instskip(NEXT) | instid1(VALU_DEP_4)
	v_pk_fma_f32 v[98:99], v[178:179], v[174:175], v[102:103] op_sel_hi:[1,0,1]
	v_pk_add_f32 v[94:95], v[94:95], v[100:101]
	v_pk_fma_f32 v[100:101], v[178:179], v[174:175], v[102:103] neg_lo:[0,0,1] neg_hi:[0,0,1]
	s_delay_alu instid0(VALU_DEP_3) | instskip(NEXT) | instid1(VALU_DEP_3)
	v_mov_b32_e32 v101, v99
	v_pk_add_f32 v[94:95], v[94:95], v[96:97]
	s_delay_alu instid0(VALU_DEP_1) | instskip(SKIP_1) | instid1(VALU_DEP_1)
	v_pk_add_f32 v[94:95], v[94:95], v[100:101]
	s_wait_loadcnt 0x0
	v_pk_add_f32 v[94:95], v[176:177], v[94:95] neg_lo:[0,1] neg_hi:[0,1]
	scratch_store_b64 off, v[94:95], off offset:192
	s_wait_xcnt 0x0
	v_cmpx_lt_u32_e32 23, v0
	s_cbranch_execz .LBB109_243
; %bb.242:
	scratch_load_b64 v[94:95], off, off offset:184
	v_mov_b64_e32 v[96:97], 0
	scratch_store_b64 off, v[96:97], off offset:184
	s_wait_loadcnt 0x0
	ds_store_b64 v1, v[94:95]
.LBB109_243:
	s_wait_xcnt 0x0
	s_or_b32 exec_lo, exec_lo, s0
	s_wait_storecnt_dscnt 0x0
	s_barrier_signal -1
	s_barrier_wait -1
	s_clause 0xb
	scratch_load_b128 v[94:97], off, off offset:192
	scratch_load_b128 v[98:101], off, off offset:208
	;; [unrolled: 1-line block ×11, first 2 shown]
	scratch_load_b64 v[182:183], off, off offset:184
	ds_load_b128 v[138:141], v7 offset:672
	ds_load_b128 v[142:145], v7 offset:688
	;; [unrolled: 1-line block ×11, first 2 shown]
	s_mov_b32 s0, exec_lo
	s_wait_dscnt 0xa
	v_dual_mov_b32 v184, v141 :: v_dual_mov_b32 v185, v140
	s_wait_dscnt 0x9
	v_dual_mov_b32 v186, v145 :: v_dual_mov_b32 v187, v144
	;; [unrolled: 2-line block ×4, first 2 shown]
	s_wait_loadcnt_dscnt 0xb06
	v_dual_mul_f32 v7, v154, v95 :: v_dual_mul_f32 v9, v156, v97
	v_dual_mul_f32 v31, v155, v95 :: v_dual_mul_f32 v33, v157, v97
	s_wait_loadcnt_dscnt 0xa05
	v_dual_mul_f32 v11, v158, v99 :: v_dual_mul_f32 v13, v160, v101
	s_delay_alu instid0(VALU_DEP_3) | instskip(SKIP_3) | instid1(VALU_DEP_3)
	v_dual_fmac_f32 v7, v155, v94 :: v_dual_fmac_f32 v9, v157, v96
	s_wait_loadcnt_dscnt 0x803
	v_dual_fma_f32 v31, v154, v94, -v31 :: v_dual_mul_f32 v43, v167, v107
	v_dual_mul_f32 v35, v159, v99 :: v_dual_mul_f32 v37, v161, v101
	v_dual_fma_f32 v33, v156, v96, -v33 :: v_dual_add_f32 v7, 0, v7
	s_delay_alu instid0(VALU_DEP_3) | instskip(SKIP_1) | instid1(VALU_DEP_3)
	v_dual_add_f32 v31, 0, v31 :: v_dual_mul_f32 v45, v169, v109
	v_dual_fmac_f32 v11, v159, v98 :: v_dual_fmac_f32 v13, v161, v100
	v_dual_fma_f32 v35, v158, v98, -v35 :: v_dual_add_f32 v7, v7, v9
	s_delay_alu instid0(VALU_DEP_3) | instskip(SKIP_2) | instid1(VALU_DEP_4)
	v_dual_add_f32 v9, v31, v33 :: v_dual_fma_f32 v33, v160, v100, -v37
	v_dual_mul_f32 v15, v162, v103 :: v_dual_mul_f32 v17, v164, v105
	v_dual_mul_f32 v39, v163, v103 :: v_dual_mul_f32 v41, v165, v105
	v_add_f32_e32 v7, v7, v11
	s_delay_alu instid0(VALU_DEP_3) | instskip(NEXT) | instid1(VALU_DEP_3)
	v_dual_add_f32 v9, v9, v35 :: v_dual_fmac_f32 v15, v163, v102
	v_fma_f32 v35, v162, v102, -v39
	v_dual_mul_f32 v19, v166, v107 :: v_dual_mul_f32 v21, v168, v109
	s_delay_alu instid0(VALU_DEP_4) | instskip(SKIP_2) | instid1(VALU_DEP_2)
	v_dual_add_f32 v7, v7, v13 :: v_dual_fmac_f32 v17, v165, v104
	s_wait_loadcnt_dscnt 0x601
	v_dual_add_f32 v9, v9, v33 :: v_dual_mul_f32 v13, v175, v115
	v_dual_fma_f32 v33, v164, v104, -v41 :: v_dual_add_f32 v7, v7, v15
	v_mul_f32_e32 v15, v177, v117
	s_delay_alu instid0(VALU_DEP_3) | instskip(NEXT) | instid1(VALU_DEP_3)
	v_dual_add_f32 v9, v9, v35 :: v_dual_fmac_f32 v19, v167, v106
	v_dual_fma_f32 v35, v166, v106, -v43 :: v_dual_add_f32 v7, v7, v17
	v_fmac_f32_e32 v21, v169, v108
	s_wait_loadcnt_dscnt 0x500
	s_delay_alu instid0(VALU_DEP_3) | instskip(SKIP_3) | instid1(VALU_DEP_3)
	v_dual_add_f32 v9, v9, v33 :: v_dual_mul_f32 v17, v179, v119
	v_dual_mul_f32 v23, v170, v111 :: v_dual_mul_f32 v25, v172, v113
	v_dual_mul_f32 v31, v171, v111 :: v_dual_mul_f32 v11, v173, v113
	v_dual_fma_f32 v33, v168, v108, -v45 :: v_dual_add_f32 v7, v7, v19
	v_dual_add_f32 v9, v9, v35 :: v_dual_fmac_f32 v23, v171, v110
	s_delay_alu instid0(VALU_DEP_3) | instskip(NEXT) | instid1(VALU_DEP_3)
	v_dual_mul_f32 v19, v181, v121 :: v_dual_fma_f32 v31, v170, v110, -v31
	v_dual_add_f32 v7, v7, v21 :: v_dual_fmac_f32 v25, v173, v112
	s_delay_alu instid0(VALU_DEP_3) | instskip(SKIP_2) | instid1(VALU_DEP_3)
	v_dual_add_f32 v9, v9, v33 :: v_dual_fma_f32 v11, v172, v112, -v11
	v_dual_mul_f32 v27, v174, v115 :: v_dual_mul_f32 v29, v176, v117
	s_wait_loadcnt 0x4
	v_dual_add_f32 v7, v7, v23 :: v_dual_mov_b32 v96, v125
	s_delay_alu instid0(VALU_DEP_2) | instskip(NEXT) | instid1(VALU_DEP_2)
	v_dual_add_f32 v9, v9, v31 :: v_dual_fmac_f32 v27, v175, v114
	v_dual_fma_f32 v13, v174, v114, -v13 :: v_dual_add_f32 v7, v7, v25
	v_dual_mul_f32 v193, v178, v119 :: v_dual_mul_f32 v195, v180, v121
	s_delay_alu instid0(VALU_DEP_3) | instskip(NEXT) | instid1(VALU_DEP_3)
	v_dual_add_f32 v9, v9, v11 :: v_dual_fma_f32 v11, v176, v116, -v15
	v_dual_fmac_f32 v29, v177, v116 :: v_dual_add_f32 v7, v7, v27
	v_pk_mul_f32 v[94:95], v[138:139], v[122:123] op_sel:[1,1] op_sel_hi:[0,1]
	s_delay_alu instid0(VALU_DEP_3) | instskip(SKIP_2) | instid1(VALU_DEP_2)
	v_dual_add_f32 v9, v9, v13 :: v_dual_fmac_f32 v193, v179, v118
	s_wait_loadcnt 0x3
	v_dual_mov_b32 v100, v129 :: v_dual_fma_f32 v192, v178, v118, -v17
	v_dual_add_f32 v103, v7, v29 :: v_dual_add_f32 v102, v9, v11
	v_fmac_f32_e32 v195, v181, v120
	v_pk_fma_f32 v[104:105], v[138:139], v[122:123], v[94:95] op_sel_hi:[1,0,1]
	v_fma_f32 v194, v180, v120, -v19
	v_pk_mul_f32 v[96:97], v[184:185], v[96:97] op_sel_hi:[1,0]
	v_pk_add_f32 v[102:103], v[102:103], v[192:193]
	v_pk_fma_f32 v[94:95], v[138:139], v[122:123], v[94:95] neg_lo:[0,0,1] neg_hi:[0,0,1]
	v_pk_mul_f32 v[98:99], v[142:143], v[126:127] op_sel:[1,1] op_sel_hi:[0,1]
	v_mov_b32_e32 v95, v105
	v_pk_fma_f32 v[104:105], v[140:141], v[124:125], v[96:97] op_sel_hi:[1,0,1]
	v_pk_add_f32 v[102:103], v[102:103], v[194:195]
	v_pk_fma_f32 v[96:97], v[140:141], v[124:125], v[96:97] neg_lo:[0,0,1] neg_hi:[0,0,1]
	v_pk_fma_f32 v[108:109], v[142:143], v[126:127], v[98:99] op_sel_hi:[1,0,1]
	v_pk_mul_f32 v[100:101], v[186:187], v[100:101] op_sel_hi:[1,0]
	v_mov_b32_e32 v97, v105
	v_pk_add_f32 v[94:95], v[102:103], v[94:95]
	s_wait_loadcnt 0x2
	v_pk_mul_f32 v[106:107], v[146:147], v[130:131] op_sel:[1,1] op_sel_hi:[0,1]
	v_mov_b32_e32 v102, v133
	v_pk_fma_f32 v[98:99], v[142:143], v[126:127], v[98:99] neg_lo:[0,0,1] neg_hi:[0,0,1]
	v_pk_fma_f32 v[104:105], v[144:145], v[128:129], v[100:101] op_sel_hi:[1,0,1]
	v_mov_b32_e32 v99, v109
	v_pk_add_f32 v[94:95], v[94:95], v[96:97]
	v_pk_fma_f32 v[96:97], v[146:147], v[130:131], v[106:107] op_sel_hi:[1,0,1]
	v_pk_mul_f32 v[102:103], v[188:189], v[102:103] op_sel_hi:[1,0]
	v_pk_fma_f32 v[100:101], v[144:145], v[128:129], v[100:101] neg_lo:[0,0,1] neg_hi:[0,0,1]
	v_mov_b32_e32 v101, v105
	v_pk_add_f32 v[94:95], v[94:95], v[98:99]
	v_pk_fma_f32 v[104:105], v[146:147], v[130:131], v[106:107] neg_lo:[0,0,1] neg_hi:[0,0,1]
	v_mov_b32_e32 v105, v97
	v_pk_fma_f32 v[96:97], v[148:149], v[132:133], v[102:103] op_sel_hi:[1,0,1]
	s_wait_loadcnt 0x1
	v_pk_mul_f32 v[98:99], v[150:151], v[134:135] op_sel:[1,1] op_sel_hi:[0,1]
	v_pk_add_f32 v[94:95], v[94:95], v[100:101]
	v_mov_b32_e32 v96, v137
	v_pk_fma_f32 v[102:103], v[148:149], v[132:133], v[102:103] neg_lo:[0,0,1] neg_hi:[0,0,1]
	s_delay_alu instid0(VALU_DEP_4)
	v_pk_fma_f32 v[100:101], v[150:151], v[134:135], v[98:99] op_sel_hi:[1,0,1]
	v_mov_b32_e32 v103, v97
	v_pk_add_f32 v[94:95], v[94:95], v[104:105]
	v_pk_mul_f32 v[96:97], v[190:191], v[96:97] op_sel_hi:[1,0]
	v_pk_fma_f32 v[98:99], v[150:151], v[134:135], v[98:99] neg_lo:[0,0,1] neg_hi:[0,0,1]
	v_mov_b32_e32 v99, v101
	s_delay_alu instid0(VALU_DEP_4) | instskip(NEXT) | instid1(VALU_DEP_4)
	v_pk_add_f32 v[94:95], v[94:95], v[102:103]
	v_pk_fma_f32 v[100:101], v[152:153], v[136:137], v[96:97] op_sel_hi:[1,0,1]
	v_pk_fma_f32 v[96:97], v[152:153], v[136:137], v[96:97] neg_lo:[0,0,1] neg_hi:[0,0,1]
	s_delay_alu instid0(VALU_DEP_3) | instskip(NEXT) | instid1(VALU_DEP_3)
	v_pk_add_f32 v[94:95], v[94:95], v[98:99]
	v_mov_b32_e32 v97, v101
	s_delay_alu instid0(VALU_DEP_1) | instskip(SKIP_1) | instid1(VALU_DEP_1)
	v_pk_add_f32 v[94:95], v[94:95], v[96:97]
	s_wait_loadcnt 0x0
	v_pk_add_f32 v[94:95], v[182:183], v[94:95] neg_lo:[0,1] neg_hi:[0,1]
	scratch_store_b64 off, v[94:95], off offset:184
	s_wait_xcnt 0x0
	v_cmpx_lt_u32_e32 22, v0
	s_cbranch_execz .LBB109_245
; %bb.244:
	scratch_load_b64 v[94:95], off, off offset:176
	v_mov_b64_e32 v[96:97], 0
	scratch_store_b64 off, v[96:97], off offset:176
	s_wait_loadcnt 0x0
	ds_store_b64 v1, v[94:95]
.LBB109_245:
	s_wait_xcnt 0x0
	s_or_b32 exec_lo, exec_lo, s0
	s_wait_storecnt_dscnt 0x0
	s_barrier_signal -1
	s_barrier_wait -1
	s_clause 0xc
	scratch_load_b128 v[94:97], off, off offset:184
	scratch_load_b128 v[98:101], off, off offset:200
	;; [unrolled: 1-line block ×11, first 2 shown]
	scratch_load_b64 v[182:183], off, off offset:360
	scratch_load_b64 v[184:185], off, off offset:176
	v_mov_b32_e32 v7, 0
	ds_load_2addr_b64 v[138:141], v7 offset0:83 offset1:84
	ds_load_2addr_b64 v[142:145], v7 offset0:85 offset1:86
	;; [unrolled: 1-line block ×11, first 2 shown]
	ds_load_b64 v[186:187], v7 offset:728
	s_mov_b32 s0, exec_lo
	s_wait_dscnt 0xb
	v_dual_mov_b32 v188, v141 :: v_dual_mov_b32 v189, v140
	s_wait_dscnt 0x8
	v_dual_mov_b32 v190, v145 :: v_dual_mov_b32 v195, v152
	v_dual_mov_b32 v191, v144 :: v_dual_mov_b32 v192, v149
	;; [unrolled: 1-line block ×3, first 2 shown]
	s_wait_loadcnt_dscnt 0xc07
	v_dual_mul_f32 v9, v154, v95 :: v_dual_mul_f32 v35, v155, v95
	v_dual_mul_f32 v37, v157, v97 :: v_dual_mul_f32 v11, v156, v97
	s_wait_loadcnt_dscnt 0xb06
	v_mul_f32_e32 v13, v158, v99
	s_wait_loadcnt_dscnt 0x904
	v_dual_mul_f32 v47, v167, v107 :: v_dual_fma_f32 v35, v154, v94, -v35
	v_dual_fmac_f32 v9, v155, v94 :: v_dual_mul_f32 v49, v169, v109
	v_dual_mul_f32 v39, v159, v99 :: v_dual_mul_f32 v41, v161, v101
	v_dual_fmac_f32 v11, v157, v96 :: v_dual_fma_f32 v37, v156, v96, -v37
	s_delay_alu instid0(VALU_DEP_3) | instskip(SKIP_3) | instid1(VALU_DEP_3)
	v_dual_add_f32 v9, 0, v9 :: v_dual_add_f32 v35, 0, v35
	v_dual_mul_f32 v15, v160, v101 :: v_dual_mul_f32 v17, v162, v103
	s_wait_loadcnt_dscnt 0x803
	v_dual_mul_f32 v51, v171, v111 :: v_dual_fma_f32 v39, v158, v98, -v39
	v_dual_fmac_f32 v13, v159, v98 :: v_dual_add_f32 v9, v9, v11
	s_delay_alu instid0(VALU_DEP_3) | instskip(SKIP_2) | instid1(VALU_DEP_3)
	v_dual_add_f32 v11, v35, v37 :: v_dual_fmac_f32 v15, v161, v100
	v_dual_mul_f32 v43, v163, v103 :: v_dual_mul_f32 v45, v165, v105
	v_dual_mul_f32 v35, v173, v113 :: v_dual_fma_f32 v37, v160, v100, -v41
	v_dual_add_f32 v9, v9, v13 :: v_dual_add_f32 v11, v11, v39
	v_dual_mul_f32 v19, v164, v105 :: v_dual_mul_f32 v21, v166, v107
	s_wait_loadcnt_dscnt 0x701
	v_dual_mul_f32 v13, v179, v115 :: v_dual_fma_f32 v39, v162, v102, -v43
	s_delay_alu instid0(VALU_DEP_3) | instskip(NEXT) | instid1(VALU_DEP_3)
	v_dual_fmac_f32 v17, v163, v102 :: v_dual_add_f32 v9, v9, v15
	v_dual_add_f32 v11, v11, v37 :: v_dual_fmac_f32 v19, v165, v104
	v_dual_mul_f32 v15, v181, v117 :: v_dual_fma_f32 v37, v164, v104, -v45
	s_delay_alu instid0(VALU_DEP_2) | instskip(SKIP_3) | instid1(VALU_DEP_3)
	v_dual_add_f32 v9, v9, v17 :: v_dual_add_f32 v11, v11, v39
	v_dual_mul_f32 v23, v168, v109 :: v_dual_mul_f32 v25, v170, v111
	s_wait_loadcnt 0x6
	v_dual_mul_f32 v17, v175, v119 :: v_dual_fma_f32 v39, v166, v106, -v47
	v_dual_fmac_f32 v21, v167, v106 :: v_dual_add_f32 v9, v9, v19
	s_delay_alu instid0(VALU_DEP_3) | instskip(SKIP_1) | instid1(VALU_DEP_2)
	v_dual_add_f32 v11, v11, v37 :: v_dual_fmac_f32 v23, v169, v108
	v_dual_mul_f32 v19, v177, v121 :: v_dual_fma_f32 v37, v168, v108, -v49
	v_dual_add_f32 v9, v9, v21 :: v_dual_add_f32 v11, v11, v39
	v_dual_mul_f32 v27, v172, v113 :: v_dual_mul_f32 v29, v178, v115
	s_wait_loadcnt 0x5
	v_dual_mul_f32 v21, v139, v123 :: v_dual_fma_f32 v39, v170, v110, -v51
	s_delay_alu instid0(VALU_DEP_3) | instskip(SKIP_2) | instid1(VALU_DEP_3)
	v_dual_fmac_f32 v25, v171, v110 :: v_dual_add_f32 v9, v9, v23
	v_dual_add_f32 v11, v11, v37 :: v_dual_mov_b32 v94, v125
	v_fmac_f32_e32 v27, v173, v112
	v_dual_fma_f32 v23, v172, v112, -v35 :: v_dual_add_f32 v9, v9, v25
	s_delay_alu instid0(VALU_DEP_3) | instskip(SKIP_1) | instid1(VALU_DEP_3)
	v_dual_add_f32 v11, v11, v39 :: v_dual_mul_f32 v31, v180, v117
	v_dual_mul_f32 v33, v174, v119 :: v_dual_fmac_f32 v29, v179, v114
	v_dual_add_f32 v9, v9, v27 :: v_dual_fma_f32 v13, v178, v114, -v13
	s_wait_loadcnt 0x4
	s_delay_alu instid0(VALU_DEP_3) | instskip(SKIP_3) | instid1(VALU_DEP_4)
	v_dual_add_f32 v11, v11, v23 :: v_dual_mov_b32 v98, v129
	v_fma_f32 v15, v180, v116, -v15
	v_fmac_f32_e32 v31, v181, v116
	v_dual_add_f32 v9, v9, v29 :: v_dual_fmac_f32 v33, v175, v118
	v_add_f32_e32 v11, v11, v13
	v_dual_mul_f32 v197, v176, v121 :: v_dual_mul_f32 v199, v138, v123
	s_delay_alu instid0(VALU_DEP_3) | instskip(NEXT) | instid1(VALU_DEP_2)
	v_dual_fma_f32 v13, v174, v118, -v17 :: v_dual_add_f32 v9, v9, v31
	v_dual_add_f32 v11, v11, v15 :: v_dual_fmac_f32 v197, v177, v120
	v_fma_f32 v196, v176, v120, -v19
	v_pk_mul_f32 v[94:95], v[188:189], v[94:95] op_sel_hi:[1,0]
	s_delay_alu instid0(VALU_DEP_4)
	v_add_f32_e32 v103, v9, v33
	s_wait_loadcnt 0x3
	v_dual_add_f32 v102, v11, v13 :: v_dual_mov_b32 v104, v133
	v_pk_mul_f32 v[96:97], v[142:143], v[126:127] op_sel:[1,1] op_sel_hi:[0,1]
	v_dual_fmac_f32 v199, v139, v122 :: v_dual_fma_f32 v198, v138, v122, -v21
	v_pk_fma_f32 v[106:107], v[140:141], v[124:125], v[94:95] op_sel_hi:[1,0,1]
	s_delay_alu instid0(VALU_DEP_4)
	v_pk_add_f32 v[102:103], v[102:103], v[196:197]
	v_pk_fma_f32 v[94:95], v[140:141], v[124:125], v[94:95] neg_lo:[0,0,1] neg_hi:[0,0,1]
	v_pk_fma_f32 v[108:109], v[142:143], v[126:127], v[96:97] op_sel_hi:[1,0,1]
	v_pk_mul_f32 v[98:99], v[190:191], v[98:99] op_sel_hi:[1,0]
	v_mov_b32_e32 v95, v107
	v_pk_add_f32 v[102:103], v[102:103], v[198:199]
	v_pk_fma_f32 v[96:97], v[142:143], v[126:127], v[96:97] neg_lo:[0,0,1] neg_hi:[0,0,1]
	v_pk_mul_f32 v[100:101], v[146:147], v[130:131] op_sel:[1,1] op_sel_hi:[0,1]
	v_mov_b32_e32 v97, v109
	v_pk_fma_f32 v[108:109], v[144:145], v[128:129], v[98:99] op_sel_hi:[1,0,1]
	v_pk_add_f32 v[94:95], v[102:103], v[94:95]
	v_pk_fma_f32 v[98:99], v[144:145], v[128:129], v[98:99] neg_lo:[0,0,1] neg_hi:[0,0,1]
	v_pk_fma_f32 v[102:103], v[146:147], v[130:131], v[100:101] op_sel_hi:[1,0,1]
	v_pk_mul_f32 v[104:105], v[192:193], v[104:105] op_sel_hi:[1,0]
	v_mov_b32_e32 v99, v109
	v_pk_add_f32 v[94:95], v[94:95], v[96:97]
	v_pk_fma_f32 v[100:101], v[146:147], v[130:131], v[100:101] neg_lo:[0,0,1] neg_hi:[0,0,1]
	s_wait_loadcnt 0x2
	v_pk_mul_f32 v[106:107], v[150:151], v[134:135] op_sel:[1,1] op_sel_hi:[0,1]
	v_dual_mov_b32 v96, v137 :: v_dual_mov_b32 v101, v103
	v_pk_fma_f32 v[102:103], v[148:149], v[132:133], v[104:105] op_sel_hi:[1,0,1]
	v_pk_add_f32 v[94:95], v[94:95], v[98:99]
	v_pk_fma_f32 v[104:105], v[148:149], v[132:133], v[104:105] neg_lo:[0,0,1] neg_hi:[0,0,1]
	v_pk_fma_f32 v[98:99], v[150:151], v[134:135], v[106:107] op_sel_hi:[1,0,1]
	v_pk_mul_f32 v[96:97], v[194:195], v[96:97] op_sel_hi:[1,0]
	v_mov_b32_e32 v105, v103
	v_pk_add_f32 v[94:95], v[94:95], v[100:101]
	v_pk_fma_f32 v[100:101], v[150:151], v[134:135], v[106:107] neg_lo:[0,0,1] neg_hi:[0,0,1]
	v_mov_b32_e32 v101, v99
	v_pk_fma_f32 v[98:99], v[152:153], v[136:137], v[96:97] op_sel_hi:[1,0,1]
	s_wait_loadcnt_dscnt 0x100
	v_pk_mul_f32 v[102:103], v[186:187], v[182:183] op_sel:[1,1] op_sel_hi:[0,1]
	v_pk_add_f32 v[94:95], v[94:95], v[104:105]
	v_pk_fma_f32 v[96:97], v[152:153], v[136:137], v[96:97] neg_lo:[0,0,1] neg_hi:[0,0,1]
	v_mov_b32_e32 v97, v99
	s_delay_alu instid0(VALU_DEP_4) | instskip(NEXT) | instid1(VALU_DEP_4)
	v_pk_fma_f32 v[98:99], v[186:187], v[182:183], v[102:103] op_sel_hi:[1,0,1]
	v_pk_add_f32 v[94:95], v[94:95], v[100:101]
	v_pk_fma_f32 v[100:101], v[186:187], v[182:183], v[102:103] neg_lo:[0,0,1] neg_hi:[0,0,1]
	s_delay_alu instid0(VALU_DEP_3) | instskip(NEXT) | instid1(VALU_DEP_3)
	v_mov_b32_e32 v101, v99
	v_pk_add_f32 v[94:95], v[94:95], v[96:97]
	s_delay_alu instid0(VALU_DEP_1) | instskip(SKIP_1) | instid1(VALU_DEP_1)
	v_pk_add_f32 v[94:95], v[94:95], v[100:101]
	s_wait_loadcnt 0x0
	v_pk_add_f32 v[94:95], v[184:185], v[94:95] neg_lo:[0,1] neg_hi:[0,1]
	scratch_store_b64 off, v[94:95], off offset:176
	s_wait_xcnt 0x0
	v_cmpx_lt_u32_e32 21, v0
	s_cbranch_execz .LBB109_247
; %bb.246:
	scratch_load_b64 v[94:95], off, off offset:168
	v_mov_b64_e32 v[96:97], 0
	scratch_store_b64 off, v[96:97], off offset:168
	s_wait_loadcnt 0x0
	ds_store_b64 v1, v[94:95]
.LBB109_247:
	s_wait_xcnt 0x0
	s_or_b32 exec_lo, exec_lo, s0
	s_wait_storecnt_dscnt 0x0
	s_barrier_signal -1
	s_barrier_wait -1
	s_clause 0xc
	scratch_load_b128 v[94:97], off, off offset:176
	scratch_load_b128 v[98:101], off, off offset:192
	;; [unrolled: 1-line block ×12, first 2 shown]
	scratch_load_b64 v[190:191], off, off offset:168
	ds_load_b128 v[142:145], v7 offset:672
	ds_load_b128 v[146:149], v7 offset:688
	;; [unrolled: 1-line block ×12, first 2 shown]
	s_mov_b32 s0, exec_lo
	s_wait_dscnt 0xb
	v_dual_mov_b32 v192, v145 :: v_dual_mov_b32 v193, v144
	s_wait_dscnt 0xa
	v_dual_mov_b32 v194, v149 :: v_dual_mov_b32 v195, v148
	;; [unrolled: 2-line block ×4, first 2 shown]
	s_wait_loadcnt_dscnt 0xc07
	v_dual_mul_f32 v7, v158, v95 :: v_dual_mul_f32 v9, v160, v97
	v_dual_mul_f32 v35, v159, v95 :: v_dual_mul_f32 v37, v161, v97
	s_wait_loadcnt_dscnt 0xb06
	v_dual_mul_f32 v11, v162, v99 :: v_dual_mul_f32 v13, v164, v101
	s_delay_alu instid0(VALU_DEP_3) | instskip(SKIP_3) | instid1(VALU_DEP_3)
	v_dual_fmac_f32 v7, v159, v94 :: v_dual_fmac_f32 v9, v161, v96
	s_wait_loadcnt_dscnt 0x904
	v_dual_fma_f32 v35, v158, v94, -v35 :: v_dual_mul_f32 v47, v171, v107
	v_dual_mul_f32 v39, v163, v99 :: v_dual_mul_f32 v41, v165, v101
	v_dual_fma_f32 v37, v160, v96, -v37 :: v_dual_add_f32 v7, 0, v7
	s_delay_alu instid0(VALU_DEP_3) | instskip(SKIP_1) | instid1(VALU_DEP_3)
	v_dual_add_f32 v35, 0, v35 :: v_dual_mul_f32 v49, v173, v109
	v_dual_fmac_f32 v11, v163, v98 :: v_dual_fmac_f32 v13, v165, v100
	v_dual_fma_f32 v39, v162, v98, -v39 :: v_dual_add_f32 v7, v7, v9
	s_delay_alu instid0(VALU_DEP_3) | instskip(SKIP_2) | instid1(VALU_DEP_4)
	v_dual_add_f32 v9, v35, v37 :: v_dual_fma_f32 v37, v164, v100, -v41
	v_dual_mul_f32 v15, v166, v103 :: v_dual_mul_f32 v17, v168, v105
	v_dual_mul_f32 v43, v167, v103 :: v_dual_mul_f32 v45, v169, v105
	v_add_f32_e32 v7, v7, v11
	s_delay_alu instid0(VALU_DEP_3) | instskip(NEXT) | instid1(VALU_DEP_3)
	v_dual_add_f32 v9, v9, v39 :: v_dual_fmac_f32 v15, v167, v102
	v_fma_f32 v39, v166, v102, -v43
	v_dual_mul_f32 v19, v170, v107 :: v_dual_mul_f32 v21, v172, v109
	s_delay_alu instid0(VALU_DEP_4) | instskip(SKIP_2) | instid1(VALU_DEP_2)
	v_dual_add_f32 v7, v7, v13 :: v_dual_fmac_f32 v17, v169, v104
	s_wait_loadcnt_dscnt 0x702
	v_dual_add_f32 v9, v9, v37 :: v_dual_mul_f32 v13, v179, v115
	v_dual_fma_f32 v37, v168, v104, -v45 :: v_dual_add_f32 v7, v7, v15
	v_mul_f32_e32 v15, v181, v117
	s_delay_alu instid0(VALU_DEP_3) | instskip(NEXT) | instid1(VALU_DEP_3)
	v_dual_add_f32 v9, v9, v39 :: v_dual_fmac_f32 v19, v171, v106
	v_dual_fma_f32 v39, v170, v106, -v47 :: v_dual_add_f32 v7, v7, v17
	v_fmac_f32_e32 v21, v173, v108
	s_wait_loadcnt_dscnt 0x601
	s_delay_alu instid0(VALU_DEP_3) | instskip(SKIP_3) | instid1(VALU_DEP_3)
	v_dual_add_f32 v9, v9, v37 :: v_dual_mul_f32 v17, v183, v119
	v_dual_mul_f32 v23, v174, v111 :: v_dual_mul_f32 v25, v176, v113
	v_dual_mul_f32 v35, v175, v111 :: v_dual_mul_f32 v11, v177, v113
	v_dual_fma_f32 v37, v172, v108, -v49 :: v_dual_add_f32 v7, v7, v19
	v_dual_add_f32 v9, v9, v39 :: v_dual_fmac_f32 v23, v175, v110
	s_delay_alu instid0(VALU_DEP_3) | instskip(NEXT) | instid1(VALU_DEP_3)
	v_dual_mul_f32 v19, v185, v121 :: v_dual_fma_f32 v35, v174, v110, -v35
	v_dual_add_f32 v7, v7, v21 :: v_dual_fmac_f32 v25, v177, v112
	s_wait_loadcnt_dscnt 0x500
	s_delay_alu instid0(VALU_DEP_3) | instskip(SKIP_1) | instid1(VALU_DEP_3)
	v_dual_add_f32 v9, v9, v37 :: v_dual_mul_f32 v21, v187, v123
	v_dual_mul_f32 v27, v178, v115 :: v_dual_mul_f32 v29, v180, v117
	v_dual_fma_f32 v11, v176, v112, -v11 :: v_dual_add_f32 v7, v7, v23
	s_delay_alu instid0(VALU_DEP_2) | instskip(SKIP_1) | instid1(VALU_DEP_2)
	v_dual_add_f32 v9, v9, v35 :: v_dual_fmac_f32 v27, v179, v114
	v_dual_mul_f32 v23, v189, v125 :: v_dual_fma_f32 v13, v178, v114, -v13
	v_dual_add_f32 v7, v7, v25 :: v_dual_add_f32 v9, v9, v11
	v_dual_mul_f32 v31, v182, v119 :: v_dual_mul_f32 v33, v184, v121
	v_dual_fmac_f32 v29, v181, v116 :: v_dual_fma_f32 v11, v180, v116, -v15
	s_delay_alu instid0(VALU_DEP_3) | instskip(SKIP_1) | instid1(VALU_DEP_3)
	v_dual_add_f32 v7, v7, v27 :: v_dual_add_f32 v9, v9, v13
	s_wait_loadcnt 0x4
	v_dual_mov_b32 v96, v129 :: v_dual_fmac_f32 v31, v183, v118
	s_delay_alu instid0(VALU_DEP_2) | instskip(NEXT) | instid1(VALU_DEP_3)
	v_dual_fma_f32 v13, v182, v118, -v17 :: v_dual_add_f32 v7, v7, v29
	v_dual_add_f32 v9, v9, v11 :: v_dual_fma_f32 v11, v184, v120, -v19
	v_dual_mul_f32 v201, v186, v123 :: v_dual_mul_f32 v203, v188, v125
	s_delay_alu instid0(VALU_DEP_3) | instskip(NEXT) | instid1(VALU_DEP_2)
	v_dual_fmac_f32 v33, v185, v120 :: v_dual_add_f32 v7, v7, v31
	v_dual_add_f32 v9, v9, v13 :: v_dual_fmac_f32 v201, v187, v122
	v_pk_mul_f32 v[94:95], v[142:143], v[126:127] op_sel:[1,1] op_sel_hi:[0,1]
	s_wait_loadcnt 0x3
	v_dual_mov_b32 v100, v133 :: v_dual_fma_f32 v200, v186, v122, -v21
	s_delay_alu instid0(VALU_DEP_3)
	v_dual_add_f32 v103, v7, v33 :: v_dual_add_f32 v102, v9, v11
	v_fmac_f32_e32 v203, v189, v124
	v_pk_fma_f32 v[104:105], v[142:143], v[126:127], v[94:95] op_sel_hi:[1,0,1]
	v_fma_f32 v202, v188, v124, -v23
	v_pk_mul_f32 v[96:97], v[192:193], v[96:97] op_sel_hi:[1,0]
	v_pk_add_f32 v[102:103], v[102:103], v[200:201]
	v_pk_fma_f32 v[94:95], v[142:143], v[126:127], v[94:95] neg_lo:[0,0,1] neg_hi:[0,0,1]
	v_pk_mul_f32 v[98:99], v[146:147], v[130:131] op_sel:[1,1] op_sel_hi:[0,1]
	v_mov_b32_e32 v95, v105
	v_pk_fma_f32 v[104:105], v[144:145], v[128:129], v[96:97] op_sel_hi:[1,0,1]
	v_pk_add_f32 v[102:103], v[102:103], v[202:203]
	v_pk_fma_f32 v[96:97], v[144:145], v[128:129], v[96:97] neg_lo:[0,0,1] neg_hi:[0,0,1]
	v_pk_fma_f32 v[108:109], v[146:147], v[130:131], v[98:99] op_sel_hi:[1,0,1]
	v_pk_mul_f32 v[100:101], v[194:195], v[100:101] op_sel_hi:[1,0]
	v_mov_b32_e32 v97, v105
	v_pk_add_f32 v[94:95], v[102:103], v[94:95]
	s_wait_loadcnt 0x2
	v_pk_mul_f32 v[106:107], v[150:151], v[134:135] op_sel:[1,1] op_sel_hi:[0,1]
	v_mov_b32_e32 v102, v137
	v_pk_fma_f32 v[98:99], v[146:147], v[130:131], v[98:99] neg_lo:[0,0,1] neg_hi:[0,0,1]
	v_pk_fma_f32 v[104:105], v[148:149], v[132:133], v[100:101] op_sel_hi:[1,0,1]
	v_mov_b32_e32 v99, v109
	v_pk_add_f32 v[94:95], v[94:95], v[96:97]
	v_pk_fma_f32 v[96:97], v[150:151], v[134:135], v[106:107] op_sel_hi:[1,0,1]
	v_pk_mul_f32 v[102:103], v[196:197], v[102:103] op_sel_hi:[1,0]
	v_pk_fma_f32 v[100:101], v[148:149], v[132:133], v[100:101] neg_lo:[0,0,1] neg_hi:[0,0,1]
	v_mov_b32_e32 v101, v105
	v_pk_add_f32 v[94:95], v[94:95], v[98:99]
	v_pk_fma_f32 v[104:105], v[150:151], v[134:135], v[106:107] neg_lo:[0,0,1] neg_hi:[0,0,1]
	v_mov_b32_e32 v105, v97
	v_pk_fma_f32 v[96:97], v[152:153], v[136:137], v[102:103] op_sel_hi:[1,0,1]
	s_wait_loadcnt 0x1
	v_pk_mul_f32 v[98:99], v[154:155], v[138:139] op_sel:[1,1] op_sel_hi:[0,1]
	v_pk_add_f32 v[94:95], v[94:95], v[100:101]
	v_mov_b32_e32 v96, v141
	v_pk_fma_f32 v[102:103], v[152:153], v[136:137], v[102:103] neg_lo:[0,0,1] neg_hi:[0,0,1]
	s_delay_alu instid0(VALU_DEP_4)
	v_pk_fma_f32 v[100:101], v[154:155], v[138:139], v[98:99] op_sel_hi:[1,0,1]
	v_mov_b32_e32 v103, v97
	v_pk_add_f32 v[94:95], v[94:95], v[104:105]
	v_pk_mul_f32 v[96:97], v[198:199], v[96:97] op_sel_hi:[1,0]
	v_pk_fma_f32 v[98:99], v[154:155], v[138:139], v[98:99] neg_lo:[0,0,1] neg_hi:[0,0,1]
	v_mov_b32_e32 v99, v101
	s_delay_alu instid0(VALU_DEP_4) | instskip(NEXT) | instid1(VALU_DEP_4)
	v_pk_add_f32 v[94:95], v[94:95], v[102:103]
	v_pk_fma_f32 v[100:101], v[156:157], v[140:141], v[96:97] op_sel_hi:[1,0,1]
	v_pk_fma_f32 v[96:97], v[156:157], v[140:141], v[96:97] neg_lo:[0,0,1] neg_hi:[0,0,1]
	s_delay_alu instid0(VALU_DEP_3) | instskip(NEXT) | instid1(VALU_DEP_3)
	v_pk_add_f32 v[94:95], v[94:95], v[98:99]
	v_mov_b32_e32 v97, v101
	s_delay_alu instid0(VALU_DEP_1) | instskip(SKIP_1) | instid1(VALU_DEP_1)
	v_pk_add_f32 v[94:95], v[94:95], v[96:97]
	s_wait_loadcnt 0x0
	v_pk_add_f32 v[94:95], v[190:191], v[94:95] neg_lo:[0,1] neg_hi:[0,1]
	scratch_store_b64 off, v[94:95], off offset:168
	s_wait_xcnt 0x0
	v_cmpx_lt_u32_e32 20, v0
	s_cbranch_execz .LBB109_249
; %bb.248:
	scratch_load_b64 v[94:95], off, off offset:160
	v_mov_b64_e32 v[96:97], 0
	scratch_store_b64 off, v[96:97], off offset:160
	s_wait_loadcnt 0x0
	ds_store_b64 v1, v[94:95]
.LBB109_249:
	s_wait_xcnt 0x0
	s_or_b32 exec_lo, exec_lo, s0
	s_wait_storecnt_dscnt 0x0
	s_barrier_signal -1
	s_barrier_wait -1
	s_clause 0xd
	scratch_load_b128 v[94:97], off, off offset:168
	scratch_load_b128 v[98:101], off, off offset:184
	;; [unrolled: 1-line block ×12, first 2 shown]
	scratch_load_b64 v[190:191], off, off offset:360
	scratch_load_b64 v[192:193], off, off offset:160
	v_mov_b32_e32 v7, 0
	ds_load_2addr_b64 v[142:145], v7 offset0:83 offset1:84
	ds_load_2addr_b64 v[146:149], v7 offset0:85 offset1:86
	;; [unrolled: 1-line block ×12, first 2 shown]
	ds_load_b64 v[194:195], v7 offset:728
	s_mov_b32 s0, exec_lo
	s_wait_dscnt 0xc
	v_dual_mov_b32 v196, v145 :: v_dual_mov_b32 v197, v144
	s_wait_dscnt 0x9
	v_dual_mov_b32 v198, v149 :: v_dual_mov_b32 v203, v156
	v_dual_mov_b32 v199, v148 :: v_dual_mov_b32 v200, v153
	;; [unrolled: 1-line block ×3, first 2 shown]
	s_wait_loadcnt_dscnt 0xd08
	v_dual_mul_f32 v9, v158, v95 :: v_dual_mul_f32 v39, v159, v95
	v_dual_mul_f32 v41, v161, v97 :: v_dual_mul_f32 v11, v160, v97
	s_wait_loadcnt_dscnt 0xc07
	v_mul_f32_e32 v13, v162, v99
	s_wait_loadcnt_dscnt 0xa05
	v_dual_mul_f32 v51, v171, v107 :: v_dual_fma_f32 v39, v158, v94, -v39
	v_dual_fmac_f32 v9, v159, v94 :: v_dual_mul_f32 v53, v173, v109
	v_dual_mul_f32 v43, v163, v99 :: v_dual_mul_f32 v45, v165, v101
	v_dual_fmac_f32 v11, v161, v96 :: v_dual_fma_f32 v41, v160, v96, -v41
	s_delay_alu instid0(VALU_DEP_3) | instskip(SKIP_3) | instid1(VALU_DEP_3)
	v_dual_add_f32 v9, 0, v9 :: v_dual_add_f32 v39, 0, v39
	v_dual_mul_f32 v15, v164, v101 :: v_dual_mul_f32 v17, v166, v103
	s_wait_loadcnt_dscnt 0x904
	v_dual_mul_f32 v55, v175, v111 :: v_dual_fma_f32 v43, v162, v98, -v43
	v_dual_fmac_f32 v13, v163, v98 :: v_dual_add_f32 v9, v9, v11
	s_delay_alu instid0(VALU_DEP_3) | instskip(SKIP_2) | instid1(VALU_DEP_3)
	v_dual_add_f32 v11, v39, v41 :: v_dual_fmac_f32 v15, v165, v100
	v_dual_mul_f32 v47, v167, v103 :: v_dual_mul_f32 v49, v169, v105
	v_dual_mul_f32 v39, v177, v113 :: v_dual_fma_f32 v41, v164, v100, -v45
	v_dual_add_f32 v9, v9, v13 :: v_dual_add_f32 v11, v11, v43
	v_dual_mul_f32 v19, v168, v105 :: v_dual_mul_f32 v21, v170, v107
	s_wait_loadcnt_dscnt 0x803
	v_dual_mul_f32 v13, v179, v115 :: v_dual_fma_f32 v43, v166, v102, -v47
	s_delay_alu instid0(VALU_DEP_3) | instskip(NEXT) | instid1(VALU_DEP_3)
	v_dual_fmac_f32 v17, v167, v102 :: v_dual_add_f32 v9, v9, v15
	v_dual_add_f32 v11, v11, v41 :: v_dual_fmac_f32 v19, v169, v104
	v_dual_mul_f32 v15, v181, v117 :: v_dual_fma_f32 v41, v168, v104, -v49
	s_delay_alu instid0(VALU_DEP_2) | instskip(SKIP_3) | instid1(VALU_DEP_3)
	v_dual_add_f32 v9, v9, v17 :: v_dual_add_f32 v11, v11, v43
	v_dual_mul_f32 v23, v172, v109 :: v_dual_mul_f32 v25, v174, v111
	s_wait_loadcnt_dscnt 0x702
	v_dual_mul_f32 v17, v183, v119 :: v_dual_fma_f32 v43, v170, v106, -v51
	v_dual_fmac_f32 v21, v171, v106 :: v_dual_add_f32 v9, v9, v19
	s_delay_alu instid0(VALU_DEP_3) | instskip(SKIP_1) | instid1(VALU_DEP_2)
	v_dual_add_f32 v11, v11, v41 :: v_dual_fmac_f32 v23, v173, v108
	v_dual_mul_f32 v19, v185, v121 :: v_dual_fma_f32 v41, v172, v108, -v53
	v_dual_add_f32 v9, v9, v21 :: v_dual_add_f32 v11, v11, v43
	v_dual_mul_f32 v27, v176, v113 :: v_dual_mul_f32 v29, v178, v115
	s_wait_loadcnt_dscnt 0x601
	v_dual_mul_f32 v21, v187, v123 :: v_dual_fma_f32 v43, v174, v110, -v55
	s_delay_alu instid0(VALU_DEP_3) | instskip(NEXT) | instid1(VALU_DEP_3)
	v_dual_fmac_f32 v25, v175, v110 :: v_dual_add_f32 v9, v9, v23
	v_dual_add_f32 v11, v11, v41 :: v_dual_fmac_f32 v27, v177, v112
	v_dual_mul_f32 v23, v189, v125 :: v_dual_fma_f32 v39, v176, v112, -v39
	s_delay_alu instid0(VALU_DEP_2) | instskip(SKIP_3) | instid1(VALU_DEP_3)
	v_dual_add_f32 v9, v9, v25 :: v_dual_add_f32 v11, v11, v43
	v_dual_mul_f32 v31, v180, v117 :: v_dual_mul_f32 v33, v182, v119
	s_wait_loadcnt 0x5
	v_dual_mul_f32 v25, v143, v127 :: v_dual_fma_f32 v13, v178, v114, -v13
	v_dual_fmac_f32 v29, v179, v114 :: v_dual_add_f32 v9, v9, v27
	v_dual_add_f32 v11, v11, v39 :: v_dual_mov_b32 v94, v129
	v_fmac_f32_e32 v31, v181, v116
	s_delay_alu instid0(VALU_DEP_3) | instskip(NEXT) | instid1(VALU_DEP_3)
	v_dual_fma_f32 v15, v180, v116, -v15 :: v_dual_add_f32 v9, v9, v29
	v_add_f32_e32 v11, v11, v13
	v_dual_mul_f32 v35, v184, v121 :: v_dual_mul_f32 v37, v186, v123
	s_delay_alu instid0(VALU_DEP_3) | instskip(NEXT) | instid1(VALU_DEP_3)
	v_dual_fmac_f32 v33, v183, v118 :: v_dual_add_f32 v9, v9, v31
	v_dual_fma_f32 v13, v182, v118, -v17 :: v_dual_add_f32 v11, v11, v15
	s_wait_loadcnt 0x4
	v_dual_mov_b32 v98, v133 :: v_dual_fma_f32 v15, v184, v120, -v19
	v_fmac_f32_e32 v35, v185, v120
	v_dual_add_f32 v9, v9, v33 :: v_dual_fmac_f32 v37, v187, v122
	v_add_f32_e32 v11, v11, v13
	v_dual_mul_f32 v205, v188, v125 :: v_dual_mul_f32 v207, v142, v127
	s_delay_alu instid0(VALU_DEP_3) | instskip(NEXT) | instid1(VALU_DEP_2)
	v_dual_fma_f32 v13, v186, v122, -v21 :: v_dual_add_f32 v9, v9, v35
	v_dual_add_f32 v11, v11, v15 :: v_dual_fmac_f32 v205, v189, v124
	v_fma_f32 v204, v188, v124, -v23
	v_pk_mul_f32 v[94:95], v[196:197], v[94:95] op_sel_hi:[1,0]
	s_delay_alu instid0(VALU_DEP_4)
	v_add_f32_e32 v103, v9, v37
	s_wait_loadcnt 0x3
	v_dual_add_f32 v102, v11, v13 :: v_dual_mov_b32 v104, v137
	v_pk_mul_f32 v[96:97], v[146:147], v[130:131] op_sel:[1,1] op_sel_hi:[0,1]
	v_dual_fmac_f32 v207, v143, v126 :: v_dual_fma_f32 v206, v142, v126, -v25
	v_pk_fma_f32 v[106:107], v[144:145], v[128:129], v[94:95] op_sel_hi:[1,0,1]
	s_delay_alu instid0(VALU_DEP_4)
	v_pk_add_f32 v[102:103], v[102:103], v[204:205]
	v_pk_fma_f32 v[94:95], v[144:145], v[128:129], v[94:95] neg_lo:[0,0,1] neg_hi:[0,0,1]
	v_pk_fma_f32 v[108:109], v[146:147], v[130:131], v[96:97] op_sel_hi:[1,0,1]
	v_pk_mul_f32 v[98:99], v[198:199], v[98:99] op_sel_hi:[1,0]
	v_mov_b32_e32 v95, v107
	v_pk_add_f32 v[102:103], v[102:103], v[206:207]
	v_pk_fma_f32 v[96:97], v[146:147], v[130:131], v[96:97] neg_lo:[0,0,1] neg_hi:[0,0,1]
	v_pk_mul_f32 v[100:101], v[150:151], v[134:135] op_sel:[1,1] op_sel_hi:[0,1]
	v_mov_b32_e32 v97, v109
	v_pk_fma_f32 v[108:109], v[148:149], v[132:133], v[98:99] op_sel_hi:[1,0,1]
	v_pk_add_f32 v[94:95], v[102:103], v[94:95]
	v_pk_fma_f32 v[98:99], v[148:149], v[132:133], v[98:99] neg_lo:[0,0,1] neg_hi:[0,0,1]
	v_pk_fma_f32 v[102:103], v[150:151], v[134:135], v[100:101] op_sel_hi:[1,0,1]
	v_pk_mul_f32 v[104:105], v[200:201], v[104:105] op_sel_hi:[1,0]
	v_mov_b32_e32 v99, v109
	v_pk_add_f32 v[94:95], v[94:95], v[96:97]
	v_pk_fma_f32 v[100:101], v[150:151], v[134:135], v[100:101] neg_lo:[0,0,1] neg_hi:[0,0,1]
	s_wait_loadcnt 0x2
	v_pk_mul_f32 v[106:107], v[154:155], v[138:139] op_sel:[1,1] op_sel_hi:[0,1]
	v_dual_mov_b32 v96, v141 :: v_dual_mov_b32 v101, v103
	v_pk_fma_f32 v[102:103], v[152:153], v[136:137], v[104:105] op_sel_hi:[1,0,1]
	v_pk_add_f32 v[94:95], v[94:95], v[98:99]
	v_pk_fma_f32 v[104:105], v[152:153], v[136:137], v[104:105] neg_lo:[0,0,1] neg_hi:[0,0,1]
	v_pk_fma_f32 v[98:99], v[154:155], v[138:139], v[106:107] op_sel_hi:[1,0,1]
	v_pk_mul_f32 v[96:97], v[202:203], v[96:97] op_sel_hi:[1,0]
	v_mov_b32_e32 v105, v103
	v_pk_add_f32 v[94:95], v[94:95], v[100:101]
	v_pk_fma_f32 v[100:101], v[154:155], v[138:139], v[106:107] neg_lo:[0,0,1] neg_hi:[0,0,1]
	v_mov_b32_e32 v101, v99
	v_pk_fma_f32 v[98:99], v[156:157], v[140:141], v[96:97] op_sel_hi:[1,0,1]
	s_wait_loadcnt_dscnt 0x100
	v_pk_mul_f32 v[102:103], v[194:195], v[190:191] op_sel:[1,1] op_sel_hi:[0,1]
	v_pk_add_f32 v[94:95], v[94:95], v[104:105]
	v_pk_fma_f32 v[96:97], v[156:157], v[140:141], v[96:97] neg_lo:[0,0,1] neg_hi:[0,0,1]
	v_mov_b32_e32 v97, v99
	s_delay_alu instid0(VALU_DEP_4) | instskip(NEXT) | instid1(VALU_DEP_4)
	v_pk_fma_f32 v[98:99], v[194:195], v[190:191], v[102:103] op_sel_hi:[1,0,1]
	v_pk_add_f32 v[94:95], v[94:95], v[100:101]
	v_pk_fma_f32 v[100:101], v[194:195], v[190:191], v[102:103] neg_lo:[0,0,1] neg_hi:[0,0,1]
	s_delay_alu instid0(VALU_DEP_3) | instskip(NEXT) | instid1(VALU_DEP_3)
	v_mov_b32_e32 v101, v99
	v_pk_add_f32 v[94:95], v[94:95], v[96:97]
	s_delay_alu instid0(VALU_DEP_1) | instskip(SKIP_1) | instid1(VALU_DEP_1)
	v_pk_add_f32 v[94:95], v[94:95], v[100:101]
	s_wait_loadcnt 0x0
	v_pk_add_f32 v[94:95], v[192:193], v[94:95] neg_lo:[0,1] neg_hi:[0,1]
	scratch_store_b64 off, v[94:95], off offset:160
	s_wait_xcnt 0x0
	v_cmpx_lt_u32_e32 19, v0
	s_cbranch_execz .LBB109_251
; %bb.250:
	scratch_load_b64 v[94:95], off, off offset:152
	v_mov_b64_e32 v[96:97], 0
	scratch_store_b64 off, v[96:97], off offset:152
	s_wait_loadcnt 0x0
	ds_store_b64 v1, v[94:95]
.LBB109_251:
	s_wait_xcnt 0x0
	s_or_b32 exec_lo, exec_lo, s0
	s_wait_storecnt_dscnt 0x0
	s_barrier_signal -1
	s_barrier_wait -1
	s_clause 0xd
	scratch_load_b128 v[94:97], off, off offset:160
	scratch_load_b128 v[98:101], off, off offset:176
	;; [unrolled: 1-line block ×13, first 2 shown]
	scratch_load_b64 v[198:199], off, off offset:152
	ds_load_b128 v[146:149], v7 offset:672
	ds_load_b128 v[150:153], v7 offset:688
	;; [unrolled: 1-line block ×13, first 2 shown]
	s_mov_b32 s0, exec_lo
	s_wait_dscnt 0xc
	v_dual_mov_b32 v200, v149 :: v_dual_mov_b32 v201, v148
	s_wait_dscnt 0xb
	v_dual_mov_b32 v202, v153 :: v_dual_mov_b32 v203, v152
	;; [unrolled: 2-line block ×4, first 2 shown]
	s_wait_loadcnt_dscnt 0xd08
	v_dual_mul_f32 v7, v162, v95 :: v_dual_mul_f32 v9, v164, v97
	v_dual_mul_f32 v39, v163, v95 :: v_dual_mul_f32 v41, v165, v97
	s_wait_loadcnt_dscnt 0xc07
	v_dual_mul_f32 v11, v166, v99 :: v_dual_mul_f32 v13, v168, v101
	s_delay_alu instid0(VALU_DEP_3) | instskip(SKIP_3) | instid1(VALU_DEP_3)
	v_dual_fmac_f32 v7, v163, v94 :: v_dual_fmac_f32 v9, v165, v96
	s_wait_loadcnt_dscnt 0xa05
	v_dual_fma_f32 v39, v162, v94, -v39 :: v_dual_mul_f32 v51, v175, v107
	v_dual_mul_f32 v43, v167, v99 :: v_dual_mul_f32 v45, v169, v101
	v_dual_fma_f32 v41, v164, v96, -v41 :: v_dual_add_f32 v7, 0, v7
	s_delay_alu instid0(VALU_DEP_3) | instskip(SKIP_1) | instid1(VALU_DEP_3)
	v_dual_add_f32 v39, 0, v39 :: v_dual_mul_f32 v53, v177, v109
	v_dual_fmac_f32 v11, v167, v98 :: v_dual_fmac_f32 v13, v169, v100
	v_dual_fma_f32 v43, v166, v98, -v43 :: v_dual_add_f32 v7, v7, v9
	s_delay_alu instid0(VALU_DEP_3) | instskip(SKIP_2) | instid1(VALU_DEP_4)
	v_dual_add_f32 v9, v39, v41 :: v_dual_fma_f32 v41, v168, v100, -v45
	v_dual_mul_f32 v15, v170, v103 :: v_dual_mul_f32 v17, v172, v105
	v_dual_mul_f32 v47, v171, v103 :: v_dual_mul_f32 v49, v173, v105
	v_add_f32_e32 v7, v7, v11
	s_delay_alu instid0(VALU_DEP_3) | instskip(NEXT) | instid1(VALU_DEP_3)
	v_dual_add_f32 v9, v9, v43 :: v_dual_fmac_f32 v15, v171, v102
	v_fma_f32 v43, v170, v102, -v47
	v_dual_mul_f32 v19, v174, v107 :: v_dual_mul_f32 v21, v176, v109
	s_delay_alu instid0(VALU_DEP_4) | instskip(SKIP_2) | instid1(VALU_DEP_2)
	v_dual_add_f32 v7, v7, v13 :: v_dual_fmac_f32 v17, v173, v104
	s_wait_loadcnt_dscnt 0x802
	v_dual_add_f32 v9, v9, v41 :: v_dual_mul_f32 v13, v187, v115
	v_dual_fma_f32 v41, v172, v104, -v49 :: v_dual_add_f32 v7, v7, v15
	v_mul_f32_e32 v15, v189, v117
	s_delay_alu instid0(VALU_DEP_3) | instskip(NEXT) | instid1(VALU_DEP_3)
	v_dual_add_f32 v9, v9, v43 :: v_dual_fmac_f32 v19, v175, v106
	v_dual_fma_f32 v43, v174, v106, -v51 :: v_dual_add_f32 v7, v7, v17
	v_fmac_f32_e32 v21, v177, v108
	s_wait_loadcnt_dscnt 0x701
	s_delay_alu instid0(VALU_DEP_3) | instskip(SKIP_3) | instid1(VALU_DEP_3)
	v_dual_add_f32 v9, v9, v41 :: v_dual_mul_f32 v17, v191, v119
	v_dual_mul_f32 v23, v182, v111 :: v_dual_mul_f32 v25, v184, v113
	v_dual_mul_f32 v39, v183, v111 :: v_dual_mul_f32 v11, v185, v113
	v_dual_fma_f32 v41, v176, v108, -v53 :: v_dual_add_f32 v7, v7, v19
	v_dual_add_f32 v9, v9, v43 :: v_dual_fmac_f32 v23, v183, v110
	s_delay_alu instid0(VALU_DEP_3) | instskip(NEXT) | instid1(VALU_DEP_3)
	v_dual_mul_f32 v19, v193, v121 :: v_dual_fma_f32 v39, v182, v110, -v39
	v_dual_add_f32 v7, v7, v21 :: v_dual_fmac_f32 v25, v185, v112
	s_wait_loadcnt_dscnt 0x600
	s_delay_alu instid0(VALU_DEP_3) | instskip(SKIP_1) | instid1(VALU_DEP_3)
	v_dual_add_f32 v9, v9, v41 :: v_dual_mul_f32 v21, v195, v123
	v_dual_mul_f32 v27, v186, v115 :: v_dual_mul_f32 v29, v188, v117
	v_dual_fma_f32 v11, v184, v112, -v11 :: v_dual_add_f32 v7, v7, v23
	s_delay_alu instid0(VALU_DEP_2) | instskip(SKIP_1) | instid1(VALU_DEP_2)
	v_dual_add_f32 v9, v9, v39 :: v_dual_fmac_f32 v27, v187, v114
	v_dual_mul_f32 v23, v197, v125 :: v_dual_fma_f32 v13, v186, v114, -v13
	v_dual_add_f32 v7, v7, v25 :: v_dual_add_f32 v9, v9, v11
	v_dual_mul_f32 v31, v190, v119 :: v_dual_mul_f32 v33, v192, v121
	s_wait_loadcnt 0x5
	v_dual_mul_f32 v11, v179, v127 :: v_dual_fmac_f32 v29, v189, v116
	s_delay_alu instid0(VALU_DEP_3) | instskip(NEXT) | instid1(VALU_DEP_3)
	v_dual_fma_f32 v15, v188, v116, -v15 :: v_dual_add_f32 v7, v7, v27
	v_dual_add_f32 v9, v9, v13 :: v_dual_fmac_f32 v31, v191, v118
	v_dual_mul_f32 v13, v181, v129 :: v_dual_fma_f32 v17, v190, v118, -v17
	s_delay_alu instid0(VALU_DEP_2) | instskip(SKIP_2) | instid1(VALU_DEP_3)
	v_dual_add_f32 v7, v7, v29 :: v_dual_add_f32 v9, v9, v15
	v_dual_mul_f32 v35, v194, v123 :: v_dual_mul_f32 v37, v196, v125
	v_dual_fmac_f32 v33, v193, v120 :: v_dual_fma_f32 v15, v192, v120, -v19
	v_dual_add_f32 v7, v7, v31 :: v_dual_add_f32 v9, v9, v17
	s_wait_loadcnt 0x4
	s_delay_alu instid0(VALU_DEP_3) | instskip(NEXT) | instid1(VALU_DEP_2)
	v_dual_mov_b32 v96, v133 :: v_dual_fmac_f32 v35, v195, v122
	v_dual_fma_f32 v17, v194, v122, -v21 :: v_dual_add_f32 v7, v7, v33
	s_delay_alu instid0(VALU_DEP_3) | instskip(SKIP_1) | instid1(VALU_DEP_3)
	v_dual_add_f32 v9, v9, v15 :: v_dual_fma_f32 v15, v196, v124, -v23
	v_dual_mul_f32 v209, v178, v127 :: v_dual_mul_f32 v211, v180, v129
	v_dual_fmac_f32 v37, v197, v124 :: v_dual_add_f32 v7, v7, v35
	s_delay_alu instid0(VALU_DEP_2) | instskip(SKIP_3) | instid1(VALU_DEP_3)
	v_dual_add_f32 v9, v9, v17 :: v_dual_fmac_f32 v209, v179, v126
	v_pk_mul_f32 v[94:95], v[146:147], v[130:131] op_sel:[1,1] op_sel_hi:[0,1]
	s_wait_loadcnt 0x3
	v_dual_mov_b32 v100, v137 :: v_dual_fma_f32 v208, v178, v126, -v11
	v_dual_add_f32 v103, v7, v37 :: v_dual_add_f32 v102, v9, v15
	v_dual_fmac_f32 v211, v181, v128 :: v_dual_fma_f32 v210, v180, v128, -v13
	v_pk_fma_f32 v[104:105], v[146:147], v[130:131], v[94:95] op_sel_hi:[1,0,1]
	v_pk_mul_f32 v[96:97], v[200:201], v[96:97] op_sel_hi:[1,0]
	s_delay_alu instid0(VALU_DEP_4)
	v_pk_add_f32 v[102:103], v[102:103], v[208:209]
	v_pk_fma_f32 v[94:95], v[146:147], v[130:131], v[94:95] neg_lo:[0,0,1] neg_hi:[0,0,1]
	v_pk_mul_f32 v[98:99], v[150:151], v[134:135] op_sel:[1,1] op_sel_hi:[0,1]
	v_mov_b32_e32 v95, v105
	v_pk_fma_f32 v[104:105], v[148:149], v[132:133], v[96:97] op_sel_hi:[1,0,1]
	v_pk_add_f32 v[102:103], v[102:103], v[210:211]
	v_pk_fma_f32 v[96:97], v[148:149], v[132:133], v[96:97] neg_lo:[0,0,1] neg_hi:[0,0,1]
	v_pk_fma_f32 v[108:109], v[150:151], v[134:135], v[98:99] op_sel_hi:[1,0,1]
	v_pk_mul_f32 v[100:101], v[202:203], v[100:101] op_sel_hi:[1,0]
	v_mov_b32_e32 v97, v105
	v_pk_add_f32 v[94:95], v[102:103], v[94:95]
	s_wait_loadcnt 0x2
	v_pk_mul_f32 v[106:107], v[154:155], v[138:139] op_sel:[1,1] op_sel_hi:[0,1]
	v_mov_b32_e32 v102, v141
	v_pk_fma_f32 v[98:99], v[150:151], v[134:135], v[98:99] neg_lo:[0,0,1] neg_hi:[0,0,1]
	v_mov_b32_e32 v99, v109
	v_pk_fma_f32 v[104:105], v[152:153], v[136:137], v[100:101] op_sel_hi:[1,0,1]
	v_pk_add_f32 v[94:95], v[94:95], v[96:97]
	v_pk_fma_f32 v[96:97], v[154:155], v[138:139], v[106:107] op_sel_hi:[1,0,1]
	v_pk_mul_f32 v[102:103], v[204:205], v[102:103] op_sel_hi:[1,0]
	v_pk_fma_f32 v[100:101], v[152:153], v[136:137], v[100:101] neg_lo:[0,0,1] neg_hi:[0,0,1]
	v_mov_b32_e32 v101, v105
	v_pk_add_f32 v[94:95], v[94:95], v[98:99]
	v_pk_fma_f32 v[104:105], v[154:155], v[138:139], v[106:107] neg_lo:[0,0,1] neg_hi:[0,0,1]
	v_mov_b32_e32 v105, v97
	v_pk_fma_f32 v[96:97], v[156:157], v[140:141], v[102:103] op_sel_hi:[1,0,1]
	s_wait_loadcnt 0x1
	v_pk_mul_f32 v[98:99], v[158:159], v[142:143] op_sel:[1,1] op_sel_hi:[0,1]
	v_pk_add_f32 v[94:95], v[94:95], v[100:101]
	v_mov_b32_e32 v96, v145
	v_pk_fma_f32 v[102:103], v[156:157], v[140:141], v[102:103] neg_lo:[0,0,1] neg_hi:[0,0,1]
	v_mov_b32_e32 v103, v97
	v_pk_fma_f32 v[100:101], v[158:159], v[142:143], v[98:99] op_sel_hi:[1,0,1]
	v_pk_add_f32 v[94:95], v[94:95], v[104:105]
	v_pk_mul_f32 v[96:97], v[206:207], v[96:97] op_sel_hi:[1,0]
	v_pk_fma_f32 v[98:99], v[158:159], v[142:143], v[98:99] neg_lo:[0,0,1] neg_hi:[0,0,1]
	s_delay_alu instid0(VALU_DEP_4) | instskip(NEXT) | instid1(VALU_DEP_4)
	v_mov_b32_e32 v99, v101
	v_pk_add_f32 v[94:95], v[94:95], v[102:103]
	s_delay_alu instid0(VALU_DEP_4) | instskip(SKIP_1) | instid1(VALU_DEP_2)
	v_pk_fma_f32 v[100:101], v[160:161], v[144:145], v[96:97] op_sel_hi:[1,0,1]
	v_pk_fma_f32 v[96:97], v[160:161], v[144:145], v[96:97] neg_lo:[0,0,1] neg_hi:[0,0,1]
	v_mov_b32_e32 v97, v101
	s_delay_alu instid0(VALU_DEP_4) | instskip(NEXT) | instid1(VALU_DEP_1)
	v_pk_add_f32 v[94:95], v[94:95], v[98:99]
	v_pk_add_f32 v[94:95], v[94:95], v[96:97]
	s_wait_loadcnt 0x0
	s_delay_alu instid0(VALU_DEP_1)
	v_pk_add_f32 v[94:95], v[198:199], v[94:95] neg_lo:[0,1] neg_hi:[0,1]
	scratch_store_b64 off, v[94:95], off offset:152
	s_wait_xcnt 0x0
	v_cmpx_lt_u32_e32 18, v0
	s_cbranch_execz .LBB109_253
; %bb.252:
	scratch_load_b64 v[94:95], off, off offset:144
	v_mov_b64_e32 v[96:97], 0
	scratch_store_b64 off, v[96:97], off offset:144
	s_wait_loadcnt 0x0
	ds_store_b64 v1, v[94:95]
.LBB109_253:
	s_wait_xcnt 0x0
	s_or_b32 exec_lo, exec_lo, s0
	s_wait_storecnt_dscnt 0x0
	s_barrier_signal -1
	s_barrier_wait -1
	s_clause 0xe
	scratch_load_b128 v[94:97], off, off offset:152
	scratch_load_b128 v[98:101], off, off offset:168
	;; [unrolled: 1-line block ×13, first 2 shown]
	scratch_load_b64 v[198:199], off, off offset:360
	scratch_load_b64 v[200:201], off, off offset:144
	v_mov_b32_e32 v7, 0
	ds_load_2addr_b64 v[146:149], v7 offset0:83 offset1:84
	ds_load_2addr_b64 v[150:153], v7 offset0:85 offset1:86
	;; [unrolled: 1-line block ×13, first 2 shown]
	ds_load_b64 v[202:203], v7 offset:728
	s_mov_b32 s0, exec_lo
	s_wait_dscnt 0xd
	v_dual_mov_b32 v204, v149 :: v_dual_mov_b32 v205, v148
	s_wait_dscnt 0xa
	v_dual_mov_b32 v206, v153 :: v_dual_mov_b32 v211, v160
	v_dual_mov_b32 v207, v152 :: v_dual_mov_b32 v208, v157
	;; [unrolled: 1-line block ×3, first 2 shown]
	s_wait_loadcnt_dscnt 0xe09
	v_dual_mul_f32 v9, v162, v95 :: v_dual_mul_f32 v43, v163, v95
	v_dual_mul_f32 v45, v165, v97 :: v_dual_mul_f32 v11, v164, v97
	s_wait_loadcnt_dscnt 0xd08
	v_mul_f32_e32 v13, v166, v99
	s_wait_loadcnt_dscnt 0xb05
	v_dual_mul_f32 v55, v179, v107 :: v_dual_fma_f32 v43, v162, v94, -v43
	v_dual_fmac_f32 v9, v163, v94 :: v_dual_mul_f32 v57, v181, v109
	v_dual_mul_f32 v47, v167, v99 :: v_dual_mul_f32 v49, v169, v101
	v_dual_fmac_f32 v11, v165, v96 :: v_dual_fma_f32 v45, v164, v96, -v45
	s_delay_alu instid0(VALU_DEP_3) | instskip(SKIP_3) | instid1(VALU_DEP_3)
	v_dual_add_f32 v9, 0, v9 :: v_dual_add_f32 v43, 0, v43
	v_dual_mul_f32 v15, v168, v101 :: v_dual_mul_f32 v17, v170, v103
	s_wait_loadcnt_dscnt 0xa04
	v_dual_mul_f32 v59, v183, v111 :: v_dual_fma_f32 v47, v166, v98, -v47
	v_dual_fmac_f32 v13, v167, v98 :: v_dual_add_f32 v9, v9, v11
	s_delay_alu instid0(VALU_DEP_3) | instskip(SKIP_2) | instid1(VALU_DEP_3)
	v_dual_add_f32 v11, v43, v45 :: v_dual_fmac_f32 v15, v169, v100
	v_dual_mul_f32 v51, v171, v103 :: v_dual_mul_f32 v53, v173, v105
	v_dual_mul_f32 v43, v185, v113 :: v_dual_fma_f32 v45, v168, v100, -v49
	v_dual_add_f32 v9, v9, v13 :: v_dual_add_f32 v11, v11, v47
	v_dual_mul_f32 v19, v172, v105 :: v_dual_mul_f32 v21, v178, v107
	s_wait_loadcnt_dscnt 0x903
	v_dual_mul_f32 v13, v187, v115 :: v_dual_fma_f32 v47, v170, v102, -v51
	s_delay_alu instid0(VALU_DEP_3) | instskip(NEXT) | instid1(VALU_DEP_3)
	v_dual_fmac_f32 v17, v171, v102 :: v_dual_add_f32 v9, v9, v15
	v_dual_add_f32 v11, v11, v45 :: v_dual_fmac_f32 v19, v173, v104
	v_dual_mul_f32 v15, v189, v117 :: v_dual_fma_f32 v45, v172, v104, -v53
	s_delay_alu instid0(VALU_DEP_2) | instskip(SKIP_3) | instid1(VALU_DEP_3)
	v_dual_add_f32 v9, v9, v17 :: v_dual_add_f32 v11, v11, v47
	v_dual_mul_f32 v23, v180, v109 :: v_dual_mul_f32 v25, v182, v111
	s_wait_loadcnt_dscnt 0x802
	v_dual_mul_f32 v17, v191, v119 :: v_dual_fma_f32 v47, v178, v106, -v55
	v_dual_fmac_f32 v21, v179, v106 :: v_dual_add_f32 v9, v9, v19
	s_delay_alu instid0(VALU_DEP_3) | instskip(SKIP_1) | instid1(VALU_DEP_2)
	v_dual_add_f32 v11, v11, v45 :: v_dual_fmac_f32 v23, v181, v108
	v_dual_mul_f32 v19, v193, v121 :: v_dual_fma_f32 v45, v180, v108, -v57
	v_dual_add_f32 v9, v9, v21 :: v_dual_add_f32 v11, v11, v47
	v_dual_mul_f32 v27, v184, v113 :: v_dual_mul_f32 v29, v186, v115
	s_wait_loadcnt_dscnt 0x701
	v_dual_mul_f32 v21, v195, v123 :: v_dual_fma_f32 v47, v182, v110, -v59
	s_delay_alu instid0(VALU_DEP_3) | instskip(NEXT) | instid1(VALU_DEP_3)
	v_dual_fmac_f32 v25, v183, v110 :: v_dual_add_f32 v9, v9, v23
	v_dual_add_f32 v11, v11, v45 :: v_dual_fmac_f32 v27, v185, v112
	v_dual_mul_f32 v23, v197, v125 :: v_dual_fma_f32 v43, v184, v112, -v43
	s_delay_alu instid0(VALU_DEP_2) | instskip(SKIP_3) | instid1(VALU_DEP_3)
	v_dual_add_f32 v9, v9, v25 :: v_dual_add_f32 v11, v11, v47
	v_dual_mul_f32 v31, v188, v117 :: v_dual_mul_f32 v33, v190, v119
	s_wait_loadcnt 0x6
	v_dual_mul_f32 v25, v175, v127 :: v_dual_fma_f32 v13, v186, v114, -v13
	v_dual_fmac_f32 v29, v187, v114 :: v_dual_add_f32 v9, v9, v27
	v_dual_add_f32 v11, v11, v43 :: v_dual_mul_f32 v27, v177, v129
	v_fmac_f32_e32 v31, v189, v116
	s_delay_alu instid0(VALU_DEP_3) | instskip(NEXT) | instid1(VALU_DEP_3)
	v_dual_fma_f32 v15, v188, v116, -v15 :: v_dual_add_f32 v9, v9, v29
	v_add_f32_e32 v11, v11, v13
	v_dual_mul_f32 v35, v192, v121 :: v_dual_mul_f32 v37, v194, v123
	s_wait_loadcnt 0x5
	v_dual_mul_f32 v13, v147, v131 :: v_dual_fma_f32 v17, v190, v118, -v17
	v_dual_fmac_f32 v33, v191, v118 :: v_dual_add_f32 v9, v9, v31
	v_dual_add_f32 v11, v11, v15 :: v_dual_mov_b32 v94, v133
	v_fmac_f32_e32 v35, v193, v120
	s_delay_alu instid0(VALU_DEP_3) | instskip(NEXT) | instid1(VALU_DEP_3)
	v_dual_fma_f32 v15, v192, v120, -v19 :: v_dual_add_f32 v9, v9, v33
	v_add_f32_e32 v11, v11, v17
	v_dual_mul_f32 v39, v196, v125 :: v_dual_mul_f32 v41, v174, v127
	s_delay_alu instid0(VALU_DEP_3) | instskip(NEXT) | instid1(VALU_DEP_3)
	v_dual_fmac_f32 v37, v195, v122 :: v_dual_add_f32 v9, v9, v35
	v_dual_fma_f32 v17, v194, v122, -v21 :: v_dual_add_f32 v11, v11, v15
	s_wait_loadcnt 0x4
	v_dual_mov_b32 v98, v137 :: v_dual_fma_f32 v15, v196, v124, -v23
	v_fmac_f32_e32 v39, v197, v124
	v_dual_add_f32 v9, v9, v37 :: v_dual_fmac_f32 v41, v175, v126
	v_add_f32_e32 v11, v11, v17
	v_dual_mul_f32 v213, v176, v129 :: v_dual_mul_f32 v215, v146, v131
	s_delay_alu instid0(VALU_DEP_3) | instskip(NEXT) | instid1(VALU_DEP_2)
	v_dual_fma_f32 v17, v174, v126, -v25 :: v_dual_add_f32 v9, v9, v39
	v_dual_add_f32 v11, v11, v15 :: v_dual_fmac_f32 v213, v177, v128
	v_fma_f32 v212, v176, v128, -v27
	v_pk_mul_f32 v[94:95], v[204:205], v[94:95] op_sel_hi:[1,0]
	s_delay_alu instid0(VALU_DEP_4)
	v_add_f32_e32 v103, v9, v41
	s_wait_loadcnt 0x3
	v_dual_add_f32 v102, v11, v17 :: v_dual_mov_b32 v104, v141
	v_pk_mul_f32 v[96:97], v[150:151], v[134:135] op_sel:[1,1] op_sel_hi:[0,1]
	v_dual_fmac_f32 v215, v147, v130 :: v_dual_fma_f32 v214, v146, v130, -v13
	v_pk_fma_f32 v[106:107], v[148:149], v[132:133], v[94:95] op_sel_hi:[1,0,1]
	s_delay_alu instid0(VALU_DEP_4)
	v_pk_add_f32 v[102:103], v[102:103], v[212:213]
	v_pk_fma_f32 v[94:95], v[148:149], v[132:133], v[94:95] neg_lo:[0,0,1] neg_hi:[0,0,1]
	v_pk_fma_f32 v[108:109], v[150:151], v[134:135], v[96:97] op_sel_hi:[1,0,1]
	v_pk_mul_f32 v[98:99], v[206:207], v[98:99] op_sel_hi:[1,0]
	v_mov_b32_e32 v95, v107
	v_pk_add_f32 v[102:103], v[102:103], v[214:215]
	v_pk_fma_f32 v[96:97], v[150:151], v[134:135], v[96:97] neg_lo:[0,0,1] neg_hi:[0,0,1]
	v_pk_mul_f32 v[100:101], v[154:155], v[138:139] op_sel:[1,1] op_sel_hi:[0,1]
	v_mov_b32_e32 v97, v109
	v_pk_fma_f32 v[108:109], v[152:153], v[136:137], v[98:99] op_sel_hi:[1,0,1]
	v_pk_add_f32 v[94:95], v[102:103], v[94:95]
	v_pk_fma_f32 v[98:99], v[152:153], v[136:137], v[98:99] neg_lo:[0,0,1] neg_hi:[0,0,1]
	v_pk_fma_f32 v[102:103], v[154:155], v[138:139], v[100:101] op_sel_hi:[1,0,1]
	v_pk_mul_f32 v[104:105], v[208:209], v[104:105] op_sel_hi:[1,0]
	v_mov_b32_e32 v99, v109
	v_pk_add_f32 v[94:95], v[94:95], v[96:97]
	v_pk_fma_f32 v[100:101], v[154:155], v[138:139], v[100:101] neg_lo:[0,0,1] neg_hi:[0,0,1]
	s_wait_loadcnt 0x2
	v_pk_mul_f32 v[106:107], v[158:159], v[142:143] op_sel:[1,1] op_sel_hi:[0,1]
	v_dual_mov_b32 v96, v145 :: v_dual_mov_b32 v101, v103
	v_pk_fma_f32 v[102:103], v[156:157], v[140:141], v[104:105] op_sel_hi:[1,0,1]
	v_pk_add_f32 v[94:95], v[94:95], v[98:99]
	v_pk_fma_f32 v[104:105], v[156:157], v[140:141], v[104:105] neg_lo:[0,0,1] neg_hi:[0,0,1]
	v_pk_fma_f32 v[98:99], v[158:159], v[142:143], v[106:107] op_sel_hi:[1,0,1]
	v_pk_mul_f32 v[96:97], v[210:211], v[96:97] op_sel_hi:[1,0]
	v_mov_b32_e32 v105, v103
	v_pk_add_f32 v[94:95], v[94:95], v[100:101]
	v_pk_fma_f32 v[100:101], v[158:159], v[142:143], v[106:107] neg_lo:[0,0,1] neg_hi:[0,0,1]
	v_mov_b32_e32 v101, v99
	v_pk_fma_f32 v[98:99], v[160:161], v[144:145], v[96:97] op_sel_hi:[1,0,1]
	s_wait_loadcnt_dscnt 0x100
	v_pk_mul_f32 v[102:103], v[202:203], v[198:199] op_sel:[1,1] op_sel_hi:[0,1]
	v_pk_add_f32 v[94:95], v[94:95], v[104:105]
	v_pk_fma_f32 v[96:97], v[160:161], v[144:145], v[96:97] neg_lo:[0,0,1] neg_hi:[0,0,1]
	v_mov_b32_e32 v97, v99
	s_delay_alu instid0(VALU_DEP_4) | instskip(NEXT) | instid1(VALU_DEP_4)
	v_pk_fma_f32 v[98:99], v[202:203], v[198:199], v[102:103] op_sel_hi:[1,0,1]
	v_pk_add_f32 v[94:95], v[94:95], v[100:101]
	v_pk_fma_f32 v[100:101], v[202:203], v[198:199], v[102:103] neg_lo:[0,0,1] neg_hi:[0,0,1]
	s_delay_alu instid0(VALU_DEP_3) | instskip(NEXT) | instid1(VALU_DEP_3)
	v_mov_b32_e32 v101, v99
	v_pk_add_f32 v[94:95], v[94:95], v[96:97]
	s_delay_alu instid0(VALU_DEP_1) | instskip(SKIP_1) | instid1(VALU_DEP_1)
	v_pk_add_f32 v[94:95], v[94:95], v[100:101]
	s_wait_loadcnt 0x0
	v_pk_add_f32 v[94:95], v[200:201], v[94:95] neg_lo:[0,1] neg_hi:[0,1]
	scratch_store_b64 off, v[94:95], off offset:144
	s_wait_xcnt 0x0
	v_cmpx_lt_u32_e32 17, v0
	s_cbranch_execz .LBB109_255
; %bb.254:
	scratch_load_b64 v[94:95], off, off offset:136
	v_mov_b64_e32 v[96:97], 0
	scratch_store_b64 off, v[96:97], off offset:136
	s_wait_loadcnt 0x0
	ds_store_b64 v1, v[94:95]
.LBB109_255:
	s_wait_xcnt 0x0
	s_or_b32 exec_lo, exec_lo, s0
	s_wait_storecnt_dscnt 0x0
	s_barrier_signal -1
	s_barrier_wait -1
	s_clause 0xe
	scratch_load_b128 v[94:97], off, off offset:144
	scratch_load_b128 v[98:101], off, off offset:160
	;; [unrolled: 1-line block ×14, first 2 shown]
	scratch_load_b64 v[206:207], off, off offset:136
	ds_load_b128 v[150:153], v7 offset:672
	ds_load_b128 v[154:157], v7 offset:688
	;; [unrolled: 1-line block ×14, first 2 shown]
	s_mov_b32 s0, exec_lo
	s_wait_dscnt 0xd
	v_dual_mov_b32 v208, v153 :: v_dual_mov_b32 v209, v152
	s_wait_dscnt 0xc
	v_dual_mov_b32 v210, v157 :: v_dual_mov_b32 v211, v156
	s_wait_dscnt 0xb
	v_dual_mov_b32 v212, v161 :: v_dual_mov_b32 v213, v160
	s_wait_dscnt 0xa
	v_dual_mov_b32 v214, v165 :: v_dual_mov_b32 v215, v164
	s_wait_loadcnt_dscnt 0xe09
	v_dual_mul_f32 v7, v166, v95 :: v_dual_mul_f32 v9, v168, v97
	v_dual_mul_f32 v43, v167, v95 :: v_dual_mul_f32 v45, v169, v97
	s_wait_loadcnt_dscnt 0xd08
	v_dual_mul_f32 v11, v170, v99 :: v_dual_mul_f32 v13, v172, v101
	s_delay_alu instid0(VALU_DEP_3) | instskip(SKIP_3) | instid1(VALU_DEP_3)
	v_dual_fmac_f32 v7, v167, v94 :: v_dual_fmac_f32 v9, v169, v96
	s_wait_loadcnt_dscnt 0xb06
	v_dual_fma_f32 v43, v166, v94, -v43 :: v_dual_mul_f32 v55, v179, v107
	v_dual_mul_f32 v47, v171, v99 :: v_dual_mul_f32 v49, v173, v101
	v_dual_fma_f32 v45, v168, v96, -v45 :: v_dual_add_f32 v7, 0, v7
	s_delay_alu instid0(VALU_DEP_3) | instskip(SKIP_1) | instid1(VALU_DEP_3)
	v_dual_add_f32 v43, 0, v43 :: v_dual_mul_f32 v57, v181, v109
	v_dual_fmac_f32 v11, v171, v98 :: v_dual_fmac_f32 v13, v173, v100
	v_dual_fma_f32 v47, v170, v98, -v47 :: v_dual_add_f32 v7, v7, v9
	s_delay_alu instid0(VALU_DEP_3) | instskip(SKIP_2) | instid1(VALU_DEP_4)
	v_dual_add_f32 v9, v43, v45 :: v_dual_fma_f32 v45, v172, v100, -v49
	v_dual_mul_f32 v15, v174, v103 :: v_dual_mul_f32 v17, v176, v105
	v_dual_mul_f32 v51, v175, v103 :: v_dual_mul_f32 v53, v177, v105
	v_add_f32_e32 v7, v7, v11
	s_delay_alu instid0(VALU_DEP_3) | instskip(NEXT) | instid1(VALU_DEP_3)
	v_dual_add_f32 v9, v9, v47 :: v_dual_fmac_f32 v15, v175, v102
	v_fma_f32 v47, v174, v102, -v51
	v_dual_mul_f32 v19, v178, v107 :: v_dual_mul_f32 v21, v180, v109
	s_delay_alu instid0(VALU_DEP_4) | instskip(SKIP_2) | instid1(VALU_DEP_2)
	v_dual_add_f32 v7, v7, v13 :: v_dual_fmac_f32 v17, v177, v104
	s_wait_loadcnt_dscnt 0x904
	v_dual_add_f32 v9, v9, v45 :: v_dual_mul_f32 v13, v187, v115
	v_dual_fma_f32 v45, v176, v104, -v53 :: v_dual_add_f32 v7, v7, v15
	v_mul_f32_e32 v15, v189, v117
	s_delay_alu instid0(VALU_DEP_3) | instskip(NEXT) | instid1(VALU_DEP_3)
	v_dual_add_f32 v9, v9, v47 :: v_dual_fmac_f32 v19, v179, v106
	v_dual_fma_f32 v47, v178, v106, -v55 :: v_dual_add_f32 v7, v7, v17
	v_fmac_f32_e32 v21, v181, v108
	s_wait_loadcnt_dscnt 0x803
	s_delay_alu instid0(VALU_DEP_3) | instskip(SKIP_3) | instid1(VALU_DEP_3)
	v_dual_add_f32 v9, v9, v45 :: v_dual_mul_f32 v17, v191, v119
	v_dual_mul_f32 v23, v182, v111 :: v_dual_mul_f32 v25, v184, v113
	v_dual_mul_f32 v43, v183, v111 :: v_dual_mul_f32 v11, v185, v113
	v_dual_fma_f32 v45, v180, v108, -v57 :: v_dual_add_f32 v7, v7, v19
	v_dual_add_f32 v9, v9, v47 :: v_dual_fmac_f32 v23, v183, v110
	s_delay_alu instid0(VALU_DEP_3) | instskip(NEXT) | instid1(VALU_DEP_3)
	v_dual_mul_f32 v19, v193, v121 :: v_dual_fma_f32 v43, v182, v110, -v43
	v_dual_add_f32 v7, v7, v21 :: v_dual_fmac_f32 v25, v185, v112
	s_wait_loadcnt_dscnt 0x702
	s_delay_alu instid0(VALU_DEP_3) | instskip(SKIP_1) | instid1(VALU_DEP_3)
	v_dual_add_f32 v9, v9, v45 :: v_dual_mul_f32 v21, v195, v123
	v_dual_mul_f32 v27, v186, v115 :: v_dual_mul_f32 v29, v188, v117
	v_dual_fma_f32 v11, v184, v112, -v11 :: v_dual_add_f32 v7, v7, v23
	s_delay_alu instid0(VALU_DEP_2) | instskip(SKIP_1) | instid1(VALU_DEP_2)
	v_dual_add_f32 v9, v9, v43 :: v_dual_fmac_f32 v27, v187, v114
	v_dual_mul_f32 v23, v197, v125 :: v_dual_fma_f32 v13, v186, v114, -v13
	v_dual_add_f32 v7, v7, v25 :: v_dual_add_f32 v9, v9, v11
	v_dual_mul_f32 v31, v190, v119 :: v_dual_mul_f32 v33, v192, v121
	s_wait_loadcnt_dscnt 0x601
	v_dual_mul_f32 v11, v199, v127 :: v_dual_fmac_f32 v29, v189, v116
	s_delay_alu instid0(VALU_DEP_3) | instskip(NEXT) | instid1(VALU_DEP_3)
	v_dual_fma_f32 v15, v188, v116, -v15 :: v_dual_add_f32 v7, v7, v27
	v_dual_add_f32 v9, v9, v13 :: v_dual_fmac_f32 v31, v191, v118
	v_dual_mul_f32 v13, v201, v129 :: v_dual_fma_f32 v17, v190, v118, -v17
	s_delay_alu instid0(VALU_DEP_2) | instskip(SKIP_3) | instid1(VALU_DEP_3)
	v_dual_add_f32 v7, v7, v29 :: v_dual_add_f32 v9, v9, v15
	v_dual_mul_f32 v35, v194, v123 :: v_dual_mul_f32 v37, v196, v125
	s_wait_loadcnt_dscnt 0x500
	v_dual_mul_f32 v15, v203, v131 :: v_dual_fmac_f32 v33, v193, v120
	v_dual_fma_f32 v19, v192, v120, -v19 :: v_dual_add_f32 v7, v7, v31
	s_delay_alu instid0(VALU_DEP_3) | instskip(SKIP_1) | instid1(VALU_DEP_2)
	v_dual_add_f32 v9, v9, v17 :: v_dual_fmac_f32 v35, v195, v122
	v_dual_mul_f32 v17, v205, v133 :: v_dual_fma_f32 v21, v194, v122, -v21
	v_dual_add_f32 v7, v7, v33 :: v_dual_add_f32 v9, v9, v19
	v_dual_mul_f32 v39, v198, v127 :: v_dual_mul_f32 v41, v200, v129
	v_dual_fmac_f32 v37, v197, v124 :: v_dual_fma_f32 v19, v196, v124, -v23
	s_delay_alu instid0(VALU_DEP_3) | instskip(SKIP_1) | instid1(VALU_DEP_3)
	v_dual_add_f32 v7, v7, v35 :: v_dual_add_f32 v9, v9, v21
	s_wait_loadcnt 0x4
	v_dual_mov_b32 v96, v137 :: v_dual_fmac_f32 v39, v199, v126
	s_delay_alu instid0(VALU_DEP_2) | instskip(NEXT) | instid1(VALU_DEP_3)
	v_dual_fma_f32 v11, v198, v126, -v11 :: v_dual_add_f32 v7, v7, v37
	v_dual_add_f32 v9, v9, v19 :: v_dual_fma_f32 v13, v200, v128, -v13
	v_dual_mul_f32 v217, v202, v131 :: v_dual_mul_f32 v219, v204, v133
	s_delay_alu instid0(VALU_DEP_3) | instskip(NEXT) | instid1(VALU_DEP_2)
	v_dual_fmac_f32 v41, v201, v128 :: v_dual_add_f32 v7, v7, v39
	v_dual_add_f32 v9, v9, v11 :: v_dual_fmac_f32 v217, v203, v130
	v_pk_mul_f32 v[94:95], v[150:151], v[134:135] op_sel:[1,1] op_sel_hi:[0,1]
	s_wait_loadcnt 0x3
	v_dual_mov_b32 v100, v141 :: v_dual_fma_f32 v216, v202, v130, -v15
	v_dual_add_f32 v103, v7, v41 :: v_dual_fmac_f32 v219, v205, v132
	v_dual_add_f32 v102, v9, v13 :: v_dual_fma_f32 v218, v204, v132, -v17
	v_pk_fma_f32 v[104:105], v[150:151], v[134:135], v[94:95] op_sel_hi:[1,0,1]
	v_pk_mul_f32 v[96:97], v[208:209], v[96:97] op_sel_hi:[1,0]
	v_pk_fma_f32 v[94:95], v[150:151], v[134:135], v[94:95] neg_lo:[0,0,1] neg_hi:[0,0,1]
	s_delay_alu instid0(VALU_DEP_4)
	v_pk_add_f32 v[102:103], v[102:103], v[216:217]
	v_pk_mul_f32 v[98:99], v[154:155], v[138:139] op_sel:[1,1] op_sel_hi:[0,1]
	v_mov_b32_e32 v95, v105
	v_pk_fma_f32 v[104:105], v[152:153], v[136:137], v[96:97] op_sel_hi:[1,0,1]
	v_pk_fma_f32 v[96:97], v[152:153], v[136:137], v[96:97] neg_lo:[0,0,1] neg_hi:[0,0,1]
	v_pk_add_f32 v[102:103], v[102:103], v[218:219]
	v_pk_fma_f32 v[108:109], v[154:155], v[138:139], v[98:99] op_sel_hi:[1,0,1]
	v_pk_mul_f32 v[100:101], v[210:211], v[100:101] op_sel_hi:[1,0]
	v_mov_b32_e32 v97, v105
	s_wait_loadcnt 0x2
	v_pk_mul_f32 v[106:107], v[158:159], v[142:143] op_sel:[1,1] op_sel_hi:[0,1]
	v_pk_add_f32 v[94:95], v[102:103], v[94:95]
	v_mov_b32_e32 v102, v145
	v_pk_fma_f32 v[98:99], v[154:155], v[138:139], v[98:99] neg_lo:[0,0,1] neg_hi:[0,0,1]
	v_mov_b32_e32 v99, v109
	v_pk_fma_f32 v[104:105], v[156:157], v[140:141], v[100:101] op_sel_hi:[1,0,1]
	v_pk_add_f32 v[94:95], v[94:95], v[96:97]
	v_pk_fma_f32 v[96:97], v[158:159], v[142:143], v[106:107] op_sel_hi:[1,0,1]
	v_pk_mul_f32 v[102:103], v[212:213], v[102:103] op_sel_hi:[1,0]
	v_pk_fma_f32 v[100:101], v[156:157], v[140:141], v[100:101] neg_lo:[0,0,1] neg_hi:[0,0,1]
	v_mov_b32_e32 v101, v105
	v_pk_add_f32 v[94:95], v[94:95], v[98:99]
	v_pk_fma_f32 v[104:105], v[158:159], v[142:143], v[106:107] neg_lo:[0,0,1] neg_hi:[0,0,1]
	v_mov_b32_e32 v105, v97
	v_pk_fma_f32 v[96:97], v[160:161], v[144:145], v[102:103] op_sel_hi:[1,0,1]
	s_wait_loadcnt 0x1
	v_pk_mul_f32 v[98:99], v[162:163], v[146:147] op_sel:[1,1] op_sel_hi:[0,1]
	v_pk_add_f32 v[94:95], v[94:95], v[100:101]
	v_mov_b32_e32 v96, v149
	v_pk_fma_f32 v[102:103], v[160:161], v[144:145], v[102:103] neg_lo:[0,0,1] neg_hi:[0,0,1]
	v_mov_b32_e32 v103, v97
	v_pk_fma_f32 v[100:101], v[162:163], v[146:147], v[98:99] op_sel_hi:[1,0,1]
	v_pk_add_f32 v[94:95], v[94:95], v[104:105]
	v_pk_mul_f32 v[96:97], v[214:215], v[96:97] op_sel_hi:[1,0]
	v_pk_fma_f32 v[98:99], v[162:163], v[146:147], v[98:99] neg_lo:[0,0,1] neg_hi:[0,0,1]
	s_delay_alu instid0(VALU_DEP_4) | instskip(NEXT) | instid1(VALU_DEP_4)
	v_mov_b32_e32 v99, v101
	v_pk_add_f32 v[94:95], v[94:95], v[102:103]
	s_delay_alu instid0(VALU_DEP_4) | instskip(SKIP_1) | instid1(VALU_DEP_2)
	v_pk_fma_f32 v[100:101], v[164:165], v[148:149], v[96:97] op_sel_hi:[1,0,1]
	v_pk_fma_f32 v[96:97], v[164:165], v[148:149], v[96:97] neg_lo:[0,0,1] neg_hi:[0,0,1]
	v_mov_b32_e32 v97, v101
	s_delay_alu instid0(VALU_DEP_4) | instskip(NEXT) | instid1(VALU_DEP_1)
	v_pk_add_f32 v[94:95], v[94:95], v[98:99]
	v_pk_add_f32 v[94:95], v[94:95], v[96:97]
	s_wait_loadcnt 0x0
	s_delay_alu instid0(VALU_DEP_1)
	v_pk_add_f32 v[94:95], v[206:207], v[94:95] neg_lo:[0,1] neg_hi:[0,1]
	scratch_store_b64 off, v[94:95], off offset:136
	s_wait_xcnt 0x0
	v_cmpx_lt_u32_e32 16, v0
	s_cbranch_execz .LBB109_257
; %bb.256:
	scratch_load_b64 v[94:95], off, off offset:128
	v_mov_b64_e32 v[96:97], 0
	scratch_store_b64 off, v[96:97], off offset:128
	s_wait_loadcnt 0x0
	ds_store_b64 v1, v[94:95]
.LBB109_257:
	s_wait_xcnt 0x0
	s_or_b32 exec_lo, exec_lo, s0
	s_wait_storecnt_dscnt 0x0
	s_barrier_signal -1
	s_barrier_wait -1
	s_clause 0xf
	scratch_load_b128 v[94:97], off, off offset:136
	scratch_load_b128 v[98:101], off, off offset:152
	scratch_load_b128 v[102:105], off, off offset:168
	scratch_load_b128 v[106:109], off, off offset:184
	scratch_load_b128 v[110:113], off, off offset:200
	scratch_load_b128 v[114:117], off, off offset:216
	scratch_load_b128 v[118:121], off, off offset:232
	scratch_load_b128 v[122:125], off, off offset:248
	scratch_load_b128 v[126:129], off, off offset:264
	scratch_load_b128 v[130:133], off, off offset:280
	scratch_load_b128 v[134:137], off, off offset:296
	scratch_load_b128 v[138:141], off, off offset:312
	scratch_load_b128 v[142:145], off, off offset:328
	scratch_load_b128 v[146:149], off, off offset:344
	scratch_load_b64 v[206:207], off, off offset:360
	scratch_load_b64 v[208:209], off, off offset:128
	v_mov_b32_e32 v7, 0
	ds_load_2addr_b64 v[150:153], v7 offset0:83 offset1:84
	ds_load_2addr_b64 v[154:157], v7 offset0:85 offset1:86
	;; [unrolled: 1-line block ×14, first 2 shown]
	ds_load_b64 v[210:211], v7 offset:728
	s_mov_b32 s0, exec_lo
	s_wait_dscnt 0xe
	v_dual_mov_b32 v212, v153 :: v_dual_mov_b32 v213, v152
	s_wait_dscnt 0xb
	v_dual_mov_b32 v214, v157 :: v_dual_mov_b32 v219, v164
	v_dual_mov_b32 v215, v156 :: v_dual_mov_b32 v216, v161
	;; [unrolled: 1-line block ×3, first 2 shown]
	s_wait_loadcnt_dscnt 0xf0a
	v_dual_mul_f32 v9, v166, v95 :: v_dual_mul_f32 v47, v167, v95
	v_dual_mul_f32 v49, v169, v97 :: v_dual_mul_f32 v11, v168, v97
	s_wait_loadcnt_dscnt 0xe09
	v_mul_f32_e32 v13, v170, v99
	s_wait_loadcnt_dscnt 0xc07
	v_dual_mul_f32 v59, v179, v107 :: v_dual_fma_f32 v47, v166, v94, -v47
	v_dual_fmac_f32 v9, v167, v94 :: v_dual_mul_f32 v61, v181, v109
	v_dual_mul_f32 v51, v171, v99 :: v_dual_mul_f32 v53, v173, v101
	v_dual_fmac_f32 v11, v169, v96 :: v_dual_fma_f32 v49, v168, v96, -v49
	s_delay_alu instid0(VALU_DEP_3) | instskip(SKIP_3) | instid1(VALU_DEP_3)
	v_dual_add_f32 v9, 0, v9 :: v_dual_add_f32 v47, 0, v47
	v_dual_mul_f32 v15, v172, v101 :: v_dual_mul_f32 v17, v174, v103
	s_wait_loadcnt_dscnt 0xb06
	v_dual_mul_f32 v63, v183, v111 :: v_dual_fma_f32 v51, v170, v98, -v51
	v_dual_fmac_f32 v13, v171, v98 :: v_dual_add_f32 v9, v9, v11
	s_delay_alu instid0(VALU_DEP_3) | instskip(SKIP_2) | instid1(VALU_DEP_3)
	v_dual_add_f32 v11, v47, v49 :: v_dual_fmac_f32 v15, v173, v100
	v_dual_mul_f32 v55, v175, v103 :: v_dual_mul_f32 v57, v177, v105
	v_dual_mul_f32 v47, v185, v113 :: v_dual_fma_f32 v49, v172, v100, -v53
	v_dual_add_f32 v9, v9, v13 :: v_dual_add_f32 v11, v11, v51
	v_dual_mul_f32 v19, v176, v105 :: v_dual_mul_f32 v21, v178, v107
	s_wait_loadcnt_dscnt 0xa05
	v_dual_mul_f32 v13, v187, v115 :: v_dual_fma_f32 v51, v174, v102, -v55
	s_delay_alu instid0(VALU_DEP_3) | instskip(NEXT) | instid1(VALU_DEP_3)
	v_dual_fmac_f32 v17, v175, v102 :: v_dual_add_f32 v9, v9, v15
	v_dual_add_f32 v11, v11, v49 :: v_dual_fmac_f32 v19, v177, v104
	v_dual_mul_f32 v15, v189, v117 :: v_dual_fma_f32 v49, v176, v104, -v57
	s_delay_alu instid0(VALU_DEP_2) | instskip(SKIP_3) | instid1(VALU_DEP_3)
	v_dual_add_f32 v9, v9, v17 :: v_dual_add_f32 v11, v11, v51
	v_dual_mul_f32 v23, v180, v109 :: v_dual_mul_f32 v25, v182, v111
	s_wait_loadcnt_dscnt 0x904
	v_dual_mul_f32 v17, v191, v119 :: v_dual_fma_f32 v51, v178, v106, -v59
	v_dual_fmac_f32 v21, v179, v106 :: v_dual_add_f32 v9, v9, v19
	s_delay_alu instid0(VALU_DEP_3) | instskip(SKIP_1) | instid1(VALU_DEP_2)
	v_dual_add_f32 v11, v11, v49 :: v_dual_fmac_f32 v23, v181, v108
	v_dual_mul_f32 v19, v193, v121 :: v_dual_fma_f32 v49, v180, v108, -v61
	v_dual_add_f32 v9, v9, v21 :: v_dual_add_f32 v11, v11, v51
	v_dual_mul_f32 v27, v184, v113 :: v_dual_mul_f32 v29, v186, v115
	s_wait_loadcnt_dscnt 0x803
	v_dual_mul_f32 v21, v195, v123 :: v_dual_fma_f32 v51, v182, v110, -v63
	s_delay_alu instid0(VALU_DEP_3) | instskip(NEXT) | instid1(VALU_DEP_3)
	v_dual_fmac_f32 v25, v183, v110 :: v_dual_add_f32 v9, v9, v23
	v_dual_add_f32 v11, v11, v49 :: v_dual_fmac_f32 v27, v185, v112
	v_dual_mul_f32 v23, v197, v125 :: v_dual_fma_f32 v47, v184, v112, -v47
	s_delay_alu instid0(VALU_DEP_2) | instskip(SKIP_3) | instid1(VALU_DEP_3)
	v_dual_add_f32 v9, v9, v25 :: v_dual_add_f32 v11, v11, v51
	v_dual_mul_f32 v31, v188, v117 :: v_dual_mul_f32 v33, v190, v119
	s_wait_loadcnt_dscnt 0x702
	v_dual_mul_f32 v25, v199, v127 :: v_dual_fma_f32 v13, v186, v114, -v13
	v_dual_fmac_f32 v29, v187, v114 :: v_dual_add_f32 v9, v9, v27
	v_dual_add_f32 v11, v11, v47 :: v_dual_mul_f32 v27, v201, v129
	v_fmac_f32_e32 v31, v189, v116
	s_delay_alu instid0(VALU_DEP_3) | instskip(NEXT) | instid1(VALU_DEP_3)
	v_dual_fma_f32 v15, v188, v116, -v15 :: v_dual_add_f32 v9, v9, v29
	v_add_f32_e32 v11, v11, v13
	v_dual_mul_f32 v35, v192, v121 :: v_dual_mul_f32 v37, v194, v123
	s_wait_loadcnt_dscnt 0x601
	v_dual_mul_f32 v13, v203, v131 :: v_dual_fma_f32 v17, v190, v118, -v17
	v_dual_fmac_f32 v33, v191, v118 :: v_dual_add_f32 v9, v9, v31
	v_dual_add_f32 v11, v11, v15 :: v_dual_mul_f32 v15, v205, v133
	v_fmac_f32_e32 v35, v193, v120
	s_delay_alu instid0(VALU_DEP_3) | instskip(NEXT) | instid1(VALU_DEP_3)
	v_dual_fma_f32 v19, v192, v120, -v19 :: v_dual_add_f32 v9, v9, v33
	v_add_f32_e32 v11, v11, v17
	v_dual_mul_f32 v39, v196, v125 :: v_dual_mul_f32 v41, v198, v127
	s_wait_loadcnt 0x5
	v_dual_mul_f32 v17, v151, v135 :: v_dual_fma_f32 v21, v194, v122, -v21
	v_dual_fmac_f32 v37, v195, v122 :: v_dual_add_f32 v9, v9, v35
	v_dual_add_f32 v11, v11, v19 :: v_dual_mov_b32 v94, v137
	v_fmac_f32_e32 v39, v197, v124
	s_delay_alu instid0(VALU_DEP_3) | instskip(NEXT) | instid1(VALU_DEP_3)
	v_dual_fma_f32 v19, v196, v124, -v23 :: v_dual_add_f32 v9, v9, v37
	v_add_f32_e32 v11, v11, v21
	v_dual_mul_f32 v43, v200, v129 :: v_dual_mul_f32 v45, v202, v131
	s_delay_alu instid0(VALU_DEP_3) | instskip(NEXT) | instid1(VALU_DEP_3)
	v_dual_fmac_f32 v41, v199, v126 :: v_dual_add_f32 v9, v9, v39
	v_dual_fma_f32 v21, v198, v126, -v25 :: v_dual_add_f32 v11, v11, v19
	s_wait_loadcnt 0x4
	v_dual_mov_b32 v98, v141 :: v_dual_fma_f32 v19, v200, v128, -v27
	v_fmac_f32_e32 v43, v201, v128
	v_dual_add_f32 v9, v9, v41 :: v_dual_fmac_f32 v45, v203, v130
	v_add_f32_e32 v11, v11, v21
	v_dual_mul_f32 v221, v204, v133 :: v_dual_mul_f32 v223, v150, v135
	s_delay_alu instid0(VALU_DEP_3) | instskip(NEXT) | instid1(VALU_DEP_2)
	v_dual_fma_f32 v13, v202, v130, -v13 :: v_dual_add_f32 v9, v9, v43
	v_dual_add_f32 v11, v11, v19 :: v_dual_fmac_f32 v221, v205, v132
	v_fma_f32 v220, v204, v132, -v15
	v_pk_mul_f32 v[94:95], v[212:213], v[94:95] op_sel_hi:[1,0]
	s_delay_alu instid0(VALU_DEP_4)
	v_add_f32_e32 v103, v9, v45
	s_wait_loadcnt 0x3
	v_dual_add_f32 v102, v11, v13 :: v_dual_mov_b32 v104, v145
	v_pk_mul_f32 v[96:97], v[154:155], v[138:139] op_sel:[1,1] op_sel_hi:[0,1]
	v_dual_fmac_f32 v223, v151, v134 :: v_dual_fma_f32 v222, v150, v134, -v17
	v_pk_fma_f32 v[106:107], v[152:153], v[136:137], v[94:95] op_sel_hi:[1,0,1]
	s_delay_alu instid0(VALU_DEP_4)
	v_pk_add_f32 v[102:103], v[102:103], v[220:221]
	v_pk_fma_f32 v[94:95], v[152:153], v[136:137], v[94:95] neg_lo:[0,0,1] neg_hi:[0,0,1]
	v_pk_fma_f32 v[108:109], v[154:155], v[138:139], v[96:97] op_sel_hi:[1,0,1]
	v_pk_mul_f32 v[98:99], v[214:215], v[98:99] op_sel_hi:[1,0]
	v_mov_b32_e32 v95, v107
	v_pk_add_f32 v[102:103], v[102:103], v[222:223]
	v_pk_fma_f32 v[96:97], v[154:155], v[138:139], v[96:97] neg_lo:[0,0,1] neg_hi:[0,0,1]
	v_pk_mul_f32 v[100:101], v[158:159], v[142:143] op_sel:[1,1] op_sel_hi:[0,1]
	v_mov_b32_e32 v97, v109
	v_pk_fma_f32 v[108:109], v[156:157], v[140:141], v[98:99] op_sel_hi:[1,0,1]
	v_pk_add_f32 v[94:95], v[102:103], v[94:95]
	v_pk_fma_f32 v[98:99], v[156:157], v[140:141], v[98:99] neg_lo:[0,0,1] neg_hi:[0,0,1]
	v_pk_fma_f32 v[102:103], v[158:159], v[142:143], v[100:101] op_sel_hi:[1,0,1]
	v_pk_mul_f32 v[104:105], v[216:217], v[104:105] op_sel_hi:[1,0]
	v_mov_b32_e32 v99, v109
	v_pk_add_f32 v[94:95], v[94:95], v[96:97]
	v_pk_fma_f32 v[100:101], v[158:159], v[142:143], v[100:101] neg_lo:[0,0,1] neg_hi:[0,0,1]
	s_wait_loadcnt 0x2
	v_pk_mul_f32 v[106:107], v[162:163], v[146:147] op_sel:[1,1] op_sel_hi:[0,1]
	v_dual_mov_b32 v96, v149 :: v_dual_mov_b32 v101, v103
	v_pk_fma_f32 v[102:103], v[160:161], v[144:145], v[104:105] op_sel_hi:[1,0,1]
	v_pk_add_f32 v[94:95], v[94:95], v[98:99]
	v_pk_fma_f32 v[104:105], v[160:161], v[144:145], v[104:105] neg_lo:[0,0,1] neg_hi:[0,0,1]
	v_pk_fma_f32 v[98:99], v[162:163], v[146:147], v[106:107] op_sel_hi:[1,0,1]
	v_pk_mul_f32 v[96:97], v[218:219], v[96:97] op_sel_hi:[1,0]
	v_mov_b32_e32 v105, v103
	v_pk_add_f32 v[94:95], v[94:95], v[100:101]
	v_pk_fma_f32 v[100:101], v[162:163], v[146:147], v[106:107] neg_lo:[0,0,1] neg_hi:[0,0,1]
	v_mov_b32_e32 v101, v99
	v_pk_fma_f32 v[98:99], v[164:165], v[148:149], v[96:97] op_sel_hi:[1,0,1]
	s_wait_loadcnt_dscnt 0x100
	v_pk_mul_f32 v[102:103], v[210:211], v[206:207] op_sel:[1,1] op_sel_hi:[0,1]
	v_pk_add_f32 v[94:95], v[94:95], v[104:105]
	v_pk_fma_f32 v[96:97], v[164:165], v[148:149], v[96:97] neg_lo:[0,0,1] neg_hi:[0,0,1]
	v_mov_b32_e32 v97, v99
	s_delay_alu instid0(VALU_DEP_4) | instskip(NEXT) | instid1(VALU_DEP_4)
	v_pk_fma_f32 v[98:99], v[210:211], v[206:207], v[102:103] op_sel_hi:[1,0,1]
	v_pk_add_f32 v[94:95], v[94:95], v[100:101]
	v_pk_fma_f32 v[100:101], v[210:211], v[206:207], v[102:103] neg_lo:[0,0,1] neg_hi:[0,0,1]
	s_delay_alu instid0(VALU_DEP_3) | instskip(NEXT) | instid1(VALU_DEP_3)
	v_mov_b32_e32 v101, v99
	v_pk_add_f32 v[94:95], v[94:95], v[96:97]
	s_delay_alu instid0(VALU_DEP_1) | instskip(SKIP_1) | instid1(VALU_DEP_1)
	v_pk_add_f32 v[94:95], v[94:95], v[100:101]
	s_wait_loadcnt 0x0
	v_pk_add_f32 v[94:95], v[208:209], v[94:95] neg_lo:[0,1] neg_hi:[0,1]
	scratch_store_b64 off, v[94:95], off offset:128
	s_wait_xcnt 0x0
	v_cmpx_lt_u32_e32 15, v0
	s_cbranch_execz .LBB109_259
; %bb.258:
	scratch_load_b64 v[94:95], off, off offset:120
	v_mov_b64_e32 v[96:97], 0
	scratch_store_b64 off, v[96:97], off offset:120
	s_wait_loadcnt 0x0
	ds_store_b64 v1, v[94:95]
.LBB109_259:
	s_wait_xcnt 0x0
	s_or_b32 exec_lo, exec_lo, s0
	s_wait_storecnt_dscnt 0x0
	s_barrier_signal -1
	s_barrier_wait -1
	s_clause 0xf
	scratch_load_b128 v[94:97], off, off offset:128
	scratch_load_b128 v[98:101], off, off offset:144
	;; [unrolled: 1-line block ×15, first 2 shown]
	scratch_load_b64 v[214:215], off, off offset:120
	ds_load_b128 v[154:157], v7 offset:672
	ds_load_b128 v[158:161], v7 offset:688
	;; [unrolled: 1-line block ×15, first 2 shown]
	s_mov_b32 s0, exec_lo
	s_wait_dscnt 0xe
	v_dual_mov_b32 v216, v157 :: v_dual_mov_b32 v217, v156
	s_wait_dscnt 0xd
	v_dual_mov_b32 v218, v161 :: v_dual_mov_b32 v219, v160
	;; [unrolled: 2-line block ×4, first 2 shown]
	s_wait_loadcnt_dscnt 0xf0a
	v_dual_mul_f32 v7, v170, v95 :: v_dual_mul_f32 v9, v172, v97
	v_dual_mul_f32 v47, v171, v95 :: v_dual_mul_f32 v49, v173, v97
	s_wait_loadcnt_dscnt 0xe09
	v_dual_mul_f32 v11, v174, v99 :: v_dual_mul_f32 v13, v176, v101
	s_delay_alu instid0(VALU_DEP_3) | instskip(SKIP_3) | instid1(VALU_DEP_3)
	v_dual_fmac_f32 v7, v171, v94 :: v_dual_fmac_f32 v9, v173, v96
	s_wait_loadcnt_dscnt 0xc06
	v_dual_fma_f32 v47, v170, v94, -v47 :: v_dual_mul_f32 v59, v187, v107
	v_dual_mul_f32 v51, v175, v99 :: v_dual_mul_f32 v53, v177, v101
	v_dual_fma_f32 v49, v172, v96, -v49 :: v_dual_add_f32 v7, 0, v7
	s_delay_alu instid0(VALU_DEP_3) | instskip(SKIP_1) | instid1(VALU_DEP_3)
	v_dual_add_f32 v47, 0, v47 :: v_dual_mul_f32 v61, v189, v109
	v_dual_fmac_f32 v11, v175, v98 :: v_dual_fmac_f32 v13, v177, v100
	v_dual_fma_f32 v51, v174, v98, -v51 :: v_dual_add_f32 v7, v7, v9
	s_delay_alu instid0(VALU_DEP_3) | instskip(SKIP_2) | instid1(VALU_DEP_4)
	v_dual_add_f32 v9, v47, v49 :: v_dual_fma_f32 v49, v176, v100, -v53
	v_dual_mul_f32 v15, v182, v103 :: v_dual_mul_f32 v17, v184, v105
	v_dual_mul_f32 v55, v183, v103 :: v_dual_mul_f32 v57, v185, v105
	v_add_f32_e32 v7, v7, v11
	s_delay_alu instid0(VALU_DEP_3) | instskip(NEXT) | instid1(VALU_DEP_3)
	v_dual_add_f32 v9, v9, v51 :: v_dual_fmac_f32 v15, v183, v102
	v_fma_f32 v51, v182, v102, -v55
	v_dual_mul_f32 v19, v186, v107 :: v_dual_mul_f32 v21, v188, v109
	s_delay_alu instid0(VALU_DEP_4) | instskip(SKIP_2) | instid1(VALU_DEP_2)
	v_dual_add_f32 v7, v7, v13 :: v_dual_fmac_f32 v17, v185, v104
	s_wait_loadcnt_dscnt 0xa04
	v_dual_add_f32 v9, v9, v49 :: v_dual_mul_f32 v13, v195, v115
	v_dual_fma_f32 v49, v184, v104, -v57 :: v_dual_add_f32 v7, v7, v15
	v_mul_f32_e32 v15, v197, v117
	s_delay_alu instid0(VALU_DEP_3) | instskip(NEXT) | instid1(VALU_DEP_3)
	v_dual_add_f32 v9, v9, v51 :: v_dual_fmac_f32 v19, v187, v106
	v_dual_fma_f32 v51, v186, v106, -v59 :: v_dual_add_f32 v7, v7, v17
	v_fmac_f32_e32 v21, v189, v108
	s_wait_loadcnt_dscnt 0x903
	s_delay_alu instid0(VALU_DEP_3) | instskip(SKIP_3) | instid1(VALU_DEP_3)
	v_dual_add_f32 v9, v9, v49 :: v_dual_mul_f32 v17, v199, v119
	v_dual_mul_f32 v23, v190, v111 :: v_dual_mul_f32 v25, v192, v113
	v_dual_mul_f32 v47, v191, v111 :: v_dual_mul_f32 v11, v193, v113
	v_dual_fma_f32 v49, v188, v108, -v61 :: v_dual_add_f32 v7, v7, v19
	v_dual_add_f32 v9, v9, v51 :: v_dual_fmac_f32 v23, v191, v110
	s_delay_alu instid0(VALU_DEP_3) | instskip(NEXT) | instid1(VALU_DEP_3)
	v_dual_mul_f32 v19, v201, v121 :: v_dual_fma_f32 v47, v190, v110, -v47
	v_dual_add_f32 v7, v7, v21 :: v_dual_fmac_f32 v25, v193, v112
	s_wait_loadcnt_dscnt 0x802
	s_delay_alu instid0(VALU_DEP_3) | instskip(SKIP_1) | instid1(VALU_DEP_3)
	v_dual_add_f32 v9, v9, v49 :: v_dual_mul_f32 v21, v203, v123
	v_dual_mul_f32 v27, v194, v115 :: v_dual_mul_f32 v29, v196, v117
	v_dual_fma_f32 v11, v192, v112, -v11 :: v_dual_add_f32 v7, v7, v23
	s_delay_alu instid0(VALU_DEP_2) | instskip(SKIP_1) | instid1(VALU_DEP_2)
	v_dual_add_f32 v9, v9, v47 :: v_dual_fmac_f32 v27, v195, v114
	v_dual_mul_f32 v23, v205, v125 :: v_dual_fma_f32 v13, v194, v114, -v13
	v_dual_add_f32 v7, v7, v25 :: v_dual_add_f32 v9, v9, v11
	v_dual_mul_f32 v31, v198, v119 :: v_dual_mul_f32 v33, v200, v121
	s_wait_loadcnt_dscnt 0x701
	v_dual_mul_f32 v11, v207, v127 :: v_dual_fmac_f32 v29, v197, v116
	s_delay_alu instid0(VALU_DEP_3) | instskip(NEXT) | instid1(VALU_DEP_3)
	v_dual_fma_f32 v15, v196, v116, -v15 :: v_dual_add_f32 v7, v7, v27
	v_dual_add_f32 v9, v9, v13 :: v_dual_fmac_f32 v31, v199, v118
	v_dual_mul_f32 v13, v209, v129 :: v_dual_fma_f32 v17, v198, v118, -v17
	s_delay_alu instid0(VALU_DEP_2) | instskip(SKIP_3) | instid1(VALU_DEP_3)
	v_dual_add_f32 v7, v7, v29 :: v_dual_add_f32 v9, v9, v15
	v_dual_mul_f32 v35, v202, v123 :: v_dual_mul_f32 v37, v204, v125
	s_wait_loadcnt_dscnt 0x600
	v_dual_mul_f32 v15, v211, v131 :: v_dual_fmac_f32 v33, v201, v120
	v_dual_fma_f32 v19, v200, v120, -v19 :: v_dual_add_f32 v7, v7, v31
	s_delay_alu instid0(VALU_DEP_3) | instskip(SKIP_1) | instid1(VALU_DEP_2)
	v_dual_add_f32 v9, v9, v17 :: v_dual_fmac_f32 v35, v203, v122
	v_dual_mul_f32 v17, v213, v133 :: v_dual_fma_f32 v21, v202, v122, -v21
	v_dual_add_f32 v7, v7, v33 :: v_dual_add_f32 v9, v9, v19
	v_dual_mul_f32 v39, v206, v127 :: v_dual_mul_f32 v41, v208, v129
	s_wait_loadcnt 0x5
	v_dual_mul_f32 v19, v179, v135 :: v_dual_fmac_f32 v37, v205, v124
	s_delay_alu instid0(VALU_DEP_3) | instskip(NEXT) | instid1(VALU_DEP_3)
	v_dual_fma_f32 v23, v204, v124, -v23 :: v_dual_add_f32 v7, v7, v35
	v_dual_add_f32 v9, v9, v21 :: v_dual_fmac_f32 v39, v207, v126
	v_dual_mul_f32 v21, v181, v137 :: v_dual_fma_f32 v11, v206, v126, -v11
	s_delay_alu instid0(VALU_DEP_2) | instskip(SKIP_1) | instid1(VALU_DEP_2)
	v_dual_add_f32 v7, v7, v37 :: v_dual_add_f32 v9, v9, v23
	v_dual_mul_f32 v43, v210, v131 :: v_dual_mul_f32 v45, v212, v133
	v_dual_fmac_f32 v41, v209, v128 :: v_dual_add_f32 v7, v7, v39
	s_delay_alu instid0(VALU_DEP_3) | instskip(SKIP_1) | instid1(VALU_DEP_3)
	v_dual_fma_f32 v13, v208, v128, -v13 :: v_dual_add_f32 v9, v9, v11
	s_wait_loadcnt 0x4
	v_dual_mov_b32 v96, v141 :: v_dual_fmac_f32 v43, v211, v130
	s_delay_alu instid0(VALU_DEP_3) | instskip(NEXT) | instid1(VALU_DEP_3)
	v_dual_fma_f32 v11, v210, v130, -v15 :: v_dual_add_f32 v7, v7, v41
	v_dual_add_f32 v9, v9, v13 :: v_dual_fma_f32 v13, v212, v132, -v17
	v_dual_mul_f32 v225, v178, v135 :: v_dual_mul_f32 v227, v180, v137
	s_delay_alu instid0(VALU_DEP_3) | instskip(NEXT) | instid1(VALU_DEP_2)
	v_dual_fmac_f32 v45, v213, v132 :: v_dual_add_f32 v7, v7, v43
	v_dual_add_f32 v9, v9, v11 :: v_dual_fmac_f32 v225, v179, v134
	v_pk_mul_f32 v[94:95], v[154:155], v[138:139] op_sel:[1,1] op_sel_hi:[0,1]
	s_wait_loadcnt 0x3
	v_dual_mov_b32 v100, v145 :: v_dual_fma_f32 v224, v178, v134, -v19
	v_dual_add_f32 v103, v7, v45 :: v_dual_fmac_f32 v227, v181, v136
	v_dual_add_f32 v102, v9, v13 :: v_dual_fma_f32 v226, v180, v136, -v21
	v_pk_fma_f32 v[104:105], v[154:155], v[138:139], v[94:95] op_sel_hi:[1,0,1]
	v_pk_mul_f32 v[96:97], v[216:217], v[96:97] op_sel_hi:[1,0]
	v_pk_fma_f32 v[94:95], v[154:155], v[138:139], v[94:95] neg_lo:[0,0,1] neg_hi:[0,0,1]
	s_delay_alu instid0(VALU_DEP_4)
	v_pk_add_f32 v[102:103], v[102:103], v[224:225]
	v_pk_mul_f32 v[98:99], v[158:159], v[142:143] op_sel:[1,1] op_sel_hi:[0,1]
	v_mov_b32_e32 v95, v105
	v_pk_fma_f32 v[104:105], v[156:157], v[140:141], v[96:97] op_sel_hi:[1,0,1]
	v_pk_fma_f32 v[96:97], v[156:157], v[140:141], v[96:97] neg_lo:[0,0,1] neg_hi:[0,0,1]
	v_pk_add_f32 v[102:103], v[102:103], v[226:227]
	v_pk_fma_f32 v[108:109], v[158:159], v[142:143], v[98:99] op_sel_hi:[1,0,1]
	v_pk_mul_f32 v[100:101], v[218:219], v[100:101] op_sel_hi:[1,0]
	v_mov_b32_e32 v97, v105
	s_wait_loadcnt 0x2
	v_pk_mul_f32 v[106:107], v[162:163], v[146:147] op_sel:[1,1] op_sel_hi:[0,1]
	v_pk_add_f32 v[94:95], v[102:103], v[94:95]
	v_mov_b32_e32 v102, v149
	v_pk_fma_f32 v[98:99], v[158:159], v[142:143], v[98:99] neg_lo:[0,0,1] neg_hi:[0,0,1]
	v_mov_b32_e32 v99, v109
	v_pk_fma_f32 v[104:105], v[160:161], v[144:145], v[100:101] op_sel_hi:[1,0,1]
	v_pk_add_f32 v[94:95], v[94:95], v[96:97]
	v_pk_fma_f32 v[96:97], v[162:163], v[146:147], v[106:107] op_sel_hi:[1,0,1]
	v_pk_mul_f32 v[102:103], v[220:221], v[102:103] op_sel_hi:[1,0]
	v_pk_fma_f32 v[100:101], v[160:161], v[144:145], v[100:101] neg_lo:[0,0,1] neg_hi:[0,0,1]
	v_mov_b32_e32 v101, v105
	v_pk_add_f32 v[94:95], v[94:95], v[98:99]
	v_pk_fma_f32 v[104:105], v[162:163], v[146:147], v[106:107] neg_lo:[0,0,1] neg_hi:[0,0,1]
	v_mov_b32_e32 v105, v97
	v_pk_fma_f32 v[96:97], v[164:165], v[148:149], v[102:103] op_sel_hi:[1,0,1]
	s_wait_loadcnt 0x1
	v_pk_mul_f32 v[98:99], v[166:167], v[150:151] op_sel:[1,1] op_sel_hi:[0,1]
	v_pk_add_f32 v[94:95], v[94:95], v[100:101]
	v_mov_b32_e32 v96, v153
	v_pk_fma_f32 v[102:103], v[164:165], v[148:149], v[102:103] neg_lo:[0,0,1] neg_hi:[0,0,1]
	v_mov_b32_e32 v103, v97
	v_pk_fma_f32 v[100:101], v[166:167], v[150:151], v[98:99] op_sel_hi:[1,0,1]
	v_pk_add_f32 v[94:95], v[94:95], v[104:105]
	v_pk_mul_f32 v[96:97], v[222:223], v[96:97] op_sel_hi:[1,0]
	v_pk_fma_f32 v[98:99], v[166:167], v[150:151], v[98:99] neg_lo:[0,0,1] neg_hi:[0,0,1]
	s_delay_alu instid0(VALU_DEP_4) | instskip(NEXT) | instid1(VALU_DEP_4)
	v_mov_b32_e32 v99, v101
	v_pk_add_f32 v[94:95], v[94:95], v[102:103]
	s_delay_alu instid0(VALU_DEP_4) | instskip(SKIP_1) | instid1(VALU_DEP_2)
	v_pk_fma_f32 v[100:101], v[168:169], v[152:153], v[96:97] op_sel_hi:[1,0,1]
	v_pk_fma_f32 v[96:97], v[168:169], v[152:153], v[96:97] neg_lo:[0,0,1] neg_hi:[0,0,1]
	v_mov_b32_e32 v97, v101
	s_delay_alu instid0(VALU_DEP_4) | instskip(NEXT) | instid1(VALU_DEP_1)
	v_pk_add_f32 v[94:95], v[94:95], v[98:99]
	v_pk_add_f32 v[94:95], v[94:95], v[96:97]
	s_wait_loadcnt 0x0
	s_delay_alu instid0(VALU_DEP_1)
	v_pk_add_f32 v[94:95], v[214:215], v[94:95] neg_lo:[0,1] neg_hi:[0,1]
	scratch_store_b64 off, v[94:95], off offset:120
	s_wait_xcnt 0x0
	v_cmpx_lt_u32_e32 14, v0
	s_cbranch_execz .LBB109_261
; %bb.260:
	scratch_load_b64 v[94:95], off, off offset:112
	v_mov_b64_e32 v[96:97], 0
	scratch_store_b64 off, v[96:97], off offset:112
	s_wait_loadcnt 0x0
	ds_store_b64 v1, v[94:95]
.LBB109_261:
	s_wait_xcnt 0x0
	s_or_b32 exec_lo, exec_lo, s0
	s_wait_storecnt_dscnt 0x0
	s_barrier_signal -1
	s_barrier_wait -1
	s_clause 0x10
	scratch_load_b128 v[94:97], off, off offset:120
	scratch_load_b128 v[98:101], off, off offset:136
	;; [unrolled: 1-line block ×15, first 2 shown]
	scratch_load_b64 v[214:215], off, off offset:360
	scratch_load_b64 v[216:217], off, off offset:112
	v_mov_b32_e32 v7, 0
	ds_load_2addr_b64 v[154:157], v7 offset0:83 offset1:84
	ds_load_2addr_b64 v[158:161], v7 offset0:85 offset1:86
	ds_load_2addr_b64 v[162:165], v7 offset0:87 offset1:88
	ds_load_2addr_b64 v[166:169], v7 offset0:89 offset1:90
	ds_load_2addr_b64 v[170:173], v7 offset0:61 offset1:62
	ds_load_2addr_b64 v[174:177], v7 offset0:81 offset1:82
	ds_load_2addr_b64 v[178:181], v7 offset0:63 offset1:64
	ds_load_2addr_b64 v[182:185], v7 offset0:65 offset1:66
	ds_load_2addr_b64 v[186:189], v7 offset0:67 offset1:68
	ds_load_2addr_b64 v[190:193], v7 offset0:69 offset1:70
	ds_load_2addr_b64 v[194:197], v7 offset0:71 offset1:72
	ds_load_2addr_b64 v[198:201], v7 offset0:73 offset1:74
	ds_load_2addr_b64 v[202:205], v7 offset0:75 offset1:76
	ds_load_2addr_b64 v[206:209], v7 offset0:77 offset1:78
	ds_load_2addr_b64 v[210:213], v7 offset0:79 offset1:80
	ds_load_b64 v[218:219], v7 offset:728
	s_mov_b32 s0, exec_lo
	s_wait_dscnt 0xf
	v_dual_mov_b32 v220, v157 :: v_dual_mov_b32 v221, v156
	s_wait_dscnt 0xc
	v_dual_mov_b32 v222, v161 :: v_dual_mov_b32 v227, v168
	v_dual_mov_b32 v223, v160 :: v_dual_mov_b32 v224, v165
	;; [unrolled: 1-line block ×3, first 2 shown]
	s_wait_loadcnt_dscnt 0x100b
	v_dual_mul_f32 v9, v170, v95 :: v_dual_mul_f32 v51, v171, v95
	v_dual_mul_f32 v53, v173, v97 :: v_dual_mul_f32 v11, v172, v97
	s_wait_loadcnt_dscnt 0xf09
	v_mul_f32_e32 v13, v178, v99
	s_wait_loadcnt_dscnt 0xd07
	v_dual_mul_f32 v63, v187, v107 :: v_dual_fma_f32 v51, v170, v94, -v51
	v_dual_fmac_f32 v9, v171, v94 :: v_dual_mul_f32 v65, v189, v109
	v_dual_mul_f32 v55, v179, v99 :: v_dual_mul_f32 v57, v181, v101
	v_dual_fmac_f32 v11, v173, v96 :: v_dual_fma_f32 v53, v172, v96, -v53
	s_delay_alu instid0(VALU_DEP_3) | instskip(SKIP_3) | instid1(VALU_DEP_3)
	v_dual_add_f32 v9, 0, v9 :: v_dual_add_f32 v51, 0, v51
	v_dual_mul_f32 v15, v180, v101 :: v_dual_mul_f32 v17, v182, v103
	s_wait_loadcnt_dscnt 0xc06
	v_dual_mul_f32 v67, v191, v111 :: v_dual_fma_f32 v55, v178, v98, -v55
	v_dual_fmac_f32 v13, v179, v98 :: v_dual_add_f32 v9, v9, v11
	s_delay_alu instid0(VALU_DEP_3) | instskip(SKIP_2) | instid1(VALU_DEP_3)
	v_dual_add_f32 v11, v51, v53 :: v_dual_fmac_f32 v15, v181, v100
	v_dual_mul_f32 v59, v183, v103 :: v_dual_mul_f32 v61, v185, v105
	v_dual_mul_f32 v51, v193, v113 :: v_dual_fma_f32 v53, v180, v100, -v57
	v_dual_add_f32 v9, v9, v13 :: v_dual_add_f32 v11, v11, v55
	v_dual_mul_f32 v19, v184, v105 :: v_dual_mul_f32 v21, v186, v107
	s_wait_loadcnt_dscnt 0xb05
	v_dual_mul_f32 v13, v195, v115 :: v_dual_fma_f32 v55, v182, v102, -v59
	s_delay_alu instid0(VALU_DEP_3) | instskip(NEXT) | instid1(VALU_DEP_3)
	v_dual_fmac_f32 v17, v183, v102 :: v_dual_add_f32 v9, v9, v15
	v_dual_add_f32 v11, v11, v53 :: v_dual_fmac_f32 v19, v185, v104
	v_dual_mul_f32 v15, v197, v117 :: v_dual_fma_f32 v53, v184, v104, -v61
	s_delay_alu instid0(VALU_DEP_2) | instskip(SKIP_3) | instid1(VALU_DEP_3)
	v_dual_add_f32 v9, v9, v17 :: v_dual_add_f32 v11, v11, v55
	v_dual_mul_f32 v23, v188, v109 :: v_dual_mul_f32 v25, v190, v111
	s_wait_loadcnt_dscnt 0xa04
	v_dual_mul_f32 v17, v199, v119 :: v_dual_fma_f32 v55, v186, v106, -v63
	v_dual_fmac_f32 v21, v187, v106 :: v_dual_add_f32 v9, v9, v19
	s_delay_alu instid0(VALU_DEP_3) | instskip(SKIP_1) | instid1(VALU_DEP_2)
	v_dual_add_f32 v11, v11, v53 :: v_dual_fmac_f32 v23, v189, v108
	v_dual_mul_f32 v19, v201, v121 :: v_dual_fma_f32 v53, v188, v108, -v65
	v_dual_add_f32 v9, v9, v21 :: v_dual_add_f32 v11, v11, v55
	v_dual_mul_f32 v27, v192, v113 :: v_dual_mul_f32 v29, v194, v115
	s_wait_loadcnt_dscnt 0x903
	v_dual_mul_f32 v21, v203, v123 :: v_dual_fma_f32 v55, v190, v110, -v67
	s_delay_alu instid0(VALU_DEP_3) | instskip(NEXT) | instid1(VALU_DEP_3)
	v_dual_fmac_f32 v25, v191, v110 :: v_dual_add_f32 v9, v9, v23
	v_dual_add_f32 v11, v11, v53 :: v_dual_fmac_f32 v27, v193, v112
	v_dual_mul_f32 v23, v205, v125 :: v_dual_fma_f32 v51, v192, v112, -v51
	s_delay_alu instid0(VALU_DEP_2) | instskip(SKIP_3) | instid1(VALU_DEP_3)
	v_dual_add_f32 v9, v9, v25 :: v_dual_add_f32 v11, v11, v55
	v_dual_mul_f32 v31, v196, v117 :: v_dual_mul_f32 v33, v198, v119
	s_wait_loadcnt_dscnt 0x802
	v_dual_mul_f32 v25, v207, v127 :: v_dual_fma_f32 v13, v194, v114, -v13
	v_dual_fmac_f32 v29, v195, v114 :: v_dual_add_f32 v9, v9, v27
	v_dual_add_f32 v11, v11, v51 :: v_dual_mul_f32 v27, v209, v129
	v_fmac_f32_e32 v31, v197, v116
	s_delay_alu instid0(VALU_DEP_3) | instskip(NEXT) | instid1(VALU_DEP_3)
	v_dual_fma_f32 v15, v196, v116, -v15 :: v_dual_add_f32 v9, v9, v29
	v_add_f32_e32 v11, v11, v13
	v_dual_mul_f32 v35, v200, v121 :: v_dual_mul_f32 v37, v202, v123
	s_wait_loadcnt_dscnt 0x701
	v_dual_mul_f32 v13, v211, v131 :: v_dual_fma_f32 v17, v198, v118, -v17
	v_dual_fmac_f32 v33, v199, v118 :: v_dual_add_f32 v9, v9, v31
	v_dual_add_f32 v11, v11, v15 :: v_dual_mul_f32 v15, v213, v133
	v_fmac_f32_e32 v35, v201, v120
	s_delay_alu instid0(VALU_DEP_3) | instskip(NEXT) | instid1(VALU_DEP_3)
	v_dual_fma_f32 v19, v200, v120, -v19 :: v_dual_add_f32 v9, v9, v33
	v_add_f32_e32 v11, v11, v17
	v_dual_mul_f32 v39, v204, v125 :: v_dual_mul_f32 v41, v206, v127
	s_wait_loadcnt 0x6
	v_dual_mul_f32 v17, v175, v135 :: v_dual_fma_f32 v21, v202, v122, -v21
	v_dual_fmac_f32 v37, v203, v122 :: v_dual_add_f32 v9, v9, v35
	v_dual_add_f32 v11, v11, v19 :: v_dual_mul_f32 v19, v177, v137
	v_fmac_f32_e32 v39, v205, v124
	s_delay_alu instid0(VALU_DEP_3) | instskip(NEXT) | instid1(VALU_DEP_3)
	v_dual_fma_f32 v23, v204, v124, -v23 :: v_dual_add_f32 v9, v9, v37
	v_add_f32_e32 v11, v11, v21
	v_dual_mul_f32 v43, v208, v129 :: v_dual_mul_f32 v45, v210, v131
	s_wait_loadcnt 0x5
	v_dual_mul_f32 v21, v155, v139 :: v_dual_fma_f32 v25, v206, v126, -v25
	v_dual_fmac_f32 v41, v207, v126 :: v_dual_add_f32 v9, v9, v39
	v_dual_add_f32 v11, v11, v23 :: v_dual_mov_b32 v94, v141
	v_fmac_f32_e32 v43, v209, v128
	s_delay_alu instid0(VALU_DEP_3) | instskip(NEXT) | instid1(VALU_DEP_3)
	v_dual_fma_f32 v23, v208, v128, -v27 :: v_dual_add_f32 v9, v9, v41
	v_add_f32_e32 v11, v11, v25
	v_dual_mul_f32 v47, v212, v133 :: v_dual_mul_f32 v49, v174, v135
	s_delay_alu instid0(VALU_DEP_3) | instskip(NEXT) | instid1(VALU_DEP_3)
	v_dual_fmac_f32 v45, v211, v130 :: v_dual_add_f32 v9, v9, v43
	v_dual_fma_f32 v13, v210, v130, -v13 :: v_dual_add_f32 v11, v11, v23
	s_wait_loadcnt 0x4
	v_dual_mov_b32 v98, v145 :: v_dual_fma_f32 v15, v212, v132, -v15
	v_fmac_f32_e32 v47, v213, v132
	v_dual_add_f32 v9, v9, v45 :: v_dual_fmac_f32 v49, v175, v134
	v_add_f32_e32 v11, v11, v13
	v_dual_mul_f32 v229, v176, v137 :: v_dual_mul_f32 v231, v154, v139
	s_delay_alu instid0(VALU_DEP_3) | instskip(NEXT) | instid1(VALU_DEP_2)
	v_dual_fma_f32 v13, v174, v134, -v17 :: v_dual_add_f32 v9, v9, v47
	v_dual_add_f32 v11, v11, v15 :: v_dual_fmac_f32 v229, v177, v136
	v_fma_f32 v228, v176, v136, -v19
	v_pk_mul_f32 v[94:95], v[220:221], v[94:95] op_sel_hi:[1,0]
	s_delay_alu instid0(VALU_DEP_4)
	v_add_f32_e32 v103, v9, v49
	s_wait_loadcnt 0x3
	v_dual_add_f32 v102, v11, v13 :: v_dual_mov_b32 v104, v149
	v_pk_mul_f32 v[96:97], v[158:159], v[142:143] op_sel:[1,1] op_sel_hi:[0,1]
	v_dual_fmac_f32 v231, v155, v138 :: v_dual_fma_f32 v230, v154, v138, -v21
	v_pk_fma_f32 v[106:107], v[156:157], v[140:141], v[94:95] op_sel_hi:[1,0,1]
	s_delay_alu instid0(VALU_DEP_4)
	v_pk_add_f32 v[102:103], v[102:103], v[228:229]
	v_pk_fma_f32 v[94:95], v[156:157], v[140:141], v[94:95] neg_lo:[0,0,1] neg_hi:[0,0,1]
	v_pk_fma_f32 v[108:109], v[158:159], v[142:143], v[96:97] op_sel_hi:[1,0,1]
	v_pk_mul_f32 v[98:99], v[222:223], v[98:99] op_sel_hi:[1,0]
	v_mov_b32_e32 v95, v107
	v_pk_add_f32 v[102:103], v[102:103], v[230:231]
	v_pk_fma_f32 v[96:97], v[158:159], v[142:143], v[96:97] neg_lo:[0,0,1] neg_hi:[0,0,1]
	v_pk_mul_f32 v[100:101], v[162:163], v[146:147] op_sel:[1,1] op_sel_hi:[0,1]
	v_mov_b32_e32 v97, v109
	v_pk_fma_f32 v[108:109], v[160:161], v[144:145], v[98:99] op_sel_hi:[1,0,1]
	v_pk_add_f32 v[94:95], v[102:103], v[94:95]
	v_pk_fma_f32 v[98:99], v[160:161], v[144:145], v[98:99] neg_lo:[0,0,1] neg_hi:[0,0,1]
	v_pk_fma_f32 v[102:103], v[162:163], v[146:147], v[100:101] op_sel_hi:[1,0,1]
	v_pk_mul_f32 v[104:105], v[224:225], v[104:105] op_sel_hi:[1,0]
	v_mov_b32_e32 v99, v109
	v_pk_add_f32 v[94:95], v[94:95], v[96:97]
	v_pk_fma_f32 v[100:101], v[162:163], v[146:147], v[100:101] neg_lo:[0,0,1] neg_hi:[0,0,1]
	s_wait_loadcnt 0x2
	v_pk_mul_f32 v[106:107], v[166:167], v[150:151] op_sel:[1,1] op_sel_hi:[0,1]
	v_dual_mov_b32 v96, v153 :: v_dual_mov_b32 v101, v103
	v_pk_fma_f32 v[102:103], v[164:165], v[148:149], v[104:105] op_sel_hi:[1,0,1]
	v_pk_add_f32 v[94:95], v[94:95], v[98:99]
	v_pk_fma_f32 v[104:105], v[164:165], v[148:149], v[104:105] neg_lo:[0,0,1] neg_hi:[0,0,1]
	v_pk_fma_f32 v[98:99], v[166:167], v[150:151], v[106:107] op_sel_hi:[1,0,1]
	v_pk_mul_f32 v[96:97], v[226:227], v[96:97] op_sel_hi:[1,0]
	v_mov_b32_e32 v105, v103
	v_pk_add_f32 v[94:95], v[94:95], v[100:101]
	v_pk_fma_f32 v[100:101], v[166:167], v[150:151], v[106:107] neg_lo:[0,0,1] neg_hi:[0,0,1]
	v_mov_b32_e32 v101, v99
	v_pk_fma_f32 v[98:99], v[168:169], v[152:153], v[96:97] op_sel_hi:[1,0,1]
	s_wait_loadcnt_dscnt 0x100
	v_pk_mul_f32 v[102:103], v[218:219], v[214:215] op_sel:[1,1] op_sel_hi:[0,1]
	v_pk_add_f32 v[94:95], v[94:95], v[104:105]
	v_pk_fma_f32 v[96:97], v[168:169], v[152:153], v[96:97] neg_lo:[0,0,1] neg_hi:[0,0,1]
	v_mov_b32_e32 v97, v99
	s_delay_alu instid0(VALU_DEP_4) | instskip(NEXT) | instid1(VALU_DEP_4)
	v_pk_fma_f32 v[98:99], v[218:219], v[214:215], v[102:103] op_sel_hi:[1,0,1]
	v_pk_add_f32 v[94:95], v[94:95], v[100:101]
	v_pk_fma_f32 v[100:101], v[218:219], v[214:215], v[102:103] neg_lo:[0,0,1] neg_hi:[0,0,1]
	s_delay_alu instid0(VALU_DEP_3) | instskip(NEXT) | instid1(VALU_DEP_3)
	v_mov_b32_e32 v101, v99
	v_pk_add_f32 v[94:95], v[94:95], v[96:97]
	s_delay_alu instid0(VALU_DEP_1) | instskip(SKIP_1) | instid1(VALU_DEP_1)
	v_pk_add_f32 v[94:95], v[94:95], v[100:101]
	s_wait_loadcnt 0x0
	v_pk_add_f32 v[94:95], v[216:217], v[94:95] neg_lo:[0,1] neg_hi:[0,1]
	scratch_store_b64 off, v[94:95], off offset:112
	s_wait_xcnt 0x0
	v_cmpx_lt_u32_e32 13, v0
	s_cbranch_execz .LBB109_263
; %bb.262:
	scratch_load_b64 v[94:95], off, off offset:104
	v_mov_b64_e32 v[96:97], 0
	scratch_store_b64 off, v[96:97], off offset:104
	s_wait_loadcnt 0x0
	ds_store_b64 v1, v[94:95]
.LBB109_263:
	s_wait_xcnt 0x0
	s_or_b32 exec_lo, exec_lo, s0
	s_wait_storecnt_dscnt 0x0
	s_barrier_signal -1
	s_barrier_wait -1
	s_clause 0x10
	scratch_load_b128 v[94:97], off, off offset:112
	scratch_load_b128 v[98:101], off, off offset:128
	;; [unrolled: 1-line block ×16, first 2 shown]
	scratch_load_b64 v[222:223], off, off offset:104
	ds_load_b128 v[158:161], v7 offset:672
	ds_load_b128 v[162:165], v7 offset:688
	;; [unrolled: 1-line block ×16, first 2 shown]
	s_mov_b32 s0, exec_lo
	s_wait_dscnt 0xf
	v_dual_mov_b32 v224, v161 :: v_dual_mov_b32 v225, v160
	s_wait_dscnt 0xe
	v_dual_mov_b32 v226, v165 :: v_dual_mov_b32 v227, v164
	;; [unrolled: 2-line block ×4, first 2 shown]
	s_wait_loadcnt_dscnt 0x100b
	v_dual_mul_f32 v7, v174, v95 :: v_dual_mul_f32 v9, v176, v97
	v_dual_mul_f32 v51, v175, v95 :: v_dual_mul_f32 v53, v177, v97
	s_wait_loadcnt_dscnt 0xf0a
	v_dual_mul_f32 v11, v178, v99 :: v_dual_mul_f32 v13, v180, v101
	s_delay_alu instid0(VALU_DEP_3) | instskip(SKIP_3) | instid1(VALU_DEP_3)
	v_dual_fmac_f32 v7, v175, v94 :: v_dual_fmac_f32 v9, v177, v96
	s_wait_loadcnt_dscnt 0xd08
	v_dual_fma_f32 v51, v174, v94, -v51 :: v_dual_mul_f32 v63, v187, v107
	v_dual_mul_f32 v55, v179, v99 :: v_dual_mul_f32 v57, v181, v101
	v_dual_fma_f32 v53, v176, v96, -v53 :: v_dual_add_f32 v7, 0, v7
	s_delay_alu instid0(VALU_DEP_3) | instskip(SKIP_1) | instid1(VALU_DEP_3)
	v_dual_add_f32 v51, 0, v51 :: v_dual_mul_f32 v65, v189, v109
	v_dual_fmac_f32 v11, v179, v98 :: v_dual_fmac_f32 v13, v181, v100
	v_dual_fma_f32 v55, v178, v98, -v55 :: v_dual_add_f32 v7, v7, v9
	s_delay_alu instid0(VALU_DEP_3) | instskip(SKIP_2) | instid1(VALU_DEP_4)
	v_dual_add_f32 v9, v51, v53 :: v_dual_fma_f32 v53, v180, v100, -v57
	v_dual_mul_f32 v15, v182, v103 :: v_dual_mul_f32 v17, v184, v105
	v_dual_mul_f32 v59, v183, v103 :: v_dual_mul_f32 v61, v185, v105
	v_add_f32_e32 v7, v7, v11
	s_delay_alu instid0(VALU_DEP_3) | instskip(NEXT) | instid1(VALU_DEP_3)
	v_dual_add_f32 v9, v9, v55 :: v_dual_fmac_f32 v15, v183, v102
	v_fma_f32 v55, v182, v102, -v59
	v_dual_mul_f32 v19, v186, v107 :: v_dual_mul_f32 v21, v188, v109
	s_delay_alu instid0(VALU_DEP_4) | instskip(SKIP_2) | instid1(VALU_DEP_2)
	v_dual_add_f32 v7, v7, v13 :: v_dual_fmac_f32 v17, v185, v104
	s_wait_loadcnt_dscnt 0xb06
	v_dual_add_f32 v9, v9, v53 :: v_dual_mul_f32 v13, v195, v115
	v_dual_fma_f32 v53, v184, v104, -v61 :: v_dual_add_f32 v7, v7, v15
	v_mul_f32_e32 v15, v197, v117
	s_delay_alu instid0(VALU_DEP_3) | instskip(NEXT) | instid1(VALU_DEP_3)
	v_dual_add_f32 v9, v9, v55 :: v_dual_fmac_f32 v19, v187, v106
	v_dual_fma_f32 v55, v186, v106, -v63 :: v_dual_add_f32 v7, v7, v17
	v_fmac_f32_e32 v21, v189, v108
	s_wait_loadcnt_dscnt 0xa05
	s_delay_alu instid0(VALU_DEP_3) | instskip(SKIP_3) | instid1(VALU_DEP_3)
	v_dual_add_f32 v9, v9, v53 :: v_dual_mul_f32 v17, v199, v119
	v_dual_mul_f32 v23, v190, v111 :: v_dual_mul_f32 v25, v192, v113
	v_dual_mul_f32 v51, v191, v111 :: v_dual_mul_f32 v11, v193, v113
	v_dual_fma_f32 v53, v188, v108, -v65 :: v_dual_add_f32 v7, v7, v19
	v_dual_add_f32 v9, v9, v55 :: v_dual_fmac_f32 v23, v191, v110
	s_delay_alu instid0(VALU_DEP_3) | instskip(NEXT) | instid1(VALU_DEP_3)
	v_dual_mul_f32 v19, v201, v121 :: v_dual_fma_f32 v51, v190, v110, -v51
	v_dual_add_f32 v7, v7, v21 :: v_dual_fmac_f32 v25, v193, v112
	s_wait_loadcnt_dscnt 0x904
	s_delay_alu instid0(VALU_DEP_3) | instskip(SKIP_1) | instid1(VALU_DEP_3)
	v_dual_add_f32 v9, v9, v53 :: v_dual_mul_f32 v21, v203, v123
	v_dual_mul_f32 v27, v194, v115 :: v_dual_mul_f32 v29, v196, v117
	v_dual_fma_f32 v11, v192, v112, -v11 :: v_dual_add_f32 v7, v7, v23
	s_delay_alu instid0(VALU_DEP_2) | instskip(SKIP_1) | instid1(VALU_DEP_2)
	v_dual_add_f32 v9, v9, v51 :: v_dual_fmac_f32 v27, v195, v114
	v_dual_mul_f32 v23, v205, v125 :: v_dual_fma_f32 v13, v194, v114, -v13
	v_dual_add_f32 v7, v7, v25 :: v_dual_add_f32 v9, v9, v11
	v_dual_mul_f32 v31, v198, v119 :: v_dual_mul_f32 v33, v200, v121
	s_wait_loadcnt_dscnt 0x803
	v_dual_mul_f32 v11, v207, v127 :: v_dual_fmac_f32 v29, v197, v116
	s_delay_alu instid0(VALU_DEP_3) | instskip(NEXT) | instid1(VALU_DEP_3)
	v_dual_fma_f32 v15, v196, v116, -v15 :: v_dual_add_f32 v7, v7, v27
	v_dual_add_f32 v9, v9, v13 :: v_dual_fmac_f32 v31, v199, v118
	v_dual_mul_f32 v13, v209, v129 :: v_dual_fma_f32 v17, v198, v118, -v17
	s_delay_alu instid0(VALU_DEP_2) | instskip(SKIP_3) | instid1(VALU_DEP_3)
	v_dual_add_f32 v7, v7, v29 :: v_dual_add_f32 v9, v9, v15
	v_dual_mul_f32 v35, v202, v123 :: v_dual_mul_f32 v37, v204, v125
	s_wait_loadcnt_dscnt 0x702
	v_dual_mul_f32 v15, v211, v131 :: v_dual_fmac_f32 v33, v201, v120
	v_dual_fma_f32 v19, v200, v120, -v19 :: v_dual_add_f32 v7, v7, v31
	s_delay_alu instid0(VALU_DEP_3) | instskip(SKIP_1) | instid1(VALU_DEP_2)
	v_dual_add_f32 v9, v9, v17 :: v_dual_fmac_f32 v35, v203, v122
	v_dual_mul_f32 v17, v213, v133 :: v_dual_fma_f32 v21, v202, v122, -v21
	v_dual_add_f32 v7, v7, v33 :: v_dual_add_f32 v9, v9, v19
	v_dual_mul_f32 v39, v206, v127 :: v_dual_mul_f32 v41, v208, v129
	s_wait_loadcnt_dscnt 0x601
	v_dual_mul_f32 v19, v215, v135 :: v_dual_fmac_f32 v37, v205, v124
	s_delay_alu instid0(VALU_DEP_3) | instskip(NEXT) | instid1(VALU_DEP_3)
	v_dual_fma_f32 v23, v204, v124, -v23 :: v_dual_add_f32 v7, v7, v35
	v_dual_add_f32 v9, v9, v21 :: v_dual_fmac_f32 v39, v207, v126
	v_dual_mul_f32 v21, v217, v137 :: v_dual_fma_f32 v11, v206, v126, -v11
	s_delay_alu instid0(VALU_DEP_2) | instskip(SKIP_3) | instid1(VALU_DEP_3)
	v_dual_add_f32 v7, v7, v37 :: v_dual_add_f32 v9, v9, v23
	v_dual_mul_f32 v43, v210, v131 :: v_dual_mul_f32 v45, v212, v133
	s_wait_loadcnt_dscnt 0x500
	v_dual_mul_f32 v23, v219, v139 :: v_dual_fmac_f32 v41, v209, v128
	v_dual_fma_f32 v13, v208, v128, -v13 :: v_dual_add_f32 v7, v7, v39
	s_delay_alu instid0(VALU_DEP_3) | instskip(SKIP_1) | instid1(VALU_DEP_3)
	v_dual_add_f32 v9, v9, v11 :: v_dual_fmac_f32 v43, v211, v130
	v_dual_mul_f32 v11, v221, v141 :: v_dual_fma_f32 v15, v210, v130, -v15
	v_dual_add_f32 v7, v7, v41 :: v_dual_fmac_f32 v45, v213, v132
	s_delay_alu instid0(VALU_DEP_3) | instskip(SKIP_2) | instid1(VALU_DEP_3)
	v_dual_add_f32 v9, v9, v13 :: v_dual_fma_f32 v13, v212, v132, -v17
	v_dual_mul_f32 v47, v214, v135 :: v_dual_mul_f32 v49, v216, v137
	s_wait_loadcnt 0x4
	v_dual_add_f32 v7, v7, v43 :: v_dual_mov_b32 v96, v145
	s_delay_alu instid0(VALU_DEP_2) | instskip(NEXT) | instid1(VALU_DEP_2)
	v_dual_add_f32 v9, v9, v15 :: v_dual_fmac_f32 v47, v215, v134
	v_dual_fma_f32 v15, v214, v134, -v19 :: v_dual_add_f32 v7, v7, v45
	v_dual_mul_f32 v233, v218, v139 :: v_dual_mul_f32 v235, v220, v141
	s_delay_alu instid0(VALU_DEP_3) | instskip(NEXT) | instid1(VALU_DEP_3)
	v_dual_add_f32 v9, v9, v13 :: v_dual_fma_f32 v13, v216, v136, -v21
	v_dual_fmac_f32 v49, v217, v136 :: v_dual_add_f32 v7, v7, v47
	v_pk_mul_f32 v[94:95], v[158:159], v[142:143] op_sel:[1,1] op_sel_hi:[0,1]
	s_delay_alu instid0(VALU_DEP_3) | instskip(SKIP_3) | instid1(VALU_DEP_3)
	v_dual_add_f32 v9, v9, v15 :: v_dual_fmac_f32 v233, v219, v138
	s_wait_loadcnt 0x3
	v_dual_mov_b32 v100, v149 :: v_dual_fma_f32 v232, v218, v138, -v23
	v_dual_add_f32 v103, v7, v49 :: v_dual_fmac_f32 v235, v221, v140
	v_dual_add_f32 v102, v9, v13 :: v_dual_fma_f32 v234, v220, v140, -v11
	v_pk_fma_f32 v[104:105], v[158:159], v[142:143], v[94:95] op_sel_hi:[1,0,1]
	v_pk_mul_f32 v[96:97], v[224:225], v[96:97] op_sel_hi:[1,0]
	v_pk_fma_f32 v[94:95], v[158:159], v[142:143], v[94:95] neg_lo:[0,0,1] neg_hi:[0,0,1]
	s_delay_alu instid0(VALU_DEP_4)
	v_pk_add_f32 v[102:103], v[102:103], v[232:233]
	v_pk_mul_f32 v[98:99], v[162:163], v[146:147] op_sel:[1,1] op_sel_hi:[0,1]
	v_mov_b32_e32 v95, v105
	v_pk_fma_f32 v[104:105], v[160:161], v[144:145], v[96:97] op_sel_hi:[1,0,1]
	v_pk_fma_f32 v[96:97], v[160:161], v[144:145], v[96:97] neg_lo:[0,0,1] neg_hi:[0,0,1]
	v_pk_add_f32 v[102:103], v[102:103], v[234:235]
	v_pk_fma_f32 v[108:109], v[162:163], v[146:147], v[98:99] op_sel_hi:[1,0,1]
	v_pk_mul_f32 v[100:101], v[226:227], v[100:101] op_sel_hi:[1,0]
	v_mov_b32_e32 v97, v105
	s_wait_loadcnt 0x2
	v_pk_mul_f32 v[106:107], v[166:167], v[150:151] op_sel:[1,1] op_sel_hi:[0,1]
	v_pk_add_f32 v[94:95], v[102:103], v[94:95]
	v_mov_b32_e32 v102, v153
	v_pk_fma_f32 v[98:99], v[162:163], v[146:147], v[98:99] neg_lo:[0,0,1] neg_hi:[0,0,1]
	v_mov_b32_e32 v99, v109
	v_pk_fma_f32 v[104:105], v[164:165], v[148:149], v[100:101] op_sel_hi:[1,0,1]
	v_pk_add_f32 v[94:95], v[94:95], v[96:97]
	v_pk_fma_f32 v[96:97], v[166:167], v[150:151], v[106:107] op_sel_hi:[1,0,1]
	v_pk_mul_f32 v[102:103], v[228:229], v[102:103] op_sel_hi:[1,0]
	v_pk_fma_f32 v[100:101], v[164:165], v[148:149], v[100:101] neg_lo:[0,0,1] neg_hi:[0,0,1]
	v_mov_b32_e32 v101, v105
	v_pk_add_f32 v[94:95], v[94:95], v[98:99]
	v_pk_fma_f32 v[104:105], v[166:167], v[150:151], v[106:107] neg_lo:[0,0,1] neg_hi:[0,0,1]
	v_mov_b32_e32 v105, v97
	v_pk_fma_f32 v[96:97], v[168:169], v[152:153], v[102:103] op_sel_hi:[1,0,1]
	s_wait_loadcnt 0x1
	v_pk_mul_f32 v[98:99], v[170:171], v[154:155] op_sel:[1,1] op_sel_hi:[0,1]
	v_pk_add_f32 v[94:95], v[94:95], v[100:101]
	v_mov_b32_e32 v96, v157
	v_pk_fma_f32 v[102:103], v[168:169], v[152:153], v[102:103] neg_lo:[0,0,1] neg_hi:[0,0,1]
	v_mov_b32_e32 v103, v97
	v_pk_fma_f32 v[100:101], v[170:171], v[154:155], v[98:99] op_sel_hi:[1,0,1]
	v_pk_add_f32 v[94:95], v[94:95], v[104:105]
	v_pk_mul_f32 v[96:97], v[230:231], v[96:97] op_sel_hi:[1,0]
	v_pk_fma_f32 v[98:99], v[170:171], v[154:155], v[98:99] neg_lo:[0,0,1] neg_hi:[0,0,1]
	s_delay_alu instid0(VALU_DEP_4) | instskip(NEXT) | instid1(VALU_DEP_4)
	v_mov_b32_e32 v99, v101
	v_pk_add_f32 v[94:95], v[94:95], v[102:103]
	s_delay_alu instid0(VALU_DEP_4) | instskip(SKIP_1) | instid1(VALU_DEP_2)
	v_pk_fma_f32 v[100:101], v[172:173], v[156:157], v[96:97] op_sel_hi:[1,0,1]
	v_pk_fma_f32 v[96:97], v[172:173], v[156:157], v[96:97] neg_lo:[0,0,1] neg_hi:[0,0,1]
	v_mov_b32_e32 v97, v101
	s_delay_alu instid0(VALU_DEP_4) | instskip(NEXT) | instid1(VALU_DEP_1)
	v_pk_add_f32 v[94:95], v[94:95], v[98:99]
	v_pk_add_f32 v[94:95], v[94:95], v[96:97]
	s_wait_loadcnt 0x0
	s_delay_alu instid0(VALU_DEP_1)
	v_pk_add_f32 v[94:95], v[222:223], v[94:95] neg_lo:[0,1] neg_hi:[0,1]
	scratch_store_b64 off, v[94:95], off offset:104
	s_wait_xcnt 0x0
	v_cmpx_lt_u32_e32 12, v0
	s_cbranch_execz .LBB109_265
; %bb.264:
	scratch_load_b64 v[94:95], off, off offset:96
	v_mov_b64_e32 v[96:97], 0
	scratch_store_b64 off, v[96:97], off offset:96
	s_wait_loadcnt 0x0
	ds_store_b64 v1, v[94:95]
.LBB109_265:
	s_wait_xcnt 0x0
	s_or_b32 exec_lo, exec_lo, s0
	s_wait_storecnt_dscnt 0x0
	s_barrier_signal -1
	s_barrier_wait -1
	s_clause 0x11
	scratch_load_b128 v[94:97], off, off offset:104
	scratch_load_b128 v[98:101], off, off offset:120
	;; [unrolled: 1-line block ×16, first 2 shown]
	scratch_load_b64 v[222:223], off, off offset:360
	scratch_load_b64 v[224:225], off, off offset:96
	v_mov_b32_e32 v7, 0
	ds_load_2addr_b64 v[158:161], v7 offset0:83 offset1:84
	ds_load_2addr_b64 v[162:165], v7 offset0:85 offset1:86
	;; [unrolled: 1-line block ×16, first 2 shown]
	ds_load_b64 v[226:227], v7 offset:728
	s_mov_b32 s0, exec_lo
	s_wait_dscnt 0x10
	v_dual_mov_b32 v228, v161 :: v_dual_mov_b32 v229, v160
	s_wait_dscnt 0xd
	v_dual_mov_b32 v230, v165 :: v_dual_mov_b32 v235, v172
	v_dual_mov_b32 v231, v164 :: v_dual_mov_b32 v232, v169
	;; [unrolled: 1-line block ×3, first 2 shown]
	s_wait_loadcnt_dscnt 0x110c
	v_dual_mul_f32 v9, v174, v95 :: v_dual_mul_f32 v55, v175, v95
	v_dual_mul_f32 v57, v177, v97 :: v_dual_mul_f32 v11, v176, v97
	s_wait_loadcnt_dscnt 0x100b
	v_mul_f32_e32 v13, v178, v99
	s_wait_loadcnt_dscnt 0xe09
	v_dual_mul_f32 v67, v187, v107 :: v_dual_fma_f32 v55, v174, v94, -v55
	v_dual_fmac_f32 v9, v175, v94 :: v_dual_mul_f32 v69, v189, v109
	v_dual_mul_f32 v59, v179, v99 :: v_dual_mul_f32 v61, v181, v101
	v_dual_fmac_f32 v11, v177, v96 :: v_dual_fma_f32 v57, v176, v96, -v57
	s_delay_alu instid0(VALU_DEP_3) | instskip(SKIP_3) | instid1(VALU_DEP_3)
	v_dual_add_f32 v9, 0, v9 :: v_dual_add_f32 v55, 0, v55
	v_dual_mul_f32 v15, v180, v101 :: v_dual_mul_f32 v17, v182, v103
	s_wait_loadcnt_dscnt 0xd08
	v_dual_mul_f32 v71, v191, v111 :: v_dual_fma_f32 v59, v178, v98, -v59
	v_dual_fmac_f32 v13, v179, v98 :: v_dual_add_f32 v9, v9, v11
	s_delay_alu instid0(VALU_DEP_3) | instskip(SKIP_2) | instid1(VALU_DEP_3)
	v_dual_add_f32 v11, v55, v57 :: v_dual_fmac_f32 v15, v181, v100
	v_dual_mul_f32 v63, v183, v103 :: v_dual_mul_f32 v65, v185, v105
	v_dual_mul_f32 v55, v193, v113 :: v_dual_fma_f32 v57, v180, v100, -v61
	v_dual_add_f32 v9, v9, v13 :: v_dual_add_f32 v11, v11, v59
	v_dual_mul_f32 v19, v184, v105 :: v_dual_mul_f32 v21, v186, v107
	s_wait_loadcnt_dscnt 0xc07
	v_dual_mul_f32 v13, v195, v115 :: v_dual_fma_f32 v59, v182, v102, -v63
	s_delay_alu instid0(VALU_DEP_3) | instskip(NEXT) | instid1(VALU_DEP_3)
	v_dual_fmac_f32 v17, v183, v102 :: v_dual_add_f32 v9, v9, v15
	v_dual_add_f32 v11, v11, v57 :: v_dual_fmac_f32 v19, v185, v104
	v_dual_mul_f32 v15, v197, v117 :: v_dual_fma_f32 v57, v184, v104, -v65
	s_delay_alu instid0(VALU_DEP_2) | instskip(SKIP_3) | instid1(VALU_DEP_3)
	v_dual_add_f32 v9, v9, v17 :: v_dual_add_f32 v11, v11, v59
	v_dual_mul_f32 v23, v188, v109 :: v_dual_mul_f32 v25, v190, v111
	s_wait_loadcnt_dscnt 0xb06
	v_dual_mul_f32 v17, v199, v119 :: v_dual_fma_f32 v59, v186, v106, -v67
	v_dual_fmac_f32 v21, v187, v106 :: v_dual_add_f32 v9, v9, v19
	s_delay_alu instid0(VALU_DEP_3) | instskip(SKIP_1) | instid1(VALU_DEP_2)
	v_dual_add_f32 v11, v11, v57 :: v_dual_fmac_f32 v23, v189, v108
	v_dual_mul_f32 v19, v201, v121 :: v_dual_fma_f32 v57, v188, v108, -v69
	v_dual_add_f32 v9, v9, v21 :: v_dual_add_f32 v11, v11, v59
	v_dual_mul_f32 v27, v192, v113 :: v_dual_mul_f32 v29, v194, v115
	s_wait_loadcnt_dscnt 0xa05
	v_dual_mul_f32 v21, v203, v123 :: v_dual_fma_f32 v59, v190, v110, -v71
	s_delay_alu instid0(VALU_DEP_3) | instskip(NEXT) | instid1(VALU_DEP_3)
	v_dual_fmac_f32 v25, v191, v110 :: v_dual_add_f32 v9, v9, v23
	v_dual_add_f32 v11, v11, v57 :: v_dual_fmac_f32 v27, v193, v112
	v_dual_mul_f32 v23, v205, v125 :: v_dual_fma_f32 v55, v192, v112, -v55
	s_delay_alu instid0(VALU_DEP_2) | instskip(SKIP_3) | instid1(VALU_DEP_3)
	v_dual_add_f32 v9, v9, v25 :: v_dual_add_f32 v11, v11, v59
	v_dual_mul_f32 v31, v196, v117 :: v_dual_mul_f32 v33, v198, v119
	s_wait_loadcnt_dscnt 0x904
	v_dual_mul_f32 v25, v207, v127 :: v_dual_fma_f32 v13, v194, v114, -v13
	v_dual_fmac_f32 v29, v195, v114 :: v_dual_add_f32 v9, v9, v27
	v_dual_add_f32 v11, v11, v55 :: v_dual_mul_f32 v27, v209, v129
	v_fmac_f32_e32 v31, v197, v116
	s_delay_alu instid0(VALU_DEP_3) | instskip(NEXT) | instid1(VALU_DEP_3)
	v_dual_fma_f32 v15, v196, v116, -v15 :: v_dual_add_f32 v9, v9, v29
	v_add_f32_e32 v11, v11, v13
	v_dual_mul_f32 v35, v200, v121 :: v_dual_mul_f32 v37, v202, v123
	s_wait_loadcnt_dscnt 0x803
	v_dual_mul_f32 v13, v211, v131 :: v_dual_fma_f32 v17, v198, v118, -v17
	v_dual_fmac_f32 v33, v199, v118 :: v_dual_add_f32 v9, v9, v31
	v_dual_add_f32 v11, v11, v15 :: v_dual_mul_f32 v15, v213, v133
	v_fmac_f32_e32 v35, v201, v120
	s_delay_alu instid0(VALU_DEP_3) | instskip(NEXT) | instid1(VALU_DEP_3)
	v_dual_fma_f32 v19, v200, v120, -v19 :: v_dual_add_f32 v9, v9, v33
	v_add_f32_e32 v11, v11, v17
	;; [unrolled: 9-line block ×4, first 2 shown]
	v_dual_mul_f32 v47, v212, v133 :: v_dual_mul_f32 v49, v214, v135
	s_wait_loadcnt 0x5
	v_dual_mul_f32 v25, v159, v143 :: v_dual_fma_f32 v13, v210, v130, -v13
	v_dual_fmac_f32 v45, v211, v130 :: v_dual_add_f32 v9, v9, v43
	v_dual_add_f32 v11, v11, v27 :: v_dual_mov_b32 v94, v145
	v_fmac_f32_e32 v47, v213, v132
	s_delay_alu instid0(VALU_DEP_3) | instskip(NEXT) | instid1(VALU_DEP_3)
	v_dual_fma_f32 v15, v212, v132, -v15 :: v_dual_add_f32 v9, v9, v45
	v_add_f32_e32 v11, v11, v13
	v_dual_mul_f32 v51, v216, v137 :: v_dual_mul_f32 v53, v218, v139
	s_delay_alu instid0(VALU_DEP_3) | instskip(NEXT) | instid1(VALU_DEP_3)
	v_dual_fmac_f32 v49, v215, v134 :: v_dual_add_f32 v9, v9, v47
	v_dual_fma_f32 v13, v214, v134, -v17 :: v_dual_add_f32 v11, v11, v15
	s_wait_loadcnt 0x4
	v_dual_mov_b32 v98, v149 :: v_dual_fma_f32 v15, v216, v136, -v19
	v_fmac_f32_e32 v51, v217, v136
	v_dual_add_f32 v9, v9, v49 :: v_dual_fmac_f32 v53, v219, v138
	v_add_f32_e32 v11, v11, v13
	v_dual_mul_f32 v237, v220, v141 :: v_dual_mul_f32 v239, v158, v143
	s_delay_alu instid0(VALU_DEP_3) | instskip(NEXT) | instid1(VALU_DEP_2)
	v_dual_fma_f32 v13, v218, v138, -v21 :: v_dual_add_f32 v9, v9, v51
	v_dual_add_f32 v11, v11, v15 :: v_dual_fmac_f32 v237, v221, v140
	v_fma_f32 v236, v220, v140, -v23
	v_pk_mul_f32 v[94:95], v[228:229], v[94:95] op_sel_hi:[1,0]
	s_delay_alu instid0(VALU_DEP_4)
	v_add_f32_e32 v103, v9, v53
	s_wait_loadcnt 0x3
	v_dual_add_f32 v102, v11, v13 :: v_dual_mov_b32 v104, v153
	v_pk_mul_f32 v[96:97], v[162:163], v[146:147] op_sel:[1,1] op_sel_hi:[0,1]
	v_dual_fmac_f32 v239, v159, v142 :: v_dual_fma_f32 v238, v158, v142, -v25
	v_pk_fma_f32 v[106:107], v[160:161], v[144:145], v[94:95] op_sel_hi:[1,0,1]
	s_delay_alu instid0(VALU_DEP_4)
	v_pk_add_f32 v[102:103], v[102:103], v[236:237]
	v_pk_fma_f32 v[94:95], v[160:161], v[144:145], v[94:95] neg_lo:[0,0,1] neg_hi:[0,0,1]
	v_pk_fma_f32 v[108:109], v[162:163], v[146:147], v[96:97] op_sel_hi:[1,0,1]
	v_pk_mul_f32 v[98:99], v[230:231], v[98:99] op_sel_hi:[1,0]
	v_mov_b32_e32 v95, v107
	v_pk_add_f32 v[102:103], v[102:103], v[238:239]
	v_pk_fma_f32 v[96:97], v[162:163], v[146:147], v[96:97] neg_lo:[0,0,1] neg_hi:[0,0,1]
	v_pk_mul_f32 v[100:101], v[166:167], v[150:151] op_sel:[1,1] op_sel_hi:[0,1]
	v_mov_b32_e32 v97, v109
	v_pk_fma_f32 v[108:109], v[164:165], v[148:149], v[98:99] op_sel_hi:[1,0,1]
	v_pk_add_f32 v[94:95], v[102:103], v[94:95]
	v_pk_fma_f32 v[98:99], v[164:165], v[148:149], v[98:99] neg_lo:[0,0,1] neg_hi:[0,0,1]
	v_pk_fma_f32 v[102:103], v[166:167], v[150:151], v[100:101] op_sel_hi:[1,0,1]
	v_pk_mul_f32 v[104:105], v[232:233], v[104:105] op_sel_hi:[1,0]
	v_mov_b32_e32 v99, v109
	v_pk_add_f32 v[94:95], v[94:95], v[96:97]
	v_pk_fma_f32 v[100:101], v[166:167], v[150:151], v[100:101] neg_lo:[0,0,1] neg_hi:[0,0,1]
	s_wait_loadcnt 0x2
	v_pk_mul_f32 v[106:107], v[170:171], v[154:155] op_sel:[1,1] op_sel_hi:[0,1]
	v_dual_mov_b32 v96, v157 :: v_dual_mov_b32 v101, v103
	v_pk_fma_f32 v[102:103], v[168:169], v[152:153], v[104:105] op_sel_hi:[1,0,1]
	v_pk_add_f32 v[94:95], v[94:95], v[98:99]
	v_pk_fma_f32 v[104:105], v[168:169], v[152:153], v[104:105] neg_lo:[0,0,1] neg_hi:[0,0,1]
	v_pk_fma_f32 v[98:99], v[170:171], v[154:155], v[106:107] op_sel_hi:[1,0,1]
	v_pk_mul_f32 v[96:97], v[234:235], v[96:97] op_sel_hi:[1,0]
	v_mov_b32_e32 v105, v103
	v_pk_add_f32 v[94:95], v[94:95], v[100:101]
	v_pk_fma_f32 v[100:101], v[170:171], v[154:155], v[106:107] neg_lo:[0,0,1] neg_hi:[0,0,1]
	v_mov_b32_e32 v101, v99
	v_pk_fma_f32 v[98:99], v[172:173], v[156:157], v[96:97] op_sel_hi:[1,0,1]
	s_wait_loadcnt_dscnt 0x100
	v_pk_mul_f32 v[102:103], v[226:227], v[222:223] op_sel:[1,1] op_sel_hi:[0,1]
	v_pk_add_f32 v[94:95], v[94:95], v[104:105]
	v_pk_fma_f32 v[96:97], v[172:173], v[156:157], v[96:97] neg_lo:[0,0,1] neg_hi:[0,0,1]
	v_mov_b32_e32 v97, v99
	s_delay_alu instid0(VALU_DEP_4) | instskip(NEXT) | instid1(VALU_DEP_4)
	v_pk_fma_f32 v[98:99], v[226:227], v[222:223], v[102:103] op_sel_hi:[1,0,1]
	v_pk_add_f32 v[94:95], v[94:95], v[100:101]
	v_pk_fma_f32 v[100:101], v[226:227], v[222:223], v[102:103] neg_lo:[0,0,1] neg_hi:[0,0,1]
	s_delay_alu instid0(VALU_DEP_3) | instskip(NEXT) | instid1(VALU_DEP_3)
	v_mov_b32_e32 v101, v99
	v_pk_add_f32 v[94:95], v[94:95], v[96:97]
	s_delay_alu instid0(VALU_DEP_1) | instskip(SKIP_1) | instid1(VALU_DEP_1)
	v_pk_add_f32 v[94:95], v[94:95], v[100:101]
	s_wait_loadcnt 0x0
	v_pk_add_f32 v[94:95], v[224:225], v[94:95] neg_lo:[0,1] neg_hi:[0,1]
	scratch_store_b64 off, v[94:95], off offset:96
	s_wait_xcnt 0x0
	v_cmpx_lt_u32_e32 11, v0
	s_cbranch_execz .LBB109_267
; %bb.266:
	scratch_load_b64 v[94:95], off, off offset:88
	v_mov_b64_e32 v[96:97], 0
	scratch_store_b64 off, v[96:97], off offset:88
	s_wait_loadcnt 0x0
	ds_store_b64 v1, v[94:95]
.LBB109_267:
	s_wait_xcnt 0x0
	s_or_b32 exec_lo, exec_lo, s0
	s_wait_storecnt_dscnt 0x0
	s_barrier_signal -1
	s_barrier_wait -1
	s_clause 0x11
	scratch_load_b128 v[94:97], off, off offset:96
	scratch_load_b128 v[98:101], off, off offset:112
	;; [unrolled: 1-line block ×17, first 2 shown]
	scratch_load_b64 v[230:231], off, off offset:88
	ds_load_b128 v[162:165], v7 offset:672
	ds_load_b128 v[166:169], v7 offset:688
	ds_load_b128 v[170:173], v7 offset:704
	ds_load_b128 v[174:177], v7 offset:720
	ds_load_b128 v[178:181], v7 offset:656
	ds_load_b128 v[182:185], v7 offset:464
	ds_load_b128 v[186:189], v7 offset:480
	ds_load_b128 v[190:193], v7 offset:496
	ds_load_b128 v[194:197], v7 offset:512
	ds_load_b128 v[198:201], v7 offset:528
	ds_load_b128 v[202:205], v7 offset:544
	ds_load_b128 v[206:209], v7 offset:560
	ds_load_b128 v[210:213], v7 offset:576
	ds_load_b128 v[214:217], v7 offset:592
	ds_load_b128 v[218:221], v7 offset:608
	ds_load_b128 v[222:225], v7 offset:624
	ds_load_b128 v[226:229], v7 offset:640
	s_mov_b32 s0, exec_lo
	s_wait_dscnt 0x10
	v_dual_mov_b32 v232, v165 :: v_dual_mov_b32 v233, v164
	s_wait_dscnt 0xf
	v_dual_mov_b32 v234, v169 :: v_dual_mov_b32 v235, v168
	;; [unrolled: 2-line block ×4, first 2 shown]
	s_wait_loadcnt_dscnt 0x110b
	v_dual_mul_f32 v7, v182, v95 :: v_dual_mul_f32 v9, v184, v97
	v_dual_mul_f32 v55, v183, v95 :: v_dual_mul_f32 v57, v185, v97
	s_wait_loadcnt_dscnt 0x100a
	v_dual_mul_f32 v11, v186, v99 :: v_dual_mul_f32 v13, v188, v101
	s_delay_alu instid0(VALU_DEP_3) | instskip(SKIP_3) | instid1(VALU_DEP_3)
	v_dual_fmac_f32 v7, v183, v94 :: v_dual_fmac_f32 v9, v185, v96
	s_wait_loadcnt_dscnt 0xe08
	v_dual_fma_f32 v55, v182, v94, -v55 :: v_dual_mul_f32 v67, v195, v107
	v_dual_mul_f32 v59, v187, v99 :: v_dual_mul_f32 v61, v189, v101
	v_dual_fma_f32 v57, v184, v96, -v57 :: v_dual_add_f32 v7, 0, v7
	s_delay_alu instid0(VALU_DEP_3) | instskip(SKIP_1) | instid1(VALU_DEP_3)
	v_dual_add_f32 v55, 0, v55 :: v_dual_mul_f32 v69, v197, v109
	v_dual_fmac_f32 v11, v187, v98 :: v_dual_fmac_f32 v13, v189, v100
	v_dual_fma_f32 v59, v186, v98, -v59 :: v_dual_add_f32 v7, v7, v9
	s_delay_alu instid0(VALU_DEP_3) | instskip(SKIP_2) | instid1(VALU_DEP_4)
	v_dual_add_f32 v9, v55, v57 :: v_dual_fma_f32 v57, v188, v100, -v61
	v_dual_mul_f32 v15, v190, v103 :: v_dual_mul_f32 v17, v192, v105
	v_dual_mul_f32 v63, v191, v103 :: v_dual_mul_f32 v65, v193, v105
	v_add_f32_e32 v7, v7, v11
	s_delay_alu instid0(VALU_DEP_3) | instskip(NEXT) | instid1(VALU_DEP_3)
	v_dual_add_f32 v9, v9, v59 :: v_dual_fmac_f32 v15, v191, v102
	v_fma_f32 v59, v190, v102, -v63
	v_dual_mul_f32 v19, v194, v107 :: v_dual_mul_f32 v21, v196, v109
	s_delay_alu instid0(VALU_DEP_4) | instskip(SKIP_2) | instid1(VALU_DEP_2)
	v_dual_add_f32 v7, v7, v13 :: v_dual_fmac_f32 v17, v193, v104
	s_wait_loadcnt_dscnt 0xc06
	v_dual_add_f32 v9, v9, v57 :: v_dual_mul_f32 v13, v203, v115
	v_dual_fma_f32 v57, v192, v104, -v65 :: v_dual_add_f32 v7, v7, v15
	v_mul_f32_e32 v15, v205, v117
	s_delay_alu instid0(VALU_DEP_3) | instskip(NEXT) | instid1(VALU_DEP_3)
	v_dual_add_f32 v9, v9, v59 :: v_dual_fmac_f32 v19, v195, v106
	v_dual_fma_f32 v59, v194, v106, -v67 :: v_dual_add_f32 v7, v7, v17
	v_fmac_f32_e32 v21, v197, v108
	s_wait_loadcnt_dscnt 0xb05
	s_delay_alu instid0(VALU_DEP_3) | instskip(SKIP_3) | instid1(VALU_DEP_3)
	v_dual_add_f32 v9, v9, v57 :: v_dual_mul_f32 v17, v207, v119
	v_dual_mul_f32 v23, v198, v111 :: v_dual_mul_f32 v25, v200, v113
	v_dual_mul_f32 v55, v199, v111 :: v_dual_mul_f32 v11, v201, v113
	v_dual_fma_f32 v57, v196, v108, -v69 :: v_dual_add_f32 v7, v7, v19
	v_dual_add_f32 v9, v9, v59 :: v_dual_fmac_f32 v23, v199, v110
	s_delay_alu instid0(VALU_DEP_3) | instskip(NEXT) | instid1(VALU_DEP_3)
	v_dual_mul_f32 v19, v209, v121 :: v_dual_fma_f32 v55, v198, v110, -v55
	v_dual_add_f32 v7, v7, v21 :: v_dual_fmac_f32 v25, v201, v112
	s_wait_loadcnt_dscnt 0xa04
	s_delay_alu instid0(VALU_DEP_3) | instskip(SKIP_1) | instid1(VALU_DEP_3)
	v_dual_add_f32 v9, v9, v57 :: v_dual_mul_f32 v21, v211, v123
	v_dual_mul_f32 v27, v202, v115 :: v_dual_mul_f32 v29, v204, v117
	v_dual_fma_f32 v11, v200, v112, -v11 :: v_dual_add_f32 v7, v7, v23
	s_delay_alu instid0(VALU_DEP_2) | instskip(SKIP_1) | instid1(VALU_DEP_2)
	v_dual_add_f32 v9, v9, v55 :: v_dual_fmac_f32 v27, v203, v114
	v_dual_mul_f32 v23, v213, v125 :: v_dual_fma_f32 v13, v202, v114, -v13
	v_dual_add_f32 v7, v7, v25 :: v_dual_add_f32 v9, v9, v11
	v_dual_mul_f32 v31, v206, v119 :: v_dual_mul_f32 v33, v208, v121
	s_wait_loadcnt_dscnt 0x903
	v_dual_mul_f32 v11, v215, v127 :: v_dual_fmac_f32 v29, v205, v116
	s_delay_alu instid0(VALU_DEP_3) | instskip(NEXT) | instid1(VALU_DEP_3)
	v_dual_fma_f32 v15, v204, v116, -v15 :: v_dual_add_f32 v7, v7, v27
	v_dual_add_f32 v9, v9, v13 :: v_dual_fmac_f32 v31, v207, v118
	v_dual_mul_f32 v13, v217, v129 :: v_dual_fma_f32 v17, v206, v118, -v17
	s_delay_alu instid0(VALU_DEP_2) | instskip(SKIP_3) | instid1(VALU_DEP_3)
	v_dual_add_f32 v7, v7, v29 :: v_dual_add_f32 v9, v9, v15
	v_dual_mul_f32 v35, v210, v123 :: v_dual_mul_f32 v37, v212, v125
	s_wait_loadcnt_dscnt 0x802
	v_dual_mul_f32 v15, v219, v131 :: v_dual_fmac_f32 v33, v209, v120
	v_dual_fma_f32 v19, v208, v120, -v19 :: v_dual_add_f32 v7, v7, v31
	s_delay_alu instid0(VALU_DEP_3) | instskip(SKIP_1) | instid1(VALU_DEP_2)
	v_dual_add_f32 v9, v9, v17 :: v_dual_fmac_f32 v35, v211, v122
	v_dual_mul_f32 v17, v221, v133 :: v_dual_fma_f32 v21, v210, v122, -v21
	v_dual_add_f32 v7, v7, v33 :: v_dual_add_f32 v9, v9, v19
	v_dual_mul_f32 v39, v214, v127 :: v_dual_mul_f32 v41, v216, v129
	s_wait_loadcnt_dscnt 0x701
	v_dual_mul_f32 v19, v223, v135 :: v_dual_fmac_f32 v37, v213, v124
	s_delay_alu instid0(VALU_DEP_3) | instskip(NEXT) | instid1(VALU_DEP_3)
	v_dual_fma_f32 v23, v212, v124, -v23 :: v_dual_add_f32 v7, v7, v35
	v_dual_add_f32 v9, v9, v21 :: v_dual_fmac_f32 v39, v215, v126
	v_dual_mul_f32 v21, v225, v137 :: v_dual_fma_f32 v11, v214, v126, -v11
	s_delay_alu instid0(VALU_DEP_2) | instskip(SKIP_3) | instid1(VALU_DEP_3)
	v_dual_add_f32 v7, v7, v37 :: v_dual_add_f32 v9, v9, v23
	v_dual_mul_f32 v43, v218, v131 :: v_dual_mul_f32 v45, v220, v133
	s_wait_loadcnt_dscnt 0x600
	v_dual_mul_f32 v23, v227, v139 :: v_dual_fmac_f32 v41, v217, v128
	v_dual_fma_f32 v13, v216, v128, -v13 :: v_dual_add_f32 v7, v7, v39
	s_delay_alu instid0(VALU_DEP_3) | instskip(SKIP_1) | instid1(VALU_DEP_3)
	v_dual_add_f32 v9, v9, v11 :: v_dual_fmac_f32 v43, v219, v130
	v_dual_mul_f32 v11, v229, v141 :: v_dual_fma_f32 v15, v218, v130, -v15
	v_dual_add_f32 v7, v7, v41 :: v_dual_fmac_f32 v45, v221, v132
	s_wait_loadcnt 0x5
	s_delay_alu instid0(VALU_DEP_3) | instskip(SKIP_1) | instid1(VALU_DEP_3)
	v_dual_add_f32 v9, v9, v13 :: v_dual_mul_f32 v13, v179, v143
	v_dual_mul_f32 v47, v222, v135 :: v_dual_mul_f32 v49, v224, v137
	v_dual_fma_f32 v17, v220, v132, -v17 :: v_dual_add_f32 v7, v7, v43
	s_delay_alu instid0(VALU_DEP_2) | instskip(SKIP_1) | instid1(VALU_DEP_3)
	v_dual_add_f32 v9, v9, v15 :: v_dual_fmac_f32 v47, v223, v134
	v_dual_mul_f32 v15, v181, v145 :: v_dual_fma_f32 v19, v222, v134, -v19
	v_dual_add_f32 v7, v7, v45 :: v_dual_fmac_f32 v49, v225, v136
	s_delay_alu instid0(VALU_DEP_3) | instskip(SKIP_2) | instid1(VALU_DEP_3)
	v_dual_add_f32 v9, v9, v17 :: v_dual_fma_f32 v17, v224, v136, -v21
	v_dual_mul_f32 v51, v226, v139 :: v_dual_mul_f32 v53, v228, v141
	s_wait_loadcnt 0x4
	v_dual_add_f32 v7, v7, v47 :: v_dual_mov_b32 v96, v149
	s_delay_alu instid0(VALU_DEP_2) | instskip(NEXT) | instid1(VALU_DEP_2)
	v_dual_add_f32 v9, v9, v19 :: v_dual_fmac_f32 v51, v227, v138
	v_dual_fma_f32 v19, v226, v138, -v23 :: v_dual_add_f32 v7, v7, v49
	v_dual_mul_f32 v241, v178, v143 :: v_dual_mul_f32 v243, v180, v145
	s_delay_alu instid0(VALU_DEP_3) | instskip(NEXT) | instid1(VALU_DEP_3)
	v_dual_add_f32 v9, v9, v17 :: v_dual_fma_f32 v11, v228, v140, -v11
	v_dual_fmac_f32 v53, v229, v140 :: v_dual_add_f32 v7, v7, v51
	v_pk_mul_f32 v[94:95], v[162:163], v[146:147] op_sel:[1,1] op_sel_hi:[0,1]
	s_delay_alu instid0(VALU_DEP_3) | instskip(SKIP_2) | instid1(VALU_DEP_2)
	v_dual_add_f32 v9, v9, v19 :: v_dual_fmac_f32 v241, v179, v142
	s_wait_loadcnt 0x3
	v_dual_mov_b32 v100, v153 :: v_dual_fma_f32 v240, v178, v142, -v13
	v_dual_add_f32 v103, v7, v53 :: v_dual_add_f32 v102, v9, v11
	v_fmac_f32_e32 v243, v181, v144
	v_pk_fma_f32 v[104:105], v[162:163], v[146:147], v[94:95] op_sel_hi:[1,0,1]
	v_fma_f32 v242, v180, v144, -v15
	v_pk_mul_f32 v[96:97], v[232:233], v[96:97] op_sel_hi:[1,0]
	v_pk_add_f32 v[102:103], v[102:103], v[240:241]
	v_pk_fma_f32 v[94:95], v[162:163], v[146:147], v[94:95] neg_lo:[0,0,1] neg_hi:[0,0,1]
	v_pk_mul_f32 v[98:99], v[166:167], v[150:151] op_sel:[1,1] op_sel_hi:[0,1]
	v_mov_b32_e32 v95, v105
	v_pk_fma_f32 v[104:105], v[164:165], v[148:149], v[96:97] op_sel_hi:[1,0,1]
	v_pk_add_f32 v[102:103], v[102:103], v[242:243]
	v_pk_fma_f32 v[96:97], v[164:165], v[148:149], v[96:97] neg_lo:[0,0,1] neg_hi:[0,0,1]
	v_pk_fma_f32 v[108:109], v[166:167], v[150:151], v[98:99] op_sel_hi:[1,0,1]
	v_pk_mul_f32 v[100:101], v[234:235], v[100:101] op_sel_hi:[1,0]
	v_mov_b32_e32 v97, v105
	v_pk_add_f32 v[94:95], v[102:103], v[94:95]
	s_wait_loadcnt 0x2
	v_pk_mul_f32 v[106:107], v[170:171], v[154:155] op_sel:[1,1] op_sel_hi:[0,1]
	v_mov_b32_e32 v102, v157
	v_pk_fma_f32 v[98:99], v[166:167], v[150:151], v[98:99] neg_lo:[0,0,1] neg_hi:[0,0,1]
	v_pk_fma_f32 v[104:105], v[168:169], v[152:153], v[100:101] op_sel_hi:[1,0,1]
	v_mov_b32_e32 v99, v109
	v_pk_add_f32 v[94:95], v[94:95], v[96:97]
	v_pk_fma_f32 v[96:97], v[170:171], v[154:155], v[106:107] op_sel_hi:[1,0,1]
	v_pk_mul_f32 v[102:103], v[236:237], v[102:103] op_sel_hi:[1,0]
	v_pk_fma_f32 v[100:101], v[168:169], v[152:153], v[100:101] neg_lo:[0,0,1] neg_hi:[0,0,1]
	v_mov_b32_e32 v101, v105
	v_pk_add_f32 v[94:95], v[94:95], v[98:99]
	v_pk_fma_f32 v[104:105], v[170:171], v[154:155], v[106:107] neg_lo:[0,0,1] neg_hi:[0,0,1]
	v_mov_b32_e32 v105, v97
	v_pk_fma_f32 v[96:97], v[172:173], v[156:157], v[102:103] op_sel_hi:[1,0,1]
	s_wait_loadcnt 0x1
	v_pk_mul_f32 v[98:99], v[174:175], v[158:159] op_sel:[1,1] op_sel_hi:[0,1]
	v_pk_add_f32 v[94:95], v[94:95], v[100:101]
	v_mov_b32_e32 v96, v161
	v_pk_fma_f32 v[102:103], v[172:173], v[156:157], v[102:103] neg_lo:[0,0,1] neg_hi:[0,0,1]
	s_delay_alu instid0(VALU_DEP_4)
	v_pk_fma_f32 v[100:101], v[174:175], v[158:159], v[98:99] op_sel_hi:[1,0,1]
	v_mov_b32_e32 v103, v97
	v_pk_add_f32 v[94:95], v[94:95], v[104:105]
	v_pk_mul_f32 v[96:97], v[238:239], v[96:97] op_sel_hi:[1,0]
	v_pk_fma_f32 v[98:99], v[174:175], v[158:159], v[98:99] neg_lo:[0,0,1] neg_hi:[0,0,1]
	v_mov_b32_e32 v99, v101
	s_delay_alu instid0(VALU_DEP_4) | instskip(NEXT) | instid1(VALU_DEP_4)
	v_pk_add_f32 v[94:95], v[94:95], v[102:103]
	v_pk_fma_f32 v[100:101], v[176:177], v[160:161], v[96:97] op_sel_hi:[1,0,1]
	v_pk_fma_f32 v[96:97], v[176:177], v[160:161], v[96:97] neg_lo:[0,0,1] neg_hi:[0,0,1]
	s_delay_alu instid0(VALU_DEP_3) | instskip(NEXT) | instid1(VALU_DEP_3)
	v_pk_add_f32 v[94:95], v[94:95], v[98:99]
	v_mov_b32_e32 v97, v101
	s_delay_alu instid0(VALU_DEP_1) | instskip(SKIP_1) | instid1(VALU_DEP_1)
	v_pk_add_f32 v[94:95], v[94:95], v[96:97]
	s_wait_loadcnt 0x0
	v_pk_add_f32 v[94:95], v[230:231], v[94:95] neg_lo:[0,1] neg_hi:[0,1]
	scratch_store_b64 off, v[94:95], off offset:88
	s_wait_xcnt 0x0
	v_cmpx_lt_u32_e32 10, v0
	s_cbranch_execz .LBB109_269
; %bb.268:
	scratch_load_b64 v[94:95], off, off offset:80
	v_mov_b64_e32 v[96:97], 0
	scratch_store_b64 off, v[96:97], off offset:80
	s_wait_loadcnt 0x0
	ds_store_b64 v1, v[94:95]
.LBB109_269:
	s_wait_xcnt 0x0
	s_or_b32 exec_lo, exec_lo, s0
	s_wait_storecnt_dscnt 0x0
	s_barrier_signal -1
	s_barrier_wait -1
	s_clause 0x12
	scratch_load_b128 v[94:97], off, off offset:88
	scratch_load_b128 v[98:101], off, off offset:104
	;; [unrolled: 1-line block ×17, first 2 shown]
	scratch_load_b64 v[230:231], off, off offset:360
	scratch_load_b64 v[232:233], off, off offset:80
	v_mov_b32_e32 v7, 0
	ds_load_2addr_b64 v[162:165], v7 offset0:83 offset1:84
	ds_load_2addr_b64 v[166:169], v7 offset0:85 offset1:86
	;; [unrolled: 1-line block ×17, first 2 shown]
	ds_load_b64 v[234:235], v7 offset:728
	s_mov_b32 s0, exec_lo
	s_wait_dscnt 0x11
	v_dual_mov_b32 v236, v165 :: v_dual_mov_b32 v237, v164
	s_wait_dscnt 0x10
	v_dual_mov_b32 v238, v169 :: v_dual_mov_b32 v239, v168
	;; [unrolled: 2-line block ×3, first 2 shown]
	v_dual_mov_b32 v241, v172 :: v_dual_mov_b32 v242, v181
	s_wait_loadcnt_dscnt 0x120c
	v_dual_mul_f32 v9, v182, v95 :: v_dual_mul_f32 v59, v183, v95
	v_dual_mul_f32 v61, v185, v97 :: v_dual_mul_f32 v11, v184, v97
	s_wait_loadcnt_dscnt 0x110b
	v_mul_f32_e32 v13, v186, v99
	s_wait_loadcnt_dscnt 0xf09
	v_dual_mul_f32 v71, v195, v107 :: v_dual_fma_f32 v59, v182, v94, -v59
	v_dual_fmac_f32 v9, v183, v94 :: v_dual_mul_f32 v73, v197, v109
	v_dual_mul_f32 v63, v187, v99 :: v_dual_mul_f32 v65, v189, v101
	v_dual_fmac_f32 v11, v185, v96 :: v_dual_fma_f32 v61, v184, v96, -v61
	s_delay_alu instid0(VALU_DEP_3) | instskip(SKIP_3) | instid1(VALU_DEP_3)
	v_dual_add_f32 v9, 0, v9 :: v_dual_add_f32 v59, 0, v59
	v_dual_mul_f32 v15, v188, v101 :: v_dual_mul_f32 v17, v190, v103
	s_wait_loadcnt_dscnt 0xe08
	v_dual_mul_f32 v75, v199, v111 :: v_dual_fma_f32 v63, v186, v98, -v63
	v_dual_fmac_f32 v13, v187, v98 :: v_dual_add_f32 v9, v9, v11
	s_delay_alu instid0(VALU_DEP_3) | instskip(SKIP_2) | instid1(VALU_DEP_3)
	v_dual_add_f32 v11, v59, v61 :: v_dual_fmac_f32 v15, v189, v100
	v_dual_mul_f32 v67, v191, v103 :: v_dual_mul_f32 v69, v193, v105
	v_dual_mul_f32 v59, v201, v113 :: v_dual_fma_f32 v61, v188, v100, -v65
	v_dual_add_f32 v9, v9, v13 :: v_dual_add_f32 v11, v11, v63
	v_dual_mul_f32 v19, v192, v105 :: v_dual_mul_f32 v21, v194, v107
	s_wait_loadcnt_dscnt 0xd07
	v_dual_mul_f32 v13, v203, v115 :: v_dual_fma_f32 v63, v190, v102, -v67
	s_delay_alu instid0(VALU_DEP_3) | instskip(NEXT) | instid1(VALU_DEP_3)
	v_dual_fmac_f32 v17, v191, v102 :: v_dual_add_f32 v9, v9, v15
	v_dual_add_f32 v11, v11, v61 :: v_dual_fmac_f32 v19, v193, v104
	v_dual_mul_f32 v15, v205, v117 :: v_dual_fma_f32 v61, v192, v104, -v69
	s_delay_alu instid0(VALU_DEP_2) | instskip(SKIP_3) | instid1(VALU_DEP_3)
	v_dual_add_f32 v9, v9, v17 :: v_dual_add_f32 v11, v11, v63
	v_dual_mul_f32 v23, v196, v109 :: v_dual_mul_f32 v25, v198, v111
	s_wait_loadcnt_dscnt 0xc06
	v_dual_mul_f32 v17, v207, v119 :: v_dual_fma_f32 v63, v194, v106, -v71
	v_dual_fmac_f32 v21, v195, v106 :: v_dual_add_f32 v9, v9, v19
	s_delay_alu instid0(VALU_DEP_3) | instskip(SKIP_1) | instid1(VALU_DEP_2)
	v_dual_add_f32 v11, v11, v61 :: v_dual_fmac_f32 v23, v197, v108
	v_dual_mul_f32 v19, v209, v121 :: v_dual_fma_f32 v61, v196, v108, -v73
	v_dual_add_f32 v9, v9, v21 :: v_dual_add_f32 v11, v11, v63
	v_dual_mul_f32 v27, v200, v113 :: v_dual_mul_f32 v29, v202, v115
	s_wait_loadcnt_dscnt 0xb05
	v_dual_mul_f32 v21, v211, v123 :: v_dual_fma_f32 v63, v198, v110, -v75
	s_delay_alu instid0(VALU_DEP_3) | instskip(NEXT) | instid1(VALU_DEP_3)
	v_dual_fmac_f32 v25, v199, v110 :: v_dual_add_f32 v9, v9, v23
	v_dual_add_f32 v11, v11, v61 :: v_dual_fmac_f32 v27, v201, v112
	v_dual_mul_f32 v23, v213, v125 :: v_dual_fma_f32 v59, v200, v112, -v59
	s_delay_alu instid0(VALU_DEP_2) | instskip(SKIP_3) | instid1(VALU_DEP_3)
	v_dual_add_f32 v9, v9, v25 :: v_dual_add_f32 v11, v11, v63
	v_dual_mul_f32 v31, v204, v117 :: v_dual_mul_f32 v33, v206, v119
	s_wait_loadcnt_dscnt 0xa04
	v_dual_mul_f32 v25, v215, v127 :: v_dual_fma_f32 v13, v202, v114, -v13
	v_dual_fmac_f32 v29, v203, v114 :: v_dual_add_f32 v9, v9, v27
	v_dual_add_f32 v11, v11, v59 :: v_dual_mul_f32 v27, v217, v129
	v_fmac_f32_e32 v31, v205, v116
	s_delay_alu instid0(VALU_DEP_3) | instskip(NEXT) | instid1(VALU_DEP_3)
	v_dual_fma_f32 v15, v204, v116, -v15 :: v_dual_add_f32 v9, v9, v29
	v_add_f32_e32 v11, v11, v13
	v_dual_mul_f32 v35, v208, v121 :: v_dual_mul_f32 v37, v210, v123
	s_wait_loadcnt_dscnt 0x903
	v_dual_mul_f32 v13, v219, v131 :: v_dual_fma_f32 v17, v206, v118, -v17
	v_dual_fmac_f32 v33, v207, v118 :: v_dual_add_f32 v9, v9, v31
	v_dual_add_f32 v11, v11, v15 :: v_dual_mul_f32 v15, v221, v133
	v_fmac_f32_e32 v35, v209, v120
	s_delay_alu instid0(VALU_DEP_3) | instskip(NEXT) | instid1(VALU_DEP_3)
	v_dual_fma_f32 v19, v208, v120, -v19 :: v_dual_add_f32 v9, v9, v33
	v_add_f32_e32 v11, v11, v17
	;; [unrolled: 9-line block ×4, first 2 shown]
	v_dual_mul_f32 v47, v220, v133 :: v_dual_mul_f32 v49, v222, v135
	s_wait_loadcnt 0x6
	v_dual_mul_f32 v25, v175, v143 :: v_dual_fma_f32 v13, v218, v130, -v13
	v_dual_fmac_f32 v45, v219, v130 :: v_dual_add_f32 v9, v9, v43
	v_dual_add_f32 v11, v11, v27 :: v_dual_mul_f32 v27, v177, v145
	v_fmac_f32_e32 v47, v221, v132
	s_delay_alu instid0(VALU_DEP_3) | instskip(NEXT) | instid1(VALU_DEP_3)
	v_dual_fma_f32 v15, v220, v132, -v15 :: v_dual_add_f32 v9, v9, v45
	v_add_f32_e32 v11, v11, v13
	v_dual_mul_f32 v51, v224, v137 :: v_dual_mul_f32 v53, v226, v139
	s_wait_loadcnt 0x5
	v_dual_mul_f32 v13, v163, v147 :: v_dual_fma_f32 v17, v222, v134, -v17
	v_dual_fmac_f32 v49, v223, v134 :: v_dual_add_f32 v9, v9, v47
	v_dual_add_f32 v11, v11, v15 :: v_dual_mov_b32 v94, v149
	v_fmac_f32_e32 v51, v225, v136
	s_delay_alu instid0(VALU_DEP_3) | instskip(NEXT) | instid1(VALU_DEP_3)
	v_dual_fma_f32 v15, v224, v136, -v19 :: v_dual_add_f32 v9, v9, v49
	v_add_f32_e32 v11, v11, v17
	v_dual_mul_f32 v55, v228, v141 :: v_dual_mul_f32 v57, v174, v143
	s_delay_alu instid0(VALU_DEP_3) | instskip(NEXT) | instid1(VALU_DEP_3)
	v_dual_fmac_f32 v53, v227, v138 :: v_dual_add_f32 v9, v9, v51
	v_dual_fma_f32 v17, v226, v138, -v21 :: v_dual_add_f32 v11, v11, v15
	s_wait_loadcnt 0x4
	v_dual_mov_b32 v98, v153 :: v_dual_fma_f32 v15, v228, v140, -v23
	v_fmac_f32_e32 v55, v229, v140
	v_dual_add_f32 v9, v9, v53 :: v_dual_fmac_f32 v57, v175, v142
	v_add_f32_e32 v11, v11, v17
	v_dual_mul_f32 v245, v176, v145 :: v_dual_mul_f32 v247, v162, v147
	s_delay_alu instid0(VALU_DEP_3) | instskip(NEXT) | instid1(VALU_DEP_2)
	v_dual_fma_f32 v17, v174, v142, -v25 :: v_dual_add_f32 v9, v9, v55
	v_dual_add_f32 v11, v11, v15 :: v_dual_fmac_f32 v245, v177, v144
	v_fma_f32 v244, v176, v144, -v27
	v_pk_mul_f32 v[94:95], v[236:237], v[94:95] op_sel_hi:[1,0]
	s_delay_alu instid0(VALU_DEP_4)
	v_add_f32_e32 v103, v9, v57
	s_wait_loadcnt 0x3
	v_dual_add_f32 v102, v11, v17 :: v_dual_mov_b32 v104, v157
	v_pk_mul_f32 v[96:97], v[166:167], v[150:151] op_sel:[1,1] op_sel_hi:[0,1]
	v_dual_fmac_f32 v247, v163, v146 :: v_dual_fma_f32 v246, v162, v146, -v13
	v_pk_fma_f32 v[106:107], v[164:165], v[148:149], v[94:95] op_sel_hi:[1,0,1]
	s_delay_alu instid0(VALU_DEP_4)
	v_pk_add_f32 v[102:103], v[102:103], v[244:245]
	v_pk_fma_f32 v[94:95], v[164:165], v[148:149], v[94:95] neg_lo:[0,0,1] neg_hi:[0,0,1]
	v_pk_fma_f32 v[108:109], v[166:167], v[150:151], v[96:97] op_sel_hi:[1,0,1]
	v_pk_mul_f32 v[98:99], v[238:239], v[98:99] op_sel_hi:[1,0]
	v_mov_b32_e32 v95, v107
	v_pk_add_f32 v[102:103], v[102:103], v[246:247]
	v_pk_fma_f32 v[96:97], v[166:167], v[150:151], v[96:97] neg_lo:[0,0,1] neg_hi:[0,0,1]
	v_pk_mul_f32 v[100:101], v[170:171], v[154:155] op_sel:[1,1] op_sel_hi:[0,1]
	v_mov_b32_e32 v97, v109
	v_pk_fma_f32 v[108:109], v[168:169], v[152:153], v[98:99] op_sel_hi:[1,0,1]
	v_pk_add_f32 v[94:95], v[102:103], v[94:95]
	v_pk_fma_f32 v[98:99], v[168:169], v[152:153], v[98:99] neg_lo:[0,0,1] neg_hi:[0,0,1]
	v_pk_fma_f32 v[102:103], v[170:171], v[154:155], v[100:101] op_sel_hi:[1,0,1]
	v_pk_mul_f32 v[104:105], v[240:241], v[104:105] op_sel_hi:[1,0]
	v_mov_b32_e32 v99, v109
	v_pk_add_f32 v[94:95], v[94:95], v[96:97]
	v_pk_fma_f32 v[100:101], v[170:171], v[154:155], v[100:101] neg_lo:[0,0,1] neg_hi:[0,0,1]
	s_wait_loadcnt 0x2
	v_pk_mul_f32 v[106:107], v[178:179], v[158:159] op_sel:[1,1] op_sel_hi:[0,1]
	v_dual_mov_b32 v96, v161 :: v_dual_mov_b32 v101, v103
	v_pk_fma_f32 v[102:103], v[172:173], v[156:157], v[104:105] op_sel_hi:[1,0,1]
	v_pk_add_f32 v[94:95], v[94:95], v[98:99]
	v_pk_fma_f32 v[104:105], v[172:173], v[156:157], v[104:105] neg_lo:[0,0,1] neg_hi:[0,0,1]
	v_pk_fma_f32 v[98:99], v[178:179], v[158:159], v[106:107] op_sel_hi:[1,0,1]
	v_pk_mul_f32 v[96:97], v[242:243], v[96:97] op_sel_hi:[1,0]
	v_mov_b32_e32 v105, v103
	v_pk_add_f32 v[94:95], v[94:95], v[100:101]
	v_pk_fma_f32 v[100:101], v[178:179], v[158:159], v[106:107] neg_lo:[0,0,1] neg_hi:[0,0,1]
	v_mov_b32_e32 v101, v99
	v_pk_fma_f32 v[98:99], v[180:181], v[160:161], v[96:97] op_sel_hi:[1,0,1]
	s_wait_loadcnt_dscnt 0x100
	v_pk_mul_f32 v[102:103], v[234:235], v[230:231] op_sel:[1,1] op_sel_hi:[0,1]
	v_pk_add_f32 v[94:95], v[94:95], v[104:105]
	v_pk_fma_f32 v[96:97], v[180:181], v[160:161], v[96:97] neg_lo:[0,0,1] neg_hi:[0,0,1]
	v_mov_b32_e32 v97, v99
	s_delay_alu instid0(VALU_DEP_4) | instskip(NEXT) | instid1(VALU_DEP_4)
	v_pk_fma_f32 v[98:99], v[234:235], v[230:231], v[102:103] op_sel_hi:[1,0,1]
	v_pk_add_f32 v[94:95], v[94:95], v[100:101]
	v_pk_fma_f32 v[100:101], v[234:235], v[230:231], v[102:103] neg_lo:[0,0,1] neg_hi:[0,0,1]
	s_delay_alu instid0(VALU_DEP_3) | instskip(NEXT) | instid1(VALU_DEP_3)
	v_mov_b32_e32 v101, v99
	v_pk_add_f32 v[94:95], v[94:95], v[96:97]
	s_delay_alu instid0(VALU_DEP_1) | instskip(SKIP_1) | instid1(VALU_DEP_1)
	v_pk_add_f32 v[94:95], v[94:95], v[100:101]
	s_wait_loadcnt 0x0
	v_pk_add_f32 v[94:95], v[232:233], v[94:95] neg_lo:[0,1] neg_hi:[0,1]
	scratch_store_b64 off, v[94:95], off offset:80
	s_wait_xcnt 0x0
	v_cmpx_lt_u32_e32 9, v0
	s_cbranch_execz .LBB109_271
; %bb.270:
	scratch_load_b64 v[94:95], off, off offset:72
	v_mov_b64_e32 v[96:97], 0
	scratch_store_b64 off, v[96:97], off offset:72
	s_wait_loadcnt 0x0
	ds_store_b64 v1, v[94:95]
.LBB109_271:
	s_wait_xcnt 0x0
	s_or_b32 exec_lo, exec_lo, s0
	s_wait_storecnt_dscnt 0x0
	s_barrier_signal -1
	s_barrier_wait -1
	s_clause 0x12
	scratch_load_b128 v[94:97], off, off offset:80
	scratch_load_b128 v[98:101], off, off offset:96
	;; [unrolled: 1-line block ×18, first 2 shown]
	scratch_load_b64 v[238:239], off, off offset:72
	ds_load_b128 v[166:169], v7 offset:672
	ds_load_b128 v[170:173], v7 offset:688
	;; [unrolled: 1-line block ×18, first 2 shown]
	s_mov_b32 s0, exec_lo
	s_wait_dscnt 0x11
	v_dual_mov_b32 v240, v169 :: v_dual_mov_b32 v241, v168
	s_wait_dscnt 0x10
	v_dual_mov_b32 v242, v173 :: v_dual_mov_b32 v243, v172
	;; [unrolled: 2-line block ×4, first 2 shown]
	s_wait_loadcnt_dscnt 0x120d
	v_dual_mul_f32 v7, v182, v95 :: v_dual_mul_f32 v9, v184, v97
	v_dual_mul_f32 v59, v183, v95 :: v_dual_mul_f32 v61, v185, v97
	s_wait_loadcnt_dscnt 0x110c
	v_dual_mul_f32 v11, v186, v99 :: v_dual_mul_f32 v13, v188, v101
	s_delay_alu instid0(VALU_DEP_3) | instskip(SKIP_3) | instid1(VALU_DEP_3)
	v_dual_fmac_f32 v7, v183, v94 :: v_dual_fmac_f32 v9, v185, v96
	s_wait_loadcnt_dscnt 0xf0a
	v_dual_fma_f32 v59, v182, v94, -v59 :: v_dual_mul_f32 v71, v195, v107
	v_dual_mul_f32 v63, v187, v99 :: v_dual_mul_f32 v65, v189, v101
	v_dual_fma_f32 v61, v184, v96, -v61 :: v_dual_add_f32 v7, 0, v7
	s_delay_alu instid0(VALU_DEP_3) | instskip(SKIP_1) | instid1(VALU_DEP_3)
	v_dual_add_f32 v59, 0, v59 :: v_dual_mul_f32 v73, v197, v109
	v_dual_fmac_f32 v11, v187, v98 :: v_dual_fmac_f32 v13, v189, v100
	v_dual_fma_f32 v63, v186, v98, -v63 :: v_dual_add_f32 v7, v7, v9
	s_delay_alu instid0(VALU_DEP_3) | instskip(SKIP_2) | instid1(VALU_DEP_4)
	v_dual_add_f32 v9, v59, v61 :: v_dual_fma_f32 v61, v188, v100, -v65
	v_dual_mul_f32 v15, v190, v103 :: v_dual_mul_f32 v17, v192, v105
	v_dual_mul_f32 v67, v191, v103 :: v_dual_mul_f32 v69, v193, v105
	v_add_f32_e32 v7, v7, v11
	s_delay_alu instid0(VALU_DEP_3) | instskip(NEXT) | instid1(VALU_DEP_3)
	v_dual_add_f32 v9, v9, v63 :: v_dual_fmac_f32 v15, v191, v102
	v_fma_f32 v63, v190, v102, -v67
	v_dual_mul_f32 v19, v194, v107 :: v_dual_mul_f32 v21, v196, v109
	s_delay_alu instid0(VALU_DEP_4) | instskip(SKIP_2) | instid1(VALU_DEP_2)
	v_dual_add_f32 v7, v7, v13 :: v_dual_fmac_f32 v17, v193, v104
	s_wait_loadcnt_dscnt 0xd08
	v_dual_add_f32 v9, v9, v61 :: v_dual_mul_f32 v13, v203, v115
	v_dual_fma_f32 v61, v192, v104, -v69 :: v_dual_add_f32 v7, v7, v15
	v_mul_f32_e32 v15, v205, v117
	s_delay_alu instid0(VALU_DEP_3) | instskip(NEXT) | instid1(VALU_DEP_3)
	v_dual_add_f32 v9, v9, v63 :: v_dual_fmac_f32 v19, v195, v106
	v_dual_fma_f32 v63, v194, v106, -v71 :: v_dual_add_f32 v7, v7, v17
	v_fmac_f32_e32 v21, v197, v108
	s_wait_loadcnt_dscnt 0xc07
	s_delay_alu instid0(VALU_DEP_3) | instskip(SKIP_3) | instid1(VALU_DEP_3)
	v_dual_add_f32 v9, v9, v61 :: v_dual_mul_f32 v17, v207, v119
	v_dual_mul_f32 v23, v198, v111 :: v_dual_mul_f32 v25, v200, v113
	v_dual_mul_f32 v59, v199, v111 :: v_dual_mul_f32 v11, v201, v113
	v_dual_fma_f32 v61, v196, v108, -v73 :: v_dual_add_f32 v7, v7, v19
	v_dual_add_f32 v9, v9, v63 :: v_dual_fmac_f32 v23, v199, v110
	s_delay_alu instid0(VALU_DEP_3) | instskip(NEXT) | instid1(VALU_DEP_3)
	v_dual_mul_f32 v19, v209, v121 :: v_dual_fma_f32 v59, v198, v110, -v59
	v_dual_add_f32 v7, v7, v21 :: v_dual_fmac_f32 v25, v201, v112
	s_wait_loadcnt_dscnt 0xb06
	s_delay_alu instid0(VALU_DEP_3) | instskip(SKIP_1) | instid1(VALU_DEP_3)
	v_dual_add_f32 v9, v9, v61 :: v_dual_mul_f32 v21, v211, v123
	v_dual_mul_f32 v27, v202, v115 :: v_dual_mul_f32 v29, v204, v117
	v_dual_fma_f32 v11, v200, v112, -v11 :: v_dual_add_f32 v7, v7, v23
	s_delay_alu instid0(VALU_DEP_2) | instskip(SKIP_1) | instid1(VALU_DEP_2)
	v_dual_add_f32 v9, v9, v59 :: v_dual_fmac_f32 v27, v203, v114
	v_dual_mul_f32 v23, v213, v125 :: v_dual_fma_f32 v13, v202, v114, -v13
	v_dual_add_f32 v7, v7, v25 :: v_dual_add_f32 v9, v9, v11
	v_dual_mul_f32 v31, v206, v119 :: v_dual_mul_f32 v33, v208, v121
	s_wait_loadcnt_dscnt 0xa05
	v_dual_mul_f32 v11, v215, v127 :: v_dual_fmac_f32 v29, v205, v116
	s_delay_alu instid0(VALU_DEP_3) | instskip(NEXT) | instid1(VALU_DEP_3)
	v_dual_fma_f32 v15, v204, v116, -v15 :: v_dual_add_f32 v7, v7, v27
	v_dual_add_f32 v9, v9, v13 :: v_dual_fmac_f32 v31, v207, v118
	v_dual_mul_f32 v13, v217, v129 :: v_dual_fma_f32 v17, v206, v118, -v17
	s_delay_alu instid0(VALU_DEP_2) | instskip(SKIP_3) | instid1(VALU_DEP_3)
	v_dual_add_f32 v7, v7, v29 :: v_dual_add_f32 v9, v9, v15
	v_dual_mul_f32 v35, v210, v123 :: v_dual_mul_f32 v37, v212, v125
	s_wait_loadcnt_dscnt 0x904
	v_dual_mul_f32 v15, v219, v131 :: v_dual_fmac_f32 v33, v209, v120
	v_dual_fma_f32 v19, v208, v120, -v19 :: v_dual_add_f32 v7, v7, v31
	s_delay_alu instid0(VALU_DEP_3) | instskip(SKIP_1) | instid1(VALU_DEP_2)
	v_dual_add_f32 v9, v9, v17 :: v_dual_fmac_f32 v35, v211, v122
	v_dual_mul_f32 v17, v221, v133 :: v_dual_fma_f32 v21, v210, v122, -v21
	v_dual_add_f32 v7, v7, v33 :: v_dual_add_f32 v9, v9, v19
	v_dual_mul_f32 v39, v214, v127 :: v_dual_mul_f32 v41, v216, v129
	s_wait_loadcnt_dscnt 0x803
	v_dual_mul_f32 v19, v223, v135 :: v_dual_fmac_f32 v37, v213, v124
	s_delay_alu instid0(VALU_DEP_3) | instskip(NEXT) | instid1(VALU_DEP_3)
	v_dual_fma_f32 v23, v212, v124, -v23 :: v_dual_add_f32 v7, v7, v35
	v_dual_add_f32 v9, v9, v21 :: v_dual_fmac_f32 v39, v215, v126
	v_dual_mul_f32 v21, v225, v137 :: v_dual_fma_f32 v11, v214, v126, -v11
	s_delay_alu instid0(VALU_DEP_2) | instskip(SKIP_3) | instid1(VALU_DEP_3)
	v_dual_add_f32 v7, v7, v37 :: v_dual_add_f32 v9, v9, v23
	v_dual_mul_f32 v43, v218, v131 :: v_dual_mul_f32 v45, v220, v133
	s_wait_loadcnt_dscnt 0x702
	v_dual_mul_f32 v23, v227, v139 :: v_dual_fmac_f32 v41, v217, v128
	v_dual_fma_f32 v13, v216, v128, -v13 :: v_dual_add_f32 v7, v7, v39
	s_delay_alu instid0(VALU_DEP_3) | instskip(SKIP_1) | instid1(VALU_DEP_3)
	v_dual_add_f32 v9, v9, v11 :: v_dual_fmac_f32 v43, v219, v130
	v_dual_mul_f32 v11, v229, v141 :: v_dual_fma_f32 v15, v218, v130, -v15
	v_dual_add_f32 v7, v7, v41 :: v_dual_fmac_f32 v45, v221, v132
	s_wait_loadcnt_dscnt 0x601
	s_delay_alu instid0(VALU_DEP_3) | instskip(SKIP_1) | instid1(VALU_DEP_3)
	v_dual_add_f32 v9, v9, v13 :: v_dual_mul_f32 v13, v231, v143
	v_dual_mul_f32 v47, v222, v135 :: v_dual_mul_f32 v49, v224, v137
	v_dual_fma_f32 v17, v220, v132, -v17 :: v_dual_add_f32 v7, v7, v43
	s_delay_alu instid0(VALU_DEP_2) | instskip(SKIP_1) | instid1(VALU_DEP_3)
	v_dual_add_f32 v9, v9, v15 :: v_dual_fmac_f32 v47, v223, v134
	v_dual_mul_f32 v15, v233, v145 :: v_dual_fma_f32 v19, v222, v134, -v19
	v_dual_add_f32 v7, v7, v45 :: v_dual_fmac_f32 v49, v225, v136
	s_wait_loadcnt_dscnt 0x500
	s_delay_alu instid0(VALU_DEP_3) | instskip(SKIP_1) | instid1(VALU_DEP_3)
	v_dual_add_f32 v9, v9, v17 :: v_dual_mul_f32 v17, v235, v147
	v_dual_mul_f32 v51, v226, v139 :: v_dual_mul_f32 v53, v228, v141
	v_dual_fma_f32 v21, v224, v136, -v21 :: v_dual_add_f32 v7, v7, v47
	s_delay_alu instid0(VALU_DEP_2) | instskip(SKIP_1) | instid1(VALU_DEP_3)
	v_dual_add_f32 v9, v9, v19 :: v_dual_fmac_f32 v51, v227, v138
	v_dual_mul_f32 v19, v237, v149 :: v_dual_fma_f32 v23, v226, v138, -v23
	v_dual_add_f32 v7, v7, v49 :: v_dual_fmac_f32 v53, v229, v140
	s_delay_alu instid0(VALU_DEP_3) | instskip(SKIP_2) | instid1(VALU_DEP_3)
	v_dual_add_f32 v9, v9, v21 :: v_dual_fma_f32 v11, v228, v140, -v11
	v_dual_mul_f32 v55, v230, v143 :: v_dual_mul_f32 v57, v232, v145
	s_wait_loadcnt 0x4
	v_dual_add_f32 v7, v7, v51 :: v_dual_mov_b32 v96, v153
	s_delay_alu instid0(VALU_DEP_2) | instskip(NEXT) | instid1(VALU_DEP_2)
	v_dual_add_f32 v9, v9, v23 :: v_dual_fmac_f32 v55, v231, v142
	v_dual_fma_f32 v13, v230, v142, -v13 :: v_dual_add_f32 v7, v7, v53
	v_dual_mul_f32 v249, v234, v147 :: v_dual_mul_f32 v251, v236, v149
	s_delay_alu instid0(VALU_DEP_3) | instskip(NEXT) | instid1(VALU_DEP_3)
	v_dual_add_f32 v9, v9, v11 :: v_dual_fma_f32 v11, v232, v144, -v15
	v_dual_fmac_f32 v57, v233, v144 :: v_dual_add_f32 v7, v7, v55
	v_pk_mul_f32 v[94:95], v[166:167], v[150:151] op_sel:[1,1] op_sel_hi:[0,1]
	s_delay_alu instid0(VALU_DEP_3) | instskip(SKIP_2) | instid1(VALU_DEP_2)
	v_dual_add_f32 v9, v9, v13 :: v_dual_fmac_f32 v249, v235, v146
	s_wait_loadcnt 0x3
	v_dual_mov_b32 v100, v157 :: v_dual_fma_f32 v248, v234, v146, -v17
	v_dual_add_f32 v103, v7, v57 :: v_dual_add_f32 v102, v9, v11
	v_fmac_f32_e32 v251, v237, v148
	v_pk_fma_f32 v[104:105], v[166:167], v[150:151], v[94:95] op_sel_hi:[1,0,1]
	v_fma_f32 v250, v236, v148, -v19
	v_pk_mul_f32 v[96:97], v[240:241], v[96:97] op_sel_hi:[1,0]
	v_pk_add_f32 v[102:103], v[102:103], v[248:249]
	v_pk_fma_f32 v[94:95], v[166:167], v[150:151], v[94:95] neg_lo:[0,0,1] neg_hi:[0,0,1]
	v_pk_mul_f32 v[98:99], v[170:171], v[154:155] op_sel:[1,1] op_sel_hi:[0,1]
	v_mov_b32_e32 v95, v105
	v_pk_fma_f32 v[104:105], v[168:169], v[152:153], v[96:97] op_sel_hi:[1,0,1]
	v_pk_add_f32 v[102:103], v[102:103], v[250:251]
	v_pk_fma_f32 v[96:97], v[168:169], v[152:153], v[96:97] neg_lo:[0,0,1] neg_hi:[0,0,1]
	v_pk_fma_f32 v[108:109], v[170:171], v[154:155], v[98:99] op_sel_hi:[1,0,1]
	v_pk_mul_f32 v[100:101], v[242:243], v[100:101] op_sel_hi:[1,0]
	v_mov_b32_e32 v97, v105
	v_pk_add_f32 v[94:95], v[102:103], v[94:95]
	s_wait_loadcnt 0x2
	v_pk_mul_f32 v[106:107], v[174:175], v[158:159] op_sel:[1,1] op_sel_hi:[0,1]
	v_mov_b32_e32 v102, v161
	v_pk_fma_f32 v[98:99], v[170:171], v[154:155], v[98:99] neg_lo:[0,0,1] neg_hi:[0,0,1]
	v_pk_fma_f32 v[104:105], v[172:173], v[156:157], v[100:101] op_sel_hi:[1,0,1]
	v_mov_b32_e32 v99, v109
	v_pk_add_f32 v[94:95], v[94:95], v[96:97]
	v_pk_fma_f32 v[96:97], v[174:175], v[158:159], v[106:107] op_sel_hi:[1,0,1]
	v_pk_mul_f32 v[102:103], v[244:245], v[102:103] op_sel_hi:[1,0]
	v_pk_fma_f32 v[100:101], v[172:173], v[156:157], v[100:101] neg_lo:[0,0,1] neg_hi:[0,0,1]
	v_mov_b32_e32 v101, v105
	v_pk_add_f32 v[94:95], v[94:95], v[98:99]
	v_pk_fma_f32 v[104:105], v[174:175], v[158:159], v[106:107] neg_lo:[0,0,1] neg_hi:[0,0,1]
	v_mov_b32_e32 v105, v97
	v_pk_fma_f32 v[96:97], v[176:177], v[160:161], v[102:103] op_sel_hi:[1,0,1]
	s_wait_loadcnt 0x1
	v_pk_mul_f32 v[98:99], v[178:179], v[162:163] op_sel:[1,1] op_sel_hi:[0,1]
	v_pk_add_f32 v[94:95], v[94:95], v[100:101]
	v_mov_b32_e32 v96, v165
	v_pk_fma_f32 v[102:103], v[176:177], v[160:161], v[102:103] neg_lo:[0,0,1] neg_hi:[0,0,1]
	s_delay_alu instid0(VALU_DEP_4)
	v_pk_fma_f32 v[100:101], v[178:179], v[162:163], v[98:99] op_sel_hi:[1,0,1]
	v_mov_b32_e32 v103, v97
	v_pk_add_f32 v[94:95], v[94:95], v[104:105]
	v_pk_mul_f32 v[96:97], v[246:247], v[96:97] op_sel_hi:[1,0]
	v_pk_fma_f32 v[98:99], v[178:179], v[162:163], v[98:99] neg_lo:[0,0,1] neg_hi:[0,0,1]
	v_mov_b32_e32 v99, v101
	s_delay_alu instid0(VALU_DEP_4) | instskip(NEXT) | instid1(VALU_DEP_4)
	v_pk_add_f32 v[94:95], v[94:95], v[102:103]
	v_pk_fma_f32 v[100:101], v[180:181], v[164:165], v[96:97] op_sel_hi:[1,0,1]
	v_pk_fma_f32 v[96:97], v[180:181], v[164:165], v[96:97] neg_lo:[0,0,1] neg_hi:[0,0,1]
	s_delay_alu instid0(VALU_DEP_3) | instskip(NEXT) | instid1(VALU_DEP_3)
	v_pk_add_f32 v[94:95], v[94:95], v[98:99]
	v_mov_b32_e32 v97, v101
	s_delay_alu instid0(VALU_DEP_1) | instskip(SKIP_1) | instid1(VALU_DEP_1)
	v_pk_add_f32 v[94:95], v[94:95], v[96:97]
	s_wait_loadcnt 0x0
	v_pk_add_f32 v[94:95], v[238:239], v[94:95] neg_lo:[0,1] neg_hi:[0,1]
	scratch_store_b64 off, v[94:95], off offset:72
	s_wait_xcnt 0x0
	v_cmpx_lt_u32_e32 8, v0
	s_cbranch_execz .LBB109_273
; %bb.272:
	scratch_load_b64 v[94:95], off, off offset:64
	v_mov_b64_e32 v[96:97], 0
	scratch_store_b64 off, v[96:97], off offset:64
	s_wait_loadcnt 0x0
	ds_store_b64 v1, v[94:95]
.LBB109_273:
	s_wait_xcnt 0x0
	s_or_b32 exec_lo, exec_lo, s0
	s_wait_storecnt_dscnt 0x0
	s_barrier_signal -1
	s_barrier_wait -1
	s_clause 0x13
	scratch_load_b128 v[94:97], off, off offset:72
	scratch_load_b128 v[98:101], off, off offset:88
	;; [unrolled: 1-line block ×18, first 2 shown]
	scratch_load_b64 v[238:239], off, off offset:360
	scratch_load_b64 v[240:241], off, off offset:64
	v_mov_b32_e32 v7, 0
	ds_load_2addr_b64 v[166:169], v7 offset0:83 offset1:84
	ds_load_2addr_b64 v[170:173], v7 offset0:85 offset1:86
	;; [unrolled: 1-line block ×18, first 2 shown]
	ds_load_b64 v[242:243], v7 offset:728
	s_mov_b32 s0, exec_lo
	s_wait_dscnt 0x12
	v_dual_mov_b32 v244, v169 :: v_dual_mov_b32 v245, v168
	s_wait_dscnt 0x11
	v_dual_mov_b32 v246, v173 :: v_dual_mov_b32 v247, v172
	;; [unrolled: 2-line block ×3, first 2 shown]
	v_dual_mov_b32 v249, v176 :: v_dual_mov_b32 v250, v189
	s_wait_loadcnt 0x13
	v_dual_mul_f32 v9, v178, v95 :: v_dual_mul_f32 v63, v179, v95
	v_dual_mul_f32 v65, v181, v97 :: v_dual_mul_f32 v11, v180, v97
	s_wait_loadcnt 0x12
	v_mul_f32_e32 v13, v182, v99
	s_wait_loadcnt_dscnt 0x100b
	v_dual_mul_f32 v75, v195, v107 :: v_dual_fma_f32 v63, v178, v94, -v63
	v_dual_fmac_f32 v9, v179, v94 :: v_dual_mul_f32 v77, v197, v109
	v_dual_mul_f32 v67, v183, v99 :: v_dual_mul_f32 v69, v185, v101
	v_dual_fmac_f32 v11, v181, v96 :: v_dual_fma_f32 v65, v180, v96, -v65
	s_delay_alu instid0(VALU_DEP_3) | instskip(SKIP_3) | instid1(VALU_DEP_3)
	v_dual_add_f32 v9, 0, v9 :: v_dual_add_f32 v63, 0, v63
	v_dual_mul_f32 v15, v184, v101 :: v_dual_mul_f32 v17, v190, v103
	s_wait_loadcnt_dscnt 0xf0a
	v_dual_mul_f32 v79, v199, v111 :: v_dual_fma_f32 v67, v182, v98, -v67
	v_dual_fmac_f32 v13, v183, v98 :: v_dual_add_f32 v9, v9, v11
	s_delay_alu instid0(VALU_DEP_3) | instskip(SKIP_2) | instid1(VALU_DEP_3)
	v_dual_add_f32 v11, v63, v65 :: v_dual_fmac_f32 v15, v185, v100
	v_dual_mul_f32 v71, v191, v103 :: v_dual_mul_f32 v73, v193, v105
	v_dual_mul_f32 v63, v201, v113 :: v_dual_fma_f32 v65, v184, v100, -v69
	v_dual_add_f32 v9, v9, v13 :: v_dual_add_f32 v11, v11, v67
	v_dual_mul_f32 v19, v192, v105 :: v_dual_mul_f32 v21, v194, v107
	s_wait_loadcnt_dscnt 0xe09
	v_dual_mul_f32 v13, v203, v115 :: v_dual_fma_f32 v67, v190, v102, -v71
	s_delay_alu instid0(VALU_DEP_3) | instskip(NEXT) | instid1(VALU_DEP_3)
	v_dual_fmac_f32 v17, v191, v102 :: v_dual_add_f32 v9, v9, v15
	v_dual_add_f32 v11, v11, v65 :: v_dual_fmac_f32 v19, v193, v104
	v_dual_mul_f32 v15, v205, v117 :: v_dual_fma_f32 v65, v192, v104, -v73
	s_delay_alu instid0(VALU_DEP_2) | instskip(SKIP_3) | instid1(VALU_DEP_3)
	v_dual_add_f32 v9, v9, v17 :: v_dual_add_f32 v11, v11, v67
	v_dual_mul_f32 v23, v196, v109 :: v_dual_mul_f32 v25, v198, v111
	s_wait_loadcnt_dscnt 0xd08
	v_dual_mul_f32 v17, v207, v119 :: v_dual_fma_f32 v67, v194, v106, -v75
	v_dual_fmac_f32 v21, v195, v106 :: v_dual_add_f32 v9, v9, v19
	s_delay_alu instid0(VALU_DEP_3) | instskip(SKIP_1) | instid1(VALU_DEP_2)
	v_dual_add_f32 v11, v11, v65 :: v_dual_fmac_f32 v23, v197, v108
	v_dual_mul_f32 v19, v209, v121 :: v_dual_fma_f32 v65, v196, v108, -v77
	v_dual_add_f32 v9, v9, v21 :: v_dual_add_f32 v11, v11, v67
	v_dual_mul_f32 v27, v200, v113 :: v_dual_mul_f32 v29, v202, v115
	s_wait_loadcnt_dscnt 0xc07
	v_dual_mul_f32 v21, v211, v123 :: v_dual_fma_f32 v67, v198, v110, -v79
	s_delay_alu instid0(VALU_DEP_3) | instskip(NEXT) | instid1(VALU_DEP_3)
	v_dual_fmac_f32 v25, v199, v110 :: v_dual_add_f32 v9, v9, v23
	v_dual_add_f32 v11, v11, v65 :: v_dual_fmac_f32 v27, v201, v112
	v_dual_mul_f32 v23, v213, v125 :: v_dual_fma_f32 v63, v200, v112, -v63
	s_delay_alu instid0(VALU_DEP_2) | instskip(SKIP_3) | instid1(VALU_DEP_3)
	v_dual_add_f32 v9, v9, v25 :: v_dual_add_f32 v11, v11, v67
	v_dual_mul_f32 v31, v204, v117 :: v_dual_mul_f32 v33, v206, v119
	s_wait_loadcnt_dscnt 0xb06
	v_dual_mul_f32 v25, v215, v127 :: v_dual_fma_f32 v13, v202, v114, -v13
	v_dual_fmac_f32 v29, v203, v114 :: v_dual_add_f32 v9, v9, v27
	v_dual_add_f32 v11, v11, v63 :: v_dual_mul_f32 v27, v217, v129
	v_fmac_f32_e32 v31, v205, v116
	s_delay_alu instid0(VALU_DEP_3) | instskip(NEXT) | instid1(VALU_DEP_3)
	v_dual_fma_f32 v15, v204, v116, -v15 :: v_dual_add_f32 v9, v9, v29
	v_add_f32_e32 v11, v11, v13
	v_dual_mul_f32 v35, v208, v121 :: v_dual_mul_f32 v37, v210, v123
	s_wait_loadcnt_dscnt 0xa05
	v_dual_mul_f32 v13, v219, v131 :: v_dual_fma_f32 v17, v206, v118, -v17
	v_dual_fmac_f32 v33, v207, v118 :: v_dual_add_f32 v9, v9, v31
	v_dual_add_f32 v11, v11, v15 :: v_dual_mul_f32 v15, v221, v133
	v_fmac_f32_e32 v35, v209, v120
	s_delay_alu instid0(VALU_DEP_3) | instskip(NEXT) | instid1(VALU_DEP_3)
	v_dual_fma_f32 v19, v208, v120, -v19 :: v_dual_add_f32 v9, v9, v33
	v_add_f32_e32 v11, v11, v17
	;; [unrolled: 9-line block ×6, first 2 shown]
	v_dual_mul_f32 v55, v228, v141 :: v_dual_mul_f32 v57, v230, v143
	s_wait_loadcnt 0x5
	v_dual_mul_f32 v17, v167, v151 :: v_dual_fma_f32 v21, v226, v138, -v21
	v_dual_fmac_f32 v53, v227, v138 :: v_dual_add_f32 v9, v9, v51
	v_dual_add_f32 v11, v11, v19 :: v_dual_mov_b32 v94, v153
	v_fmac_f32_e32 v55, v229, v140
	s_delay_alu instid0(VALU_DEP_3) | instskip(NEXT) | instid1(VALU_DEP_3)
	v_dual_fma_f32 v19, v228, v140, -v23 :: v_dual_add_f32 v9, v9, v53
	v_add_f32_e32 v11, v11, v21
	v_dual_mul_f32 v59, v232, v145 :: v_dual_mul_f32 v61, v234, v147
	s_delay_alu instid0(VALU_DEP_3) | instskip(NEXT) | instid1(VALU_DEP_3)
	v_dual_fmac_f32 v57, v231, v142 :: v_dual_add_f32 v9, v9, v55
	v_dual_fma_f32 v21, v230, v142, -v25 :: v_dual_add_f32 v11, v11, v19
	s_wait_loadcnt 0x4
	v_dual_mov_b32 v98, v157 :: v_dual_fma_f32 v19, v232, v144, -v27
	v_fmac_f32_e32 v59, v233, v144
	v_dual_add_f32 v9, v9, v57 :: v_dual_fmac_f32 v61, v235, v146
	v_add_f32_e32 v11, v11, v21
	v_dual_mul_f32 v253, v236, v149 :: v_dual_mul_f32 v255, v166, v151
	s_delay_alu instid0(VALU_DEP_3) | instskip(NEXT) | instid1(VALU_DEP_2)
	v_dual_fma_f32 v13, v234, v146, -v13 :: v_dual_add_f32 v9, v9, v59
	v_dual_add_f32 v11, v11, v19 :: v_dual_fmac_f32 v253, v237, v148
	v_fma_f32 v252, v236, v148, -v15
	v_pk_mul_f32 v[94:95], v[244:245], v[94:95] op_sel_hi:[1,0]
	s_delay_alu instid0(VALU_DEP_4)
	v_add_f32_e32 v103, v9, v61
	s_wait_loadcnt 0x3
	v_dual_add_f32 v102, v11, v13 :: v_dual_mov_b32 v104, v161
	v_pk_mul_f32 v[96:97], v[170:171], v[154:155] op_sel:[1,1] op_sel_hi:[0,1]
	v_dual_fmac_f32 v255, v167, v150 :: v_dual_fma_f32 v254, v166, v150, -v17
	v_pk_fma_f32 v[106:107], v[168:169], v[152:153], v[94:95] op_sel_hi:[1,0,1]
	s_delay_alu instid0(VALU_DEP_4)
	v_pk_add_f32 v[102:103], v[102:103], v[252:253]
	v_pk_fma_f32 v[94:95], v[168:169], v[152:153], v[94:95] neg_lo:[0,0,1] neg_hi:[0,0,1]
	v_pk_fma_f32 v[108:109], v[170:171], v[154:155], v[96:97] op_sel_hi:[1,0,1]
	v_pk_mul_f32 v[98:99], v[246:247], v[98:99] op_sel_hi:[1,0]
	v_mov_b32_e32 v95, v107
	v_pk_add_f32 v[102:103], v[102:103], v[254:255]
	v_pk_fma_f32 v[96:97], v[170:171], v[154:155], v[96:97] neg_lo:[0,0,1] neg_hi:[0,0,1]
	v_pk_mul_f32 v[100:101], v[174:175], v[158:159] op_sel:[1,1] op_sel_hi:[0,1]
	v_mov_b32_e32 v97, v109
	v_pk_fma_f32 v[108:109], v[172:173], v[156:157], v[98:99] op_sel_hi:[1,0,1]
	v_pk_add_f32 v[94:95], v[102:103], v[94:95]
	v_pk_fma_f32 v[98:99], v[172:173], v[156:157], v[98:99] neg_lo:[0,0,1] neg_hi:[0,0,1]
	v_pk_fma_f32 v[102:103], v[174:175], v[158:159], v[100:101] op_sel_hi:[1,0,1]
	v_pk_mul_f32 v[104:105], v[248:249], v[104:105] op_sel_hi:[1,0]
	v_mov_b32_e32 v99, v109
	v_pk_add_f32 v[94:95], v[94:95], v[96:97]
	v_pk_fma_f32 v[100:101], v[174:175], v[158:159], v[100:101] neg_lo:[0,0,1] neg_hi:[0,0,1]
	s_wait_loadcnt 0x2
	v_pk_mul_f32 v[106:107], v[186:187], v[162:163] op_sel:[1,1] op_sel_hi:[0,1]
	v_dual_mov_b32 v96, v165 :: v_dual_mov_b32 v101, v103
	v_pk_fma_f32 v[102:103], v[176:177], v[160:161], v[104:105] op_sel_hi:[1,0,1]
	v_pk_add_f32 v[94:95], v[94:95], v[98:99]
	v_pk_fma_f32 v[104:105], v[176:177], v[160:161], v[104:105] neg_lo:[0,0,1] neg_hi:[0,0,1]
	v_pk_fma_f32 v[98:99], v[186:187], v[162:163], v[106:107] op_sel_hi:[1,0,1]
	v_pk_mul_f32 v[96:97], v[250:251], v[96:97] op_sel_hi:[1,0]
	v_mov_b32_e32 v105, v103
	v_pk_add_f32 v[94:95], v[94:95], v[100:101]
	v_pk_fma_f32 v[100:101], v[186:187], v[162:163], v[106:107] neg_lo:[0,0,1] neg_hi:[0,0,1]
	v_mov_b32_e32 v101, v99
	v_pk_fma_f32 v[98:99], v[188:189], v[164:165], v[96:97] op_sel_hi:[1,0,1]
	s_wait_loadcnt_dscnt 0x100
	v_pk_mul_f32 v[102:103], v[242:243], v[238:239] op_sel:[1,1] op_sel_hi:[0,1]
	v_pk_add_f32 v[94:95], v[94:95], v[104:105]
	v_pk_fma_f32 v[96:97], v[188:189], v[164:165], v[96:97] neg_lo:[0,0,1] neg_hi:[0,0,1]
	v_mov_b32_e32 v97, v99
	s_delay_alu instid0(VALU_DEP_4) | instskip(NEXT) | instid1(VALU_DEP_4)
	v_pk_fma_f32 v[98:99], v[242:243], v[238:239], v[102:103] op_sel_hi:[1,0,1]
	v_pk_add_f32 v[94:95], v[94:95], v[100:101]
	v_pk_fma_f32 v[100:101], v[242:243], v[238:239], v[102:103] neg_lo:[0,0,1] neg_hi:[0,0,1]
	s_delay_alu instid0(VALU_DEP_3) | instskip(NEXT) | instid1(VALU_DEP_3)
	v_mov_b32_e32 v101, v99
	v_pk_add_f32 v[94:95], v[94:95], v[96:97]
	s_delay_alu instid0(VALU_DEP_1) | instskip(SKIP_1) | instid1(VALU_DEP_1)
	v_pk_add_f32 v[94:95], v[94:95], v[100:101]
	s_wait_loadcnt 0x0
	v_pk_add_f32 v[94:95], v[240:241], v[94:95] neg_lo:[0,1] neg_hi:[0,1]
	scratch_store_b64 off, v[94:95], off offset:64
	s_wait_xcnt 0x0
	v_cmpx_lt_u32_e32 7, v0
	s_cbranch_execz .LBB109_275
; %bb.274:
	scratch_load_b64 v[94:95], off, off offset:56
	v_mov_b64_e32 v[96:97], 0
	scratch_store_b64 off, v[96:97], off offset:56
	s_wait_loadcnt 0x0
	ds_store_b64 v1, v[94:95]
.LBB109_275:
	s_wait_xcnt 0x0
	s_or_b32 exec_lo, exec_lo, s0
	s_wait_storecnt_dscnt 0x0
	s_barrier_signal -1
	s_barrier_wait -1
	s_clause 0x13
	scratch_load_b128 v[94:97], off, off offset:64
	scratch_load_b128 v[98:101], off, off offset:80
	;; [unrolled: 1-line block ×19, first 2 shown]
	scratch_load_b64 v[246:247], off, off offset:56
	ds_load_b128 v[170:173], v7 offset:672
	ds_load_b128 v[174:177], v7 offset:688
	;; [unrolled: 1-line block ×19, first 2 shown]
	s_mov_b32 s0, exec_lo
	s_wait_dscnt 0x12
	v_dual_mov_b32 v248, v173 :: v_dual_mov_b32 v249, v172
	s_wait_dscnt 0x11
	v_dual_mov_b32 v250, v177 :: v_dual_mov_b32 v251, v176
	s_wait_dscnt 0xf
	v_dual_mov_b32 v252, v185 :: v_dual_mov_b32 v253, v184
	s_wait_dscnt 0xe
	v_dual_mov_b32 v254, v189 :: v_dual_mov_b32 v255, v188
	s_wait_loadcnt_dscnt 0x130d
	v_dual_mul_f32 v7, v190, v95 :: v_dual_mul_f32 v9, v192, v97
	v_dual_mul_f32 v63, v191, v95 :: v_dual_mul_f32 v65, v193, v97
	s_wait_loadcnt_dscnt 0x120c
	v_dual_mul_f32 v11, v194, v99 :: v_dual_mul_f32 v13, v196, v101
	s_delay_alu instid0(VALU_DEP_3) | instskip(SKIP_3) | instid1(VALU_DEP_3)
	v_dual_fmac_f32 v7, v191, v94 :: v_dual_fmac_f32 v9, v193, v96
	s_wait_loadcnt_dscnt 0x100a
	v_dual_fma_f32 v63, v190, v94, -v63 :: v_dual_mul_f32 v75, v203, v107
	v_dual_mul_f32 v67, v195, v99 :: v_dual_mul_f32 v69, v197, v101
	v_dual_fma_f32 v65, v192, v96, -v65 :: v_dual_add_f32 v7, 0, v7
	s_delay_alu instid0(VALU_DEP_3) | instskip(SKIP_1) | instid1(VALU_DEP_3)
	v_dual_add_f32 v63, 0, v63 :: v_dual_mul_f32 v77, v205, v109
	v_dual_fmac_f32 v11, v195, v98 :: v_dual_fmac_f32 v13, v197, v100
	v_dual_fma_f32 v67, v194, v98, -v67 :: v_dual_add_f32 v7, v7, v9
	s_delay_alu instid0(VALU_DEP_3) | instskip(SKIP_2) | instid1(VALU_DEP_4)
	v_dual_add_f32 v9, v63, v65 :: v_dual_fma_f32 v65, v196, v100, -v69
	v_dual_mul_f32 v15, v198, v103 :: v_dual_mul_f32 v17, v200, v105
	v_dual_mul_f32 v71, v199, v103 :: v_dual_mul_f32 v73, v201, v105
	v_add_f32_e32 v7, v7, v11
	s_delay_alu instid0(VALU_DEP_3) | instskip(NEXT) | instid1(VALU_DEP_3)
	v_dual_add_f32 v9, v9, v67 :: v_dual_fmac_f32 v15, v199, v102
	v_fma_f32 v67, v198, v102, -v71
	v_dual_mul_f32 v19, v202, v107 :: v_dual_mul_f32 v21, v204, v109
	s_delay_alu instid0(VALU_DEP_4) | instskip(SKIP_2) | instid1(VALU_DEP_2)
	v_dual_add_f32 v7, v7, v13 :: v_dual_fmac_f32 v17, v201, v104
	s_wait_loadcnt_dscnt 0xe08
	v_dual_add_f32 v9, v9, v65 :: v_dual_mul_f32 v13, v211, v115
	v_dual_fma_f32 v65, v200, v104, -v73 :: v_dual_add_f32 v7, v7, v15
	v_mul_f32_e32 v15, v213, v117
	s_delay_alu instid0(VALU_DEP_3) | instskip(NEXT) | instid1(VALU_DEP_3)
	v_dual_add_f32 v9, v9, v67 :: v_dual_fmac_f32 v19, v203, v106
	v_dual_fma_f32 v67, v202, v106, -v75 :: v_dual_add_f32 v7, v7, v17
	v_fmac_f32_e32 v21, v205, v108
	s_wait_loadcnt_dscnt 0xd07
	s_delay_alu instid0(VALU_DEP_3) | instskip(SKIP_3) | instid1(VALU_DEP_3)
	v_dual_add_f32 v9, v9, v65 :: v_dual_mul_f32 v17, v215, v119
	v_dual_mul_f32 v23, v206, v111 :: v_dual_mul_f32 v25, v208, v113
	v_dual_mul_f32 v63, v207, v111 :: v_dual_mul_f32 v11, v209, v113
	v_dual_fma_f32 v65, v204, v108, -v77 :: v_dual_add_f32 v7, v7, v19
	v_dual_add_f32 v9, v9, v67 :: v_dual_fmac_f32 v23, v207, v110
	s_delay_alu instid0(VALU_DEP_3) | instskip(NEXT) | instid1(VALU_DEP_3)
	v_dual_mul_f32 v19, v217, v121 :: v_dual_fma_f32 v63, v206, v110, -v63
	v_dual_add_f32 v7, v7, v21 :: v_dual_fmac_f32 v25, v209, v112
	s_wait_loadcnt_dscnt 0xc06
	s_delay_alu instid0(VALU_DEP_3) | instskip(SKIP_1) | instid1(VALU_DEP_3)
	v_dual_add_f32 v9, v9, v65 :: v_dual_mul_f32 v21, v219, v123
	v_dual_mul_f32 v27, v210, v115 :: v_dual_mul_f32 v29, v212, v117
	v_dual_fma_f32 v11, v208, v112, -v11 :: v_dual_add_f32 v7, v7, v23
	s_delay_alu instid0(VALU_DEP_2) | instskip(SKIP_1) | instid1(VALU_DEP_2)
	v_dual_add_f32 v9, v9, v63 :: v_dual_fmac_f32 v27, v211, v114
	v_dual_mul_f32 v23, v221, v125 :: v_dual_fma_f32 v13, v210, v114, -v13
	v_dual_add_f32 v7, v7, v25 :: v_dual_add_f32 v9, v9, v11
	v_dual_mul_f32 v31, v214, v119 :: v_dual_mul_f32 v33, v216, v121
	s_wait_loadcnt_dscnt 0xb05
	v_dual_mul_f32 v11, v223, v127 :: v_dual_fmac_f32 v29, v213, v116
	s_delay_alu instid0(VALU_DEP_3) | instskip(NEXT) | instid1(VALU_DEP_3)
	v_dual_fma_f32 v15, v212, v116, -v15 :: v_dual_add_f32 v7, v7, v27
	v_dual_add_f32 v9, v9, v13 :: v_dual_fmac_f32 v31, v215, v118
	v_dual_mul_f32 v13, v225, v129 :: v_dual_fma_f32 v17, v214, v118, -v17
	s_delay_alu instid0(VALU_DEP_2) | instskip(SKIP_3) | instid1(VALU_DEP_3)
	v_dual_add_f32 v7, v7, v29 :: v_dual_add_f32 v9, v9, v15
	v_dual_mul_f32 v35, v218, v123 :: v_dual_mul_f32 v37, v220, v125
	s_wait_loadcnt_dscnt 0xa04
	v_dual_mul_f32 v15, v227, v131 :: v_dual_fmac_f32 v33, v217, v120
	v_dual_fma_f32 v19, v216, v120, -v19 :: v_dual_add_f32 v7, v7, v31
	s_delay_alu instid0(VALU_DEP_3) | instskip(SKIP_1) | instid1(VALU_DEP_2)
	v_dual_add_f32 v9, v9, v17 :: v_dual_fmac_f32 v35, v219, v122
	v_dual_mul_f32 v17, v229, v133 :: v_dual_fma_f32 v21, v218, v122, -v21
	v_dual_add_f32 v7, v7, v33 :: v_dual_add_f32 v9, v9, v19
	v_dual_mul_f32 v39, v222, v127 :: v_dual_mul_f32 v41, v224, v129
	s_wait_loadcnt_dscnt 0x903
	v_dual_mul_f32 v19, v231, v135 :: v_dual_fmac_f32 v37, v221, v124
	s_delay_alu instid0(VALU_DEP_3) | instskip(NEXT) | instid1(VALU_DEP_3)
	v_dual_fma_f32 v23, v220, v124, -v23 :: v_dual_add_f32 v7, v7, v35
	v_dual_add_f32 v9, v9, v21 :: v_dual_fmac_f32 v39, v223, v126
	v_dual_mul_f32 v21, v233, v137 :: v_dual_fma_f32 v11, v222, v126, -v11
	s_delay_alu instid0(VALU_DEP_2) | instskip(SKIP_3) | instid1(VALU_DEP_3)
	v_dual_add_f32 v7, v7, v37 :: v_dual_add_f32 v9, v9, v23
	v_dual_mul_f32 v43, v226, v131 :: v_dual_mul_f32 v45, v228, v133
	s_wait_loadcnt_dscnt 0x802
	v_dual_mul_f32 v23, v235, v139 :: v_dual_fmac_f32 v41, v225, v128
	v_dual_fma_f32 v13, v224, v128, -v13 :: v_dual_add_f32 v7, v7, v39
	s_delay_alu instid0(VALU_DEP_3) | instskip(SKIP_1) | instid1(VALU_DEP_3)
	v_dual_add_f32 v9, v9, v11 :: v_dual_fmac_f32 v43, v227, v130
	v_dual_mul_f32 v11, v237, v141 :: v_dual_fma_f32 v15, v226, v130, -v15
	v_dual_add_f32 v7, v7, v41 :: v_dual_fmac_f32 v45, v229, v132
	s_wait_loadcnt_dscnt 0x701
	s_delay_alu instid0(VALU_DEP_3) | instskip(SKIP_1) | instid1(VALU_DEP_3)
	v_dual_add_f32 v9, v9, v13 :: v_dual_mul_f32 v13, v239, v143
	v_dual_mul_f32 v47, v230, v135 :: v_dual_mul_f32 v49, v232, v137
	v_dual_fma_f32 v17, v228, v132, -v17 :: v_dual_add_f32 v7, v7, v43
	s_delay_alu instid0(VALU_DEP_2) | instskip(SKIP_1) | instid1(VALU_DEP_3)
	v_dual_add_f32 v9, v9, v15 :: v_dual_fmac_f32 v47, v231, v134
	v_dual_mul_f32 v15, v241, v145 :: v_dual_fma_f32 v19, v230, v134, -v19
	v_dual_add_f32 v7, v7, v45 :: v_dual_fmac_f32 v49, v233, v136
	s_wait_loadcnt_dscnt 0x600
	s_delay_alu instid0(VALU_DEP_3) | instskip(SKIP_1) | instid1(VALU_DEP_3)
	v_dual_add_f32 v9, v9, v17 :: v_dual_mul_f32 v17, v243, v147
	v_dual_mul_f32 v51, v234, v139 :: v_dual_mul_f32 v53, v236, v141
	v_dual_fma_f32 v21, v232, v136, -v21 :: v_dual_add_f32 v7, v7, v47
	s_delay_alu instid0(VALU_DEP_2) | instskip(SKIP_1) | instid1(VALU_DEP_3)
	v_dual_add_f32 v9, v9, v19 :: v_dual_fmac_f32 v51, v235, v138
	v_dual_mul_f32 v19, v245, v149 :: v_dual_fma_f32 v23, v234, v138, -v23
	v_dual_add_f32 v7, v7, v49 :: v_dual_fmac_f32 v53, v237, v140
	s_wait_loadcnt 0x5
	s_delay_alu instid0(VALU_DEP_3) | instskip(SKIP_1) | instid1(VALU_DEP_3)
	v_dual_add_f32 v9, v9, v21 :: v_dual_mul_f32 v21, v179, v151
	v_dual_mul_f32 v55, v238, v143 :: v_dual_mul_f32 v57, v240, v145
	v_dual_fma_f32 v11, v236, v140, -v11 :: v_dual_add_f32 v7, v7, v51
	s_delay_alu instid0(VALU_DEP_2) | instskip(SKIP_1) | instid1(VALU_DEP_2)
	v_dual_add_f32 v9, v9, v23 :: v_dual_fmac_f32 v55, v239, v142
	v_dual_mul_f32 v23, v181, v153 :: v_dual_fma_f32 v13, v238, v142, -v13
	v_dual_add_f32 v7, v7, v53 :: v_dual_add_f32 v9, v9, v11
	v_dual_mul_f32 v59, v242, v147 :: v_dual_mul_f32 v61, v244, v149
	v_dual_fmac_f32 v57, v241, v144 :: v_dual_fma_f32 v11, v240, v144, -v15
	s_delay_alu instid0(VALU_DEP_3) | instskip(SKIP_1) | instid1(VALU_DEP_3)
	v_dual_add_f32 v7, v7, v55 :: v_dual_add_f32 v9, v9, v13
	s_wait_loadcnt 0x4
	v_dual_mov_b32 v96, v157 :: v_dual_fmac_f32 v59, v243, v146
	s_delay_alu instid0(VALU_DEP_2) | instskip(NEXT) | instid1(VALU_DEP_3)
	v_dual_fma_f32 v13, v242, v146, -v17 :: v_dual_add_f32 v7, v7, v57
	v_dual_add_f32 v9, v9, v11 :: v_dual_fma_f32 v11, v244, v148, -v19
	s_set_vgpr_msb 64                       ;  msbs: dst=1 src0=0 src1=0 src2=0
	v_dual_mul_f32 v1 /*v257*/, v178, v151 :: v_dual_mul_f32 v3 /*v259*/, v180, v153
	s_set_vgpr_msb 0                        ;  msbs: dst=0 src0=0 src1=0 src2=0
	v_dual_fmac_f32 v61, v245, v148 :: v_dual_add_f32 v7, v7, v59
	v_add_f32_e32 v9, v9, v13
	v_pk_mul_f32 v[94:95], v[170:171], v[154:155] op_sel:[1,1] op_sel_hi:[0,1]
	s_wait_loadcnt 0x3
	v_mov_b32_e32 v100, v161
	s_set_vgpr_msb 64                       ;  msbs: dst=1 src0=0 src1=0 src2=0
	v_dual_fmac_f32 v1 /*v257*/, v179, v150 :: v_dual_fmac_f32 v3 /*v259*/, v181, v152
	v_dual_fma_f32 v0 /*v256*/, v178, v150, -v21 :: v_dual_fma_f32 v2 /*v258*/, v180, v152, -v23
	s_set_vgpr_msb 0                        ;  msbs: dst=0 src0=0 src1=0 src2=0
	v_dual_add_f32 v103, v7, v61 :: v_dual_add_f32 v102, v9, v11
	v_pk_fma_f32 v[104:105], v[170:171], v[154:155], v[94:95] op_sel_hi:[1,0,1]
	v_pk_mul_f32 v[96:97], v[248:249], v[96:97] op_sel_hi:[1,0]
	v_pk_fma_f32 v[94:95], v[170:171], v[154:155], v[94:95] neg_lo:[0,0,1] neg_hi:[0,0,1]
	v_pk_mul_f32 v[98:99], v[174:175], v[158:159] op_sel:[1,1] op_sel_hi:[0,1]
	s_set_vgpr_msb 4                        ;  msbs: dst=0 src0=0 src1=1 src2=0
	v_pk_add_f32 v[102:103], v[102:103], v[0:1] /*v[256:257]*/
	v_mov_b32_e32 v95, v105
	s_set_vgpr_msb 0                        ;  msbs: dst=0 src0=0 src1=0 src2=0
	v_pk_fma_f32 v[104:105], v[172:173], v[156:157], v[96:97] op_sel_hi:[1,0,1]
	v_pk_fma_f32 v[96:97], v[172:173], v[156:157], v[96:97] neg_lo:[0,0,1] neg_hi:[0,0,1]
	v_pk_fma_f32 v[108:109], v[174:175], v[158:159], v[98:99] op_sel_hi:[1,0,1]
	s_set_vgpr_msb 4                        ;  msbs: dst=0 src0=0 src1=1 src2=0
	v_pk_add_f32 v[102:103], v[102:103], v[2:3] /*v[258:259]*/
	s_set_vgpr_msb 0                        ;  msbs: dst=0 src0=0 src1=0 src2=0
	v_pk_mul_f32 v[100:101], v[250:251], v[100:101] op_sel_hi:[1,0]
	v_mov_b32_e32 v97, v105
	s_wait_loadcnt 0x2
	v_pk_mul_f32 v[106:107], v[182:183], v[162:163] op_sel:[1,1] op_sel_hi:[0,1]
	v_pk_fma_f32 v[98:99], v[174:175], v[158:159], v[98:99] neg_lo:[0,0,1] neg_hi:[0,0,1]
	v_pk_add_f32 v[94:95], v[102:103], v[94:95]
	v_dual_mov_b32 v102, v165 :: v_dual_mov_b32 v99, v109
	v_pk_fma_f32 v[104:105], v[176:177], v[160:161], v[100:101] op_sel_hi:[1,0,1]
	v_pk_fma_f32 v[100:101], v[176:177], v[160:161], v[100:101] neg_lo:[0,0,1] neg_hi:[0,0,1]
	s_delay_alu instid0(VALU_DEP_4)
	v_pk_add_f32 v[94:95], v[94:95], v[96:97]
	v_pk_fma_f32 v[96:97], v[182:183], v[162:163], v[106:107] op_sel_hi:[1,0,1]
	v_pk_mul_f32 v[102:103], v[252:253], v[102:103] op_sel_hi:[1,0]
	v_mov_b32_e32 v101, v105
	v_pk_fma_f32 v[104:105], v[182:183], v[162:163], v[106:107] neg_lo:[0,0,1] neg_hi:[0,0,1]
	v_pk_add_f32 v[94:95], v[94:95], v[98:99]
	v_mov_b32_e32 v105, v97
	v_pk_fma_f32 v[96:97], v[184:185], v[164:165], v[102:103] op_sel_hi:[1,0,1]
	s_wait_loadcnt 0x1
	v_pk_mul_f32 v[98:99], v[186:187], v[166:167] op_sel:[1,1] op_sel_hi:[0,1]
	v_mov_b32_e32 v96, v169
	v_pk_add_f32 v[94:95], v[94:95], v[100:101]
	v_pk_fma_f32 v[102:103], v[184:185], v[164:165], v[102:103] neg_lo:[0,0,1] neg_hi:[0,0,1]
	v_mov_b32_e32 v103, v97
	v_pk_fma_f32 v[100:101], v[186:187], v[166:167], v[98:99] op_sel_hi:[1,0,1]
	v_pk_mul_f32 v[96:97], v[254:255], v[96:97] op_sel_hi:[1,0]
	v_pk_add_f32 v[94:95], v[94:95], v[104:105]
	v_pk_fma_f32 v[98:99], v[186:187], v[166:167], v[98:99] neg_lo:[0,0,1] neg_hi:[0,0,1]
	s_delay_alu instid0(VALU_DEP_4) | instskip(NEXT) | instid1(VALU_DEP_4)
	v_mov_b32_e32 v99, v101
	v_pk_fma_f32 v[100:101], v[188:189], v[168:169], v[96:97] op_sel_hi:[1,0,1]
	s_delay_alu instid0(VALU_DEP_4) | instskip(SKIP_1) | instid1(VALU_DEP_3)
	v_pk_add_f32 v[94:95], v[94:95], v[102:103]
	v_pk_fma_f32 v[96:97], v[188:189], v[168:169], v[96:97] neg_lo:[0,0,1] neg_hi:[0,0,1]
	v_mov_b32_e32 v97, v101
	s_delay_alu instid0(VALU_DEP_3) | instskip(NEXT) | instid1(VALU_DEP_1)
	v_pk_add_f32 v[94:95], v[94:95], v[98:99]
	v_pk_add_f32 v[94:95], v[94:95], v[96:97]
	s_wait_loadcnt 0x0
	s_delay_alu instid0(VALU_DEP_1)
	v_pk_add_f32 v[94:95], v[246:247], v[94:95] neg_lo:[0,1] neg_hi:[0,1]
	scratch_store_b64 off, v[94:95], off offset:56
	s_wait_xcnt 0x0
	v_cmpx_lt_u32_e32 6, v0
	s_cbranch_execz .LBB109_277
; %bb.276:
	scratch_load_b64 v[94:95], off, off offset:48
	v_mov_b64_e32 v[96:97], 0
	scratch_store_b64 off, v[96:97], off offset:48
	s_wait_loadcnt 0x0
	ds_store_b64 v1, v[94:95]
.LBB109_277:
	s_wait_xcnt 0x0
	s_or_b32 exec_lo, exec_lo, s0
	s_wait_storecnt_dscnt 0x0
	s_barrier_signal -1
	s_barrier_wait -1
	s_clause 0x14
	scratch_load_b128 v[94:97], off, off offset:56
	scratch_load_b128 v[98:101], off, off offset:72
	;; [unrolled: 1-line block ×19, first 2 shown]
	scratch_load_b64 v[246:247], off, off offset:360
	scratch_load_b64 v[248:249], off, off offset:48
	v_mov_b32_e32 v7, 0
	ds_load_2addr_b64 v[170:173], v7 offset0:83 offset1:84
	ds_load_2addr_b64 v[174:177], v7 offset0:81 offset1:82
	;; [unrolled: 1-line block ×19, first 2 shown]
	ds_load_b64 v[250:251], v7 offset:728
	s_wait_dscnt 0x13
	v_dual_mov_b32 v252, v173 :: v_dual_mov_b32 v253, v172
	s_wait_dscnt 0x11
	v_dual_mov_b32 v254, v181 :: v_dual_mov_b32 v255, v180
	s_wait_dscnt 0x10
	s_set_vgpr_msb 64                       ;  msbs: dst=1 src0=0 src1=0 src2=0
	v_dual_mov_b32 v0 /*v256*/, v185 :: v_dual_mov_b32 v1 /*v257*/, v184
	s_wait_dscnt 0xd
	v_dual_mov_b32 v2 /*v258*/, v197 :: v_dual_mov_b32 v3 /*v259*/, v196
	s_mov_b32 s0, exec_lo
	s_wait_loadcnt 0x14
	s_set_vgpr_msb 0                        ;  msbs: dst=0 src0=0 src1=0 src2=0
	v_dual_mul_f32 v9, v186, v95 :: v_dual_mul_f32 v67, v187, v95
	v_dual_mul_f32 v69, v189, v97 :: v_dual_mul_f32 v11, v188, v97
	s_wait_loadcnt 0x13
	v_mul_f32_e32 v13, v190, v99
	s_wait_loadcnt_dscnt 0x110b
	v_dual_mul_f32 v79, v203, v107 :: v_dual_fma_f32 v67, v186, v94, -v67
	v_dual_fmac_f32 v9, v187, v94 :: v_dual_mul_f32 v81, v205, v109
	v_dual_mul_f32 v71, v191, v99 :: v_dual_mul_f32 v73, v193, v101
	v_dual_fmac_f32 v11, v189, v96 :: v_dual_fma_f32 v69, v188, v96, -v69
	s_delay_alu instid0(VALU_DEP_3) | instskip(SKIP_3) | instid1(VALU_DEP_3)
	v_dual_add_f32 v9, 0, v9 :: v_dual_add_f32 v67, 0, v67
	v_dual_mul_f32 v15, v192, v101 :: v_dual_mul_f32 v17, v198, v103
	s_wait_loadcnt_dscnt 0x100a
	v_dual_mul_f32 v83, v207, v111 :: v_dual_fma_f32 v71, v190, v98, -v71
	v_dual_fmac_f32 v13, v191, v98 :: v_dual_add_f32 v9, v9, v11
	s_delay_alu instid0(VALU_DEP_3) | instskip(SKIP_2) | instid1(VALU_DEP_3)
	v_dual_add_f32 v11, v67, v69 :: v_dual_fmac_f32 v15, v193, v100
	v_dual_mul_f32 v75, v199, v103 :: v_dual_mul_f32 v77, v201, v105
	v_dual_mul_f32 v67, v209, v113 :: v_dual_fma_f32 v69, v192, v100, -v73
	v_dual_add_f32 v9, v9, v13 :: v_dual_add_f32 v11, v11, v71
	v_dual_mul_f32 v19, v200, v105 :: v_dual_mul_f32 v21, v202, v107
	s_wait_loadcnt_dscnt 0xf09
	v_dual_mul_f32 v13, v211, v115 :: v_dual_fma_f32 v71, v198, v102, -v75
	s_delay_alu instid0(VALU_DEP_3) | instskip(NEXT) | instid1(VALU_DEP_3)
	v_dual_fmac_f32 v17, v199, v102 :: v_dual_add_f32 v9, v9, v15
	v_dual_add_f32 v11, v11, v69 :: v_dual_fmac_f32 v19, v201, v104
	v_dual_mul_f32 v15, v213, v117 :: v_dual_fma_f32 v69, v200, v104, -v77
	s_delay_alu instid0(VALU_DEP_2) | instskip(SKIP_3) | instid1(VALU_DEP_3)
	v_dual_add_f32 v9, v9, v17 :: v_dual_add_f32 v11, v11, v71
	v_dual_mul_f32 v23, v204, v109 :: v_dual_mul_f32 v25, v206, v111
	s_wait_loadcnt_dscnt 0xe08
	v_dual_mul_f32 v17, v215, v119 :: v_dual_fma_f32 v71, v202, v106, -v79
	v_dual_fmac_f32 v21, v203, v106 :: v_dual_add_f32 v9, v9, v19
	s_delay_alu instid0(VALU_DEP_3) | instskip(SKIP_1) | instid1(VALU_DEP_2)
	v_dual_add_f32 v11, v11, v69 :: v_dual_fmac_f32 v23, v205, v108
	v_dual_mul_f32 v19, v217, v121 :: v_dual_fma_f32 v69, v204, v108, -v81
	v_dual_add_f32 v9, v9, v21 :: v_dual_add_f32 v11, v11, v71
	v_dual_mul_f32 v27, v208, v113 :: v_dual_mul_f32 v29, v210, v115
	s_wait_loadcnt_dscnt 0xd07
	v_dual_mul_f32 v21, v219, v123 :: v_dual_fma_f32 v71, v206, v110, -v83
	s_delay_alu instid0(VALU_DEP_3) | instskip(NEXT) | instid1(VALU_DEP_3)
	v_dual_fmac_f32 v25, v207, v110 :: v_dual_add_f32 v9, v9, v23
	v_dual_add_f32 v11, v11, v69 :: v_dual_fmac_f32 v27, v209, v112
	v_dual_mul_f32 v23, v221, v125 :: v_dual_fma_f32 v67, v208, v112, -v67
	s_delay_alu instid0(VALU_DEP_2) | instskip(SKIP_3) | instid1(VALU_DEP_3)
	v_dual_add_f32 v9, v9, v25 :: v_dual_add_f32 v11, v11, v71
	v_dual_mul_f32 v31, v212, v117 :: v_dual_mul_f32 v33, v214, v119
	s_wait_loadcnt_dscnt 0xc06
	v_dual_mul_f32 v25, v223, v127 :: v_dual_fma_f32 v13, v210, v114, -v13
	v_dual_fmac_f32 v29, v211, v114 :: v_dual_add_f32 v9, v9, v27
	v_dual_add_f32 v11, v11, v67 :: v_dual_mul_f32 v27, v225, v129
	v_fmac_f32_e32 v31, v213, v116
	s_delay_alu instid0(VALU_DEP_3) | instskip(NEXT) | instid1(VALU_DEP_3)
	v_dual_fma_f32 v15, v212, v116, -v15 :: v_dual_add_f32 v9, v9, v29
	v_add_f32_e32 v11, v11, v13
	v_dual_mul_f32 v35, v216, v121 :: v_dual_mul_f32 v37, v218, v123
	s_wait_loadcnt_dscnt 0xb05
	v_dual_mul_f32 v13, v227, v131 :: v_dual_fma_f32 v17, v214, v118, -v17
	v_dual_fmac_f32 v33, v215, v118 :: v_dual_add_f32 v9, v9, v31
	v_dual_add_f32 v11, v11, v15 :: v_dual_mul_f32 v15, v229, v133
	v_fmac_f32_e32 v35, v217, v120
	s_delay_alu instid0(VALU_DEP_3) | instskip(NEXT) | instid1(VALU_DEP_3)
	v_dual_fma_f32 v19, v216, v120, -v19 :: v_dual_add_f32 v9, v9, v33
	v_add_f32_e32 v11, v11, v17
	v_dual_mul_f32 v39, v220, v125 :: v_dual_mul_f32 v41, v222, v127
	s_wait_loadcnt_dscnt 0xa04
	v_dual_mul_f32 v17, v231, v135 :: v_dual_fma_f32 v21, v218, v122, -v21
	v_dual_fmac_f32 v37, v219, v122 :: v_dual_add_f32 v9, v9, v35
	v_dual_add_f32 v11, v11, v19 :: v_dual_mul_f32 v19, v233, v137
	v_fmac_f32_e32 v39, v221, v124
	s_delay_alu instid0(VALU_DEP_3) | instskip(NEXT) | instid1(VALU_DEP_3)
	v_dual_fma_f32 v23, v220, v124, -v23 :: v_dual_add_f32 v9, v9, v37
	v_add_f32_e32 v11, v11, v21
	v_dual_mul_f32 v43, v224, v129 :: v_dual_mul_f32 v45, v226, v131
	s_wait_loadcnt_dscnt 0x903
	v_dual_mul_f32 v21, v235, v139 :: v_dual_fma_f32 v25, v222, v126, -v25
	v_dual_fmac_f32 v41, v223, v126 :: v_dual_add_f32 v9, v9, v39
	v_dual_add_f32 v11, v11, v23 :: v_dual_mul_f32 v23, v237, v141
	v_fmac_f32_e32 v43, v225, v128
	s_delay_alu instid0(VALU_DEP_3) | instskip(NEXT) | instid1(VALU_DEP_3)
	v_dual_fma_f32 v27, v224, v128, -v27 :: v_dual_add_f32 v9, v9, v41
	v_add_f32_e32 v11, v11, v25
	v_dual_mul_f32 v47, v228, v133 :: v_dual_mul_f32 v49, v230, v135
	s_wait_loadcnt_dscnt 0x802
	v_dual_mul_f32 v25, v239, v143 :: v_dual_fma_f32 v13, v226, v130, -v13
	v_dual_fmac_f32 v45, v227, v130 :: v_dual_add_f32 v9, v9, v43
	v_dual_add_f32 v11, v11, v27 :: v_dual_mul_f32 v27, v241, v145
	v_fmac_f32_e32 v47, v229, v132
	s_delay_alu instid0(VALU_DEP_3) | instskip(NEXT) | instid1(VALU_DEP_3)
	v_dual_fma_f32 v15, v228, v132, -v15 :: v_dual_add_f32 v9, v9, v45
	v_add_f32_e32 v11, v11, v13
	v_dual_mul_f32 v51, v232, v137 :: v_dual_mul_f32 v53, v234, v139
	s_wait_loadcnt_dscnt 0x701
	v_dual_mul_f32 v13, v243, v147 :: v_dual_fma_f32 v17, v230, v134, -v17
	v_dual_fmac_f32 v49, v231, v134 :: v_dual_add_f32 v9, v9, v47
	v_dual_add_f32 v11, v11, v15 :: v_dual_mul_f32 v15, v245, v149
	v_fmac_f32_e32 v51, v233, v136
	s_delay_alu instid0(VALU_DEP_3) | instskip(NEXT) | instid1(VALU_DEP_3)
	v_dual_fma_f32 v19, v232, v136, -v19 :: v_dual_add_f32 v9, v9, v49
	v_add_f32_e32 v11, v11, v17
	v_dual_mul_f32 v55, v236, v141 :: v_dual_mul_f32 v57, v238, v143
	s_wait_loadcnt 0x6
	v_dual_mul_f32 v17, v175, v151 :: v_dual_fma_f32 v21, v234, v138, -v21
	v_dual_fmac_f32 v53, v235, v138 :: v_dual_add_f32 v9, v9, v51
	v_dual_add_f32 v11, v11, v19 :: v_dual_mul_f32 v19, v177, v153
	v_fmac_f32_e32 v55, v237, v140
	s_delay_alu instid0(VALU_DEP_3) | instskip(NEXT) | instid1(VALU_DEP_3)
	v_dual_fma_f32 v23, v236, v140, -v23 :: v_dual_add_f32 v9, v9, v53
	v_add_f32_e32 v11, v11, v21
	v_dual_mul_f32 v59, v240, v145 :: v_dual_mul_f32 v61, v242, v147
	s_wait_loadcnt 0x5
	v_dual_mul_f32 v21, v171, v155 :: v_dual_fma_f32 v25, v238, v142, -v25
	v_dual_fmac_f32 v57, v239, v142 :: v_dual_add_f32 v9, v9, v55
	v_dual_add_f32 v11, v11, v23 :: v_dual_mov_b32 v94, v157
	v_fmac_f32_e32 v59, v241, v144
	s_delay_alu instid0(VALU_DEP_3) | instskip(NEXT) | instid1(VALU_DEP_3)
	v_dual_fma_f32 v23, v240, v144, -v27 :: v_dual_add_f32 v9, v9, v57
	v_add_f32_e32 v11, v11, v25
	v_dual_mul_f32 v63, v244, v149 :: v_dual_mul_f32 v65, v174, v151
	s_delay_alu instid0(VALU_DEP_3) | instskip(NEXT) | instid1(VALU_DEP_3)
	v_dual_fmac_f32 v61, v243, v146 :: v_dual_add_f32 v9, v9, v59
	v_dual_fma_f32 v13, v242, v146, -v13 :: v_dual_add_f32 v11, v11, v23
	s_wait_loadcnt 0x4
	v_dual_mov_b32 v98, v161 :: v_dual_fma_f32 v15, v244, v148, -v15
	v_fmac_f32_e32 v63, v245, v148
	v_dual_add_f32 v9, v9, v61 :: v_dual_fmac_f32 v65, v175, v150
	v_add_f32_e32 v11, v11, v13
	s_set_vgpr_msb 64                       ;  msbs: dst=1 src0=0 src1=0 src2=0
	v_dual_mul_f32 v5 /*v261*/, v176, v153 :: v_dual_mul_f32 v7 /*v263*/, v170, v155
	s_set_vgpr_msb 0                        ;  msbs: dst=0 src0=0 src1=0 src2=0
	v_dual_fma_f32 v13, v174, v150, -v17 :: v_dual_add_f32 v9, v9, v63
	v_add_f32_e32 v11, v11, v15
	s_set_vgpr_msb 64                       ;  msbs: dst=1 src0=0 src1=0 src2=0
	v_dual_fmac_f32 v5 /*v261*/, v177, v152 :: v_dual_fmac_f32 v7 /*v263*/, v171, v154
	v_dual_fma_f32 v4 /*v260*/, v176, v152, -v19 :: v_dual_fma_f32 v6 /*v262*/, v170, v154, -v21
	s_set_vgpr_msb 0                        ;  msbs: dst=0 src0=0 src1=0 src2=0
	v_pk_mul_f32 v[94:95], v[252:253], v[94:95] op_sel_hi:[1,0]
	v_add_f32_e32 v103, v9, v65
	s_wait_loadcnt 0x3
	v_dual_add_f32 v102, v11, v13 :: v_dual_mov_b32 v104, v165
	v_pk_mul_f32 v[96:97], v[178:179], v[158:159] op_sel:[1,1] op_sel_hi:[0,1]
	v_pk_fma_f32 v[106:107], v[172:173], v[156:157], v[94:95] op_sel_hi:[1,0,1]
	v_pk_fma_f32 v[94:95], v[172:173], v[156:157], v[94:95] neg_lo:[0,0,1] neg_hi:[0,0,1]
	s_set_vgpr_msb 4                        ;  msbs: dst=0 src0=0 src1=1 src2=0
	v_pk_add_f32 v[102:103], v[102:103], v[4:5] /*v[260:261]*/
	s_set_vgpr_msb 0                        ;  msbs: dst=0 src0=0 src1=0 src2=0
	v_pk_mul_f32 v[98:99], v[254:255], v[98:99] op_sel_hi:[1,0]
	v_pk_fma_f32 v[108:109], v[178:179], v[158:159], v[96:97] op_sel_hi:[1,0,1]
	v_mov_b32_e32 v95, v107
	v_pk_fma_f32 v[96:97], v[178:179], v[158:159], v[96:97] neg_lo:[0,0,1] neg_hi:[0,0,1]
	s_set_vgpr_msb 4                        ;  msbs: dst=0 src0=0 src1=1 src2=0
	v_pk_add_f32 v[102:103], v[102:103], v[6:7] /*v[262:263]*/
	s_set_vgpr_msb 0                        ;  msbs: dst=0 src0=0 src1=0 src2=0
	v_pk_mul_f32 v[100:101], v[182:183], v[162:163] op_sel:[1,1] op_sel_hi:[0,1]
	v_mov_b32_e32 v97, v109
	v_pk_fma_f32 v[108:109], v[180:181], v[160:161], v[98:99] op_sel_hi:[1,0,1]
	v_pk_fma_f32 v[98:99], v[180:181], v[160:161], v[98:99] neg_lo:[0,0,1] neg_hi:[0,0,1]
	v_pk_add_f32 v[94:95], v[102:103], v[94:95]
	v_pk_fma_f32 v[102:103], v[182:183], v[162:163], v[100:101] op_sel_hi:[1,0,1]
	s_set_vgpr_msb 1                        ;  msbs: dst=0 src0=1 src1=0 src2=0
	v_pk_mul_f32 v[104:105], v[0:1] /*v[256:257]*/, v[104:105] op_sel_hi:[1,0]
	s_set_vgpr_msb 0                        ;  msbs: dst=0 src0=0 src1=0 src2=0
	v_mov_b32_e32 v99, v109
	v_pk_fma_f32 v[100:101], v[182:183], v[162:163], v[100:101] neg_lo:[0,0,1] neg_hi:[0,0,1]
	v_pk_add_f32 v[94:95], v[94:95], v[96:97]
	s_wait_loadcnt 0x2
	v_pk_mul_f32 v[106:107], v[194:195], v[166:167] op_sel:[1,1] op_sel_hi:[0,1]
	v_dual_mov_b32 v96, v169 :: v_dual_mov_b32 v101, v103
	v_pk_fma_f32 v[102:103], v[184:185], v[164:165], v[104:105] op_sel_hi:[1,0,1]
	v_pk_add_f32 v[94:95], v[94:95], v[98:99]
	v_pk_fma_f32 v[104:105], v[184:185], v[164:165], v[104:105] neg_lo:[0,0,1] neg_hi:[0,0,1]
	v_pk_fma_f32 v[98:99], v[194:195], v[166:167], v[106:107] op_sel_hi:[1,0,1]
	s_set_vgpr_msb 1                        ;  msbs: dst=0 src0=1 src1=0 src2=0
	v_pk_mul_f32 v[96:97], v[2:3] /*v[258:259]*/, v[96:97] op_sel_hi:[1,0]
	s_set_vgpr_msb 0                        ;  msbs: dst=0 src0=0 src1=0 src2=0
	v_mov_b32_e32 v105, v103
	v_pk_add_f32 v[94:95], v[94:95], v[100:101]
	v_pk_fma_f32 v[100:101], v[194:195], v[166:167], v[106:107] neg_lo:[0,0,1] neg_hi:[0,0,1]
	v_mov_b32_e32 v101, v99
	v_pk_fma_f32 v[98:99], v[196:197], v[168:169], v[96:97] op_sel_hi:[1,0,1]
	s_wait_loadcnt_dscnt 0x100
	v_pk_mul_f32 v[102:103], v[250:251], v[246:247] op_sel:[1,1] op_sel_hi:[0,1]
	v_pk_add_f32 v[94:95], v[94:95], v[104:105]
	v_pk_fma_f32 v[96:97], v[196:197], v[168:169], v[96:97] neg_lo:[0,0,1] neg_hi:[0,0,1]
	v_mov_b32_e32 v97, v99
	s_delay_alu instid0(VALU_DEP_4) | instskip(NEXT) | instid1(VALU_DEP_4)
	v_pk_fma_f32 v[98:99], v[250:251], v[246:247], v[102:103] op_sel_hi:[1,0,1]
	v_pk_add_f32 v[94:95], v[94:95], v[100:101]
	v_pk_fma_f32 v[100:101], v[250:251], v[246:247], v[102:103] neg_lo:[0,0,1] neg_hi:[0,0,1]
	s_delay_alu instid0(VALU_DEP_3) | instskip(NEXT) | instid1(VALU_DEP_3)
	v_mov_b32_e32 v101, v99
	v_pk_add_f32 v[94:95], v[94:95], v[96:97]
	s_delay_alu instid0(VALU_DEP_1) | instskip(SKIP_1) | instid1(VALU_DEP_1)
	v_pk_add_f32 v[94:95], v[94:95], v[100:101]
	s_wait_loadcnt 0x0
	v_pk_add_f32 v[94:95], v[248:249], v[94:95] neg_lo:[0,1] neg_hi:[0,1]
	scratch_store_b64 off, v[94:95], off offset:48
	s_wait_xcnt 0x0
	v_cmpx_lt_u32_e32 5, v0
	s_cbranch_execz .LBB109_279
; %bb.278:
	scratch_load_b64 v[94:95], off, off offset:40
	v_mov_b64_e32 v[96:97], 0
	scratch_store_b64 off, v[96:97], off offset:40
	s_wait_loadcnt 0x0
	ds_store_b64 v1, v[94:95]
.LBB109_279:
	s_wait_xcnt 0x0
	s_or_b32 exec_lo, exec_lo, s0
	s_wait_storecnt_dscnt 0x0
	s_barrier_signal -1
	s_barrier_wait -1
	s_clause 0x14
	scratch_load_b128 v[94:97], off, off offset:48
	scratch_load_b128 v[98:101], off, off offset:64
	scratch_load_b128 v[102:105], off, off offset:80
	scratch_load_b128 v[106:109], off, off offset:96
	scratch_load_b128 v[110:113], off, off offset:112
	scratch_load_b128 v[114:117], off, off offset:128
	scratch_load_b128 v[118:121], off, off offset:144
	scratch_load_b128 v[122:125], off, off offset:160
	scratch_load_b128 v[126:129], off, off offset:176
	scratch_load_b128 v[130:133], off, off offset:192
	scratch_load_b128 v[134:137], off, off offset:208
	scratch_load_b128 v[138:141], off, off offset:224
	scratch_load_b128 v[142:145], off, off offset:240
	scratch_load_b128 v[146:149], off, off offset:256
	scratch_load_b128 v[150:153], off, off offset:272
	scratch_load_b128 v[154:157], off, off offset:288
	scratch_load_b128 v[158:161], off, off offset:304
	scratch_load_b128 v[162:165], off, off offset:320
	scratch_load_b128 v[166:169], off, off offset:336
	scratch_load_b128 v[170:173], off, off offset:352
	scratch_load_b64 v[254:255], off, off offset:40
	ds_load_b128 v[174:177], v7 offset:672
	ds_load_b128 v[178:181], v7 offset:688
	;; [unrolled: 1-line block ×20, first 2 shown]
	s_wait_dscnt 0x13
	s_set_vgpr_msb 64                       ;  msbs: dst=1 src0=0 src1=0 src2=0
	v_dual_mov_b32 v0 /*v256*/, v177 :: v_dual_mov_b32 v1 /*v257*/, v176
	s_wait_dscnt 0x12
	v_dual_mov_b32 v2 /*v258*/, v181 :: v_dual_mov_b32 v3 /*v259*/, v180
	s_wait_dscnt 0xf
	;; [unrolled: 2-line block ×3, first 2 shown]
	v_dual_mov_b32 v6 /*v262*/, v197 :: v_dual_mov_b32 v7 /*v263*/, v196
	s_mov_b32 s0, exec_lo
	s_wait_loadcnt 0x14
	s_set_vgpr_msb 0                        ;  msbs: dst=0 src0=0 src1=0 src2=0
	v_dual_mul_f32 v7, v182, v95 :: v_dual_mul_f32 v9, v184, v97
	v_dual_mul_f32 v67, v183, v95 :: v_dual_mul_f32 v69, v185, v97
	s_wait_loadcnt 0x13
	v_dual_mul_f32 v11, v186, v99 :: v_dual_mul_f32 v13, v188, v101
	s_delay_alu instid0(VALU_DEP_3) | instskip(SKIP_3) | instid1(VALU_DEP_3)
	v_dual_fmac_f32 v7, v183, v94 :: v_dual_fmac_f32 v9, v185, v96
	s_wait_loadcnt_dscnt 0x110c
	v_dual_fma_f32 v67, v182, v94, -v67 :: v_dual_mul_f32 v79, v203, v107
	v_dual_mul_f32 v71, v187, v99 :: v_dual_mul_f32 v73, v189, v101
	v_dual_fma_f32 v69, v184, v96, -v69 :: v_dual_add_f32 v7, 0, v7
	s_delay_alu instid0(VALU_DEP_3) | instskip(SKIP_1) | instid1(VALU_DEP_3)
	v_dual_add_f32 v67, 0, v67 :: v_dual_mul_f32 v81, v205, v109
	v_dual_fmac_f32 v11, v187, v98 :: v_dual_fmac_f32 v13, v189, v100
	v_dual_fma_f32 v71, v186, v98, -v71 :: v_dual_add_f32 v7, v7, v9
	s_delay_alu instid0(VALU_DEP_3) | instskip(SKIP_2) | instid1(VALU_DEP_4)
	v_dual_add_f32 v9, v67, v69 :: v_dual_fma_f32 v69, v188, v100, -v73
	v_dual_mul_f32 v15, v198, v103 :: v_dual_mul_f32 v17, v200, v105
	v_dual_mul_f32 v75, v199, v103 :: v_dual_mul_f32 v77, v201, v105
	v_add_f32_e32 v7, v7, v11
	s_delay_alu instid0(VALU_DEP_3) | instskip(NEXT) | instid1(VALU_DEP_3)
	v_dual_add_f32 v9, v9, v71 :: v_dual_fmac_f32 v15, v199, v102
	v_fma_f32 v71, v198, v102, -v75
	v_dual_mul_f32 v19, v202, v107 :: v_dual_mul_f32 v21, v204, v109
	s_delay_alu instid0(VALU_DEP_4) | instskip(SKIP_2) | instid1(VALU_DEP_2)
	v_dual_add_f32 v7, v7, v13 :: v_dual_fmac_f32 v17, v201, v104
	s_wait_loadcnt_dscnt 0xf0a
	v_dual_add_f32 v9, v9, v69 :: v_dual_mul_f32 v13, v211, v115
	v_dual_fma_f32 v69, v200, v104, -v77 :: v_dual_add_f32 v7, v7, v15
	v_mul_f32_e32 v15, v213, v117
	s_delay_alu instid0(VALU_DEP_3) | instskip(NEXT) | instid1(VALU_DEP_3)
	v_dual_add_f32 v9, v9, v71 :: v_dual_fmac_f32 v19, v203, v106
	v_dual_fma_f32 v71, v202, v106, -v79 :: v_dual_add_f32 v7, v7, v17
	v_fmac_f32_e32 v21, v205, v108
	s_wait_loadcnt_dscnt 0xe09
	s_delay_alu instid0(VALU_DEP_3) | instskip(SKIP_3) | instid1(VALU_DEP_3)
	v_dual_add_f32 v9, v9, v69 :: v_dual_mul_f32 v17, v215, v119
	v_dual_mul_f32 v23, v206, v111 :: v_dual_mul_f32 v25, v208, v113
	v_dual_mul_f32 v67, v207, v111 :: v_dual_mul_f32 v11, v209, v113
	v_dual_fma_f32 v69, v204, v108, -v81 :: v_dual_add_f32 v7, v7, v19
	v_dual_add_f32 v9, v9, v71 :: v_dual_fmac_f32 v23, v207, v110
	s_delay_alu instid0(VALU_DEP_3) | instskip(NEXT) | instid1(VALU_DEP_3)
	v_dual_mul_f32 v19, v217, v121 :: v_dual_fma_f32 v67, v206, v110, -v67
	v_dual_add_f32 v7, v7, v21 :: v_dual_fmac_f32 v25, v209, v112
	s_wait_loadcnt_dscnt 0xd08
	s_delay_alu instid0(VALU_DEP_3) | instskip(SKIP_1) | instid1(VALU_DEP_3)
	v_dual_add_f32 v9, v9, v69 :: v_dual_mul_f32 v21, v219, v123
	v_dual_mul_f32 v27, v210, v115 :: v_dual_mul_f32 v29, v212, v117
	v_dual_fma_f32 v11, v208, v112, -v11 :: v_dual_add_f32 v7, v7, v23
	s_delay_alu instid0(VALU_DEP_2) | instskip(SKIP_1) | instid1(VALU_DEP_2)
	v_dual_add_f32 v9, v9, v67 :: v_dual_fmac_f32 v27, v211, v114
	v_dual_mul_f32 v23, v221, v125 :: v_dual_fma_f32 v13, v210, v114, -v13
	v_dual_add_f32 v7, v7, v25 :: v_dual_add_f32 v9, v9, v11
	v_dual_mul_f32 v31, v214, v119 :: v_dual_mul_f32 v33, v216, v121
	s_wait_loadcnt_dscnt 0xc07
	v_dual_mul_f32 v11, v223, v127 :: v_dual_fmac_f32 v29, v213, v116
	s_delay_alu instid0(VALU_DEP_3) | instskip(NEXT) | instid1(VALU_DEP_3)
	v_dual_fma_f32 v15, v212, v116, -v15 :: v_dual_add_f32 v7, v7, v27
	v_dual_add_f32 v9, v9, v13 :: v_dual_fmac_f32 v31, v215, v118
	v_dual_mul_f32 v13, v225, v129 :: v_dual_fma_f32 v17, v214, v118, -v17
	s_delay_alu instid0(VALU_DEP_2) | instskip(SKIP_3) | instid1(VALU_DEP_3)
	v_dual_add_f32 v7, v7, v29 :: v_dual_add_f32 v9, v9, v15
	v_dual_mul_f32 v35, v218, v123 :: v_dual_mul_f32 v37, v220, v125
	s_wait_loadcnt_dscnt 0xb06
	v_dual_mul_f32 v15, v227, v131 :: v_dual_fmac_f32 v33, v217, v120
	v_dual_fma_f32 v19, v216, v120, -v19 :: v_dual_add_f32 v7, v7, v31
	s_delay_alu instid0(VALU_DEP_3) | instskip(SKIP_1) | instid1(VALU_DEP_2)
	v_dual_add_f32 v9, v9, v17 :: v_dual_fmac_f32 v35, v219, v122
	v_dual_mul_f32 v17, v229, v133 :: v_dual_fma_f32 v21, v218, v122, -v21
	v_dual_add_f32 v7, v7, v33 :: v_dual_add_f32 v9, v9, v19
	v_dual_mul_f32 v39, v222, v127 :: v_dual_mul_f32 v41, v224, v129
	s_wait_loadcnt_dscnt 0xa05
	v_dual_mul_f32 v19, v231, v135 :: v_dual_fmac_f32 v37, v221, v124
	s_delay_alu instid0(VALU_DEP_3) | instskip(NEXT) | instid1(VALU_DEP_3)
	v_dual_fma_f32 v23, v220, v124, -v23 :: v_dual_add_f32 v7, v7, v35
	v_dual_add_f32 v9, v9, v21 :: v_dual_fmac_f32 v39, v223, v126
	v_dual_mul_f32 v21, v233, v137 :: v_dual_fma_f32 v11, v222, v126, -v11
	s_delay_alu instid0(VALU_DEP_2) | instskip(SKIP_3) | instid1(VALU_DEP_3)
	v_dual_add_f32 v7, v7, v37 :: v_dual_add_f32 v9, v9, v23
	v_dual_mul_f32 v43, v226, v131 :: v_dual_mul_f32 v45, v228, v133
	s_wait_loadcnt_dscnt 0x904
	v_dual_mul_f32 v23, v235, v139 :: v_dual_fmac_f32 v41, v225, v128
	v_dual_fma_f32 v13, v224, v128, -v13 :: v_dual_add_f32 v7, v7, v39
	s_delay_alu instid0(VALU_DEP_3) | instskip(SKIP_1) | instid1(VALU_DEP_3)
	v_dual_add_f32 v9, v9, v11 :: v_dual_fmac_f32 v43, v227, v130
	v_dual_mul_f32 v11, v237, v141 :: v_dual_fma_f32 v15, v226, v130, -v15
	v_dual_add_f32 v7, v7, v41 :: v_dual_fmac_f32 v45, v229, v132
	s_wait_loadcnt_dscnt 0x803
	s_delay_alu instid0(VALU_DEP_3) | instskip(SKIP_1) | instid1(VALU_DEP_3)
	v_dual_add_f32 v9, v9, v13 :: v_dual_mul_f32 v13, v239, v143
	v_dual_mul_f32 v47, v230, v135 :: v_dual_mul_f32 v49, v232, v137
	v_dual_fma_f32 v17, v228, v132, -v17 :: v_dual_add_f32 v7, v7, v43
	s_delay_alu instid0(VALU_DEP_2) | instskip(SKIP_1) | instid1(VALU_DEP_3)
	v_dual_add_f32 v9, v9, v15 :: v_dual_fmac_f32 v47, v231, v134
	v_dual_mul_f32 v15, v241, v145 :: v_dual_fma_f32 v19, v230, v134, -v19
	v_dual_add_f32 v7, v7, v45 :: v_dual_fmac_f32 v49, v233, v136
	s_wait_loadcnt_dscnt 0x702
	s_delay_alu instid0(VALU_DEP_3) | instskip(SKIP_1) | instid1(VALU_DEP_3)
	v_dual_add_f32 v9, v9, v17 :: v_dual_mul_f32 v17, v243, v147
	v_dual_mul_f32 v51, v234, v139 :: v_dual_mul_f32 v53, v236, v141
	v_dual_fma_f32 v21, v232, v136, -v21 :: v_dual_add_f32 v7, v7, v47
	s_delay_alu instid0(VALU_DEP_2) | instskip(SKIP_1) | instid1(VALU_DEP_3)
	v_dual_add_f32 v9, v9, v19 :: v_dual_fmac_f32 v51, v235, v138
	v_dual_mul_f32 v19, v245, v149 :: v_dual_fma_f32 v23, v234, v138, -v23
	v_dual_add_f32 v7, v7, v49 :: v_dual_fmac_f32 v53, v237, v140
	s_wait_loadcnt_dscnt 0x601
	s_delay_alu instid0(VALU_DEP_3) | instskip(SKIP_1) | instid1(VALU_DEP_3)
	v_dual_add_f32 v9, v9, v21 :: v_dual_mul_f32 v21, v247, v151
	v_dual_mul_f32 v55, v238, v143 :: v_dual_mul_f32 v57, v240, v145
	v_dual_fma_f32 v11, v236, v140, -v11 :: v_dual_add_f32 v7, v7, v51
	s_delay_alu instid0(VALU_DEP_2) | instskip(SKIP_1) | instid1(VALU_DEP_2)
	v_dual_add_f32 v9, v9, v23 :: v_dual_fmac_f32 v55, v239, v142
	v_dual_mul_f32 v23, v249, v153 :: v_dual_fma_f32 v13, v238, v142, -v13
	v_dual_add_f32 v7, v7, v53 :: v_dual_add_f32 v9, v9, v11
	v_dual_mul_f32 v59, v242, v147 :: v_dual_mul_f32 v61, v244, v149
	s_wait_loadcnt_dscnt 0x500
	v_dual_mul_f32 v11, v251, v155 :: v_dual_fmac_f32 v57, v241, v144
	s_delay_alu instid0(VALU_DEP_3) | instskip(NEXT) | instid1(VALU_DEP_3)
	v_dual_fma_f32 v15, v240, v144, -v15 :: v_dual_add_f32 v7, v7, v55
	v_dual_add_f32 v9, v9, v13 :: v_dual_fmac_f32 v59, v243, v146
	v_dual_mul_f32 v13, v253, v157 :: v_dual_fma_f32 v17, v242, v146, -v17
	s_delay_alu instid0(VALU_DEP_2) | instskip(SKIP_2) | instid1(VALU_DEP_3)
	v_dual_add_f32 v7, v7, v57 :: v_dual_add_f32 v9, v9, v15
	v_dual_mul_f32 v63, v246, v151 :: v_dual_mul_f32 v65, v248, v153
	v_dual_fmac_f32 v61, v245, v148 :: v_dual_fma_f32 v15, v244, v148, -v19
	v_dual_add_f32 v7, v7, v59 :: v_dual_add_f32 v9, v9, v17
	s_wait_loadcnt 0x4
	s_delay_alu instid0(VALU_DEP_3) | instskip(NEXT) | instid1(VALU_DEP_2)
	v_dual_mov_b32 v96, v161 :: v_dual_fmac_f32 v63, v247, v150
	v_dual_fma_f32 v17, v246, v150, -v21 :: v_dual_add_f32 v7, v7, v61
	s_delay_alu instid0(VALU_DEP_3)
	v_dual_add_f32 v9, v9, v15 :: v_dual_fma_f32 v15, v248, v152, -v23
	s_set_vgpr_msb 64                       ;  msbs: dst=1 src0=0 src1=0 src2=0
	v_dual_mul_f32 v9 /*v265*/, v250, v155 :: v_dual_mul_f32 v11 /*v267*/, v252, v157
	s_set_vgpr_msb 0                        ;  msbs: dst=0 src0=0 src1=0 src2=0
	v_dual_fmac_f32 v65, v249, v152 :: v_dual_add_f32 v7, v7, v63
	v_add_f32_e32 v9, v9, v17
	v_pk_mul_f32 v[94:95], v[174:175], v[158:159] op_sel:[1,1] op_sel_hi:[0,1]
	s_wait_loadcnt 0x3
	v_mov_b32_e32 v100, v165
	s_set_vgpr_msb 64                       ;  msbs: dst=1 src0=0 src1=0 src2=0
	v_dual_fmac_f32 v9 /*v265*/, v251, v154 :: v_dual_fmac_f32 v11 /*v267*/, v253, v156
	v_dual_fma_f32 v8 /*v264*/, v250, v154, -v11 :: v_dual_fma_f32 v10 /*v266*/, v252, v156, -v13
	s_set_vgpr_msb 0                        ;  msbs: dst=0 src0=0 src1=0 src2=0
	v_dual_add_f32 v103, v7, v65 :: v_dual_add_f32 v102, v9, v15
	v_pk_fma_f32 v[104:105], v[174:175], v[158:159], v[94:95] op_sel_hi:[1,0,1]
	s_set_vgpr_msb 1                        ;  msbs: dst=0 src0=1 src1=0 src2=0
	v_pk_mul_f32 v[96:97], v[0:1] /*v[256:257]*/, v[96:97] op_sel_hi:[1,0]
	s_set_vgpr_msb 0                        ;  msbs: dst=0 src0=0 src1=0 src2=0
	v_pk_fma_f32 v[94:95], v[174:175], v[158:159], v[94:95] neg_lo:[0,0,1] neg_hi:[0,0,1]
	v_pk_mul_f32 v[98:99], v[178:179], v[162:163] op_sel:[1,1] op_sel_hi:[0,1]
	s_set_vgpr_msb 4                        ;  msbs: dst=0 src0=0 src1=1 src2=0
	v_pk_add_f32 v[102:103], v[102:103], v[8:9] /*v[264:265]*/
	v_mov_b32_e32 v95, v105
	s_set_vgpr_msb 0                        ;  msbs: dst=0 src0=0 src1=0 src2=0
	v_pk_fma_f32 v[104:105], v[176:177], v[160:161], v[96:97] op_sel_hi:[1,0,1]
	v_pk_fma_f32 v[96:97], v[176:177], v[160:161], v[96:97] neg_lo:[0,0,1] neg_hi:[0,0,1]
	v_pk_fma_f32 v[108:109], v[178:179], v[162:163], v[98:99] op_sel_hi:[1,0,1]
	s_set_vgpr_msb 4                        ;  msbs: dst=0 src0=0 src1=1 src2=0
	v_pk_add_f32 v[102:103], v[102:103], v[10:11] /*v[266:267]*/
	s_set_vgpr_msb 1                        ;  msbs: dst=0 src0=1 src1=0 src2=0
	v_pk_mul_f32 v[100:101], v[2:3] /*v[258:259]*/, v[100:101] op_sel_hi:[1,0]
	s_set_vgpr_msb 0                        ;  msbs: dst=0 src0=0 src1=0 src2=0
	v_mov_b32_e32 v97, v105
	s_wait_loadcnt 0x2
	v_pk_mul_f32 v[106:107], v[190:191], v[166:167] op_sel:[1,1] op_sel_hi:[0,1]
	v_pk_fma_f32 v[98:99], v[178:179], v[162:163], v[98:99] neg_lo:[0,0,1] neg_hi:[0,0,1]
	v_pk_add_f32 v[94:95], v[102:103], v[94:95]
	v_dual_mov_b32 v102, v169 :: v_dual_mov_b32 v99, v109
	v_pk_fma_f32 v[104:105], v[180:181], v[164:165], v[100:101] op_sel_hi:[1,0,1]
	v_pk_fma_f32 v[100:101], v[180:181], v[164:165], v[100:101] neg_lo:[0,0,1] neg_hi:[0,0,1]
	s_delay_alu instid0(VALU_DEP_4)
	v_pk_add_f32 v[94:95], v[94:95], v[96:97]
	v_pk_fma_f32 v[96:97], v[190:191], v[166:167], v[106:107] op_sel_hi:[1,0,1]
	s_set_vgpr_msb 1                        ;  msbs: dst=0 src0=1 src1=0 src2=0
	v_pk_mul_f32 v[102:103], v[4:5] /*v[260:261]*/, v[102:103] op_sel_hi:[1,0]
	s_set_vgpr_msb 0                        ;  msbs: dst=0 src0=0 src1=0 src2=0
	v_mov_b32_e32 v101, v105
	v_pk_fma_f32 v[104:105], v[190:191], v[166:167], v[106:107] neg_lo:[0,0,1] neg_hi:[0,0,1]
	v_pk_add_f32 v[94:95], v[94:95], v[98:99]
	v_mov_b32_e32 v105, v97
	v_pk_fma_f32 v[96:97], v[192:193], v[168:169], v[102:103] op_sel_hi:[1,0,1]
	s_wait_loadcnt 0x1
	v_pk_mul_f32 v[98:99], v[194:195], v[170:171] op_sel:[1,1] op_sel_hi:[0,1]
	v_mov_b32_e32 v96, v173
	v_pk_add_f32 v[94:95], v[94:95], v[100:101]
	v_pk_fma_f32 v[102:103], v[192:193], v[168:169], v[102:103] neg_lo:[0,0,1] neg_hi:[0,0,1]
	v_mov_b32_e32 v103, v97
	v_pk_fma_f32 v[100:101], v[194:195], v[170:171], v[98:99] op_sel_hi:[1,0,1]
	s_set_vgpr_msb 1                        ;  msbs: dst=0 src0=1 src1=0 src2=0
	v_pk_mul_f32 v[96:97], v[6:7] /*v[262:263]*/, v[96:97] op_sel_hi:[1,0]
	s_set_vgpr_msb 0                        ;  msbs: dst=0 src0=0 src1=0 src2=0
	v_pk_add_f32 v[94:95], v[94:95], v[104:105]
	v_pk_fma_f32 v[98:99], v[194:195], v[170:171], v[98:99] neg_lo:[0,0,1] neg_hi:[0,0,1]
	v_mov_b32_e32 v99, v101
	v_pk_fma_f32 v[100:101], v[196:197], v[172:173], v[96:97] op_sel_hi:[1,0,1]
	s_delay_alu instid0(VALU_DEP_4) | instskip(SKIP_1) | instid1(VALU_DEP_3)
	v_pk_add_f32 v[94:95], v[94:95], v[102:103]
	v_pk_fma_f32 v[96:97], v[196:197], v[172:173], v[96:97] neg_lo:[0,0,1] neg_hi:[0,0,1]
	v_mov_b32_e32 v97, v101
	s_delay_alu instid0(VALU_DEP_3) | instskip(NEXT) | instid1(VALU_DEP_1)
	v_pk_add_f32 v[94:95], v[94:95], v[98:99]
	v_pk_add_f32 v[94:95], v[94:95], v[96:97]
	s_wait_loadcnt 0x0
	s_delay_alu instid0(VALU_DEP_1)
	v_pk_add_f32 v[94:95], v[254:255], v[94:95] neg_lo:[0,1] neg_hi:[0,1]
	scratch_store_b64 off, v[94:95], off offset:40
	s_wait_xcnt 0x0
	v_cmpx_lt_u32_e32 4, v0
	s_cbranch_execz .LBB109_281
; %bb.280:
	scratch_load_b64 v[94:95], off, off offset:32
	v_mov_b64_e32 v[96:97], 0
	scratch_store_b64 off, v[96:97], off offset:32
	s_wait_loadcnt 0x0
	ds_store_b64 v1, v[94:95]
.LBB109_281:
	s_wait_xcnt 0x0
	s_or_b32 exec_lo, exec_lo, s0
	s_wait_storecnt_dscnt 0x0
	s_barrier_signal -1
	s_barrier_wait -1
	s_clause 0x10
	scratch_load_b128 v[98:101], off, off offset:40
	scratch_load_b128 v[106:109], off, off offset:56
	;; [unrolled: 1-line block ×17, first 2 shown]
	v_mov_b32_e32 v7, 0
	s_mov_b32 s0, exec_lo
	ds_load_2addr_b64 v[94:97], v7 offset0:51 offset1:52
	ds_load_2addr_b64 v[102:105], v7 offset0:53 offset1:54
	s_wait_loadcnt_dscnt 0x1001
	v_mul_f32_e32 v9, v94, v99
	ds_load_2addr_b64 v[206:209], v7 offset0:79 offset1:80
	ds_load_2addr_b64 v[214:217], v7 offset0:81 offset1:82
	v_mul_f32_e32 v11, v96, v101
	ds_load_2addr_b64 v[110:113], v7 offset0:55 offset1:56
	ds_load_2addr_b64 v[118:121], v7 offset0:57 offset1:58
	v_fmac_f32_e32 v9, v95, v98
	ds_load_2addr_b64 v[222:225], v7 offset0:83 offset1:84
	v_fmac_f32_e32 v11, v97, v100
	ds_load_2addr_b64 v[126:129], v7 offset0:59 offset1:60
	ds_load_2addr_b64 v[134:137], v7 offset0:61 offset1:62
	v_add_f32_e32 v9, 0, v9
	ds_load_2addr_b64 v[142:145], v7 offset0:63 offset1:64
	ds_load_2addr_b64 v[150:153], v7 offset0:65 offset1:66
	;; [unrolled: 1-line block ×4, first 2 shown]
	v_add_f32_e32 v9, v9, v11
	s_wait_loadcnt_dscnt 0xf0b
	v_mul_f32_e32 v11, v102, v107
	ds_load_2addr_b64 v[174:177], v7 offset0:71 offset1:72
	ds_load_2addr_b64 v[182:185], v7 offset0:73 offset1:74
	ds_load_2addr_b64 v[190:193], v7 offset0:75 offset1:76
	ds_load_2addr_b64 v[198:201], v7 offset0:77 offset1:78
	s_wait_loadcnt_dscnt 0xd0d
	v_dual_mul_f32 v245, v216, v221 :: v_dual_fmac_f32 v11, v103, v106
	s_clause 0x3
	scratch_load_b128 v[230:233], off, off offset:312
	scratch_load_b128 v[234:237], off, off offset:328
	;; [unrolled: 1-line block ×3, first 2 shown]
	scratch_load_b64 v[248:249], off, off offset:360
	s_wait_loadcnt_dscnt 0xe0a
	v_mul_f32_e32 v247, v222, v227
	v_dual_add_f32 v9, v9, v11 :: v_dual_mul_f32 v11, v104, v109
	s_delay_alu instid0(VALU_DEP_2) | instskip(NEXT) | instid1(VALU_DEP_2)
	v_dual_fmac_f32 v245, v217, v220 :: v_dual_fmac_f32 v247, v223, v226
	v_fmac_f32_e32 v11, v105, v108
	s_delay_alu instid0(VALU_DEP_1) | instskip(SKIP_1) | instid1(VALU_DEP_1)
	v_add_f32_e32 v9, v9, v11
	v_mul_f32_e32 v11, v110, v115
	v_fmac_f32_e32 v11, v111, v114
	s_delay_alu instid0(VALU_DEP_1) | instskip(NEXT) | instid1(VALU_DEP_1)
	v_dual_add_f32 v9, v9, v11 :: v_dual_mul_f32 v11, v112, v117
	v_fmac_f32_e32 v11, v113, v116
	s_delay_alu instid0(VALU_DEP_1) | instskip(SKIP_1) | instid1(VALU_DEP_1)
	v_add_f32_e32 v9, v9, v11
	v_mul_f32_e32 v11, v118, v123
	v_fmac_f32_e32 v11, v119, v122
	s_delay_alu instid0(VALU_DEP_1) | instskip(NEXT) | instid1(VALU_DEP_1)
	v_dual_add_f32 v9, v9, v11 :: v_dual_mul_f32 v11, v120, v125
	v_fmac_f32_e32 v11, v121, v124
	s_delay_alu instid0(VALU_DEP_1) | instskip(SKIP_2) | instid1(VALU_DEP_1)
	v_add_f32_e32 v9, v9, v11
	s_wait_loadcnt_dscnt 0xd09
	v_mul_f32_e32 v11, v126, v131
	v_fmac_f32_e32 v11, v127, v130
	s_delay_alu instid0(VALU_DEP_1) | instskip(NEXT) | instid1(VALU_DEP_1)
	v_dual_add_f32 v9, v9, v11 :: v_dual_mul_f32 v11, v128, v133
	v_fmac_f32_e32 v11, v129, v132
	s_delay_alu instid0(VALU_DEP_1) | instskip(SKIP_2) | instid1(VALU_DEP_1)
	v_add_f32_e32 v9, v9, v11
	s_wait_loadcnt_dscnt 0xc08
	;; [unrolled: 8-line block ×10, first 2 shown]
	v_mul_f32_e32 v11, v198, v203
	v_fmac_f32_e32 v11, v199, v202
	s_delay_alu instid0(VALU_DEP_1) | instskip(NEXT) | instid1(VALU_DEP_1)
	v_dual_add_f32 v9, v9, v11 :: v_dual_mul_f32 v11, v200, v205
	v_fmac_f32_e32 v11, v201, v204
	s_delay_alu instid0(VALU_DEP_1) | instskip(SKIP_1) | instid1(VALU_DEP_1)
	v_add_f32_e32 v9, v9, v11
	v_mul_f32_e32 v11, v206, v211
	v_fmac_f32_e32 v11, v207, v210
	s_delay_alu instid0(VALU_DEP_1) | instskip(NEXT) | instid1(VALU_DEP_1)
	v_dual_add_f32 v9, v9, v11 :: v_dual_mul_f32 v11, v208, v213
	v_fmac_f32_e32 v11, v209, v212
	s_delay_alu instid0(VALU_DEP_1) | instskip(SKIP_1) | instid1(VALU_DEP_1)
	v_add_f32_e32 v9, v9, v11
	v_mul_f32_e32 v11, v214, v219
	v_fmac_f32_e32 v11, v215, v218
	s_delay_alu instid0(VALU_DEP_1) | instskip(SKIP_1) | instid1(VALU_DEP_1)
	v_add_f32_e32 v243, v9, v11
	v_dual_mul_f32 v9, v95, v99 :: v_dual_mul_f32 v11, v97, v101
	v_dual_fma_f32 v9, v94, v98, -v9 :: v_dual_fma_f32 v11, v96, v100, -v11
	s_delay_alu instid0(VALU_DEP_1) | instskip(NEXT) | instid1(VALU_DEP_1)
	v_add_f32_e32 v9, 0, v9
	v_add_f32_e32 v9, v9, v11
	v_mul_f32_e32 v11, v103, v107
	s_delay_alu instid0(VALU_DEP_1) | instskip(NEXT) | instid1(VALU_DEP_1)
	v_fma_f32 v11, v102, v106, -v11
	v_add_f32_e32 v9, v9, v11
	v_mul_f32_e32 v11, v105, v109
	s_delay_alu instid0(VALU_DEP_1)
	v_fma_f32 v11, v104, v108, -v11
	ds_load_2addr_b64 v[94:97], v7 offset0:85 offset1:86
	ds_load_2addr_b64 v[98:101], v7 offset0:87 offset1:88
	;; [unrolled: 1-line block ×3, first 2 shown]
	ds_load_b64 v[106:107], v7 offset:728
	v_add_f32_e32 v9, v9, v11
	v_dual_mul_f32 v11, v111, v115 :: v_dual_mov_b32 v111, v224
	s_delay_alu instid0(VALU_DEP_1) | instskip(NEXT) | instid1(VALU_DEP_1)
	v_dual_fma_f32 v11, v110, v114, -v11 :: v_dual_mov_b32 v110, v225
	v_add_f32_e32 v9, v9, v11
	v_mul_f32_e32 v11, v113, v117
	s_delay_alu instid0(VALU_DEP_1) | instskip(NEXT) | instid1(VALU_DEP_1)
	v_dual_fma_f32 v11, v112, v116, -v11 :: v_dual_mov_b32 v112, v229
	v_add_f32_e32 v9, v9, v11
	v_mul_f32_e32 v11, v119, v123
	s_delay_alu instid0(VALU_DEP_3) | instskip(NEXT) | instid1(VALU_DEP_2)
	v_pk_mul_f32 v[110:111], v[110:111], v[112:113] op_sel_hi:[1,0]
	v_fma_f32 v11, v118, v122, -v11
	s_delay_alu instid0(VALU_DEP_2) | instskip(SKIP_1) | instid1(VALU_DEP_3)
	v_pk_fma_f32 v[112:113], v[224:225], v[228:229], v[110:111] neg_lo:[0,0,1] neg_hi:[0,0,1]
	v_pk_fma_f32 v[110:111], v[224:225], v[228:229], v[110:111] op_sel_hi:[1,0,1]
	v_add_f32_e32 v9, v9, v11
	s_delay_alu instid0(VALU_DEP_2) | instskip(SKIP_2) | instid1(VALU_DEP_2)
	v_dual_mul_f32 v11, v121, v125 :: v_dual_mov_b32 v113, v111
	s_wait_loadcnt_dscnt 0x303
	v_pk_mul_f32 v[110:111], v[94:95], v[230:231] op_sel:[1,1] op_sel_hi:[0,1]
	v_fma_f32 v11, v120, v124, -v11
	s_delay_alu instid0(VALU_DEP_1) | instskip(SKIP_1) | instid1(VALU_DEP_1)
	v_add_f32_e32 v9, v9, v11
	v_mul_f32_e32 v11, v127, v131
	v_fma_f32 v11, v126, v130, -v11
	s_delay_alu instid0(VALU_DEP_1) | instskip(SKIP_1) | instid1(VALU_DEP_1)
	v_add_f32_e32 v9, v9, v11
	v_mul_f32_e32 v11, v129, v133
	;; [unrolled: 4-line block ×24, first 2 shown]
	v_dual_fma_f32 v244, v216, v220, -v9 :: v_dual_mul_f32 v9, v223, v227
	s_delay_alu instid0(VALU_DEP_1) | instskip(NEXT) | instid1(VALU_DEP_2)
	v_pk_add_f32 v[108:109], v[242:243], v[244:245]
	v_fma_f32 v246, v222, v226, -v9
	s_delay_alu instid0(VALU_DEP_1) | instskip(NEXT) | instid1(VALU_DEP_1)
	v_pk_add_f32 v[108:109], v[108:109], v[246:247]
	v_pk_add_f32 v[108:109], v[108:109], v[112:113]
	v_pk_fma_f32 v[112:113], v[94:95], v[230:231], v[110:111] neg_lo:[0,0,1] neg_hi:[0,0,1]
	v_pk_fma_f32 v[94:95], v[94:95], v[230:231], v[110:111] op_sel_hi:[1,0,1]
	s_delay_alu instid0(VALU_DEP_1) | instskip(NEXT) | instid1(VALU_DEP_1)
	v_dual_mov_b32 v110, v233 :: v_dual_mov_b32 v113, v95
	v_pk_add_f32 v[94:95], v[108:109], v[112:113]
	v_dual_mov_b32 v108, v97 :: v_dual_mov_b32 v109, v96
	s_delay_alu instid0(VALU_DEP_1) | instskip(NEXT) | instid1(VALU_DEP_1)
	v_pk_mul_f32 v[108:109], v[108:109], v[110:111] op_sel_hi:[1,0]
	v_pk_fma_f32 v[110:111], v[96:97], v[232:233], v[108:109] neg_lo:[0,0,1] neg_hi:[0,0,1]
	v_pk_fma_f32 v[96:97], v[96:97], v[232:233], v[108:109] op_sel_hi:[1,0,1]
	s_delay_alu instid0(VALU_DEP_1) | instskip(SKIP_2) | instid1(VALU_DEP_2)
	v_mov_b32_e32 v111, v97
	s_wait_loadcnt_dscnt 0x202
	v_pk_mul_f32 v[96:97], v[98:99], v[234:235] op_sel:[1,1] op_sel_hi:[0,1]
	v_pk_add_f32 v[94:95], v[94:95], v[110:111]
	s_delay_alu instid0(VALU_DEP_2) | instskip(SKIP_2) | instid1(VALU_DEP_2)
	v_pk_fma_f32 v[108:109], v[98:99], v[234:235], v[96:97] neg_lo:[0,0,1] neg_hi:[0,0,1]
	v_pk_fma_f32 v[96:97], v[98:99], v[234:235], v[96:97] op_sel_hi:[1,0,1]
	v_dual_mov_b32 v96, v101 :: v_dual_mov_b32 v98, v237
	v_dual_mov_b32 v109, v97 :: v_dual_mov_b32 v97, v100
	s_delay_alu instid0(VALU_DEP_1) | instskip(NEXT) | instid1(VALU_DEP_2)
	v_pk_add_f32 v[94:95], v[94:95], v[108:109]
	v_pk_mul_f32 v[96:97], v[96:97], v[98:99] op_sel_hi:[1,0]
	s_delay_alu instid0(VALU_DEP_1) | instskip(SKIP_1) | instid1(VALU_DEP_1)
	v_pk_fma_f32 v[98:99], v[100:101], v[236:237], v[96:97] neg_lo:[0,0,1] neg_hi:[0,0,1]
	v_pk_fma_f32 v[96:97], v[100:101], v[236:237], v[96:97] op_sel_hi:[1,0,1]
	v_mov_b32_e32 v99, v97
	s_wait_loadcnt_dscnt 0x101
	v_pk_mul_f32 v[96:97], v[102:103], v[238:239] op_sel:[1,1] op_sel_hi:[0,1]
	s_delay_alu instid0(VALU_DEP_2) | instskip(NEXT) | instid1(VALU_DEP_2)
	v_pk_add_f32 v[94:95], v[94:95], v[98:99]
	v_pk_fma_f32 v[98:99], v[102:103], v[238:239], v[96:97] neg_lo:[0,0,1] neg_hi:[0,0,1]
	v_pk_fma_f32 v[96:97], v[102:103], v[238:239], v[96:97] op_sel_hi:[1,0,1]
	s_delay_alu instid0(VALU_DEP_1) | instskip(SKIP_1) | instid1(VALU_DEP_2)
	v_dual_mov_b32 v96, v105 :: v_dual_mov_b32 v99, v97
	v_mov_b32_e32 v97, v104
	v_pk_add_f32 v[94:95], v[94:95], v[98:99]
	v_mov_b32_e32 v98, v241
	s_delay_alu instid0(VALU_DEP_1) | instskip(NEXT) | instid1(VALU_DEP_1)
	v_pk_mul_f32 v[96:97], v[96:97], v[98:99] op_sel_hi:[1,0]
	v_pk_fma_f32 v[98:99], v[104:105], v[240:241], v[96:97] neg_lo:[0,0,1] neg_hi:[0,0,1]
	v_pk_fma_f32 v[96:97], v[104:105], v[240:241], v[96:97] op_sel_hi:[1,0,1]
	s_delay_alu instid0(VALU_DEP_1) | instskip(SKIP_2) | instid1(VALU_DEP_2)
	v_mov_b32_e32 v99, v97
	s_wait_loadcnt_dscnt 0x0
	v_pk_mul_f32 v[96:97], v[106:107], v[248:249] op_sel:[1,1] op_sel_hi:[0,1]
	v_pk_add_f32 v[94:95], v[94:95], v[98:99]
	s_delay_alu instid0(VALU_DEP_2) | instskip(SKIP_1) | instid1(VALU_DEP_1)
	v_pk_fma_f32 v[98:99], v[106:107], v[248:249], v[96:97] neg_lo:[0,0,1] neg_hi:[0,0,1]
	v_pk_fma_f32 v[96:97], v[106:107], v[248:249], v[96:97] op_sel_hi:[1,0,1]
	v_mov_b32_e32 v99, v97
	scratch_load_b64 v[96:97], off, off offset:32
	v_pk_add_f32 v[94:95], v[94:95], v[98:99]
	s_wait_loadcnt 0x0
	s_delay_alu instid0(VALU_DEP_1)
	v_pk_add_f32 v[94:95], v[96:97], v[94:95] neg_lo:[0,1] neg_hi:[0,1]
	scratch_store_b64 off, v[94:95], off offset:32
	s_wait_xcnt 0x0
	v_cmpx_lt_u32_e32 3, v0
	s_cbranch_execz .LBB109_283
; %bb.282:
	scratch_load_b64 v[94:95], off, off offset:24
	v_mov_b64_e32 v[96:97], 0
	scratch_store_b64 off, v[96:97], off offset:24
	s_wait_loadcnt 0x0
	ds_store_b64 v1, v[94:95]
.LBB109_283:
	s_wait_xcnt 0x0
	s_or_b32 exec_lo, exec_lo, s0
	s_wait_storecnt_dscnt 0x0
	s_barrier_signal -1
	s_barrier_wait -1
	ds_load_b128 v[94:97], v7 offset:400
	ds_load_b128 v[98:101], v7 offset:416
	ds_load_b128 v[102:105], v7 offset:432
	ds_load_b128 v[106:109], v7 offset:448
	s_clause 0x10
	scratch_load_b128 v[110:113], off, off offset:32
	scratch_load_b128 v[114:117], off, off offset:48
	;; [unrolled: 1-line block ×17, first 2 shown]
	ds_load_b128 v[222:225], v7 offset:656
	ds_load_b128 v[126:129], v7 offset:464
	;; [unrolled: 1-line block ×13, first 2 shown]
	s_clause 0x3
	scratch_load_b128 v[230:233], off, off offset:304
	scratch_load_b128 v[234:237], off, off offset:320
	;; [unrolled: 1-line block ×4, first 2 shown]
	s_mov_b32 s0, exec_lo
	s_wait_loadcnt_dscnt 0x1410
	v_dual_mul_f32 v9, v94, v111 :: v_dual_mul_f32 v11, v96, v113
	s_wait_loadcnt_dscnt 0x100c
	s_delay_alu instid0(VALU_DEP_1) | instskip(NEXT) | instid1(VALU_DEP_2)
	v_dual_mul_f32 v249, v222, v227 :: v_dual_fmac_f32 v9, v95, v110
	v_dual_fmac_f32 v11, v97, v112 :: v_dual_mul_f32 v251, v224, v229
	s_delay_alu instid0(VALU_DEP_2) | instskip(NEXT) | instid1(VALU_DEP_2)
	v_dual_fmac_f32 v249, v223, v226 :: v_dual_add_f32 v9, 0, v9
	v_fmac_f32_e32 v251, v225, v228
	s_delay_alu instid0(VALU_DEP_2) | instskip(SKIP_1) | instid1(VALU_DEP_1)
	v_add_f32_e32 v9, v9, v11
	v_mul_f32_e32 v11, v98, v115
	v_fmac_f32_e32 v11, v99, v114
	s_delay_alu instid0(VALU_DEP_1) | instskip(NEXT) | instid1(VALU_DEP_1)
	v_dual_add_f32 v9, v9, v11 :: v_dual_mul_f32 v11, v100, v117
	v_fmac_f32_e32 v11, v101, v116
	s_delay_alu instid0(VALU_DEP_1) | instskip(SKIP_1) | instid1(VALU_DEP_1)
	v_add_f32_e32 v9, v9, v11
	v_mul_f32_e32 v11, v102, v119
	v_fmac_f32_e32 v11, v103, v118
	s_delay_alu instid0(VALU_DEP_1) | instskip(NEXT) | instid1(VALU_DEP_1)
	v_dual_add_f32 v9, v9, v11 :: v_dual_mul_f32 v11, v104, v121
	v_fmac_f32_e32 v11, v105, v120
	s_delay_alu instid0(VALU_DEP_1) | instskip(SKIP_1) | instid1(VALU_DEP_1)
	v_add_f32_e32 v9, v9, v11
	v_mul_f32_e32 v11, v106, v123
	v_fmac_f32_e32 v11, v107, v122
	s_delay_alu instid0(VALU_DEP_1) | instskip(NEXT) | instid1(VALU_DEP_1)
	v_dual_add_f32 v9, v9, v11 :: v_dual_mul_f32 v11, v108, v125
	v_fmac_f32_e32 v11, v109, v124
	s_delay_alu instid0(VALU_DEP_1) | instskip(SKIP_2) | instid1(VALU_DEP_1)
	v_add_f32_e32 v9, v9, v11
	s_wait_loadcnt_dscnt 0xf0b
	v_mul_f32_e32 v11, v126, v131
	v_fmac_f32_e32 v11, v127, v130
	s_delay_alu instid0(VALU_DEP_1) | instskip(NEXT) | instid1(VALU_DEP_1)
	v_dual_add_f32 v9, v9, v11 :: v_dual_mul_f32 v11, v128, v133
	v_fmac_f32_e32 v11, v129, v132
	s_delay_alu instid0(VALU_DEP_1) | instskip(SKIP_2) | instid1(VALU_DEP_1)
	v_add_f32_e32 v9, v9, v11
	s_wait_loadcnt_dscnt 0xe0a
	v_mul_f32_e32 v11, v134, v139
	v_fmac_f32_e32 v11, v135, v138
	s_delay_alu instid0(VALU_DEP_1) | instskip(NEXT) | instid1(VALU_DEP_1)
	v_dual_add_f32 v9, v9, v11 :: v_dual_mul_f32 v11, v136, v141
	v_fmac_f32_e32 v11, v137, v140
	s_delay_alu instid0(VALU_DEP_1) | instskip(SKIP_2) | instid1(VALU_DEP_1)
	v_add_f32_e32 v9, v9, v11
	s_wait_loadcnt_dscnt 0xd09
	v_mul_f32_e32 v11, v142, v147
	v_fmac_f32_e32 v11, v143, v146
	s_delay_alu instid0(VALU_DEP_1) | instskip(NEXT) | instid1(VALU_DEP_1)
	v_dual_add_f32 v9, v9, v11 :: v_dual_mul_f32 v11, v144, v149
	v_fmac_f32_e32 v11, v145, v148
	s_delay_alu instid0(VALU_DEP_1) | instskip(SKIP_2) | instid1(VALU_DEP_1)
	v_add_f32_e32 v9, v9, v11
	s_wait_loadcnt_dscnt 0xc08
	v_mul_f32_e32 v11, v150, v155
	v_fmac_f32_e32 v11, v151, v154
	s_delay_alu instid0(VALU_DEP_1) | instskip(NEXT) | instid1(VALU_DEP_1)
	v_dual_add_f32 v9, v9, v11 :: v_dual_mul_f32 v11, v152, v157
	v_fmac_f32_e32 v11, v153, v156
	s_delay_alu instid0(VALU_DEP_1) | instskip(SKIP_2) | instid1(VALU_DEP_1)
	v_add_f32_e32 v9, v9, v11
	s_wait_loadcnt_dscnt 0xb07
	v_mul_f32_e32 v11, v158, v163
	v_fmac_f32_e32 v11, v159, v162
	s_delay_alu instid0(VALU_DEP_1) | instskip(NEXT) | instid1(VALU_DEP_1)
	v_dual_add_f32 v9, v9, v11 :: v_dual_mul_f32 v11, v160, v165
	v_fmac_f32_e32 v11, v161, v164
	s_delay_alu instid0(VALU_DEP_1) | instskip(SKIP_2) | instid1(VALU_DEP_1)
	v_add_f32_e32 v9, v9, v11
	s_wait_loadcnt_dscnt 0xa06
	v_mul_f32_e32 v11, v166, v171
	v_fmac_f32_e32 v11, v167, v170
	s_delay_alu instid0(VALU_DEP_1) | instskip(NEXT) | instid1(VALU_DEP_1)
	v_dual_add_f32 v9, v9, v11 :: v_dual_mul_f32 v11, v168, v173
	v_fmac_f32_e32 v11, v169, v172
	s_delay_alu instid0(VALU_DEP_1) | instskip(SKIP_2) | instid1(VALU_DEP_1)
	v_add_f32_e32 v9, v9, v11
	s_wait_loadcnt_dscnt 0x905
	v_mul_f32_e32 v11, v174, v179
	v_fmac_f32_e32 v11, v175, v178
	s_delay_alu instid0(VALU_DEP_1) | instskip(NEXT) | instid1(VALU_DEP_1)
	v_dual_add_f32 v9, v9, v11 :: v_dual_mul_f32 v11, v176, v181
	v_fmac_f32_e32 v11, v177, v180
	s_delay_alu instid0(VALU_DEP_1) | instskip(SKIP_2) | instid1(VALU_DEP_1)
	v_add_f32_e32 v9, v9, v11
	s_wait_loadcnt_dscnt 0x804
	v_mul_f32_e32 v11, v182, v187
	v_fmac_f32_e32 v11, v183, v186
	s_delay_alu instid0(VALU_DEP_1) | instskip(NEXT) | instid1(VALU_DEP_1)
	v_dual_add_f32 v9, v9, v11 :: v_dual_mul_f32 v11, v184, v189
	v_fmac_f32_e32 v11, v185, v188
	s_delay_alu instid0(VALU_DEP_1) | instskip(SKIP_2) | instid1(VALU_DEP_1)
	v_add_f32_e32 v9, v9, v11
	s_wait_loadcnt_dscnt 0x703
	v_mul_f32_e32 v11, v190, v195
	v_fmac_f32_e32 v11, v191, v194
	s_delay_alu instid0(VALU_DEP_1) | instskip(NEXT) | instid1(VALU_DEP_1)
	v_dual_add_f32 v9, v9, v11 :: v_dual_mul_f32 v11, v192, v197
	v_fmac_f32_e32 v11, v193, v196
	s_delay_alu instid0(VALU_DEP_1) | instskip(SKIP_2) | instid1(VALU_DEP_1)
	v_add_f32_e32 v9, v9, v11
	s_wait_loadcnt_dscnt 0x602
	v_mul_f32_e32 v11, v198, v203
	v_fmac_f32_e32 v11, v199, v202
	s_delay_alu instid0(VALU_DEP_1) | instskip(NEXT) | instid1(VALU_DEP_1)
	v_dual_add_f32 v9, v9, v11 :: v_dual_mul_f32 v11, v200, v205
	v_fmac_f32_e32 v11, v201, v204
	s_delay_alu instid0(VALU_DEP_1) | instskip(SKIP_2) | instid1(VALU_DEP_1)
	v_add_f32_e32 v9, v9, v11
	s_wait_loadcnt_dscnt 0x501
	v_mul_f32_e32 v11, v206, v211
	v_fmac_f32_e32 v11, v207, v210
	s_delay_alu instid0(VALU_DEP_1) | instskip(NEXT) | instid1(VALU_DEP_1)
	v_dual_add_f32 v9, v9, v11 :: v_dual_mul_f32 v11, v208, v213
	v_fmac_f32_e32 v11, v209, v212
	s_delay_alu instid0(VALU_DEP_1) | instskip(SKIP_2) | instid1(VALU_DEP_1)
	v_add_f32_e32 v9, v9, v11
	s_wait_loadcnt_dscnt 0x400
	v_mul_f32_e32 v11, v214, v219
	v_fmac_f32_e32 v11, v215, v218
	s_delay_alu instid0(VALU_DEP_1) | instskip(NEXT) | instid1(VALU_DEP_1)
	v_dual_add_f32 v9, v9, v11 :: v_dual_mul_f32 v11, v216, v221
	v_fmac_f32_e32 v11, v217, v220
	s_delay_alu instid0(VALU_DEP_1) | instskip(SKIP_1) | instid1(VALU_DEP_1)
	v_add_f32_e32 v247, v9, v11
	v_dual_mul_f32 v9, v95, v111 :: v_dual_mul_f32 v11, v97, v113
	v_dual_fma_f32 v9, v94, v110, -v9 :: v_dual_fma_f32 v11, v96, v112, -v11
	s_delay_alu instid0(VALU_DEP_1) | instskip(NEXT) | instid1(VALU_DEP_1)
	v_add_f32_e32 v9, 0, v9
	v_add_f32_e32 v9, v9, v11
	v_mul_f32_e32 v11, v99, v115
	s_delay_alu instid0(VALU_DEP_1) | instskip(NEXT) | instid1(VALU_DEP_1)
	v_fma_f32 v11, v98, v114, -v11
	v_add_f32_e32 v9, v9, v11
	v_mul_f32_e32 v11, v101, v117
	s_delay_alu instid0(VALU_DEP_1) | instskip(NEXT) | instid1(VALU_DEP_1)
	v_fma_f32 v11, v100, v116, -v11
	;; [unrolled: 4-line block ×5, first 2 shown]
	v_add_f32_e32 v9, v9, v11
	v_mul_f32_e32 v11, v109, v125
	s_delay_alu instid0(VALU_DEP_1)
	v_fma_f32 v11, v108, v124, -v11
	ds_load_b128 v[94:97], v7 offset:672
	ds_load_b128 v[98:101], v7 offset:688
	;; [unrolled: 1-line block ×4, first 2 shown]
	v_add_f32_e32 v9, v9, v11
	v_mul_f32_e32 v11, v127, v131
	s_delay_alu instid0(VALU_DEP_1) | instskip(NEXT) | instid1(VALU_DEP_1)
	v_fma_f32 v11, v126, v130, -v11
	v_add_f32_e32 v9, v9, v11
	v_mul_f32_e32 v11, v129, v133
	s_wait_loadcnt_dscnt 0x303
	v_pk_mul_f32 v[112:113], v[94:95], v[230:231] op_sel:[1,1] op_sel_hi:[0,1]
	s_delay_alu instid0(VALU_DEP_2) | instskip(NEXT) | instid1(VALU_DEP_2)
	v_fma_f32 v11, v128, v132, -v11
	v_pk_fma_f32 v[114:115], v[94:95], v[230:231], v[112:113] neg_lo:[0,0,1] neg_hi:[0,0,1]
	v_pk_fma_f32 v[94:95], v[94:95], v[230:231], v[112:113] op_sel_hi:[1,0,1]
	v_mov_b32_e32 v112, v233
	s_delay_alu instid0(VALU_DEP_4) | instskip(SKIP_1) | instid1(VALU_DEP_1)
	v_add_f32_e32 v9, v9, v11
	v_mul_f32_e32 v11, v135, v139
	v_dual_mov_b32 v115, v95 :: v_dual_fma_f32 v11, v134, v138, -v11
	s_delay_alu instid0(VALU_DEP_1) | instskip(SKIP_1) | instid1(VALU_DEP_1)
	v_add_f32_e32 v9, v9, v11
	v_mul_f32_e32 v11, v137, v141
	v_fma_f32 v11, v136, v140, -v11
	s_delay_alu instid0(VALU_DEP_1) | instskip(SKIP_1) | instid1(VALU_DEP_1)
	v_add_f32_e32 v9, v9, v11
	v_mul_f32_e32 v11, v143, v147
	v_fma_f32 v11, v142, v146, -v11
	;; [unrolled: 4-line block ×21, first 2 shown]
	s_delay_alu instid0(VALU_DEP_1) | instskip(SKIP_1) | instid1(VALU_DEP_1)
	v_add_f32_e32 v246, v9, v11
	v_mul_f32_e32 v9, v223, v227
	v_dual_fma_f32 v248, v222, v226, -v9 :: v_dual_mul_f32 v9, v225, v229
	s_delay_alu instid0(VALU_DEP_1) | instskip(NEXT) | instid1(VALU_DEP_2)
	v_pk_add_f32 v[110:111], v[246:247], v[248:249]
	v_fma_f32 v250, v224, v228, -v9
	s_delay_alu instid0(VALU_DEP_1) | instskip(NEXT) | instid1(VALU_DEP_1)
	v_pk_add_f32 v[110:111], v[110:111], v[250:251]
	v_pk_add_f32 v[94:95], v[110:111], v[114:115]
	v_dual_mov_b32 v110, v97 :: v_dual_mov_b32 v111, v96
	s_delay_alu instid0(VALU_DEP_1) | instskip(NEXT) | instid1(VALU_DEP_1)
	v_pk_mul_f32 v[110:111], v[110:111], v[112:113] op_sel_hi:[1,0]
	v_pk_fma_f32 v[112:113], v[96:97], v[232:233], v[110:111] neg_lo:[0,0,1] neg_hi:[0,0,1]
	v_pk_fma_f32 v[96:97], v[96:97], v[232:233], v[110:111] op_sel_hi:[1,0,1]
	s_delay_alu instid0(VALU_DEP_1) | instskip(SKIP_2) | instid1(VALU_DEP_2)
	v_mov_b32_e32 v113, v97
	s_wait_loadcnt_dscnt 0x202
	v_pk_mul_f32 v[96:97], v[98:99], v[234:235] op_sel:[1,1] op_sel_hi:[0,1]
	v_pk_add_f32 v[94:95], v[94:95], v[112:113]
	s_delay_alu instid0(VALU_DEP_2) | instskip(SKIP_2) | instid1(VALU_DEP_2)
	v_pk_fma_f32 v[110:111], v[98:99], v[234:235], v[96:97] neg_lo:[0,0,1] neg_hi:[0,0,1]
	v_pk_fma_f32 v[96:97], v[98:99], v[234:235], v[96:97] op_sel_hi:[1,0,1]
	v_dual_mov_b32 v96, v101 :: v_dual_mov_b32 v98, v237
	v_dual_mov_b32 v111, v97 :: v_dual_mov_b32 v97, v100
	s_delay_alu instid0(VALU_DEP_1) | instskip(NEXT) | instid1(VALU_DEP_2)
	v_pk_add_f32 v[94:95], v[94:95], v[110:111]
	v_pk_mul_f32 v[96:97], v[96:97], v[98:99] op_sel_hi:[1,0]
	s_delay_alu instid0(VALU_DEP_1) | instskip(SKIP_1) | instid1(VALU_DEP_1)
	v_pk_fma_f32 v[98:99], v[100:101], v[236:237], v[96:97] neg_lo:[0,0,1] neg_hi:[0,0,1]
	v_pk_fma_f32 v[96:97], v[100:101], v[236:237], v[96:97] op_sel_hi:[1,0,1]
	v_mov_b32_e32 v99, v97
	s_wait_loadcnt_dscnt 0x101
	v_pk_mul_f32 v[96:97], v[102:103], v[238:239] op_sel:[1,1] op_sel_hi:[0,1]
	s_delay_alu instid0(VALU_DEP_2) | instskip(NEXT) | instid1(VALU_DEP_2)
	v_pk_add_f32 v[94:95], v[94:95], v[98:99]
	v_pk_fma_f32 v[98:99], v[102:103], v[238:239], v[96:97] neg_lo:[0,0,1] neg_hi:[0,0,1]
	v_pk_fma_f32 v[96:97], v[102:103], v[238:239], v[96:97] op_sel_hi:[1,0,1]
	s_delay_alu instid0(VALU_DEP_1) | instskip(SKIP_1) | instid1(VALU_DEP_2)
	v_dual_mov_b32 v96, v105 :: v_dual_mov_b32 v99, v97
	v_mov_b32_e32 v97, v104
	v_pk_add_f32 v[94:95], v[94:95], v[98:99]
	v_mov_b32_e32 v98, v241
	s_delay_alu instid0(VALU_DEP_1) | instskip(NEXT) | instid1(VALU_DEP_1)
	v_pk_mul_f32 v[96:97], v[96:97], v[98:99] op_sel_hi:[1,0]
	v_pk_fma_f32 v[98:99], v[104:105], v[240:241], v[96:97] neg_lo:[0,0,1] neg_hi:[0,0,1]
	v_pk_fma_f32 v[96:97], v[104:105], v[240:241], v[96:97] op_sel_hi:[1,0,1]
	s_delay_alu instid0(VALU_DEP_1) | instskip(SKIP_2) | instid1(VALU_DEP_2)
	v_mov_b32_e32 v99, v97
	s_wait_loadcnt_dscnt 0x0
	v_pk_mul_f32 v[96:97], v[106:107], v[242:243] op_sel:[1,1] op_sel_hi:[0,1]
	v_pk_add_f32 v[94:95], v[94:95], v[98:99]
	s_delay_alu instid0(VALU_DEP_2) | instskip(SKIP_1) | instid1(VALU_DEP_1)
	v_pk_fma_f32 v[98:99], v[106:107], v[242:243], v[96:97] neg_lo:[0,0,1] neg_hi:[0,0,1]
	v_pk_fma_f32 v[96:97], v[106:107], v[242:243], v[96:97] op_sel_hi:[1,0,1]
	v_dual_mov_b32 v96, v109 :: v_dual_mov_b32 v99, v97
	v_mov_b32_e32 v97, v108
	s_delay_alu instid0(VALU_DEP_2) | instskip(SKIP_1) | instid1(VALU_DEP_1)
	v_pk_add_f32 v[94:95], v[94:95], v[98:99]
	v_mov_b32_e32 v98, v245
	v_pk_mul_f32 v[96:97], v[96:97], v[98:99] op_sel_hi:[1,0]
	s_delay_alu instid0(VALU_DEP_1) | instskip(SKIP_1) | instid1(VALU_DEP_1)
	v_pk_fma_f32 v[98:99], v[108:109], v[244:245], v[96:97] neg_lo:[0,0,1] neg_hi:[0,0,1]
	v_pk_fma_f32 v[96:97], v[108:109], v[244:245], v[96:97] op_sel_hi:[1,0,1]
	v_mov_b32_e32 v99, v97
	scratch_load_b64 v[96:97], off, off offset:24
	v_pk_add_f32 v[94:95], v[94:95], v[98:99]
	s_wait_loadcnt 0x0
	s_delay_alu instid0(VALU_DEP_1)
	v_pk_add_f32 v[94:95], v[96:97], v[94:95] neg_lo:[0,1] neg_hi:[0,1]
	scratch_store_b64 off, v[94:95], off offset:24
	s_wait_xcnt 0x0
	v_cmpx_lt_u32_e32 2, v0
	s_cbranch_execz .LBB109_285
; %bb.284:
	scratch_load_b64 v[94:95], off, off offset:16
	v_mov_b64_e32 v[96:97], 0
	scratch_store_b64 off, v[96:97], off offset:16
	s_wait_loadcnt 0x0
	ds_store_b64 v1, v[94:95]
.LBB109_285:
	s_wait_xcnt 0x0
	s_or_b32 exec_lo, exec_lo, s0
	s_wait_storecnt_dscnt 0x0
	s_barrier_signal -1
	s_barrier_wait -1
	s_clause 0x11
	scratch_load_b128 v[98:101], off, off offset:24
	scratch_load_b128 v[106:109], off, off offset:40
	;; [unrolled: 1-line block ×18, first 2 shown]
	v_mov_b32_e32 v73, 0
	s_mov_b32 s0, exec_lo
	ds_load_2addr_b64 v[94:97], v73 offset0:49 offset1:50
	ds_load_2addr_b64 v[102:105], v73 offset0:51 offset1:52
	s_wait_loadcnt_dscnt 0x1101
	v_dual_mul_f32 v7, v94, v99 :: v_dual_mul_f32 v9, v96, v101
	ds_load_2addr_b64 v[222:225], v73 offset0:81 offset1:82
	ds_load_2addr_b64 v[230:233], v73 offset0:83 offset1:84
	;; [unrolled: 1-line block ×4, first 2 shown]
	v_dual_fmac_f32 v7, v95, v98 :: v_dual_fmac_f32 v9, v97, v100
	ds_load_2addr_b64 v[126:129], v73 offset0:57 offset1:58
	ds_load_2addr_b64 v[134:137], v73 offset0:59 offset1:60
	;; [unrolled: 1-line block ×4, first 2 shown]
	v_add_f32_e32 v7, 0, v7
	ds_load_2addr_b64 v[158:161], v73 offset0:65 offset1:66
	ds_load_2addr_b64 v[166:169], v73 offset0:67 offset1:68
	ds_load_2addr_b64 v[174:177], v73 offset0:69 offset1:70
	ds_load_2addr_b64 v[182:185], v73 offset0:71 offset1:72
	s_wait_loadcnt_dscnt 0x100c
	v_dual_add_f32 v7, v7, v9 :: v_dual_mul_f32 v9, v102, v107
	ds_load_2addr_b64 v[190:193], v73 offset0:73 offset1:74
	ds_load_2addr_b64 v[198:201], v73 offset0:75 offset1:76
	;; [unrolled: 1-line block ×4, first 2 shown]
	s_wait_loadcnt_dscnt 0xf0f
	v_dual_fmac_f32 v9, v103, v106 :: v_dual_mul_f32 v253, v224, v229
	s_clause 0x4
	scratch_load_b128 v[238:241], off, off offset:312
	scratch_load_b128 v[242:245], off, off offset:328
	;; [unrolled: 1-line block ×3, first 2 shown]
	s_set_vgpr_msb 64                       ;  msbs: dst=1 src0=0 src1=0 src2=0
	scratch_load_b64 v[0:1] /*v[256:257]*/, off, off offset:360
	s_wait_loadcnt_dscnt 0x120e
	s_set_vgpr_msb 0                        ;  msbs: dst=0 src0=0 src1=0 src2=0
	v_dual_mul_f32 v255, v230, v235 :: v_dual_add_f32 v7, v7, v9
	v_dual_mul_f32 v9, v104, v109 :: v_dual_fmac_f32 v253, v225, v228
	s_delay_alu instid0(VALU_DEP_1) | instskip(SKIP_1) | instid1(VALU_DEP_1)
	v_dual_fmac_f32 v255, v231, v234 :: v_dual_fmac_f32 v9, v105, v108
	s_wait_loadcnt_dscnt 0x110d
	v_dual_add_f32 v7, v7, v9 :: v_dual_mul_f32 v9, v110, v115
	s_delay_alu instid0(VALU_DEP_1) | instskip(NEXT) | instid1(VALU_DEP_1)
	v_fmac_f32_e32 v9, v111, v114
	v_add_f32_e32 v7, v7, v9
	v_mul_f32_e32 v9, v112, v117
	s_delay_alu instid0(VALU_DEP_1) | instskip(SKIP_1) | instid1(VALU_DEP_1)
	v_fmac_f32_e32 v9, v113, v116
	s_wait_loadcnt_dscnt 0x100c
	v_dual_add_f32 v7, v7, v9 :: v_dual_mul_f32 v9, v118, v123
	s_delay_alu instid0(VALU_DEP_1) | instskip(NEXT) | instid1(VALU_DEP_1)
	v_fmac_f32_e32 v9, v119, v122
	v_add_f32_e32 v7, v7, v9
	v_mul_f32_e32 v9, v120, v125
	s_delay_alu instid0(VALU_DEP_1) | instskip(SKIP_1) | instid1(VALU_DEP_1)
	v_fmac_f32_e32 v9, v121, v124
	;; [unrolled: 8-line block ×13, first 2 shown]
	s_wait_loadcnt_dscnt 0x400
	v_dual_add_f32 v7, v7, v9 :: v_dual_mul_f32 v9, v214, v219
	s_delay_alu instid0(VALU_DEP_1) | instskip(NEXT) | instid1(VALU_DEP_1)
	v_fmac_f32_e32 v9, v215, v218
	v_add_f32_e32 v7, v7, v9
	v_mul_f32_e32 v9, v216, v221
	s_delay_alu instid0(VALU_DEP_1) | instskip(NEXT) | instid1(VALU_DEP_1)
	v_fmac_f32_e32 v9, v217, v220
	v_dual_add_f32 v7, v7, v9 :: v_dual_mul_f32 v9, v222, v227
	s_delay_alu instid0(VALU_DEP_1) | instskip(NEXT) | instid1(VALU_DEP_1)
	v_fmac_f32_e32 v9, v223, v226
	v_add_f32_e32 v251, v7, v9
	v_dual_mul_f32 v7, v95, v99 :: v_dual_mul_f32 v9, v97, v101
	s_delay_alu instid0(VALU_DEP_1) | instskip(NEXT) | instid1(VALU_DEP_1)
	v_dual_fma_f32 v7, v94, v98, -v7 :: v_dual_fma_f32 v9, v96, v100, -v9
	v_add_f32_e32 v7, 0, v7
	s_delay_alu instid0(VALU_DEP_1) | instskip(SKIP_1) | instid1(VALU_DEP_1)
	v_add_f32_e32 v7, v7, v9
	v_mul_f32_e32 v9, v103, v107
	v_fma_f32 v9, v102, v106, -v9
	s_delay_alu instid0(VALU_DEP_1) | instskip(SKIP_1) | instid1(VALU_DEP_1)
	v_add_f32_e32 v7, v7, v9
	v_mul_f32_e32 v9, v105, v109
	v_fma_f32 v9, v104, v108, -v9
	ds_load_2addr_b64 v[94:97], v73 offset0:85 offset1:86
	ds_load_2addr_b64 v[98:101], v73 offset0:87 offset1:88
	;; [unrolled: 1-line block ×3, first 2 shown]
	ds_load_b64 v[106:107], v73 offset:728
	v_add_f32_e32 v7, v7, v9
	v_dual_mul_f32 v9, v111, v115 :: v_dual_mov_b32 v111, v232
	s_delay_alu instid0(VALU_DEP_1) | instskip(NEXT) | instid1(VALU_DEP_1)
	v_dual_fma_f32 v9, v110, v114, -v9 :: v_dual_mov_b32 v110, v233
	v_add_f32_e32 v7, v7, v9
	v_mul_f32_e32 v9, v113, v117
	s_delay_alu instid0(VALU_DEP_1) | instskip(NEXT) | instid1(VALU_DEP_1)
	v_dual_fma_f32 v9, v112, v116, -v9 :: v_dual_mov_b32 v112, v237
	v_add_f32_e32 v7, v7, v9
	v_mul_f32_e32 v9, v119, v123
	s_delay_alu instid0(VALU_DEP_3) | instskip(NEXT) | instid1(VALU_DEP_2)
	v_pk_mul_f32 v[110:111], v[110:111], v[112:113] op_sel_hi:[1,0]
	v_fma_f32 v9, v118, v122, -v9
	s_delay_alu instid0(VALU_DEP_2) | instskip(SKIP_1) | instid1(VALU_DEP_3)
	v_pk_fma_f32 v[112:113], v[232:233], v[236:237], v[110:111] neg_lo:[0,0,1] neg_hi:[0,0,1]
	v_pk_fma_f32 v[110:111], v[232:233], v[236:237], v[110:111] op_sel_hi:[1,0,1]
	v_add_f32_e32 v7, v7, v9
	s_delay_alu instid0(VALU_DEP_2) | instskip(SKIP_2) | instid1(VALU_DEP_2)
	v_dual_mul_f32 v9, v121, v125 :: v_dual_mov_b32 v113, v111
	s_wait_loadcnt_dscnt 0x303
	v_pk_mul_f32 v[110:111], v[94:95], v[238:239] op_sel:[1,1] op_sel_hi:[0,1]
	v_fma_f32 v9, v120, v124, -v9
	s_delay_alu instid0(VALU_DEP_1) | instskip(SKIP_1) | instid1(VALU_DEP_1)
	v_add_f32_e32 v7, v7, v9
	v_mul_f32_e32 v9, v127, v131
	v_fma_f32 v9, v126, v130, -v9
	s_delay_alu instid0(VALU_DEP_1) | instskip(SKIP_1) | instid1(VALU_DEP_1)
	v_add_f32_e32 v7, v7, v9
	v_mul_f32_e32 v9, v129, v133
	;; [unrolled: 4-line block ×26, first 2 shown]
	v_dual_fma_f32 v252, v224, v228, -v7 :: v_dual_mul_f32 v7, v231, v235
	s_delay_alu instid0(VALU_DEP_1) | instskip(NEXT) | instid1(VALU_DEP_2)
	v_pk_add_f32 v[108:109], v[250:251], v[252:253]
	v_fma_f32 v254, v230, v234, -v7
	s_delay_alu instid0(VALU_DEP_1) | instskip(NEXT) | instid1(VALU_DEP_1)
	v_pk_add_f32 v[108:109], v[108:109], v[254:255]
	v_pk_add_f32 v[108:109], v[108:109], v[112:113]
	v_pk_fma_f32 v[112:113], v[94:95], v[238:239], v[110:111] neg_lo:[0,0,1] neg_hi:[0,0,1]
	v_pk_fma_f32 v[94:95], v[94:95], v[238:239], v[110:111] op_sel_hi:[1,0,1]
	s_delay_alu instid0(VALU_DEP_1) | instskip(NEXT) | instid1(VALU_DEP_1)
	v_dual_mov_b32 v110, v241 :: v_dual_mov_b32 v113, v95
	v_pk_add_f32 v[94:95], v[108:109], v[112:113]
	v_dual_mov_b32 v108, v97 :: v_dual_mov_b32 v109, v96
	s_delay_alu instid0(VALU_DEP_1) | instskip(NEXT) | instid1(VALU_DEP_1)
	v_pk_mul_f32 v[108:109], v[108:109], v[110:111] op_sel_hi:[1,0]
	v_pk_fma_f32 v[110:111], v[96:97], v[240:241], v[108:109] neg_lo:[0,0,1] neg_hi:[0,0,1]
	v_pk_fma_f32 v[96:97], v[96:97], v[240:241], v[108:109] op_sel_hi:[1,0,1]
	s_delay_alu instid0(VALU_DEP_1) | instskip(SKIP_2) | instid1(VALU_DEP_2)
	v_mov_b32_e32 v111, v97
	s_wait_loadcnt_dscnt 0x202
	v_pk_mul_f32 v[96:97], v[98:99], v[242:243] op_sel:[1,1] op_sel_hi:[0,1]
	v_pk_add_f32 v[94:95], v[94:95], v[110:111]
	s_delay_alu instid0(VALU_DEP_2) | instskip(SKIP_2) | instid1(VALU_DEP_2)
	v_pk_fma_f32 v[108:109], v[98:99], v[242:243], v[96:97] neg_lo:[0,0,1] neg_hi:[0,0,1]
	v_pk_fma_f32 v[96:97], v[98:99], v[242:243], v[96:97] op_sel_hi:[1,0,1]
	v_dual_mov_b32 v96, v101 :: v_dual_mov_b32 v98, v245
	v_dual_mov_b32 v109, v97 :: v_dual_mov_b32 v97, v100
	s_delay_alu instid0(VALU_DEP_1) | instskip(NEXT) | instid1(VALU_DEP_2)
	v_pk_add_f32 v[94:95], v[94:95], v[108:109]
	v_pk_mul_f32 v[96:97], v[96:97], v[98:99] op_sel_hi:[1,0]
	s_delay_alu instid0(VALU_DEP_1) | instskip(SKIP_1) | instid1(VALU_DEP_1)
	v_pk_fma_f32 v[98:99], v[100:101], v[244:245], v[96:97] neg_lo:[0,0,1] neg_hi:[0,0,1]
	v_pk_fma_f32 v[96:97], v[100:101], v[244:245], v[96:97] op_sel_hi:[1,0,1]
	v_mov_b32_e32 v99, v97
	s_wait_loadcnt_dscnt 0x101
	v_pk_mul_f32 v[96:97], v[102:103], v[246:247] op_sel:[1,1] op_sel_hi:[0,1]
	s_delay_alu instid0(VALU_DEP_2) | instskip(NEXT) | instid1(VALU_DEP_2)
	v_pk_add_f32 v[94:95], v[94:95], v[98:99]
	v_pk_fma_f32 v[98:99], v[102:103], v[246:247], v[96:97] neg_lo:[0,0,1] neg_hi:[0,0,1]
	v_pk_fma_f32 v[96:97], v[102:103], v[246:247], v[96:97] op_sel_hi:[1,0,1]
	s_delay_alu instid0(VALU_DEP_1) | instskip(SKIP_1) | instid1(VALU_DEP_2)
	v_dual_mov_b32 v96, v105 :: v_dual_mov_b32 v99, v97
	v_mov_b32_e32 v97, v104
	v_pk_add_f32 v[94:95], v[94:95], v[98:99]
	v_mov_b32_e32 v98, v249
	s_delay_alu instid0(VALU_DEP_1) | instskip(NEXT) | instid1(VALU_DEP_1)
	v_pk_mul_f32 v[96:97], v[96:97], v[98:99] op_sel_hi:[1,0]
	v_pk_fma_f32 v[98:99], v[104:105], v[248:249], v[96:97] neg_lo:[0,0,1] neg_hi:[0,0,1]
	v_pk_fma_f32 v[96:97], v[104:105], v[248:249], v[96:97] op_sel_hi:[1,0,1]
	s_delay_alu instid0(VALU_DEP_1)
	v_mov_b32_e32 v99, v97
	s_wait_loadcnt_dscnt 0x0
	s_set_vgpr_msb 4                        ;  msbs: dst=0 src0=0 src1=1 src2=0
	v_pk_mul_f32 v[96:97], v[106:107], v[0:1] /*v[256:257]*/ op_sel:[1,1] op_sel_hi:[0,1]
	s_set_vgpr_msb 0                        ;  msbs: dst=0 src0=0 src1=0 src2=0
	v_pk_add_f32 v[94:95], v[94:95], v[98:99]
	s_set_vgpr_msb 4                        ;  msbs: dst=0 src0=0 src1=1 src2=0
	s_delay_alu instid0(VALU_DEP_2) | instskip(SKIP_1) | instid1(VALU_DEP_1)
	v_pk_fma_f32 v[98:99], v[106:107], v[0:1] /*v[256:257]*/, v[96:97] neg_lo:[0,0,1] neg_hi:[0,0,1]
	v_pk_fma_f32 v[96:97], v[106:107], v[0:1] /*v[256:257]*/, v[96:97] op_sel_hi:[1,0,1]
	v_mov_b32_e32 v99, v97
	scratch_load_b64 v[96:97], off, off offset:16
	s_set_vgpr_msb 0                        ;  msbs: dst=0 src0=0 src1=0 src2=0
	v_pk_add_f32 v[94:95], v[94:95], v[98:99]
	s_wait_loadcnt 0x0
	s_delay_alu instid0(VALU_DEP_1)
	v_pk_add_f32 v[94:95], v[96:97], v[94:95] neg_lo:[0,1] neg_hi:[0,1]
	scratch_store_b64 off, v[94:95], off offset:16
	s_wait_xcnt 0x0
	v_cmpx_lt_u32_e32 1, v0
	s_cbranch_execz .LBB109_287
; %bb.286:
	scratch_load_b64 v[94:95], off, off offset:8
	v_mov_b64_e32 v[96:97], 0
	scratch_store_b64 off, v[96:97], off offset:8
	s_wait_loadcnt 0x0
	ds_store_b64 v1, v[94:95]
.LBB109_287:
	s_wait_xcnt 0x0
	s_or_b32 exec_lo, exec_lo, s0
	s_wait_storecnt_dscnt 0x0
	s_barrier_signal -1
	s_barrier_wait -1
	s_clause 0x17
	scratch_load_b128 v[94:97], off, off offset:16
	scratch_load_b128 v[98:101], off, off offset:32
	;; [unrolled: 1-line block ×22, first 2 shown]
	s_set_vgpr_msb 64                       ;  msbs: dst=1 src0=0 src1=0 src2=0
	scratch_load_b64 v[14:15] /*v[270:271]*/, off, off offset:8
	s_set_vgpr_msb 0                        ;  msbs: dst=0 src0=0 src1=0 src2=0
	ds_load_b128 v[182:185], v73 offset:384
	ds_load_b128 v[186:189], v73 offset:400
	;; [unrolled: 1-line block ×19, first 2 shown]
	s_set_vgpr_msb 64                       ;  msbs: dst=1 src0=0 src1=0 src2=0
	ds_load_b128 v[2:5] /*v[258:261]*/, v73 offset:624
	ds_load_b128 v[6:9] /*v[262:265]*/, v73 offset:640
	;; [unrolled: 1-line block ×3, first 2 shown]
	s_set_vgpr_msb 0                        ;  msbs: dst=0 src0=0 src1=0 src2=0
	v_ashrrev_i32_e32 v71, 31, v70
	s_wait_dscnt 0x13
	s_set_vgpr_msb 64                       ;  msbs: dst=1 src0=0 src1=0 src2=0
	v_dual_mov_b32 v16 /*v272*/, v193 :: v_dual_mov_b32 v17 /*v273*/, v192
	s_wait_dscnt 0x12
	v_dual_mov_b32 v18 /*v274*/, v197 :: v_dual_mov_b32 v19 /*v275*/, v196
	s_wait_dscnt 0xf
	;; [unrolled: 2-line block ×3, first 2 shown]
	v_dual_mov_b32 v22 /*v278*/, v213 :: v_dual_mov_b32 v23 /*v279*/, v212
	s_set_vgpr_msb 0                        ;  msbs: dst=0 src0=0 src1=0 src2=0
	v_dual_ashrrev_i32 v7, 31, v6 :: v_dual_ashrrev_i32 v9, 31, v8
	v_dual_ashrrev_i32 v11, 31, v10 :: v_dual_ashrrev_i32 v13, 31, v12
	;; [unrolled: 1-line block ×16, first 2 shown]
	s_mov_b32 s0, exec_lo
	s_wait_loadcnt 0x16
	v_dual_mul_f32 v73, v182, v95 :: v_dual_mul_f32 v75, v184, v97
	s_wait_loadcnt 0x15
	v_dual_mul_f32 v77, v186, v99 :: v_dual_mul_f32 v79, v188, v101
	v_dual_mul_f32 v81, v183, v95 :: v_dual_mul_f32 v83, v185, v97
	v_mul_f32_e32 v85, v187, v99
	v_dual_fmac_f32 v73, v183, v94 :: v_dual_fmac_f32 v75, v185, v96
	s_delay_alu instid0(VALU_DEP_3)
	v_dual_fma_f32 v81, v182, v94, -v81 :: v_dual_mul_f32 v87, v189, v101
	s_wait_loadcnt 0x14
	v_dual_mul_f32 v89, v198, v103 :: v_dual_fmac_f32 v77, v187, v98
	s_wait_loadcnt 0x13
	v_dual_mul_f32 v99, v204, v109 :: v_dual_mul_f32 v95, v199, v103
	s_wait_loadcnt_dscnt 0x803
	v_dual_mul_f32 v94, v254, v151 :: v_dual_fma_f32 v83, v184, v96, -v83
	v_add_f32_e32 v73, 0, v73
	v_dual_add_f32 v81, 0, v81 :: v_dual_fma_f32 v85, v186, v98, -v85
	v_dual_mul_f32 v91, v200, v105 :: v_dual_mul_f32 v93, v202, v107
	s_delay_alu instid0(VALU_DEP_3) | instskip(NEXT) | instid1(VALU_DEP_3)
	v_add_f32_e32 v73, v73, v75
	v_dual_add_f32 v75, v81, v83 :: v_dual_fma_f32 v83, v188, v100, -v87
	v_fmac_f32_e32 v79, v189, v100
	v_dual_mul_f32 v97, v201, v105 :: v_dual_mul_f32 v101, v203, v107
	s_delay_alu instid0(VALU_DEP_4) | instskip(NEXT) | instid1(VALU_DEP_4)
	v_dual_add_f32 v73, v73, v77 :: v_dual_fmac_f32 v89, v199, v102
	v_dual_add_f32 v75, v75, v85 :: v_dual_fma_f32 v85, v198, v102, -v95
	v_fmac_f32_e32 v91, v201, v104
	s_delay_alu instid0(VALU_DEP_3) | instskip(SKIP_1) | instid1(VALU_DEP_4)
	v_add_f32_e32 v73, v73, v79
	v_dual_mul_f32 v103, v205, v109 :: v_dual_mul_f32 v105, v214, v111
	v_dual_add_f32 v75, v75, v83 :: v_dual_fma_f32 v83, v200, v104, -v97
	s_delay_alu instid0(VALU_DEP_3) | instskip(NEXT) | instid1(VALU_DEP_2)
	v_dual_add_f32 v73, v73, v89 :: v_dual_fmac_f32 v93, v203, v106
	v_dual_fma_f32 v87, v202, v106, -v101 :: v_dual_add_f32 v75, v75, v85
	v_fmac_f32_e32 v99, v205, v108
	s_delay_alu instid0(VALU_DEP_3) | instskip(SKIP_1) | instid1(VALU_DEP_4)
	v_dual_add_f32 v73, v73, v91 :: v_dual_mul_f32 v107, v216, v113
	v_mul_f32_e32 v109, v218, v115
	v_dual_add_f32 v75, v75, v83 :: v_dual_fma_f32 v83, v204, v108, -v103
	s_delay_alu instid0(VALU_DEP_3) | instskip(NEXT) | instid1(VALU_DEP_2)
	v_dual_add_f32 v73, v73, v93 :: v_dual_mul_f32 v111, v215, v111
	v_dual_mul_f32 v113, v217, v113 :: v_dual_add_f32 v75, v75, v87
	s_delay_alu instid0(VALU_DEP_2) | instskip(NEXT) | instid1(VALU_DEP_3)
	v_dual_fmac_f32 v105, v215, v110 :: v_dual_add_f32 v73, v73, v99
	v_dual_mul_f32 v115, v219, v115 :: v_dual_fma_f32 v87, v214, v110, -v111
	s_delay_alu instid0(VALU_DEP_3) | instskip(NEXT) | instid1(VALU_DEP_3)
	v_dual_add_f32 v75, v75, v83 :: v_dual_fmac_f32 v107, v217, v112
	v_add_f32_e32 v73, v73, v105
	s_set_vgpr_msb 64                       ;  msbs: dst=1 src0=0 src1=0 src2=0
	v_dual_mul_f32 v24 /*v280*/, v220, v117 :: v_dual_mul_f32 v25 /*v281*/, v222, v119
	s_set_vgpr_msb 0                        ;  msbs: dst=0 src0=0 src1=0 src2=0
	v_dual_mul_f32 v117, v221, v117 :: v_dual_mul_f32 v83, v227, v123
	v_dual_fma_f32 v89, v216, v112, -v113 :: v_dual_add_f32 v75, v75, v87
	v_dual_mul_f32 v87, v229, v125 :: v_dual_fmac_f32 v109, v219, v114
	v_dual_fma_f32 v91, v218, v114, -v115 :: v_dual_add_f32 v73, v73, v107
	s_set_vgpr_msb 64                       ;  msbs: dst=1 src0=0 src1=0 src2=0
	v_dual_mul_f32 v40 /*v296*/, v252, v149 :: v_dual_fmac_f32 v24 /*v280*/, v221, v116
	s_set_vgpr_msb 0                        ;  msbs: dst=0 src0=0 src1=0 src2=0
	v_dual_add_f32 v75, v75, v89 :: v_dual_fma_f32 v93, v220, v116, -v117
	v_dual_mul_f32 v89, v231, v127 :: v_dual_add_f32 v73, v73, v109
	s_set_vgpr_msb 64                       ;  msbs: dst=1 src0=0 src1=0 src2=0
	v_dual_mul_f32 v26 /*v282*/, v224, v121 :: v_dual_mul_f32 v27 /*v283*/, v226, v123
	v_fmac_f32_e32 v25 /*v281*/, v223, v118
	s_set_vgpr_msb 0                        ;  msbs: dst=0 src0=0 src1=0 src2=0
	v_dual_mul_f32 v119, v223, v119 :: v_dual_mul_f32 v121, v225, v121
	s_set_vgpr_msb 4                        ;  msbs: dst=0 src0=0 src1=1 src2=0
	v_add_f32_e32 v73, v73, v24 /*v280*/
	s_set_vgpr_msb 0                        ;  msbs: dst=0 src0=0 src1=0 src2=0
	v_dual_add_f32 v75, v75, v91 :: v_dual_mul_f32 v91, v233, v129
	s_set_vgpr_msb 64                       ;  msbs: dst=1 src0=0 src1=0 src2=0
	v_dual_fmac_f32 v26 /*v282*/, v225, v120 :: v_dual_mul_f32 v28 /*v284*/, v228, v125
	v_mul_f32_e32 v29 /*v285*/, v230, v127
	s_set_vgpr_msb 4                        ;  msbs: dst=0 src0=0 src1=1 src2=0
	v_add_f32_e32 v73, v73, v25 /*v281*/
	s_set_vgpr_msb 0                        ;  msbs: dst=0 src0=0 src1=0 src2=0
	v_dual_fma_f32 v98, v222, v118, -v119 :: v_dual_add_f32 v75, v75, v93
	s_set_vgpr_msb 64                       ;  msbs: dst=1 src0=0 src1=0 src2=0
	v_dual_fmac_f32 v27 /*v283*/, v227, v122 :: v_dual_fmac_f32 v28 /*v284*/, v229, v124
	s_set_vgpr_msb 4                        ;  msbs: dst=0 src0=0 src1=1 src2=0
	v_add_f32_e32 v73, v73, v26 /*v282*/
	s_set_vgpr_msb 0                        ;  msbs: dst=0 src0=0 src1=0 src2=0
	v_dual_mul_f32 v93, v235, v131 :: v_dual_fma_f32 v99, v224, v120, -v121
	v_dual_add_f32 v75, v75, v98 :: v_dual_mul_f32 v98, v237, v133
	s_set_vgpr_msb 4                        ;  msbs: dst=0 src0=0 src1=1 src2=0
	v_add_f32_e32 v73, v73, v27 /*v283*/
	s_set_vgpr_msb 64                       ;  msbs: dst=1 src0=0 src1=0 src2=0
	v_dual_mul_f32 v30 /*v286*/, v232, v129 :: v_dual_mul_f32 v31 /*v287*/, v234, v131
	s_set_vgpr_msb 0                        ;  msbs: dst=0 src0=0 src1=0 src2=0
	v_dual_fma_f32 v83, v226, v122, -v83 :: v_dual_add_f32 v75, v75, v99
	s_set_vgpr_msb 64                       ;  msbs: dst=1 src0=0 src1=0 src2=0
	s_delay_alu instid0(VALU_DEP_2)
	v_dual_fmac_f32 v29 /*v285*/, v231, v126 :: v_dual_fmac_f32 v30 /*v286*/, v233, v128
	s_set_vgpr_msb 4                        ;  msbs: dst=0 src0=0 src1=1 src2=0
	v_add_f32_e32 v73, v73, v28 /*v284*/
	s_set_vgpr_msb 0                        ;  msbs: dst=0 src0=0 src1=0 src2=0
	v_dual_mul_f32 v99, v239, v135 :: v_dual_fma_f32 v87, v228, v124, -v87
	v_dual_add_f32 v75, v75, v83 :: v_dual_mul_f32 v83, v241, v137
	s_set_vgpr_msb 4                        ;  msbs: dst=0 src0=0 src1=1 src2=0
	v_add_f32_e32 v73, v73, v29 /*v285*/
	s_set_vgpr_msb 64                       ;  msbs: dst=1 src0=0 src1=0 src2=0
	v_dual_mul_f32 v32 /*v288*/, v236, v133 :: v_dual_mul_f32 v33 /*v289*/, v238, v135
	s_set_vgpr_msb 0                        ;  msbs: dst=0 src0=0 src1=0 src2=0
	v_dual_fma_f32 v89, v230, v126, -v89 :: v_dual_add_f32 v75, v75, v87
	s_set_vgpr_msb 64                       ;  msbs: dst=1 src0=0 src1=0 src2=0
	s_delay_alu instid0(VALU_DEP_2)
	v_dual_fmac_f32 v31 /*v287*/, v235, v130 :: v_dual_fmac_f32 v32 /*v288*/, v237, v132
	s_set_vgpr_msb 4                        ;  msbs: dst=0 src0=0 src1=1 src2=0
	v_add_f32_e32 v73, v73, v30 /*v286*/
	s_set_vgpr_msb 0                        ;  msbs: dst=0 src0=0 src1=0 src2=0
	v_dual_mul_f32 v87, v243, v139 :: v_dual_fma_f32 v91, v232, v128, -v91
	v_dual_add_f32 v75, v75, v89 :: v_dual_fma_f32 v93, v234, v130, -v93
	s_set_vgpr_msb 4                        ;  msbs: dst=0 src0=0 src1=1 src2=0
	v_add_f32_e32 v73, v73, v31 /*v287*/
	s_set_vgpr_msb 64                       ;  msbs: dst=1 src0=0 src1=0 src2=0
	v_dual_mul_f32 v34 /*v290*/, v240, v137 :: v_dual_mul_f32 v35 /*v291*/, v242, v139
	s_set_vgpr_msb 0                        ;  msbs: dst=0 src0=0 src1=0 src2=0
	v_dual_mul_f32 v89, v245, v141 :: v_dual_add_f32 v75, v75, v91
	s_set_vgpr_msb 64                       ;  msbs: dst=1 src0=0 src1=0 src2=0
	s_delay_alu instid0(VALU_DEP_2)
	v_dual_fmac_f32 v33 /*v289*/, v239, v134 :: v_dual_fmac_f32 v34 /*v290*/, v241, v136
	s_set_vgpr_msb 4                        ;  msbs: dst=0 src0=0 src1=1 src2=0
	v_add_f32_e32 v73, v73, v32 /*v288*/
	s_set_vgpr_msb 0                        ;  msbs: dst=0 src0=0 src1=0 src2=0
	v_dual_mul_f32 v91, v247, v143 :: v_dual_fma_f32 v98, v236, v132, -v98
	v_dual_add_f32 v75, v75, v93 :: v_dual_fma_f32 v99, v238, v134, -v99
	s_set_vgpr_msb 4                        ;  msbs: dst=0 src0=0 src1=1 src2=0
	v_add_f32_e32 v73, v73, v33 /*v289*/
	s_set_vgpr_msb 64                       ;  msbs: dst=1 src0=0 src1=0 src2=0
	v_dual_mul_f32 v36 /*v292*/, v244, v141 :: v_dual_mul_f32 v37 /*v293*/, v246, v143
	s_set_vgpr_msb 0                        ;  msbs: dst=0 src0=0 src1=0 src2=0
	v_dual_mul_f32 v93, v249, v145 :: v_dual_add_f32 v75, v75, v98
	s_set_vgpr_msb 64                       ;  msbs: dst=1 src0=0 src1=0 src2=0
	s_delay_alu instid0(VALU_DEP_2)
	v_dual_fmac_f32 v35 /*v291*/, v243, v138 :: v_dual_fmac_f32 v36 /*v292*/, v245, v140
	s_set_vgpr_msb 4                        ;  msbs: dst=0 src0=0 src1=1 src2=0
	v_add_f32_e32 v73, v73, v34 /*v290*/
	s_set_vgpr_msb 0                        ;  msbs: dst=0 src0=0 src1=0 src2=0
	v_dual_mul_f32 v98, v251, v147 :: v_dual_fma_f32 v83, v240, v136, -v83
	v_dual_add_f32 v75, v75, v99 :: v_dual_mul_f32 v99, v253, v149
	s_set_vgpr_msb 4                        ;  msbs: dst=0 src0=0 src1=1 src2=0
	v_add_f32_e32 v73, v73, v35 /*v291*/
	s_set_vgpr_msb 64                       ;  msbs: dst=1 src0=0 src1=0 src2=0
	v_dual_mul_f32 v38 /*v294*/, v248, v145 :: v_dual_mul_f32 v39 /*v295*/, v250, v147
	s_set_vgpr_msb 0                        ;  msbs: dst=0 src0=0 src1=0 src2=0
	v_dual_fma_f32 v87, v242, v138, -v87 :: v_dual_add_f32 v75, v75, v83
	s_set_vgpr_msb 64                       ;  msbs: dst=1 src0=0 src1=0 src2=0
	s_delay_alu instid0(VALU_DEP_2)
	v_dual_fmac_f32 v37 /*v293*/, v247, v142 :: v_dual_fmac_f32 v38 /*v294*/, v249, v144
	s_set_vgpr_msb 4                        ;  msbs: dst=0 src0=0 src1=1 src2=0
	v_add_f32_e32 v73, v73, v36 /*v292*/
	s_set_vgpr_msb 0                        ;  msbs: dst=0 src0=0 src1=0 src2=0
	v_dual_mul_f32 v83, v255, v151 :: v_dual_fma_f32 v89, v244, v140, -v89
	v_dual_add_f32 v75, v75, v87 :: v_dual_fma_f32 v91, v246, v142, -v91
	s_set_vgpr_msb 4                        ;  msbs: dst=0 src0=0 src1=1 src2=0
	v_add_f32_e32 v73, v73, v37 /*v293*/
	s_set_vgpr_msb 64                       ;  msbs: dst=1 src0=0 src1=0 src2=0
	v_dual_fmac_f32 v39 /*v295*/, v251, v146 :: v_dual_fmac_f32 v40 /*v296*/, v253, v148
	s_set_vgpr_msb 0                        ;  msbs: dst=0 src0=0 src1=0 src2=0
	v_dual_add_f32 v75, v75, v89 :: v_dual_fma_f32 v93, v248, v144, -v93
	s_set_vgpr_msb 4                        ;  msbs: dst=0 src0=0 src1=1 src2=0
	v_add_f32_e32 v73, v73, v38 /*v294*/
	s_wait_loadcnt_dscnt 0x702
	s_set_vgpr_msb 1                        ;  msbs: dst=0 src0=1 src1=0 src2=0
	v_dual_mul_f32 v96, v0 /*v256*/, v153 :: v_dual_mul_f32 v81, v2 /*v258*/, v155
	s_set_vgpr_msb 0                        ;  msbs: dst=0 src0=0 src1=0 src2=0
	v_dual_add_f32 v75, v75, v91 :: v_dual_fma_f32 v98, v250, v146, -v98
	s_set_vgpr_msb 4                        ;  msbs: dst=0 src0=0 src1=1 src2=0
	v_add_f32_e32 v73, v73, v39 /*v295*/
	s_set_vgpr_msb 0                        ;  msbs: dst=0 src0=0 src1=0 src2=0
	v_dual_fmac_f32 v94, v255, v150 :: v_dual_fma_f32 v83, v254, v150, -v83
	v_dual_add_f32 v75, v75, v93 :: v_dual_fma_f32 v99, v252, v148, -v99
	s_set_vgpr_msb 4                        ;  msbs: dst=0 src0=0 src1=1 src2=0
	v_add_f32_e32 v73, v73, v40 /*v296*/
	s_set_vgpr_msb 1                        ;  msbs: dst=0 src0=1 src1=0 src2=0
	v_dual_fmac_f32 v96, v1 /*v257*/, v152 :: v_dual_fmac_f32 v81, v3 /*v259*/, v154
	s_wait_loadcnt_dscnt 0x601
	v_dual_mul_f32 v87, v1 /*v257*/, v153 :: v_dual_mul_f32 v93, v7 /*v263*/, v159
	s_set_vgpr_msb 0                        ;  msbs: dst=0 src0=0 src1=0 src2=0
	v_add_f32_e32 v73, v73, v94
	v_add_f32_e32 v75, v75, v98
	s_set_vgpr_msb 1                        ;  msbs: dst=0 src0=1 src1=0 src2=0
	v_dual_mul_f32 v77, v4 /*v260*/, v157 :: v_dual_mul_f32 v79, v6 /*v262*/, v159
	s_wait_loadcnt_dscnt 0x500
	v_dual_mul_f32 v97, v12 /*v268*/, v165 :: v_dual_mul_f32 v89, v3 /*v259*/, v155
	s_set_vgpr_msb 0                        ;  msbs: dst=0 src0=0 src1=0 src2=0
	v_dual_add_f32 v73, v73, v96 :: v_dual_add_f32 v75, v75, v99
	s_set_vgpr_msb 1                        ;  msbs: dst=0 src0=1 src1=0 src2=0
	v_dual_mul_f32 v101, v9 /*v265*/, v161 :: v_dual_fma_f32 v87, v0 /*v256*/, v152, -v87
	v_dual_mul_f32 v91, v5 /*v261*/, v157 :: v_dual_mul_f32 v105, v11 /*v267*/, v163
	s_set_vgpr_msb 0                        ;  msbs: dst=0 src0=0 src1=0 src2=0
	v_dual_add_f32 v73, v73, v81 :: v_dual_add_f32 v75, v75, v83
	s_set_vgpr_msb 1                        ;  msbs: dst=0 src0=1 src1=0 src2=0
	v_dual_mul_f32 v83, v13 /*v269*/, v165 :: v_dual_fma_f32 v89, v2 /*v258*/, v154, -v89
	v_fmac_f32_e32 v77, v5 /*v261*/, v156
	s_wait_loadcnt 0x4
	s_set_vgpr_msb 0                        ;  msbs: dst=0 src0=0 src1=0 src2=0
	v_dual_mov_b32 v100, v169 :: v_dual_add_f32 v75, v75, v87
	s_set_vgpr_msb 1                        ;  msbs: dst=0 src0=1 src1=0 src2=0
	v_fma_f32 v87, v4 /*v260*/, v156, -v91
	v_dual_fmac_f32 v79, v7 /*v263*/, v158 :: v_dual_fma_f32 v81, v6 /*v262*/, v158, -v93
	s_set_vgpr_msb 0                        ;  msbs: dst=0 src0=0 src1=0 src2=0
	v_add_f32_e32 v73, v73, v77
	v_add_f32_e32 v75, v75, v89
	s_set_vgpr_msb 1                        ;  msbs: dst=0 src0=1 src1=0 src2=0
	v_dual_mul_f32 v85, v8 /*v264*/, v161 :: v_dual_mul_f32 v95, v10 /*v266*/, v163
	s_set_vgpr_msb 0                        ;  msbs: dst=0 src0=0 src1=0 src2=0
	v_pk_mul_f32 v[98:99], v[190:191], v[166:167] op_sel:[1,1] op_sel_hi:[0,1]
	v_add_f32_e32 v73, v73, v79
	v_add_f32_e32 v75, v75, v87
	s_set_vgpr_msb 1                        ;  msbs: dst=0 src0=1 src1=0 src2=0
	v_dual_fmac_f32 v85, v9 /*v265*/, v160 :: v_dual_fmac_f32 v95, v11 /*v267*/, v162
	v_fma_f32 v77, v8 /*v264*/, v160, -v101
	s_wait_loadcnt 0x3
	s_set_vgpr_msb 0                        ;  msbs: dst=0 src0=0 src1=0 src2=0
	v_dual_mov_b32 v104, v173 :: v_dual_add_f32 v75, v75, v81
	s_set_vgpr_msb 1                        ;  msbs: dst=0 src0=1 src1=0 src2=0
	v_dual_fma_f32 v94, v10 /*v266*/, v162, -v105 :: v_dual_fma_f32 v96, v12 /*v268*/, v164, -v83
	s_set_vgpr_msb 0                        ;  msbs: dst=0 src0=0 src1=0 src2=0
	v_dual_add_f32 v107, v73, v85 :: v_dual_ashrrev_i32 v73, 31, v72
	v_pk_fma_f32 v[108:109], v[190:191], v[166:167], v[98:99] op_sel_hi:[1,0,1]
	v_add_f32_e32 v106, v75, v77
	v_pk_fma_f32 v[98:99], v[190:191], v[166:167], v[98:99] neg_lo:[0,0,1] neg_hi:[0,0,1]
	s_set_vgpr_msb 1                        ;  msbs: dst=0 src0=1 src1=0 src2=0
	v_dual_fmac_f32 v97, v13 /*v269*/, v164 :: v_dual_ashrrev_i32 v79, 31, v78
	v_pk_mul_f32 v[100:101], v[16:17] /*v[272:273]*/, v[100:101] op_sel_hi:[1,0]
	s_set_vgpr_msb 0                        ;  msbs: dst=0 src0=0 src1=0 src2=0
	v_mov_b32_e32 v99, v109
	v_pk_add_f32 v[94:95], v[106:107], v[94:95]
	v_pk_mul_f32 v[102:103], v[194:195], v[170:171] op_sel:[1,1] op_sel_hi:[0,1]
	s_set_vgpr_msb 1                        ;  msbs: dst=0 src0=1 src1=0 src2=0
	v_pk_mul_f32 v[104:105], v[18:19] /*v[274:275]*/, v[104:105] op_sel_hi:[1,0]
	s_set_vgpr_msb 0                        ;  msbs: dst=0 src0=0 src1=0 src2=0
	v_pk_fma_f32 v[108:109], v[192:193], v[168:169], v[100:101] op_sel_hi:[1,0,1]
	v_pk_fma_f32 v[100:101], v[192:193], v[168:169], v[100:101] neg_lo:[0,0,1] neg_hi:[0,0,1]
	v_pk_add_f32 v[94:95], v[94:95], v[96:97]
	s_wait_loadcnt 0x2
	v_pk_mul_f32 v[106:107], v[206:207], v[174:175] op_sel:[1,1] op_sel_hi:[0,1]
	v_pk_fma_f32 v[96:97], v[194:195], v[170:171], v[102:103] op_sel_hi:[1,0,1]
	v_dual_mov_b32 v101, v109 :: v_dual_mov_b32 v96, v177
	v_pk_add_f32 v[94:95], v[94:95], v[98:99]
	v_pk_fma_f32 v[98:99], v[194:195], v[170:171], v[102:103] neg_lo:[0,0,1] neg_hi:[0,0,1]
	v_pk_fma_f32 v[102:103], v[196:197], v[172:173], v[104:105] op_sel_hi:[1,0,1]
	v_pk_fma_f32 v[104:105], v[196:197], v[172:173], v[104:105] neg_lo:[0,0,1] neg_hi:[0,0,1]
	v_ashrrev_i32_e32 v77, 31, v76
	v_pk_add_f32 v[94:95], v[94:95], v[100:101]
	v_pk_fma_f32 v[100:101], v[206:207], v[174:175], v[106:107] op_sel_hi:[1,0,1]
	v_mov_b32_e32 v99, v97
	s_set_vgpr_msb 1                        ;  msbs: dst=0 src0=1 src1=0 src2=0
	v_pk_mul_f32 v[96:97], v[20:21] /*v[276:277]*/, v[96:97] op_sel_hi:[1,0]
	s_set_vgpr_msb 0                        ;  msbs: dst=0 src0=0 src1=0 src2=0
	v_mov_b32_e32 v105, v103
	v_pk_fma_f32 v[102:103], v[206:207], v[174:175], v[106:107] neg_lo:[0,0,1] neg_hi:[0,0,1]
	v_mov_b32_e32 v103, v101
	v_pk_add_f32 v[94:95], v[94:95], v[98:99]
	v_pk_fma_f32 v[100:101], v[208:209], v[176:177], v[96:97] op_sel_hi:[1,0,1]
	s_wait_loadcnt 0x1
	v_pk_mul_f32 v[98:99], v[210:211], v[178:179] op_sel:[1,1] op_sel_hi:[0,1]
	v_mov_b32_e32 v100, v181
	v_pk_fma_f32 v[96:97], v[208:209], v[176:177], v[96:97] neg_lo:[0,0,1] neg_hi:[0,0,1]
	v_pk_add_f32 v[94:95], v[94:95], v[104:105]
	v_mov_b32_e32 v97, v101
	v_pk_fma_f32 v[104:105], v[210:211], v[178:179], v[98:99] op_sel_hi:[1,0,1]
	s_set_vgpr_msb 1                        ;  msbs: dst=0 src0=1 src1=0 src2=0
	v_pk_mul_f32 v[100:101], v[22:23] /*v[278:279]*/, v[100:101] op_sel_hi:[1,0]
	s_set_vgpr_msb 0                        ;  msbs: dst=0 src0=0 src1=0 src2=0
	v_pk_fma_f32 v[98:99], v[210:211], v[178:179], v[98:99] neg_lo:[0,0,1] neg_hi:[0,0,1]
	v_pk_add_f32 v[94:95], v[94:95], v[102:103]
	v_dual_ashrrev_i32 v81, 31, v80 :: v_dual_mov_b32 v99, v105
	v_ashrrev_i32_e32 v75, 31, v74
	v_dual_ashrrev_i32 v83, 31, v82 :: v_dual_ashrrev_i32 v85, 31, v84
	s_delay_alu instid0(VALU_DEP_4) | instskip(SKIP_3) | instid1(VALU_DEP_4)
	v_pk_add_f32 v[94:95], v[94:95], v[96:97]
	v_pk_fma_f32 v[96:97], v[212:213], v[180:181], v[100:101] op_sel_hi:[1,0,1]
	v_pk_fma_f32 v[100:101], v[212:213], v[180:181], v[100:101] neg_lo:[0,0,1] neg_hi:[0,0,1]
	v_dual_ashrrev_i32 v87, 31, v86 :: v_dual_ashrrev_i32 v89, 31, v88
	v_pk_add_f32 v[94:95], v[94:95], v[98:99]
	s_delay_alu instid0(VALU_DEP_4) | instskip(SKIP_1) | instid1(VALU_DEP_2)
	v_dual_mov_b32 v101, v97 :: v_dual_ashrrev_i32 v91, 31, v90
	v_ashrrev_i32_e32 v93, 31, v92
	v_pk_add_f32 v[94:95], v[94:95], v[100:101]
	s_wait_loadcnt 0x0
	s_set_vgpr_msb 1                        ;  msbs: dst=0 src0=1 src1=0 src2=0
	s_delay_alu instid0(VALU_DEP_1)
	v_pk_add_f32 v[94:95], v[14:15] /*v[270:271]*/, v[94:95] neg_lo:[0,1] neg_hi:[0,1]
	scratch_store_b64 off, v[94:95], off offset:8
	s_wait_xcnt 0x0
	v_cmpx_ne_u32_e32 0, v0
	s_set_vgpr_msb 0                        ;  msbs: dst=0 src0=0 src1=0 src2=0
	s_cbranch_execz .LBB109_289
; %bb.288:
	scratch_load_b64 v[94:95], off, off
	v_mov_b64_e32 v[96:97], 0
	scratch_store_b64 off, v[96:97], off
	s_wait_loadcnt 0x0
	ds_store_b64 v1, v[94:95]
.LBB109_289:
	s_wait_xcnt 0x0
	s_or_b32 exec_lo, exec_lo, s0
	s_wait_storecnt_dscnt 0x0
	s_barrier_signal -1
	s_barrier_wait -1
	s_clause 0x18
	scratch_load_b128 v[94:97], off, off offset:8
	scratch_load_b128 v[98:101], off, off offset:24
	;; [unrolled: 1-line block ×22, first 2 shown]
	s_set_vgpr_msb 64                       ;  msbs: dst=1 src0=0 src1=0 src2=0
	scratch_load_b64 v[14:15] /*v[270:271]*/, off, off offset:360
	scratch_load_b64 v[16:17] /*v[272:273]*/, off, off
	s_set_vgpr_msb 0                        ;  msbs: dst=0 src0=0 src1=0 src2=0
	v_mov_b32_e32 v0, 0
	ds_load_2addr_b64 v[182:185], v0 offset0:47 offset1:48
	ds_load_2addr_b64 v[186:189], v0 offset0:49 offset1:50
	;; [unrolled: 1-line block ×19, first 2 shown]
	s_set_vgpr_msb 64                       ;  msbs: dst=1 src0=0 src1=0 src2=0
	ds_load_2addr_b64 v[2:5] /*v[258:261]*/, v0 offset0:77 offset1:78
	ds_load_2addr_b64 v[6:9] /*v[262:265]*/, v0 offset0:79 offset1:80
	;; [unrolled: 1-line block ×3, first 2 shown]
	ds_load_b64 v[18:19] /*v[274:275]*/, v0 offset:728
	s_wait_dscnt 0x14
	v_dual_mov_b32 v20 /*v276*/, v193 :: v_dual_mov_b32 v21 /*v277*/, v192
	s_wait_dscnt 0x11
	v_dual_mov_b32 v22 /*v278*/, v205 :: v_dual_mov_b32 v23 /*v279*/, v204
	;; [unrolled: 2-line block ×4, first 2 shown]
	s_and_b32 vcc_lo, exec_lo, s12
	s_wait_loadcnt 0x17
	s_set_vgpr_msb 0                        ;  msbs: dst=0 src0=0 src1=0 src2=0
	v_dual_mul_f32 v1, v182, v95 :: v_dual_mul_f32 v95, v183, v95
	s_wait_loadcnt 0x16
	s_set_vgpr_msb 64                       ;  msbs: dst=1 src0=0 src1=0 src2=0
	v_dual_mul_f32 v28 /*v284*/, v184, v97 :: v_dual_mul_f32 v30 /*v286*/, v186, v99
	s_wait_loadcnt 0x14
	v_dual_mul_f32 v34 /*v290*/, v196, v105 :: v_dual_mul_f32 v35 /*v291*/, v198, v107
	s_set_vgpr_msb 0                        ;  msbs: dst=0 src0=0 src1=0 src2=0
	v_dual_mul_f32 v97, v185, v97 :: v_dual_mul_f32 v107, v199, v107
	v_dual_fmac_f32 v1, v183, v94 :: v_dual_fma_f32 v94, v182, v94, -v95
	v_dual_mul_f32 v99, v187, v99 :: v_dual_mul_f32 v95, v201, v109
	s_set_vgpr_msb 64                       ;  msbs: dst=1 src0=0 src1=0 src2=0
	v_dual_mul_f32 v32 /*v288*/, v188, v101 :: v_dual_mul_f32 v33 /*v289*/, v194, v103
	v_fmac_f32_e32 v28 /*v284*/, v185, v96
	s_set_vgpr_msb 0                        ;  msbs: dst=0 src0=0 src1=0 src2=0
	v_dual_fma_f32 v96, v184, v96, -v97 :: v_dual_add_f32 v1, 0, v1
	s_wait_loadcnt 0x13
	v_dual_add_f32 v94, 0, v94 :: v_dual_mul_f32 v97, v211, v111
	s_wait_loadcnt 0x5
	s_set_vgpr_msb 64                       ;  msbs: dst=1 src0=0 src1=0 src2=0
	v_mul_f32_e32 v31 /*v287*/, v190, v167
	s_set_vgpr_msb 0                        ;  msbs: dst=0 src0=0 src1=0 src2=0
	v_mul_f32_e32 v101, v189, v101
	s_set_vgpr_msb 64                       ;  msbs: dst=1 src0=0 src1=0 src2=0
	v_dual_fmac_f32 v30 /*v286*/, v187, v98 :: v_dual_fmac_f32 v32 /*v288*/, v189, v100
	s_set_vgpr_msb 0                        ;  msbs: dst=0 src0=0 src1=0 src2=0
	v_fma_f32 v98, v186, v98, -v99
	s_set_vgpr_msb 4                        ;  msbs: dst=0 src0=0 src1=1 src2=0
	v_add_f32_e32 v1, v1, v28 /*v284*/
	s_set_vgpr_msb 0                        ;  msbs: dst=0 src0=0 src1=0 src2=0
	v_dual_add_f32 v94, v94, v96 :: v_dual_mul_f32 v103, v195, v103
	v_mul_f32_e32 v105, v197, v105
	v_dual_mul_f32 v96, v213, v113 :: v_dual_fma_f32 v99, v188, v100, -v101
	s_delay_alu instid0(VALU_DEP_3)
	v_add_f32_e32 v94, v94, v98
	s_set_vgpr_msb 4                        ;  msbs: dst=0 src0=0 src1=1 src2=0
	v_add_f32_e32 v1, v1, v30 /*v286*/
	s_set_vgpr_msb 64                       ;  msbs: dst=1 src0=0 src1=0 src2=0
	v_dual_fmac_f32 v33 /*v289*/, v195, v102 :: v_dual_fmac_f32 v34 /*v290*/, v197, v104
	s_set_vgpr_msb 0                        ;  msbs: dst=0 src0=0 src1=0 src2=0
	v_fma_f32 v100, v194, v102, -v103
	v_dual_add_f32 v94, v94, v99 :: v_dual_fma_f32 v101, v196, v104, -v105
	s_set_vgpr_msb 4                        ;  msbs: dst=0 src0=0 src1=1 src2=0
	v_add_f32_e32 v1, v1, v32 /*v288*/
	s_set_vgpr_msb 0                        ;  msbs: dst=0 src0=0 src1=0 src2=0
	v_mul_f32_e32 v99, v217, v117
	s_set_vgpr_msb 64                       ;  msbs: dst=1 src0=0 src1=0 src2=0
	v_dual_mul_f32 v36 /*v292*/, v200, v109 :: v_dual_mul_f32 v37 /*v293*/, v210, v111
	s_wait_dscnt 0xc
	s_set_vgpr_msb 0                        ;  msbs: dst=0 src0=0 src1=0 src2=0
	v_dual_add_f32 v94, v94, v100 :: v_dual_mul_f32 v100, v223, v119
	s_set_vgpr_msb 4                        ;  msbs: dst=0 src0=0 src1=1 src2=0
	v_add_f32_e32 v1, v1, v33 /*v289*/
	s_set_vgpr_msb 64                       ;  msbs: dst=1 src0=0 src1=0 src2=0
	v_dual_fmac_f32 v35 /*v291*/, v199, v106 :: v_dual_fmac_f32 v36 /*v292*/, v201, v108
	s_set_vgpr_msb 0                        ;  msbs: dst=0 src0=0 src1=0 src2=0
	v_fma_f32 v102, v198, v106, -v107
	v_dual_add_f32 v94, v94, v101 :: v_dual_fma_f32 v95, v200, v108, -v95
	s_set_vgpr_msb 4                        ;  msbs: dst=0 src0=0 src1=1 src2=0
	v_add_f32_e32 v1, v1, v34 /*v290*/
	s_set_vgpr_msb 0                        ;  msbs: dst=0 src0=0 src1=0 src2=0
	v_mul_f32_e32 v101, v225, v121
	s_set_vgpr_msb 64                       ;  msbs: dst=1 src0=0 src1=0 src2=0
	v_dual_mul_f32 v38 /*v294*/, v212, v113 :: v_dual_mul_f32 v39 /*v295*/, v214, v115
	s_wait_dscnt 0xb
	s_set_vgpr_msb 0                        ;  msbs: dst=0 src0=0 src1=0 src2=0
	v_dual_add_f32 v94, v94, v102 :: v_dual_mul_f32 v102, v227, v123
	s_set_vgpr_msb 4                        ;  msbs: dst=0 src0=0 src1=1 src2=0
	v_add_f32_e32 v1, v1, v35 /*v291*/
	s_set_vgpr_msb 64                       ;  msbs: dst=1 src0=0 src1=0 src2=0
	v_dual_fmac_f32 v37 /*v293*/, v211, v110 :: v_dual_fmac_f32 v38 /*v294*/, v213, v112
	s_set_vgpr_msb 0                        ;  msbs: dst=0 src0=0 src1=0 src2=0
	v_fma_f32 v97, v210, v110, -v97
	v_dual_add_f32 v94, v94, v95 :: v_dual_fma_f32 v96, v212, v112, -v96
	s_set_vgpr_msb 4                        ;  msbs: dst=0 src0=0 src1=1 src2=0
	v_add_f32_e32 v1, v1, v36 /*v292*/
	s_set_vgpr_msb 0                        ;  msbs: dst=0 src0=0 src1=0 src2=0
	v_dual_mul_f32 v98, v215, v115 :: v_dual_mul_f32 v95, v229, v125
	s_wait_dscnt 0xa
	v_dual_add_f32 v94, v94, v97 :: v_dual_mul_f32 v97, v231, v127
	s_set_vgpr_msb 4                        ;  msbs: dst=0 src0=0 src1=1 src2=0
	v_add_f32_e32 v1, v1, v37 /*v293*/
	s_set_vgpr_msb 64                       ;  msbs: dst=1 src0=0 src1=0 src2=0
	v_dual_mul_f32 v40 /*v296*/, v216, v117 :: v_dual_mul_f32 v41 /*v297*/, v222, v119
	v_fmac_f32_e32 v39 /*v295*/, v215, v114
	s_set_vgpr_msb 0                        ;  msbs: dst=0 src0=0 src1=0 src2=0
	v_fma_f32 v98, v214, v114, -v98
	s_set_vgpr_msb 4                        ;  msbs: dst=0 src0=0 src1=1 src2=0
	v_add_f32_e32 v1, v1, v38 /*v294*/
	s_set_vgpr_msb 0                        ;  msbs: dst=0 src0=0 src1=0 src2=0
	v_dual_add_f32 v94, v94, v96 :: v_dual_mul_f32 v96, v233, v129
	s_set_vgpr_msb 64                       ;  msbs: dst=1 src0=0 src1=0 src2=0
	v_fmac_f32_e32 v40 /*v296*/, v217, v116
	s_set_vgpr_msb 0                        ;  msbs: dst=0 src0=0 src1=0 src2=0
	v_fma_f32 v99, v216, v116, -v99
	s_set_vgpr_msb 4                        ;  msbs: dst=0 src0=0 src1=1 src2=0
	v_add_f32_e32 v1, v1, v39 /*v295*/
	s_set_vgpr_msb 0                        ;  msbs: dst=0 src0=0 src1=0 src2=0
	v_add_f32_e32 v94, v94, v98
	s_set_vgpr_msb 64                       ;  msbs: dst=1 src0=0 src1=0 src2=0
	v_dual_mul_f32 v42 /*v298*/, v224, v121 :: v_dual_mul_f32 v43 /*v299*/, v226, v123
	v_fmac_f32_e32 v41 /*v297*/, v223, v118
	s_set_vgpr_msb 0                        ;  msbs: dst=0 src0=0 src1=0 src2=0
	v_fma_f32 v100, v222, v118, -v100
	s_set_vgpr_msb 4                        ;  msbs: dst=0 src0=0 src1=1 src2=0
	v_add_f32_e32 v1, v1, v40 /*v296*/
	s_set_vgpr_msb 0                        ;  msbs: dst=0 src0=0 src1=0 src2=0
	v_dual_add_f32 v94, v94, v99 :: v_dual_fma_f32 v101, v224, v120, -v101
	s_wait_dscnt 0x9
	v_mul_f32_e32 v99, v237, v133
	s_set_vgpr_msb 64                       ;  msbs: dst=1 src0=0 src1=0 src2=0
	v_fmac_f32_e32 v42 /*v298*/, v225, v120
	s_set_vgpr_msb 4                        ;  msbs: dst=0 src0=0 src1=1 src2=0
	v_add_f32_e32 v1, v1, v41 /*v297*/
	s_wait_dscnt 0x8
	s_set_vgpr_msb 0                        ;  msbs: dst=0 src0=0 src1=0 src2=0
	v_dual_add_f32 v94, v94, v100 :: v_dual_mul_f32 v100, v239, v135
	s_set_vgpr_msb 64                       ;  msbs: dst=1 src0=0 src1=0 src2=0
	v_dual_mul_f32 v44 /*v300*/, v228, v125 :: v_dual_mul_f32 v45 /*v301*/, v230, v127
	v_fmac_f32_e32 v43 /*v299*/, v227, v122
	s_set_vgpr_msb 0                        ;  msbs: dst=0 src0=0 src1=0 src2=0
	v_fma_f32 v102, v226, v122, -v102
	s_set_vgpr_msb 4                        ;  msbs: dst=0 src0=0 src1=1 src2=0
	v_add_f32_e32 v1, v1, v42 /*v298*/
	s_set_vgpr_msb 0                        ;  msbs: dst=0 src0=0 src1=0 src2=0
	v_dual_add_f32 v94, v94, v101 :: v_dual_fma_f32 v95, v228, v124, -v95
	v_mul_f32_e32 v101, v241, v137
	s_set_vgpr_msb 64                       ;  msbs: dst=1 src0=0 src1=0 src2=0
	v_fmac_f32_e32 v44 /*v300*/, v229, v124
	s_set_vgpr_msb 4                        ;  msbs: dst=0 src0=0 src1=1 src2=0
	v_add_f32_e32 v1, v1, v43 /*v299*/
	s_wait_dscnt 0x7
	s_set_vgpr_msb 0                        ;  msbs: dst=0 src0=0 src1=0 src2=0
	v_dual_add_f32 v94, v94, v102 :: v_dual_mul_f32 v102, v243, v139
	s_set_vgpr_msb 64                       ;  msbs: dst=1 src0=0 src1=0 src2=0
	v_dual_mul_f32 v46 /*v302*/, v232, v129 :: v_dual_mul_f32 v47 /*v303*/, v234, v131
	v_fmac_f32_e32 v45 /*v301*/, v231, v126
	s_set_vgpr_msb 0                        ;  msbs: dst=0 src0=0 src1=0 src2=0
	v_fma_f32 v97, v230, v126, -v97
	s_set_vgpr_msb 4                        ;  msbs: dst=0 src0=0 src1=1 src2=0
	v_add_f32_e32 v1, v1, v44 /*v300*/
	s_set_vgpr_msb 0                        ;  msbs: dst=0 src0=0 src1=0 src2=0
	v_dual_add_f32 v94, v94, v95 :: v_dual_fma_f32 v96, v232, v128, -v96
	v_dual_mul_f32 v98, v235, v131 :: v_dual_mul_f32 v95, v245, v141
	s_set_vgpr_msb 64                       ;  msbs: dst=1 src0=0 src1=0 src2=0
	v_fmac_f32_e32 v46 /*v302*/, v233, v128
	s_set_vgpr_msb 4                        ;  msbs: dst=0 src0=0 src1=1 src2=0
	v_add_f32_e32 v1, v1, v45 /*v301*/
	s_wait_dscnt 0x6
	s_set_vgpr_msb 0                        ;  msbs: dst=0 src0=0 src1=0 src2=0
	v_dual_add_f32 v94, v94, v97 :: v_dual_mul_f32 v97, v247, v143
	s_set_vgpr_msb 64                       ;  msbs: dst=1 src0=0 src1=0 src2=0
	v_dual_mul_f32 v48 /*v304*/, v236, v133 :: v_dual_mul_f32 v49 /*v305*/, v238, v135
	v_fmac_f32_e32 v47 /*v303*/, v235, v130
	s_set_vgpr_msb 0                        ;  msbs: dst=0 src0=0 src1=0 src2=0
	v_fma_f32 v98, v234, v130, -v98
	s_set_vgpr_msb 4                        ;  msbs: dst=0 src0=0 src1=1 src2=0
	v_add_f32_e32 v1, v1, v46 /*v302*/
	s_set_vgpr_msb 0                        ;  msbs: dst=0 src0=0 src1=0 src2=0
	v_dual_add_f32 v94, v94, v96 :: v_dual_mul_f32 v96, v249, v145
	s_set_vgpr_msb 64                       ;  msbs: dst=1 src0=0 src1=0 src2=0
	v_fmac_f32_e32 v48 /*v304*/, v237, v132
	s_set_vgpr_msb 0                        ;  msbs: dst=0 src0=0 src1=0 src2=0
	v_fma_f32 v99, v236, v132, -v99
	s_set_vgpr_msb 4                        ;  msbs: dst=0 src0=0 src1=1 src2=0
	v_add_f32_e32 v1, v1, v47 /*v303*/
	s_set_vgpr_msb 0                        ;  msbs: dst=0 src0=0 src1=0 src2=0
	v_add_f32_e32 v94, v94, v98
	s_set_vgpr_msb 64                       ;  msbs: dst=1 src0=0 src1=0 src2=0
	v_dual_mul_f32 v50 /*v306*/, v240, v137 :: v_dual_mul_f32 v51 /*v307*/, v242, v139
	v_fmac_f32_e32 v49 /*v305*/, v239, v134
	s_set_vgpr_msb 0                        ;  msbs: dst=0 src0=0 src1=0 src2=0
	v_fma_f32 v100, v238, v134, -v100
	s_set_vgpr_msb 4                        ;  msbs: dst=0 src0=0 src1=1 src2=0
	v_add_f32_e32 v1, v1, v48 /*v304*/
	s_set_vgpr_msb 0                        ;  msbs: dst=0 src0=0 src1=0 src2=0
	v_dual_add_f32 v94, v94, v99 :: v_dual_fma_f32 v101, v240, v136, -v101
	s_wait_dscnt 0x5
	v_mul_f32_e32 v99, v253, v149
	s_set_vgpr_msb 64                       ;  msbs: dst=1 src0=0 src1=0 src2=0
	v_fmac_f32_e32 v50 /*v306*/, v241, v136
	s_set_vgpr_msb 4                        ;  msbs: dst=0 src0=0 src1=1 src2=0
	v_add_f32_e32 v1, v1, v49 /*v305*/
	s_wait_dscnt 0x4
	s_set_vgpr_msb 0                        ;  msbs: dst=0 src0=0 src1=0 src2=0
	v_dual_add_f32 v94, v94, v100 :: v_dual_mul_f32 v100, v255, v151
	s_set_vgpr_msb 64                       ;  msbs: dst=1 src0=0 src1=0 src2=0
	v_dual_mul_f32 v52 /*v308*/, v244, v141 :: v_dual_mul_f32 v53 /*v309*/, v246, v143
	v_fmac_f32_e32 v51 /*v307*/, v243, v138
	s_set_vgpr_msb 0                        ;  msbs: dst=0 src0=0 src1=0 src2=0
	v_dual_fma_f32 v102, v242, v138, -v102 :: v_dual_fma_f32 v95, v244, v140, -v95
	s_set_vgpr_msb 4                        ;  msbs: dst=0 src0=0 src1=1 src2=0
	v_add_f32_e32 v1, v1, v50 /*v306*/
	s_set_vgpr_msb 0                        ;  msbs: dst=0 src0=0 src1=0 src2=0
	v_dual_add_f32 v94, v94, v101 :: v_dual_fma_f32 v96, v248, v144, -v96
	s_set_vgpr_msb 64                       ;  msbs: dst=1 src0=0 src1=0 src2=0
	v_dual_fmac_f32 v52 /*v308*/, v245, v140 :: v_dual_mul_f32 v54 /*v310*/, v248, v145
	v_mul_f32_e32 v55 /*v311*/, v250, v147
	s_set_vgpr_msb 4                        ;  msbs: dst=0 src0=0 src1=1 src2=0
	v_add_f32_e32 v1, v1, v51 /*v307*/
	s_set_vgpr_msb 0                        ;  msbs: dst=0 src0=0 src1=0 src2=0
	v_add_f32_e32 v94, v94, v102
	s_set_vgpr_msb 64                       ;  msbs: dst=1 src0=0 src1=0 src2=0
	v_dual_fmac_f32 v53 /*v309*/, v247, v142 :: v_dual_fmac_f32 v54 /*v310*/, v249, v144
	s_set_vgpr_msb 0                        ;  msbs: dst=0 src0=0 src1=0 src2=0
	v_dual_fma_f32 v97, v246, v142, -v97 :: v_dual_mul_f32 v106, v191, v167
	s_set_vgpr_msb 4                        ;  msbs: dst=0 src0=0 src1=1 src2=0
	v_add_f32_e32 v1, v1, v52 /*v308*/
	s_set_vgpr_msb 0                        ;  msbs: dst=0 src0=0 src1=0 src2=0
	v_add_f32_e32 v94, v94, v95
	v_mul_f32_e32 v98, v251, v147
	s_set_vgpr_msb 64                       ;  msbs: dst=1 src0=0 src1=0 src2=0
	v_dual_mul_f32 v56 /*v312*/, v252, v149 :: v_dual_mul_f32 v57 /*v313*/, v254, v151
	s_set_vgpr_msb 4                        ;  msbs: dst=0 src0=0 src1=1 src2=0
	v_add_f32_e32 v1, v1, v53 /*v309*/
	s_set_vgpr_msb 0                        ;  msbs: dst=0 src0=0 src1=0 src2=0
	v_add_f32_e32 v94, v94, v97
	s_set_vgpr_msb 64                       ;  msbs: dst=1 src0=0 src1=0 src2=0
	v_dual_fmac_f32 v55 /*v311*/, v251, v146 :: v_dual_fmac_f32 v56 /*v312*/, v253, v148
	s_set_vgpr_msb 0                        ;  msbs: dst=0 src0=0 src1=0 src2=0
	v_fma_f32 v97, v250, v146, -v98
	s_set_vgpr_msb 4                        ;  msbs: dst=0 src0=0 src1=1 src2=0
	v_add_f32_e32 v1, v1, v54 /*v310*/
	s_set_vgpr_msb 0                        ;  msbs: dst=0 src0=0 src1=0 src2=0
	v_add_f32_e32 v94, v94, v96
	v_fma_f32 v96, v252, v148, -v99
	s_wait_dscnt 0x3
	s_set_vgpr_msb 0x41                     ;  msbs: dst=1 src0=1 src1=0 src2=0
	v_dual_mul_f32 v58 /*v314*/, v0 /*v256*/, v153 :: v_dual_mul_f32 v59 /*v315*/, v2 /*v258*/, v155
	s_set_vgpr_msb 4                        ;  msbs: dst=0 src0=0 src1=1 src2=0
	v_add_f32_e32 v1, v1, v55 /*v311*/
	s_set_vgpr_msb 0                        ;  msbs: dst=0 src0=0 src1=0 src2=0
	v_add_f32_e32 v94, v94, v97
	s_set_vgpr_msb 1                        ;  msbs: dst=0 src0=1 src1=0 src2=0
	v_dual_mul_f32 v101, v1 /*v257*/, v153 :: v_dual_mul_f32 v102, v3 /*v259*/, v155
	s_set_vgpr_msb 64                       ;  msbs: dst=1 src0=0 src1=0 src2=0
	v_fmac_f32_e32 v57 /*v313*/, v255, v150
	s_set_vgpr_msb 0                        ;  msbs: dst=0 src0=0 src1=0 src2=0
	v_fma_f32 v97, v254, v150, -v100
	s_set_vgpr_msb 4                        ;  msbs: dst=0 src0=0 src1=1 src2=0
	v_add_f32_e32 v1, v1, v56 /*v312*/
	s_set_vgpr_msb 0                        ;  msbs: dst=0 src0=0 src1=0 src2=0
	v_add_f32_e32 v94, v94, v96
	s_wait_dscnt 0x1
	s_set_vgpr_msb 0x41                     ;  msbs: dst=1 src0=1 src1=0 src2=0
	v_dual_mul_f32 v29 /*v285*/, v12 /*v268*/, v165 :: v_dual_fmac_f32 v58 /*v314*/, v1 /*v257*/, v152
	s_set_vgpr_msb 1                        ;  msbs: dst=0 src0=1 src1=0 src2=0
	v_dual_mul_f32 v105, v13 /*v269*/, v165 :: v_dual_fma_f32 v96, v0 /*v256*/, v152, -v101
	s_set_vgpr_msb 4                        ;  msbs: dst=0 src0=0 src1=1 src2=0
	v_add_f32_e32 v1, v1, v57 /*v313*/
	s_set_vgpr_msb 0                        ;  msbs: dst=0 src0=0 src1=0 src2=0
	v_add_f32_e32 v94, v94, v97
	s_set_vgpr_msb 0x41                     ;  msbs: dst=1 src0=1 src1=0 src2=0
	v_dual_mul_f32 v60 /*v316*/, v4 /*v260*/, v157 :: v_dual_mul_f32 v61 /*v317*/, v6 /*v262*/, v159
	s_set_vgpr_msb 1                        ;  msbs: dst=0 src0=1 src1=0 src2=0
	v_dual_mul_f32 v95, v5 /*v261*/, v157 :: v_dual_mul_f32 v103, v7 /*v263*/, v159
	s_set_vgpr_msb 0x41                     ;  msbs: dst=1 src0=1 src1=0 src2=0
	s_delay_alu instid0(VALU_DEP_2) | instskip(SKIP_1) | instid1(VALU_DEP_2)
	v_dual_fmac_f32 v59 /*v315*/, v3 /*v259*/, v154 :: v_dual_fmac_f32 v60 /*v316*/, v5 /*v261*/, v156
	s_set_vgpr_msb 1                        ;  msbs: dst=0 src0=1 src1=0 src2=0
	v_dual_fma_f32 v97, v2 /*v258*/, v154, -v102 :: v_dual_fma_f32 v95, v4 /*v260*/, v156, -v95
	s_set_vgpr_msb 4                        ;  msbs: dst=0 src0=0 src1=1 src2=0
	v_add_f32_e32 v1, v1, v58 /*v314*/
	s_set_vgpr_msb 0                        ;  msbs: dst=0 src0=0 src1=0 src2=0
	v_add_f32_e32 v96, v94, v96
	s_set_vgpr_msb 0x41                     ;  msbs: dst=1 src0=1 src1=0 src2=0
	v_dual_mul_f32 v62 /*v318*/, v8 /*v264*/, v161 :: v_dual_mul_f32 v63 /*v319*/, v10 /*v266*/, v163
	s_set_vgpr_msb 1                        ;  msbs: dst=0 src0=1 src1=0 src2=0
	v_dual_mul_f32 v104, v9 /*v265*/, v161 :: v_dual_mul_f32 v99, v11 /*v267*/, v163
	s_set_vgpr_msb 4                        ;  msbs: dst=0 src0=0 src1=1 src2=0
	v_add_f32_e32 v1, v1, v59 /*v315*/
	s_set_vgpr_msb 0                        ;  msbs: dst=0 src0=0 src1=0 src2=0
	v_add_f32_e32 v98, v96, v97
	s_set_vgpr_msb 0x41                     ;  msbs: dst=1 src0=1 src1=0 src2=0
	v_dual_fmac_f32 v61 /*v317*/, v7 /*v263*/, v158 :: v_dual_fmac_f32 v62 /*v318*/, v9 /*v265*/, v160
	s_set_vgpr_msb 1                        ;  msbs: dst=0 src0=1 src1=0 src2=0
	v_dual_fma_f32 v100, v6 /*v262*/, v158, -v103 :: v_dual_fma_f32 v102, v8 /*v264*/, v160, -v104
	s_set_vgpr_msb 4                        ;  msbs: dst=0 src0=0 src1=1 src2=0
	v_add_f32_e32 v1, v1, v60 /*v316*/
	s_set_vgpr_msb 0                        ;  msbs: dst=0 src0=0 src1=0 src2=0
	v_dual_add_f32 v95, v98, v95 :: v_dual_mov_b32 v94, v169
	s_set_vgpr_msb 0x41                     ;  msbs: dst=1 src0=1 src1=0 src2=0
	v_dual_fmac_f32 v63 /*v319*/, v11 /*v267*/, v162 :: v_dual_fmac_f32 v29 /*v285*/, v13 /*v269*/, v164
	s_set_vgpr_msb 4                        ;  msbs: dst=0 src0=0 src1=1 src2=0
	v_add_f32_e32 v1, v1, v61 /*v317*/
	s_set_vgpr_msb 0                        ;  msbs: dst=0 src0=0 src1=0 src2=0
	v_add_f32_e32 v95, v95, v100
	s_set_vgpr_msb 1                        ;  msbs: dst=0 src0=1 src1=0 src2=0
	v_fma_f32 v99, v10 /*v266*/, v162, -v99
	s_set_vgpr_msb 0x41                     ;  msbs: dst=1 src0=1 src1=0 src2=0
	v_fma_f32 v28 /*v284*/, v12 /*v268*/, v164, -v105
	s_wait_loadcnt 0x4
	s_set_vgpr_msb 0                        ;  msbs: dst=0 src0=0 src1=0 src2=0
	v_pk_mul_f32 v[96:97], v[202:203], v[170:171] op_sel:[1,1] op_sel_hi:[0,1]
	s_set_vgpr_msb 4                        ;  msbs: dst=0 src0=0 src1=1 src2=0
	v_add_f32_e32 v1, v1, v62 /*v318*/
	s_set_vgpr_msb 0                        ;  msbs: dst=0 src0=0 src1=0 src2=0
	v_add_f32_e32 v102, v95, v102
	s_set_vgpr_msb 1                        ;  msbs: dst=0 src0=1 src1=0 src2=0
	v_pk_mul_f32 v[94:95], v[20:21] /*v[276:277]*/, v[94:95] op_sel_hi:[1,0]
	s_set_vgpr_msb 0                        ;  msbs: dst=0 src0=0 src1=0 src2=0
	v_mov_b32_e32 v98, v173
	s_set_vgpr_msb 64                       ;  msbs: dst=1 src0=0 src1=0 src2=0
	v_fmac_f32_e32 v31 /*v287*/, v191, v166
	s_set_vgpr_msb 4                        ;  msbs: dst=0 src0=0 src1=1 src2=0
	v_add_f32_e32 v103, v1, v63 /*v319*/
	s_set_vgpr_msb 0                        ;  msbs: dst=0 src0=0 src1=0 src2=0
	v_add_f32_e32 v102, v102, v99
	s_set_vgpr_msb 64                       ;  msbs: dst=1 src0=0 src1=0 src2=0
	v_fma_f32 v30 /*v286*/, v190, v166, -v106
	s_set_vgpr_msb 0                        ;  msbs: dst=0 src0=0 src1=0 src2=0
	v_pk_fma_f32 v[106:107], v[192:193], v[168:169], v[94:95] op_sel_hi:[1,0,1]
	v_pk_fma_f32 v[94:95], v[192:193], v[168:169], v[94:95] neg_lo:[0,0,1] neg_hi:[0,0,1]
	v_pk_fma_f32 v[108:109], v[202:203], v[170:171], v[96:97] op_sel_hi:[1,0,1]
	s_set_vgpr_msb 4                        ;  msbs: dst=0 src0=0 src1=1 src2=0
	v_pk_add_f32 v[102:103], v[102:103], v[28:29] /*v[284:285]*/
	s_set_vgpr_msb 1                        ;  msbs: dst=0 src0=1 src1=0 src2=0
	v_pk_mul_f32 v[98:99], v[22:23] /*v[278:279]*/, v[98:99] op_sel_hi:[1,0]
	s_set_vgpr_msb 0                        ;  msbs: dst=0 src0=0 src1=0 src2=0
	v_mov_b32_e32 v95, v107
	v_pk_fma_f32 v[96:97], v[202:203], v[170:171], v[96:97] neg_lo:[0,0,1] neg_hi:[0,0,1]
	s_wait_loadcnt 0x3
	v_pk_mul_f32 v[100:101], v[206:207], v[174:175] op_sel:[1,1] op_sel_hi:[0,1]
	s_set_vgpr_msb 4                        ;  msbs: dst=0 src0=0 src1=1 src2=0
	v_pk_add_f32 v[102:103], v[102:103], v[30:31] /*v[286:287]*/
	v_dual_mov_b32 v104, v177 :: v_dual_mov_b32 v97, v109
	s_set_vgpr_msb 0                        ;  msbs: dst=0 src0=0 src1=0 src2=0
	v_pk_fma_f32 v[108:109], v[204:205], v[172:173], v[98:99] op_sel_hi:[1,0,1]
	v_pk_fma_f32 v[98:99], v[204:205], v[172:173], v[98:99] neg_lo:[0,0,1] neg_hi:[0,0,1]
	v_pk_add_f32 v[94:95], v[102:103], v[94:95]
	v_pk_fma_f32 v[102:103], v[206:207], v[174:175], v[100:101] op_sel_hi:[1,0,1]
	s_set_vgpr_msb 1                        ;  msbs: dst=0 src0=1 src1=0 src2=0
	v_pk_mul_f32 v[104:105], v[24:25] /*v[280:281]*/, v[104:105] op_sel_hi:[1,0]
	s_set_vgpr_msb 0                        ;  msbs: dst=0 src0=0 src1=0 src2=0
	v_mov_b32_e32 v99, v109
	v_pk_fma_f32 v[100:101], v[206:207], v[174:175], v[100:101] neg_lo:[0,0,1] neg_hi:[0,0,1]
	v_pk_add_f32 v[94:95], v[94:95], v[96:97]
	s_wait_loadcnt 0x2
	v_pk_mul_f32 v[106:107], v[218:219], v[178:179] op_sel:[1,1] op_sel_hi:[0,1]
	v_dual_mov_b32 v96, v181 :: v_dual_mov_b32 v101, v103
	v_pk_fma_f32 v[102:103], v[208:209], v[176:177], v[104:105] op_sel_hi:[1,0,1]
	v_pk_add_f32 v[94:95], v[94:95], v[98:99]
	v_pk_fma_f32 v[104:105], v[208:209], v[176:177], v[104:105] neg_lo:[0,0,1] neg_hi:[0,0,1]
	v_pk_fma_f32 v[98:99], v[218:219], v[178:179], v[106:107] op_sel_hi:[1,0,1]
	s_set_vgpr_msb 1                        ;  msbs: dst=0 src0=1 src1=0 src2=0
	v_pk_mul_f32 v[96:97], v[26:27] /*v[282:283]*/, v[96:97] op_sel_hi:[1,0]
	s_set_vgpr_msb 0                        ;  msbs: dst=0 src0=0 src1=0 src2=0
	v_mov_b32_e32 v105, v103
	v_pk_add_f32 v[94:95], v[94:95], v[100:101]
	v_pk_fma_f32 v[102:103], v[218:219], v[178:179], v[106:107] neg_lo:[0,0,1] neg_hi:[0,0,1]
	s_wait_loadcnt_dscnt 0x100
	s_set_vgpr_msb 5                        ;  msbs: dst=0 src0=1 src1=1 src2=0
	v_pk_mul_f32 v[100:101], v[18:19] /*v[274:275]*/, v[14:15] /*v[270:271]*/ op_sel:[1,1] op_sel_hi:[0,1]
	s_set_vgpr_msb 0                        ;  msbs: dst=0 src0=0 src1=0 src2=0
	v_mov_b32_e32 v103, v99
	v_pk_fma_f32 v[98:99], v[220:221], v[180:181], v[96:97] op_sel_hi:[1,0,1]
	v_pk_add_f32 v[94:95], v[94:95], v[104:105]
	v_pk_fma_f32 v[96:97], v[220:221], v[180:181], v[96:97] neg_lo:[0,0,1] neg_hi:[0,0,1]
	s_set_vgpr_msb 5                        ;  msbs: dst=0 src0=1 src1=1 src2=0
	v_pk_fma_f32 v[104:105], v[18:19] /*v[274:275]*/, v[14:15] /*v[270:271]*/, v[100:101] op_sel_hi:[1,0,1]
	s_set_vgpr_msb 0                        ;  msbs: dst=0 src0=0 src1=0 src2=0
	v_mov_b32_e32 v97, v99
	v_pk_add_f32 v[94:95], v[94:95], v[102:103]
	s_set_vgpr_msb 5                        ;  msbs: dst=0 src0=1 src1=1 src2=0
	v_pk_fma_f32 v[98:99], v[18:19] /*v[274:275]*/, v[14:15] /*v[270:271]*/, v[100:101] neg_lo:[0,0,1] neg_hi:[0,0,1]
	s_set_vgpr_msb 0                        ;  msbs: dst=0 src0=0 src1=0 src2=0
	v_mov_b32_e32 v99, v105
	v_pk_add_f32 v[94:95], v[94:95], v[96:97]
	s_delay_alu instid0(VALU_DEP_1) | instskip(SKIP_2) | instid1(VALU_DEP_1)
	v_pk_add_f32 v[94:95], v[94:95], v[98:99]
	s_wait_loadcnt 0x0
	s_set_vgpr_msb 1                        ;  msbs: dst=0 src0=1 src1=0 src2=0
	v_pk_add_f32 v[94:95], v[16:17] /*v[272:273]*/, v[94:95] neg_lo:[0,1] neg_hi:[0,1]
	scratch_store_b64 off, v[94:95], off
	s_set_vgpr_msb 0                        ;  msbs: dst=0 src0=0 src1=0 src2=0
	s_cbranch_vccz .LBB109_380
; %bb.290:
	global_load_b32 v0, v0, s[8:9] offset:176
	s_wait_loadcnt 0x0
	v_cmp_ne_u32_e32 vcc_lo, 45, v0
	s_cbranch_vccz .LBB109_292
; %bb.291:
	s_wait_xcnt 0x0
	v_lshlrev_b32_e32 v0, 3, v0
	s_delay_alu instid0(VALU_DEP_1)
	v_mov_b32_e32 v96, v0
	scratch_load_b64 v[0:1], v96, off offset:-8
	scratch_load_b64 v[94:95], off, off offset:352
	s_wait_loadcnt 0x1
	scratch_store_b64 off, v[0:1], off offset:352
	s_wait_loadcnt 0x0
	scratch_store_b64 v96, v[94:95], off offset:-8
.LBB109_292:
	s_wait_xcnt 0x0
	v_mov_b32_e32 v0, 0
	global_load_b32 v1, v0, s[8:9] offset:172
	s_wait_loadcnt 0x0
	v_cmp_eq_u32_e32 vcc_lo, 44, v1
	s_cbranch_vccnz .LBB109_294
; %bb.293:
	v_lshlrev_b32_e32 v1, 3, v1
	scratch_load_b64 v[94:95], v1, off offset:-8
	scratch_load_b64 v[96:97], off, off offset:344
	s_wait_loadcnt 0x1
	scratch_store_b64 off, v[94:95], off offset:344
	s_wait_loadcnt 0x0
	scratch_store_b64 v1, v[96:97], off offset:-8
.LBB109_294:
	global_load_b32 v0, v0, s[8:9] offset:168
	s_wait_loadcnt 0x0
	v_cmp_eq_u32_e32 vcc_lo, 43, v0
	s_cbranch_vccnz .LBB109_296
; %bb.295:
	s_wait_xcnt 0x0
	v_lshlrev_b32_e32 v0, 3, v0
	s_delay_alu instid0(VALU_DEP_1)
	v_mov_b32_e32 v96, v0
	scratch_load_b64 v[0:1], v96, off offset:-8
	scratch_load_b64 v[94:95], off, off offset:336
	s_wait_loadcnt 0x1
	scratch_store_b64 off, v[0:1], off offset:336
	s_wait_loadcnt 0x0
	scratch_store_b64 v96, v[94:95], off offset:-8
.LBB109_296:
	s_wait_xcnt 0x0
	v_mov_b32_e32 v0, 0
	global_load_b32 v1, v0, s[8:9] offset:164
	s_wait_loadcnt 0x0
	v_cmp_eq_u32_e32 vcc_lo, 42, v1
	s_cbranch_vccnz .LBB109_298
; %bb.297:
	v_lshlrev_b32_e32 v1, 3, v1
	scratch_load_b64 v[94:95], v1, off offset:-8
	scratch_load_b64 v[96:97], off, off offset:328
	s_wait_loadcnt 0x1
	scratch_store_b64 off, v[94:95], off offset:328
	s_wait_loadcnt 0x0
	scratch_store_b64 v1, v[96:97], off offset:-8
.LBB109_298:
	global_load_b32 v0, v0, s[8:9] offset:160
	s_wait_loadcnt 0x0
	v_cmp_eq_u32_e32 vcc_lo, 41, v0
	s_cbranch_vccnz .LBB109_300
; %bb.299:
	s_wait_xcnt 0x0
	v_lshlrev_b32_e32 v0, 3, v0
	s_delay_alu instid0(VALU_DEP_1)
	v_mov_b32_e32 v96, v0
	scratch_load_b64 v[0:1], v96, off offset:-8
	scratch_load_b64 v[94:95], off, off offset:320
	s_wait_loadcnt 0x1
	scratch_store_b64 off, v[0:1], off offset:320
	s_wait_loadcnt 0x0
	scratch_store_b64 v96, v[94:95], off offset:-8
.LBB109_300:
	;; [unrolled: 31-line block ×21, first 2 shown]
	s_wait_xcnt 0x0
	v_mov_b32_e32 v0, 0
	global_load_b32 v1, v0, s[8:9] offset:4
	s_wait_loadcnt 0x0
	v_cmp_eq_u32_e32 vcc_lo, 2, v1
	s_cbranch_vccnz .LBB109_378
; %bb.377:
	v_lshlrev_b32_e32 v1, 3, v1
	scratch_load_b64 v[94:95], v1, off offset:-8
	scratch_load_b64 v[96:97], off, off offset:8
	s_wait_loadcnt 0x1
	scratch_store_b64 off, v[94:95], off offset:8
	s_wait_loadcnt 0x0
	scratch_store_b64 v1, v[96:97], off offset:-8
.LBB109_378:
	global_load_b32 v0, v0, s[8:9]
	scratch_load_b64 v[94:95], off, off
	s_wait_loadcnt 0x1
	v_cmp_eq_u32_e32 vcc_lo, 1, v0
	s_cbranch_vccnz .LBB109_380
; %bb.379:
	s_wait_xcnt 0x1
	v_lshlrev_b32_e32 v0, 3, v0
	s_delay_alu instid0(VALU_DEP_1)
	v_mov_b32_e32 v96, v0
	scratch_load_b64 v[0:1], v96, off offset:-8
	s_wait_loadcnt 0x0
	scratch_store_b64 off, v[0:1], off
	scratch_store_b64 v96, v[94:95], off offset:-8
	scratch_load_b64 v[94:95], off, off
.LBB109_380:
	s_wait_loadcnt 0x0
	flat_store_b64 v[2:3], v[94:95]
	scratch_load_b64 v[2:3], off, off offset:8
	v_lshl_add_u64 v[136:137], v[6:7], 3, s[2:3]
	v_lshl_add_u64 v[134:135], v[8:9], 3, s[2:3]
	;; [unrolled: 1-line block ×44, first 2 shown]
	s_wait_loadcnt 0x0
	flat_store_b64 v[4:5], v[2:3]
	scratch_load_b64 v[2:3], off, off offset:16
	s_wait_loadcnt 0x0
	flat_store_b64 v[136:137], v[2:3]
	scratch_load_b64 v[2:3], off, off offset:24
	s_wait_loadcnt 0x0
	flat_store_b64 v[134:135], v[2:3]
	scratch_load_b64 v[2:3], off, off offset:32
	s_wait_loadcnt 0x0
	flat_store_b64 v[132:133], v[2:3]
	scratch_load_b64 v[2:3], off, off offset:40
	s_wait_loadcnt 0x0
	flat_store_b64 v[130:131], v[2:3]
	scratch_load_b64 v[2:3], off, off offset:48
	s_wait_loadcnt 0x0
	flat_store_b64 v[128:129], v[2:3]
	scratch_load_b64 v[2:3], off, off offset:56
	s_wait_loadcnt 0x0
	flat_store_b64 v[126:127], v[2:3]
	scratch_load_b64 v[2:3], off, off offset:64
	s_wait_loadcnt 0x0
	flat_store_b64 v[124:125], v[2:3]
	scratch_load_b64 v[2:3], off, off offset:72
	s_wait_loadcnt 0x0
	flat_store_b64 v[122:123], v[2:3]
	scratch_load_b64 v[2:3], off, off offset:80
	s_wait_loadcnt 0x0
	flat_store_b64 v[120:121], v[2:3]
	scratch_load_b64 v[2:3], off, off offset:88
	s_wait_loadcnt 0x0
	flat_store_b64 v[118:119], v[2:3]
	scratch_load_b64 v[2:3], off, off offset:96
	s_wait_loadcnt 0x0
	flat_store_b64 v[116:117], v[2:3]
	scratch_load_b64 v[2:3], off, off offset:104
	s_wait_loadcnt 0x0
	flat_store_b64 v[114:115], v[2:3]
	scratch_load_b64 v[2:3], off, off offset:112
	s_wait_loadcnt 0x0
	flat_store_b64 v[112:113], v[2:3]
	scratch_load_b64 v[2:3], off, off offset:120
	s_wait_loadcnt 0x0
	flat_store_b64 v[110:111], v[2:3]
	scratch_load_b64 v[2:3], off, off offset:128
	s_wait_loadcnt 0x0
	flat_store_b64 v[108:109], v[2:3]
	scratch_load_b64 v[2:3], off, off offset:136
	s_wait_loadcnt 0x0
	flat_store_b64 v[106:107], v[2:3]
	scratch_load_b64 v[2:3], off, off offset:144
	s_wait_loadcnt 0x0
	flat_store_b64 v[104:105], v[2:3]
	scratch_load_b64 v[2:3], off, off offset:152
	s_wait_loadcnt 0x0
	flat_store_b64 v[102:103], v[2:3]
	scratch_load_b64 v[2:3], off, off offset:160
	s_wait_loadcnt 0x0
	flat_store_b64 v[100:101], v[2:3]
	scratch_load_b64 v[2:3], off, off offset:168
	s_wait_loadcnt 0x0
	flat_store_b64 v[98:99], v[2:3]
	scratch_load_b64 v[2:3], off, off offset:176
	s_wait_loadcnt 0x0
	flat_store_b64 v[96:97], v[2:3]
	scratch_load_b64 v[2:3], off, off offset:184
	s_wait_loadcnt 0x0
	flat_store_b64 v[48:49], v[2:3]
	scratch_load_b64 v[2:3], off, off offset:192
	s_wait_loadcnt 0x0
	flat_store_b64 v[46:47], v[2:3]
	scratch_load_b64 v[2:3], off, off offset:200
	s_wait_loadcnt 0x0
	flat_store_b64 v[44:45], v[2:3]
	scratch_load_b64 v[2:3], off, off offset:208
	s_wait_loadcnt 0x0
	flat_store_b64 v[42:43], v[2:3]
	scratch_load_b64 v[2:3], off, off offset:216
	s_wait_loadcnt 0x0
	flat_store_b64 v[40:41], v[2:3]
	scratch_load_b64 v[2:3], off, off offset:224
	s_wait_loadcnt 0x0
	flat_store_b64 v[38:39], v[2:3]
	scratch_load_b64 v[2:3], off, off offset:232
	s_wait_loadcnt 0x0
	flat_store_b64 v[36:37], v[2:3]
	scratch_load_b64 v[2:3], off, off offset:240
	s_wait_loadcnt 0x0
	flat_store_b64 v[34:35], v[2:3]
	scratch_load_b64 v[2:3], off, off offset:248
	s_wait_loadcnt 0x0
	flat_store_b64 v[32:33], v[2:3]
	scratch_load_b64 v[2:3], off, off offset:256
	s_wait_loadcnt 0x0
	flat_store_b64 v[30:31], v[2:3]
	scratch_load_b64 v[2:3], off, off offset:264
	s_wait_loadcnt 0x0
	flat_store_b64 v[28:29], v[2:3]
	scratch_load_b64 v[2:3], off, off offset:272
	s_wait_loadcnt 0x0
	flat_store_b64 v[26:27], v[2:3]
	scratch_load_b64 v[2:3], off, off offset:280
	s_wait_loadcnt 0x0
	flat_store_b64 v[24:25], v[2:3]
	scratch_load_b64 v[2:3], off, off offset:288
	s_wait_loadcnt 0x0
	flat_store_b64 v[22:23], v[2:3]
	scratch_load_b64 v[2:3], off, off offset:296
	s_wait_loadcnt 0x0
	flat_store_b64 v[20:21], v[2:3]
	scratch_load_b64 v[2:3], off, off offset:304
	s_wait_loadcnt 0x0
	flat_store_b64 v[18:19], v[2:3]
	scratch_load_b64 v[2:3], off, off offset:312
	s_wait_loadcnt 0x0
	flat_store_b64 v[16:17], v[2:3]
	scratch_load_b64 v[2:3], off, off offset:320
	s_wait_loadcnt 0x0
	flat_store_b64 v[14:15], v[2:3]
	scratch_load_b64 v[2:3], off, off offset:328
	s_wait_loadcnt 0x0
	flat_store_b64 v[12:13], v[2:3]
	scratch_load_b64 v[2:3], off, off offset:336
	s_wait_loadcnt 0x0
	flat_store_b64 v[10:11], v[2:3]
	scratch_load_b64 v[2:3], off, off offset:344
	s_wait_loadcnt 0x0
	flat_store_b64 v[8:9], v[2:3]
	scratch_load_b64 v[2:3], off, off offset:352
	s_wait_loadcnt 0x0
	flat_store_b64 v[6:7], v[2:3]
	scratch_load_b64 v[2:3], off, off offset:360
	s_wait_loadcnt 0x0
	flat_store_b64 v[0:1], v[2:3]
	s_sendmsg sendmsg(MSG_DEALLOC_VGPRS)
	s_endpgm
	.section	.rodata,"a",@progbits
	.p2align	6, 0x0
	.amdhsa_kernel _ZN9rocsolver6v33100L18getri_kernel_smallILi46E19rocblas_complex_numIfEPKPS3_EEvT1_iilPiilS8_bb
		.amdhsa_group_segment_fixed_size 740
		.amdhsa_private_segment_fixed_size 384
		.amdhsa_kernarg_size 60
		.amdhsa_user_sgpr_count 2
		.amdhsa_user_sgpr_dispatch_ptr 0
		.amdhsa_user_sgpr_queue_ptr 0
		.amdhsa_user_sgpr_kernarg_segment_ptr 1
		.amdhsa_user_sgpr_dispatch_id 0
		.amdhsa_user_sgpr_kernarg_preload_length 0
		.amdhsa_user_sgpr_kernarg_preload_offset 0
		.amdhsa_user_sgpr_private_segment_size 0
		.amdhsa_wavefront_size32 1
		.amdhsa_uses_dynamic_stack 0
		.amdhsa_enable_private_segment 1
		.amdhsa_system_sgpr_workgroup_id_x 1
		.amdhsa_system_sgpr_workgroup_id_y 0
		.amdhsa_system_sgpr_workgroup_id_z 0
		.amdhsa_system_sgpr_workgroup_info 0
		.amdhsa_system_vgpr_workitem_id 0
		.amdhsa_next_free_vgpr 320
		.amdhsa_next_free_sgpr 19
		.amdhsa_named_barrier_count 0
		.amdhsa_reserve_vcc 1
		.amdhsa_float_round_mode_32 0
		.amdhsa_float_round_mode_16_64 0
		.amdhsa_float_denorm_mode_32 3
		.amdhsa_float_denorm_mode_16_64 3
		.amdhsa_fp16_overflow 0
		.amdhsa_memory_ordered 1
		.amdhsa_forward_progress 1
		.amdhsa_inst_pref_size 255
		.amdhsa_round_robin_scheduling 0
		.amdhsa_exception_fp_ieee_invalid_op 0
		.amdhsa_exception_fp_denorm_src 0
		.amdhsa_exception_fp_ieee_div_zero 0
		.amdhsa_exception_fp_ieee_overflow 0
		.amdhsa_exception_fp_ieee_underflow 0
		.amdhsa_exception_fp_ieee_inexact 0
		.amdhsa_exception_int_div_zero 0
	.end_amdhsa_kernel
	.section	.text._ZN9rocsolver6v33100L18getri_kernel_smallILi46E19rocblas_complex_numIfEPKPS3_EEvT1_iilPiilS8_bb,"axG",@progbits,_ZN9rocsolver6v33100L18getri_kernel_smallILi46E19rocblas_complex_numIfEPKPS3_EEvT1_iilPiilS8_bb,comdat
.Lfunc_end109:
	.size	_ZN9rocsolver6v33100L18getri_kernel_smallILi46E19rocblas_complex_numIfEPKPS3_EEvT1_iilPiilS8_bb, .Lfunc_end109-_ZN9rocsolver6v33100L18getri_kernel_smallILi46E19rocblas_complex_numIfEPKPS3_EEvT1_iilPiilS8_bb
                                        ; -- End function
	.set _ZN9rocsolver6v33100L18getri_kernel_smallILi46E19rocblas_complex_numIfEPKPS3_EEvT1_iilPiilS8_bb.num_vgpr, 320
	.set _ZN9rocsolver6v33100L18getri_kernel_smallILi46E19rocblas_complex_numIfEPKPS3_EEvT1_iilPiilS8_bb.num_agpr, 0
	.set _ZN9rocsolver6v33100L18getri_kernel_smallILi46E19rocblas_complex_numIfEPKPS3_EEvT1_iilPiilS8_bb.numbered_sgpr, 19
	.set _ZN9rocsolver6v33100L18getri_kernel_smallILi46E19rocblas_complex_numIfEPKPS3_EEvT1_iilPiilS8_bb.num_named_barrier, 0
	.set _ZN9rocsolver6v33100L18getri_kernel_smallILi46E19rocblas_complex_numIfEPKPS3_EEvT1_iilPiilS8_bb.private_seg_size, 384
	.set _ZN9rocsolver6v33100L18getri_kernel_smallILi46E19rocblas_complex_numIfEPKPS3_EEvT1_iilPiilS8_bb.uses_vcc, 1
	.set _ZN9rocsolver6v33100L18getri_kernel_smallILi46E19rocblas_complex_numIfEPKPS3_EEvT1_iilPiilS8_bb.uses_flat_scratch, 1
	.set _ZN9rocsolver6v33100L18getri_kernel_smallILi46E19rocblas_complex_numIfEPKPS3_EEvT1_iilPiilS8_bb.has_dyn_sized_stack, 0
	.set _ZN9rocsolver6v33100L18getri_kernel_smallILi46E19rocblas_complex_numIfEPKPS3_EEvT1_iilPiilS8_bb.has_recursion, 0
	.set _ZN9rocsolver6v33100L18getri_kernel_smallILi46E19rocblas_complex_numIfEPKPS3_EEvT1_iilPiilS8_bb.has_indirect_call, 0
	.section	.AMDGPU.csdata,"",@progbits
; Kernel info:
; codeLenInByte = 81472
; TotalNumSgprs: 21
; NumVgprs: 320
; ScratchSize: 384
; MemoryBound: 0
; FloatMode: 240
; IeeeMode: 1
; LDSByteSize: 740 bytes/workgroup (compile time only)
; SGPRBlocks: 0
; VGPRBlocks: 19
; NumSGPRsForWavesPerEU: 21
; NumVGPRsForWavesPerEU: 320
; NamedBarCnt: 0
; Occupancy: 3
; WaveLimiterHint : 1
; COMPUTE_PGM_RSRC2:SCRATCH_EN: 1
; COMPUTE_PGM_RSRC2:USER_SGPR: 2
; COMPUTE_PGM_RSRC2:TRAP_HANDLER: 0
; COMPUTE_PGM_RSRC2:TGID_X_EN: 1
; COMPUTE_PGM_RSRC2:TGID_Y_EN: 0
; COMPUTE_PGM_RSRC2:TGID_Z_EN: 0
; COMPUTE_PGM_RSRC2:TIDIG_COMP_CNT: 0
	.section	.text._ZN9rocsolver6v33100L18getri_kernel_smallILi47E19rocblas_complex_numIfEPKPS3_EEvT1_iilPiilS8_bb,"axG",@progbits,_ZN9rocsolver6v33100L18getri_kernel_smallILi47E19rocblas_complex_numIfEPKPS3_EEvT1_iilPiilS8_bb,comdat
	.globl	_ZN9rocsolver6v33100L18getri_kernel_smallILi47E19rocblas_complex_numIfEPKPS3_EEvT1_iilPiilS8_bb ; -- Begin function _ZN9rocsolver6v33100L18getri_kernel_smallILi47E19rocblas_complex_numIfEPKPS3_EEvT1_iilPiilS8_bb
	.p2align	8
	.type	_ZN9rocsolver6v33100L18getri_kernel_smallILi47E19rocblas_complex_numIfEPKPS3_EEvT1_iilPiilS8_bb,@function
_ZN9rocsolver6v33100L18getri_kernel_smallILi47E19rocblas_complex_numIfEPKPS3_EEvT1_iilPiilS8_bb: ; @_ZN9rocsolver6v33100L18getri_kernel_smallILi47E19rocblas_complex_numIfEPKPS3_EEvT1_iilPiilS8_bb
; %bb.0:
	s_mov_b32 s2, exec_lo
	v_cmpx_gt_u32_e32 47, v0
	s_cbranch_execz .LBB110_202
; %bb.1:
	s_clause 0x1
	s_load_b32 s13, s[0:1], 0x38
	s_load_b64 s[2:3], s[0:1], 0x0
	s_getreg_b32 s6, hwreg(HW_REG_IB_STS2, 6, 4)
	s_wait_kmcnt 0x0
	s_bitcmp1_b32 s13, 8
	s_cselect_b32 s12, -1, 0
	s_bfe_u32 s4, ttmp6, 0x4000c
	s_and_b32 s5, ttmp6, 15
	s_add_co_i32 s4, s4, 1
	s_delay_alu instid0(SALU_CYCLE_1) | instskip(NEXT) | instid1(SALU_CYCLE_1)
	s_mul_i32 s4, ttmp9, s4
	s_add_co_i32 s5, s5, s4
	s_cmp_eq_u32 s6, 0
	s_cselect_b32 s10, ttmp9, s5
	s_load_b128 s[4:7], s[0:1], 0x28
	s_ashr_i32 s11, s10, 31
	s_delay_alu instid0(SALU_CYCLE_1) | instskip(NEXT) | instid1(SALU_CYCLE_1)
	s_lshl_b64 s[8:9], s[10:11], 3
	s_add_nc_u64 s[2:3], s[2:3], s[8:9]
	s_bfe_u32 s8, s13, 0x10008
	s_load_b64 s[2:3], s[2:3], 0x0
	s_cmp_eq_u32 s8, 0
                                        ; implicit-def: $sgpr8_sgpr9
	s_cbranch_scc1 .LBB110_3
; %bb.2:
	s_load_b96 s[16:18], s[0:1], 0x18
	s_wait_kmcnt 0x0
	s_mul_u64 s[4:5], s[4:5], s[10:11]
	s_delay_alu instid0(SALU_CYCLE_1) | instskip(SKIP_4) | instid1(SALU_CYCLE_1)
	s_lshl_b64 s[4:5], s[4:5], 2
	s_ashr_i32 s9, s18, 31
	s_mov_b32 s8, s18
	s_add_nc_u64 s[4:5], s[16:17], s[4:5]
	s_lshl_b64 s[8:9], s[8:9], 2
	s_add_nc_u64 s[8:9], s[4:5], s[8:9]
.LBB110_3:
	s_wait_kmcnt 0x0
	s_clause 0x1
	s_load_b64 s[4:5], s[0:1], 0x8
	s_load_b32 s13, s[0:1], 0x38
	v_dual_mov_b32 v97, 0 :: v_dual_lshlrev_b32 v96, 3, v0
	s_wait_kmcnt 0x0
	s_ashr_i32 s1, s4, 31
	s_mov_b32 s0, s4
	s_delay_alu instid0(SALU_CYCLE_1) | instskip(NEXT) | instid1(SALU_CYCLE_1)
	s_lshl_b64 s[0:1], s[0:1], 3
	s_add_nc_u64 s[2:3], s[2:3], s[0:1]
	s_ashr_i32 s1, s5, 31
	flat_load_b64 v[6:7], v0, s[2:3] scale_offset
	v_add_nc_u64_e32 v[2:3], s[2:3], v[96:97]
	s_mov_b32 s0, s5
	s_bitcmp0_b32 s13, 0
	s_delay_alu instid0(VALU_DEP_1)
	v_lshl_add_u64 v[4:5], s[0:1], 3, v[2:3]
	s_mov_b32 s1, -1
	s_wait_loadcnt_dscnt 0x0
	scratch_store_b64 off, v[6:7], off
	flat_load_b64 v[8:9], v[4:5]
	s_wait_xcnt 0x1
	v_add3_u32 v6, s5, s5, v0
	s_wait_loadcnt_dscnt 0x0
	scratch_store_b64 off, v[8:9], off offset:8
	flat_load_b64 v[10:11], v6, s[2:3] scale_offset
	s_wait_xcnt 0x1
	v_add_nc_u32_e32 v8, s5, v6
	s_wait_loadcnt_dscnt 0x0
	scratch_store_b64 off, v[10:11], off offset:16
	flat_load_b64 v[12:13], v8, s[2:3] scale_offset
	s_wait_xcnt 0x1
	v_add_nc_u32_e32 v10, s5, v8
	;; [unrolled: 5-line block ×44, first 2 shown]
	s_wait_loadcnt_dscnt 0x0
	scratch_store_b64 off, v[98:99], off offset:360
	flat_load_b64 v[98:99], v94, s[2:3] scale_offset
	s_wait_loadcnt_dscnt 0x0
	scratch_store_b64 off, v[98:99], off offset:368
	s_cbranch_scc1 .LBB110_200
; %bb.4:
	v_cmp_eq_u32_e64 s0, 0, v0
	s_wait_xcnt 0x0
	s_and_saveexec_b32 s1, s0
; %bb.5:
	v_mov_b32_e32 v1, 0
	ds_store_b32 v1, v1 offset:376
; %bb.6:
	s_or_b32 exec_lo, exec_lo, s1
	s_wait_storecnt_dscnt 0x0
	s_barrier_signal -1
	s_barrier_wait -1
	scratch_load_b64 v[98:99], v0, off scale_offset
	s_wait_loadcnt 0x0
	v_cmp_eq_f32_e32 vcc_lo, 0, v98
	v_cmp_eq_f32_e64 s1, 0, v99
	s_and_b32 s1, vcc_lo, s1
	s_delay_alu instid0(SALU_CYCLE_1)
	s_and_saveexec_b32 s4, s1
	s_cbranch_execz .LBB110_10
; %bb.7:
	v_mov_b32_e32 v1, 0
	s_mov_b32 s5, 0
	ds_load_b32 v7, v1 offset:376
	s_wait_dscnt 0x0
	v_readfirstlane_b32 s1, v7
	v_add_nc_u32_e32 v7, 1, v0
	s_cmp_eq_u32 s1, 0
	s_delay_alu instid0(VALU_DEP_1) | instskip(SKIP_1) | instid1(SALU_CYCLE_1)
	v_cmp_gt_i32_e32 vcc_lo, s1, v7
	s_cselect_b32 s13, -1, 0
	s_or_b32 s13, s13, vcc_lo
	s_delay_alu instid0(SALU_CYCLE_1)
	s_and_b32 exec_lo, exec_lo, s13
	s_cbranch_execz .LBB110_10
; %bb.8:
	v_mov_b32_e32 v9, s1
.LBB110_9:                              ; =>This Inner Loop Header: Depth=1
	ds_cmpstore_rtn_b32 v9, v1, v7, v9 offset:376
	s_wait_dscnt 0x0
	v_cmp_ne_u32_e32 vcc_lo, 0, v9
	v_cmp_le_i32_e64 s1, v9, v7
	s_and_b32 s1, vcc_lo, s1
	s_delay_alu instid0(SALU_CYCLE_1) | instskip(NEXT) | instid1(SALU_CYCLE_1)
	s_and_b32 s1, exec_lo, s1
	s_or_b32 s5, s1, s5
	s_delay_alu instid0(SALU_CYCLE_1)
	s_and_not1_b32 exec_lo, exec_lo, s5
	s_cbranch_execnz .LBB110_9
.LBB110_10:
	s_or_b32 exec_lo, exec_lo, s4
	v_mov_b32_e32 v1, 0
	s_barrier_signal -1
	s_barrier_wait -1
	ds_load_b32 v7, v1 offset:376
	s_and_saveexec_b32 s1, s0
	s_cbranch_execz .LBB110_12
; %bb.11:
	s_lshl_b64 s[4:5], s[10:11], 2
	s_delay_alu instid0(SALU_CYCLE_1)
	s_add_nc_u64 s[4:5], s[6:7], s[4:5]
	s_wait_dscnt 0x0
	global_store_b32 v1, v7, s[4:5]
.LBB110_12:
	s_wait_xcnt 0x0
	s_or_b32 exec_lo, exec_lo, s1
	s_wait_dscnt 0x0
	v_cmp_ne_u32_e32 vcc_lo, 0, v7
	s_mov_b32 s1, 0
	s_cbranch_vccnz .LBB110_200
; %bb.13:
	v_lshl_add_u32 v7, v0, 3, 0
                                        ; implicit-def: $vgpr101
                                        ; implicit-def: $vgpr102
	scratch_load_b64 v[98:99], v7, off
	s_wait_loadcnt 0x0
	v_cmp_ngt_f32_e64 s1, |v98|, |v99|
	s_wait_xcnt 0x0
	s_and_saveexec_b32 s4, s1
	s_delay_alu instid0(SALU_CYCLE_1)
	s_xor_b32 s1, exec_lo, s4
	s_cbranch_execz .LBB110_15
; %bb.14:
	v_div_scale_f32 v1, null, v99, v99, v98
	v_div_scale_f32 v13, vcc_lo, v98, v99, v98
	s_delay_alu instid0(VALU_DEP_2) | instskip(SKIP_1) | instid1(TRANS32_DEP_1)
	v_rcp_f32_e32 v9, v1
	v_nop
	v_fma_f32 v11, -v1, v9, 1.0
	s_delay_alu instid0(VALU_DEP_1) | instskip(NEXT) | instid1(VALU_DEP_1)
	v_fmac_f32_e32 v9, v11, v9
	v_mul_f32_e32 v11, v13, v9
	s_delay_alu instid0(VALU_DEP_1) | instskip(NEXT) | instid1(VALU_DEP_1)
	v_fma_f32 v15, -v1, v11, v13
	v_fmac_f32_e32 v11, v15, v9
	s_delay_alu instid0(VALU_DEP_1) | instskip(NEXT) | instid1(VALU_DEP_1)
	v_fma_f32 v1, -v1, v11, v13
	v_div_fmas_f32 v1, v1, v9, v11
	s_delay_alu instid0(VALU_DEP_1) | instskip(NEXT) | instid1(VALU_DEP_1)
	v_div_fixup_f32 v1, v1, v99, v98
	v_fmac_f32_e32 v99, v98, v1
	s_delay_alu instid0(VALU_DEP_1) | instskip(NEXT) | instid1(VALU_DEP_1)
	v_div_scale_f32 v9, null, v99, v99, -1.0
	v_rcp_f32_e32 v11, v9
	v_nop
	s_delay_alu instid0(TRANS32_DEP_1) | instskip(NEXT) | instid1(VALU_DEP_1)
	v_fma_f32 v13, -v9, v11, 1.0
	v_fmac_f32_e32 v11, v13, v11
	v_div_scale_f32 v13, vcc_lo, -1.0, v99, -1.0
	s_delay_alu instid0(VALU_DEP_1) | instskip(NEXT) | instid1(VALU_DEP_1)
	v_mul_f32_e32 v15, v13, v11
	v_fma_f32 v17, -v9, v15, v13
	s_delay_alu instid0(VALU_DEP_1) | instskip(NEXT) | instid1(VALU_DEP_1)
	v_fmac_f32_e32 v15, v17, v11
	v_fma_f32 v9, -v9, v15, v13
	s_delay_alu instid0(VALU_DEP_1) | instskip(NEXT) | instid1(VALU_DEP_1)
	v_div_fmas_f32 v9, v9, v11, v15
	v_div_fixup_f32 v101, v9, v99, -1.0
                                        ; implicit-def: $vgpr98_vgpr99
	s_delay_alu instid0(VALU_DEP_1) | instskip(NEXT) | instid1(VALU_DEP_1)
	v_mul_f32_e32 v102, v1, v101
	v_xor_b32_e32 v100, 0x80000000, v102
.LBB110_15:
	s_and_not1_saveexec_b32 s1, s1
	s_cbranch_execz .LBB110_17
; %bb.16:
	v_div_scale_f32 v1, null, v98, v98, v99
	v_div_scale_f32 v13, vcc_lo, v99, v98, v99
	s_delay_alu instid0(VALU_DEP_2) | instskip(SKIP_1) | instid1(TRANS32_DEP_1)
	v_rcp_f32_e32 v9, v1
	v_nop
	v_fma_f32 v11, -v1, v9, 1.0
	s_delay_alu instid0(VALU_DEP_1) | instskip(NEXT) | instid1(VALU_DEP_1)
	v_fmac_f32_e32 v9, v11, v9
	v_mul_f32_e32 v11, v13, v9
	s_delay_alu instid0(VALU_DEP_1) | instskip(NEXT) | instid1(VALU_DEP_1)
	v_fma_f32 v15, -v1, v11, v13
	v_fmac_f32_e32 v11, v15, v9
	s_delay_alu instid0(VALU_DEP_1) | instskip(NEXT) | instid1(VALU_DEP_1)
	v_fma_f32 v1, -v1, v11, v13
	v_div_fmas_f32 v1, v1, v9, v11
	s_delay_alu instid0(VALU_DEP_1) | instskip(NEXT) | instid1(VALU_DEP_1)
	v_div_fixup_f32 v1, v1, v98, v99
	v_fmac_f32_e32 v98, v99, v1
	s_delay_alu instid0(VALU_DEP_1) | instskip(SKIP_1) | instid1(VALU_DEP_2)
	v_div_scale_f32 v9, null, v98, v98, 1.0
	v_div_scale_f32 v15, vcc_lo, 1.0, v98, 1.0
	v_rcp_f32_e32 v11, v9
	v_nop
	s_delay_alu instid0(TRANS32_DEP_1) | instskip(NEXT) | instid1(VALU_DEP_1)
	v_fma_f32 v13, -v9, v11, 1.0
	v_fmac_f32_e32 v11, v13, v11
	s_delay_alu instid0(VALU_DEP_1) | instskip(NEXT) | instid1(VALU_DEP_1)
	v_mul_f32_e32 v13, v15, v11
	v_fma_f32 v17, -v9, v13, v15
	s_delay_alu instid0(VALU_DEP_1) | instskip(NEXT) | instid1(VALU_DEP_1)
	v_fmac_f32_e32 v13, v17, v11
	v_fma_f32 v9, -v9, v13, v15
	s_delay_alu instid0(VALU_DEP_1) | instskip(NEXT) | instid1(VALU_DEP_1)
	v_div_fmas_f32 v9, v9, v11, v13
	v_div_fixup_f32 v100, v9, v98, 1.0
	s_delay_alu instid0(VALU_DEP_1)
	v_xor_b32_e32 v102, 0x80000000, v100
	v_mul_f32_e64 v101, v1, -v100
.LBB110_17:
	s_or_b32 exec_lo, exec_lo, s1
	scratch_store_b64 v7, v[100:101], off
	scratch_load_b64 v[98:99], off, off offset:8
	v_xor_b32_e32 v103, 0x80000000, v101
	v_add_nc_u32_e32 v1, 0x180, v96
	s_wait_loadcnt 0x0
	ds_store_2addr_b64 v96, v[102:103], v[98:99] offset1:48
	s_wait_storecnt_dscnt 0x0
	s_barrier_signal -1
	s_barrier_wait -1
	s_wait_xcnt 0x0
	s_and_saveexec_b32 s1, s0
	s_cbranch_execz .LBB110_19
; %bb.18:
	scratch_load_b64 v[98:99], v7, off
	ds_load_b64 v[100:101], v1
	s_wait_loadcnt_dscnt 0x0
	v_pk_mul_f32 v[104:105], v[100:101], v[98:99] op_sel:[1,1] op_sel_hi:[0,1]
	s_delay_alu instid0(VALU_DEP_1) | instskip(SKIP_2) | instid1(VALU_DEP_3)
	v_pk_fma_f32 v[106:107], v[100:101], v[98:99], v[104:105] op_sel_hi:[1,0,1]
	v_mov_b32_e32 v9, 0
	v_pk_fma_f32 v[98:99], v[100:101], v[98:99], v[104:105] neg_lo:[0,0,1] neg_hi:[0,0,1]
	v_mov_b32_e32 v99, v107
	ds_load_b64 v[102:103], v9 offset:8
	v_pk_add_f32 v[98:99], v[98:99], 0 op_sel_hi:[1,0]
	s_wait_dscnt 0x0
	s_delay_alu instid0(VALU_DEP_1) | instskip(NEXT) | instid1(VALU_DEP_1)
	v_pk_mul_f32 v[100:101], v[98:99], v[102:103] op_sel:[1,1] op_sel_hi:[0,1]
	v_pk_fma_f32 v[104:105], v[98:99], v[102:103], v[100:101] op_sel_hi:[1,0,1]
	v_pk_fma_f32 v[98:99], v[98:99], v[102:103], v[100:101] neg_lo:[0,0,1] neg_hi:[0,0,1]
	s_delay_alu instid0(VALU_DEP_2)
	v_mov_b32_e32 v99, v105
	scratch_store_b64 off, v[98:99], off offset:8
.LBB110_19:
	s_wait_xcnt 0x0
	s_or_b32 exec_lo, exec_lo, s1
	s_wait_storecnt 0x0
	s_barrier_signal -1
	s_barrier_wait -1
	scratch_load_b64 v[98:99], off, off offset:16
	s_mov_b32 s1, exec_lo
	s_wait_loadcnt 0x0
	ds_store_b64 v1, v[98:99]
	s_wait_dscnt 0x0
	s_barrier_signal -1
	s_barrier_wait -1
	v_cmpx_gt_u32_e32 2, v0
	s_cbranch_execz .LBB110_23
; %bb.20:
	scratch_load_b64 v[98:99], v7, off
	ds_load_b64 v[100:101], v1
	s_wait_loadcnt_dscnt 0x0
	v_pk_mul_f32 v[102:103], v[100:101], v[98:99] op_sel:[1,1] op_sel_hi:[0,1]
	s_delay_alu instid0(VALU_DEP_1) | instskip(SKIP_1) | instid1(VALU_DEP_2)
	v_pk_fma_f32 v[104:105], v[100:101], v[98:99], v[102:103] op_sel_hi:[1,0,1]
	v_pk_fma_f32 v[98:99], v[100:101], v[98:99], v[102:103] neg_lo:[0,0,1] neg_hi:[0,0,1]
	v_mov_b32_e32 v99, v105
	s_delay_alu instid0(VALU_DEP_1)
	v_pk_add_f32 v[98:99], v[98:99], 0 op_sel_hi:[1,0]
	s_and_saveexec_b32 s4, s0
	s_cbranch_execz .LBB110_22
; %bb.21:
	scratch_load_b64 v[100:101], off, off offset:8
	v_mov_b32_e32 v7, 0
	ds_load_b64 v[102:103], v7 offset:392
	s_wait_loadcnt_dscnt 0x0
	v_pk_mul_f32 v[104:105], v[102:103], v[100:101] op_sel:[1,1] op_sel_hi:[0,1]
	s_delay_alu instid0(VALU_DEP_1) | instskip(SKIP_1) | instid1(VALU_DEP_2)
	v_pk_fma_f32 v[106:107], v[102:103], v[100:101], v[104:105] op_sel_hi:[1,0,1]
	v_pk_fma_f32 v[100:101], v[102:103], v[100:101], v[104:105] neg_lo:[0,0,1] neg_hi:[0,0,1]
	v_mov_b32_e32 v101, v107
	s_delay_alu instid0(VALU_DEP_1)
	v_pk_add_f32 v[98:99], v[98:99], v[100:101]
.LBB110_22:
	s_or_b32 exec_lo, exec_lo, s4
	v_mov_b32_e32 v7, 0
	ds_load_b64 v[100:101], v7 offset:16
	s_wait_dscnt 0x0
	v_pk_mul_f32 v[102:103], v[98:99], v[100:101] op_sel:[1,1] op_sel_hi:[0,1]
	s_delay_alu instid0(VALU_DEP_1) | instskip(SKIP_1) | instid1(VALU_DEP_2)
	v_pk_fma_f32 v[104:105], v[98:99], v[100:101], v[102:103] op_sel_hi:[1,0,1]
	v_pk_fma_f32 v[98:99], v[98:99], v[100:101], v[102:103] neg_lo:[0,0,1] neg_hi:[0,0,1]
	v_mov_b32_e32 v99, v105
	scratch_store_b64 off, v[98:99], off offset:16
.LBB110_23:
	s_wait_xcnt 0x0
	s_or_b32 exec_lo, exec_lo, s1
	s_wait_storecnt 0x0
	s_barrier_signal -1
	s_barrier_wait -1
	scratch_load_b64 v[98:99], off, off offset:24
	v_add_nc_u32_e32 v7, -1, v0
	s_mov_b32 s0, exec_lo
	s_wait_loadcnt 0x0
	ds_store_b64 v1, v[98:99]
	s_wait_dscnt 0x0
	s_barrier_signal -1
	s_barrier_wait -1
	v_cmpx_gt_u32_e32 3, v0
	s_cbranch_execz .LBB110_27
; %bb.24:
	v_dual_mov_b32 v98, 0 :: v_dual_add_nc_u32 v9, -1, v0
	v_add_nc_u32_e32 v11, 0x180, v96
	v_mov_b32_e32 v13, v96
	s_mov_b32 s1, 0
	s_delay_alu instid0(VALU_DEP_3)
	v_mov_b32_e32 v99, v98
.LBB110_25:                             ; =>This Inner Loop Header: Depth=1
	scratch_load_b64 v[100:101], v13, off
	ds_load_b64 v[102:103], v11
	s_wait_xcnt 0x0
	v_dual_add_nc_u32 v11, 8, v11 :: v_dual_add_nc_u32 v13, 8, v13
	s_wait_loadcnt_dscnt 0x0
	v_pk_mul_f32 v[104:105], v[102:103], v[100:101] op_sel:[1,1] op_sel_hi:[0,1]
	s_delay_alu instid0(VALU_DEP_1) | instskip(SKIP_2) | instid1(VALU_DEP_3)
	v_pk_fma_f32 v[106:107], v[102:103], v[100:101], v[104:105] op_sel_hi:[1,0,1]
	v_add_nc_u32_e32 v9, 1, v9
	v_pk_fma_f32 v[100:101], v[102:103], v[100:101], v[104:105] neg_lo:[0,0,1] neg_hi:[0,0,1]
	v_mov_b32_e32 v101, v107
	s_delay_alu instid0(VALU_DEP_3) | instskip(NEXT) | instid1(VALU_DEP_2)
	v_cmp_lt_u32_e32 vcc_lo, 1, v9
	v_pk_add_f32 v[98:99], v[98:99], v[100:101]
	s_or_b32 s1, vcc_lo, s1
	s_delay_alu instid0(SALU_CYCLE_1)
	s_and_not1_b32 exec_lo, exec_lo, s1
	s_cbranch_execnz .LBB110_25
; %bb.26:
	s_or_b32 exec_lo, exec_lo, s1
	v_mov_b32_e32 v9, 0
	ds_load_b64 v[100:101], v9 offset:24
	s_wait_dscnt 0x0
	v_pk_mul_f32 v[102:103], v[98:99], v[100:101] op_sel:[1,1] op_sel_hi:[0,1]
	s_delay_alu instid0(VALU_DEP_1) | instskip(SKIP_1) | instid1(VALU_DEP_2)
	v_pk_fma_f32 v[104:105], v[98:99], v[100:101], v[102:103] op_sel_hi:[1,0,1]
	v_pk_fma_f32 v[98:99], v[98:99], v[100:101], v[102:103] neg_lo:[0,0,1] neg_hi:[0,0,1]
	v_mov_b32_e32 v99, v105
	scratch_store_b64 off, v[98:99], off offset:24
.LBB110_27:
	s_wait_xcnt 0x0
	s_or_b32 exec_lo, exec_lo, s0
	s_wait_storecnt 0x0
	s_barrier_signal -1
	s_barrier_wait -1
	scratch_load_b64 v[98:99], off, off offset:32
	s_mov_b32 s0, exec_lo
	s_wait_loadcnt 0x0
	ds_store_b64 v1, v[98:99]
	s_wait_dscnt 0x0
	s_barrier_signal -1
	s_barrier_wait -1
	v_cmpx_gt_u32_e32 4, v0
	s_cbranch_execz .LBB110_31
; %bb.28:
	v_dual_mov_b32 v98, 0 :: v_dual_add_nc_u32 v9, -1, v0
	v_add_nc_u32_e32 v11, 0x180, v96
	v_mov_b32_e32 v13, v96
	s_mov_b32 s1, 0
	s_delay_alu instid0(VALU_DEP_3)
	v_mov_b32_e32 v99, v98
.LBB110_29:                             ; =>This Inner Loop Header: Depth=1
	scratch_load_b64 v[100:101], v13, off
	ds_load_b64 v[102:103], v11
	s_wait_xcnt 0x0
	v_dual_add_nc_u32 v11, 8, v11 :: v_dual_add_nc_u32 v13, 8, v13
	s_wait_loadcnt_dscnt 0x0
	v_pk_mul_f32 v[104:105], v[102:103], v[100:101] op_sel:[1,1] op_sel_hi:[0,1]
	s_delay_alu instid0(VALU_DEP_1) | instskip(SKIP_2) | instid1(VALU_DEP_3)
	v_pk_fma_f32 v[106:107], v[102:103], v[100:101], v[104:105] op_sel_hi:[1,0,1]
	v_add_nc_u32_e32 v9, 1, v9
	v_pk_fma_f32 v[100:101], v[102:103], v[100:101], v[104:105] neg_lo:[0,0,1] neg_hi:[0,0,1]
	v_mov_b32_e32 v101, v107
	s_delay_alu instid0(VALU_DEP_3) | instskip(NEXT) | instid1(VALU_DEP_2)
	v_cmp_lt_u32_e32 vcc_lo, 2, v9
	v_pk_add_f32 v[98:99], v[98:99], v[100:101]
	s_or_b32 s1, vcc_lo, s1
	s_delay_alu instid0(SALU_CYCLE_1)
	s_and_not1_b32 exec_lo, exec_lo, s1
	s_cbranch_execnz .LBB110_29
; %bb.30:
	s_or_b32 exec_lo, exec_lo, s1
	v_mov_b32_e32 v9, 0
	ds_load_b64 v[100:101], v9 offset:32
	s_wait_dscnt 0x0
	v_pk_mul_f32 v[102:103], v[98:99], v[100:101] op_sel:[1,1] op_sel_hi:[0,1]
	s_delay_alu instid0(VALU_DEP_1) | instskip(SKIP_1) | instid1(VALU_DEP_2)
	v_pk_fma_f32 v[104:105], v[98:99], v[100:101], v[102:103] op_sel_hi:[1,0,1]
	v_pk_fma_f32 v[98:99], v[98:99], v[100:101], v[102:103] neg_lo:[0,0,1] neg_hi:[0,0,1]
	v_mov_b32_e32 v99, v105
	scratch_store_b64 off, v[98:99], off offset:32
.LBB110_31:
	s_wait_xcnt 0x0
	s_or_b32 exec_lo, exec_lo, s0
	s_wait_storecnt 0x0
	s_barrier_signal -1
	s_barrier_wait -1
	scratch_load_b64 v[98:99], off, off offset:40
	;; [unrolled: 52-line block ×19, first 2 shown]
	s_mov_b32 s0, exec_lo
	s_wait_loadcnt 0x0
	ds_store_b64 v1, v[98:99]
	s_wait_dscnt 0x0
	s_barrier_signal -1
	s_barrier_wait -1
	v_cmpx_gt_u32_e32 22, v0
	s_cbranch_execz .LBB110_103
; %bb.100:
	v_dual_mov_b32 v98, 0 :: v_dual_add_nc_u32 v9, -1, v0
	v_add_nc_u32_e32 v11, 0x180, v96
	v_mov_b32_e32 v13, v96
	s_mov_b32 s1, 0
	s_delay_alu instid0(VALU_DEP_3)
	v_mov_b32_e32 v99, v98
.LBB110_101:                            ; =>This Inner Loop Header: Depth=1
	scratch_load_b64 v[100:101], v13, off
	ds_load_b64 v[102:103], v11
	s_wait_xcnt 0x0
	v_dual_add_nc_u32 v11, 8, v11 :: v_dual_add_nc_u32 v13, 8, v13
	s_wait_loadcnt_dscnt 0x0
	v_pk_mul_f32 v[104:105], v[102:103], v[100:101] op_sel:[1,1] op_sel_hi:[0,1]
	s_delay_alu instid0(VALU_DEP_1) | instskip(SKIP_2) | instid1(VALU_DEP_3)
	v_pk_fma_f32 v[106:107], v[102:103], v[100:101], v[104:105] op_sel_hi:[1,0,1]
	v_add_nc_u32_e32 v9, 1, v9
	v_pk_fma_f32 v[100:101], v[102:103], v[100:101], v[104:105] neg_lo:[0,0,1] neg_hi:[0,0,1]
	v_mov_b32_e32 v101, v107
	s_delay_alu instid0(VALU_DEP_3) | instskip(NEXT) | instid1(VALU_DEP_2)
	v_cmp_lt_u32_e32 vcc_lo, 20, v9
	v_pk_add_f32 v[98:99], v[98:99], v[100:101]
	s_or_b32 s1, vcc_lo, s1
	s_delay_alu instid0(SALU_CYCLE_1)
	s_and_not1_b32 exec_lo, exec_lo, s1
	s_cbranch_execnz .LBB110_101
; %bb.102:
	s_or_b32 exec_lo, exec_lo, s1
	v_mov_b32_e32 v9, 0
	ds_load_b64 v[100:101], v9 offset:176
	s_wait_dscnt 0x0
	v_pk_mul_f32 v[102:103], v[98:99], v[100:101] op_sel:[1,1] op_sel_hi:[0,1]
	s_delay_alu instid0(VALU_DEP_1) | instskip(SKIP_1) | instid1(VALU_DEP_2)
	v_pk_fma_f32 v[104:105], v[98:99], v[100:101], v[102:103] op_sel_hi:[1,0,1]
	v_pk_fma_f32 v[98:99], v[98:99], v[100:101], v[102:103] neg_lo:[0,0,1] neg_hi:[0,0,1]
	v_mov_b32_e32 v99, v105
	scratch_store_b64 off, v[98:99], off offset:176
.LBB110_103:
	s_wait_xcnt 0x0
	s_or_b32 exec_lo, exec_lo, s0
	s_wait_storecnt 0x0
	s_barrier_signal -1
	s_barrier_wait -1
	scratch_load_b64 v[98:99], off, off offset:184
	s_mov_b32 s0, exec_lo
	s_wait_loadcnt 0x0
	ds_store_b64 v1, v[98:99]
	s_wait_dscnt 0x0
	s_barrier_signal -1
	s_barrier_wait -1
	v_cmpx_gt_u32_e32 23, v0
	s_cbranch_execz .LBB110_107
; %bb.104:
	v_dual_mov_b32 v98, 0 :: v_dual_add_nc_u32 v9, -1, v0
	v_add_nc_u32_e32 v11, 0x180, v96
	v_mov_b32_e32 v13, v96
	s_mov_b32 s1, 0
	s_delay_alu instid0(VALU_DEP_3)
	v_mov_b32_e32 v99, v98
.LBB110_105:                            ; =>This Inner Loop Header: Depth=1
	scratch_load_b64 v[100:101], v13, off
	ds_load_b64 v[102:103], v11
	s_wait_xcnt 0x0
	v_dual_add_nc_u32 v11, 8, v11 :: v_dual_add_nc_u32 v13, 8, v13
	s_wait_loadcnt_dscnt 0x0
	v_pk_mul_f32 v[104:105], v[102:103], v[100:101] op_sel:[1,1] op_sel_hi:[0,1]
	s_delay_alu instid0(VALU_DEP_1) | instskip(SKIP_2) | instid1(VALU_DEP_3)
	v_pk_fma_f32 v[106:107], v[102:103], v[100:101], v[104:105] op_sel_hi:[1,0,1]
	v_add_nc_u32_e32 v9, 1, v9
	v_pk_fma_f32 v[100:101], v[102:103], v[100:101], v[104:105] neg_lo:[0,0,1] neg_hi:[0,0,1]
	v_mov_b32_e32 v101, v107
	s_delay_alu instid0(VALU_DEP_3) | instskip(NEXT) | instid1(VALU_DEP_2)
	v_cmp_lt_u32_e32 vcc_lo, 21, v9
	v_pk_add_f32 v[98:99], v[98:99], v[100:101]
	s_or_b32 s1, vcc_lo, s1
	s_delay_alu instid0(SALU_CYCLE_1)
	s_and_not1_b32 exec_lo, exec_lo, s1
	s_cbranch_execnz .LBB110_105
; %bb.106:
	s_or_b32 exec_lo, exec_lo, s1
	v_mov_b32_e32 v9, 0
	ds_load_b64 v[100:101], v9 offset:184
	s_wait_dscnt 0x0
	v_pk_mul_f32 v[102:103], v[98:99], v[100:101] op_sel:[1,1] op_sel_hi:[0,1]
	s_delay_alu instid0(VALU_DEP_1) | instskip(SKIP_1) | instid1(VALU_DEP_2)
	v_pk_fma_f32 v[104:105], v[98:99], v[100:101], v[102:103] op_sel_hi:[1,0,1]
	v_pk_fma_f32 v[98:99], v[98:99], v[100:101], v[102:103] neg_lo:[0,0,1] neg_hi:[0,0,1]
	v_mov_b32_e32 v99, v105
	scratch_store_b64 off, v[98:99], off offset:184
.LBB110_107:
	s_wait_xcnt 0x0
	s_or_b32 exec_lo, exec_lo, s0
	s_wait_storecnt 0x0
	s_barrier_signal -1
	s_barrier_wait -1
	scratch_load_b64 v[98:99], off, off offset:192
	;; [unrolled: 52-line block ×24, first 2 shown]
	s_mov_b32 s0, exec_lo
	s_wait_loadcnt 0x0
	ds_store_b64 v1, v[98:99]
	s_wait_dscnt 0x0
	s_barrier_signal -1
	s_barrier_wait -1
	v_cmpx_ne_u32_e32 46, v0
	s_cbranch_execz .LBB110_199
; %bb.196:
	v_dual_mov_b32 v98, 0 :: v_dual_mov_b32 v9, v96
	s_mov_b32 s1, 0
	s_delay_alu instid0(VALU_DEP_1)
	v_mov_b32_e32 v99, v98
.LBB110_197:                            ; =>This Inner Loop Header: Depth=1
	scratch_load_b64 v[96:97], v9, off
	ds_load_b64 v[100:101], v1
	v_add_nc_u32_e32 v1, 8, v1
	s_wait_xcnt 0x0
	v_add_nc_u32_e32 v9, 8, v9
	s_wait_loadcnt_dscnt 0x0
	v_pk_mul_f32 v[102:103], v[100:101], v[96:97] op_sel:[1,1] op_sel_hi:[0,1]
	s_delay_alu instid0(VALU_DEP_1) | instskip(SKIP_2) | instid1(VALU_DEP_3)
	v_pk_fma_f32 v[104:105], v[100:101], v[96:97], v[102:103] op_sel_hi:[1,0,1]
	v_add_nc_u32_e32 v7, 1, v7
	v_pk_fma_f32 v[96:97], v[100:101], v[96:97], v[102:103] neg_lo:[0,0,1] neg_hi:[0,0,1]
	v_mov_b32_e32 v97, v105
	s_delay_alu instid0(VALU_DEP_3) | instskip(NEXT) | instid1(VALU_DEP_2)
	v_cmp_lt_u32_e32 vcc_lo, 44, v7
	v_pk_add_f32 v[98:99], v[98:99], v[96:97]
	s_or_b32 s1, vcc_lo, s1
	s_delay_alu instid0(SALU_CYCLE_1)
	s_and_not1_b32 exec_lo, exec_lo, s1
	s_cbranch_execnz .LBB110_197
; %bb.198:
	s_or_b32 exec_lo, exec_lo, s1
	v_mov_b32_e32 v1, 0
	ds_load_b64 v[96:97], v1 offset:368
	s_wait_dscnt 0x0
	v_pk_mul_f32 v[100:101], v[98:99], v[96:97] op_sel:[1,1] op_sel_hi:[0,1]
	s_delay_alu instid0(VALU_DEP_1) | instskip(SKIP_1) | instid1(VALU_DEP_2)
	v_pk_fma_f32 v[102:103], v[98:99], v[96:97], v[100:101] op_sel_hi:[1,0,1]
	v_pk_fma_f32 v[96:97], v[98:99], v[96:97], v[100:101] neg_lo:[0,0,1] neg_hi:[0,0,1]
	v_mov_b32_e32 v97, v103
	scratch_store_b64 off, v[96:97], off offset:368
.LBB110_199:
	s_wait_xcnt 0x0
	s_or_b32 exec_lo, exec_lo, s0
	s_mov_b32 s1, -1
	s_wait_storecnt 0x0
	s_barrier_signal -1
	s_barrier_wait -1
.LBB110_200:
	s_and_b32 vcc_lo, exec_lo, s1
	s_cbranch_vccz .LBB110_202
; %bb.201:
	v_mov_b32_e32 v1, 0
	s_lshl_b64 s[0:1], s[10:11], 2
	s_delay_alu instid0(SALU_CYCLE_1)
	s_add_nc_u64 s[0:1], s[6:7], s[0:1]
	global_load_b32 v1, v1, s[0:1]
	s_wait_loadcnt 0x0
	v_cmp_ne_u32_e32 vcc_lo, 0, v1
	s_cbranch_vccz .LBB110_203
.LBB110_202:
	s_sendmsg sendmsg(MSG_DEALLOC_VGPRS)
	s_endpgm
.LBB110_203:
	s_wait_xcnt 0x0
	v_lshl_add_u32 v1, v0, 3, 0x180
	s_mov_b32 s0, exec_lo
	v_cmpx_eq_u32_e32 46, v0
	s_cbranch_execz .LBB110_205
; %bb.204:
	scratch_load_b64 v[96:97], off, off offset:360
	v_mov_b64_e32 v[98:99], 0
	scratch_store_b64 off, v[98:99], off offset:360
	s_wait_loadcnt 0x0
	ds_store_b64 v1, v[96:97]
.LBB110_205:
	s_wait_xcnt 0x0
	s_or_b32 exec_lo, exec_lo, s0
	s_wait_storecnt_dscnt 0x0
	s_barrier_signal -1
	s_barrier_wait -1
	s_clause 0x1
	scratch_load_b64 v[96:97], off, off offset:368
	scratch_load_b64 v[98:99], off, off offset:360
	v_mov_b32_e32 v7, 0
	s_mov_b32 s0, exec_lo
	ds_load_b64 v[100:101], v7 offset:752
	s_wait_loadcnt_dscnt 0x100
	v_pk_mul_f32 v[102:103], v[100:101], v[96:97] op_sel:[1,1] op_sel_hi:[0,1]
	s_delay_alu instid0(VALU_DEP_1) | instskip(SKIP_1) | instid1(VALU_DEP_2)
	v_pk_fma_f32 v[104:105], v[100:101], v[96:97], v[102:103] op_sel_hi:[1,0,1]
	v_pk_fma_f32 v[96:97], v[100:101], v[96:97], v[102:103] neg_lo:[0,0,1] neg_hi:[0,0,1]
	v_mov_b32_e32 v97, v105
	s_delay_alu instid0(VALU_DEP_1) | instskip(SKIP_1) | instid1(VALU_DEP_1)
	v_pk_add_f32 v[96:97], v[96:97], 0 op_sel_hi:[1,0]
	s_wait_loadcnt 0x0
	v_pk_add_f32 v[96:97], v[98:99], v[96:97] neg_lo:[0,1] neg_hi:[0,1]
	scratch_store_b64 off, v[96:97], off offset:360
	s_wait_xcnt 0x0
	v_cmpx_lt_u32_e32 44, v0
	s_cbranch_execz .LBB110_207
; %bb.206:
	scratch_load_b64 v[96:97], off, off offset:352
	v_mov_b64_e32 v[98:99], 0
	scratch_store_b64 off, v[98:99], off offset:352
	s_wait_loadcnt 0x0
	ds_store_b64 v1, v[96:97]
.LBB110_207:
	s_wait_xcnt 0x0
	s_or_b32 exec_lo, exec_lo, s0
	s_wait_storecnt_dscnt 0x0
	s_barrier_signal -1
	s_barrier_wait -1
	s_clause 0x1
	scratch_load_b128 v[96:99], off, off offset:360
	scratch_load_b64 v[104:105], off, off offset:352
	ds_load_2addr_b64 v[100:103], v7 offset0:93 offset1:94
	s_mov_b32 s0, exec_lo
	s_wait_dscnt 0x0
	v_dual_mov_b32 v106, v103 :: v_dual_mov_b32 v107, v102
	s_wait_loadcnt 0x1
	v_pk_mul_f32 v[108:109], v[100:101], v[96:97] op_sel:[1,1] op_sel_hi:[0,1]
	s_delay_alu instid0(VALU_DEP_1) | instskip(SKIP_2) | instid1(VALU_DEP_3)
	v_pk_fma_f32 v[112:113], v[100:101], v[96:97], v[108:109] op_sel_hi:[1,0,1]
	v_mov_b32_e32 v110, v99
	v_pk_fma_f32 v[96:97], v[100:101], v[96:97], v[108:109] neg_lo:[0,0,1] neg_hi:[0,0,1]
	v_mov_b32_e32 v97, v113
	s_delay_alu instid0(VALU_DEP_3) | instskip(NEXT) | instid1(VALU_DEP_2)
	v_pk_mul_f32 v[106:107], v[106:107], v[110:111] op_sel_hi:[1,0]
	v_pk_add_f32 v[96:97], v[96:97], 0 op_sel_hi:[1,0]
	s_delay_alu instid0(VALU_DEP_2) | instskip(SKIP_1) | instid1(VALU_DEP_2)
	v_pk_fma_f32 v[100:101], v[102:103], v[98:99], v[106:107] op_sel_hi:[1,0,1]
	v_pk_fma_f32 v[98:99], v[102:103], v[98:99], v[106:107] neg_lo:[0,0,1] neg_hi:[0,0,1]
	v_mov_b32_e32 v99, v101
	s_delay_alu instid0(VALU_DEP_1) | instskip(SKIP_1) | instid1(VALU_DEP_1)
	v_pk_add_f32 v[96:97], v[96:97], v[98:99]
	s_wait_loadcnt 0x0
	v_pk_add_f32 v[96:97], v[104:105], v[96:97] neg_lo:[0,1] neg_hi:[0,1]
	scratch_store_b64 off, v[96:97], off offset:352
	s_wait_xcnt 0x0
	v_cmpx_lt_u32_e32 43, v0
	s_cbranch_execz .LBB110_209
; %bb.208:
	scratch_load_b64 v[96:97], off, off offset:344
	v_mov_b64_e32 v[98:99], 0
	scratch_store_b64 off, v[98:99], off offset:344
	s_wait_loadcnt 0x0
	ds_store_b64 v1, v[96:97]
.LBB110_209:
	s_wait_xcnt 0x0
	s_or_b32 exec_lo, exec_lo, s0
	s_wait_storecnt_dscnt 0x0
	s_barrier_signal -1
	s_barrier_wait -1
	s_clause 0x2
	scratch_load_b128 v[96:99], off, off offset:352
	scratch_load_b64 v[104:105], off, off offset:368
	scratch_load_b64 v[106:107], off, off offset:344
	v_mov_b32_e32 v7, 0
	ds_load_b128 v[100:103], v7 offset:736
	ds_load_b64 v[108:109], v7 offset:752
	s_mov_b32 s0, exec_lo
	s_wait_dscnt 0x1
	v_dual_mov_b32 v110, v103 :: v_dual_mov_b32 v111, v102
	s_wait_loadcnt 0x2
	v_mov_b32_e32 v114, v99
	v_pk_mul_f32 v[112:113], v[100:101], v[96:97] op_sel:[1,1] op_sel_hi:[0,1]
	s_delay_alu instid0(VALU_DEP_2) | instskip(NEXT) | instid1(VALU_DEP_2)
	v_pk_mul_f32 v[110:111], v[110:111], v[114:115] op_sel_hi:[1,0]
	v_pk_fma_f32 v[116:117], v[100:101], v[96:97], v[112:113] op_sel_hi:[1,0,1]
	v_pk_fma_f32 v[96:97], v[100:101], v[96:97], v[112:113] neg_lo:[0,0,1] neg_hi:[0,0,1]
	s_wait_loadcnt_dscnt 0x100
	v_pk_mul_f32 v[112:113], v[108:109], v[104:105] op_sel:[1,1] op_sel_hi:[0,1]
	v_pk_fma_f32 v[100:101], v[102:103], v[98:99], v[110:111] op_sel_hi:[1,0,1]
	v_mov_b32_e32 v97, v117
	v_pk_fma_f32 v[98:99], v[102:103], v[98:99], v[110:111] neg_lo:[0,0,1] neg_hi:[0,0,1]
	s_delay_alu instid0(VALU_DEP_4) | instskip(NEXT) | instid1(VALU_DEP_4)
	v_pk_fma_f32 v[102:103], v[108:109], v[104:105], v[112:113] neg_lo:[0,0,1] neg_hi:[0,0,1]
	v_mov_b32_e32 v99, v101
	s_delay_alu instid0(VALU_DEP_4) | instskip(SKIP_1) | instid1(VALU_DEP_2)
	v_pk_add_f32 v[96:97], v[96:97], 0 op_sel_hi:[1,0]
	v_pk_fma_f32 v[100:101], v[108:109], v[104:105], v[112:113] op_sel_hi:[1,0,1]
	v_pk_add_f32 v[96:97], v[96:97], v[98:99]
	s_delay_alu instid0(VALU_DEP_2) | instskip(NEXT) | instid1(VALU_DEP_1)
	v_mov_b32_e32 v103, v101
	v_pk_add_f32 v[96:97], v[96:97], v[102:103]
	s_wait_loadcnt 0x0
	s_delay_alu instid0(VALU_DEP_1)
	v_pk_add_f32 v[96:97], v[106:107], v[96:97] neg_lo:[0,1] neg_hi:[0,1]
	scratch_store_b64 off, v[96:97], off offset:344
	s_wait_xcnt 0x0
	v_cmpx_lt_u32_e32 42, v0
	s_cbranch_execz .LBB110_211
; %bb.210:
	scratch_load_b64 v[96:97], off, off offset:336
	v_mov_b64_e32 v[98:99], 0
	scratch_store_b64 off, v[98:99], off offset:336
	s_wait_loadcnt 0x0
	ds_store_b64 v1, v[96:97]
.LBB110_211:
	s_wait_xcnt 0x0
	s_or_b32 exec_lo, exec_lo, s0
	s_wait_storecnt_dscnt 0x0
	s_barrier_signal -1
	s_barrier_wait -1
	s_clause 0x2
	scratch_load_b128 v[96:99], off, off offset:344
	scratch_load_b128 v[100:103], off, off offset:360
	scratch_load_b64 v[112:113], off, off offset:336
	ds_load_2addr_b64 v[104:107], v7 offset0:91 offset1:92
	ds_load_2addr_b64 v[108:111], v7 offset0:93 offset1:94
	s_mov_b32 s0, exec_lo
	s_wait_dscnt 0x1
	v_dual_mov_b32 v114, v107 :: v_dual_mov_b32 v115, v106
	s_wait_loadcnt_dscnt 0x200
	v_dual_mov_b32 v120, v111 :: v_dual_mov_b32 v118, v99
	v_pk_mul_f32 v[116:117], v[104:105], v[96:97] op_sel:[1,1] op_sel_hi:[0,1]
	s_delay_alu instid0(VALU_DEP_2) | instskip(NEXT) | instid1(VALU_DEP_2)
	v_pk_mul_f32 v[114:115], v[114:115], v[118:119] op_sel_hi:[1,0]
	v_pk_fma_f32 v[122:123], v[104:105], v[96:97], v[116:117] op_sel_hi:[1,0,1]
	v_pk_fma_f32 v[96:97], v[104:105], v[96:97], v[116:117] neg_lo:[0,0,1] neg_hi:[0,0,1]
	v_mov_b32_e32 v121, v110
	s_wait_loadcnt 0x1
	v_pk_mul_f32 v[118:119], v[108:109], v[100:101] op_sel:[1,1] op_sel_hi:[0,1]
	v_pk_fma_f32 v[104:105], v[106:107], v[98:99], v[114:115] op_sel_hi:[1,0,1]
	v_dual_mov_b32 v97, v123 :: v_dual_mov_b32 v104, v103
	v_pk_fma_f32 v[98:99], v[106:107], v[98:99], v[114:115] neg_lo:[0,0,1] neg_hi:[0,0,1]
	s_delay_alu instid0(VALU_DEP_4) | instskip(NEXT) | instid1(VALU_DEP_4)
	v_pk_fma_f32 v[116:117], v[108:109], v[100:101], v[118:119] op_sel_hi:[1,0,1]
	v_mov_b32_e32 v99, v105
	s_delay_alu instid0(VALU_DEP_4) | instskip(SKIP_2) | instid1(VALU_DEP_3)
	v_pk_add_f32 v[96:97], v[96:97], 0 op_sel_hi:[1,0]
	v_pk_mul_f32 v[104:105], v[120:121], v[104:105] op_sel_hi:[1,0]
	v_pk_fma_f32 v[100:101], v[108:109], v[100:101], v[118:119] neg_lo:[0,0,1] neg_hi:[0,0,1]
	v_pk_add_f32 v[96:97], v[96:97], v[98:99]
	s_delay_alu instid0(VALU_DEP_3) | instskip(SKIP_2) | instid1(VALU_DEP_3)
	v_pk_fma_f32 v[98:99], v[110:111], v[102:103], v[104:105] op_sel_hi:[1,0,1]
	v_mov_b32_e32 v101, v117
	v_pk_fma_f32 v[102:103], v[110:111], v[102:103], v[104:105] neg_lo:[0,0,1] neg_hi:[0,0,1]
	v_mov_b32_e32 v103, v99
	s_delay_alu instid0(VALU_DEP_3) | instskip(NEXT) | instid1(VALU_DEP_1)
	v_pk_add_f32 v[96:97], v[96:97], v[100:101]
	v_pk_add_f32 v[96:97], v[96:97], v[102:103]
	s_wait_loadcnt 0x0
	s_delay_alu instid0(VALU_DEP_1)
	v_pk_add_f32 v[96:97], v[112:113], v[96:97] neg_lo:[0,1] neg_hi:[0,1]
	scratch_store_b64 off, v[96:97], off offset:336
	s_wait_xcnt 0x0
	v_cmpx_lt_u32_e32 41, v0
	s_cbranch_execz .LBB110_213
; %bb.212:
	scratch_load_b64 v[96:97], off, off offset:328
	v_mov_b64_e32 v[98:99], 0
	scratch_store_b64 off, v[98:99], off offset:328
	s_wait_loadcnt 0x0
	ds_store_b64 v1, v[96:97]
.LBB110_213:
	s_wait_xcnt 0x0
	s_or_b32 exec_lo, exec_lo, s0
	s_wait_storecnt_dscnt 0x0
	s_barrier_signal -1
	s_barrier_wait -1
	s_clause 0x3
	scratch_load_b128 v[96:99], off, off offset:336
	scratch_load_b128 v[100:103], off, off offset:352
	scratch_load_b64 v[112:113], off, off offset:368
	scratch_load_b64 v[114:115], off, off offset:328
	v_mov_b32_e32 v7, 0
	ds_load_b128 v[104:107], v7 offset:720
	ds_load_b128 v[108:111], v7 offset:736
	s_mov_b32 s0, exec_lo
	s_wait_dscnt 0x1
	v_dual_mov_b32 v116, v107 :: v_dual_mov_b32 v117, v106
	ds_load_b64 v[122:123], v7 offset:752
	s_wait_dscnt 0x1
	v_dual_mov_b32 v124, v111 :: v_dual_mov_b32 v125, v110
	s_wait_loadcnt 0x3
	v_pk_mul_f32 v[118:119], v[104:105], v[96:97] op_sel:[1,1] op_sel_hi:[0,1]
	v_mov_b32_e32 v120, v99
	s_delay_alu instid0(VALU_DEP_2) | instskip(NEXT) | instid1(VALU_DEP_2)
	v_pk_fma_f32 v[126:127], v[104:105], v[96:97], v[118:119] op_sel_hi:[1,0,1]
	v_pk_mul_f32 v[116:117], v[116:117], v[120:121] op_sel_hi:[1,0]
	v_pk_fma_f32 v[96:97], v[104:105], v[96:97], v[118:119] neg_lo:[0,0,1] neg_hi:[0,0,1]
	s_wait_loadcnt 0x2
	v_pk_mul_f32 v[120:121], v[108:109], v[100:101] op_sel:[1,1] op_sel_hi:[0,1]
	v_dual_mov_b32 v126, v103 :: v_dual_mov_b32 v97, v127
	v_pk_fma_f32 v[104:105], v[106:107], v[98:99], v[116:117] op_sel_hi:[1,0,1]
	v_pk_fma_f32 v[98:99], v[106:107], v[98:99], v[116:117] neg_lo:[0,0,1] neg_hi:[0,0,1]
	s_delay_alu instid0(VALU_DEP_4) | instskip(NEXT) | instid1(VALU_DEP_4)
	v_pk_fma_f32 v[118:119], v[108:109], v[100:101], v[120:121] op_sel_hi:[1,0,1]
	v_pk_mul_f32 v[124:125], v[124:125], v[126:127] op_sel_hi:[1,0]
	v_pk_add_f32 v[96:97], v[96:97], 0 op_sel_hi:[1,0]
	v_mov_b32_e32 v99, v105
	v_pk_fma_f32 v[100:101], v[108:109], v[100:101], v[120:121] neg_lo:[0,0,1] neg_hi:[0,0,1]
	v_mov_b32_e32 v101, v119
	v_pk_fma_f32 v[104:105], v[110:111], v[102:103], v[124:125] op_sel_hi:[1,0,1]
	v_pk_fma_f32 v[102:103], v[110:111], v[102:103], v[124:125] neg_lo:[0,0,1] neg_hi:[0,0,1]
	v_pk_add_f32 v[96:97], v[96:97], v[98:99]
	s_wait_loadcnt_dscnt 0x100
	v_pk_mul_f32 v[98:99], v[122:123], v[112:113] op_sel:[1,1] op_sel_hi:[0,1]
	s_delay_alu instid0(VALU_DEP_2) | instskip(NEXT) | instid1(VALU_DEP_2)
	v_pk_add_f32 v[96:97], v[96:97], v[100:101]
	v_pk_fma_f32 v[100:101], v[122:123], v[112:113], v[98:99] op_sel_hi:[1,0,1]
	v_mov_b32_e32 v103, v105
	v_pk_fma_f32 v[98:99], v[122:123], v[112:113], v[98:99] neg_lo:[0,0,1] neg_hi:[0,0,1]
	s_delay_alu instid0(VALU_DEP_3) | instskip(NEXT) | instid1(VALU_DEP_3)
	v_mov_b32_e32 v99, v101
	v_pk_add_f32 v[96:97], v[96:97], v[102:103]
	s_delay_alu instid0(VALU_DEP_1) | instskip(SKIP_1) | instid1(VALU_DEP_1)
	v_pk_add_f32 v[96:97], v[96:97], v[98:99]
	s_wait_loadcnt 0x0
	v_pk_add_f32 v[96:97], v[114:115], v[96:97] neg_lo:[0,1] neg_hi:[0,1]
	scratch_store_b64 off, v[96:97], off offset:328
	s_wait_xcnt 0x0
	v_cmpx_lt_u32_e32 40, v0
	s_cbranch_execz .LBB110_215
; %bb.214:
	scratch_load_b64 v[96:97], off, off offset:320
	v_mov_b64_e32 v[98:99], 0
	scratch_store_b64 off, v[98:99], off offset:320
	s_wait_loadcnt 0x0
	ds_store_b64 v1, v[96:97]
.LBB110_215:
	s_wait_xcnt 0x0
	s_or_b32 exec_lo, exec_lo, s0
	s_wait_storecnt_dscnt 0x0
	s_barrier_signal -1
	s_barrier_wait -1
	s_clause 0x3
	scratch_load_b128 v[96:99], off, off offset:328
	scratch_load_b128 v[100:103], off, off offset:344
	;; [unrolled: 1-line block ×3, first 2 shown]
	scratch_load_b64 v[120:121], off, off offset:320
	ds_load_2addr_b64 v[108:111], v7 offset0:89 offset1:90
	ds_load_2addr_b64 v[112:115], v7 offset0:91 offset1:92
	;; [unrolled: 1-line block ×3, first 2 shown]
	s_mov_b32 s0, exec_lo
	s_wait_dscnt 0x2
	v_dual_mov_b32 v122, v111 :: v_dual_mov_b32 v123, v110
	s_wait_dscnt 0x1
	v_dual_mov_b32 v124, v115 :: v_dual_mov_b32 v125, v114
	;; [unrolled: 2-line block ×3, first 2 shown]
	s_wait_loadcnt 0x3
	v_pk_mul_f32 v[126:127], v[108:109], v[96:97] op_sel:[1,1] op_sel_hi:[0,1]
	v_mov_b32_e32 v128, v99
	s_delay_alu instid0(VALU_DEP_2) | instskip(NEXT) | instid1(VALU_DEP_2)
	v_pk_fma_f32 v[132:133], v[108:109], v[96:97], v[126:127] op_sel_hi:[1,0,1]
	v_pk_mul_f32 v[122:123], v[122:123], v[128:129] op_sel_hi:[1,0]
	v_pk_fma_f32 v[96:97], v[108:109], v[96:97], v[126:127] neg_lo:[0,0,1] neg_hi:[0,0,1]
	s_wait_loadcnt 0x2
	v_pk_mul_f32 v[128:129], v[112:113], v[100:101] op_sel:[1,1] op_sel_hi:[0,1]
	v_mov_b32_e32 v132, v103
	v_pk_fma_f32 v[108:109], v[110:111], v[98:99], v[122:123] op_sel_hi:[1,0,1]
	v_mov_b32_e32 v97, v133
	v_pk_fma_f32 v[98:99], v[110:111], v[98:99], v[122:123] neg_lo:[0,0,1] neg_hi:[0,0,1]
	v_pk_fma_f32 v[126:127], v[112:113], v[100:101], v[128:129] op_sel_hi:[1,0,1]
	v_pk_mul_f32 v[124:125], v[124:125], v[132:133] op_sel_hi:[1,0]
	v_mov_b32_e32 v99, v109
	v_pk_add_f32 v[96:97], v[96:97], 0 op_sel_hi:[1,0]
	v_pk_fma_f32 v[100:101], v[112:113], v[100:101], v[128:129] neg_lo:[0,0,1] neg_hi:[0,0,1]
	s_wait_loadcnt 0x1
	v_pk_mul_f32 v[108:109], v[116:117], v[104:105] op_sel:[1,1] op_sel_hi:[0,1]
	v_mov_b32_e32 v101, v127
	v_pk_fma_f32 v[110:111], v[114:115], v[102:103], v[124:125] op_sel_hi:[1,0,1]
	v_pk_add_f32 v[96:97], v[96:97], v[98:99]
	v_mov_b32_e32 v98, v107
	v_pk_fma_f32 v[102:103], v[114:115], v[102:103], v[124:125] neg_lo:[0,0,1] neg_hi:[0,0,1]
	v_pk_fma_f32 v[112:113], v[116:117], v[104:105], v[108:109] op_sel_hi:[1,0,1]
	v_mov_b32_e32 v103, v111
	v_pk_add_f32 v[96:97], v[96:97], v[100:101]
	v_pk_mul_f32 v[98:99], v[130:131], v[98:99] op_sel_hi:[1,0]
	v_pk_fma_f32 v[100:101], v[116:117], v[104:105], v[108:109] neg_lo:[0,0,1] neg_hi:[0,0,1]
	v_mov_b32_e32 v101, v113
	s_delay_alu instid0(VALU_DEP_4) | instskip(NEXT) | instid1(VALU_DEP_4)
	v_pk_add_f32 v[96:97], v[96:97], v[102:103]
	v_pk_fma_f32 v[102:103], v[118:119], v[106:107], v[98:99] op_sel_hi:[1,0,1]
	v_pk_fma_f32 v[98:99], v[118:119], v[106:107], v[98:99] neg_lo:[0,0,1] neg_hi:[0,0,1]
	s_delay_alu instid0(VALU_DEP_3) | instskip(NEXT) | instid1(VALU_DEP_3)
	v_pk_add_f32 v[96:97], v[96:97], v[100:101]
	v_mov_b32_e32 v99, v103
	s_delay_alu instid0(VALU_DEP_1) | instskip(SKIP_1) | instid1(VALU_DEP_1)
	v_pk_add_f32 v[96:97], v[96:97], v[98:99]
	s_wait_loadcnt 0x0
	v_pk_add_f32 v[96:97], v[120:121], v[96:97] neg_lo:[0,1] neg_hi:[0,1]
	scratch_store_b64 off, v[96:97], off offset:320
	s_wait_xcnt 0x0
	v_cmpx_lt_u32_e32 39, v0
	s_cbranch_execz .LBB110_217
; %bb.216:
	scratch_load_b64 v[96:97], off, off offset:312
	v_mov_b64_e32 v[98:99], 0
	scratch_store_b64 off, v[98:99], off offset:312
	s_wait_loadcnt 0x0
	ds_store_b64 v1, v[96:97]
.LBB110_217:
	s_wait_xcnt 0x0
	s_or_b32 exec_lo, exec_lo, s0
	s_wait_storecnt_dscnt 0x0
	s_barrier_signal -1
	s_barrier_wait -1
	s_clause 0x4
	scratch_load_b128 v[96:99], off, off offset:320
	scratch_load_b128 v[100:103], off, off offset:336
	;; [unrolled: 1-line block ×3, first 2 shown]
	scratch_load_b64 v[120:121], off, off offset:368
	scratch_load_b64 v[122:123], off, off offset:312
	v_mov_b32_e32 v7, 0
	ds_load_b128 v[108:111], v7 offset:704
	ds_load_b128 v[112:115], v7 offset:720
	ds_load_b128 v[116:119], v7 offset:736
	ds_load_b64 v[124:125], v7 offset:752
	s_mov_b32 s0, exec_lo
	s_wait_dscnt 0x3
	v_dual_mov_b32 v126, v111 :: v_dual_mov_b32 v127, v110
	s_wait_dscnt 0x2
	v_dual_mov_b32 v128, v115 :: v_dual_mov_b32 v129, v114
	;; [unrolled: 2-line block ×3, first 2 shown]
	s_wait_loadcnt 0x4
	v_pk_mul_f32 v[130:131], v[108:109], v[96:97] op_sel:[1,1] op_sel_hi:[0,1]
	v_mov_b32_e32 v132, v99
	s_wait_loadcnt 0x3
	v_pk_mul_f32 v[136:137], v[112:113], v[100:101] op_sel:[1,1] op_sel_hi:[0,1]
	s_wait_loadcnt 0x2
	v_pk_mul_f32 v[140:141], v[116:117], v[104:105] op_sel:[1,1] op_sel_hi:[0,1]
	v_pk_fma_f32 v[138:139], v[108:109], v[96:97], v[130:131] op_sel_hi:[1,0,1]
	v_pk_mul_f32 v[126:127], v[126:127], v[132:133] op_sel_hi:[1,0]
	v_pk_fma_f32 v[96:97], v[108:109], v[96:97], v[130:131] neg_lo:[0,0,1] neg_hi:[0,0,1]
	v_mov_b32_e32 v132, v103
	v_pk_fma_f32 v[130:131], v[112:113], v[100:101], v[136:137] op_sel_hi:[1,0,1]
	v_mov_b32_e32 v97, v139
	v_pk_fma_f32 v[108:109], v[110:111], v[98:99], v[126:127] op_sel_hi:[1,0,1]
	v_pk_fma_f32 v[98:99], v[110:111], v[98:99], v[126:127] neg_lo:[0,0,1] neg_hi:[0,0,1]
	v_pk_mul_f32 v[128:129], v[128:129], v[132:133] op_sel_hi:[1,0]
	v_pk_fma_f32 v[100:101], v[112:113], v[100:101], v[136:137] neg_lo:[0,0,1] neg_hi:[0,0,1]
	v_pk_add_f32 v[96:97], v[96:97], 0 op_sel_hi:[1,0]
	v_dual_mov_b32 v99, v109 :: v_dual_mov_b32 v108, v107
	s_delay_alu instid0(VALU_DEP_4) | instskip(SKIP_2) | instid1(VALU_DEP_4)
	v_pk_fma_f32 v[110:111], v[114:115], v[102:103], v[128:129] op_sel_hi:[1,0,1]
	v_mov_b32_e32 v101, v131
	v_pk_fma_f32 v[102:103], v[114:115], v[102:103], v[128:129] neg_lo:[0,0,1] neg_hi:[0,0,1]
	v_pk_add_f32 v[96:97], v[96:97], v[98:99]
	v_pk_fma_f32 v[98:99], v[116:117], v[104:105], v[140:141] op_sel_hi:[1,0,1]
	v_pk_mul_f32 v[108:109], v[134:135], v[108:109] op_sel_hi:[1,0]
	v_mov_b32_e32 v103, v111
	s_delay_alu instid0(VALU_DEP_4)
	v_pk_add_f32 v[96:97], v[96:97], v[100:101]
	v_pk_fma_f32 v[100:101], v[116:117], v[104:105], v[140:141] neg_lo:[0,0,1] neg_hi:[0,0,1]
	v_mov_b32_e32 v101, v99
	v_pk_fma_f32 v[98:99], v[118:119], v[106:107], v[108:109] op_sel_hi:[1,0,1]
	v_pk_fma_f32 v[104:105], v[118:119], v[106:107], v[108:109] neg_lo:[0,0,1] neg_hi:[0,0,1]
	v_pk_add_f32 v[96:97], v[96:97], v[102:103]
	s_wait_loadcnt_dscnt 0x100
	v_pk_mul_f32 v[102:103], v[124:125], v[120:121] op_sel:[1,1] op_sel_hi:[0,1]
	v_mov_b32_e32 v105, v99
	s_delay_alu instid0(VALU_DEP_3) | instskip(NEXT) | instid1(VALU_DEP_3)
	v_pk_add_f32 v[96:97], v[96:97], v[100:101]
	v_pk_fma_f32 v[98:99], v[124:125], v[120:121], v[102:103] op_sel_hi:[1,0,1]
	v_pk_fma_f32 v[100:101], v[124:125], v[120:121], v[102:103] neg_lo:[0,0,1] neg_hi:[0,0,1]
	s_delay_alu instid0(VALU_DEP_3) | instskip(NEXT) | instid1(VALU_DEP_3)
	v_pk_add_f32 v[96:97], v[96:97], v[104:105]
	v_mov_b32_e32 v101, v99
	s_delay_alu instid0(VALU_DEP_1) | instskip(SKIP_1) | instid1(VALU_DEP_1)
	v_pk_add_f32 v[96:97], v[96:97], v[100:101]
	s_wait_loadcnt 0x0
	v_pk_add_f32 v[96:97], v[122:123], v[96:97] neg_lo:[0,1] neg_hi:[0,1]
	scratch_store_b64 off, v[96:97], off offset:312
	s_wait_xcnt 0x0
	v_cmpx_lt_u32_e32 38, v0
	s_cbranch_execz .LBB110_219
; %bb.218:
	scratch_load_b64 v[96:97], off, off offset:304
	v_mov_b64_e32 v[98:99], 0
	scratch_store_b64 off, v[98:99], off offset:304
	s_wait_loadcnt 0x0
	ds_store_b64 v1, v[96:97]
.LBB110_219:
	s_wait_xcnt 0x0
	s_or_b32 exec_lo, exec_lo, s0
	s_wait_storecnt_dscnt 0x0
	s_barrier_signal -1
	s_barrier_wait -1
	s_clause 0x4
	scratch_load_b128 v[96:99], off, off offset:312
	scratch_load_b128 v[100:103], off, off offset:328
	;; [unrolled: 1-line block ×4, first 2 shown]
	scratch_load_b64 v[128:129], off, off offset:304
	ds_load_2addr_b64 v[112:115], v7 offset0:87 offset1:88
	ds_load_2addr_b64 v[116:119], v7 offset0:89 offset1:90
	;; [unrolled: 1-line block ×4, first 2 shown]
	s_mov_b32 s0, exec_lo
	s_wait_dscnt 0x3
	v_dual_mov_b32 v130, v115 :: v_dual_mov_b32 v131, v114
	s_wait_dscnt 0x2
	v_dual_mov_b32 v132, v119 :: v_dual_mov_b32 v133, v118
	;; [unrolled: 2-line block ×3, first 2 shown]
	v_dual_mov_b32 v135, v122 :: v_dual_mov_b32 v140, v127
	s_wait_loadcnt 0x4
	v_mov_b32_e32 v138, v99
	v_pk_mul_f32 v[136:137], v[112:113], v[96:97] op_sel:[1,1] op_sel_hi:[0,1]
	s_wait_loadcnt 0x3
	v_pk_mul_f32 v[142:143], v[116:117], v[100:101] op_sel:[1,1] op_sel_hi:[0,1]
	s_wait_loadcnt 0x2
	v_pk_mul_f32 v[146:147], v[120:121], v[104:105] op_sel:[1,1] op_sel_hi:[0,1]
	v_pk_mul_f32 v[130:131], v[130:131], v[138:139] op_sel_hi:[1,0]
	v_pk_fma_f32 v[144:145], v[112:113], v[96:97], v[136:137] op_sel_hi:[1,0,1]
	v_pk_fma_f32 v[96:97], v[112:113], v[96:97], v[136:137] neg_lo:[0,0,1] neg_hi:[0,0,1]
	v_mov_b32_e32 v138, v103
	v_pk_fma_f32 v[136:137], v[116:117], v[100:101], v[142:143] op_sel_hi:[1,0,1]
	v_pk_fma_f32 v[112:113], v[114:115], v[98:99], v[130:131] op_sel_hi:[1,0,1]
	v_mov_b32_e32 v97, v145
	v_pk_fma_f32 v[98:99], v[114:115], v[98:99], v[130:131] neg_lo:[0,0,1] neg_hi:[0,0,1]
	v_pk_mul_f32 v[132:133], v[132:133], v[138:139] op_sel_hi:[1,0]
	s_delay_alu instid0(VALU_DEP_4) | instskip(NEXT) | instid1(VALU_DEP_4)
	v_dual_mov_b32 v112, v107 :: v_dual_mov_b32 v99, v113
	v_pk_add_f32 v[96:97], v[96:97], 0 op_sel_hi:[1,0]
	v_pk_fma_f32 v[100:101], v[116:117], v[100:101], v[142:143] neg_lo:[0,0,1] neg_hi:[0,0,1]
	v_mov_b32_e32 v101, v137
	v_pk_fma_f32 v[114:115], v[118:119], v[102:103], v[132:133] op_sel_hi:[1,0,1]
	v_pk_mul_f32 v[112:113], v[134:135], v[112:113] op_sel_hi:[1,0]
	v_pk_add_f32 v[96:97], v[96:97], v[98:99]
	v_pk_fma_f32 v[98:99], v[120:121], v[104:105], v[146:147] op_sel_hi:[1,0,1]
	v_pk_fma_f32 v[102:103], v[118:119], v[102:103], v[132:133] neg_lo:[0,0,1] neg_hi:[0,0,1]
	v_mov_b32_e32 v103, v115
	v_pk_fma_f32 v[104:105], v[120:121], v[104:105], v[146:147] neg_lo:[0,0,1] neg_hi:[0,0,1]
	v_pk_add_f32 v[96:97], v[96:97], v[100:101]
	v_mov_b32_e32 v105, v99
	v_pk_fma_f32 v[98:99], v[122:123], v[106:107], v[112:113] op_sel_hi:[1,0,1]
	s_wait_loadcnt 0x1
	v_pk_mul_f32 v[100:101], v[124:125], v[108:109] op_sel:[1,1] op_sel_hi:[0,1]
	v_mov_b32_e32 v98, v111
	v_pk_add_f32 v[96:97], v[96:97], v[102:103]
	v_pk_fma_f32 v[106:107], v[122:123], v[106:107], v[112:113] neg_lo:[0,0,1] neg_hi:[0,0,1]
	v_mov_b32_e32 v107, v99
	v_pk_fma_f32 v[102:103], v[124:125], v[108:109], v[100:101] op_sel_hi:[1,0,1]
	v_pk_mul_f32 v[98:99], v[140:141], v[98:99] op_sel_hi:[1,0]
	v_pk_add_f32 v[96:97], v[96:97], v[104:105]
	v_pk_fma_f32 v[100:101], v[124:125], v[108:109], v[100:101] neg_lo:[0,0,1] neg_hi:[0,0,1]
	s_delay_alu instid0(VALU_DEP_4) | instskip(NEXT) | instid1(VALU_DEP_4)
	v_mov_b32_e32 v101, v103
	v_pk_fma_f32 v[102:103], v[126:127], v[110:111], v[98:99] op_sel_hi:[1,0,1]
	s_delay_alu instid0(VALU_DEP_4) | instskip(SKIP_1) | instid1(VALU_DEP_3)
	v_pk_add_f32 v[96:97], v[96:97], v[106:107]
	v_pk_fma_f32 v[98:99], v[126:127], v[110:111], v[98:99] neg_lo:[0,0,1] neg_hi:[0,0,1]
	v_mov_b32_e32 v99, v103
	s_delay_alu instid0(VALU_DEP_3) | instskip(NEXT) | instid1(VALU_DEP_1)
	v_pk_add_f32 v[96:97], v[96:97], v[100:101]
	v_pk_add_f32 v[96:97], v[96:97], v[98:99]
	s_wait_loadcnt 0x0
	s_delay_alu instid0(VALU_DEP_1)
	v_pk_add_f32 v[96:97], v[128:129], v[96:97] neg_lo:[0,1] neg_hi:[0,1]
	scratch_store_b64 off, v[96:97], off offset:304
	s_wait_xcnt 0x0
	v_cmpx_lt_u32_e32 37, v0
	s_cbranch_execz .LBB110_221
; %bb.220:
	scratch_load_b64 v[96:97], off, off offset:296
	v_mov_b64_e32 v[98:99], 0
	scratch_store_b64 off, v[98:99], off offset:296
	s_wait_loadcnt 0x0
	ds_store_b64 v1, v[96:97]
.LBB110_221:
	s_wait_xcnt 0x0
	s_or_b32 exec_lo, exec_lo, s0
	s_wait_storecnt_dscnt 0x0
	s_barrier_signal -1
	s_barrier_wait -1
	s_clause 0x5
	scratch_load_b128 v[96:99], off, off offset:304
	scratch_load_b128 v[100:103], off, off offset:320
	;; [unrolled: 1-line block ×4, first 2 shown]
	scratch_load_b64 v[128:129], off, off offset:368
	scratch_load_b64 v[130:131], off, off offset:296
	v_mov_b32_e32 v7, 0
	ds_load_b128 v[112:115], v7 offset:688
	ds_load_b128 v[116:119], v7 offset:704
	;; [unrolled: 1-line block ×4, first 2 shown]
	ds_load_b64 v[132:133], v7 offset:752
	s_mov_b32 s0, exec_lo
	s_wait_dscnt 0x4
	v_dual_mov_b32 v134, v115 :: v_dual_mov_b32 v135, v114
	s_wait_dscnt 0x1
	v_dual_mov_b32 v136, v119 :: v_dual_mov_b32 v141, v126
	v_dual_mov_b32 v137, v118 :: v_dual_mov_b32 v138, v123
	;; [unrolled: 1-line block ×3, first 2 shown]
	s_wait_loadcnt 0x5
	v_dual_mov_b32 v142, v99 :: v_dual_mul_f32 v143, v112, v97
	v_mul_f32_e32 v9, v113, v97
	s_wait_loadcnt 0x4
	v_pk_mul_f32 v[144:145], v[116:117], v[100:101] op_sel:[1,1] op_sel_hi:[0,1]
	v_mov_b32_e32 v146, v103
	s_wait_loadcnt 0x3
	v_pk_mul_f32 v[148:149], v[120:121], v[104:105] op_sel:[1,1] op_sel_hi:[0,1]
	v_pk_mul_f32 v[134:135], v[134:135], v[142:143] op_sel_hi:[1,0]
	v_dual_fmac_f32 v143, v113, v96 :: v_dual_fma_f32 v142, v112, v96, -v9
	v_mov_b32_e32 v96, v107
	v_pk_fma_f32 v[150:151], v[116:117], v[100:101], v[144:145] op_sel_hi:[1,0,1]
	s_delay_alu instid0(VALU_DEP_4)
	v_pk_fma_f32 v[112:113], v[114:115], v[98:99], v[134:135] op_sel_hi:[1,0,1]
	v_pk_fma_f32 v[98:99], v[114:115], v[98:99], v[134:135] neg_lo:[0,0,1] neg_hi:[0,0,1]
	v_pk_mul_f32 v[136:137], v[136:137], v[146:147] op_sel_hi:[1,0]
	v_pk_add_f32 v[142:143], v[142:143], 0 op_sel_hi:[1,0]
	v_pk_fma_f32 v[100:101], v[116:117], v[100:101], v[144:145] neg_lo:[0,0,1] neg_hi:[0,0,1]
	v_dual_mov_b32 v99, v113 :: v_dual_mov_b32 v101, v151
	s_delay_alu instid0(VALU_DEP_4) | instskip(SKIP_2) | instid1(VALU_DEP_4)
	v_pk_fma_f32 v[114:115], v[118:119], v[102:103], v[136:137] op_sel_hi:[1,0,1]
	v_pk_fma_f32 v[102:103], v[118:119], v[102:103], v[136:137] neg_lo:[0,0,1] neg_hi:[0,0,1]
	v_pk_fma_f32 v[116:117], v[120:121], v[104:105], v[148:149] op_sel_hi:[1,0,1]
	v_pk_add_f32 v[98:99], v[142:143], v[98:99]
	v_pk_mul_f32 v[96:97], v[138:139], v[96:97] op_sel_hi:[1,0]
	v_mov_b32_e32 v103, v115
	v_pk_fma_f32 v[104:105], v[120:121], v[104:105], v[148:149] neg_lo:[0,0,1] neg_hi:[0,0,1]
	s_wait_loadcnt 0x2
	v_pk_mul_f32 v[112:113], v[124:125], v[108:109] op_sel:[1,1] op_sel_hi:[0,1]
	v_pk_add_f32 v[98:99], v[98:99], v[100:101]
	v_mov_b32_e32 v100, v111
	v_pk_fma_f32 v[114:115], v[122:123], v[106:107], v[96:97] op_sel_hi:[1,0,1]
	v_mov_b32_e32 v105, v117
	v_pk_fma_f32 v[96:97], v[122:123], v[106:107], v[96:97] neg_lo:[0,0,1] neg_hi:[0,0,1]
	v_pk_add_f32 v[98:99], v[98:99], v[102:103]
	v_pk_fma_f32 v[102:103], v[124:125], v[108:109], v[112:113] op_sel_hi:[1,0,1]
	v_pk_mul_f32 v[100:101], v[140:141], v[100:101] op_sel_hi:[1,0]
	v_mov_b32_e32 v97, v115
	s_delay_alu instid0(VALU_DEP_4)
	v_pk_add_f32 v[98:99], v[98:99], v[104:105]
	v_pk_fma_f32 v[104:105], v[124:125], v[108:109], v[112:113] neg_lo:[0,0,1] neg_hi:[0,0,1]
	v_mov_b32_e32 v105, v103
	v_pk_fma_f32 v[102:103], v[126:127], v[110:111], v[100:101] op_sel_hi:[1,0,1]
	v_pk_fma_f32 v[100:101], v[126:127], v[110:111], v[100:101] neg_lo:[0,0,1] neg_hi:[0,0,1]
	v_pk_add_f32 v[96:97], v[98:99], v[96:97]
	s_wait_loadcnt_dscnt 0x100
	v_pk_mul_f32 v[98:99], v[132:133], v[128:129] op_sel:[1,1] op_sel_hi:[0,1]
	v_mov_b32_e32 v101, v103
	s_delay_alu instid0(VALU_DEP_3) | instskip(NEXT) | instid1(VALU_DEP_3)
	v_pk_add_f32 v[96:97], v[96:97], v[104:105]
	v_pk_fma_f32 v[102:103], v[132:133], v[128:129], v[98:99] op_sel_hi:[1,0,1]
	v_pk_fma_f32 v[98:99], v[132:133], v[128:129], v[98:99] neg_lo:[0,0,1] neg_hi:[0,0,1]
	s_delay_alu instid0(VALU_DEP_3) | instskip(NEXT) | instid1(VALU_DEP_3)
	v_pk_add_f32 v[96:97], v[96:97], v[100:101]
	v_mov_b32_e32 v99, v103
	s_delay_alu instid0(VALU_DEP_1) | instskip(SKIP_1) | instid1(VALU_DEP_1)
	v_pk_add_f32 v[96:97], v[96:97], v[98:99]
	s_wait_loadcnt 0x0
	v_pk_add_f32 v[96:97], v[130:131], v[96:97] neg_lo:[0,1] neg_hi:[0,1]
	scratch_store_b64 off, v[96:97], off offset:296
	s_wait_xcnt 0x0
	v_cmpx_lt_u32_e32 36, v0
	s_cbranch_execz .LBB110_223
; %bb.222:
	scratch_load_b64 v[96:97], off, off offset:288
	v_mov_b64_e32 v[98:99], 0
	scratch_store_b64 off, v[98:99], off offset:288
	s_wait_loadcnt 0x0
	ds_store_b64 v1, v[96:97]
.LBB110_223:
	s_wait_xcnt 0x0
	s_or_b32 exec_lo, exec_lo, s0
	s_wait_storecnt_dscnt 0x0
	s_barrier_signal -1
	s_barrier_wait -1
	s_clause 0x5
	scratch_load_b128 v[96:99], off, off offset:296
	scratch_load_b128 v[100:103], off, off offset:312
	;; [unrolled: 1-line block ×5, first 2 shown]
	scratch_load_b64 v[136:137], off, off offset:288
	ds_load_2addr_b64 v[116:119], v7 offset0:87 offset1:88
	ds_load_2addr_b64 v[120:123], v7 offset0:89 offset1:90
	ds_load_2addr_b64 v[124:127], v7 offset0:91 offset1:92
	ds_load_2addr_b64 v[128:131], v7 offset0:93 offset1:94
	ds_load_2addr_b64 v[132:135], v7 offset0:85 offset1:86
	s_mov_b32 s0, exec_lo
	s_wait_dscnt 0x4
	v_dual_mov_b32 v138, v119 :: v_dual_mov_b32 v139, v118
	s_wait_dscnt 0x3
	v_dual_mov_b32 v140, v123 :: v_dual_mov_b32 v141, v122
	;; [unrolled: 2-line block ×4, first 2 shown]
	s_wait_loadcnt_dscnt 0x500
	v_dual_mul_f32 v147, v132, v97 :: v_dual_mul_f32 v149, v134, v99
	v_dual_mul_f32 v7, v133, v97 :: v_dual_mul_f32 v9, v135, v99
	s_wait_loadcnt 0x4
	v_pk_mul_f32 v[150:151], v[116:117], v[100:101] op_sel:[1,1] op_sel_hi:[0,1]
	s_wait_loadcnt 0x3
	v_dual_mov_b32 v152, v103 :: v_dual_mov_b32 v156, v107
	v_dual_fmac_f32 v147, v133, v96 :: v_dual_fmac_f32 v149, v135, v98
	v_dual_fma_f32 v146, v132, v96, -v7 :: v_dual_fma_f32 v148, v134, v98, -v9
	v_pk_fma_f32 v[96:97], v[116:117], v[100:101], v[150:151] op_sel_hi:[1,0,1]
	s_delay_alu instid0(VALU_DEP_4) | instskip(SKIP_1) | instid1(VALU_DEP_4)
	v_pk_mul_f32 v[98:99], v[138:139], v[152:153] op_sel_hi:[1,0]
	v_pk_fma_f32 v[100:101], v[116:117], v[100:101], v[150:151] neg_lo:[0,0,1] neg_hi:[0,0,1]
	v_pk_add_f32 v[132:133], v[146:147], 0 op_sel_hi:[1,0]
	v_pk_mul_f32 v[154:155], v[120:121], v[104:105] op_sel:[1,1] op_sel_hi:[0,1]
	v_mov_b32_e32 v101, v97
	v_pk_fma_f32 v[96:97], v[118:119], v[102:103], v[98:99] op_sel_hi:[1,0,1]
	v_pk_fma_f32 v[98:99], v[118:119], v[102:103], v[98:99] neg_lo:[0,0,1] neg_hi:[0,0,1]
	v_pk_add_f32 v[116:117], v[132:133], v[148:149]
	v_pk_fma_f32 v[132:133], v[120:121], v[104:105], v[154:155] op_sel_hi:[1,0,1]
	v_pk_mul_f32 v[138:139], v[140:141], v[156:157] op_sel_hi:[1,0]
	v_mov_b32_e32 v99, v97
	s_wait_loadcnt 0x2
	v_pk_mul_f32 v[134:135], v[124:125], v[108:109] op_sel:[1,1] op_sel_hi:[0,1]
	v_pk_add_f32 v[96:97], v[116:117], v[100:101]
	v_mov_b32_e32 v100, v111
	v_pk_fma_f32 v[102:103], v[120:121], v[104:105], v[154:155] neg_lo:[0,0,1] neg_hi:[0,0,1]
	v_mov_b32_e32 v103, v133
	v_pk_fma_f32 v[104:105], v[122:123], v[106:107], v[138:139] op_sel_hi:[1,0,1]
	v_pk_add_f32 v[96:97], v[96:97], v[98:99]
	v_pk_fma_f32 v[98:99], v[124:125], v[108:109], v[134:135] op_sel_hi:[1,0,1]
	v_pk_mul_f32 v[100:101], v[142:143], v[100:101] op_sel_hi:[1,0]
	v_pk_fma_f32 v[106:107], v[122:123], v[106:107], v[138:139] neg_lo:[0,0,1] neg_hi:[0,0,1]
	v_mov_b32_e32 v107, v105
	v_pk_add_f32 v[96:97], v[96:97], v[102:103]
	v_pk_fma_f32 v[104:105], v[124:125], v[108:109], v[134:135] neg_lo:[0,0,1] neg_hi:[0,0,1]
	v_mov_b32_e32 v105, v99
	v_pk_fma_f32 v[98:99], v[126:127], v[110:111], v[100:101] op_sel_hi:[1,0,1]
	s_wait_loadcnt 0x1
	v_pk_mul_f32 v[102:103], v[128:129], v[112:113] op_sel:[1,1] op_sel_hi:[0,1]
	v_pk_add_f32 v[96:97], v[96:97], v[106:107]
	v_mov_b32_e32 v98, v115
	v_pk_fma_f32 v[100:101], v[126:127], v[110:111], v[100:101] neg_lo:[0,0,1] neg_hi:[0,0,1]
	v_mov_b32_e32 v101, v99
	v_pk_fma_f32 v[106:107], v[128:129], v[112:113], v[102:103] op_sel_hi:[1,0,1]
	v_pk_add_f32 v[96:97], v[96:97], v[104:105]
	v_pk_mul_f32 v[98:99], v[144:145], v[98:99] op_sel_hi:[1,0]
	v_pk_fma_f32 v[102:103], v[128:129], v[112:113], v[102:103] neg_lo:[0,0,1] neg_hi:[0,0,1]
	s_delay_alu instid0(VALU_DEP_3) | instskip(NEXT) | instid1(VALU_DEP_3)
	v_pk_add_f32 v[96:97], v[96:97], v[100:101]
	v_pk_fma_f32 v[100:101], v[130:131], v[114:115], v[98:99] op_sel_hi:[1,0,1]
	v_mov_b32_e32 v103, v107
	v_pk_fma_f32 v[98:99], v[130:131], v[114:115], v[98:99] neg_lo:[0,0,1] neg_hi:[0,0,1]
	s_delay_alu instid0(VALU_DEP_3) | instskip(NEXT) | instid1(VALU_DEP_3)
	v_mov_b32_e32 v99, v101
	v_pk_add_f32 v[96:97], v[96:97], v[102:103]
	s_delay_alu instid0(VALU_DEP_1) | instskip(SKIP_1) | instid1(VALU_DEP_1)
	v_pk_add_f32 v[96:97], v[96:97], v[98:99]
	s_wait_loadcnt 0x0
	v_pk_add_f32 v[96:97], v[136:137], v[96:97] neg_lo:[0,1] neg_hi:[0,1]
	scratch_store_b64 off, v[96:97], off offset:288
	s_wait_xcnt 0x0
	v_cmpx_lt_u32_e32 35, v0
	s_cbranch_execz .LBB110_225
; %bb.224:
	scratch_load_b64 v[96:97], off, off offset:280
	v_mov_b64_e32 v[98:99], 0
	scratch_store_b64 off, v[98:99], off offset:280
	s_wait_loadcnt 0x0
	ds_store_b64 v1, v[96:97]
.LBB110_225:
	s_wait_xcnt 0x0
	s_or_b32 exec_lo, exec_lo, s0
	s_wait_storecnt_dscnt 0x0
	s_barrier_signal -1
	s_barrier_wait -1
	s_clause 0x6
	scratch_load_b128 v[96:99], off, off offset:288
	scratch_load_b128 v[100:103], off, off offset:304
	;; [unrolled: 1-line block ×5, first 2 shown]
	scratch_load_b64 v[136:137], off, off offset:368
	scratch_load_b64 v[138:139], off, off offset:280
	v_mov_b32_e32 v7, 0
	ds_load_b128 v[116:119], v7 offset:688
	ds_load_b128 v[120:123], v7 offset:704
	;; [unrolled: 1-line block ×5, first 2 shown]
	ds_load_b64 v[140:141], v7 offset:752
	s_mov_b32 s0, exec_lo
	s_wait_dscnt 0x5
	v_dual_mov_b32 v142, v119 :: v_dual_mov_b32 v143, v118
	s_wait_dscnt 0x2
	v_dual_mov_b32 v144, v123 :: v_dual_mov_b32 v149, v130
	v_dual_mov_b32 v145, v122 :: v_dual_mov_b32 v146, v127
	;; [unrolled: 1-line block ×3, first 2 shown]
	s_wait_loadcnt_dscnt 0x601
	v_dual_mul_f32 v9, v132, v97 :: v_dual_mul_f32 v11, v133, v97
	v_dual_mul_f32 v13, v135, v99 :: v_dual_mul_f32 v151, v134, v99
	s_wait_loadcnt 0x5
	v_dual_mul_f32 v153, v116, v101 :: v_dual_mul_f32 v15, v117, v101
	s_wait_loadcnt 0x4
	v_dual_mov_b32 v152, v103 :: v_dual_mov_b32 v156, v107
	v_dual_fmac_f32 v9, v133, v96 :: v_dual_fma_f32 v11, v132, v96, -v11
	v_dual_fma_f32 v150, v134, v98, -v13 :: v_dual_fmac_f32 v151, v135, v98
	s_delay_alu instid0(VALU_DEP_3) | instskip(NEXT) | instid1(VALU_DEP_3)
	v_pk_mul_f32 v[96:97], v[142:143], v[152:153] op_sel_hi:[1,0]
	v_dual_add_f32 v99, 0, v9 :: v_dual_add_f32 v98, 0, v11
	s_wait_loadcnt 0x3
	v_mov_b32_e32 v132, v111
	v_pk_mul_f32 v[154:155], v[120:121], v[104:105] op_sel:[1,1] op_sel_hi:[0,1]
	v_dual_fmac_f32 v153, v117, v100 :: v_dual_fma_f32 v152, v116, v100, -v15
	v_pk_fma_f32 v[100:101], v[118:119], v[102:103], v[96:97] op_sel_hi:[1,0,1]
	v_pk_add_f32 v[98:99], v[98:99], v[150:151]
	v_pk_fma_f32 v[96:97], v[118:119], v[102:103], v[96:97] neg_lo:[0,0,1] neg_hi:[0,0,1]
	v_pk_fma_f32 v[116:117], v[120:121], v[104:105], v[154:155] op_sel_hi:[1,0,1]
	v_pk_mul_f32 v[134:135], v[144:145], v[156:157] op_sel_hi:[1,0]
	v_mov_b32_e32 v97, v101
	v_pk_add_f32 v[98:99], v[98:99], v[152:153]
	v_pk_fma_f32 v[102:103], v[120:121], v[104:105], v[154:155] neg_lo:[0,0,1] neg_hi:[0,0,1]
	v_pk_mul_f32 v[158:159], v[124:125], v[108:109] op_sel:[1,1] op_sel_hi:[0,1]
	v_mov_b32_e32 v103, v117
	v_pk_fma_f32 v[104:105], v[122:123], v[106:107], v[134:135] op_sel_hi:[1,0,1]
	v_pk_add_f32 v[96:97], v[98:99], v[96:97]
	v_pk_fma_f32 v[106:107], v[122:123], v[106:107], v[134:135] neg_lo:[0,0,1] neg_hi:[0,0,1]
	v_pk_fma_f32 v[98:99], v[124:125], v[108:109], v[158:159] op_sel_hi:[1,0,1]
	v_pk_mul_f32 v[116:117], v[146:147], v[132:133] op_sel_hi:[1,0]
	s_wait_loadcnt 0x2
	v_dual_mov_b32 v107, v105 :: v_dual_mov_b32 v98, v115
	v_pk_add_f32 v[96:97], v[96:97], v[102:103]
	v_pk_fma_f32 v[102:103], v[124:125], v[108:109], v[158:159] neg_lo:[0,0,1] neg_hi:[0,0,1]
	v_pk_mul_f32 v[100:101], v[128:129], v[112:113] op_sel:[1,1] op_sel_hi:[0,1]
	v_pk_fma_f32 v[104:105], v[126:127], v[110:111], v[116:117] op_sel_hi:[1,0,1]
	v_mov_b32_e32 v103, v99
	v_pk_add_f32 v[96:97], v[96:97], v[106:107]
	v_pk_fma_f32 v[108:109], v[126:127], v[110:111], v[116:117] neg_lo:[0,0,1] neg_hi:[0,0,1]
	v_pk_fma_f32 v[106:107], v[128:129], v[112:113], v[100:101] op_sel_hi:[1,0,1]
	v_pk_mul_f32 v[98:99], v[148:149], v[98:99] op_sel_hi:[1,0]
	v_mov_b32_e32 v109, v105
	v_pk_add_f32 v[96:97], v[96:97], v[102:103]
	v_pk_fma_f32 v[100:101], v[128:129], v[112:113], v[100:101] neg_lo:[0,0,1] neg_hi:[0,0,1]
	s_wait_loadcnt_dscnt 0x100
	v_pk_mul_f32 v[104:105], v[140:141], v[136:137] op_sel:[1,1] op_sel_hi:[0,1]
	v_pk_fma_f32 v[102:103], v[130:131], v[114:115], v[98:99] op_sel_hi:[1,0,1]
	v_mov_b32_e32 v101, v107
	v_pk_add_f32 v[96:97], v[96:97], v[108:109]
	v_pk_fma_f32 v[98:99], v[130:131], v[114:115], v[98:99] neg_lo:[0,0,1] neg_hi:[0,0,1]
	s_delay_alu instid0(VALU_DEP_4) | instskip(SKIP_1) | instid1(VALU_DEP_4)
	v_mov_b32_e32 v99, v103
	v_pk_fma_f32 v[102:103], v[140:141], v[136:137], v[104:105] neg_lo:[0,0,1] neg_hi:[0,0,1]
	v_pk_add_f32 v[96:97], v[96:97], v[100:101]
	v_pk_fma_f32 v[100:101], v[140:141], v[136:137], v[104:105] op_sel_hi:[1,0,1]
	s_delay_alu instid0(VALU_DEP_2) | instskip(NEXT) | instid1(VALU_DEP_2)
	v_pk_add_f32 v[96:97], v[96:97], v[98:99]
	v_mov_b32_e32 v103, v101
	s_delay_alu instid0(VALU_DEP_1) | instskip(SKIP_1) | instid1(VALU_DEP_1)
	v_pk_add_f32 v[96:97], v[96:97], v[102:103]
	s_wait_loadcnt 0x0
	v_pk_add_f32 v[96:97], v[138:139], v[96:97] neg_lo:[0,1] neg_hi:[0,1]
	scratch_store_b64 off, v[96:97], off offset:280
	s_wait_xcnt 0x0
	v_cmpx_lt_u32_e32 34, v0
	s_cbranch_execz .LBB110_227
; %bb.226:
	scratch_load_b64 v[96:97], off, off offset:272
	v_mov_b64_e32 v[98:99], 0
	scratch_store_b64 off, v[98:99], off offset:272
	s_wait_loadcnt 0x0
	ds_store_b64 v1, v[96:97]
.LBB110_227:
	s_wait_xcnt 0x0
	s_or_b32 exec_lo, exec_lo, s0
	s_wait_storecnt_dscnt 0x0
	s_barrier_signal -1
	s_barrier_wait -1
	s_clause 0x6
	scratch_load_b128 v[96:99], off, off offset:280
	scratch_load_b128 v[100:103], off, off offset:296
	;; [unrolled: 1-line block ×6, first 2 shown]
	scratch_load_b64 v[144:145], off, off offset:272
	ds_load_2addr_b64 v[120:123], v7 offset0:87 offset1:88
	ds_load_2addr_b64 v[124:127], v7 offset0:89 offset1:90
	;; [unrolled: 1-line block ×6, first 2 shown]
	s_mov_b32 s0, exec_lo
	s_wait_dscnt 0x5
	v_dual_mov_b32 v146, v123 :: v_dual_mov_b32 v147, v122
	s_wait_dscnt 0x4
	v_dual_mov_b32 v148, v127 :: v_dual_mov_b32 v149, v126
	;; [unrolled: 2-line block ×4, first 2 shown]
	s_wait_loadcnt_dscnt 0x601
	v_dual_mul_f32 v7, v136, v97 :: v_dual_mul_f32 v9, v138, v99
	v_dual_mul_f32 v11, v137, v97 :: v_dual_mul_f32 v13, v139, v99
	s_wait_loadcnt 0x4
	s_delay_alu instid0(VALU_DEP_2)
	v_dual_mov_b32 v160, v107 :: v_dual_fmac_f32 v7, v137, v96
	s_wait_dscnt 0x0
	v_dual_mul_f32 v155, v140, v101 :: v_dual_mul_f32 v157, v142, v103
	v_dual_fma_f32 v11, v136, v96, -v11 :: v_dual_fmac_f32 v9, v139, v98
	v_dual_mul_f32 v15, v141, v101 :: v_dual_mul_f32 v17, v143, v103
	v_dual_fma_f32 v13, v138, v98, -v13 :: v_dual_add_f32 v7, 0, v7
	s_wait_loadcnt 0x3
	s_delay_alu instid0(VALU_DEP_3) | instskip(SKIP_3) | instid1(VALU_DEP_4)
	v_dual_add_f32 v11, 0, v11 :: v_dual_mov_b32 v98, v111
	v_pk_mul_f32 v[158:159], v[120:121], v[104:105] op_sel:[1,1] op_sel_hi:[0,1]
	v_pk_mul_f32 v[96:97], v[124:125], v[108:109] op_sel:[1,1] op_sel_hi:[0,1]
	v_dual_fmac_f32 v155, v141, v100 :: v_dual_add_f32 v101, v7, v9
	v_dual_fma_f32 v154, v140, v100, -v15 :: v_dual_add_f32 v100, v11, v13
	v_fmac_f32_e32 v157, v143, v102
	v_fma_f32 v156, v142, v102, -v17
	v_pk_fma_f32 v[102:103], v[120:121], v[104:105], v[158:159] op_sel_hi:[1,0,1]
	v_pk_mul_f32 v[136:137], v[146:147], v[160:161] op_sel_hi:[1,0]
	v_pk_add_f32 v[100:101], v[100:101], v[154:155]
	v_pk_fma_f32 v[104:105], v[120:121], v[104:105], v[158:159] neg_lo:[0,0,1] neg_hi:[0,0,1]
	v_pk_fma_f32 v[120:121], v[124:125], v[108:109], v[96:97] op_sel_hi:[1,0,1]
	v_pk_fma_f32 v[96:97], v[124:125], v[108:109], v[96:97] neg_lo:[0,0,1] neg_hi:[0,0,1]
	v_mov_b32_e32 v105, v103
	v_pk_fma_f32 v[102:103], v[122:123], v[106:107], v[136:137] op_sel_hi:[1,0,1]
	v_pk_fma_f32 v[106:107], v[122:123], v[106:107], v[136:137] neg_lo:[0,0,1] neg_hi:[0,0,1]
	v_mov_b32_e32 v97, v121
	v_pk_add_f32 v[100:101], v[100:101], v[156:157]
	v_pk_mul_f32 v[98:99], v[148:149], v[98:99] op_sel_hi:[1,0]
	s_wait_loadcnt 0x2
	v_dual_mov_b32 v107, v103 :: v_dual_mov_b32 v102, v115
	v_pk_mul_f32 v[138:139], v[128:129], v[112:113] op_sel:[1,1] op_sel_hi:[0,1]
	v_pk_add_f32 v[100:101], v[100:101], v[104:105]
	v_pk_fma_f32 v[104:105], v[126:127], v[110:111], v[98:99] op_sel_hi:[1,0,1]
	v_pk_fma_f32 v[98:99], v[126:127], v[110:111], v[98:99] neg_lo:[0,0,1] neg_hi:[0,0,1]
	v_pk_mul_f32 v[102:103], v[150:151], v[102:103] op_sel_hi:[1,0]
	s_delay_alu instid0(VALU_DEP_4) | instskip(SKIP_3) | instid1(VALU_DEP_4)
	v_pk_add_f32 v[100:101], v[100:101], v[106:107]
	v_pk_fma_f32 v[106:107], v[128:129], v[112:113], v[138:139] op_sel_hi:[1,0,1]
	v_mov_b32_e32 v99, v105
	v_pk_fma_f32 v[104:105], v[128:129], v[112:113], v[138:139] neg_lo:[0,0,1] neg_hi:[0,0,1]
	v_pk_add_f32 v[96:97], v[100:101], v[96:97]
	s_wait_loadcnt 0x1
	v_pk_mul_f32 v[100:101], v[132:133], v[116:117] op_sel:[1,1] op_sel_hi:[0,1]
	v_mov_b32_e32 v105, v107
	v_pk_fma_f32 v[106:107], v[130:131], v[114:115], v[102:103] op_sel_hi:[1,0,1]
	v_pk_fma_f32 v[102:103], v[130:131], v[114:115], v[102:103] neg_lo:[0,0,1] neg_hi:[0,0,1]
	v_pk_add_f32 v[96:97], v[96:97], v[98:99]
	v_mov_b32_e32 v98, v119
	v_pk_fma_f32 v[108:109], v[132:133], v[116:117], v[100:101] op_sel_hi:[1,0,1]
	v_mov_b32_e32 v103, v107
	v_pk_fma_f32 v[100:101], v[132:133], v[116:117], v[100:101] neg_lo:[0,0,1] neg_hi:[0,0,1]
	v_pk_add_f32 v[96:97], v[96:97], v[104:105]
	v_pk_mul_f32 v[98:99], v[152:153], v[98:99] op_sel_hi:[1,0]
	s_delay_alu instid0(VALU_DEP_2) | instskip(NEXT) | instid1(VALU_DEP_2)
	v_pk_add_f32 v[96:97], v[96:97], v[102:103]
	v_pk_fma_f32 v[102:103], v[134:135], v[118:119], v[98:99] op_sel_hi:[1,0,1]
	v_mov_b32_e32 v101, v109
	v_pk_fma_f32 v[98:99], v[134:135], v[118:119], v[98:99] neg_lo:[0,0,1] neg_hi:[0,0,1]
	s_delay_alu instid0(VALU_DEP_3) | instskip(NEXT) | instid1(VALU_DEP_3)
	v_mov_b32_e32 v99, v103
	v_pk_add_f32 v[96:97], v[96:97], v[100:101]
	s_delay_alu instid0(VALU_DEP_1) | instskip(SKIP_1) | instid1(VALU_DEP_1)
	v_pk_add_f32 v[96:97], v[96:97], v[98:99]
	s_wait_loadcnt 0x0
	v_pk_add_f32 v[96:97], v[144:145], v[96:97] neg_lo:[0,1] neg_hi:[0,1]
	scratch_store_b64 off, v[96:97], off offset:272
	s_wait_xcnt 0x0
	v_cmpx_lt_u32_e32 33, v0
	s_cbranch_execz .LBB110_229
; %bb.228:
	scratch_load_b64 v[96:97], off, off offset:264
	v_mov_b64_e32 v[98:99], 0
	scratch_store_b64 off, v[98:99], off offset:264
	s_wait_loadcnt 0x0
	ds_store_b64 v1, v[96:97]
.LBB110_229:
	s_wait_xcnt 0x0
	s_or_b32 exec_lo, exec_lo, s0
	s_wait_storecnt_dscnt 0x0
	s_barrier_signal -1
	s_barrier_wait -1
	s_clause 0x7
	scratch_load_b128 v[96:99], off, off offset:272
	scratch_load_b128 v[100:103], off, off offset:288
	scratch_load_b128 v[104:107], off, off offset:304
	scratch_load_b128 v[108:111], off, off offset:320
	scratch_load_b128 v[112:115], off, off offset:336
	scratch_load_b128 v[116:119], off, off offset:352
	scratch_load_b64 v[144:145], off, off offset:368
	scratch_load_b64 v[146:147], off, off offset:264
	v_mov_b32_e32 v7, 0
	ds_load_b128 v[120:123], v7 offset:688
	ds_load_b128 v[124:127], v7 offset:704
	;; [unrolled: 1-line block ×6, first 2 shown]
	ds_load_b64 v[148:149], v7 offset:752
	s_mov_b32 s0, exec_lo
	s_wait_dscnt 0x6
	v_dual_mov_b32 v150, v123 :: v_dual_mov_b32 v151, v122
	s_wait_dscnt 0x3
	v_dual_mov_b32 v152, v127 :: v_dual_mov_b32 v157, v134
	v_dual_mov_b32 v153, v126 :: v_dual_mov_b32 v154, v131
	v_dual_mov_b32 v155, v130 :: v_dual_mov_b32 v156, v135
	s_wait_loadcnt_dscnt 0x702
	v_dual_mul_f32 v9, v136, v97 :: v_dual_mul_f32 v15, v137, v97
	v_dual_mul_f32 v17, v139, v99 :: v_dual_mul_f32 v11, v138, v99
	s_wait_loadcnt_dscnt 0x601
	s_delay_alu instid0(VALU_DEP_2) | instskip(NEXT) | instid1(VALU_DEP_3)
	v_dual_mul_f32 v13, v140, v101 :: v_dual_fmac_f32 v9, v137, v96
	v_dual_fma_f32 v15, v136, v96, -v15 :: v_dual_mul_f32 v19, v141, v101
	v_mul_f32_e32 v21, v143, v103
	s_wait_loadcnt 0x4
	v_dual_mov_b32 v96, v111 :: v_dual_fma_f32 v17, v138, v98, -v17
	v_dual_fmac_f32 v11, v139, v98 :: v_dual_add_f32 v9, 0, v9
	v_dual_add_f32 v15, 0, v15 :: v_dual_fmac_f32 v13, v141, v100
	v_dual_mul_f32 v159, v142, v103 :: v_dual_mul_f32 v161, v120, v105
	v_dual_mul_f32 v23, v121, v105 :: v_dual_mov_b32 v160, v107
	s_delay_alu instid0(VALU_DEP_4) | instskip(NEXT) | instid1(VALU_DEP_4)
	v_dual_fma_f32 v19, v140, v100, -v19 :: v_dual_add_f32 v9, v9, v11
	v_dual_add_f32 v11, v15, v17 :: v_dual_fma_f32 v158, v142, v102, -v21
	s_delay_alu instid0(VALU_DEP_4) | instskip(NEXT) | instid1(VALU_DEP_4)
	v_fmac_f32_e32 v159, v143, v102
	v_pk_mul_f32 v[100:101], v[150:151], v[160:161] op_sel_hi:[1,0]
	s_delay_alu instid0(VALU_DEP_3)
	v_dual_add_f32 v103, v9, v13 :: v_dual_add_f32 v102, v11, v19
	v_fmac_f32_e32 v161, v121, v104
	v_pk_mul_f32 v[162:163], v[124:125], v[108:109] op_sel:[1,1] op_sel_hi:[0,1]
	s_wait_loadcnt 0x3
	v_dual_mov_b32 v136, v115 :: v_dual_fma_f32 v160, v120, v104, -v23
	v_pk_fma_f32 v[104:105], v[122:123], v[106:107], v[100:101] op_sel_hi:[1,0,1]
	v_pk_add_f32 v[102:103], v[102:103], v[158:159]
	v_pk_fma_f32 v[100:101], v[122:123], v[106:107], v[100:101] neg_lo:[0,0,1] neg_hi:[0,0,1]
	v_pk_fma_f32 v[120:121], v[124:125], v[108:109], v[162:163] op_sel_hi:[1,0,1]
	v_pk_mul_f32 v[96:97], v[152:153], v[96:97] op_sel_hi:[1,0]
	v_mov_b32_e32 v101, v105
	v_pk_add_f32 v[102:103], v[102:103], v[160:161]
	v_pk_fma_f32 v[106:107], v[124:125], v[108:109], v[162:163] neg_lo:[0,0,1] neg_hi:[0,0,1]
	v_pk_mul_f32 v[98:99], v[128:129], v[112:113] op_sel:[1,1] op_sel_hi:[0,1]
	v_mov_b32_e32 v107, v121
	v_pk_fma_f32 v[108:109], v[126:127], v[110:111], v[96:97] op_sel_hi:[1,0,1]
	v_pk_add_f32 v[100:101], v[102:103], v[100:101]
	v_pk_fma_f32 v[96:97], v[126:127], v[110:111], v[96:97] neg_lo:[0,0,1] neg_hi:[0,0,1]
	v_pk_fma_f32 v[102:103], v[128:129], v[112:113], v[98:99] op_sel_hi:[1,0,1]
	v_pk_mul_f32 v[120:121], v[154:155], v[136:137] op_sel_hi:[1,0]
	s_wait_loadcnt 0x2
	v_dual_mov_b32 v97, v109 :: v_dual_mov_b32 v102, v119
	v_pk_add_f32 v[100:101], v[100:101], v[106:107]
	v_pk_fma_f32 v[98:99], v[128:129], v[112:113], v[98:99] neg_lo:[0,0,1] neg_hi:[0,0,1]
	v_pk_mul_f32 v[104:105], v[132:133], v[116:117] op_sel:[1,1] op_sel_hi:[0,1]
	v_pk_fma_f32 v[106:107], v[130:131], v[114:115], v[120:121] op_sel_hi:[1,0,1]
	v_mov_b32_e32 v99, v103
	v_pk_add_f32 v[96:97], v[100:101], v[96:97]
	v_pk_fma_f32 v[108:109], v[130:131], v[114:115], v[120:121] neg_lo:[0,0,1] neg_hi:[0,0,1]
	v_pk_fma_f32 v[100:101], v[132:133], v[116:117], v[104:105] op_sel_hi:[1,0,1]
	v_pk_mul_f32 v[102:103], v[156:157], v[102:103] op_sel_hi:[1,0]
	v_mov_b32_e32 v109, v107
	v_pk_add_f32 v[96:97], v[96:97], v[98:99]
	v_pk_fma_f32 v[98:99], v[132:133], v[116:117], v[104:105] neg_lo:[0,0,1] neg_hi:[0,0,1]
	v_mov_b32_e32 v99, v101
	v_pk_fma_f32 v[100:101], v[134:135], v[118:119], v[102:103] op_sel_hi:[1,0,1]
	s_wait_loadcnt_dscnt 0x100
	v_pk_mul_f32 v[104:105], v[148:149], v[144:145] op_sel:[1,1] op_sel_hi:[0,1]
	v_pk_add_f32 v[96:97], v[96:97], v[108:109]
	v_pk_fma_f32 v[102:103], v[134:135], v[118:119], v[102:103] neg_lo:[0,0,1] neg_hi:[0,0,1]
	v_mov_b32_e32 v103, v101
	s_delay_alu instid0(VALU_DEP_4) | instskip(NEXT) | instid1(VALU_DEP_4)
	v_pk_fma_f32 v[100:101], v[148:149], v[144:145], v[104:105] neg_lo:[0,0,1] neg_hi:[0,0,1]
	v_pk_add_f32 v[96:97], v[96:97], v[98:99]
	v_pk_fma_f32 v[98:99], v[148:149], v[144:145], v[104:105] op_sel_hi:[1,0,1]
	s_delay_alu instid0(VALU_DEP_2) | instskip(NEXT) | instid1(VALU_DEP_2)
	v_pk_add_f32 v[96:97], v[96:97], v[102:103]
	v_mov_b32_e32 v101, v99
	s_delay_alu instid0(VALU_DEP_1) | instskip(SKIP_1) | instid1(VALU_DEP_1)
	v_pk_add_f32 v[96:97], v[96:97], v[100:101]
	s_wait_loadcnt 0x0
	v_pk_add_f32 v[96:97], v[146:147], v[96:97] neg_lo:[0,1] neg_hi:[0,1]
	scratch_store_b64 off, v[96:97], off offset:264
	s_wait_xcnt 0x0
	v_cmpx_lt_u32_e32 32, v0
	s_cbranch_execz .LBB110_231
; %bb.230:
	scratch_load_b64 v[96:97], off, off offset:256
	v_mov_b64_e32 v[98:99], 0
	scratch_store_b64 off, v[98:99], off offset:256
	s_wait_loadcnt 0x0
	ds_store_b64 v1, v[96:97]
.LBB110_231:
	s_wait_xcnt 0x0
	s_or_b32 exec_lo, exec_lo, s0
	s_wait_storecnt_dscnt 0x0
	s_barrier_signal -1
	s_barrier_wait -1
	s_clause 0x7
	scratch_load_b128 v[96:99], off, off offset:264
	scratch_load_b128 v[100:103], off, off offset:280
	;; [unrolled: 1-line block ×7, first 2 shown]
	scratch_load_b64 v[152:153], off, off offset:256
	ds_load_2addr_b64 v[124:127], v7 offset0:87 offset1:88
	ds_load_2addr_b64 v[128:131], v7 offset0:89 offset1:90
	ds_load_2addr_b64 v[132:135], v7 offset0:91 offset1:92
	ds_load_2addr_b64 v[136:139], v7 offset0:93 offset1:94
	ds_load_2addr_b64 v[140:143], v7 offset0:81 offset1:82
	ds_load_2addr_b64 v[144:147], v7 offset0:83 offset1:84
	ds_load_2addr_b64 v[148:151], v7 offset0:85 offset1:86
	s_mov_b32 s0, exec_lo
	s_wait_dscnt 0x6
	v_dual_mov_b32 v154, v127 :: v_dual_mov_b32 v155, v126
	s_wait_dscnt 0x5
	v_dual_mov_b32 v156, v131 :: v_dual_mov_b32 v157, v130
	;; [unrolled: 2-line block ×4, first 2 shown]
	s_wait_loadcnt_dscnt 0x702
	v_dual_mul_f32 v7, v140, v97 :: v_dual_mul_f32 v9, v142, v99
	v_dual_mul_f32 v15, v141, v97 :: v_dual_mul_f32 v17, v143, v99
	s_wait_loadcnt_dscnt 0x601
	v_dual_mul_f32 v11, v144, v101 :: v_dual_mul_f32 v13, v146, v103
	s_delay_alu instid0(VALU_DEP_3) | instskip(NEXT) | instid1(VALU_DEP_3)
	v_dual_fmac_f32 v7, v141, v96 :: v_dual_fmac_f32 v9, v143, v98
	v_dual_fma_f32 v15, v140, v96, -v15 :: v_dual_fma_f32 v17, v142, v98, -v17
	v_dual_mul_f32 v19, v145, v101 :: v_dual_mul_f32 v21, v147, v103
	s_wait_loadcnt 0x4
	s_delay_alu instid0(VALU_DEP_3) | instskip(NEXT) | instid1(VALU_DEP_3)
	v_dual_add_f32 v7, 0, v7 :: v_dual_mov_b32 v98, v111
	v_dual_add_f32 v15, 0, v15 :: v_dual_fmac_f32 v11, v145, v100
	s_delay_alu instid0(VALU_DEP_2) | instskip(SKIP_2) | instid1(VALU_DEP_3)
	v_dual_fma_f32 v19, v144, v100, -v19 :: v_dual_add_f32 v7, v7, v9
	s_wait_dscnt 0x0
	v_dual_mul_f32 v163, v148, v105 :: v_dual_mul_f32 v165, v150, v107
	v_dual_add_f32 v9, v15, v17 :: v_dual_fma_f32 v15, v146, v102, -v21
	v_dual_mul_f32 v23, v149, v105 :: v_dual_mul_f32 v25, v151, v107
	s_delay_alu instid0(VALU_DEP_2) | instskip(NEXT) | instid1(VALU_DEP_4)
	v_dual_fmac_f32 v13, v147, v102 :: v_dual_add_f32 v9, v9, v19
	v_dual_add_f32 v7, v7, v11 :: v_dual_fmac_f32 v163, v149, v104
	v_pk_mul_f32 v[96:97], v[124:125], v[108:109] op_sel:[1,1] op_sel_hi:[0,1]
	s_wait_loadcnt 0x3
	v_pk_mul_f32 v[100:101], v[128:129], v[112:113] op_sel:[1,1] op_sel_hi:[0,1]
	v_dual_mov_b32 v102, v115 :: v_dual_fma_f32 v162, v148, v104, -v23
	v_dual_add_f32 v105, v7, v13 :: v_dual_add_f32 v104, v9, v15
	v_fmac_f32_e32 v165, v151, v106
	v_fma_f32 v164, v150, v106, -v25
	v_pk_fma_f32 v[106:107], v[124:125], v[108:109], v[96:97] op_sel_hi:[1,0,1]
	v_pk_mul_f32 v[98:99], v[154:155], v[98:99] op_sel_hi:[1,0]
	v_pk_add_f32 v[104:105], v[104:105], v[162:163]
	v_pk_fma_f32 v[96:97], v[124:125], v[108:109], v[96:97] neg_lo:[0,0,1] neg_hi:[0,0,1]
	v_pk_fma_f32 v[108:109], v[128:129], v[112:113], v[100:101] op_sel_hi:[1,0,1]
	v_pk_fma_f32 v[100:101], v[128:129], v[112:113], v[100:101] neg_lo:[0,0,1] neg_hi:[0,0,1]
	v_mov_b32_e32 v97, v107
	v_pk_fma_f32 v[106:107], v[126:127], v[110:111], v[98:99] op_sel_hi:[1,0,1]
	v_pk_fma_f32 v[98:99], v[126:127], v[110:111], v[98:99] neg_lo:[0,0,1] neg_hi:[0,0,1]
	v_mov_b32_e32 v101, v109
	v_pk_add_f32 v[104:105], v[104:105], v[164:165]
	v_pk_mul_f32 v[102:103], v[156:157], v[102:103] op_sel_hi:[1,0]
	v_mov_b32_e32 v99, v107
	s_wait_loadcnt 0x2
	v_pk_mul_f32 v[140:141], v[132:133], v[116:117] op_sel:[1,1] op_sel_hi:[0,1]
	v_pk_add_f32 v[96:97], v[104:105], v[96:97]
	v_mov_b32_e32 v104, v119
	v_pk_fma_f32 v[106:107], v[130:131], v[114:115], v[102:103] op_sel_hi:[1,0,1]
	v_pk_fma_f32 v[102:103], v[130:131], v[114:115], v[102:103] neg_lo:[0,0,1] neg_hi:[0,0,1]
	s_delay_alu instid0(VALU_DEP_4)
	v_pk_add_f32 v[96:97], v[96:97], v[98:99]
	v_pk_fma_f32 v[98:99], v[132:133], v[116:117], v[140:141] op_sel_hi:[1,0,1]
	v_pk_mul_f32 v[104:105], v[158:159], v[104:105] op_sel_hi:[1,0]
	v_mov_b32_e32 v103, v107
	v_pk_fma_f32 v[106:107], v[132:133], v[116:117], v[140:141] neg_lo:[0,0,1] neg_hi:[0,0,1]
	v_pk_add_f32 v[96:97], v[96:97], v[100:101]
	v_mov_b32_e32 v107, v99
	v_pk_fma_f32 v[98:99], v[134:135], v[118:119], v[104:105] op_sel_hi:[1,0,1]
	s_wait_loadcnt 0x1
	v_pk_mul_f32 v[100:101], v[136:137], v[120:121] op_sel:[1,1] op_sel_hi:[0,1]
	v_mov_b32_e32 v98, v123
	v_pk_add_f32 v[96:97], v[96:97], v[102:103]
	v_pk_fma_f32 v[104:105], v[134:135], v[118:119], v[104:105] neg_lo:[0,0,1] neg_hi:[0,0,1]
	v_mov_b32_e32 v105, v99
	v_pk_fma_f32 v[102:103], v[136:137], v[120:121], v[100:101] op_sel_hi:[1,0,1]
	v_pk_mul_f32 v[98:99], v[160:161], v[98:99] op_sel_hi:[1,0]
	v_pk_add_f32 v[96:97], v[96:97], v[106:107]
	v_pk_fma_f32 v[100:101], v[136:137], v[120:121], v[100:101] neg_lo:[0,0,1] neg_hi:[0,0,1]
	s_delay_alu instid0(VALU_DEP_4) | instskip(NEXT) | instid1(VALU_DEP_4)
	v_mov_b32_e32 v101, v103
	v_pk_fma_f32 v[102:103], v[138:139], v[122:123], v[98:99] op_sel_hi:[1,0,1]
	s_delay_alu instid0(VALU_DEP_4) | instskip(SKIP_1) | instid1(VALU_DEP_3)
	v_pk_add_f32 v[96:97], v[96:97], v[104:105]
	v_pk_fma_f32 v[98:99], v[138:139], v[122:123], v[98:99] neg_lo:[0,0,1] neg_hi:[0,0,1]
	v_mov_b32_e32 v99, v103
	s_delay_alu instid0(VALU_DEP_3) | instskip(NEXT) | instid1(VALU_DEP_1)
	v_pk_add_f32 v[96:97], v[96:97], v[100:101]
	v_pk_add_f32 v[96:97], v[96:97], v[98:99]
	s_wait_loadcnt 0x0
	s_delay_alu instid0(VALU_DEP_1)
	v_pk_add_f32 v[96:97], v[152:153], v[96:97] neg_lo:[0,1] neg_hi:[0,1]
	scratch_store_b64 off, v[96:97], off offset:256
	s_wait_xcnt 0x0
	v_cmpx_lt_u32_e32 31, v0
	s_cbranch_execz .LBB110_233
; %bb.232:
	scratch_load_b64 v[96:97], off, off offset:248
	v_mov_b64_e32 v[98:99], 0
	scratch_store_b64 off, v[98:99], off offset:248
	s_wait_loadcnt 0x0
	ds_store_b64 v1, v[96:97]
.LBB110_233:
	s_wait_xcnt 0x0
	s_or_b32 exec_lo, exec_lo, s0
	s_wait_storecnt_dscnt 0x0
	s_barrier_signal -1
	s_barrier_wait -1
	s_clause 0x8
	scratch_load_b128 v[96:99], off, off offset:256
	scratch_load_b128 v[100:103], off, off offset:272
	;; [unrolled: 1-line block ×7, first 2 shown]
	scratch_load_b64 v[152:153], off, off offset:368
	scratch_load_b64 v[154:155], off, off offset:248
	v_mov_b32_e32 v7, 0
	ds_load_b128 v[124:127], v7 offset:688
	ds_load_b128 v[128:131], v7 offset:704
	;; [unrolled: 1-line block ×7, first 2 shown]
	ds_load_b64 v[156:157], v7 offset:752
	s_mov_b32 s0, exec_lo
	s_wait_dscnt 0x7
	v_dual_mov_b32 v158, v127 :: v_dual_mov_b32 v159, v126
	s_wait_dscnt 0x4
	v_dual_mov_b32 v160, v131 :: v_dual_mov_b32 v165, v138
	v_dual_mov_b32 v161, v130 :: v_dual_mov_b32 v162, v135
	v_dual_mov_b32 v163, v134 :: v_dual_mov_b32 v164, v139
	s_wait_loadcnt_dscnt 0x803
	v_dual_mul_f32 v9, v140, v97 :: v_dual_mul_f32 v19, v141, v97
	v_dual_mul_f32 v21, v143, v99 :: v_dual_mul_f32 v11, v142, v99
	s_wait_loadcnt_dscnt 0x702
	v_mul_f32_e32 v13, v144, v101
	s_wait_loadcnt 0x5
	v_dual_mul_f32 v31, v125, v109 :: v_dual_fma_f32 v19, v140, v96, -v19
	v_dual_fmac_f32 v9, v141, v96 :: v_dual_mov_b32 v96, v111
	v_dual_mul_f32 v23, v145, v101 :: v_dual_mul_f32 v25, v147, v103
	v_dual_fmac_f32 v11, v143, v98 :: v_dual_fma_f32 v21, v142, v98, -v21
	s_delay_alu instid0(VALU_DEP_3) | instskip(SKIP_3) | instid1(VALU_DEP_3)
	v_dual_add_f32 v9, 0, v9 :: v_dual_add_f32 v19, 0, v19
	s_wait_dscnt 0x1
	v_dual_mul_f32 v15, v146, v103 :: v_dual_mul_f32 v17, v148, v105
	v_dual_fmac_f32 v13, v145, v100 :: v_dual_fma_f32 v23, v144, v100, -v23
	v_dual_add_f32 v9, v9, v11 :: v_dual_add_f32 v11, v19, v21
	v_dual_mul_f32 v27, v149, v105 :: v_dual_mul_f32 v29, v151, v107
	s_wait_loadcnt 0x4
	v_dual_mov_b32 v100, v115 :: v_dual_fma_f32 v19, v146, v102, -v25
	s_delay_alu instid0(VALU_DEP_3) | instskip(SKIP_2) | instid1(VALU_DEP_3)
	v_dual_fmac_f32 v15, v147, v102 :: v_dual_add_f32 v9, v9, v13
	v_dual_add_f32 v11, v11, v23 :: v_dual_fmac_f32 v17, v149, v104
	v_dual_mul_f32 v167, v150, v107 :: v_dual_mul_f32 v169, v124, v109
	v_dual_fma_f32 v13, v148, v104, -v27 :: v_dual_add_f32 v9, v9, v15
	s_delay_alu instid0(VALU_DEP_3) | instskip(NEXT) | instid1(VALU_DEP_3)
	v_dual_add_f32 v11, v11, v19 :: v_dual_fma_f32 v166, v150, v106, -v29
	v_fmac_f32_e32 v167, v151, v106
	v_pk_mul_f32 v[96:97], v[158:159], v[96:97] op_sel_hi:[1,0]
	s_delay_alu instid0(VALU_DEP_4) | instskip(NEXT) | instid1(VALU_DEP_4)
	v_add_f32_e32 v105, v9, v17
	v_dual_add_f32 v104, v11, v13 :: v_dual_fmac_f32 v169, v125, v108
	v_pk_mul_f32 v[98:99], v[128:129], v[112:113] op_sel:[1,1] op_sel_hi:[0,1]
	s_wait_loadcnt 0x3
	v_dual_mov_b32 v106, v119 :: v_dual_fma_f32 v168, v124, v108, -v31
	v_pk_fma_f32 v[108:109], v[126:127], v[110:111], v[96:97] op_sel_hi:[1,0,1]
	v_pk_add_f32 v[104:105], v[104:105], v[166:167]
	v_pk_fma_f32 v[96:97], v[126:127], v[110:111], v[96:97] neg_lo:[0,0,1] neg_hi:[0,0,1]
	v_pk_fma_f32 v[124:125], v[128:129], v[112:113], v[98:99] op_sel_hi:[1,0,1]
	v_pk_mul_f32 v[100:101], v[160:161], v[100:101] op_sel_hi:[1,0]
	v_mov_b32_e32 v97, v109
	v_pk_add_f32 v[104:105], v[104:105], v[168:169]
	v_pk_fma_f32 v[98:99], v[128:129], v[112:113], v[98:99] neg_lo:[0,0,1] neg_hi:[0,0,1]
	v_pk_mul_f32 v[102:103], v[132:133], v[116:117] op_sel:[1,1] op_sel_hi:[0,1]
	v_mov_b32_e32 v99, v125
	v_pk_fma_f32 v[110:111], v[130:131], v[114:115], v[100:101] op_sel_hi:[1,0,1]
	v_pk_add_f32 v[96:97], v[104:105], v[96:97]
	v_pk_fma_f32 v[100:101], v[130:131], v[114:115], v[100:101] neg_lo:[0,0,1] neg_hi:[0,0,1]
	v_pk_fma_f32 v[104:105], v[132:133], v[116:117], v[102:103] op_sel_hi:[1,0,1]
	v_pk_mul_f32 v[106:107], v[162:163], v[106:107] op_sel_hi:[1,0]
	v_mov_b32_e32 v101, v111
	v_pk_add_f32 v[96:97], v[96:97], v[98:99]
	v_pk_fma_f32 v[102:103], v[132:133], v[116:117], v[102:103] neg_lo:[0,0,1] neg_hi:[0,0,1]
	s_wait_loadcnt 0x2
	v_pk_mul_f32 v[108:109], v[136:137], v[120:121] op_sel:[1,1] op_sel_hi:[0,1]
	v_dual_mov_b32 v98, v123 :: v_dual_mov_b32 v103, v105
	v_pk_fma_f32 v[104:105], v[134:135], v[118:119], v[106:107] op_sel_hi:[1,0,1]
	v_pk_add_f32 v[96:97], v[96:97], v[100:101]
	v_pk_fma_f32 v[106:107], v[134:135], v[118:119], v[106:107] neg_lo:[0,0,1] neg_hi:[0,0,1]
	v_pk_fma_f32 v[100:101], v[136:137], v[120:121], v[108:109] op_sel_hi:[1,0,1]
	v_pk_mul_f32 v[98:99], v[164:165], v[98:99] op_sel_hi:[1,0]
	v_mov_b32_e32 v107, v105
	v_pk_add_f32 v[96:97], v[96:97], v[102:103]
	v_pk_fma_f32 v[102:103], v[136:137], v[120:121], v[108:109] neg_lo:[0,0,1] neg_hi:[0,0,1]
	v_mov_b32_e32 v103, v101
	v_pk_fma_f32 v[100:101], v[138:139], v[122:123], v[98:99] op_sel_hi:[1,0,1]
	s_wait_loadcnt_dscnt 0x100
	v_pk_mul_f32 v[104:105], v[156:157], v[152:153] op_sel:[1,1] op_sel_hi:[0,1]
	v_pk_add_f32 v[96:97], v[96:97], v[106:107]
	v_pk_fma_f32 v[98:99], v[138:139], v[122:123], v[98:99] neg_lo:[0,0,1] neg_hi:[0,0,1]
	v_mov_b32_e32 v99, v101
	s_delay_alu instid0(VALU_DEP_4) | instskip(NEXT) | instid1(VALU_DEP_4)
	v_pk_fma_f32 v[100:101], v[156:157], v[152:153], v[104:105] op_sel_hi:[1,0,1]
	v_pk_add_f32 v[96:97], v[96:97], v[102:103]
	v_pk_fma_f32 v[102:103], v[156:157], v[152:153], v[104:105] neg_lo:[0,0,1] neg_hi:[0,0,1]
	s_delay_alu instid0(VALU_DEP_3) | instskip(NEXT) | instid1(VALU_DEP_3)
	v_mov_b32_e32 v103, v101
	v_pk_add_f32 v[96:97], v[96:97], v[98:99]
	s_delay_alu instid0(VALU_DEP_1) | instskip(SKIP_1) | instid1(VALU_DEP_1)
	v_pk_add_f32 v[96:97], v[96:97], v[102:103]
	s_wait_loadcnt 0x0
	v_pk_add_f32 v[96:97], v[154:155], v[96:97] neg_lo:[0,1] neg_hi:[0,1]
	scratch_store_b64 off, v[96:97], off offset:248
	s_wait_xcnt 0x0
	v_cmpx_lt_u32_e32 30, v0
	s_cbranch_execz .LBB110_235
; %bb.234:
	scratch_load_b64 v[96:97], off, off offset:240
	v_mov_b64_e32 v[98:99], 0
	scratch_store_b64 off, v[98:99], off offset:240
	s_wait_loadcnt 0x0
	ds_store_b64 v1, v[96:97]
.LBB110_235:
	s_wait_xcnt 0x0
	s_or_b32 exec_lo, exec_lo, s0
	s_wait_storecnt_dscnt 0x0
	s_barrier_signal -1
	s_barrier_wait -1
	s_clause 0x8
	scratch_load_b128 v[96:99], off, off offset:248
	scratch_load_b128 v[100:103], off, off offset:264
	;; [unrolled: 1-line block ×8, first 2 shown]
	scratch_load_b64 v[160:161], off, off offset:240
	ds_load_2addr_b64 v[128:131], v7 offset0:87 offset1:88
	ds_load_2addr_b64 v[132:135], v7 offset0:89 offset1:90
	;; [unrolled: 1-line block ×8, first 2 shown]
	s_mov_b32 s0, exec_lo
	s_wait_dscnt 0x7
	v_dual_mov_b32 v162, v131 :: v_dual_mov_b32 v163, v130
	s_wait_dscnt 0x6
	v_dual_mov_b32 v164, v135 :: v_dual_mov_b32 v165, v134
	;; [unrolled: 2-line block ×4, first 2 shown]
	s_wait_loadcnt_dscnt 0x803
	v_dual_mul_f32 v7, v144, v97 :: v_dual_mul_f32 v9, v146, v99
	v_dual_mul_f32 v19, v145, v97 :: v_dual_mul_f32 v21, v147, v99
	s_wait_loadcnt_dscnt 0x702
	v_dual_mul_f32 v11, v148, v101 :: v_dual_mul_f32 v13, v150, v103
	s_delay_alu instid0(VALU_DEP_3) | instskip(SKIP_3) | instid1(VALU_DEP_3)
	v_dual_fmac_f32 v7, v145, v96 :: v_dual_fmac_f32 v9, v147, v98
	s_wait_loadcnt_dscnt 0x500
	v_dual_fma_f32 v19, v144, v96, -v19 :: v_dual_mul_f32 v31, v157, v109
	v_dual_mul_f32 v23, v149, v101 :: v_dual_mul_f32 v25, v151, v103
	v_dual_fma_f32 v21, v146, v98, -v21 :: v_dual_add_f32 v7, 0, v7
	s_delay_alu instid0(VALU_DEP_3) | instskip(SKIP_1) | instid1(VALU_DEP_4)
	v_dual_add_f32 v19, 0, v19 :: v_dual_fmac_f32 v11, v149, v100
	v_dual_mul_f32 v15, v152, v105 :: v_dual_mul_f32 v17, v154, v107
	v_dual_mul_f32 v33, v159, v111 :: v_dual_fma_f32 v23, v148, v100, -v23
	s_delay_alu instid0(VALU_DEP_4) | instskip(NEXT) | instid1(VALU_DEP_3)
	v_add_f32_e32 v7, v7, v9
	v_dual_add_f32 v9, v19, v21 :: v_dual_fmac_f32 v15, v153, v104
	v_dual_mul_f32 v27, v153, v105 :: v_dual_mul_f32 v29, v155, v107
	s_delay_alu instid0(VALU_DEP_2) | instskip(NEXT) | instid1(VALU_DEP_4)
	v_dual_fmac_f32 v13, v151, v102 :: v_dual_add_f32 v9, v9, v23
	v_dual_fma_f32 v19, v150, v102, -v25 :: v_dual_add_f32 v7, v7, v11
	s_wait_loadcnt 0x4
	s_delay_alu instid0(VALU_DEP_3) | instskip(SKIP_1) | instid1(VALU_DEP_3)
	v_dual_fma_f32 v11, v152, v104, -v27 :: v_dual_mov_b32 v98, v115
	v_dual_mul_f32 v171, v156, v109 :: v_dual_mul_f32 v173, v158, v111
	v_dual_add_f32 v7, v7, v13 :: v_dual_fma_f32 v13, v154, v106, -v29
	v_dual_add_f32 v9, v9, v19 :: v_dual_fmac_f32 v17, v155, v106
	v_pk_mul_f32 v[96:97], v[128:129], v[112:113] op_sel:[1,1] op_sel_hi:[0,1]
	s_delay_alu instid0(VALU_DEP_3) | instskip(SKIP_1) | instid1(VALU_DEP_3)
	v_dual_add_f32 v7, v7, v15 :: v_dual_fmac_f32 v171, v157, v108
	s_wait_loadcnt 0x3
	v_dual_add_f32 v9, v9, v11 :: v_dual_mov_b32 v102, v119
	s_delay_alu instid0(VALU_DEP_2) | instskip(NEXT) | instid1(VALU_DEP_2)
	v_dual_fma_f32 v170, v156, v108, -v31 :: v_dual_add_f32 v105, v7, v17
	v_dual_fma_f32 v172, v158, v110, -v33 :: v_dual_add_f32 v104, v9, v13
	v_fmac_f32_e32 v173, v159, v110
	v_pk_fma_f32 v[106:107], v[128:129], v[112:113], v[96:97] op_sel_hi:[1,0,1]
	v_pk_mul_f32 v[98:99], v[162:163], v[98:99] op_sel_hi:[1,0]
	v_pk_fma_f32 v[96:97], v[128:129], v[112:113], v[96:97] neg_lo:[0,0,1] neg_hi:[0,0,1]
	v_pk_add_f32 v[104:105], v[104:105], v[170:171]
	v_pk_mul_f32 v[100:101], v[132:133], v[116:117] op_sel:[1,1] op_sel_hi:[0,1]
	v_mov_b32_e32 v97, v107
	v_pk_fma_f32 v[106:107], v[130:131], v[114:115], v[98:99] op_sel_hi:[1,0,1]
	v_pk_fma_f32 v[98:99], v[130:131], v[114:115], v[98:99] neg_lo:[0,0,1] neg_hi:[0,0,1]
	v_pk_add_f32 v[104:105], v[104:105], v[172:173]
	v_pk_fma_f32 v[110:111], v[132:133], v[116:117], v[100:101] op_sel_hi:[1,0,1]
	v_pk_mul_f32 v[102:103], v[164:165], v[102:103] op_sel_hi:[1,0]
	v_mov_b32_e32 v99, v107
	s_wait_loadcnt 0x2
	v_pk_mul_f32 v[108:109], v[136:137], v[120:121] op_sel:[1,1] op_sel_hi:[0,1]
	v_pk_add_f32 v[96:97], v[104:105], v[96:97]
	v_mov_b32_e32 v104, v123
	v_pk_fma_f32 v[100:101], v[132:133], v[116:117], v[100:101] neg_lo:[0,0,1] neg_hi:[0,0,1]
	v_mov_b32_e32 v101, v111
	v_pk_fma_f32 v[106:107], v[134:135], v[118:119], v[102:103] op_sel_hi:[1,0,1]
	v_pk_add_f32 v[96:97], v[96:97], v[98:99]
	v_pk_fma_f32 v[98:99], v[136:137], v[120:121], v[108:109] op_sel_hi:[1,0,1]
	v_pk_mul_f32 v[104:105], v[166:167], v[104:105] op_sel_hi:[1,0]
	v_pk_fma_f32 v[102:103], v[134:135], v[118:119], v[102:103] neg_lo:[0,0,1] neg_hi:[0,0,1]
	v_mov_b32_e32 v103, v107
	v_pk_add_f32 v[96:97], v[96:97], v[100:101]
	v_pk_fma_f32 v[106:107], v[136:137], v[120:121], v[108:109] neg_lo:[0,0,1] neg_hi:[0,0,1]
	v_mov_b32_e32 v107, v99
	v_pk_fma_f32 v[98:99], v[138:139], v[122:123], v[104:105] op_sel_hi:[1,0,1]
	s_wait_loadcnt 0x1
	v_pk_mul_f32 v[100:101], v[140:141], v[124:125] op_sel:[1,1] op_sel_hi:[0,1]
	v_pk_add_f32 v[96:97], v[96:97], v[102:103]
	v_mov_b32_e32 v98, v127
	v_pk_fma_f32 v[104:105], v[138:139], v[122:123], v[104:105] neg_lo:[0,0,1] neg_hi:[0,0,1]
	v_mov_b32_e32 v105, v99
	v_pk_fma_f32 v[102:103], v[140:141], v[124:125], v[100:101] op_sel_hi:[1,0,1]
	v_pk_add_f32 v[96:97], v[96:97], v[106:107]
	v_pk_mul_f32 v[98:99], v[168:169], v[98:99] op_sel_hi:[1,0]
	v_pk_fma_f32 v[100:101], v[140:141], v[124:125], v[100:101] neg_lo:[0,0,1] neg_hi:[0,0,1]
	s_delay_alu instid0(VALU_DEP_4) | instskip(NEXT) | instid1(VALU_DEP_4)
	v_mov_b32_e32 v101, v103
	v_pk_add_f32 v[96:97], v[96:97], v[104:105]
	s_delay_alu instid0(VALU_DEP_4) | instskip(SKIP_1) | instid1(VALU_DEP_2)
	v_pk_fma_f32 v[102:103], v[142:143], v[126:127], v[98:99] op_sel_hi:[1,0,1]
	v_pk_fma_f32 v[98:99], v[142:143], v[126:127], v[98:99] neg_lo:[0,0,1] neg_hi:[0,0,1]
	v_mov_b32_e32 v99, v103
	s_delay_alu instid0(VALU_DEP_4) | instskip(NEXT) | instid1(VALU_DEP_1)
	v_pk_add_f32 v[96:97], v[96:97], v[100:101]
	v_pk_add_f32 v[96:97], v[96:97], v[98:99]
	s_wait_loadcnt 0x0
	s_delay_alu instid0(VALU_DEP_1)
	v_pk_add_f32 v[96:97], v[160:161], v[96:97] neg_lo:[0,1] neg_hi:[0,1]
	scratch_store_b64 off, v[96:97], off offset:240
	s_wait_xcnt 0x0
	v_cmpx_lt_u32_e32 29, v0
	s_cbranch_execz .LBB110_237
; %bb.236:
	scratch_load_b64 v[96:97], off, off offset:232
	v_mov_b64_e32 v[98:99], 0
	scratch_store_b64 off, v[98:99], off offset:232
	s_wait_loadcnt 0x0
	ds_store_b64 v1, v[96:97]
.LBB110_237:
	s_wait_xcnt 0x0
	s_or_b32 exec_lo, exec_lo, s0
	s_wait_storecnt_dscnt 0x0
	s_barrier_signal -1
	s_barrier_wait -1
	s_clause 0x9
	scratch_load_b128 v[96:99], off, off offset:240
	scratch_load_b128 v[100:103], off, off offset:256
	;; [unrolled: 1-line block ×8, first 2 shown]
	scratch_load_b64 v[160:161], off, off offset:368
	scratch_load_b64 v[162:163], off, off offset:232
	v_mov_b32_e32 v7, 0
	ds_load_b128 v[128:131], v7 offset:688
	ds_load_b128 v[132:135], v7 offset:704
	;; [unrolled: 1-line block ×8, first 2 shown]
	ds_load_b64 v[164:165], v7 offset:752
	s_mov_b32 s0, exec_lo
	s_wait_dscnt 0x8
	v_dual_mov_b32 v166, v131 :: v_dual_mov_b32 v167, v130
	s_wait_dscnt 0x5
	v_dual_mov_b32 v168, v135 :: v_dual_mov_b32 v173, v142
	v_dual_mov_b32 v169, v134 :: v_dual_mov_b32 v170, v139
	;; [unrolled: 1-line block ×3, first 2 shown]
	s_wait_loadcnt_dscnt 0x904
	v_dual_mul_f32 v9, v144, v97 :: v_dual_mul_f32 v23, v145, v97
	v_dual_mul_f32 v25, v147, v99 :: v_dual_mul_f32 v11, v146, v99
	s_wait_loadcnt_dscnt 0x803
	v_mul_f32_e32 v13, v148, v101
	s_wait_loadcnt_dscnt 0x601
	v_dual_mul_f32 v35, v157, v109 :: v_dual_fma_f32 v23, v144, v96, -v23
	v_dual_fmac_f32 v9, v145, v96 :: v_dual_mul_f32 v37, v159, v111
	v_dual_mul_f32 v27, v149, v101 :: v_dual_mul_f32 v29, v151, v103
	v_dual_fmac_f32 v11, v147, v98 :: v_dual_fma_f32 v25, v146, v98, -v25
	s_delay_alu instid0(VALU_DEP_3)
	v_dual_add_f32 v9, 0, v9 :: v_dual_add_f32 v23, 0, v23
	v_dual_mul_f32 v15, v150, v103 :: v_dual_mul_f32 v17, v152, v105
	s_wait_loadcnt 0x5
	v_dual_mul_f32 v39, v129, v113 :: v_dual_fma_f32 v27, v148, v100, -v27
	v_fmac_f32_e32 v13, v149, v100
	v_dual_add_f32 v9, v9, v11 :: v_dual_mov_b32 v96, v115
	v_add_f32_e32 v11, v23, v25
	v_dual_mul_f32 v31, v153, v105 :: v_dual_mul_f32 v33, v155, v107
	v_dual_fmac_f32 v15, v151, v102 :: v_dual_fma_f32 v23, v150, v102, -v29
	s_delay_alu instid0(VALU_DEP_3) | instskip(SKIP_1) | instid1(VALU_DEP_4)
	v_dual_add_f32 v9, v9, v13 :: v_dual_add_f32 v11, v11, v27
	v_dual_mul_f32 v19, v154, v107 :: v_dual_mul_f32 v21, v156, v109
	v_dual_fmac_f32 v17, v153, v104 :: v_dual_fma_f32 v13, v152, v104, -v31
	s_wait_loadcnt 0x4
	s_delay_alu instid0(VALU_DEP_3) | instskip(SKIP_1) | instid1(VALU_DEP_2)
	v_dual_add_f32 v9, v9, v15 :: v_dual_mov_b32 v100, v119
	v_dual_add_f32 v11, v11, v23 :: v_dual_fma_f32 v15, v154, v106, -v33
	v_dual_fmac_f32 v19, v155, v106 :: v_dual_add_f32 v9, v9, v17
	v_dual_mul_f32 v175, v158, v111 :: v_dual_mul_f32 v177, v128, v113
	s_delay_alu instid0(VALU_DEP_3) | instskip(NEXT) | instid1(VALU_DEP_3)
	v_dual_add_f32 v11, v11, v13 :: v_dual_fmac_f32 v21, v157, v108
	v_dual_fma_f32 v13, v156, v108, -v35 :: v_dual_add_f32 v9, v9, v19
	s_delay_alu instid0(VALU_DEP_3) | instskip(NEXT) | instid1(VALU_DEP_3)
	v_fmac_f32_e32 v175, v159, v110
	v_dual_add_f32 v11, v11, v15 :: v_dual_fma_f32 v174, v158, v110, -v37
	v_pk_mul_f32 v[96:97], v[166:167], v[96:97] op_sel_hi:[1,0]
	s_delay_alu instid0(VALU_DEP_4) | instskip(SKIP_1) | instid1(VALU_DEP_4)
	v_add_f32_e32 v105, v9, v21
	v_pk_mul_f32 v[98:99], v[132:133], v[116:117] op_sel:[1,1] op_sel_hi:[0,1]
	v_dual_add_f32 v104, v11, v13 :: v_dual_fmac_f32 v177, v129, v112
	s_wait_loadcnt 0x3
	v_dual_mov_b32 v106, v123 :: v_dual_fma_f32 v176, v128, v112, -v39
	v_pk_fma_f32 v[108:109], v[130:131], v[114:115], v[96:97] op_sel_hi:[1,0,1]
	s_delay_alu instid0(VALU_DEP_3)
	v_pk_add_f32 v[104:105], v[104:105], v[174:175]
	v_pk_fma_f32 v[96:97], v[130:131], v[114:115], v[96:97] neg_lo:[0,0,1] neg_hi:[0,0,1]
	v_pk_fma_f32 v[110:111], v[132:133], v[116:117], v[98:99] op_sel_hi:[1,0,1]
	v_pk_mul_f32 v[100:101], v[168:169], v[100:101] op_sel_hi:[1,0]
	v_mov_b32_e32 v97, v109
	v_pk_add_f32 v[104:105], v[104:105], v[176:177]
	v_pk_fma_f32 v[98:99], v[132:133], v[116:117], v[98:99] neg_lo:[0,0,1] neg_hi:[0,0,1]
	v_pk_mul_f32 v[102:103], v[136:137], v[120:121] op_sel:[1,1] op_sel_hi:[0,1]
	v_mov_b32_e32 v99, v111
	v_pk_fma_f32 v[110:111], v[134:135], v[118:119], v[100:101] op_sel_hi:[1,0,1]
	v_pk_add_f32 v[96:97], v[104:105], v[96:97]
	v_pk_fma_f32 v[100:101], v[134:135], v[118:119], v[100:101] neg_lo:[0,0,1] neg_hi:[0,0,1]
	v_pk_fma_f32 v[104:105], v[136:137], v[120:121], v[102:103] op_sel_hi:[1,0,1]
	v_pk_mul_f32 v[106:107], v[170:171], v[106:107] op_sel_hi:[1,0]
	v_mov_b32_e32 v101, v111
	v_pk_add_f32 v[96:97], v[96:97], v[98:99]
	v_pk_fma_f32 v[102:103], v[136:137], v[120:121], v[102:103] neg_lo:[0,0,1] neg_hi:[0,0,1]
	s_wait_loadcnt 0x2
	v_pk_mul_f32 v[108:109], v[140:141], v[124:125] op_sel:[1,1] op_sel_hi:[0,1]
	v_dual_mov_b32 v98, v127 :: v_dual_mov_b32 v103, v105
	v_pk_fma_f32 v[104:105], v[138:139], v[122:123], v[106:107] op_sel_hi:[1,0,1]
	v_pk_add_f32 v[96:97], v[96:97], v[100:101]
	v_pk_fma_f32 v[106:107], v[138:139], v[122:123], v[106:107] neg_lo:[0,0,1] neg_hi:[0,0,1]
	v_pk_fma_f32 v[100:101], v[140:141], v[124:125], v[108:109] op_sel_hi:[1,0,1]
	v_pk_mul_f32 v[98:99], v[172:173], v[98:99] op_sel_hi:[1,0]
	v_mov_b32_e32 v107, v105
	v_pk_add_f32 v[96:97], v[96:97], v[102:103]
	v_pk_fma_f32 v[102:103], v[140:141], v[124:125], v[108:109] neg_lo:[0,0,1] neg_hi:[0,0,1]
	v_mov_b32_e32 v103, v101
	v_pk_fma_f32 v[100:101], v[142:143], v[126:127], v[98:99] op_sel_hi:[1,0,1]
	s_wait_loadcnt_dscnt 0x100
	v_pk_mul_f32 v[104:105], v[164:165], v[160:161] op_sel:[1,1] op_sel_hi:[0,1]
	v_pk_add_f32 v[96:97], v[96:97], v[106:107]
	v_pk_fma_f32 v[98:99], v[142:143], v[126:127], v[98:99] neg_lo:[0,0,1] neg_hi:[0,0,1]
	v_mov_b32_e32 v99, v101
	s_delay_alu instid0(VALU_DEP_4) | instskip(NEXT) | instid1(VALU_DEP_4)
	v_pk_fma_f32 v[100:101], v[164:165], v[160:161], v[104:105] op_sel_hi:[1,0,1]
	v_pk_add_f32 v[96:97], v[96:97], v[102:103]
	v_pk_fma_f32 v[102:103], v[164:165], v[160:161], v[104:105] neg_lo:[0,0,1] neg_hi:[0,0,1]
	s_delay_alu instid0(VALU_DEP_3) | instskip(NEXT) | instid1(VALU_DEP_3)
	v_mov_b32_e32 v103, v101
	v_pk_add_f32 v[96:97], v[96:97], v[98:99]
	s_delay_alu instid0(VALU_DEP_1) | instskip(SKIP_1) | instid1(VALU_DEP_1)
	v_pk_add_f32 v[96:97], v[96:97], v[102:103]
	s_wait_loadcnt 0x0
	v_pk_add_f32 v[96:97], v[162:163], v[96:97] neg_lo:[0,1] neg_hi:[0,1]
	scratch_store_b64 off, v[96:97], off offset:232
	s_wait_xcnt 0x0
	v_cmpx_lt_u32_e32 28, v0
	s_cbranch_execz .LBB110_239
; %bb.238:
	scratch_load_b64 v[96:97], off, off offset:224
	v_mov_b64_e32 v[98:99], 0
	scratch_store_b64 off, v[98:99], off offset:224
	s_wait_loadcnt 0x0
	ds_store_b64 v1, v[96:97]
.LBB110_239:
	s_wait_xcnt 0x0
	s_or_b32 exec_lo, exec_lo, s0
	s_wait_storecnt_dscnt 0x0
	s_barrier_signal -1
	s_barrier_wait -1
	s_clause 0x9
	scratch_load_b128 v[96:99], off, off offset:232
	scratch_load_b128 v[100:103], off, off offset:248
	scratch_load_b128 v[104:107], off, off offset:264
	scratch_load_b128 v[108:111], off, off offset:280
	scratch_load_b128 v[112:115], off, off offset:296
	scratch_load_b128 v[116:119], off, off offset:312
	scratch_load_b128 v[120:123], off, off offset:328
	scratch_load_b128 v[124:127], off, off offset:344
	scratch_load_b128 v[128:131], off, off offset:360
	scratch_load_b64 v[168:169], off, off offset:224
	ds_load_2addr_b64 v[132:135], v7 offset0:87 offset1:88
	ds_load_2addr_b64 v[136:139], v7 offset0:89 offset1:90
	;; [unrolled: 1-line block ×9, first 2 shown]
	s_mov_b32 s0, exec_lo
	s_wait_dscnt 0x8
	v_dual_mov_b32 v170, v135 :: v_dual_mov_b32 v171, v134
	s_wait_dscnt 0x7
	v_dual_mov_b32 v172, v139 :: v_dual_mov_b32 v173, v138
	;; [unrolled: 2-line block ×4, first 2 shown]
	s_wait_loadcnt_dscnt 0x904
	v_dual_mul_f32 v7, v148, v97 :: v_dual_mul_f32 v9, v150, v99
	v_dual_mul_f32 v23, v149, v97 :: v_dual_mul_f32 v25, v151, v99
	s_wait_loadcnt_dscnt 0x803
	v_dual_mul_f32 v11, v152, v101 :: v_dual_mul_f32 v13, v154, v103
	s_delay_alu instid0(VALU_DEP_3) | instskip(SKIP_3) | instid1(VALU_DEP_3)
	v_dual_fmac_f32 v7, v149, v96 :: v_dual_fmac_f32 v9, v151, v98
	s_wait_loadcnt_dscnt 0x601
	v_dual_fma_f32 v23, v148, v96, -v23 :: v_dual_mul_f32 v35, v161, v109
	v_dual_mul_f32 v27, v153, v101 :: v_dual_mul_f32 v29, v155, v103
	v_dual_fma_f32 v25, v150, v98, -v25 :: v_dual_add_f32 v7, 0, v7
	s_delay_alu instid0(VALU_DEP_3) | instskip(SKIP_1) | instid1(VALU_DEP_4)
	v_dual_add_f32 v23, 0, v23 :: v_dual_fmac_f32 v11, v153, v100
	v_dual_mul_f32 v15, v156, v105 :: v_dual_mul_f32 v17, v158, v107
	v_dual_mul_f32 v37, v163, v111 :: v_dual_fma_f32 v27, v152, v100, -v27
	s_delay_alu instid0(VALU_DEP_4) | instskip(NEXT) | instid1(VALU_DEP_3)
	v_add_f32_e32 v7, v7, v9
	v_dual_add_f32 v9, v23, v25 :: v_dual_fmac_f32 v15, v157, v104
	v_dual_mul_f32 v31, v157, v105 :: v_dual_mul_f32 v33, v159, v107
	s_wait_loadcnt_dscnt 0x500
	v_dual_mul_f32 v23, v165, v113 :: v_dual_fmac_f32 v13, v155, v102
	v_dual_fma_f32 v25, v154, v102, -v29 :: v_dual_add_f32 v7, v7, v11
	s_delay_alu instid0(VALU_DEP_3) | instskip(SKIP_1) | instid1(VALU_DEP_3)
	v_dual_add_f32 v9, v9, v27 :: v_dual_fma_f32 v27, v156, v104, -v31
	v_dual_mul_f32 v19, v160, v109 :: v_dual_mul_f32 v21, v162, v111
	v_add_f32_e32 v7, v7, v13
	s_delay_alu instid0(VALU_DEP_3) | instskip(SKIP_1) | instid1(VALU_DEP_3)
	v_dual_mul_f32 v11, v167, v115 :: v_dual_add_f32 v9, v9, v25
	v_fmac_f32_e32 v17, v159, v106
	v_dual_fma_f32 v13, v158, v106, -v33 :: v_dual_add_f32 v7, v7, v15
	s_wait_loadcnt 0x4
	v_dual_mov_b32 v98, v119 :: v_dual_fmac_f32 v19, v161, v108
	v_dual_add_f32 v9, v9, v27 :: v_dual_fma_f32 v15, v160, v108, -v35
	s_delay_alu instid0(VALU_DEP_3) | instskip(SKIP_1) | instid1(VALU_DEP_3)
	v_add_f32_e32 v7, v7, v17
	v_dual_mul_f32 v179, v164, v113 :: v_dual_mul_f32 v181, v166, v115
	v_dual_add_f32 v9, v9, v13 :: v_dual_fmac_f32 v21, v163, v110
	s_delay_alu instid0(VALU_DEP_3) | instskip(SKIP_2) | instid1(VALU_DEP_3)
	v_dual_fma_f32 v13, v162, v110, -v37 :: v_dual_add_f32 v7, v7, v19
	v_pk_mul_f32 v[96:97], v[132:133], v[116:117] op_sel:[1,1] op_sel_hi:[0,1]
	s_wait_loadcnt 0x3
	v_dual_add_f32 v9, v9, v15 :: v_dual_mov_b32 v102, v123
	s_delay_alu instid0(VALU_DEP_3) | instskip(NEXT) | instid1(VALU_DEP_2)
	v_dual_fmac_f32 v179, v165, v112 :: v_dual_add_f32 v105, v7, v21
	v_dual_fma_f32 v178, v164, v112, -v23 :: v_dual_add_f32 v104, v9, v13
	v_dual_fmac_f32 v181, v167, v114 :: v_dual_fma_f32 v180, v166, v114, -v11
	v_pk_fma_f32 v[106:107], v[132:133], v[116:117], v[96:97] op_sel_hi:[1,0,1]
	v_pk_mul_f32 v[98:99], v[170:171], v[98:99] op_sel_hi:[1,0]
	s_delay_alu instid0(VALU_DEP_4)
	v_pk_add_f32 v[104:105], v[104:105], v[178:179]
	v_pk_fma_f32 v[96:97], v[132:133], v[116:117], v[96:97] neg_lo:[0,0,1] neg_hi:[0,0,1]
	v_pk_mul_f32 v[100:101], v[136:137], v[120:121] op_sel:[1,1] op_sel_hi:[0,1]
	v_mov_b32_e32 v97, v107
	v_pk_fma_f32 v[106:107], v[134:135], v[118:119], v[98:99] op_sel_hi:[1,0,1]
	v_pk_add_f32 v[104:105], v[104:105], v[180:181]
	v_pk_fma_f32 v[98:99], v[134:135], v[118:119], v[98:99] neg_lo:[0,0,1] neg_hi:[0,0,1]
	v_pk_fma_f32 v[110:111], v[136:137], v[120:121], v[100:101] op_sel_hi:[1,0,1]
	v_pk_mul_f32 v[102:103], v[172:173], v[102:103] op_sel_hi:[1,0]
	v_mov_b32_e32 v99, v107
	v_pk_add_f32 v[96:97], v[104:105], v[96:97]
	s_wait_loadcnt 0x2
	v_pk_mul_f32 v[108:109], v[140:141], v[124:125] op_sel:[1,1] op_sel_hi:[0,1]
	v_mov_b32_e32 v104, v127
	v_pk_fma_f32 v[100:101], v[136:137], v[120:121], v[100:101] neg_lo:[0,0,1] neg_hi:[0,0,1]
	v_mov_b32_e32 v101, v111
	v_pk_fma_f32 v[106:107], v[138:139], v[122:123], v[102:103] op_sel_hi:[1,0,1]
	v_pk_add_f32 v[96:97], v[96:97], v[98:99]
	v_pk_fma_f32 v[98:99], v[140:141], v[124:125], v[108:109] op_sel_hi:[1,0,1]
	v_pk_mul_f32 v[104:105], v[174:175], v[104:105] op_sel_hi:[1,0]
	v_pk_fma_f32 v[102:103], v[138:139], v[122:123], v[102:103] neg_lo:[0,0,1] neg_hi:[0,0,1]
	v_mov_b32_e32 v103, v107
	v_pk_add_f32 v[96:97], v[96:97], v[100:101]
	v_pk_fma_f32 v[106:107], v[140:141], v[124:125], v[108:109] neg_lo:[0,0,1] neg_hi:[0,0,1]
	v_mov_b32_e32 v107, v99
	v_pk_fma_f32 v[98:99], v[142:143], v[126:127], v[104:105] op_sel_hi:[1,0,1]
	s_wait_loadcnt 0x1
	v_pk_mul_f32 v[100:101], v[144:145], v[128:129] op_sel:[1,1] op_sel_hi:[0,1]
	v_pk_add_f32 v[96:97], v[96:97], v[102:103]
	v_mov_b32_e32 v98, v131
	v_pk_fma_f32 v[104:105], v[142:143], v[126:127], v[104:105] neg_lo:[0,0,1] neg_hi:[0,0,1]
	v_mov_b32_e32 v105, v99
	v_pk_fma_f32 v[102:103], v[144:145], v[128:129], v[100:101] op_sel_hi:[1,0,1]
	v_pk_add_f32 v[96:97], v[96:97], v[106:107]
	v_pk_mul_f32 v[98:99], v[176:177], v[98:99] op_sel_hi:[1,0]
	v_pk_fma_f32 v[100:101], v[144:145], v[128:129], v[100:101] neg_lo:[0,0,1] neg_hi:[0,0,1]
	s_delay_alu instid0(VALU_DEP_4) | instskip(NEXT) | instid1(VALU_DEP_4)
	v_mov_b32_e32 v101, v103
	v_pk_add_f32 v[96:97], v[96:97], v[104:105]
	s_delay_alu instid0(VALU_DEP_4) | instskip(SKIP_1) | instid1(VALU_DEP_2)
	v_pk_fma_f32 v[102:103], v[146:147], v[130:131], v[98:99] op_sel_hi:[1,0,1]
	v_pk_fma_f32 v[98:99], v[146:147], v[130:131], v[98:99] neg_lo:[0,0,1] neg_hi:[0,0,1]
	v_mov_b32_e32 v99, v103
	s_delay_alu instid0(VALU_DEP_4) | instskip(NEXT) | instid1(VALU_DEP_1)
	v_pk_add_f32 v[96:97], v[96:97], v[100:101]
	v_pk_add_f32 v[96:97], v[96:97], v[98:99]
	s_wait_loadcnt 0x0
	s_delay_alu instid0(VALU_DEP_1)
	v_pk_add_f32 v[96:97], v[168:169], v[96:97] neg_lo:[0,1] neg_hi:[0,1]
	scratch_store_b64 off, v[96:97], off offset:224
	s_wait_xcnt 0x0
	v_cmpx_lt_u32_e32 27, v0
	s_cbranch_execz .LBB110_241
; %bb.240:
	scratch_load_b64 v[96:97], off, off offset:216
	v_mov_b64_e32 v[98:99], 0
	scratch_store_b64 off, v[98:99], off offset:216
	s_wait_loadcnt 0x0
	ds_store_b64 v1, v[96:97]
.LBB110_241:
	s_wait_xcnt 0x0
	s_or_b32 exec_lo, exec_lo, s0
	s_wait_storecnt_dscnt 0x0
	s_barrier_signal -1
	s_barrier_wait -1
	s_clause 0xa
	scratch_load_b128 v[96:99], off, off offset:224
	scratch_load_b128 v[100:103], off, off offset:240
	;; [unrolled: 1-line block ×9, first 2 shown]
	scratch_load_b64 v[168:169], off, off offset:368
	scratch_load_b64 v[170:171], off, off offset:216
	v_mov_b32_e32 v7, 0
	ds_load_b128 v[132:135], v7 offset:688
	ds_load_b128 v[136:139], v7 offset:704
	;; [unrolled: 1-line block ×9, first 2 shown]
	ds_load_b64 v[172:173], v7 offset:752
	s_mov_b32 s0, exec_lo
	s_wait_dscnt 0x9
	v_dual_mov_b32 v174, v135 :: v_dual_mov_b32 v175, v134
	s_wait_dscnt 0x6
	v_dual_mov_b32 v176, v139 :: v_dual_mov_b32 v181, v146
	v_dual_mov_b32 v177, v138 :: v_dual_mov_b32 v178, v143
	;; [unrolled: 1-line block ×3, first 2 shown]
	s_wait_loadcnt_dscnt 0xa05
	v_dual_mul_f32 v9, v148, v97 :: v_dual_mul_f32 v27, v149, v97
	v_dual_mul_f32 v29, v151, v99 :: v_dual_mul_f32 v11, v150, v99
	s_wait_loadcnt_dscnt 0x904
	v_mul_f32_e32 v13, v152, v101
	s_wait_loadcnt_dscnt 0x702
	v_dual_mul_f32 v39, v161, v109 :: v_dual_fma_f32 v27, v148, v96, -v27
	v_dual_fmac_f32 v9, v149, v96 :: v_dual_mul_f32 v41, v163, v111
	v_dual_mul_f32 v31, v153, v101 :: v_dual_mul_f32 v33, v155, v103
	v_dual_fmac_f32 v11, v151, v98 :: v_dual_fma_f32 v29, v150, v98, -v29
	s_delay_alu instid0(VALU_DEP_3) | instskip(SKIP_4) | instid1(VALU_DEP_3)
	v_dual_add_f32 v9, 0, v9 :: v_dual_add_f32 v27, 0, v27
	v_dual_mul_f32 v15, v154, v103 :: v_dual_mul_f32 v17, v156, v105
	s_wait_loadcnt_dscnt 0x601
	v_dual_mul_f32 v43, v165, v113 :: v_dual_fma_f32 v31, v152, v100, -v31
	v_fmac_f32_e32 v13, v153, v100
	v_dual_add_f32 v9, v9, v11 :: v_dual_fmac_f32 v15, v155, v102
	v_add_f32_e32 v11, v27, v29
	v_dual_mul_f32 v35, v157, v105 :: v_dual_mul_f32 v37, v159, v107
	v_dual_mul_f32 v27, v167, v115 :: v_dual_fma_f32 v29, v154, v102, -v33
	s_delay_alu instid0(VALU_DEP_3) | instskip(SKIP_3) | instid1(VALU_DEP_3)
	v_dual_add_f32 v9, v9, v13 :: v_dual_add_f32 v11, v11, v31
	v_dual_mul_f32 v19, v158, v107 :: v_dual_mul_f32 v21, v160, v109
	s_wait_loadcnt 0x5
	v_dual_mul_f32 v13, v133, v117 :: v_dual_fma_f32 v31, v156, v104, -v35
	v_dual_fmac_f32 v17, v157, v104 :: v_dual_add_f32 v11, v11, v29
	v_dual_add_f32 v9, v9, v15 :: v_dual_mov_b32 v96, v119
	v_dual_fmac_f32 v19, v159, v106 :: v_dual_fma_f32 v15, v158, v106, -v37
	s_delay_alu instid0(VALU_DEP_2) | instskip(SKIP_3) | instid1(VALU_DEP_3)
	v_dual_add_f32 v11, v11, v31 :: v_dual_add_f32 v9, v9, v17
	v_dual_mul_f32 v23, v162, v111 :: v_dual_mul_f32 v25, v164, v113
	v_dual_fmac_f32 v21, v161, v108 :: v_dual_fma_f32 v17, v160, v108, -v39
	s_wait_loadcnt 0x4
	v_dual_add_f32 v9, v9, v19 :: v_dual_mov_b32 v100, v123
	v_dual_add_f32 v11, v11, v15 :: v_dual_fma_f32 v15, v162, v110, -v41
	s_delay_alu instid0(VALU_DEP_2) | instskip(SKIP_1) | instid1(VALU_DEP_3)
	v_dual_fmac_f32 v23, v163, v110 :: v_dual_add_f32 v9, v9, v21
	v_dual_mul_f32 v183, v166, v115 :: v_dual_mul_f32 v185, v132, v117
	v_dual_add_f32 v11, v11, v17 :: v_dual_fmac_f32 v25, v165, v112
	s_delay_alu instid0(VALU_DEP_3) | instskip(NEXT) | instid1(VALU_DEP_3)
	v_dual_fma_f32 v17, v164, v112, -v43 :: v_dual_add_f32 v9, v9, v23
	v_fmac_f32_e32 v183, v167, v114
	s_delay_alu instid0(VALU_DEP_3) | instskip(SKIP_1) | instid1(VALU_DEP_4)
	v_dual_add_f32 v11, v11, v15 :: v_dual_fma_f32 v182, v166, v114, -v27
	v_pk_mul_f32 v[96:97], v[174:175], v[96:97] op_sel_hi:[1,0]
	v_add_f32_e32 v105, v9, v25
	v_pk_mul_f32 v[98:99], v[136:137], v[120:121] op_sel:[1,1] op_sel_hi:[0,1]
	s_delay_alu instid0(VALU_DEP_4) | instskip(SKIP_3) | instid1(VALU_DEP_3)
	v_dual_add_f32 v104, v11, v17 :: v_dual_fmac_f32 v185, v133, v116
	s_wait_loadcnt 0x3
	v_dual_mov_b32 v106, v127 :: v_dual_fma_f32 v184, v132, v116, -v13
	v_pk_fma_f32 v[108:109], v[134:135], v[118:119], v[96:97] op_sel_hi:[1,0,1]
	v_pk_add_f32 v[104:105], v[104:105], v[182:183]
	v_pk_fma_f32 v[96:97], v[134:135], v[118:119], v[96:97] neg_lo:[0,0,1] neg_hi:[0,0,1]
	v_pk_fma_f32 v[110:111], v[136:137], v[120:121], v[98:99] op_sel_hi:[1,0,1]
	v_pk_mul_f32 v[100:101], v[176:177], v[100:101] op_sel_hi:[1,0]
	v_mov_b32_e32 v97, v109
	v_pk_add_f32 v[104:105], v[104:105], v[184:185]
	v_pk_fma_f32 v[98:99], v[136:137], v[120:121], v[98:99] neg_lo:[0,0,1] neg_hi:[0,0,1]
	v_pk_mul_f32 v[102:103], v[140:141], v[124:125] op_sel:[1,1] op_sel_hi:[0,1]
	v_mov_b32_e32 v99, v111
	v_pk_fma_f32 v[110:111], v[138:139], v[122:123], v[100:101] op_sel_hi:[1,0,1]
	v_pk_add_f32 v[96:97], v[104:105], v[96:97]
	v_pk_fma_f32 v[100:101], v[138:139], v[122:123], v[100:101] neg_lo:[0,0,1] neg_hi:[0,0,1]
	v_pk_fma_f32 v[104:105], v[140:141], v[124:125], v[102:103] op_sel_hi:[1,0,1]
	v_pk_mul_f32 v[106:107], v[178:179], v[106:107] op_sel_hi:[1,0]
	v_mov_b32_e32 v101, v111
	v_pk_add_f32 v[96:97], v[96:97], v[98:99]
	v_pk_fma_f32 v[102:103], v[140:141], v[124:125], v[102:103] neg_lo:[0,0,1] neg_hi:[0,0,1]
	s_wait_loadcnt 0x2
	v_pk_mul_f32 v[108:109], v[144:145], v[128:129] op_sel:[1,1] op_sel_hi:[0,1]
	v_dual_mov_b32 v98, v131 :: v_dual_mov_b32 v103, v105
	v_pk_fma_f32 v[104:105], v[142:143], v[126:127], v[106:107] op_sel_hi:[1,0,1]
	v_pk_add_f32 v[96:97], v[96:97], v[100:101]
	v_pk_fma_f32 v[106:107], v[142:143], v[126:127], v[106:107] neg_lo:[0,0,1] neg_hi:[0,0,1]
	v_pk_fma_f32 v[100:101], v[144:145], v[128:129], v[108:109] op_sel_hi:[1,0,1]
	v_pk_mul_f32 v[98:99], v[180:181], v[98:99] op_sel_hi:[1,0]
	v_mov_b32_e32 v107, v105
	v_pk_add_f32 v[96:97], v[96:97], v[102:103]
	v_pk_fma_f32 v[102:103], v[144:145], v[128:129], v[108:109] neg_lo:[0,0,1] neg_hi:[0,0,1]
	v_mov_b32_e32 v103, v101
	v_pk_fma_f32 v[100:101], v[146:147], v[130:131], v[98:99] op_sel_hi:[1,0,1]
	s_wait_loadcnt_dscnt 0x100
	v_pk_mul_f32 v[104:105], v[172:173], v[168:169] op_sel:[1,1] op_sel_hi:[0,1]
	v_pk_add_f32 v[96:97], v[96:97], v[106:107]
	v_pk_fma_f32 v[98:99], v[146:147], v[130:131], v[98:99] neg_lo:[0,0,1] neg_hi:[0,0,1]
	v_mov_b32_e32 v99, v101
	s_delay_alu instid0(VALU_DEP_4) | instskip(NEXT) | instid1(VALU_DEP_4)
	v_pk_fma_f32 v[100:101], v[172:173], v[168:169], v[104:105] op_sel_hi:[1,0,1]
	v_pk_add_f32 v[96:97], v[96:97], v[102:103]
	v_pk_fma_f32 v[102:103], v[172:173], v[168:169], v[104:105] neg_lo:[0,0,1] neg_hi:[0,0,1]
	s_delay_alu instid0(VALU_DEP_3) | instskip(NEXT) | instid1(VALU_DEP_3)
	v_mov_b32_e32 v103, v101
	v_pk_add_f32 v[96:97], v[96:97], v[98:99]
	s_delay_alu instid0(VALU_DEP_1) | instskip(SKIP_1) | instid1(VALU_DEP_1)
	v_pk_add_f32 v[96:97], v[96:97], v[102:103]
	s_wait_loadcnt 0x0
	v_pk_add_f32 v[96:97], v[170:171], v[96:97] neg_lo:[0,1] neg_hi:[0,1]
	scratch_store_b64 off, v[96:97], off offset:216
	s_wait_xcnt 0x0
	v_cmpx_lt_u32_e32 26, v0
	s_cbranch_execz .LBB110_243
; %bb.242:
	scratch_load_b64 v[96:97], off, off offset:208
	v_mov_b64_e32 v[98:99], 0
	scratch_store_b64 off, v[98:99], off offset:208
	s_wait_loadcnt 0x0
	ds_store_b64 v1, v[96:97]
.LBB110_243:
	s_wait_xcnt 0x0
	s_or_b32 exec_lo, exec_lo, s0
	s_wait_storecnt_dscnt 0x0
	s_barrier_signal -1
	s_barrier_wait -1
	s_clause 0xa
	scratch_load_b128 v[96:99], off, off offset:216
	scratch_load_b128 v[100:103], off, off offset:232
	scratch_load_b128 v[104:107], off, off offset:248
	scratch_load_b128 v[108:111], off, off offset:264
	scratch_load_b128 v[112:115], off, off offset:280
	scratch_load_b128 v[116:119], off, off offset:296
	scratch_load_b128 v[120:123], off, off offset:312
	scratch_load_b128 v[124:127], off, off offset:328
	scratch_load_b128 v[128:131], off, off offset:344
	scratch_load_b128 v[132:135], off, off offset:360
	scratch_load_b64 v[176:177], off, off offset:208
	ds_load_2addr_b64 v[136:139], v7 offset0:87 offset1:88
	ds_load_2addr_b64 v[140:143], v7 offset0:89 offset1:90
	;; [unrolled: 1-line block ×10, first 2 shown]
	s_mov_b32 s0, exec_lo
	s_wait_dscnt 0x9
	v_dual_mov_b32 v178, v139 :: v_dual_mov_b32 v179, v138
	s_wait_dscnt 0x8
	v_dual_mov_b32 v180, v143 :: v_dual_mov_b32 v181, v142
	;; [unrolled: 2-line block ×4, first 2 shown]
	s_wait_loadcnt_dscnt 0xa05
	v_dual_mul_f32 v7, v152, v97 :: v_dual_mul_f32 v9, v154, v99
	v_dual_mul_f32 v27, v153, v97 :: v_dual_mul_f32 v29, v155, v99
	s_wait_loadcnt_dscnt 0x904
	v_dual_mul_f32 v11, v156, v101 :: v_dual_mul_f32 v13, v158, v103
	s_delay_alu instid0(VALU_DEP_3) | instskip(SKIP_3) | instid1(VALU_DEP_3)
	v_dual_fmac_f32 v7, v153, v96 :: v_dual_fmac_f32 v9, v155, v98
	s_wait_loadcnt_dscnt 0x702
	v_dual_fma_f32 v27, v152, v96, -v27 :: v_dual_mul_f32 v39, v165, v109
	v_dual_mul_f32 v31, v157, v101 :: v_dual_mul_f32 v33, v159, v103
	v_dual_fma_f32 v29, v154, v98, -v29 :: v_dual_add_f32 v7, 0, v7
	s_delay_alu instid0(VALU_DEP_3) | instskip(SKIP_1) | instid1(VALU_DEP_4)
	v_dual_add_f32 v27, 0, v27 :: v_dual_fmac_f32 v11, v157, v100
	v_dual_mul_f32 v15, v160, v105 :: v_dual_mul_f32 v17, v162, v107
	v_dual_mul_f32 v41, v167, v111 :: v_dual_fma_f32 v31, v156, v100, -v31
	s_delay_alu instid0(VALU_DEP_4) | instskip(NEXT) | instid1(VALU_DEP_3)
	v_add_f32_e32 v7, v7, v9
	v_dual_add_f32 v9, v27, v29 :: v_dual_fmac_f32 v15, v161, v104
	v_dual_mul_f32 v35, v161, v105 :: v_dual_mul_f32 v37, v163, v107
	s_wait_loadcnt_dscnt 0x601
	v_dual_mul_f32 v27, v169, v113 :: v_dual_fmac_f32 v13, v159, v102
	v_dual_fma_f32 v29, v158, v102, -v33 :: v_dual_add_f32 v7, v7, v11
	s_delay_alu instid0(VALU_DEP_3) | instskip(SKIP_1) | instid1(VALU_DEP_3)
	v_dual_add_f32 v9, v9, v31 :: v_dual_fma_f32 v31, v160, v104, -v35
	v_dual_mul_f32 v19, v164, v109 :: v_dual_mul_f32 v21, v166, v111
	v_add_f32_e32 v7, v7, v13
	s_delay_alu instid0(VALU_DEP_3) | instskip(SKIP_2) | instid1(VALU_DEP_3)
	v_dual_mul_f32 v11, v171, v115 :: v_dual_add_f32 v9, v9, v29
	s_wait_loadcnt_dscnt 0x500
	v_dual_mul_f32 v13, v173, v117 :: v_dual_fmac_f32 v17, v163, v106
	v_dual_fma_f32 v29, v162, v106, -v37 :: v_dual_add_f32 v7, v7, v15
	s_delay_alu instid0(VALU_DEP_3) | instskip(SKIP_1) | instid1(VALU_DEP_3)
	v_dual_add_f32 v9, v9, v31 :: v_dual_fma_f32 v31, v164, v108, -v39
	v_dual_mul_f32 v15, v175, v119 :: v_dual_fmac_f32 v19, v165, v108
	v_dual_add_f32 v7, v7, v17 :: v_dual_fma_f32 v17, v166, v110, -v41
	s_delay_alu instid0(VALU_DEP_3) | instskip(SKIP_1) | instid1(VALU_DEP_3)
	v_dual_add_f32 v9, v9, v29 :: v_dual_fmac_f32 v21, v167, v110
	v_dual_mul_f32 v23, v168, v113 :: v_dual_mul_f32 v25, v170, v115
	v_add_f32_e32 v7, v7, v19
	s_wait_loadcnt 0x4
	s_delay_alu instid0(VALU_DEP_3) | instskip(NEXT) | instid1(VALU_DEP_3)
	v_dual_add_f32 v9, v9, v31 :: v_dual_mov_b32 v98, v123
	v_fmac_f32_e32 v23, v169, v112
	s_delay_alu instid0(VALU_DEP_3) | instskip(NEXT) | instid1(VALU_DEP_3)
	v_dual_fma_f32 v19, v168, v112, -v27 :: v_dual_add_f32 v7, v7, v21
	v_dual_add_f32 v9, v9, v17 :: v_dual_fmac_f32 v25, v171, v114
	v_dual_mul_f32 v187, v172, v117 :: v_dual_mul_f32 v189, v174, v119
	s_delay_alu instid0(VALU_DEP_3) | instskip(SKIP_1) | instid1(VALU_DEP_3)
	v_dual_fma_f32 v11, v170, v114, -v11 :: v_dual_add_f32 v7, v7, v23
	s_wait_loadcnt 0x3
	v_dual_add_f32 v9, v9, v19 :: v_dual_mov_b32 v102, v127
	v_pk_mul_f32 v[96:97], v[136:137], v[120:121] op_sel:[1,1] op_sel_hi:[0,1]
	v_dual_fmac_f32 v187, v173, v116 :: v_dual_fma_f32 v186, v172, v116, -v13
	s_delay_alu instid0(VALU_DEP_3) | instskip(SKIP_1) | instid1(VALU_DEP_4)
	v_dual_add_f32 v105, v7, v25 :: v_dual_add_f32 v104, v9, v11
	v_dual_fmac_f32 v189, v175, v118 :: v_dual_fma_f32 v188, v174, v118, -v15
	v_pk_fma_f32 v[106:107], v[136:137], v[120:121], v[96:97] op_sel_hi:[1,0,1]
	v_pk_mul_f32 v[98:99], v[178:179], v[98:99] op_sel_hi:[1,0]
	s_delay_alu instid0(VALU_DEP_4)
	v_pk_add_f32 v[104:105], v[104:105], v[186:187]
	v_pk_fma_f32 v[96:97], v[136:137], v[120:121], v[96:97] neg_lo:[0,0,1] neg_hi:[0,0,1]
	v_pk_mul_f32 v[100:101], v[140:141], v[124:125] op_sel:[1,1] op_sel_hi:[0,1]
	v_mov_b32_e32 v97, v107
	v_pk_fma_f32 v[106:107], v[138:139], v[122:123], v[98:99] op_sel_hi:[1,0,1]
	v_pk_add_f32 v[104:105], v[104:105], v[188:189]
	v_pk_fma_f32 v[98:99], v[138:139], v[122:123], v[98:99] neg_lo:[0,0,1] neg_hi:[0,0,1]
	v_pk_fma_f32 v[110:111], v[140:141], v[124:125], v[100:101] op_sel_hi:[1,0,1]
	v_pk_mul_f32 v[102:103], v[180:181], v[102:103] op_sel_hi:[1,0]
	v_mov_b32_e32 v99, v107
	v_pk_add_f32 v[96:97], v[104:105], v[96:97]
	s_wait_loadcnt 0x2
	v_pk_mul_f32 v[108:109], v[144:145], v[128:129] op_sel:[1,1] op_sel_hi:[0,1]
	v_mov_b32_e32 v104, v131
	v_pk_fma_f32 v[100:101], v[140:141], v[124:125], v[100:101] neg_lo:[0,0,1] neg_hi:[0,0,1]
	v_mov_b32_e32 v101, v111
	v_pk_fma_f32 v[106:107], v[142:143], v[126:127], v[102:103] op_sel_hi:[1,0,1]
	v_pk_add_f32 v[96:97], v[96:97], v[98:99]
	v_pk_fma_f32 v[98:99], v[144:145], v[128:129], v[108:109] op_sel_hi:[1,0,1]
	v_pk_mul_f32 v[104:105], v[182:183], v[104:105] op_sel_hi:[1,0]
	v_pk_fma_f32 v[102:103], v[142:143], v[126:127], v[102:103] neg_lo:[0,0,1] neg_hi:[0,0,1]
	v_mov_b32_e32 v103, v107
	v_pk_add_f32 v[96:97], v[96:97], v[100:101]
	v_pk_fma_f32 v[106:107], v[144:145], v[128:129], v[108:109] neg_lo:[0,0,1] neg_hi:[0,0,1]
	v_mov_b32_e32 v107, v99
	v_pk_fma_f32 v[98:99], v[146:147], v[130:131], v[104:105] op_sel_hi:[1,0,1]
	s_wait_loadcnt 0x1
	v_pk_mul_f32 v[100:101], v[148:149], v[132:133] op_sel:[1,1] op_sel_hi:[0,1]
	v_pk_add_f32 v[96:97], v[96:97], v[102:103]
	v_mov_b32_e32 v98, v135
	v_pk_fma_f32 v[104:105], v[146:147], v[130:131], v[104:105] neg_lo:[0,0,1] neg_hi:[0,0,1]
	v_mov_b32_e32 v105, v99
	v_pk_fma_f32 v[102:103], v[148:149], v[132:133], v[100:101] op_sel_hi:[1,0,1]
	v_pk_add_f32 v[96:97], v[96:97], v[106:107]
	v_pk_mul_f32 v[98:99], v[184:185], v[98:99] op_sel_hi:[1,0]
	v_pk_fma_f32 v[100:101], v[148:149], v[132:133], v[100:101] neg_lo:[0,0,1] neg_hi:[0,0,1]
	s_delay_alu instid0(VALU_DEP_4) | instskip(NEXT) | instid1(VALU_DEP_4)
	v_mov_b32_e32 v101, v103
	v_pk_add_f32 v[96:97], v[96:97], v[104:105]
	s_delay_alu instid0(VALU_DEP_4) | instskip(SKIP_1) | instid1(VALU_DEP_2)
	v_pk_fma_f32 v[102:103], v[150:151], v[134:135], v[98:99] op_sel_hi:[1,0,1]
	v_pk_fma_f32 v[98:99], v[150:151], v[134:135], v[98:99] neg_lo:[0,0,1] neg_hi:[0,0,1]
	v_mov_b32_e32 v99, v103
	s_delay_alu instid0(VALU_DEP_4) | instskip(NEXT) | instid1(VALU_DEP_1)
	v_pk_add_f32 v[96:97], v[96:97], v[100:101]
	v_pk_add_f32 v[96:97], v[96:97], v[98:99]
	s_wait_loadcnt 0x0
	s_delay_alu instid0(VALU_DEP_1)
	v_pk_add_f32 v[96:97], v[176:177], v[96:97] neg_lo:[0,1] neg_hi:[0,1]
	scratch_store_b64 off, v[96:97], off offset:208
	s_wait_xcnt 0x0
	v_cmpx_lt_u32_e32 25, v0
	s_cbranch_execz .LBB110_245
; %bb.244:
	scratch_load_b64 v[96:97], off, off offset:200
	v_mov_b64_e32 v[98:99], 0
	scratch_store_b64 off, v[98:99], off offset:200
	s_wait_loadcnt 0x0
	ds_store_b64 v1, v[96:97]
.LBB110_245:
	s_wait_xcnt 0x0
	s_or_b32 exec_lo, exec_lo, s0
	s_wait_storecnt_dscnt 0x0
	s_barrier_signal -1
	s_barrier_wait -1
	s_clause 0xb
	scratch_load_b128 v[96:99], off, off offset:208
	scratch_load_b128 v[100:103], off, off offset:224
	;; [unrolled: 1-line block ×10, first 2 shown]
	scratch_load_b64 v[176:177], off, off offset:368
	scratch_load_b64 v[178:179], off, off offset:200
	v_mov_b32_e32 v7, 0
	ds_load_b128 v[136:139], v7 offset:688
	ds_load_b128 v[140:143], v7 offset:704
	;; [unrolled: 1-line block ×10, first 2 shown]
	ds_load_b64 v[180:181], v7 offset:752
	s_mov_b32 s0, exec_lo
	s_wait_dscnt 0xa
	v_dual_mov_b32 v182, v139 :: v_dual_mov_b32 v183, v138
	s_wait_dscnt 0x7
	v_dual_mov_b32 v184, v143 :: v_dual_mov_b32 v189, v150
	v_dual_mov_b32 v185, v142 :: v_dual_mov_b32 v186, v147
	;; [unrolled: 1-line block ×3, first 2 shown]
	s_wait_loadcnt_dscnt 0xb06
	v_dual_mul_f32 v9, v152, v97 :: v_dual_mul_f32 v31, v153, v97
	v_dual_mul_f32 v33, v155, v99 :: v_dual_mul_f32 v11, v154, v99
	s_wait_loadcnt_dscnt 0xa05
	v_mul_f32_e32 v13, v156, v101
	s_wait_loadcnt_dscnt 0x803
	v_dual_mul_f32 v43, v165, v109 :: v_dual_fma_f32 v31, v152, v96, -v31
	v_dual_fmac_f32 v9, v153, v96 :: v_dual_mul_f32 v45, v167, v111
	v_dual_mul_f32 v35, v157, v101 :: v_dual_mul_f32 v37, v159, v103
	v_dual_fmac_f32 v11, v155, v98 :: v_dual_fma_f32 v33, v154, v98, -v33
	s_delay_alu instid0(VALU_DEP_3) | instskip(SKIP_4) | instid1(VALU_DEP_3)
	v_dual_add_f32 v9, 0, v9 :: v_dual_add_f32 v31, 0, v31
	v_dual_mul_f32 v15, v158, v103 :: v_dual_mul_f32 v17, v160, v105
	s_wait_loadcnt_dscnt 0x702
	v_dual_mul_f32 v47, v169, v113 :: v_dual_fma_f32 v35, v156, v100, -v35
	v_fmac_f32_e32 v13, v157, v100
	v_dual_add_f32 v9, v9, v11 :: v_dual_fmac_f32 v15, v159, v102
	v_add_f32_e32 v11, v31, v33
	v_dual_mul_f32 v39, v161, v105 :: v_dual_mul_f32 v41, v163, v107
	v_dual_mul_f32 v31, v171, v115 :: v_dual_fma_f32 v33, v158, v102, -v37
	s_delay_alu instid0(VALU_DEP_3) | instskip(SKIP_3) | instid1(VALU_DEP_3)
	v_dual_add_f32 v9, v9, v13 :: v_dual_add_f32 v11, v11, v35
	v_dual_mul_f32 v19, v162, v107 :: v_dual_mul_f32 v21, v164, v109
	s_wait_loadcnt_dscnt 0x601
	v_dual_mul_f32 v13, v173, v117 :: v_dual_fma_f32 v35, v160, v104, -v39
	v_dual_fmac_f32 v17, v161, v104 :: v_dual_add_f32 v11, v11, v33
	s_delay_alu instid0(VALU_DEP_3) | instskip(SKIP_1) | instid1(VALU_DEP_2)
	v_dual_add_f32 v9, v9, v15 :: v_dual_fmac_f32 v19, v163, v106
	v_dual_mul_f32 v15, v175, v119 :: v_dual_fma_f32 v33, v162, v106, -v41
	v_dual_add_f32 v11, v11, v35 :: v_dual_add_f32 v9, v9, v17
	v_dual_mul_f32 v23, v166, v111 :: v_dual_mul_f32 v25, v168, v113
	s_wait_loadcnt 0x5
	v_dual_mul_f32 v17, v137, v121 :: v_dual_fma_f32 v35, v164, v108, -v43
	s_delay_alu instid0(VALU_DEP_3) | instskip(SKIP_2) | instid1(VALU_DEP_2)
	v_dual_fmac_f32 v21, v165, v108 :: v_dual_add_f32 v11, v11, v33
	v_dual_add_f32 v9, v9, v19 :: v_dual_mov_b32 v96, v123
	v_dual_fmac_f32 v23, v167, v110 :: v_dual_fma_f32 v19, v166, v110, -v45
	v_dual_add_f32 v11, v11, v35 :: v_dual_add_f32 v9, v9, v21
	v_dual_mul_f32 v27, v170, v115 :: v_dual_mul_f32 v29, v172, v117
	v_dual_fmac_f32 v25, v169, v112 :: v_dual_fma_f32 v21, v168, v112, -v47
	s_wait_loadcnt 0x4
	s_delay_alu instid0(VALU_DEP_3) | instskip(SKIP_1) | instid1(VALU_DEP_2)
	v_dual_add_f32 v9, v9, v23 :: v_dual_mov_b32 v100, v127
	v_dual_add_f32 v11, v11, v19 :: v_dual_fma_f32 v19, v170, v114, -v31
	v_dual_fmac_f32 v27, v171, v114 :: v_dual_add_f32 v9, v9, v25
	v_dual_mul_f32 v191, v174, v119 :: v_dual_mul_f32 v193, v136, v121
	s_delay_alu instid0(VALU_DEP_3) | instskip(NEXT) | instid1(VALU_DEP_3)
	v_dual_add_f32 v11, v11, v21 :: v_dual_fmac_f32 v29, v173, v116
	v_dual_fma_f32 v13, v172, v116, -v13 :: v_dual_add_f32 v9, v9, v27
	s_delay_alu instid0(VALU_DEP_3) | instskip(NEXT) | instid1(VALU_DEP_3)
	v_fmac_f32_e32 v191, v175, v118
	v_dual_add_f32 v11, v11, v19 :: v_dual_fma_f32 v190, v174, v118, -v15
	v_pk_mul_f32 v[96:97], v[182:183], v[96:97] op_sel_hi:[1,0]
	s_delay_alu instid0(VALU_DEP_4) | instskip(SKIP_1) | instid1(VALU_DEP_4)
	v_add_f32_e32 v105, v9, v29
	v_pk_mul_f32 v[98:99], v[140:141], v[124:125] op_sel:[1,1] op_sel_hi:[0,1]
	v_dual_add_f32 v104, v11, v13 :: v_dual_fmac_f32 v193, v137, v120
	s_wait_loadcnt 0x3
	v_dual_mov_b32 v106, v131 :: v_dual_fma_f32 v192, v136, v120, -v17
	v_pk_fma_f32 v[108:109], v[138:139], v[122:123], v[96:97] op_sel_hi:[1,0,1]
	s_delay_alu instid0(VALU_DEP_3)
	v_pk_add_f32 v[104:105], v[104:105], v[190:191]
	v_pk_fma_f32 v[96:97], v[138:139], v[122:123], v[96:97] neg_lo:[0,0,1] neg_hi:[0,0,1]
	v_pk_fma_f32 v[110:111], v[140:141], v[124:125], v[98:99] op_sel_hi:[1,0,1]
	v_pk_mul_f32 v[100:101], v[184:185], v[100:101] op_sel_hi:[1,0]
	v_mov_b32_e32 v97, v109
	v_pk_add_f32 v[104:105], v[104:105], v[192:193]
	v_pk_fma_f32 v[98:99], v[140:141], v[124:125], v[98:99] neg_lo:[0,0,1] neg_hi:[0,0,1]
	v_pk_mul_f32 v[102:103], v[144:145], v[128:129] op_sel:[1,1] op_sel_hi:[0,1]
	v_mov_b32_e32 v99, v111
	v_pk_fma_f32 v[110:111], v[142:143], v[126:127], v[100:101] op_sel_hi:[1,0,1]
	v_pk_add_f32 v[96:97], v[104:105], v[96:97]
	v_pk_fma_f32 v[100:101], v[142:143], v[126:127], v[100:101] neg_lo:[0,0,1] neg_hi:[0,0,1]
	v_pk_fma_f32 v[104:105], v[144:145], v[128:129], v[102:103] op_sel_hi:[1,0,1]
	v_pk_mul_f32 v[106:107], v[186:187], v[106:107] op_sel_hi:[1,0]
	v_mov_b32_e32 v101, v111
	v_pk_add_f32 v[96:97], v[96:97], v[98:99]
	v_pk_fma_f32 v[102:103], v[144:145], v[128:129], v[102:103] neg_lo:[0,0,1] neg_hi:[0,0,1]
	s_wait_loadcnt 0x2
	v_pk_mul_f32 v[108:109], v[148:149], v[132:133] op_sel:[1,1] op_sel_hi:[0,1]
	v_dual_mov_b32 v98, v135 :: v_dual_mov_b32 v103, v105
	v_pk_fma_f32 v[104:105], v[146:147], v[130:131], v[106:107] op_sel_hi:[1,0,1]
	v_pk_add_f32 v[96:97], v[96:97], v[100:101]
	v_pk_fma_f32 v[106:107], v[146:147], v[130:131], v[106:107] neg_lo:[0,0,1] neg_hi:[0,0,1]
	v_pk_fma_f32 v[100:101], v[148:149], v[132:133], v[108:109] op_sel_hi:[1,0,1]
	v_pk_mul_f32 v[98:99], v[188:189], v[98:99] op_sel_hi:[1,0]
	v_mov_b32_e32 v107, v105
	v_pk_add_f32 v[96:97], v[96:97], v[102:103]
	v_pk_fma_f32 v[102:103], v[148:149], v[132:133], v[108:109] neg_lo:[0,0,1] neg_hi:[0,0,1]
	v_mov_b32_e32 v103, v101
	v_pk_fma_f32 v[100:101], v[150:151], v[134:135], v[98:99] op_sel_hi:[1,0,1]
	s_wait_loadcnt_dscnt 0x100
	v_pk_mul_f32 v[104:105], v[180:181], v[176:177] op_sel:[1,1] op_sel_hi:[0,1]
	v_pk_add_f32 v[96:97], v[96:97], v[106:107]
	v_pk_fma_f32 v[98:99], v[150:151], v[134:135], v[98:99] neg_lo:[0,0,1] neg_hi:[0,0,1]
	v_mov_b32_e32 v99, v101
	s_delay_alu instid0(VALU_DEP_4) | instskip(NEXT) | instid1(VALU_DEP_4)
	v_pk_fma_f32 v[100:101], v[180:181], v[176:177], v[104:105] op_sel_hi:[1,0,1]
	v_pk_add_f32 v[96:97], v[96:97], v[102:103]
	v_pk_fma_f32 v[102:103], v[180:181], v[176:177], v[104:105] neg_lo:[0,0,1] neg_hi:[0,0,1]
	s_delay_alu instid0(VALU_DEP_3) | instskip(NEXT) | instid1(VALU_DEP_3)
	v_mov_b32_e32 v103, v101
	v_pk_add_f32 v[96:97], v[96:97], v[98:99]
	s_delay_alu instid0(VALU_DEP_1) | instskip(SKIP_1) | instid1(VALU_DEP_1)
	v_pk_add_f32 v[96:97], v[96:97], v[102:103]
	s_wait_loadcnt 0x0
	v_pk_add_f32 v[96:97], v[178:179], v[96:97] neg_lo:[0,1] neg_hi:[0,1]
	scratch_store_b64 off, v[96:97], off offset:200
	s_wait_xcnt 0x0
	v_cmpx_lt_u32_e32 24, v0
	s_cbranch_execz .LBB110_247
; %bb.246:
	scratch_load_b64 v[96:97], off, off offset:192
	v_mov_b64_e32 v[98:99], 0
	scratch_store_b64 off, v[98:99], off offset:192
	s_wait_loadcnt 0x0
	ds_store_b64 v1, v[96:97]
.LBB110_247:
	s_wait_xcnt 0x0
	s_or_b32 exec_lo, exec_lo, s0
	s_wait_storecnt_dscnt 0x0
	s_barrier_signal -1
	s_barrier_wait -1
	s_clause 0xb
	scratch_load_b128 v[96:99], off, off offset:200
	scratch_load_b128 v[100:103], off, off offset:216
	;; [unrolled: 1-line block ×11, first 2 shown]
	scratch_load_b64 v[184:185], off, off offset:192
	ds_load_2addr_b64 v[140:143], v7 offset0:87 offset1:88
	ds_load_2addr_b64 v[144:147], v7 offset0:89 offset1:90
	;; [unrolled: 1-line block ×11, first 2 shown]
	s_mov_b32 s0, exec_lo
	s_wait_dscnt 0xa
	v_dual_mov_b32 v186, v143 :: v_dual_mov_b32 v187, v142
	s_wait_dscnt 0x9
	v_dual_mov_b32 v188, v147 :: v_dual_mov_b32 v189, v146
	;; [unrolled: 2-line block ×4, first 2 shown]
	s_wait_loadcnt_dscnt 0xb06
	v_dual_mul_f32 v7, v156, v97 :: v_dual_mul_f32 v9, v158, v99
	v_dual_mul_f32 v31, v157, v97 :: v_dual_mul_f32 v33, v159, v99
	s_wait_loadcnt_dscnt 0xa05
	v_dual_mul_f32 v11, v160, v101 :: v_dual_mul_f32 v13, v162, v103
	s_delay_alu instid0(VALU_DEP_3) | instskip(SKIP_3) | instid1(VALU_DEP_3)
	v_dual_fmac_f32 v7, v157, v96 :: v_dual_fmac_f32 v9, v159, v98
	s_wait_loadcnt_dscnt 0x803
	v_dual_fma_f32 v31, v156, v96, -v31 :: v_dual_mul_f32 v43, v169, v109
	v_dual_mul_f32 v35, v161, v101 :: v_dual_mul_f32 v37, v163, v103
	v_dual_fma_f32 v33, v158, v98, -v33 :: v_dual_add_f32 v7, 0, v7
	s_delay_alu instid0(VALU_DEP_3) | instskip(SKIP_1) | instid1(VALU_DEP_4)
	v_dual_add_f32 v31, 0, v31 :: v_dual_fmac_f32 v11, v161, v100
	v_dual_mul_f32 v15, v164, v105 :: v_dual_mul_f32 v17, v166, v107
	v_dual_mul_f32 v45, v171, v111 :: v_dual_fma_f32 v35, v160, v100, -v35
	s_delay_alu instid0(VALU_DEP_4) | instskip(NEXT) | instid1(VALU_DEP_3)
	v_add_f32_e32 v7, v7, v9
	v_dual_add_f32 v9, v31, v33 :: v_dual_fmac_f32 v15, v165, v104
	v_dual_mul_f32 v39, v165, v105 :: v_dual_mul_f32 v41, v167, v107
	s_wait_loadcnt_dscnt 0x702
	v_dual_mul_f32 v31, v173, v113 :: v_dual_fmac_f32 v13, v163, v102
	v_dual_fma_f32 v33, v162, v102, -v37 :: v_dual_add_f32 v7, v7, v11
	s_delay_alu instid0(VALU_DEP_3) | instskip(SKIP_1) | instid1(VALU_DEP_3)
	v_dual_add_f32 v9, v9, v35 :: v_dual_fma_f32 v35, v164, v104, -v39
	v_dual_mul_f32 v19, v168, v109 :: v_dual_mul_f32 v21, v170, v111
	v_add_f32_e32 v7, v7, v13
	s_delay_alu instid0(VALU_DEP_3) | instskip(SKIP_2) | instid1(VALU_DEP_3)
	v_dual_mul_f32 v11, v175, v115 :: v_dual_add_f32 v9, v9, v33
	s_wait_loadcnt_dscnt 0x601
	v_dual_mul_f32 v13, v177, v117 :: v_dual_fmac_f32 v17, v167, v106
	v_dual_fma_f32 v33, v166, v106, -v41 :: v_dual_add_f32 v7, v7, v15
	s_delay_alu instid0(VALU_DEP_3) | instskip(SKIP_1) | instid1(VALU_DEP_3)
	v_dual_add_f32 v9, v9, v35 :: v_dual_fma_f32 v35, v168, v108, -v43
	v_dual_mul_f32 v15, v179, v119 :: v_dual_fmac_f32 v19, v169, v108
	v_add_f32_e32 v7, v7, v17
	s_delay_alu instid0(VALU_DEP_3)
	v_dual_add_f32 v9, v9, v33 :: v_dual_fmac_f32 v21, v171, v110
	v_dual_mul_f32 v23, v172, v113 :: v_dual_mul_f32 v25, v174, v115
	s_wait_loadcnt_dscnt 0x500
	v_dual_fma_f32 v33, v170, v110, -v45 :: v_dual_mul_f32 v17, v181, v121
	v_add_f32_e32 v7, v7, v19
	v_dual_add_f32 v9, v9, v35 :: v_dual_fma_f32 v31, v172, v112, -v31
	v_dual_mul_f32 v19, v183, v123 :: v_dual_fmac_f32 v23, v173, v112
	s_delay_alu instid0(VALU_DEP_3) | instskip(NEXT) | instid1(VALU_DEP_3)
	v_dual_add_f32 v7, v7, v21 :: v_dual_fma_f32 v11, v174, v114, -v11
	v_dual_add_f32 v9, v9, v33 :: v_dual_fmac_f32 v25, v175, v114
	v_dual_mul_f32 v27, v176, v117 :: v_dual_mul_f32 v29, v178, v119
	s_delay_alu instid0(VALU_DEP_3) | instskip(SKIP_1) | instid1(VALU_DEP_3)
	v_add_f32_e32 v7, v7, v23
	s_wait_loadcnt 0x4
	v_dual_add_f32 v9, v9, v31 :: v_dual_mov_b32 v98, v127
	s_delay_alu instid0(VALU_DEP_3) | instskip(NEXT) | instid1(VALU_DEP_2)
	v_dual_fmac_f32 v27, v177, v116 :: v_dual_fma_f32 v13, v176, v116, -v13
	v_dual_add_f32 v7, v7, v25 :: v_dual_add_f32 v9, v9, v11
	v_dual_fmac_f32 v29, v179, v118 :: v_dual_mul_f32 v195, v180, v121
	v_mul_f32_e32 v197, v182, v123
	s_delay_alu instid0(VALU_DEP_3) | instskip(SKIP_4) | instid1(VALU_DEP_3)
	v_dual_fma_f32 v11, v178, v118, -v15 :: v_dual_add_f32 v7, v7, v27
	s_wait_loadcnt 0x3
	v_dual_add_f32 v9, v9, v13 :: v_dual_mov_b32 v102, v131
	v_pk_mul_f32 v[96:97], v[140:141], v[124:125] op_sel:[1,1] op_sel_hi:[0,1]
	v_dual_fmac_f32 v195, v181, v120 :: v_dual_fma_f32 v194, v180, v120, -v17
	v_dual_add_f32 v105, v7, v29 :: v_dual_add_f32 v104, v9, v11
	v_dual_fmac_f32 v197, v183, v122 :: v_dual_fma_f32 v196, v182, v122, -v19
	s_delay_alu instid0(VALU_DEP_4) | instskip(SKIP_1) | instid1(VALU_DEP_4)
	v_pk_fma_f32 v[106:107], v[140:141], v[124:125], v[96:97] op_sel_hi:[1,0,1]
	v_pk_mul_f32 v[98:99], v[186:187], v[98:99] op_sel_hi:[1,0]
	v_pk_add_f32 v[104:105], v[104:105], v[194:195]
	v_pk_fma_f32 v[96:97], v[140:141], v[124:125], v[96:97] neg_lo:[0,0,1] neg_hi:[0,0,1]
	v_pk_mul_f32 v[100:101], v[144:145], v[128:129] op_sel:[1,1] op_sel_hi:[0,1]
	v_mov_b32_e32 v97, v107
	v_pk_fma_f32 v[106:107], v[142:143], v[126:127], v[98:99] op_sel_hi:[1,0,1]
	v_pk_add_f32 v[104:105], v[104:105], v[196:197]
	v_pk_fma_f32 v[98:99], v[142:143], v[126:127], v[98:99] neg_lo:[0,0,1] neg_hi:[0,0,1]
	v_pk_fma_f32 v[110:111], v[144:145], v[128:129], v[100:101] op_sel_hi:[1,0,1]
	v_pk_mul_f32 v[102:103], v[188:189], v[102:103] op_sel_hi:[1,0]
	v_mov_b32_e32 v99, v107
	v_pk_add_f32 v[96:97], v[104:105], v[96:97]
	s_wait_loadcnt 0x2
	v_pk_mul_f32 v[108:109], v[148:149], v[132:133] op_sel:[1,1] op_sel_hi:[0,1]
	v_mov_b32_e32 v104, v135
	v_pk_fma_f32 v[100:101], v[144:145], v[128:129], v[100:101] neg_lo:[0,0,1] neg_hi:[0,0,1]
	v_mov_b32_e32 v101, v111
	v_pk_fma_f32 v[106:107], v[146:147], v[130:131], v[102:103] op_sel_hi:[1,0,1]
	v_pk_add_f32 v[96:97], v[96:97], v[98:99]
	v_pk_fma_f32 v[98:99], v[148:149], v[132:133], v[108:109] op_sel_hi:[1,0,1]
	v_pk_mul_f32 v[104:105], v[190:191], v[104:105] op_sel_hi:[1,0]
	v_pk_fma_f32 v[102:103], v[146:147], v[130:131], v[102:103] neg_lo:[0,0,1] neg_hi:[0,0,1]
	v_mov_b32_e32 v103, v107
	v_pk_add_f32 v[96:97], v[96:97], v[100:101]
	v_pk_fma_f32 v[106:107], v[148:149], v[132:133], v[108:109] neg_lo:[0,0,1] neg_hi:[0,0,1]
	v_mov_b32_e32 v107, v99
	v_pk_fma_f32 v[98:99], v[150:151], v[134:135], v[104:105] op_sel_hi:[1,0,1]
	s_wait_loadcnt 0x1
	v_pk_mul_f32 v[100:101], v[152:153], v[136:137] op_sel:[1,1] op_sel_hi:[0,1]
	v_pk_add_f32 v[96:97], v[96:97], v[102:103]
	v_mov_b32_e32 v98, v139
	v_pk_fma_f32 v[104:105], v[150:151], v[134:135], v[104:105] neg_lo:[0,0,1] neg_hi:[0,0,1]
	v_mov_b32_e32 v105, v99
	v_pk_fma_f32 v[102:103], v[152:153], v[136:137], v[100:101] op_sel_hi:[1,0,1]
	v_pk_add_f32 v[96:97], v[96:97], v[106:107]
	v_pk_mul_f32 v[98:99], v[192:193], v[98:99] op_sel_hi:[1,0]
	v_pk_fma_f32 v[100:101], v[152:153], v[136:137], v[100:101] neg_lo:[0,0,1] neg_hi:[0,0,1]
	s_delay_alu instid0(VALU_DEP_4) | instskip(NEXT) | instid1(VALU_DEP_4)
	v_mov_b32_e32 v101, v103
	v_pk_add_f32 v[96:97], v[96:97], v[104:105]
	s_delay_alu instid0(VALU_DEP_4) | instskip(SKIP_1) | instid1(VALU_DEP_2)
	v_pk_fma_f32 v[102:103], v[154:155], v[138:139], v[98:99] op_sel_hi:[1,0,1]
	v_pk_fma_f32 v[98:99], v[154:155], v[138:139], v[98:99] neg_lo:[0,0,1] neg_hi:[0,0,1]
	v_mov_b32_e32 v99, v103
	s_delay_alu instid0(VALU_DEP_4) | instskip(NEXT) | instid1(VALU_DEP_1)
	v_pk_add_f32 v[96:97], v[96:97], v[100:101]
	v_pk_add_f32 v[96:97], v[96:97], v[98:99]
	s_wait_loadcnt 0x0
	s_delay_alu instid0(VALU_DEP_1)
	v_pk_add_f32 v[96:97], v[184:185], v[96:97] neg_lo:[0,1] neg_hi:[0,1]
	scratch_store_b64 off, v[96:97], off offset:192
	s_wait_xcnt 0x0
	v_cmpx_lt_u32_e32 23, v0
	s_cbranch_execz .LBB110_249
; %bb.248:
	scratch_load_b64 v[96:97], off, off offset:184
	v_mov_b64_e32 v[98:99], 0
	scratch_store_b64 off, v[98:99], off offset:184
	s_wait_loadcnt 0x0
	ds_store_b64 v1, v[96:97]
.LBB110_249:
	s_wait_xcnt 0x0
	s_or_b32 exec_lo, exec_lo, s0
	s_wait_storecnt_dscnt 0x0
	s_barrier_signal -1
	s_barrier_wait -1
	s_clause 0xc
	scratch_load_b128 v[96:99], off, off offset:192
	scratch_load_b128 v[100:103], off, off offset:208
	;; [unrolled: 1-line block ×11, first 2 shown]
	scratch_load_b64 v[184:185], off, off offset:368
	scratch_load_b64 v[186:187], off, off offset:184
	v_mov_b32_e32 v7, 0
	ds_load_b128 v[140:143], v7 offset:688
	ds_load_b128 v[144:147], v7 offset:704
	;; [unrolled: 1-line block ×11, first 2 shown]
	ds_load_b64 v[188:189], v7 offset:752
	s_mov_b32 s0, exec_lo
	s_wait_dscnt 0xb
	v_dual_mov_b32 v190, v143 :: v_dual_mov_b32 v191, v142
	s_wait_dscnt 0x8
	v_dual_mov_b32 v192, v147 :: v_dual_mov_b32 v197, v154
	v_dual_mov_b32 v193, v146 :: v_dual_mov_b32 v194, v151
	;; [unrolled: 1-line block ×3, first 2 shown]
	s_wait_loadcnt_dscnt 0xc07
	v_dual_mul_f32 v9, v156, v97 :: v_dual_mul_f32 v35, v157, v97
	v_dual_mul_f32 v37, v159, v99 :: v_dual_mul_f32 v11, v158, v99
	s_wait_loadcnt_dscnt 0xb06
	v_mul_f32_e32 v13, v160, v101
	s_wait_loadcnt_dscnt 0x904
	v_dual_mul_f32 v47, v169, v109 :: v_dual_fma_f32 v35, v156, v96, -v35
	v_dual_fmac_f32 v9, v157, v96 :: v_dual_mul_f32 v49, v171, v111
	v_dual_mul_f32 v39, v161, v101 :: v_dual_mul_f32 v41, v163, v103
	v_dual_fmac_f32 v11, v159, v98 :: v_dual_fma_f32 v37, v158, v98, -v37
	s_delay_alu instid0(VALU_DEP_3) | instskip(SKIP_4) | instid1(VALU_DEP_3)
	v_dual_add_f32 v9, 0, v9 :: v_dual_add_f32 v35, 0, v35
	v_dual_mul_f32 v15, v162, v103 :: v_dual_mul_f32 v17, v164, v105
	s_wait_loadcnt_dscnt 0x803
	v_dual_mul_f32 v51, v173, v113 :: v_dual_fma_f32 v39, v160, v100, -v39
	v_fmac_f32_e32 v13, v161, v100
	v_dual_add_f32 v9, v9, v11 :: v_dual_fmac_f32 v15, v163, v102
	v_add_f32_e32 v11, v35, v37
	v_dual_mul_f32 v43, v165, v105 :: v_dual_mul_f32 v45, v167, v107
	v_dual_mul_f32 v35, v175, v115 :: v_dual_fma_f32 v37, v162, v102, -v41
	s_delay_alu instid0(VALU_DEP_3) | instskip(SKIP_3) | instid1(VALU_DEP_3)
	v_dual_add_f32 v9, v9, v13 :: v_dual_add_f32 v11, v11, v39
	v_dual_mul_f32 v19, v166, v107 :: v_dual_mul_f32 v21, v168, v109
	s_wait_loadcnt_dscnt 0x701
	v_dual_mul_f32 v13, v181, v117 :: v_dual_fma_f32 v39, v164, v104, -v43
	v_dual_fmac_f32 v17, v165, v104 :: v_dual_add_f32 v11, v11, v37
	s_delay_alu instid0(VALU_DEP_3) | instskip(SKIP_1) | instid1(VALU_DEP_2)
	v_dual_add_f32 v9, v9, v15 :: v_dual_fmac_f32 v19, v167, v106
	v_dual_mul_f32 v15, v183, v119 :: v_dual_fma_f32 v37, v166, v106, -v45
	v_dual_add_f32 v11, v11, v39 :: v_dual_add_f32 v9, v9, v17
	v_dual_mul_f32 v23, v170, v111 :: v_dual_mul_f32 v25, v172, v113
	s_wait_loadcnt 0x6
	v_dual_mul_f32 v17, v177, v121 :: v_dual_fma_f32 v39, v168, v108, -v47
	s_delay_alu instid0(VALU_DEP_3) | instskip(NEXT) | instid1(VALU_DEP_3)
	v_dual_fmac_f32 v21, v169, v108 :: v_dual_add_f32 v11, v11, v37
	v_dual_add_f32 v9, v9, v19 :: v_dual_fmac_f32 v23, v171, v110
	v_dual_mul_f32 v19, v179, v123 :: v_dual_fma_f32 v37, v170, v110, -v49
	s_delay_alu instid0(VALU_DEP_2) | instskip(SKIP_3) | instid1(VALU_DEP_3)
	v_dual_add_f32 v11, v11, v39 :: v_dual_add_f32 v9, v9, v21
	v_dual_mul_f32 v27, v174, v115 :: v_dual_mul_f32 v29, v180, v117
	s_wait_loadcnt 0x5
	v_dual_mul_f32 v21, v141, v125 :: v_dual_fma_f32 v39, v172, v112, -v51
	v_dual_fmac_f32 v25, v173, v112 :: v_dual_add_f32 v11, v11, v37
	v_dual_add_f32 v9, v9, v23 :: v_dual_mov_b32 v96, v127
	v_fmac_f32_e32 v27, v175, v114
	s_delay_alu instid0(VALU_DEP_3) | instskip(NEXT) | instid1(VALU_DEP_3)
	v_dual_fma_f32 v23, v174, v114, -v35 :: v_dual_add_f32 v11, v11, v39
	v_dual_add_f32 v9, v9, v25 :: v_dual_mul_f32 v31, v182, v119
	v_dual_mul_f32 v33, v176, v121 :: v_dual_fmac_f32 v29, v181, v116
	s_delay_alu instid0(VALU_DEP_3) | instskip(SKIP_1) | instid1(VALU_DEP_3)
	v_dual_add_f32 v11, v11, v23 :: v_dual_fma_f32 v13, v180, v116, -v13
	s_wait_loadcnt 0x4
	v_dual_add_f32 v9, v9, v27 :: v_dual_mov_b32 v100, v131
	v_fma_f32 v15, v182, v118, -v15
	v_fmac_f32_e32 v31, v183, v118
	v_dual_add_f32 v11, v11, v13 :: v_dual_fmac_f32 v33, v177, v120
	s_delay_alu instid0(VALU_DEP_4) | instskip(SKIP_1) | instid1(VALU_DEP_3)
	v_dual_add_f32 v9, v9, v29 :: v_dual_mul_f32 v199, v178, v123
	v_mul_f32_e32 v201, v140, v125
	v_dual_fma_f32 v13, v176, v120, -v17 :: v_dual_add_f32 v11, v11, v15
	s_delay_alu instid0(VALU_DEP_3) | instskip(NEXT) | instid1(VALU_DEP_4)
	v_dual_fma_f32 v198, v178, v122, -v19 :: v_dual_add_f32 v9, v9, v31
	v_fmac_f32_e32 v199, v179, v122
	v_pk_mul_f32 v[96:97], v[190:191], v[96:97] op_sel_hi:[1,0]
	s_delay_alu instid0(VALU_DEP_4) | instskip(NEXT) | instid1(VALU_DEP_4)
	v_dual_add_f32 v104, v11, v13 :: v_dual_fmac_f32 v201, v141, v124
	v_add_f32_e32 v105, v9, v33
	v_pk_mul_f32 v[98:99], v[144:145], v[128:129] op_sel:[1,1] op_sel_hi:[0,1]
	s_wait_loadcnt 0x3
	v_dual_mov_b32 v106, v135 :: v_dual_fma_f32 v200, v140, v124, -v21
	v_pk_fma_f32 v[108:109], v[142:143], v[126:127], v[96:97] op_sel_hi:[1,0,1]
	v_pk_add_f32 v[104:105], v[104:105], v[198:199]
	v_pk_fma_f32 v[96:97], v[142:143], v[126:127], v[96:97] neg_lo:[0,0,1] neg_hi:[0,0,1]
	v_pk_fma_f32 v[110:111], v[144:145], v[128:129], v[98:99] op_sel_hi:[1,0,1]
	v_pk_mul_f32 v[100:101], v[192:193], v[100:101] op_sel_hi:[1,0]
	v_mov_b32_e32 v97, v109
	v_pk_add_f32 v[104:105], v[104:105], v[200:201]
	v_pk_fma_f32 v[98:99], v[144:145], v[128:129], v[98:99] neg_lo:[0,0,1] neg_hi:[0,0,1]
	v_pk_mul_f32 v[102:103], v[148:149], v[132:133] op_sel:[1,1] op_sel_hi:[0,1]
	v_mov_b32_e32 v99, v111
	v_pk_fma_f32 v[110:111], v[146:147], v[130:131], v[100:101] op_sel_hi:[1,0,1]
	v_pk_add_f32 v[96:97], v[104:105], v[96:97]
	v_pk_fma_f32 v[100:101], v[146:147], v[130:131], v[100:101] neg_lo:[0,0,1] neg_hi:[0,0,1]
	v_pk_fma_f32 v[104:105], v[148:149], v[132:133], v[102:103] op_sel_hi:[1,0,1]
	v_pk_mul_f32 v[106:107], v[194:195], v[106:107] op_sel_hi:[1,0]
	v_mov_b32_e32 v101, v111
	v_pk_add_f32 v[96:97], v[96:97], v[98:99]
	v_pk_fma_f32 v[102:103], v[148:149], v[132:133], v[102:103] neg_lo:[0,0,1] neg_hi:[0,0,1]
	s_wait_loadcnt 0x2
	v_pk_mul_f32 v[108:109], v[152:153], v[136:137] op_sel:[1,1] op_sel_hi:[0,1]
	v_dual_mov_b32 v98, v139 :: v_dual_mov_b32 v103, v105
	v_pk_fma_f32 v[104:105], v[150:151], v[134:135], v[106:107] op_sel_hi:[1,0,1]
	v_pk_add_f32 v[96:97], v[96:97], v[100:101]
	v_pk_fma_f32 v[106:107], v[150:151], v[134:135], v[106:107] neg_lo:[0,0,1] neg_hi:[0,0,1]
	v_pk_fma_f32 v[100:101], v[152:153], v[136:137], v[108:109] op_sel_hi:[1,0,1]
	v_pk_mul_f32 v[98:99], v[196:197], v[98:99] op_sel_hi:[1,0]
	v_mov_b32_e32 v107, v105
	v_pk_add_f32 v[96:97], v[96:97], v[102:103]
	v_pk_fma_f32 v[102:103], v[152:153], v[136:137], v[108:109] neg_lo:[0,0,1] neg_hi:[0,0,1]
	v_mov_b32_e32 v103, v101
	v_pk_fma_f32 v[100:101], v[154:155], v[138:139], v[98:99] op_sel_hi:[1,0,1]
	s_wait_loadcnt_dscnt 0x100
	v_pk_mul_f32 v[104:105], v[188:189], v[184:185] op_sel:[1,1] op_sel_hi:[0,1]
	v_pk_add_f32 v[96:97], v[96:97], v[106:107]
	v_pk_fma_f32 v[98:99], v[154:155], v[138:139], v[98:99] neg_lo:[0,0,1] neg_hi:[0,0,1]
	v_mov_b32_e32 v99, v101
	s_delay_alu instid0(VALU_DEP_4) | instskip(NEXT) | instid1(VALU_DEP_4)
	v_pk_fma_f32 v[100:101], v[188:189], v[184:185], v[104:105] op_sel_hi:[1,0,1]
	v_pk_add_f32 v[96:97], v[96:97], v[102:103]
	v_pk_fma_f32 v[102:103], v[188:189], v[184:185], v[104:105] neg_lo:[0,0,1] neg_hi:[0,0,1]
	s_delay_alu instid0(VALU_DEP_3) | instskip(NEXT) | instid1(VALU_DEP_3)
	v_mov_b32_e32 v103, v101
	v_pk_add_f32 v[96:97], v[96:97], v[98:99]
	s_delay_alu instid0(VALU_DEP_1) | instskip(SKIP_1) | instid1(VALU_DEP_1)
	v_pk_add_f32 v[96:97], v[96:97], v[102:103]
	s_wait_loadcnt 0x0
	v_pk_add_f32 v[96:97], v[186:187], v[96:97] neg_lo:[0,1] neg_hi:[0,1]
	scratch_store_b64 off, v[96:97], off offset:184
	s_wait_xcnt 0x0
	v_cmpx_lt_u32_e32 22, v0
	s_cbranch_execz .LBB110_251
; %bb.250:
	scratch_load_b64 v[96:97], off, off offset:176
	v_mov_b64_e32 v[98:99], 0
	scratch_store_b64 off, v[98:99], off offset:176
	s_wait_loadcnt 0x0
	ds_store_b64 v1, v[96:97]
.LBB110_251:
	s_wait_xcnt 0x0
	s_or_b32 exec_lo, exec_lo, s0
	s_wait_storecnt_dscnt 0x0
	s_barrier_signal -1
	s_barrier_wait -1
	s_clause 0xc
	scratch_load_b128 v[96:99], off, off offset:184
	scratch_load_b128 v[100:103], off, off offset:200
	;; [unrolled: 1-line block ×12, first 2 shown]
	scratch_load_b64 v[192:193], off, off offset:176
	ds_load_2addr_b64 v[144:147], v7 offset0:87 offset1:88
	ds_load_2addr_b64 v[148:151], v7 offset0:89 offset1:90
	ds_load_2addr_b64 v[152:155], v7 offset0:91 offset1:92
	ds_load_2addr_b64 v[156:159], v7 offset0:93 offset1:94
	ds_load_2addr_b64 v[160:163], v7 offset0:71 offset1:72
	ds_load_2addr_b64 v[164:167], v7 offset0:73 offset1:74
	ds_load_2addr_b64 v[168:171], v7 offset0:75 offset1:76
	ds_load_2addr_b64 v[172:175], v7 offset0:77 offset1:78
	ds_load_2addr_b64 v[176:179], v7 offset0:79 offset1:80
	ds_load_2addr_b64 v[180:183], v7 offset0:81 offset1:82
	ds_load_2addr_b64 v[184:187], v7 offset0:83 offset1:84
	ds_load_2addr_b64 v[188:191], v7 offset0:85 offset1:86
	s_mov_b32 s0, exec_lo
	s_wait_dscnt 0xb
	v_dual_mov_b32 v194, v147 :: v_dual_mov_b32 v195, v146
	s_wait_dscnt 0xa
	v_dual_mov_b32 v196, v151 :: v_dual_mov_b32 v197, v150
	;; [unrolled: 2-line block ×4, first 2 shown]
	s_wait_loadcnt_dscnt 0xc07
	v_dual_mul_f32 v7, v160, v97 :: v_dual_mul_f32 v9, v162, v99
	v_dual_mul_f32 v35, v161, v97 :: v_dual_mul_f32 v37, v163, v99
	s_wait_loadcnt_dscnt 0xb06
	v_dual_mul_f32 v11, v164, v101 :: v_dual_mul_f32 v13, v166, v103
	s_delay_alu instid0(VALU_DEP_3) | instskip(SKIP_3) | instid1(VALU_DEP_3)
	v_dual_fmac_f32 v7, v161, v96 :: v_dual_fmac_f32 v9, v163, v98
	s_wait_loadcnt_dscnt 0x904
	v_dual_fma_f32 v35, v160, v96, -v35 :: v_dual_mul_f32 v47, v173, v109
	v_dual_mul_f32 v39, v165, v101 :: v_dual_mul_f32 v41, v167, v103
	v_dual_fma_f32 v37, v162, v98, -v37 :: v_dual_add_f32 v7, 0, v7
	s_delay_alu instid0(VALU_DEP_3) | instskip(SKIP_1) | instid1(VALU_DEP_4)
	v_dual_add_f32 v35, 0, v35 :: v_dual_fmac_f32 v11, v165, v100
	v_dual_mul_f32 v15, v168, v105 :: v_dual_mul_f32 v17, v170, v107
	v_dual_mul_f32 v49, v175, v111 :: v_dual_fma_f32 v39, v164, v100, -v39
	s_delay_alu instid0(VALU_DEP_4) | instskip(NEXT) | instid1(VALU_DEP_3)
	v_add_f32_e32 v7, v7, v9
	v_dual_add_f32 v9, v35, v37 :: v_dual_fmac_f32 v15, v169, v104
	v_dual_mul_f32 v43, v169, v105 :: v_dual_mul_f32 v45, v171, v107
	s_wait_loadcnt_dscnt 0x803
	v_dual_mul_f32 v35, v177, v113 :: v_dual_fmac_f32 v13, v167, v102
	v_dual_fma_f32 v37, v166, v102, -v41 :: v_dual_add_f32 v7, v7, v11
	s_delay_alu instid0(VALU_DEP_3) | instskip(SKIP_1) | instid1(VALU_DEP_3)
	v_dual_add_f32 v9, v9, v39 :: v_dual_fma_f32 v39, v168, v104, -v43
	v_dual_mul_f32 v19, v172, v109 :: v_dual_mul_f32 v21, v174, v111
	v_add_f32_e32 v7, v7, v13
	s_delay_alu instid0(VALU_DEP_3) | instskip(SKIP_2) | instid1(VALU_DEP_3)
	v_dual_mul_f32 v11, v179, v115 :: v_dual_add_f32 v9, v9, v37
	s_wait_loadcnt_dscnt 0x702
	v_dual_mul_f32 v13, v181, v117 :: v_dual_fmac_f32 v17, v171, v106
	v_dual_fma_f32 v37, v170, v106, -v45 :: v_dual_add_f32 v7, v7, v15
	s_delay_alu instid0(VALU_DEP_3) | instskip(SKIP_1) | instid1(VALU_DEP_3)
	v_dual_add_f32 v9, v9, v39 :: v_dual_fma_f32 v39, v172, v108, -v47
	v_dual_mul_f32 v15, v183, v119 :: v_dual_fmac_f32 v19, v173, v108
	v_add_f32_e32 v7, v7, v17
	s_delay_alu instid0(VALU_DEP_3)
	v_dual_add_f32 v9, v9, v37 :: v_dual_fmac_f32 v21, v175, v110
	v_dual_mul_f32 v23, v176, v113 :: v_dual_mul_f32 v25, v178, v115
	s_wait_loadcnt_dscnt 0x601
	v_dual_fma_f32 v37, v174, v110, -v49 :: v_dual_mul_f32 v17, v185, v121
	v_add_f32_e32 v7, v7, v19
	v_dual_add_f32 v9, v9, v39 :: v_dual_fma_f32 v35, v176, v112, -v35
	v_dual_mul_f32 v19, v187, v123 :: v_dual_fmac_f32 v23, v177, v112
	s_delay_alu instid0(VALU_DEP_3) | instskip(NEXT) | instid1(VALU_DEP_3)
	v_dual_add_f32 v7, v7, v21 :: v_dual_fma_f32 v11, v178, v114, -v11
	v_dual_add_f32 v9, v9, v37 :: v_dual_fmac_f32 v25, v179, v114
	v_dual_mul_f32 v27, v180, v117 :: v_dual_mul_f32 v29, v182, v119
	s_wait_loadcnt_dscnt 0x500
	s_delay_alu instid0(VALU_DEP_3) | instskip(NEXT) | instid1(VALU_DEP_3)
	v_dual_mul_f32 v21, v189, v125 :: v_dual_add_f32 v7, v7, v23
	v_dual_add_f32 v9, v9, v35 :: v_dual_fma_f32 v13, v180, v116, -v13
	s_delay_alu instid0(VALU_DEP_3) | instskip(NEXT) | instid1(VALU_DEP_2)
	v_dual_mul_f32 v23, v191, v127 :: v_dual_fmac_f32 v27, v181, v116
	v_dual_add_f32 v7, v7, v25 :: v_dual_add_f32 v9, v9, v11
	v_dual_mul_f32 v31, v184, v121 :: v_dual_mul_f32 v33, v186, v123
	v_dual_fmac_f32 v29, v183, v118 :: v_dual_fma_f32 v11, v182, v118, -v15
	s_delay_alu instid0(VALU_DEP_3) | instskip(SKIP_1) | instid1(VALU_DEP_3)
	v_dual_add_f32 v7, v7, v27 :: v_dual_add_f32 v9, v9, v13
	s_wait_loadcnt 0x4
	v_dual_mov_b32 v98, v131 :: v_dual_fmac_f32 v31, v185, v120
	s_delay_alu instid0(VALU_DEP_2) | instskip(NEXT) | instid1(VALU_DEP_3)
	v_dual_fma_f32 v13, v184, v120, -v17 :: v_dual_add_f32 v7, v7, v29
	v_dual_add_f32 v9, v9, v11 :: v_dual_fmac_f32 v33, v187, v122
	v_dual_mul_f32 v203, v188, v125 :: v_dual_mul_f32 v205, v190, v127
	s_delay_alu instid0(VALU_DEP_3) | instskip(SKIP_1) | instid1(VALU_DEP_3)
	v_dual_fma_f32 v11, v186, v122, -v19 :: v_dual_add_f32 v7, v7, v31
	s_wait_loadcnt 0x3
	v_dual_add_f32 v9, v9, v13 :: v_dual_mov_b32 v102, v135
	v_pk_mul_f32 v[96:97], v[144:145], v[128:129] op_sel:[1,1] op_sel_hi:[0,1]
	v_dual_fmac_f32 v203, v189, v124 :: v_dual_fma_f32 v202, v188, v124, -v21
	s_delay_alu instid0(VALU_DEP_3) | instskip(SKIP_1) | instid1(VALU_DEP_4)
	v_dual_add_f32 v105, v7, v33 :: v_dual_add_f32 v104, v9, v11
	v_dual_fmac_f32 v205, v191, v126 :: v_dual_fma_f32 v204, v190, v126, -v23
	v_pk_fma_f32 v[106:107], v[144:145], v[128:129], v[96:97] op_sel_hi:[1,0,1]
	v_pk_mul_f32 v[98:99], v[194:195], v[98:99] op_sel_hi:[1,0]
	s_delay_alu instid0(VALU_DEP_4)
	v_pk_add_f32 v[104:105], v[104:105], v[202:203]
	v_pk_fma_f32 v[96:97], v[144:145], v[128:129], v[96:97] neg_lo:[0,0,1] neg_hi:[0,0,1]
	v_pk_mul_f32 v[100:101], v[148:149], v[132:133] op_sel:[1,1] op_sel_hi:[0,1]
	v_mov_b32_e32 v97, v107
	v_pk_fma_f32 v[106:107], v[146:147], v[130:131], v[98:99] op_sel_hi:[1,0,1]
	v_pk_add_f32 v[104:105], v[104:105], v[204:205]
	v_pk_fma_f32 v[98:99], v[146:147], v[130:131], v[98:99] neg_lo:[0,0,1] neg_hi:[0,0,1]
	v_pk_fma_f32 v[110:111], v[148:149], v[132:133], v[100:101] op_sel_hi:[1,0,1]
	v_pk_mul_f32 v[102:103], v[196:197], v[102:103] op_sel_hi:[1,0]
	v_mov_b32_e32 v99, v107
	v_pk_add_f32 v[96:97], v[104:105], v[96:97]
	s_wait_loadcnt 0x2
	v_pk_mul_f32 v[108:109], v[152:153], v[136:137] op_sel:[1,1] op_sel_hi:[0,1]
	v_mov_b32_e32 v104, v139
	v_pk_fma_f32 v[100:101], v[148:149], v[132:133], v[100:101] neg_lo:[0,0,1] neg_hi:[0,0,1]
	v_mov_b32_e32 v101, v111
	v_pk_fma_f32 v[106:107], v[150:151], v[134:135], v[102:103] op_sel_hi:[1,0,1]
	v_pk_add_f32 v[96:97], v[96:97], v[98:99]
	v_pk_fma_f32 v[98:99], v[152:153], v[136:137], v[108:109] op_sel_hi:[1,0,1]
	v_pk_mul_f32 v[104:105], v[198:199], v[104:105] op_sel_hi:[1,0]
	v_pk_fma_f32 v[102:103], v[150:151], v[134:135], v[102:103] neg_lo:[0,0,1] neg_hi:[0,0,1]
	v_mov_b32_e32 v103, v107
	v_pk_add_f32 v[96:97], v[96:97], v[100:101]
	v_pk_fma_f32 v[106:107], v[152:153], v[136:137], v[108:109] neg_lo:[0,0,1] neg_hi:[0,0,1]
	v_mov_b32_e32 v107, v99
	v_pk_fma_f32 v[98:99], v[154:155], v[138:139], v[104:105] op_sel_hi:[1,0,1]
	s_wait_loadcnt 0x1
	v_pk_mul_f32 v[100:101], v[156:157], v[140:141] op_sel:[1,1] op_sel_hi:[0,1]
	v_pk_add_f32 v[96:97], v[96:97], v[102:103]
	v_mov_b32_e32 v98, v143
	v_pk_fma_f32 v[104:105], v[154:155], v[138:139], v[104:105] neg_lo:[0,0,1] neg_hi:[0,0,1]
	v_mov_b32_e32 v105, v99
	v_pk_fma_f32 v[102:103], v[156:157], v[140:141], v[100:101] op_sel_hi:[1,0,1]
	v_pk_add_f32 v[96:97], v[96:97], v[106:107]
	v_pk_mul_f32 v[98:99], v[200:201], v[98:99] op_sel_hi:[1,0]
	v_pk_fma_f32 v[100:101], v[156:157], v[140:141], v[100:101] neg_lo:[0,0,1] neg_hi:[0,0,1]
	s_delay_alu instid0(VALU_DEP_4) | instskip(NEXT) | instid1(VALU_DEP_4)
	v_mov_b32_e32 v101, v103
	v_pk_add_f32 v[96:97], v[96:97], v[104:105]
	s_delay_alu instid0(VALU_DEP_4) | instskip(SKIP_1) | instid1(VALU_DEP_2)
	v_pk_fma_f32 v[102:103], v[158:159], v[142:143], v[98:99] op_sel_hi:[1,0,1]
	v_pk_fma_f32 v[98:99], v[158:159], v[142:143], v[98:99] neg_lo:[0,0,1] neg_hi:[0,0,1]
	v_mov_b32_e32 v99, v103
	s_delay_alu instid0(VALU_DEP_4) | instskip(NEXT) | instid1(VALU_DEP_1)
	v_pk_add_f32 v[96:97], v[96:97], v[100:101]
	v_pk_add_f32 v[96:97], v[96:97], v[98:99]
	s_wait_loadcnt 0x0
	s_delay_alu instid0(VALU_DEP_1)
	v_pk_add_f32 v[96:97], v[192:193], v[96:97] neg_lo:[0,1] neg_hi:[0,1]
	scratch_store_b64 off, v[96:97], off offset:176
	s_wait_xcnt 0x0
	v_cmpx_lt_u32_e32 21, v0
	s_cbranch_execz .LBB110_253
; %bb.252:
	scratch_load_b64 v[96:97], off, off offset:168
	v_mov_b64_e32 v[98:99], 0
	scratch_store_b64 off, v[98:99], off offset:168
	s_wait_loadcnt 0x0
	ds_store_b64 v1, v[96:97]
.LBB110_253:
	s_wait_xcnt 0x0
	s_or_b32 exec_lo, exec_lo, s0
	s_wait_storecnt_dscnt 0x0
	s_barrier_signal -1
	s_barrier_wait -1
	s_clause 0xd
	scratch_load_b128 v[96:99], off, off offset:176
	scratch_load_b128 v[100:103], off, off offset:192
	;; [unrolled: 1-line block ×12, first 2 shown]
	scratch_load_b64 v[192:193], off, off offset:368
	scratch_load_b64 v[194:195], off, off offset:168
	v_mov_b32_e32 v7, 0
	ds_load_b128 v[144:147], v7 offset:688
	ds_load_b128 v[148:151], v7 offset:704
	;; [unrolled: 1-line block ×12, first 2 shown]
	ds_load_b64 v[196:197], v7 offset:752
	s_mov_b32 s0, exec_lo
	s_wait_dscnt 0xc
	v_dual_mov_b32 v198, v147 :: v_dual_mov_b32 v199, v146
	s_wait_dscnt 0x9
	v_dual_mov_b32 v200, v151 :: v_dual_mov_b32 v205, v158
	v_dual_mov_b32 v201, v150 :: v_dual_mov_b32 v202, v155
	;; [unrolled: 1-line block ×3, first 2 shown]
	s_wait_loadcnt_dscnt 0xd08
	v_dual_mul_f32 v9, v160, v97 :: v_dual_mul_f32 v39, v161, v97
	v_dual_mul_f32 v41, v163, v99 :: v_dual_mul_f32 v11, v162, v99
	s_wait_loadcnt_dscnt 0xc07
	v_mul_f32_e32 v13, v164, v101
	s_wait_loadcnt_dscnt 0xa05
	v_dual_mul_f32 v51, v173, v109 :: v_dual_fma_f32 v39, v160, v96, -v39
	v_dual_fmac_f32 v9, v161, v96 :: v_dual_mul_f32 v53, v175, v111
	v_dual_mul_f32 v43, v165, v101 :: v_dual_mul_f32 v45, v167, v103
	v_dual_fmac_f32 v11, v163, v98 :: v_dual_fma_f32 v41, v162, v98, -v41
	s_delay_alu instid0(VALU_DEP_3) | instskip(SKIP_4) | instid1(VALU_DEP_3)
	v_dual_add_f32 v9, 0, v9 :: v_dual_add_f32 v39, 0, v39
	v_dual_mul_f32 v15, v166, v103 :: v_dual_mul_f32 v17, v168, v105
	s_wait_loadcnt_dscnt 0x904
	v_dual_mul_f32 v55, v177, v113 :: v_dual_fma_f32 v43, v164, v100, -v43
	v_fmac_f32_e32 v13, v165, v100
	v_dual_add_f32 v9, v9, v11 :: v_dual_fmac_f32 v15, v167, v102
	v_add_f32_e32 v11, v39, v41
	v_dual_mul_f32 v47, v169, v105 :: v_dual_mul_f32 v49, v171, v107
	v_dual_mul_f32 v39, v179, v115 :: v_dual_fma_f32 v41, v166, v102, -v45
	s_delay_alu instid0(VALU_DEP_3) | instskip(SKIP_3) | instid1(VALU_DEP_3)
	v_dual_add_f32 v9, v9, v13 :: v_dual_add_f32 v11, v11, v43
	v_dual_mul_f32 v19, v170, v107 :: v_dual_mul_f32 v21, v172, v109
	s_wait_loadcnt_dscnt 0x803
	v_dual_mul_f32 v13, v181, v117 :: v_dual_fma_f32 v43, v168, v104, -v47
	v_dual_fmac_f32 v17, v169, v104 :: v_dual_add_f32 v11, v11, v41
	s_delay_alu instid0(VALU_DEP_3) | instskip(SKIP_1) | instid1(VALU_DEP_2)
	v_dual_add_f32 v9, v9, v15 :: v_dual_fmac_f32 v19, v171, v106
	v_dual_mul_f32 v15, v183, v119 :: v_dual_fma_f32 v41, v170, v106, -v49
	v_dual_add_f32 v11, v11, v43 :: v_dual_add_f32 v9, v9, v17
	v_dual_mul_f32 v23, v174, v111 :: v_dual_mul_f32 v25, v176, v113
	s_wait_loadcnt_dscnt 0x702
	v_dual_mul_f32 v17, v185, v121 :: v_dual_fma_f32 v43, v172, v108, -v51
	s_delay_alu instid0(VALU_DEP_3) | instskip(NEXT) | instid1(VALU_DEP_3)
	v_dual_fmac_f32 v21, v173, v108 :: v_dual_add_f32 v11, v11, v41
	v_dual_add_f32 v9, v9, v19 :: v_dual_fmac_f32 v23, v175, v110
	v_dual_mul_f32 v19, v187, v123 :: v_dual_fma_f32 v41, v174, v110, -v53
	s_delay_alu instid0(VALU_DEP_2) | instskip(SKIP_3) | instid1(VALU_DEP_3)
	v_dual_add_f32 v11, v11, v43 :: v_dual_add_f32 v9, v9, v21
	v_dual_mul_f32 v27, v178, v115 :: v_dual_mul_f32 v29, v180, v117
	s_wait_loadcnt_dscnt 0x601
	v_dual_mul_f32 v21, v189, v125 :: v_dual_fma_f32 v43, v176, v112, -v55
	v_dual_fmac_f32 v25, v177, v112 :: v_dual_add_f32 v11, v11, v41
	s_delay_alu instid0(VALU_DEP_3) | instskip(SKIP_1) | instid1(VALU_DEP_2)
	v_dual_add_f32 v9, v9, v23 :: v_dual_fmac_f32 v27, v179, v114
	v_dual_mul_f32 v23, v191, v127 :: v_dual_fma_f32 v39, v178, v114, -v39
	v_dual_add_f32 v11, v11, v43 :: v_dual_add_f32 v9, v9, v25
	v_dual_mul_f32 v31, v182, v119 :: v_dual_mul_f32 v33, v184, v121
	s_wait_loadcnt 0x5
	v_dual_mul_f32 v25, v145, v129 :: v_dual_fma_f32 v13, v180, v116, -v13
	s_delay_alu instid0(VALU_DEP_3) | instskip(SKIP_2) | instid1(VALU_DEP_3)
	v_dual_fmac_f32 v29, v181, v116 :: v_dual_add_f32 v11, v11, v39
	v_dual_add_f32 v9, v9, v27 :: v_dual_mov_b32 v96, v131
	v_fmac_f32_e32 v31, v183, v118
	v_dual_fma_f32 v15, v182, v118, -v15 :: v_dual_add_f32 v11, v11, v13
	s_delay_alu instid0(VALU_DEP_3) | instskip(SKIP_1) | instid1(VALU_DEP_3)
	v_dual_add_f32 v9, v9, v29 :: v_dual_mul_f32 v35, v186, v123
	v_dual_mul_f32 v37, v188, v125 :: v_dual_fmac_f32 v33, v185, v120
	v_dual_add_f32 v11, v11, v15 :: v_dual_fma_f32 v13, v184, v120, -v17
	s_wait_loadcnt 0x4
	s_delay_alu instid0(VALU_DEP_3) | instskip(SKIP_3) | instid1(VALU_DEP_4)
	v_dual_add_f32 v9, v9, v31 :: v_dual_mov_b32 v100, v135
	v_fma_f32 v15, v186, v122, -v19
	v_fmac_f32_e32 v35, v187, v122
	v_dual_add_f32 v11, v11, v13 :: v_dual_fmac_f32 v37, v189, v124
	v_dual_add_f32 v9, v9, v33 :: v_dual_mul_f32 v207, v190, v127
	v_mul_f32_e32 v209, v144, v129
	s_delay_alu instid0(VALU_DEP_3) | instskip(NEXT) | instid1(VALU_DEP_3)
	v_dual_fma_f32 v13, v188, v124, -v21 :: v_dual_add_f32 v11, v11, v15
	v_dual_fma_f32 v206, v190, v126, -v23 :: v_dual_add_f32 v9, v9, v35
	s_delay_alu instid0(VALU_DEP_4) | instskip(SKIP_1) | instid1(VALU_DEP_4)
	v_fmac_f32_e32 v207, v191, v126
	v_pk_mul_f32 v[96:97], v[198:199], v[96:97] op_sel_hi:[1,0]
	v_dual_add_f32 v104, v11, v13 :: v_dual_fmac_f32 v209, v145, v128
	s_delay_alu instid0(VALU_DEP_4)
	v_add_f32_e32 v105, v9, v37
	v_pk_mul_f32 v[98:99], v[148:149], v[132:133] op_sel:[1,1] op_sel_hi:[0,1]
	s_wait_loadcnt 0x3
	v_dual_mov_b32 v106, v139 :: v_dual_fma_f32 v208, v144, v128, -v25
	v_pk_fma_f32 v[108:109], v[146:147], v[130:131], v[96:97] op_sel_hi:[1,0,1]
	v_pk_add_f32 v[104:105], v[104:105], v[206:207]
	v_pk_fma_f32 v[96:97], v[146:147], v[130:131], v[96:97] neg_lo:[0,0,1] neg_hi:[0,0,1]
	v_pk_fma_f32 v[110:111], v[148:149], v[132:133], v[98:99] op_sel_hi:[1,0,1]
	v_pk_mul_f32 v[100:101], v[200:201], v[100:101] op_sel_hi:[1,0]
	v_mov_b32_e32 v97, v109
	v_pk_add_f32 v[104:105], v[104:105], v[208:209]
	v_pk_fma_f32 v[98:99], v[148:149], v[132:133], v[98:99] neg_lo:[0,0,1] neg_hi:[0,0,1]
	v_pk_mul_f32 v[102:103], v[152:153], v[136:137] op_sel:[1,1] op_sel_hi:[0,1]
	v_mov_b32_e32 v99, v111
	v_pk_fma_f32 v[110:111], v[150:151], v[134:135], v[100:101] op_sel_hi:[1,0,1]
	v_pk_add_f32 v[96:97], v[104:105], v[96:97]
	v_pk_fma_f32 v[100:101], v[150:151], v[134:135], v[100:101] neg_lo:[0,0,1] neg_hi:[0,0,1]
	v_pk_fma_f32 v[104:105], v[152:153], v[136:137], v[102:103] op_sel_hi:[1,0,1]
	v_pk_mul_f32 v[106:107], v[202:203], v[106:107] op_sel_hi:[1,0]
	v_mov_b32_e32 v101, v111
	v_pk_add_f32 v[96:97], v[96:97], v[98:99]
	v_pk_fma_f32 v[102:103], v[152:153], v[136:137], v[102:103] neg_lo:[0,0,1] neg_hi:[0,0,1]
	s_wait_loadcnt 0x2
	v_pk_mul_f32 v[108:109], v[156:157], v[140:141] op_sel:[1,1] op_sel_hi:[0,1]
	v_dual_mov_b32 v98, v143 :: v_dual_mov_b32 v103, v105
	v_pk_fma_f32 v[104:105], v[154:155], v[138:139], v[106:107] op_sel_hi:[1,0,1]
	v_pk_add_f32 v[96:97], v[96:97], v[100:101]
	v_pk_fma_f32 v[106:107], v[154:155], v[138:139], v[106:107] neg_lo:[0,0,1] neg_hi:[0,0,1]
	v_pk_fma_f32 v[100:101], v[156:157], v[140:141], v[108:109] op_sel_hi:[1,0,1]
	v_pk_mul_f32 v[98:99], v[204:205], v[98:99] op_sel_hi:[1,0]
	v_mov_b32_e32 v107, v105
	v_pk_add_f32 v[96:97], v[96:97], v[102:103]
	v_pk_fma_f32 v[102:103], v[156:157], v[140:141], v[108:109] neg_lo:[0,0,1] neg_hi:[0,0,1]
	v_mov_b32_e32 v103, v101
	v_pk_fma_f32 v[100:101], v[158:159], v[142:143], v[98:99] op_sel_hi:[1,0,1]
	s_wait_loadcnt_dscnt 0x100
	v_pk_mul_f32 v[104:105], v[196:197], v[192:193] op_sel:[1,1] op_sel_hi:[0,1]
	v_pk_add_f32 v[96:97], v[96:97], v[106:107]
	v_pk_fma_f32 v[98:99], v[158:159], v[142:143], v[98:99] neg_lo:[0,0,1] neg_hi:[0,0,1]
	v_mov_b32_e32 v99, v101
	s_delay_alu instid0(VALU_DEP_4) | instskip(NEXT) | instid1(VALU_DEP_4)
	v_pk_fma_f32 v[100:101], v[196:197], v[192:193], v[104:105] op_sel_hi:[1,0,1]
	v_pk_add_f32 v[96:97], v[96:97], v[102:103]
	v_pk_fma_f32 v[102:103], v[196:197], v[192:193], v[104:105] neg_lo:[0,0,1] neg_hi:[0,0,1]
	s_delay_alu instid0(VALU_DEP_3) | instskip(NEXT) | instid1(VALU_DEP_3)
	v_mov_b32_e32 v103, v101
	v_pk_add_f32 v[96:97], v[96:97], v[98:99]
	s_delay_alu instid0(VALU_DEP_1) | instskip(SKIP_1) | instid1(VALU_DEP_1)
	v_pk_add_f32 v[96:97], v[96:97], v[102:103]
	s_wait_loadcnt 0x0
	v_pk_add_f32 v[96:97], v[194:195], v[96:97] neg_lo:[0,1] neg_hi:[0,1]
	scratch_store_b64 off, v[96:97], off offset:168
	s_wait_xcnt 0x0
	v_cmpx_lt_u32_e32 20, v0
	s_cbranch_execz .LBB110_255
; %bb.254:
	scratch_load_b64 v[96:97], off, off offset:160
	v_mov_b64_e32 v[98:99], 0
	scratch_store_b64 off, v[98:99], off offset:160
	s_wait_loadcnt 0x0
	ds_store_b64 v1, v[96:97]
.LBB110_255:
	s_wait_xcnt 0x0
	s_or_b32 exec_lo, exec_lo, s0
	s_wait_storecnt_dscnt 0x0
	s_barrier_signal -1
	s_barrier_wait -1
	s_clause 0xd
	scratch_load_b128 v[96:99], off, off offset:168
	scratch_load_b128 v[100:103], off, off offset:184
	;; [unrolled: 1-line block ×13, first 2 shown]
	scratch_load_b64 v[200:201], off, off offset:160
	ds_load_2addr_b64 v[148:151], v7 offset0:87 offset1:88
	ds_load_2addr_b64 v[152:155], v7 offset0:89 offset1:90
	;; [unrolled: 1-line block ×13, first 2 shown]
	s_mov_b32 s0, exec_lo
	s_wait_dscnt 0xc
	v_dual_mov_b32 v202, v151 :: v_dual_mov_b32 v203, v150
	s_wait_dscnt 0xb
	v_dual_mov_b32 v204, v155 :: v_dual_mov_b32 v205, v154
	;; [unrolled: 2-line block ×4, first 2 shown]
	s_wait_loadcnt_dscnt 0xd08
	v_dual_mul_f32 v7, v164, v97 :: v_dual_mul_f32 v9, v166, v99
	v_dual_mul_f32 v39, v165, v97 :: v_dual_mul_f32 v41, v167, v99
	s_wait_loadcnt_dscnt 0xc07
	v_dual_mul_f32 v11, v168, v101 :: v_dual_mul_f32 v13, v170, v103
	s_delay_alu instid0(VALU_DEP_3) | instskip(SKIP_3) | instid1(VALU_DEP_3)
	v_dual_fmac_f32 v7, v165, v96 :: v_dual_fmac_f32 v9, v167, v98
	s_wait_loadcnt_dscnt 0xa05
	v_dual_fma_f32 v39, v164, v96, -v39 :: v_dual_mul_f32 v51, v177, v109
	v_dual_mul_f32 v43, v169, v101 :: v_dual_mul_f32 v45, v171, v103
	v_dual_fma_f32 v41, v166, v98, -v41 :: v_dual_add_f32 v7, 0, v7
	s_delay_alu instid0(VALU_DEP_3) | instskip(SKIP_1) | instid1(VALU_DEP_4)
	v_dual_add_f32 v39, 0, v39 :: v_dual_fmac_f32 v11, v169, v100
	v_dual_mul_f32 v15, v172, v105 :: v_dual_mul_f32 v17, v174, v107
	v_dual_mul_f32 v53, v179, v111 :: v_dual_fma_f32 v43, v168, v100, -v43
	s_delay_alu instid0(VALU_DEP_4) | instskip(NEXT) | instid1(VALU_DEP_3)
	v_add_f32_e32 v7, v7, v9
	v_dual_add_f32 v9, v39, v41 :: v_dual_fmac_f32 v15, v173, v104
	v_dual_mul_f32 v47, v173, v105 :: v_dual_mul_f32 v49, v175, v107
	s_wait_loadcnt_dscnt 0x903
	v_dual_mul_f32 v39, v185, v113 :: v_dual_fmac_f32 v13, v171, v102
	v_dual_fma_f32 v41, v170, v102, -v45 :: v_dual_add_f32 v7, v7, v11
	s_delay_alu instid0(VALU_DEP_3) | instskip(SKIP_1) | instid1(VALU_DEP_3)
	v_dual_add_f32 v9, v9, v43 :: v_dual_fma_f32 v43, v172, v104, -v47
	v_dual_mul_f32 v19, v176, v109 :: v_dual_mul_f32 v21, v178, v111
	v_add_f32_e32 v7, v7, v13
	s_delay_alu instid0(VALU_DEP_3) | instskip(SKIP_2) | instid1(VALU_DEP_3)
	v_dual_mul_f32 v11, v187, v115 :: v_dual_add_f32 v9, v9, v41
	s_wait_loadcnt_dscnt 0x802
	v_dual_mul_f32 v13, v189, v117 :: v_dual_fmac_f32 v17, v175, v106
	v_dual_fma_f32 v41, v174, v106, -v49 :: v_dual_add_f32 v7, v7, v15
	s_delay_alu instid0(VALU_DEP_3) | instskip(SKIP_1) | instid1(VALU_DEP_3)
	v_dual_add_f32 v9, v9, v43 :: v_dual_fma_f32 v43, v176, v108, -v51
	v_dual_mul_f32 v15, v191, v119 :: v_dual_fmac_f32 v19, v177, v108
	v_add_f32_e32 v7, v7, v17
	s_delay_alu instid0(VALU_DEP_3)
	v_dual_add_f32 v9, v9, v41 :: v_dual_fmac_f32 v21, v179, v110
	v_dual_mul_f32 v23, v184, v113 :: v_dual_mul_f32 v25, v186, v115
	s_wait_loadcnt_dscnt 0x701
	v_dual_fma_f32 v41, v178, v110, -v53 :: v_dual_mul_f32 v17, v193, v121
	v_add_f32_e32 v7, v7, v19
	v_dual_add_f32 v9, v9, v43 :: v_dual_fma_f32 v39, v184, v112, -v39
	v_dual_mul_f32 v19, v195, v123 :: v_dual_fmac_f32 v23, v185, v112
	s_delay_alu instid0(VALU_DEP_3) | instskip(NEXT) | instid1(VALU_DEP_3)
	v_dual_add_f32 v7, v7, v21 :: v_dual_fma_f32 v11, v186, v114, -v11
	v_dual_add_f32 v9, v9, v41 :: v_dual_fmac_f32 v25, v187, v114
	v_dual_mul_f32 v27, v188, v117 :: v_dual_mul_f32 v29, v190, v119
	s_wait_loadcnt_dscnt 0x600
	s_delay_alu instid0(VALU_DEP_3) | instskip(NEXT) | instid1(VALU_DEP_3)
	v_dual_mul_f32 v21, v197, v125 :: v_dual_add_f32 v7, v7, v23
	v_dual_add_f32 v9, v9, v39 :: v_dual_fma_f32 v13, v188, v116, -v13
	s_delay_alu instid0(VALU_DEP_3) | instskip(NEXT) | instid1(VALU_DEP_2)
	v_dual_mul_f32 v23, v199, v127 :: v_dual_fmac_f32 v27, v189, v116
	v_dual_add_f32 v7, v7, v25 :: v_dual_add_f32 v9, v9, v11
	v_dual_mul_f32 v31, v192, v121 :: v_dual_mul_f32 v33, v194, v123
	s_wait_loadcnt 0x5
	v_dual_mul_f32 v11, v181, v129 :: v_dual_fmac_f32 v29, v191, v118
	s_delay_alu instid0(VALU_DEP_3) | instskip(SKIP_2) | instid1(VALU_DEP_2)
	v_dual_fma_f32 v15, v190, v118, -v15 :: v_dual_add_f32 v7, v7, v27
	v_dual_add_f32 v9, v9, v13 :: v_dual_mul_f32 v13, v183, v131
	v_dual_fmac_f32 v31, v193, v120 :: v_dual_fma_f32 v17, v192, v120, -v17
	v_dual_add_f32 v7, v7, v29 :: v_dual_add_f32 v9, v9, v15
	v_dual_mul_f32 v35, v196, v125 :: v_dual_mul_f32 v37, v198, v127
	v_dual_fmac_f32 v33, v195, v122 :: v_dual_fma_f32 v15, v194, v122, -v19
	s_delay_alu instid0(VALU_DEP_3) | instskip(SKIP_1) | instid1(VALU_DEP_3)
	v_dual_add_f32 v7, v7, v31 :: v_dual_add_f32 v9, v9, v17
	s_wait_loadcnt 0x4
	v_dual_mov_b32 v98, v135 :: v_dual_fmac_f32 v35, v197, v124
	s_delay_alu instid0(VALU_DEP_2) | instskip(NEXT) | instid1(VALU_DEP_3)
	v_dual_fma_f32 v17, v196, v124, -v21 :: v_dual_add_f32 v7, v7, v33
	v_dual_add_f32 v9, v9, v15 :: v_dual_fmac_f32 v37, v199, v126
	v_dual_mul_f32 v211, v180, v129 :: v_dual_mul_f32 v213, v182, v131
	s_delay_alu instid0(VALU_DEP_3) | instskip(SKIP_1) | instid1(VALU_DEP_3)
	v_dual_fma_f32 v15, v198, v126, -v23 :: v_dual_add_f32 v7, v7, v35
	s_wait_loadcnt 0x3
	v_dual_add_f32 v9, v9, v17 :: v_dual_mov_b32 v102, v139
	v_pk_mul_f32 v[96:97], v[148:149], v[132:133] op_sel:[1,1] op_sel_hi:[0,1]
	s_delay_alu instid0(VALU_DEP_3) | instskip(NEXT) | instid1(VALU_DEP_3)
	v_dual_fmac_f32 v211, v181, v128 :: v_dual_add_f32 v105, v7, v37
	v_dual_fma_f32 v210, v180, v128, -v11 :: v_dual_add_f32 v104, v9, v15
	v_fmac_f32_e32 v213, v183, v130
	s_delay_alu instid0(VALU_DEP_4)
	v_pk_fma_f32 v[106:107], v[148:149], v[132:133], v[96:97] op_sel_hi:[1,0,1]
	v_fma_f32 v212, v182, v130, -v13
	v_pk_mul_f32 v[98:99], v[202:203], v[98:99] op_sel_hi:[1,0]
	v_pk_add_f32 v[104:105], v[104:105], v[210:211]
	v_pk_fma_f32 v[96:97], v[148:149], v[132:133], v[96:97] neg_lo:[0,0,1] neg_hi:[0,0,1]
	v_pk_mul_f32 v[100:101], v[152:153], v[136:137] op_sel:[1,1] op_sel_hi:[0,1]
	v_mov_b32_e32 v97, v107
	v_pk_fma_f32 v[106:107], v[150:151], v[134:135], v[98:99] op_sel_hi:[1,0,1]
	v_pk_add_f32 v[104:105], v[104:105], v[212:213]
	v_pk_fma_f32 v[98:99], v[150:151], v[134:135], v[98:99] neg_lo:[0,0,1] neg_hi:[0,0,1]
	v_pk_fma_f32 v[110:111], v[152:153], v[136:137], v[100:101] op_sel_hi:[1,0,1]
	v_pk_mul_f32 v[102:103], v[204:205], v[102:103] op_sel_hi:[1,0]
	v_mov_b32_e32 v99, v107
	v_pk_add_f32 v[96:97], v[104:105], v[96:97]
	s_wait_loadcnt 0x2
	v_pk_mul_f32 v[108:109], v[156:157], v[140:141] op_sel:[1,1] op_sel_hi:[0,1]
	v_mov_b32_e32 v104, v143
	v_pk_fma_f32 v[100:101], v[152:153], v[136:137], v[100:101] neg_lo:[0,0,1] neg_hi:[0,0,1]
	v_pk_fma_f32 v[106:107], v[154:155], v[138:139], v[102:103] op_sel_hi:[1,0,1]
	v_mov_b32_e32 v101, v111
	v_pk_add_f32 v[96:97], v[96:97], v[98:99]
	v_pk_fma_f32 v[98:99], v[156:157], v[140:141], v[108:109] op_sel_hi:[1,0,1]
	v_pk_mul_f32 v[104:105], v[206:207], v[104:105] op_sel_hi:[1,0]
	v_pk_fma_f32 v[102:103], v[154:155], v[138:139], v[102:103] neg_lo:[0,0,1] neg_hi:[0,0,1]
	v_mov_b32_e32 v103, v107
	v_pk_add_f32 v[96:97], v[96:97], v[100:101]
	v_pk_fma_f32 v[106:107], v[156:157], v[140:141], v[108:109] neg_lo:[0,0,1] neg_hi:[0,0,1]
	v_mov_b32_e32 v107, v99
	v_pk_fma_f32 v[98:99], v[158:159], v[142:143], v[104:105] op_sel_hi:[1,0,1]
	s_wait_loadcnt 0x1
	v_pk_mul_f32 v[100:101], v[160:161], v[144:145] op_sel:[1,1] op_sel_hi:[0,1]
	v_pk_add_f32 v[96:97], v[96:97], v[102:103]
	v_mov_b32_e32 v98, v147
	v_pk_fma_f32 v[104:105], v[158:159], v[142:143], v[104:105] neg_lo:[0,0,1] neg_hi:[0,0,1]
	s_delay_alu instid0(VALU_DEP_4)
	v_pk_fma_f32 v[102:103], v[160:161], v[144:145], v[100:101] op_sel_hi:[1,0,1]
	v_mov_b32_e32 v105, v99
	v_pk_add_f32 v[96:97], v[96:97], v[106:107]
	v_pk_mul_f32 v[98:99], v[208:209], v[98:99] op_sel_hi:[1,0]
	v_pk_fma_f32 v[100:101], v[160:161], v[144:145], v[100:101] neg_lo:[0,0,1] neg_hi:[0,0,1]
	v_mov_b32_e32 v101, v103
	s_delay_alu instid0(VALU_DEP_4) | instskip(NEXT) | instid1(VALU_DEP_4)
	v_pk_add_f32 v[96:97], v[96:97], v[104:105]
	v_pk_fma_f32 v[102:103], v[162:163], v[146:147], v[98:99] op_sel_hi:[1,0,1]
	v_pk_fma_f32 v[98:99], v[162:163], v[146:147], v[98:99] neg_lo:[0,0,1] neg_hi:[0,0,1]
	s_delay_alu instid0(VALU_DEP_3) | instskip(NEXT) | instid1(VALU_DEP_3)
	v_pk_add_f32 v[96:97], v[96:97], v[100:101]
	v_mov_b32_e32 v99, v103
	s_delay_alu instid0(VALU_DEP_1) | instskip(SKIP_1) | instid1(VALU_DEP_1)
	v_pk_add_f32 v[96:97], v[96:97], v[98:99]
	s_wait_loadcnt 0x0
	v_pk_add_f32 v[96:97], v[200:201], v[96:97] neg_lo:[0,1] neg_hi:[0,1]
	scratch_store_b64 off, v[96:97], off offset:160
	s_wait_xcnt 0x0
	v_cmpx_lt_u32_e32 19, v0
	s_cbranch_execz .LBB110_257
; %bb.256:
	scratch_load_b64 v[96:97], off, off offset:152
	v_mov_b64_e32 v[98:99], 0
	scratch_store_b64 off, v[98:99], off offset:152
	s_wait_loadcnt 0x0
	ds_store_b64 v1, v[96:97]
.LBB110_257:
	s_wait_xcnt 0x0
	s_or_b32 exec_lo, exec_lo, s0
	s_wait_storecnt_dscnt 0x0
	s_barrier_signal -1
	s_barrier_wait -1
	s_clause 0xe
	scratch_load_b128 v[96:99], off, off offset:160
	scratch_load_b128 v[100:103], off, off offset:176
	;; [unrolled: 1-line block ×13, first 2 shown]
	scratch_load_b64 v[200:201], off, off offset:368
	scratch_load_b64 v[202:203], off, off offset:152
	v_mov_b32_e32 v7, 0
	ds_load_b128 v[148:151], v7 offset:688
	ds_load_b128 v[152:155], v7 offset:704
	;; [unrolled: 1-line block ×13, first 2 shown]
	ds_load_b64 v[204:205], v7 offset:752
	s_mov_b32 s0, exec_lo
	s_wait_dscnt 0xd
	v_dual_mov_b32 v206, v151 :: v_dual_mov_b32 v207, v150
	s_wait_dscnt 0xa
	v_dual_mov_b32 v208, v155 :: v_dual_mov_b32 v213, v162
	v_dual_mov_b32 v209, v154 :: v_dual_mov_b32 v210, v159
	;; [unrolled: 1-line block ×3, first 2 shown]
	s_wait_loadcnt_dscnt 0xe09
	v_dual_mul_f32 v9, v164, v97 :: v_dual_mul_f32 v43, v165, v97
	v_dual_mul_f32 v45, v167, v99 :: v_dual_mul_f32 v11, v166, v99
	s_wait_loadcnt_dscnt 0xd08
	v_mul_f32_e32 v13, v168, v101
	s_wait_loadcnt_dscnt 0xb05
	v_dual_mul_f32 v55, v181, v109 :: v_dual_fma_f32 v43, v164, v96, -v43
	v_dual_fmac_f32 v9, v165, v96 :: v_dual_mul_f32 v57, v183, v111
	v_dual_mul_f32 v47, v169, v101 :: v_dual_mul_f32 v49, v171, v103
	v_dual_fmac_f32 v11, v167, v98 :: v_dual_fma_f32 v45, v166, v98, -v45
	s_delay_alu instid0(VALU_DEP_3) | instskip(SKIP_4) | instid1(VALU_DEP_3)
	v_dual_add_f32 v9, 0, v9 :: v_dual_add_f32 v43, 0, v43
	v_dual_mul_f32 v15, v170, v103 :: v_dual_mul_f32 v17, v172, v105
	s_wait_loadcnt_dscnt 0xa04
	v_dual_mul_f32 v59, v185, v113 :: v_dual_fma_f32 v47, v168, v100, -v47
	v_fmac_f32_e32 v13, v169, v100
	v_dual_add_f32 v9, v9, v11 :: v_dual_fmac_f32 v15, v171, v102
	v_add_f32_e32 v11, v43, v45
	v_dual_mul_f32 v51, v173, v105 :: v_dual_mul_f32 v53, v175, v107
	v_dual_mul_f32 v43, v187, v115 :: v_dual_fma_f32 v45, v170, v102, -v49
	s_delay_alu instid0(VALU_DEP_3) | instskip(SKIP_3) | instid1(VALU_DEP_3)
	v_dual_add_f32 v9, v9, v13 :: v_dual_add_f32 v11, v11, v47
	v_dual_mul_f32 v19, v174, v107 :: v_dual_mul_f32 v21, v180, v109
	s_wait_loadcnt_dscnt 0x903
	v_dual_mul_f32 v13, v189, v117 :: v_dual_fma_f32 v47, v172, v104, -v51
	v_dual_fmac_f32 v17, v173, v104 :: v_dual_add_f32 v11, v11, v45
	s_delay_alu instid0(VALU_DEP_3) | instskip(SKIP_1) | instid1(VALU_DEP_2)
	v_dual_add_f32 v9, v9, v15 :: v_dual_fmac_f32 v19, v175, v106
	v_dual_mul_f32 v15, v191, v119 :: v_dual_fma_f32 v45, v174, v106, -v53
	v_dual_add_f32 v11, v11, v47 :: v_dual_add_f32 v9, v9, v17
	v_dual_mul_f32 v23, v182, v111 :: v_dual_mul_f32 v25, v184, v113
	s_wait_loadcnt_dscnt 0x802
	v_dual_mul_f32 v17, v193, v121 :: v_dual_fma_f32 v47, v180, v108, -v55
	s_delay_alu instid0(VALU_DEP_3) | instskip(NEXT) | instid1(VALU_DEP_3)
	v_dual_fmac_f32 v21, v181, v108 :: v_dual_add_f32 v11, v11, v45
	v_dual_add_f32 v9, v9, v19 :: v_dual_fmac_f32 v23, v183, v110
	v_dual_mul_f32 v19, v195, v123 :: v_dual_fma_f32 v45, v182, v110, -v57
	s_delay_alu instid0(VALU_DEP_2) | instskip(SKIP_3) | instid1(VALU_DEP_3)
	v_dual_add_f32 v11, v11, v47 :: v_dual_add_f32 v9, v9, v21
	v_dual_mul_f32 v27, v186, v115 :: v_dual_mul_f32 v29, v188, v117
	s_wait_loadcnt_dscnt 0x701
	v_dual_mul_f32 v21, v197, v125 :: v_dual_fma_f32 v47, v184, v112, -v59
	v_dual_fmac_f32 v25, v185, v112 :: v_dual_add_f32 v11, v11, v45
	s_delay_alu instid0(VALU_DEP_3) | instskip(SKIP_1) | instid1(VALU_DEP_2)
	v_dual_add_f32 v9, v9, v23 :: v_dual_fmac_f32 v27, v187, v114
	v_dual_mul_f32 v23, v199, v127 :: v_dual_fma_f32 v43, v186, v114, -v43
	v_dual_add_f32 v11, v11, v47 :: v_dual_add_f32 v9, v9, v25
	v_dual_mul_f32 v31, v190, v119 :: v_dual_mul_f32 v33, v192, v121
	s_wait_loadcnt 0x6
	v_dual_mul_f32 v25, v177, v129 :: v_dual_fma_f32 v13, v188, v116, -v13
	s_delay_alu instid0(VALU_DEP_3) | instskip(NEXT) | instid1(VALU_DEP_3)
	v_dual_fmac_f32 v29, v189, v116 :: v_dual_add_f32 v11, v11, v43
	v_dual_add_f32 v9, v9, v27 :: v_dual_fmac_f32 v31, v191, v118
	v_dual_mul_f32 v27, v179, v131 :: v_dual_fma_f32 v15, v190, v118, -v15
	s_delay_alu instid0(VALU_DEP_3) | instskip(NEXT) | instid1(VALU_DEP_3)
	v_dual_add_f32 v11, v11, v13 :: v_dual_fmac_f32 v33, v193, v120
	v_dual_add_f32 v9, v9, v29 :: v_dual_fma_f32 v17, v192, v120, -v17
	v_dual_mul_f32 v35, v194, v123 :: v_dual_mul_f32 v37, v196, v125
	s_wait_loadcnt 0x5
	s_delay_alu instid0(VALU_DEP_3) | instskip(NEXT) | instid1(VALU_DEP_3)
	v_dual_mul_f32 v13, v149, v133 :: v_dual_add_f32 v11, v11, v15
	v_dual_add_f32 v9, v9, v31 :: v_dual_mov_b32 v96, v135
	s_delay_alu instid0(VALU_DEP_3) | instskip(NEXT) | instid1(VALU_DEP_3)
	v_fmac_f32_e32 v35, v195, v122
	v_dual_fma_f32 v15, v194, v122, -v19 :: v_dual_add_f32 v11, v11, v17
	s_delay_alu instid0(VALU_DEP_3) | instskip(SKIP_1) | instid1(VALU_DEP_3)
	v_dual_add_f32 v9, v9, v33 :: v_dual_mul_f32 v39, v198, v127
	v_dual_mul_f32 v41, v176, v129 :: v_dual_fmac_f32 v37, v197, v124
	v_dual_add_f32 v11, v11, v15 :: v_dual_fma_f32 v17, v196, v124, -v21
	s_wait_loadcnt 0x4
	s_delay_alu instid0(VALU_DEP_3) | instskip(SKIP_3) | instid1(VALU_DEP_4)
	v_dual_add_f32 v9, v9, v35 :: v_dual_mov_b32 v100, v139
	v_fma_f32 v15, v198, v126, -v23
	v_fmac_f32_e32 v39, v199, v126
	v_dual_add_f32 v11, v11, v17 :: v_dual_fmac_f32 v41, v177, v128
	v_dual_add_f32 v9, v9, v37 :: v_dual_mul_f32 v215, v178, v131
	v_mul_f32_e32 v217, v148, v133
	s_delay_alu instid0(VALU_DEP_3) | instskip(NEXT) | instid1(VALU_DEP_3)
	v_dual_fma_f32 v17, v176, v128, -v25 :: v_dual_add_f32 v11, v11, v15
	v_dual_fma_f32 v214, v178, v130, -v27 :: v_dual_add_f32 v9, v9, v39
	s_delay_alu instid0(VALU_DEP_4) | instskip(SKIP_1) | instid1(VALU_DEP_4)
	v_fmac_f32_e32 v215, v179, v130
	v_pk_mul_f32 v[96:97], v[206:207], v[96:97] op_sel_hi:[1,0]
	v_dual_add_f32 v104, v11, v17 :: v_dual_fmac_f32 v217, v149, v132
	s_delay_alu instid0(VALU_DEP_4)
	v_add_f32_e32 v105, v9, v41
	v_pk_mul_f32 v[98:99], v[152:153], v[136:137] op_sel:[1,1] op_sel_hi:[0,1]
	s_wait_loadcnt 0x3
	v_dual_mov_b32 v106, v143 :: v_dual_fma_f32 v216, v148, v132, -v13
	v_pk_fma_f32 v[108:109], v[150:151], v[134:135], v[96:97] op_sel_hi:[1,0,1]
	v_pk_add_f32 v[104:105], v[104:105], v[214:215]
	v_pk_fma_f32 v[96:97], v[150:151], v[134:135], v[96:97] neg_lo:[0,0,1] neg_hi:[0,0,1]
	v_pk_fma_f32 v[110:111], v[152:153], v[136:137], v[98:99] op_sel_hi:[1,0,1]
	v_pk_mul_f32 v[100:101], v[208:209], v[100:101] op_sel_hi:[1,0]
	v_mov_b32_e32 v97, v109
	v_pk_add_f32 v[104:105], v[104:105], v[216:217]
	v_pk_fma_f32 v[98:99], v[152:153], v[136:137], v[98:99] neg_lo:[0,0,1] neg_hi:[0,0,1]
	v_pk_mul_f32 v[102:103], v[156:157], v[140:141] op_sel:[1,1] op_sel_hi:[0,1]
	v_mov_b32_e32 v99, v111
	v_pk_fma_f32 v[110:111], v[154:155], v[138:139], v[100:101] op_sel_hi:[1,0,1]
	v_pk_add_f32 v[96:97], v[104:105], v[96:97]
	v_pk_fma_f32 v[100:101], v[154:155], v[138:139], v[100:101] neg_lo:[0,0,1] neg_hi:[0,0,1]
	v_pk_fma_f32 v[104:105], v[156:157], v[140:141], v[102:103] op_sel_hi:[1,0,1]
	v_pk_mul_f32 v[106:107], v[210:211], v[106:107] op_sel_hi:[1,0]
	v_mov_b32_e32 v101, v111
	v_pk_add_f32 v[96:97], v[96:97], v[98:99]
	v_pk_fma_f32 v[102:103], v[156:157], v[140:141], v[102:103] neg_lo:[0,0,1] neg_hi:[0,0,1]
	s_wait_loadcnt 0x2
	v_pk_mul_f32 v[108:109], v[160:161], v[144:145] op_sel:[1,1] op_sel_hi:[0,1]
	v_dual_mov_b32 v98, v147 :: v_dual_mov_b32 v103, v105
	v_pk_fma_f32 v[104:105], v[158:159], v[142:143], v[106:107] op_sel_hi:[1,0,1]
	v_pk_add_f32 v[96:97], v[96:97], v[100:101]
	v_pk_fma_f32 v[106:107], v[158:159], v[142:143], v[106:107] neg_lo:[0,0,1] neg_hi:[0,0,1]
	v_pk_fma_f32 v[100:101], v[160:161], v[144:145], v[108:109] op_sel_hi:[1,0,1]
	v_pk_mul_f32 v[98:99], v[212:213], v[98:99] op_sel_hi:[1,0]
	v_mov_b32_e32 v107, v105
	v_pk_add_f32 v[96:97], v[96:97], v[102:103]
	v_pk_fma_f32 v[102:103], v[160:161], v[144:145], v[108:109] neg_lo:[0,0,1] neg_hi:[0,0,1]
	v_mov_b32_e32 v103, v101
	v_pk_fma_f32 v[100:101], v[162:163], v[146:147], v[98:99] op_sel_hi:[1,0,1]
	s_wait_loadcnt_dscnt 0x100
	v_pk_mul_f32 v[104:105], v[204:205], v[200:201] op_sel:[1,1] op_sel_hi:[0,1]
	v_pk_add_f32 v[96:97], v[96:97], v[106:107]
	v_pk_fma_f32 v[98:99], v[162:163], v[146:147], v[98:99] neg_lo:[0,0,1] neg_hi:[0,0,1]
	v_mov_b32_e32 v99, v101
	s_delay_alu instid0(VALU_DEP_4) | instskip(NEXT) | instid1(VALU_DEP_4)
	v_pk_fma_f32 v[100:101], v[204:205], v[200:201], v[104:105] op_sel_hi:[1,0,1]
	v_pk_add_f32 v[96:97], v[96:97], v[102:103]
	v_pk_fma_f32 v[102:103], v[204:205], v[200:201], v[104:105] neg_lo:[0,0,1] neg_hi:[0,0,1]
	s_delay_alu instid0(VALU_DEP_3) | instskip(NEXT) | instid1(VALU_DEP_3)
	v_mov_b32_e32 v103, v101
	v_pk_add_f32 v[96:97], v[96:97], v[98:99]
	s_delay_alu instid0(VALU_DEP_1) | instskip(SKIP_1) | instid1(VALU_DEP_1)
	v_pk_add_f32 v[96:97], v[96:97], v[102:103]
	s_wait_loadcnt 0x0
	v_pk_add_f32 v[96:97], v[202:203], v[96:97] neg_lo:[0,1] neg_hi:[0,1]
	scratch_store_b64 off, v[96:97], off offset:152
	s_wait_xcnt 0x0
	v_cmpx_lt_u32_e32 18, v0
	s_cbranch_execz .LBB110_259
; %bb.258:
	scratch_load_b64 v[96:97], off, off offset:144
	v_mov_b64_e32 v[98:99], 0
	scratch_store_b64 off, v[98:99], off offset:144
	s_wait_loadcnt 0x0
	ds_store_b64 v1, v[96:97]
.LBB110_259:
	s_wait_xcnt 0x0
	s_or_b32 exec_lo, exec_lo, s0
	s_wait_storecnt_dscnt 0x0
	s_barrier_signal -1
	s_barrier_wait -1
	s_clause 0xe
	scratch_load_b128 v[96:99], off, off offset:152
	scratch_load_b128 v[100:103], off, off offset:168
	;; [unrolled: 1-line block ×14, first 2 shown]
	scratch_load_b64 v[208:209], off, off offset:144
	ds_load_2addr_b64 v[152:155], v7 offset0:87 offset1:88
	ds_load_2addr_b64 v[156:159], v7 offset0:89 offset1:90
	;; [unrolled: 1-line block ×14, first 2 shown]
	s_mov_b32 s0, exec_lo
	s_wait_dscnt 0xd
	v_dual_mov_b32 v210, v155 :: v_dual_mov_b32 v211, v154
	s_wait_dscnt 0xc
	v_dual_mov_b32 v212, v159 :: v_dual_mov_b32 v213, v158
	;; [unrolled: 2-line block ×4, first 2 shown]
	s_wait_loadcnt_dscnt 0xe09
	v_dual_mul_f32 v7, v168, v97 :: v_dual_mul_f32 v9, v170, v99
	v_dual_mul_f32 v43, v169, v97 :: v_dual_mul_f32 v45, v171, v99
	s_wait_loadcnt_dscnt 0xd08
	v_dual_mul_f32 v11, v172, v101 :: v_dual_mul_f32 v13, v174, v103
	s_delay_alu instid0(VALU_DEP_3) | instskip(SKIP_3) | instid1(VALU_DEP_3)
	v_dual_fmac_f32 v7, v169, v96 :: v_dual_fmac_f32 v9, v171, v98
	s_wait_loadcnt_dscnt 0xb06
	v_dual_fma_f32 v43, v168, v96, -v43 :: v_dual_mul_f32 v55, v181, v109
	v_dual_mul_f32 v47, v173, v101 :: v_dual_mul_f32 v49, v175, v103
	v_dual_fma_f32 v45, v170, v98, -v45 :: v_dual_add_f32 v7, 0, v7
	s_delay_alu instid0(VALU_DEP_3) | instskip(SKIP_1) | instid1(VALU_DEP_4)
	v_dual_add_f32 v43, 0, v43 :: v_dual_fmac_f32 v11, v173, v100
	v_dual_mul_f32 v15, v176, v105 :: v_dual_mul_f32 v17, v178, v107
	v_dual_mul_f32 v57, v183, v111 :: v_dual_fma_f32 v47, v172, v100, -v47
	s_delay_alu instid0(VALU_DEP_4) | instskip(NEXT) | instid1(VALU_DEP_3)
	v_add_f32_e32 v7, v7, v9
	v_dual_add_f32 v9, v43, v45 :: v_dual_fmac_f32 v15, v177, v104
	v_dual_mul_f32 v51, v177, v105 :: v_dual_mul_f32 v53, v179, v107
	s_wait_loadcnt_dscnt 0xa05
	v_dual_mul_f32 v43, v185, v113 :: v_dual_fmac_f32 v13, v175, v102
	v_dual_fma_f32 v45, v174, v102, -v49 :: v_dual_add_f32 v7, v7, v11
	s_delay_alu instid0(VALU_DEP_3) | instskip(SKIP_1) | instid1(VALU_DEP_3)
	v_dual_add_f32 v9, v9, v47 :: v_dual_fma_f32 v47, v176, v104, -v51
	v_dual_mul_f32 v19, v180, v109 :: v_dual_mul_f32 v21, v182, v111
	v_add_f32_e32 v7, v7, v13
	s_delay_alu instid0(VALU_DEP_3) | instskip(SKIP_2) | instid1(VALU_DEP_3)
	v_dual_mul_f32 v11, v187, v115 :: v_dual_add_f32 v9, v9, v45
	s_wait_loadcnt_dscnt 0x904
	v_dual_mul_f32 v13, v189, v117 :: v_dual_fmac_f32 v17, v179, v106
	v_dual_fma_f32 v45, v178, v106, -v53 :: v_dual_add_f32 v7, v7, v15
	s_delay_alu instid0(VALU_DEP_3) | instskip(SKIP_1) | instid1(VALU_DEP_3)
	v_dual_add_f32 v9, v9, v47 :: v_dual_fma_f32 v47, v180, v108, -v55
	v_dual_mul_f32 v15, v191, v119 :: v_dual_fmac_f32 v19, v181, v108
	v_add_f32_e32 v7, v7, v17
	s_delay_alu instid0(VALU_DEP_3)
	v_dual_add_f32 v9, v9, v45 :: v_dual_fmac_f32 v21, v183, v110
	v_dual_mul_f32 v23, v184, v113 :: v_dual_mul_f32 v25, v186, v115
	s_wait_loadcnt_dscnt 0x803
	v_dual_fma_f32 v45, v182, v110, -v57 :: v_dual_mul_f32 v17, v193, v121
	v_add_f32_e32 v7, v7, v19
	v_dual_add_f32 v9, v9, v47 :: v_dual_fma_f32 v43, v184, v112, -v43
	v_dual_mul_f32 v19, v195, v123 :: v_dual_fmac_f32 v23, v185, v112
	s_delay_alu instid0(VALU_DEP_3) | instskip(NEXT) | instid1(VALU_DEP_3)
	v_dual_add_f32 v7, v7, v21 :: v_dual_fma_f32 v11, v186, v114, -v11
	v_dual_add_f32 v9, v9, v45 :: v_dual_fmac_f32 v25, v187, v114
	v_dual_mul_f32 v27, v188, v117 :: v_dual_mul_f32 v29, v190, v119
	s_wait_loadcnt_dscnt 0x702
	s_delay_alu instid0(VALU_DEP_3) | instskip(NEXT) | instid1(VALU_DEP_3)
	v_dual_mul_f32 v21, v197, v125 :: v_dual_add_f32 v7, v7, v23
	v_dual_add_f32 v9, v9, v43 :: v_dual_fma_f32 v13, v188, v116, -v13
	s_delay_alu instid0(VALU_DEP_3) | instskip(NEXT) | instid1(VALU_DEP_2)
	v_dual_mul_f32 v23, v199, v127 :: v_dual_fmac_f32 v27, v189, v116
	v_dual_add_f32 v7, v7, v25 :: v_dual_add_f32 v9, v9, v11
	v_dual_mul_f32 v31, v192, v121 :: v_dual_mul_f32 v33, v194, v123
	s_wait_loadcnt_dscnt 0x601
	v_dual_mul_f32 v11, v201, v129 :: v_dual_fmac_f32 v29, v191, v118
	s_delay_alu instid0(VALU_DEP_3) | instskip(SKIP_2) | instid1(VALU_DEP_2)
	v_dual_fma_f32 v15, v190, v118, -v15 :: v_dual_add_f32 v7, v7, v27
	v_dual_add_f32 v9, v9, v13 :: v_dual_mul_f32 v13, v203, v131
	v_dual_fmac_f32 v31, v193, v120 :: v_dual_fma_f32 v17, v192, v120, -v17
	v_dual_add_f32 v7, v7, v29 :: v_dual_add_f32 v9, v9, v15
	v_dual_mul_f32 v35, v196, v125 :: v_dual_mul_f32 v37, v198, v127
	s_wait_loadcnt_dscnt 0x500
	v_dual_mul_f32 v15, v205, v133 :: v_dual_fmac_f32 v33, v195, v122
	s_delay_alu instid0(VALU_DEP_3) | instskip(SKIP_2) | instid1(VALU_DEP_2)
	v_dual_fma_f32 v19, v194, v122, -v19 :: v_dual_add_f32 v7, v7, v31
	v_dual_add_f32 v9, v9, v17 :: v_dual_mul_f32 v17, v207, v135
	v_dual_fmac_f32 v35, v197, v124 :: v_dual_fma_f32 v21, v196, v124, -v21
	v_dual_add_f32 v7, v7, v33 :: v_dual_add_f32 v9, v9, v19
	v_dual_mul_f32 v39, v200, v129 :: v_dual_mul_f32 v41, v202, v131
	v_dual_fmac_f32 v37, v199, v126 :: v_dual_fma_f32 v19, v198, v126, -v23
	s_delay_alu instid0(VALU_DEP_3) | instskip(SKIP_1) | instid1(VALU_DEP_3)
	v_dual_add_f32 v7, v7, v35 :: v_dual_add_f32 v9, v9, v21
	s_wait_loadcnt 0x4
	v_dual_mov_b32 v98, v139 :: v_dual_fmac_f32 v39, v201, v128
	s_delay_alu instid0(VALU_DEP_2) | instskip(NEXT) | instid1(VALU_DEP_3)
	v_dual_fma_f32 v11, v200, v128, -v11 :: v_dual_add_f32 v7, v7, v37
	v_dual_add_f32 v9, v9, v19 :: v_dual_fmac_f32 v41, v203, v130
	v_dual_mul_f32 v219, v204, v133 :: v_dual_mul_f32 v221, v206, v135
	s_delay_alu instid0(VALU_DEP_3) | instskip(SKIP_1) | instid1(VALU_DEP_3)
	v_dual_fma_f32 v13, v202, v130, -v13 :: v_dual_add_f32 v7, v7, v39
	s_wait_loadcnt 0x3
	v_dual_add_f32 v9, v9, v11 :: v_dual_mov_b32 v102, v143
	v_pk_mul_f32 v[96:97], v[152:153], v[136:137] op_sel:[1,1] op_sel_hi:[0,1]
	s_delay_alu instid0(VALU_DEP_3) | instskip(NEXT) | instid1(VALU_DEP_3)
	v_dual_fmac_f32 v219, v205, v132 :: v_dual_add_f32 v105, v7, v41
	v_dual_fma_f32 v218, v204, v132, -v15 :: v_dual_add_f32 v104, v9, v13
	v_fmac_f32_e32 v221, v207, v134
	s_delay_alu instid0(VALU_DEP_4)
	v_pk_fma_f32 v[106:107], v[152:153], v[136:137], v[96:97] op_sel_hi:[1,0,1]
	v_fma_f32 v220, v206, v134, -v17
	v_pk_mul_f32 v[98:99], v[210:211], v[98:99] op_sel_hi:[1,0]
	v_pk_add_f32 v[104:105], v[104:105], v[218:219]
	v_pk_fma_f32 v[96:97], v[152:153], v[136:137], v[96:97] neg_lo:[0,0,1] neg_hi:[0,0,1]
	v_pk_mul_f32 v[100:101], v[156:157], v[140:141] op_sel:[1,1] op_sel_hi:[0,1]
	v_mov_b32_e32 v97, v107
	v_pk_fma_f32 v[106:107], v[154:155], v[138:139], v[98:99] op_sel_hi:[1,0,1]
	v_pk_add_f32 v[104:105], v[104:105], v[220:221]
	v_pk_fma_f32 v[98:99], v[154:155], v[138:139], v[98:99] neg_lo:[0,0,1] neg_hi:[0,0,1]
	v_pk_fma_f32 v[110:111], v[156:157], v[140:141], v[100:101] op_sel_hi:[1,0,1]
	v_pk_mul_f32 v[102:103], v[212:213], v[102:103] op_sel_hi:[1,0]
	v_mov_b32_e32 v99, v107
	v_pk_add_f32 v[96:97], v[104:105], v[96:97]
	s_wait_loadcnt 0x2
	v_pk_mul_f32 v[108:109], v[160:161], v[144:145] op_sel:[1,1] op_sel_hi:[0,1]
	v_mov_b32_e32 v104, v147
	v_pk_fma_f32 v[100:101], v[156:157], v[140:141], v[100:101] neg_lo:[0,0,1] neg_hi:[0,0,1]
	v_pk_fma_f32 v[106:107], v[158:159], v[142:143], v[102:103] op_sel_hi:[1,0,1]
	v_mov_b32_e32 v101, v111
	v_pk_add_f32 v[96:97], v[96:97], v[98:99]
	v_pk_fma_f32 v[98:99], v[160:161], v[144:145], v[108:109] op_sel_hi:[1,0,1]
	v_pk_mul_f32 v[104:105], v[214:215], v[104:105] op_sel_hi:[1,0]
	v_pk_fma_f32 v[102:103], v[158:159], v[142:143], v[102:103] neg_lo:[0,0,1] neg_hi:[0,0,1]
	v_mov_b32_e32 v103, v107
	v_pk_add_f32 v[96:97], v[96:97], v[100:101]
	v_pk_fma_f32 v[106:107], v[160:161], v[144:145], v[108:109] neg_lo:[0,0,1] neg_hi:[0,0,1]
	v_mov_b32_e32 v107, v99
	v_pk_fma_f32 v[98:99], v[162:163], v[146:147], v[104:105] op_sel_hi:[1,0,1]
	s_wait_loadcnt 0x1
	v_pk_mul_f32 v[100:101], v[164:165], v[148:149] op_sel:[1,1] op_sel_hi:[0,1]
	v_pk_add_f32 v[96:97], v[96:97], v[102:103]
	v_mov_b32_e32 v98, v151
	v_pk_fma_f32 v[104:105], v[162:163], v[146:147], v[104:105] neg_lo:[0,0,1] neg_hi:[0,0,1]
	s_delay_alu instid0(VALU_DEP_4)
	v_pk_fma_f32 v[102:103], v[164:165], v[148:149], v[100:101] op_sel_hi:[1,0,1]
	v_mov_b32_e32 v105, v99
	v_pk_add_f32 v[96:97], v[96:97], v[106:107]
	v_pk_mul_f32 v[98:99], v[216:217], v[98:99] op_sel_hi:[1,0]
	v_pk_fma_f32 v[100:101], v[164:165], v[148:149], v[100:101] neg_lo:[0,0,1] neg_hi:[0,0,1]
	v_mov_b32_e32 v101, v103
	s_delay_alu instid0(VALU_DEP_4) | instskip(NEXT) | instid1(VALU_DEP_4)
	v_pk_add_f32 v[96:97], v[96:97], v[104:105]
	v_pk_fma_f32 v[102:103], v[166:167], v[150:151], v[98:99] op_sel_hi:[1,0,1]
	v_pk_fma_f32 v[98:99], v[166:167], v[150:151], v[98:99] neg_lo:[0,0,1] neg_hi:[0,0,1]
	s_delay_alu instid0(VALU_DEP_3) | instskip(NEXT) | instid1(VALU_DEP_3)
	v_pk_add_f32 v[96:97], v[96:97], v[100:101]
	v_mov_b32_e32 v99, v103
	s_delay_alu instid0(VALU_DEP_1) | instskip(SKIP_1) | instid1(VALU_DEP_1)
	v_pk_add_f32 v[96:97], v[96:97], v[98:99]
	s_wait_loadcnt 0x0
	v_pk_add_f32 v[96:97], v[208:209], v[96:97] neg_lo:[0,1] neg_hi:[0,1]
	scratch_store_b64 off, v[96:97], off offset:144
	s_wait_xcnt 0x0
	v_cmpx_lt_u32_e32 17, v0
	s_cbranch_execz .LBB110_261
; %bb.260:
	scratch_load_b64 v[96:97], off, off offset:136
	v_mov_b64_e32 v[98:99], 0
	scratch_store_b64 off, v[98:99], off offset:136
	s_wait_loadcnt 0x0
	ds_store_b64 v1, v[96:97]
.LBB110_261:
	s_wait_xcnt 0x0
	s_or_b32 exec_lo, exec_lo, s0
	s_wait_storecnt_dscnt 0x0
	s_barrier_signal -1
	s_barrier_wait -1
	s_clause 0xf
	scratch_load_b128 v[96:99], off, off offset:144
	scratch_load_b128 v[100:103], off, off offset:160
	;; [unrolled: 1-line block ×14, first 2 shown]
	scratch_load_b64 v[208:209], off, off offset:368
	scratch_load_b64 v[210:211], off, off offset:136
	v_mov_b32_e32 v7, 0
	ds_load_b128 v[152:155], v7 offset:688
	ds_load_b128 v[156:159], v7 offset:704
	;; [unrolled: 1-line block ×14, first 2 shown]
	ds_load_b64 v[212:213], v7 offset:752
	s_mov_b32 s0, exec_lo
	s_wait_dscnt 0xe
	v_dual_mov_b32 v214, v155 :: v_dual_mov_b32 v215, v154
	s_wait_dscnt 0xb
	v_dual_mov_b32 v216, v159 :: v_dual_mov_b32 v221, v166
	v_dual_mov_b32 v217, v158 :: v_dual_mov_b32 v218, v163
	;; [unrolled: 1-line block ×3, first 2 shown]
	s_wait_loadcnt_dscnt 0xf0a
	v_dual_mul_f32 v9, v168, v97 :: v_dual_mul_f32 v47, v169, v97
	v_dual_mul_f32 v49, v171, v99 :: v_dual_mul_f32 v11, v170, v99
	s_wait_loadcnt_dscnt 0xe09
	v_mul_f32_e32 v13, v172, v101
	s_wait_loadcnt_dscnt 0xc07
	v_dual_mul_f32 v59, v181, v109 :: v_dual_fma_f32 v47, v168, v96, -v47
	v_dual_fmac_f32 v9, v169, v96 :: v_dual_mul_f32 v61, v183, v111
	v_dual_mul_f32 v51, v173, v101 :: v_dual_mul_f32 v53, v175, v103
	v_dual_fmac_f32 v11, v171, v98 :: v_dual_fma_f32 v49, v170, v98, -v49
	s_delay_alu instid0(VALU_DEP_3) | instskip(SKIP_4) | instid1(VALU_DEP_3)
	v_dual_add_f32 v9, 0, v9 :: v_dual_add_f32 v47, 0, v47
	v_dual_mul_f32 v15, v174, v103 :: v_dual_mul_f32 v17, v176, v105
	s_wait_loadcnt_dscnt 0xb06
	v_dual_mul_f32 v63, v185, v113 :: v_dual_fma_f32 v51, v172, v100, -v51
	v_fmac_f32_e32 v13, v173, v100
	v_dual_add_f32 v9, v9, v11 :: v_dual_fmac_f32 v15, v175, v102
	v_add_f32_e32 v11, v47, v49
	v_dual_mul_f32 v55, v177, v105 :: v_dual_mul_f32 v57, v179, v107
	v_dual_mul_f32 v47, v187, v115 :: v_dual_fma_f32 v49, v174, v102, -v53
	s_delay_alu instid0(VALU_DEP_3) | instskip(SKIP_3) | instid1(VALU_DEP_3)
	v_dual_add_f32 v9, v9, v13 :: v_dual_add_f32 v11, v11, v51
	v_dual_mul_f32 v19, v178, v107 :: v_dual_mul_f32 v21, v180, v109
	s_wait_loadcnt_dscnt 0xa05
	v_dual_mul_f32 v13, v189, v117 :: v_dual_fma_f32 v51, v176, v104, -v55
	v_dual_fmac_f32 v17, v177, v104 :: v_dual_add_f32 v11, v11, v49
	s_delay_alu instid0(VALU_DEP_3) | instskip(SKIP_1) | instid1(VALU_DEP_2)
	v_dual_add_f32 v9, v9, v15 :: v_dual_fmac_f32 v19, v179, v106
	v_dual_mul_f32 v15, v191, v119 :: v_dual_fma_f32 v49, v178, v106, -v57
	v_dual_add_f32 v11, v11, v51 :: v_dual_add_f32 v9, v9, v17
	v_dual_mul_f32 v23, v182, v111 :: v_dual_mul_f32 v25, v184, v113
	s_wait_loadcnt_dscnt 0x904
	v_dual_mul_f32 v17, v193, v121 :: v_dual_fma_f32 v51, v180, v108, -v59
	s_delay_alu instid0(VALU_DEP_3) | instskip(NEXT) | instid1(VALU_DEP_3)
	v_dual_fmac_f32 v21, v181, v108 :: v_dual_add_f32 v11, v11, v49
	v_dual_add_f32 v9, v9, v19 :: v_dual_fmac_f32 v23, v183, v110
	v_dual_mul_f32 v19, v195, v123 :: v_dual_fma_f32 v49, v182, v110, -v61
	s_delay_alu instid0(VALU_DEP_2) | instskip(SKIP_3) | instid1(VALU_DEP_3)
	v_dual_add_f32 v11, v11, v51 :: v_dual_add_f32 v9, v9, v21
	v_dual_mul_f32 v27, v186, v115 :: v_dual_mul_f32 v29, v188, v117
	s_wait_loadcnt_dscnt 0x803
	v_dual_mul_f32 v21, v197, v125 :: v_dual_fma_f32 v51, v184, v112, -v63
	v_dual_fmac_f32 v25, v185, v112 :: v_dual_add_f32 v11, v11, v49
	s_delay_alu instid0(VALU_DEP_3) | instskip(SKIP_1) | instid1(VALU_DEP_2)
	v_dual_add_f32 v9, v9, v23 :: v_dual_fmac_f32 v27, v187, v114
	v_dual_mul_f32 v23, v199, v127 :: v_dual_fma_f32 v47, v186, v114, -v47
	v_dual_add_f32 v11, v11, v51 :: v_dual_add_f32 v9, v9, v25
	v_dual_mul_f32 v31, v190, v119 :: v_dual_mul_f32 v33, v192, v121
	s_wait_loadcnt_dscnt 0x702
	v_dual_mul_f32 v25, v201, v129 :: v_dual_fma_f32 v13, v188, v116, -v13
	s_delay_alu instid0(VALU_DEP_3) | instskip(NEXT) | instid1(VALU_DEP_3)
	v_dual_fmac_f32 v29, v189, v116 :: v_dual_add_f32 v11, v11, v47
	v_dual_add_f32 v9, v9, v27 :: v_dual_fmac_f32 v31, v191, v118
	v_dual_mul_f32 v27, v203, v131 :: v_dual_fma_f32 v15, v190, v118, -v15
	s_delay_alu instid0(VALU_DEP_3) | instskip(NEXT) | instid1(VALU_DEP_3)
	v_dual_add_f32 v11, v11, v13 :: v_dual_fmac_f32 v33, v193, v120
	v_dual_add_f32 v9, v9, v29 :: v_dual_fma_f32 v17, v192, v120, -v17
	v_dual_mul_f32 v35, v194, v123 :: v_dual_mul_f32 v37, v196, v125
	s_wait_loadcnt_dscnt 0x601
	s_delay_alu instid0(VALU_DEP_3) | instskip(NEXT) | instid1(VALU_DEP_2)
	v_dual_mul_f32 v13, v205, v133 :: v_dual_add_f32 v11, v11, v15
	v_dual_add_f32 v9, v9, v31 :: v_dual_fmac_f32 v35, v195, v122
	v_dual_mul_f32 v15, v207, v135 :: v_dual_fma_f32 v19, v194, v122, -v19
	s_delay_alu instid0(VALU_DEP_3) | instskip(NEXT) | instid1(VALU_DEP_3)
	v_dual_add_f32 v11, v11, v17 :: v_dual_fmac_f32 v37, v197, v124
	v_dual_add_f32 v9, v9, v33 :: v_dual_fma_f32 v21, v196, v124, -v21
	v_dual_mul_f32 v39, v198, v127 :: v_dual_mul_f32 v41, v200, v129
	s_wait_loadcnt 0x5
	s_delay_alu instid0(VALU_DEP_3) | instskip(NEXT) | instid1(VALU_DEP_3)
	v_dual_mul_f32 v17, v153, v137 :: v_dual_add_f32 v11, v11, v19
	v_dual_add_f32 v9, v9, v35 :: v_dual_mov_b32 v96, v139
	s_delay_alu instid0(VALU_DEP_3) | instskip(NEXT) | instid1(VALU_DEP_3)
	v_fmac_f32_e32 v39, v199, v126
	v_dual_fma_f32 v19, v198, v126, -v23 :: v_dual_add_f32 v11, v11, v21
	s_delay_alu instid0(VALU_DEP_3) | instskip(SKIP_1) | instid1(VALU_DEP_3)
	v_dual_add_f32 v9, v9, v37 :: v_dual_mul_f32 v43, v202, v131
	v_dual_mul_f32 v45, v204, v133 :: v_dual_fmac_f32 v41, v201, v128
	v_dual_add_f32 v11, v11, v19 :: v_dual_fma_f32 v21, v200, v128, -v25
	s_wait_loadcnt 0x4
	s_delay_alu instid0(VALU_DEP_3) | instskip(SKIP_3) | instid1(VALU_DEP_4)
	v_dual_add_f32 v9, v9, v39 :: v_dual_mov_b32 v100, v143
	v_fma_f32 v19, v202, v130, -v27
	v_fmac_f32_e32 v43, v203, v130
	v_dual_add_f32 v11, v11, v21 :: v_dual_fmac_f32 v45, v205, v132
	v_dual_add_f32 v9, v9, v41 :: v_dual_mul_f32 v223, v206, v135
	v_mul_f32_e32 v225, v152, v137
	s_delay_alu instid0(VALU_DEP_3) | instskip(NEXT) | instid1(VALU_DEP_3)
	v_dual_fma_f32 v13, v204, v132, -v13 :: v_dual_add_f32 v11, v11, v19
	v_dual_fma_f32 v222, v206, v134, -v15 :: v_dual_add_f32 v9, v9, v43
	s_delay_alu instid0(VALU_DEP_4) | instskip(SKIP_1) | instid1(VALU_DEP_4)
	v_fmac_f32_e32 v223, v207, v134
	v_pk_mul_f32 v[96:97], v[214:215], v[96:97] op_sel_hi:[1,0]
	v_dual_add_f32 v104, v11, v13 :: v_dual_fmac_f32 v225, v153, v136
	s_delay_alu instid0(VALU_DEP_4)
	v_add_f32_e32 v105, v9, v45
	v_pk_mul_f32 v[98:99], v[156:157], v[140:141] op_sel:[1,1] op_sel_hi:[0,1]
	s_wait_loadcnt 0x3
	v_dual_mov_b32 v106, v147 :: v_dual_fma_f32 v224, v152, v136, -v17
	v_pk_fma_f32 v[108:109], v[154:155], v[138:139], v[96:97] op_sel_hi:[1,0,1]
	v_pk_add_f32 v[104:105], v[104:105], v[222:223]
	v_pk_fma_f32 v[96:97], v[154:155], v[138:139], v[96:97] neg_lo:[0,0,1] neg_hi:[0,0,1]
	v_pk_fma_f32 v[110:111], v[156:157], v[140:141], v[98:99] op_sel_hi:[1,0,1]
	v_pk_mul_f32 v[100:101], v[216:217], v[100:101] op_sel_hi:[1,0]
	v_mov_b32_e32 v97, v109
	v_pk_add_f32 v[104:105], v[104:105], v[224:225]
	v_pk_fma_f32 v[98:99], v[156:157], v[140:141], v[98:99] neg_lo:[0,0,1] neg_hi:[0,0,1]
	v_pk_mul_f32 v[102:103], v[160:161], v[144:145] op_sel:[1,1] op_sel_hi:[0,1]
	v_mov_b32_e32 v99, v111
	v_pk_fma_f32 v[110:111], v[158:159], v[142:143], v[100:101] op_sel_hi:[1,0,1]
	v_pk_add_f32 v[96:97], v[104:105], v[96:97]
	v_pk_fma_f32 v[100:101], v[158:159], v[142:143], v[100:101] neg_lo:[0,0,1] neg_hi:[0,0,1]
	v_pk_fma_f32 v[104:105], v[160:161], v[144:145], v[102:103] op_sel_hi:[1,0,1]
	v_pk_mul_f32 v[106:107], v[218:219], v[106:107] op_sel_hi:[1,0]
	v_mov_b32_e32 v101, v111
	v_pk_add_f32 v[96:97], v[96:97], v[98:99]
	v_pk_fma_f32 v[102:103], v[160:161], v[144:145], v[102:103] neg_lo:[0,0,1] neg_hi:[0,0,1]
	s_wait_loadcnt 0x2
	v_pk_mul_f32 v[108:109], v[164:165], v[148:149] op_sel:[1,1] op_sel_hi:[0,1]
	v_dual_mov_b32 v98, v151 :: v_dual_mov_b32 v103, v105
	v_pk_fma_f32 v[104:105], v[162:163], v[146:147], v[106:107] op_sel_hi:[1,0,1]
	v_pk_add_f32 v[96:97], v[96:97], v[100:101]
	v_pk_fma_f32 v[106:107], v[162:163], v[146:147], v[106:107] neg_lo:[0,0,1] neg_hi:[0,0,1]
	v_pk_fma_f32 v[100:101], v[164:165], v[148:149], v[108:109] op_sel_hi:[1,0,1]
	v_pk_mul_f32 v[98:99], v[220:221], v[98:99] op_sel_hi:[1,0]
	v_mov_b32_e32 v107, v105
	v_pk_add_f32 v[96:97], v[96:97], v[102:103]
	v_pk_fma_f32 v[102:103], v[164:165], v[148:149], v[108:109] neg_lo:[0,0,1] neg_hi:[0,0,1]
	v_mov_b32_e32 v103, v101
	v_pk_fma_f32 v[100:101], v[166:167], v[150:151], v[98:99] op_sel_hi:[1,0,1]
	s_wait_loadcnt_dscnt 0x100
	v_pk_mul_f32 v[104:105], v[212:213], v[208:209] op_sel:[1,1] op_sel_hi:[0,1]
	v_pk_add_f32 v[96:97], v[96:97], v[106:107]
	v_pk_fma_f32 v[98:99], v[166:167], v[150:151], v[98:99] neg_lo:[0,0,1] neg_hi:[0,0,1]
	v_mov_b32_e32 v99, v101
	s_delay_alu instid0(VALU_DEP_4) | instskip(NEXT) | instid1(VALU_DEP_4)
	v_pk_fma_f32 v[100:101], v[212:213], v[208:209], v[104:105] op_sel_hi:[1,0,1]
	v_pk_add_f32 v[96:97], v[96:97], v[102:103]
	v_pk_fma_f32 v[102:103], v[212:213], v[208:209], v[104:105] neg_lo:[0,0,1] neg_hi:[0,0,1]
	s_delay_alu instid0(VALU_DEP_3) | instskip(NEXT) | instid1(VALU_DEP_3)
	v_mov_b32_e32 v103, v101
	v_pk_add_f32 v[96:97], v[96:97], v[98:99]
	s_delay_alu instid0(VALU_DEP_1) | instskip(SKIP_1) | instid1(VALU_DEP_1)
	v_pk_add_f32 v[96:97], v[96:97], v[102:103]
	s_wait_loadcnt 0x0
	v_pk_add_f32 v[96:97], v[210:211], v[96:97] neg_lo:[0,1] neg_hi:[0,1]
	scratch_store_b64 off, v[96:97], off offset:136
	s_wait_xcnt 0x0
	v_cmpx_lt_u32_e32 16, v0
	s_cbranch_execz .LBB110_263
; %bb.262:
	scratch_load_b64 v[96:97], off, off offset:128
	v_mov_b64_e32 v[98:99], 0
	scratch_store_b64 off, v[98:99], off offset:128
	s_wait_loadcnt 0x0
	ds_store_b64 v1, v[96:97]
.LBB110_263:
	s_wait_xcnt 0x0
	s_or_b32 exec_lo, exec_lo, s0
	s_wait_storecnt_dscnt 0x0
	s_barrier_signal -1
	s_barrier_wait -1
	s_clause 0xf
	scratch_load_b128 v[96:99], off, off offset:136
	scratch_load_b128 v[100:103], off, off offset:152
	;; [unrolled: 1-line block ×15, first 2 shown]
	scratch_load_b64 v[216:217], off, off offset:128
	ds_load_2addr_b64 v[156:159], v7 offset0:87 offset1:88
	ds_load_2addr_b64 v[160:163], v7 offset0:89 offset1:90
	ds_load_2addr_b64 v[164:167], v7 offset0:91 offset1:92
	ds_load_2addr_b64 v[168:171], v7 offset0:93 offset1:94
	ds_load_2addr_b64 v[172:175], v7 offset0:65 offset1:66
	ds_load_2addr_b64 v[176:179], v7 offset0:67 offset1:68
	ds_load_2addr_b64 v[180:183], v7 offset0:85 offset1:86
	ds_load_2addr_b64 v[184:187], v7 offset0:69 offset1:70
	ds_load_2addr_b64 v[188:191], v7 offset0:71 offset1:72
	ds_load_2addr_b64 v[192:195], v7 offset0:73 offset1:74
	ds_load_2addr_b64 v[196:199], v7 offset0:75 offset1:76
	ds_load_2addr_b64 v[200:203], v7 offset0:77 offset1:78
	ds_load_2addr_b64 v[204:207], v7 offset0:79 offset1:80
	ds_load_2addr_b64 v[208:211], v7 offset0:81 offset1:82
	ds_load_2addr_b64 v[212:215], v7 offset0:83 offset1:84
	s_mov_b32 s0, exec_lo
	s_wait_dscnt 0xe
	v_dual_mov_b32 v218, v159 :: v_dual_mov_b32 v219, v158
	s_wait_dscnt 0xd
	v_dual_mov_b32 v220, v163 :: v_dual_mov_b32 v221, v162
	;; [unrolled: 2-line block ×4, first 2 shown]
	s_wait_loadcnt_dscnt 0xf0a
	v_dual_mul_f32 v7, v172, v97 :: v_dual_mul_f32 v9, v174, v99
	v_dual_mul_f32 v47, v173, v97 :: v_dual_mul_f32 v49, v175, v99
	s_wait_loadcnt_dscnt 0xe09
	v_dual_mul_f32 v11, v176, v101 :: v_dual_mul_f32 v13, v178, v103
	s_delay_alu instid0(VALU_DEP_3) | instskip(SKIP_3) | instid1(VALU_DEP_3)
	v_dual_fmac_f32 v7, v173, v96 :: v_dual_fmac_f32 v9, v175, v98
	s_wait_loadcnt_dscnt 0xc06
	v_dual_fma_f32 v47, v172, v96, -v47 :: v_dual_mul_f32 v59, v189, v109
	v_dual_mul_f32 v51, v177, v101 :: v_dual_mul_f32 v53, v179, v103
	v_dual_fma_f32 v49, v174, v98, -v49 :: v_dual_add_f32 v7, 0, v7
	s_delay_alu instid0(VALU_DEP_3) | instskip(SKIP_1) | instid1(VALU_DEP_4)
	v_dual_add_f32 v47, 0, v47 :: v_dual_fmac_f32 v11, v177, v100
	v_dual_mul_f32 v15, v184, v105 :: v_dual_mul_f32 v17, v186, v107
	v_dual_mul_f32 v61, v191, v111 :: v_dual_fma_f32 v51, v176, v100, -v51
	s_delay_alu instid0(VALU_DEP_4) | instskip(NEXT) | instid1(VALU_DEP_3)
	v_add_f32_e32 v7, v7, v9
	v_dual_add_f32 v9, v47, v49 :: v_dual_fmac_f32 v15, v185, v104
	v_dual_mul_f32 v55, v185, v105 :: v_dual_mul_f32 v57, v187, v107
	s_wait_loadcnt_dscnt 0xb05
	v_dual_mul_f32 v47, v193, v113 :: v_dual_fmac_f32 v13, v179, v102
	v_dual_fma_f32 v49, v178, v102, -v53 :: v_dual_add_f32 v7, v7, v11
	s_delay_alu instid0(VALU_DEP_3) | instskip(SKIP_1) | instid1(VALU_DEP_3)
	v_dual_add_f32 v9, v9, v51 :: v_dual_fma_f32 v51, v184, v104, -v55
	v_dual_mul_f32 v19, v188, v109 :: v_dual_mul_f32 v21, v190, v111
	v_add_f32_e32 v7, v7, v13
	s_delay_alu instid0(VALU_DEP_3) | instskip(SKIP_2) | instid1(VALU_DEP_3)
	v_dual_mul_f32 v11, v195, v115 :: v_dual_add_f32 v9, v9, v49
	s_wait_loadcnt_dscnt 0xa04
	v_dual_mul_f32 v13, v197, v117 :: v_dual_fmac_f32 v17, v187, v106
	v_dual_fma_f32 v49, v186, v106, -v57 :: v_dual_add_f32 v7, v7, v15
	s_delay_alu instid0(VALU_DEP_3) | instskip(SKIP_1) | instid1(VALU_DEP_3)
	v_dual_add_f32 v9, v9, v51 :: v_dual_fma_f32 v51, v188, v108, -v59
	v_dual_mul_f32 v15, v199, v119 :: v_dual_fmac_f32 v19, v189, v108
	v_add_f32_e32 v7, v7, v17
	s_delay_alu instid0(VALU_DEP_3)
	v_dual_add_f32 v9, v9, v49 :: v_dual_fmac_f32 v21, v191, v110
	v_dual_mul_f32 v23, v192, v113 :: v_dual_mul_f32 v25, v194, v115
	s_wait_loadcnt_dscnt 0x903
	v_dual_fma_f32 v49, v190, v110, -v61 :: v_dual_mul_f32 v17, v201, v121
	v_add_f32_e32 v7, v7, v19
	v_dual_add_f32 v9, v9, v51 :: v_dual_fma_f32 v47, v192, v112, -v47
	v_dual_mul_f32 v19, v203, v123 :: v_dual_fmac_f32 v23, v193, v112
	s_delay_alu instid0(VALU_DEP_3) | instskip(NEXT) | instid1(VALU_DEP_3)
	v_dual_add_f32 v7, v7, v21 :: v_dual_fma_f32 v11, v194, v114, -v11
	v_dual_add_f32 v9, v9, v49 :: v_dual_fmac_f32 v25, v195, v114
	v_dual_mul_f32 v27, v196, v117 :: v_dual_mul_f32 v29, v198, v119
	s_wait_loadcnt_dscnt 0x802
	s_delay_alu instid0(VALU_DEP_3) | instskip(NEXT) | instid1(VALU_DEP_3)
	v_dual_mul_f32 v21, v205, v125 :: v_dual_add_f32 v7, v7, v23
	v_dual_add_f32 v9, v9, v47 :: v_dual_fma_f32 v13, v196, v116, -v13
	s_delay_alu instid0(VALU_DEP_3) | instskip(NEXT) | instid1(VALU_DEP_2)
	v_dual_mul_f32 v23, v207, v127 :: v_dual_fmac_f32 v27, v197, v116
	v_dual_add_f32 v7, v7, v25 :: v_dual_add_f32 v9, v9, v11
	v_dual_mul_f32 v31, v200, v121 :: v_dual_mul_f32 v33, v202, v123
	s_wait_loadcnt_dscnt 0x701
	v_dual_mul_f32 v11, v209, v129 :: v_dual_fmac_f32 v29, v199, v118
	s_delay_alu instid0(VALU_DEP_3) | instskip(SKIP_2) | instid1(VALU_DEP_2)
	v_dual_fma_f32 v15, v198, v118, -v15 :: v_dual_add_f32 v7, v7, v27
	v_dual_add_f32 v9, v9, v13 :: v_dual_mul_f32 v13, v211, v131
	v_dual_fmac_f32 v31, v201, v120 :: v_dual_fma_f32 v17, v200, v120, -v17
	v_dual_add_f32 v7, v7, v29 :: v_dual_add_f32 v9, v9, v15
	v_dual_mul_f32 v35, v204, v125 :: v_dual_mul_f32 v37, v206, v127
	s_wait_loadcnt_dscnt 0x600
	v_dual_mul_f32 v15, v213, v133 :: v_dual_fmac_f32 v33, v203, v122
	s_delay_alu instid0(VALU_DEP_3) | instskip(SKIP_2) | instid1(VALU_DEP_2)
	v_dual_fma_f32 v19, v202, v122, -v19 :: v_dual_add_f32 v7, v7, v31
	v_dual_add_f32 v9, v9, v17 :: v_dual_mul_f32 v17, v215, v135
	v_dual_fmac_f32 v35, v205, v124 :: v_dual_fma_f32 v21, v204, v124, -v21
	v_dual_add_f32 v7, v7, v33 :: v_dual_add_f32 v9, v9, v19
	v_dual_mul_f32 v39, v208, v129 :: v_dual_mul_f32 v41, v210, v131
	s_wait_loadcnt 0x5
	v_dual_mul_f32 v19, v181, v137 :: v_dual_fmac_f32 v37, v207, v126
	s_delay_alu instid0(VALU_DEP_3) | instskip(SKIP_2) | instid1(VALU_DEP_3)
	v_dual_fma_f32 v23, v206, v126, -v23 :: v_dual_add_f32 v7, v7, v35
	v_dual_add_f32 v9, v9, v21 :: v_dual_mul_f32 v21, v183, v139
	v_fmac_f32_e32 v39, v209, v128
	v_dual_fma_f32 v11, v208, v128, -v11 :: v_dual_add_f32 v7, v7, v37
	s_delay_alu instid0(VALU_DEP_3) | instskip(SKIP_1) | instid1(VALU_DEP_3)
	v_dual_add_f32 v9, v9, v23 :: v_dual_mul_f32 v43, v212, v133
	v_dual_mul_f32 v45, v214, v135 :: v_dual_fmac_f32 v41, v211, v130
	v_dual_fma_f32 v13, v210, v130, -v13 :: v_dual_add_f32 v7, v7, v39
	s_wait_loadcnt 0x4
	s_delay_alu instid0(VALU_DEP_3) | instskip(SKIP_1) | instid1(VALU_DEP_3)
	v_dual_add_f32 v9, v9, v11 :: v_dual_mov_b32 v98, v143
	v_fmac_f32_e32 v43, v213, v132
	v_dual_fma_f32 v11, v212, v132, -v15 :: v_dual_add_f32 v7, v7, v41
	s_delay_alu instid0(VALU_DEP_3) | instskip(SKIP_1) | instid1(VALU_DEP_3)
	v_dual_add_f32 v9, v9, v13 :: v_dual_fmac_f32 v45, v215, v134
	v_dual_mul_f32 v227, v180, v137 :: v_dual_mul_f32 v229, v182, v139
	v_dual_fma_f32 v13, v214, v134, -v17 :: v_dual_add_f32 v7, v7, v43
	s_wait_loadcnt 0x3
	s_delay_alu instid0(VALU_DEP_3) | instskip(SKIP_1) | instid1(VALU_DEP_3)
	v_dual_add_f32 v9, v9, v11 :: v_dual_mov_b32 v102, v147
	v_pk_mul_f32 v[96:97], v[156:157], v[140:141] op_sel:[1,1] op_sel_hi:[0,1]
	v_dual_fmac_f32 v227, v181, v136 :: v_dual_add_f32 v105, v7, v45
	s_delay_alu instid0(VALU_DEP_3) | instskip(SKIP_1) | instid1(VALU_DEP_4)
	v_dual_fma_f32 v226, v180, v136, -v19 :: v_dual_add_f32 v104, v9, v13
	v_fmac_f32_e32 v229, v183, v138
	v_pk_fma_f32 v[106:107], v[156:157], v[140:141], v[96:97] op_sel_hi:[1,0,1]
	v_fma_f32 v228, v182, v138, -v21
	v_pk_mul_f32 v[98:99], v[218:219], v[98:99] op_sel_hi:[1,0]
	v_pk_add_f32 v[104:105], v[104:105], v[226:227]
	v_pk_fma_f32 v[96:97], v[156:157], v[140:141], v[96:97] neg_lo:[0,0,1] neg_hi:[0,0,1]
	v_pk_mul_f32 v[100:101], v[160:161], v[144:145] op_sel:[1,1] op_sel_hi:[0,1]
	v_mov_b32_e32 v97, v107
	v_pk_fma_f32 v[106:107], v[158:159], v[142:143], v[98:99] op_sel_hi:[1,0,1]
	v_pk_add_f32 v[104:105], v[104:105], v[228:229]
	v_pk_fma_f32 v[98:99], v[158:159], v[142:143], v[98:99] neg_lo:[0,0,1] neg_hi:[0,0,1]
	v_pk_fma_f32 v[110:111], v[160:161], v[144:145], v[100:101] op_sel_hi:[1,0,1]
	v_pk_mul_f32 v[102:103], v[220:221], v[102:103] op_sel_hi:[1,0]
	v_mov_b32_e32 v99, v107
	v_pk_add_f32 v[96:97], v[104:105], v[96:97]
	s_wait_loadcnt 0x2
	v_pk_mul_f32 v[108:109], v[164:165], v[148:149] op_sel:[1,1] op_sel_hi:[0,1]
	v_mov_b32_e32 v104, v151
	v_pk_fma_f32 v[100:101], v[160:161], v[144:145], v[100:101] neg_lo:[0,0,1] neg_hi:[0,0,1]
	v_pk_fma_f32 v[106:107], v[162:163], v[146:147], v[102:103] op_sel_hi:[1,0,1]
	v_mov_b32_e32 v101, v111
	v_pk_add_f32 v[96:97], v[96:97], v[98:99]
	v_pk_fma_f32 v[98:99], v[164:165], v[148:149], v[108:109] op_sel_hi:[1,0,1]
	v_pk_mul_f32 v[104:105], v[222:223], v[104:105] op_sel_hi:[1,0]
	v_pk_fma_f32 v[102:103], v[162:163], v[146:147], v[102:103] neg_lo:[0,0,1] neg_hi:[0,0,1]
	v_mov_b32_e32 v103, v107
	v_pk_add_f32 v[96:97], v[96:97], v[100:101]
	v_pk_fma_f32 v[106:107], v[164:165], v[148:149], v[108:109] neg_lo:[0,0,1] neg_hi:[0,0,1]
	v_mov_b32_e32 v107, v99
	v_pk_fma_f32 v[98:99], v[166:167], v[150:151], v[104:105] op_sel_hi:[1,0,1]
	s_wait_loadcnt 0x1
	v_pk_mul_f32 v[100:101], v[168:169], v[152:153] op_sel:[1,1] op_sel_hi:[0,1]
	v_pk_add_f32 v[96:97], v[96:97], v[102:103]
	v_mov_b32_e32 v98, v155
	v_pk_fma_f32 v[104:105], v[166:167], v[150:151], v[104:105] neg_lo:[0,0,1] neg_hi:[0,0,1]
	s_delay_alu instid0(VALU_DEP_4)
	v_pk_fma_f32 v[102:103], v[168:169], v[152:153], v[100:101] op_sel_hi:[1,0,1]
	v_mov_b32_e32 v105, v99
	v_pk_add_f32 v[96:97], v[96:97], v[106:107]
	v_pk_mul_f32 v[98:99], v[224:225], v[98:99] op_sel_hi:[1,0]
	v_pk_fma_f32 v[100:101], v[168:169], v[152:153], v[100:101] neg_lo:[0,0,1] neg_hi:[0,0,1]
	v_mov_b32_e32 v101, v103
	s_delay_alu instid0(VALU_DEP_4) | instskip(NEXT) | instid1(VALU_DEP_4)
	v_pk_add_f32 v[96:97], v[96:97], v[104:105]
	v_pk_fma_f32 v[102:103], v[170:171], v[154:155], v[98:99] op_sel_hi:[1,0,1]
	v_pk_fma_f32 v[98:99], v[170:171], v[154:155], v[98:99] neg_lo:[0,0,1] neg_hi:[0,0,1]
	s_delay_alu instid0(VALU_DEP_3) | instskip(NEXT) | instid1(VALU_DEP_3)
	v_pk_add_f32 v[96:97], v[96:97], v[100:101]
	v_mov_b32_e32 v99, v103
	s_delay_alu instid0(VALU_DEP_1) | instskip(SKIP_1) | instid1(VALU_DEP_1)
	v_pk_add_f32 v[96:97], v[96:97], v[98:99]
	s_wait_loadcnt 0x0
	v_pk_add_f32 v[96:97], v[216:217], v[96:97] neg_lo:[0,1] neg_hi:[0,1]
	scratch_store_b64 off, v[96:97], off offset:128
	s_wait_xcnt 0x0
	v_cmpx_lt_u32_e32 15, v0
	s_cbranch_execz .LBB110_265
; %bb.264:
	scratch_load_b64 v[96:97], off, off offset:120
	v_mov_b64_e32 v[98:99], 0
	scratch_store_b64 off, v[98:99], off offset:120
	s_wait_loadcnt 0x0
	ds_store_b64 v1, v[96:97]
.LBB110_265:
	s_wait_xcnt 0x0
	s_or_b32 exec_lo, exec_lo, s0
	s_wait_storecnt_dscnt 0x0
	s_barrier_signal -1
	s_barrier_wait -1
	s_clause 0x10
	scratch_load_b128 v[96:99], off, off offset:128
	scratch_load_b128 v[100:103], off, off offset:144
	;; [unrolled: 1-line block ×15, first 2 shown]
	scratch_load_b64 v[216:217], off, off offset:368
	scratch_load_b64 v[218:219], off, off offset:120
	v_mov_b32_e32 v7, 0
	ds_load_b128 v[156:159], v7 offset:688
	ds_load_b128 v[160:163], v7 offset:704
	;; [unrolled: 1-line block ×15, first 2 shown]
	ds_load_b64 v[220:221], v7 offset:752
	s_mov_b32 s0, exec_lo
	s_wait_dscnt 0xf
	v_dual_mov_b32 v222, v159 :: v_dual_mov_b32 v223, v158
	s_wait_dscnt 0xc
	v_dual_mov_b32 v224, v163 :: v_dual_mov_b32 v229, v170
	v_dual_mov_b32 v225, v162 :: v_dual_mov_b32 v226, v167
	;; [unrolled: 1-line block ×3, first 2 shown]
	s_wait_loadcnt_dscnt 0x100b
	v_dual_mul_f32 v9, v172, v97 :: v_dual_mul_f32 v51, v173, v97
	v_dual_mul_f32 v53, v175, v99 :: v_dual_mul_f32 v11, v174, v99
	s_wait_loadcnt_dscnt 0xf09
	v_mul_f32_e32 v13, v180, v101
	s_wait_loadcnt_dscnt 0xd07
	v_dual_mul_f32 v63, v189, v109 :: v_dual_fma_f32 v51, v172, v96, -v51
	v_dual_fmac_f32 v9, v173, v96 :: v_dual_mul_f32 v65, v191, v111
	v_dual_mul_f32 v55, v181, v101 :: v_dual_mul_f32 v57, v183, v103
	v_dual_fmac_f32 v11, v175, v98 :: v_dual_fma_f32 v53, v174, v98, -v53
	s_delay_alu instid0(VALU_DEP_3) | instskip(SKIP_4) | instid1(VALU_DEP_3)
	v_dual_add_f32 v9, 0, v9 :: v_dual_add_f32 v51, 0, v51
	v_dual_mul_f32 v15, v182, v103 :: v_dual_mul_f32 v17, v184, v105
	s_wait_loadcnt_dscnt 0xc06
	v_dual_mul_f32 v67, v193, v113 :: v_dual_fma_f32 v55, v180, v100, -v55
	v_fmac_f32_e32 v13, v181, v100
	v_dual_add_f32 v9, v9, v11 :: v_dual_fmac_f32 v15, v183, v102
	v_add_f32_e32 v11, v51, v53
	v_dual_mul_f32 v59, v185, v105 :: v_dual_mul_f32 v61, v187, v107
	v_dual_mul_f32 v51, v195, v115 :: v_dual_fma_f32 v53, v182, v102, -v57
	s_delay_alu instid0(VALU_DEP_3) | instskip(SKIP_3) | instid1(VALU_DEP_3)
	v_dual_add_f32 v9, v9, v13 :: v_dual_add_f32 v11, v11, v55
	v_dual_mul_f32 v19, v186, v107 :: v_dual_mul_f32 v21, v188, v109
	s_wait_loadcnt_dscnt 0xb05
	v_dual_mul_f32 v13, v197, v117 :: v_dual_fma_f32 v55, v184, v104, -v59
	v_dual_fmac_f32 v17, v185, v104 :: v_dual_add_f32 v11, v11, v53
	s_delay_alu instid0(VALU_DEP_3) | instskip(SKIP_1) | instid1(VALU_DEP_2)
	v_dual_add_f32 v9, v9, v15 :: v_dual_fmac_f32 v19, v187, v106
	v_dual_mul_f32 v15, v199, v119 :: v_dual_fma_f32 v53, v186, v106, -v61
	v_dual_add_f32 v11, v11, v55 :: v_dual_add_f32 v9, v9, v17
	v_dual_mul_f32 v23, v190, v111 :: v_dual_mul_f32 v25, v192, v113
	s_wait_loadcnt_dscnt 0xa04
	v_dual_mul_f32 v17, v201, v121 :: v_dual_fma_f32 v55, v188, v108, -v63
	s_delay_alu instid0(VALU_DEP_3) | instskip(NEXT) | instid1(VALU_DEP_3)
	v_dual_fmac_f32 v21, v189, v108 :: v_dual_add_f32 v11, v11, v53
	v_dual_add_f32 v9, v9, v19 :: v_dual_fmac_f32 v23, v191, v110
	v_dual_mul_f32 v19, v203, v123 :: v_dual_fma_f32 v53, v190, v110, -v65
	s_delay_alu instid0(VALU_DEP_2) | instskip(SKIP_3) | instid1(VALU_DEP_3)
	v_dual_add_f32 v11, v11, v55 :: v_dual_add_f32 v9, v9, v21
	v_dual_mul_f32 v27, v194, v115 :: v_dual_mul_f32 v29, v196, v117
	s_wait_loadcnt_dscnt 0x903
	v_dual_mul_f32 v21, v205, v125 :: v_dual_fma_f32 v55, v192, v112, -v67
	v_dual_fmac_f32 v25, v193, v112 :: v_dual_add_f32 v11, v11, v53
	s_delay_alu instid0(VALU_DEP_3) | instskip(SKIP_1) | instid1(VALU_DEP_2)
	v_dual_add_f32 v9, v9, v23 :: v_dual_fmac_f32 v27, v195, v114
	v_dual_mul_f32 v23, v207, v127 :: v_dual_fma_f32 v51, v194, v114, -v51
	v_dual_add_f32 v11, v11, v55 :: v_dual_add_f32 v9, v9, v25
	v_dual_mul_f32 v31, v198, v119 :: v_dual_mul_f32 v33, v200, v121
	s_wait_loadcnt_dscnt 0x802
	v_dual_mul_f32 v25, v209, v129 :: v_dual_fma_f32 v13, v196, v116, -v13
	s_delay_alu instid0(VALU_DEP_3) | instskip(NEXT) | instid1(VALU_DEP_3)
	v_dual_fmac_f32 v29, v197, v116 :: v_dual_add_f32 v11, v11, v51
	v_dual_add_f32 v9, v9, v27 :: v_dual_fmac_f32 v31, v199, v118
	v_dual_mul_f32 v27, v211, v131 :: v_dual_fma_f32 v15, v198, v118, -v15
	s_delay_alu instid0(VALU_DEP_3) | instskip(NEXT) | instid1(VALU_DEP_3)
	v_dual_add_f32 v11, v11, v13 :: v_dual_fmac_f32 v33, v201, v120
	v_dual_add_f32 v9, v9, v29 :: v_dual_fma_f32 v17, v200, v120, -v17
	v_dual_mul_f32 v35, v202, v123 :: v_dual_mul_f32 v37, v204, v125
	s_wait_loadcnt_dscnt 0x701
	s_delay_alu instid0(VALU_DEP_3) | instskip(NEXT) | instid1(VALU_DEP_2)
	v_dual_mul_f32 v13, v213, v133 :: v_dual_add_f32 v11, v11, v15
	v_dual_add_f32 v9, v9, v31 :: v_dual_fmac_f32 v35, v203, v122
	v_dual_mul_f32 v15, v215, v135 :: v_dual_fma_f32 v19, v202, v122, -v19
	s_delay_alu instid0(VALU_DEP_3) | instskip(NEXT) | instid1(VALU_DEP_3)
	v_dual_add_f32 v11, v11, v17 :: v_dual_fmac_f32 v37, v205, v124
	v_dual_add_f32 v9, v9, v33 :: v_dual_fma_f32 v21, v204, v124, -v21
	v_dual_mul_f32 v39, v206, v127 :: v_dual_mul_f32 v41, v208, v129
	s_wait_loadcnt 0x6
	s_delay_alu instid0(VALU_DEP_3) | instskip(NEXT) | instid1(VALU_DEP_2)
	v_dual_mul_f32 v17, v177, v137 :: v_dual_add_f32 v11, v11, v19
	v_dual_add_f32 v9, v9, v35 :: v_dual_fmac_f32 v39, v207, v126
	v_dual_mul_f32 v19, v179, v139 :: v_dual_fma_f32 v23, v206, v126, -v23
	s_delay_alu instid0(VALU_DEP_3) | instskip(NEXT) | instid1(VALU_DEP_3)
	v_dual_add_f32 v11, v11, v21 :: v_dual_fmac_f32 v41, v209, v128
	v_dual_add_f32 v9, v9, v37 :: v_dual_fma_f32 v25, v208, v128, -v25
	v_dual_mul_f32 v43, v210, v131 :: v_dual_mul_f32 v45, v212, v133
	s_wait_loadcnt 0x5
	s_delay_alu instid0(VALU_DEP_3) | instskip(NEXT) | instid1(VALU_DEP_3)
	v_dual_mul_f32 v21, v157, v141 :: v_dual_add_f32 v11, v11, v23
	v_dual_add_f32 v9, v9, v39 :: v_dual_mov_b32 v96, v143
	s_delay_alu instid0(VALU_DEP_3) | instskip(NEXT) | instid1(VALU_DEP_3)
	v_fmac_f32_e32 v43, v211, v130
	v_dual_fma_f32 v23, v210, v130, -v27 :: v_dual_add_f32 v11, v11, v25
	s_delay_alu instid0(VALU_DEP_3) | instskip(SKIP_1) | instid1(VALU_DEP_3)
	v_dual_add_f32 v9, v9, v41 :: v_dual_mul_f32 v47, v214, v135
	v_dual_mul_f32 v49, v176, v137 :: v_dual_fmac_f32 v45, v213, v132
	v_dual_add_f32 v11, v11, v23 :: v_dual_fma_f32 v13, v212, v132, -v13
	s_wait_loadcnt 0x4
	s_delay_alu instid0(VALU_DEP_3) | instskip(SKIP_3) | instid1(VALU_DEP_4)
	v_dual_add_f32 v9, v9, v43 :: v_dual_mov_b32 v100, v147
	v_fma_f32 v15, v214, v134, -v15
	v_fmac_f32_e32 v47, v215, v134
	v_dual_add_f32 v11, v11, v13 :: v_dual_fmac_f32 v49, v177, v136
	v_dual_add_f32 v9, v9, v45 :: v_dual_mul_f32 v231, v178, v139
	v_mul_f32_e32 v233, v156, v141
	s_delay_alu instid0(VALU_DEP_3) | instskip(NEXT) | instid1(VALU_DEP_3)
	v_dual_fma_f32 v13, v176, v136, -v17 :: v_dual_add_f32 v11, v11, v15
	v_dual_fma_f32 v230, v178, v138, -v19 :: v_dual_add_f32 v9, v9, v47
	s_delay_alu instid0(VALU_DEP_4) | instskip(SKIP_1) | instid1(VALU_DEP_4)
	v_fmac_f32_e32 v231, v179, v138
	v_pk_mul_f32 v[96:97], v[222:223], v[96:97] op_sel_hi:[1,0]
	v_dual_add_f32 v104, v11, v13 :: v_dual_fmac_f32 v233, v157, v140
	s_delay_alu instid0(VALU_DEP_4)
	v_add_f32_e32 v105, v9, v49
	v_pk_mul_f32 v[98:99], v[160:161], v[144:145] op_sel:[1,1] op_sel_hi:[0,1]
	s_wait_loadcnt 0x3
	v_dual_mov_b32 v106, v151 :: v_dual_fma_f32 v232, v156, v140, -v21
	v_pk_fma_f32 v[108:109], v[158:159], v[142:143], v[96:97] op_sel_hi:[1,0,1]
	v_pk_add_f32 v[104:105], v[104:105], v[230:231]
	v_pk_fma_f32 v[96:97], v[158:159], v[142:143], v[96:97] neg_lo:[0,0,1] neg_hi:[0,0,1]
	v_pk_fma_f32 v[110:111], v[160:161], v[144:145], v[98:99] op_sel_hi:[1,0,1]
	v_pk_mul_f32 v[100:101], v[224:225], v[100:101] op_sel_hi:[1,0]
	v_mov_b32_e32 v97, v109
	v_pk_add_f32 v[104:105], v[104:105], v[232:233]
	v_pk_fma_f32 v[98:99], v[160:161], v[144:145], v[98:99] neg_lo:[0,0,1] neg_hi:[0,0,1]
	v_pk_mul_f32 v[102:103], v[164:165], v[148:149] op_sel:[1,1] op_sel_hi:[0,1]
	v_mov_b32_e32 v99, v111
	v_pk_fma_f32 v[110:111], v[162:163], v[146:147], v[100:101] op_sel_hi:[1,0,1]
	v_pk_add_f32 v[96:97], v[104:105], v[96:97]
	v_pk_fma_f32 v[100:101], v[162:163], v[146:147], v[100:101] neg_lo:[0,0,1] neg_hi:[0,0,1]
	v_pk_fma_f32 v[104:105], v[164:165], v[148:149], v[102:103] op_sel_hi:[1,0,1]
	v_pk_mul_f32 v[106:107], v[226:227], v[106:107] op_sel_hi:[1,0]
	v_mov_b32_e32 v101, v111
	v_pk_add_f32 v[96:97], v[96:97], v[98:99]
	v_pk_fma_f32 v[102:103], v[164:165], v[148:149], v[102:103] neg_lo:[0,0,1] neg_hi:[0,0,1]
	s_wait_loadcnt 0x2
	v_pk_mul_f32 v[108:109], v[168:169], v[152:153] op_sel:[1,1] op_sel_hi:[0,1]
	v_dual_mov_b32 v98, v155 :: v_dual_mov_b32 v103, v105
	v_pk_fma_f32 v[104:105], v[166:167], v[150:151], v[106:107] op_sel_hi:[1,0,1]
	v_pk_add_f32 v[96:97], v[96:97], v[100:101]
	v_pk_fma_f32 v[106:107], v[166:167], v[150:151], v[106:107] neg_lo:[0,0,1] neg_hi:[0,0,1]
	v_pk_fma_f32 v[100:101], v[168:169], v[152:153], v[108:109] op_sel_hi:[1,0,1]
	v_pk_mul_f32 v[98:99], v[228:229], v[98:99] op_sel_hi:[1,0]
	v_mov_b32_e32 v107, v105
	v_pk_add_f32 v[96:97], v[96:97], v[102:103]
	v_pk_fma_f32 v[102:103], v[168:169], v[152:153], v[108:109] neg_lo:[0,0,1] neg_hi:[0,0,1]
	v_mov_b32_e32 v103, v101
	v_pk_fma_f32 v[100:101], v[170:171], v[154:155], v[98:99] op_sel_hi:[1,0,1]
	s_wait_loadcnt_dscnt 0x100
	v_pk_mul_f32 v[104:105], v[220:221], v[216:217] op_sel:[1,1] op_sel_hi:[0,1]
	v_pk_add_f32 v[96:97], v[96:97], v[106:107]
	v_pk_fma_f32 v[98:99], v[170:171], v[154:155], v[98:99] neg_lo:[0,0,1] neg_hi:[0,0,1]
	v_mov_b32_e32 v99, v101
	s_delay_alu instid0(VALU_DEP_4) | instskip(NEXT) | instid1(VALU_DEP_4)
	v_pk_fma_f32 v[100:101], v[220:221], v[216:217], v[104:105] op_sel_hi:[1,0,1]
	v_pk_add_f32 v[96:97], v[96:97], v[102:103]
	v_pk_fma_f32 v[102:103], v[220:221], v[216:217], v[104:105] neg_lo:[0,0,1] neg_hi:[0,0,1]
	s_delay_alu instid0(VALU_DEP_3) | instskip(NEXT) | instid1(VALU_DEP_3)
	v_mov_b32_e32 v103, v101
	v_pk_add_f32 v[96:97], v[96:97], v[98:99]
	s_delay_alu instid0(VALU_DEP_1) | instskip(SKIP_1) | instid1(VALU_DEP_1)
	v_pk_add_f32 v[96:97], v[96:97], v[102:103]
	s_wait_loadcnt 0x0
	v_pk_add_f32 v[96:97], v[218:219], v[96:97] neg_lo:[0,1] neg_hi:[0,1]
	scratch_store_b64 off, v[96:97], off offset:120
	s_wait_xcnt 0x0
	v_cmpx_lt_u32_e32 14, v0
	s_cbranch_execz .LBB110_267
; %bb.266:
	scratch_load_b64 v[96:97], off, off offset:112
	v_mov_b64_e32 v[98:99], 0
	scratch_store_b64 off, v[98:99], off offset:112
	s_wait_loadcnt 0x0
	ds_store_b64 v1, v[96:97]
.LBB110_267:
	s_wait_xcnt 0x0
	s_or_b32 exec_lo, exec_lo, s0
	s_wait_storecnt_dscnt 0x0
	s_barrier_signal -1
	s_barrier_wait -1
	s_clause 0x10
	scratch_load_b128 v[96:99], off, off offset:120
	scratch_load_b128 v[100:103], off, off offset:136
	;; [unrolled: 1-line block ×16, first 2 shown]
	scratch_load_b64 v[224:225], off, off offset:112
	ds_load_2addr_b64 v[160:163], v7 offset0:87 offset1:88
	ds_load_2addr_b64 v[164:167], v7 offset0:89 offset1:90
	;; [unrolled: 1-line block ×16, first 2 shown]
	s_mov_b32 s0, exec_lo
	s_wait_dscnt 0xf
	v_dual_mov_b32 v226, v163 :: v_dual_mov_b32 v227, v162
	s_wait_dscnt 0xe
	v_dual_mov_b32 v228, v167 :: v_dual_mov_b32 v229, v166
	;; [unrolled: 2-line block ×4, first 2 shown]
	s_wait_loadcnt_dscnt 0x100b
	v_dual_mul_f32 v7, v176, v97 :: v_dual_mul_f32 v9, v178, v99
	v_dual_mul_f32 v51, v177, v97 :: v_dual_mul_f32 v53, v179, v99
	s_wait_loadcnt_dscnt 0xf0a
	v_dual_mul_f32 v11, v180, v101 :: v_dual_mul_f32 v13, v182, v103
	s_delay_alu instid0(VALU_DEP_3) | instskip(SKIP_3) | instid1(VALU_DEP_3)
	v_dual_fmac_f32 v7, v177, v96 :: v_dual_fmac_f32 v9, v179, v98
	s_wait_loadcnt_dscnt 0xd08
	v_dual_fma_f32 v51, v176, v96, -v51 :: v_dual_mul_f32 v63, v189, v109
	v_dual_mul_f32 v55, v181, v101 :: v_dual_mul_f32 v57, v183, v103
	v_dual_fma_f32 v53, v178, v98, -v53 :: v_dual_add_f32 v7, 0, v7
	s_delay_alu instid0(VALU_DEP_3) | instskip(SKIP_1) | instid1(VALU_DEP_4)
	v_dual_add_f32 v51, 0, v51 :: v_dual_fmac_f32 v11, v181, v100
	v_dual_mul_f32 v15, v184, v105 :: v_dual_mul_f32 v17, v186, v107
	v_dual_mul_f32 v65, v191, v111 :: v_dual_fma_f32 v55, v180, v100, -v55
	s_delay_alu instid0(VALU_DEP_4) | instskip(NEXT) | instid1(VALU_DEP_3)
	v_add_f32_e32 v7, v7, v9
	v_dual_add_f32 v9, v51, v53 :: v_dual_fmac_f32 v15, v185, v104
	v_dual_mul_f32 v59, v185, v105 :: v_dual_mul_f32 v61, v187, v107
	s_wait_loadcnt_dscnt 0xc07
	v_dual_mul_f32 v51, v193, v113 :: v_dual_fmac_f32 v13, v183, v102
	v_dual_fma_f32 v53, v182, v102, -v57 :: v_dual_add_f32 v7, v7, v11
	s_delay_alu instid0(VALU_DEP_3) | instskip(SKIP_1) | instid1(VALU_DEP_3)
	v_dual_add_f32 v9, v9, v55 :: v_dual_fma_f32 v55, v184, v104, -v59
	v_dual_mul_f32 v19, v188, v109 :: v_dual_mul_f32 v21, v190, v111
	v_add_f32_e32 v7, v7, v13
	s_delay_alu instid0(VALU_DEP_3) | instskip(SKIP_2) | instid1(VALU_DEP_3)
	v_dual_mul_f32 v11, v195, v115 :: v_dual_add_f32 v9, v9, v53
	s_wait_loadcnt_dscnt 0xb06
	v_dual_mul_f32 v13, v197, v117 :: v_dual_fmac_f32 v17, v187, v106
	v_dual_fma_f32 v53, v186, v106, -v61 :: v_dual_add_f32 v7, v7, v15
	s_delay_alu instid0(VALU_DEP_3) | instskip(SKIP_1) | instid1(VALU_DEP_3)
	v_dual_add_f32 v9, v9, v55 :: v_dual_fma_f32 v55, v188, v108, -v63
	v_dual_mul_f32 v15, v199, v119 :: v_dual_fmac_f32 v19, v189, v108
	v_add_f32_e32 v7, v7, v17
	s_delay_alu instid0(VALU_DEP_3)
	v_dual_add_f32 v9, v9, v53 :: v_dual_fmac_f32 v21, v191, v110
	v_dual_mul_f32 v23, v192, v113 :: v_dual_mul_f32 v25, v194, v115
	s_wait_loadcnt_dscnt 0xa05
	v_dual_fma_f32 v53, v190, v110, -v65 :: v_dual_mul_f32 v17, v201, v121
	v_add_f32_e32 v7, v7, v19
	v_dual_add_f32 v9, v9, v55 :: v_dual_fma_f32 v51, v192, v112, -v51
	v_dual_mul_f32 v19, v203, v123 :: v_dual_fmac_f32 v23, v193, v112
	s_delay_alu instid0(VALU_DEP_3) | instskip(NEXT) | instid1(VALU_DEP_3)
	v_dual_add_f32 v7, v7, v21 :: v_dual_fma_f32 v11, v194, v114, -v11
	v_dual_add_f32 v9, v9, v53 :: v_dual_fmac_f32 v25, v195, v114
	v_dual_mul_f32 v27, v196, v117 :: v_dual_mul_f32 v29, v198, v119
	s_wait_loadcnt_dscnt 0x904
	s_delay_alu instid0(VALU_DEP_3) | instskip(NEXT) | instid1(VALU_DEP_3)
	v_dual_mul_f32 v21, v205, v125 :: v_dual_add_f32 v7, v7, v23
	v_dual_add_f32 v9, v9, v51 :: v_dual_fma_f32 v13, v196, v116, -v13
	s_delay_alu instid0(VALU_DEP_3) | instskip(NEXT) | instid1(VALU_DEP_2)
	v_dual_mul_f32 v23, v207, v127 :: v_dual_fmac_f32 v27, v197, v116
	v_dual_add_f32 v7, v7, v25 :: v_dual_add_f32 v9, v9, v11
	v_dual_mul_f32 v31, v200, v121 :: v_dual_mul_f32 v33, v202, v123
	s_wait_loadcnt_dscnt 0x803
	v_dual_mul_f32 v11, v209, v129 :: v_dual_fmac_f32 v29, v199, v118
	s_delay_alu instid0(VALU_DEP_3) | instskip(SKIP_2) | instid1(VALU_DEP_2)
	v_dual_fma_f32 v15, v198, v118, -v15 :: v_dual_add_f32 v7, v7, v27
	v_dual_add_f32 v9, v9, v13 :: v_dual_mul_f32 v13, v211, v131
	v_dual_fmac_f32 v31, v201, v120 :: v_dual_fma_f32 v17, v200, v120, -v17
	v_dual_add_f32 v7, v7, v29 :: v_dual_add_f32 v9, v9, v15
	v_dual_mul_f32 v35, v204, v125 :: v_dual_mul_f32 v37, v206, v127
	s_wait_loadcnt_dscnt 0x702
	v_dual_mul_f32 v15, v213, v133 :: v_dual_fmac_f32 v33, v203, v122
	s_delay_alu instid0(VALU_DEP_3) | instskip(SKIP_2) | instid1(VALU_DEP_2)
	v_dual_fma_f32 v19, v202, v122, -v19 :: v_dual_add_f32 v7, v7, v31
	v_dual_add_f32 v9, v9, v17 :: v_dual_mul_f32 v17, v215, v135
	v_dual_fmac_f32 v35, v205, v124 :: v_dual_fma_f32 v21, v204, v124, -v21
	v_dual_add_f32 v7, v7, v33 :: v_dual_add_f32 v9, v9, v19
	v_dual_mul_f32 v39, v208, v129 :: v_dual_mul_f32 v41, v210, v131
	s_wait_loadcnt_dscnt 0x601
	v_dual_mul_f32 v19, v217, v137 :: v_dual_fmac_f32 v37, v207, v126
	s_delay_alu instid0(VALU_DEP_3) | instskip(SKIP_2) | instid1(VALU_DEP_3)
	v_dual_fma_f32 v23, v206, v126, -v23 :: v_dual_add_f32 v7, v7, v35
	v_dual_add_f32 v9, v9, v21 :: v_dual_mul_f32 v21, v219, v139
	v_fmac_f32_e32 v39, v209, v128
	v_dual_fma_f32 v11, v208, v128, -v11 :: v_dual_add_f32 v7, v7, v37
	s_delay_alu instid0(VALU_DEP_3)
	v_dual_add_f32 v9, v9, v23 :: v_dual_mul_f32 v43, v212, v133
	s_wait_loadcnt_dscnt 0x500
	v_dual_mul_f32 v45, v214, v135 :: v_dual_mul_f32 v23, v221, v141
	v_fmac_f32_e32 v41, v211, v130
	v_dual_fma_f32 v13, v210, v130, -v13 :: v_dual_add_f32 v7, v7, v39
	v_dual_add_f32 v9, v9, v11 :: v_dual_fma_f32 v15, v212, v132, -v15
	v_dual_mul_f32 v11, v223, v143 :: v_dual_fmac_f32 v43, v213, v132
	s_delay_alu instid0(VALU_DEP_3) | instskip(NEXT) | instid1(VALU_DEP_3)
	v_add_f32_e32 v7, v7, v41
	v_dual_add_f32 v9, v9, v13 :: v_dual_fmac_f32 v45, v215, v134
	v_dual_mul_f32 v47, v216, v137 :: v_dual_mul_f32 v49, v218, v139
	s_delay_alu instid0(VALU_DEP_3) | instskip(SKIP_1) | instid1(VALU_DEP_3)
	v_dual_fma_f32 v13, v214, v134, -v17 :: v_dual_add_f32 v7, v7, v43
	s_wait_loadcnt 0x4
	v_dual_add_f32 v9, v9, v15 :: v_dual_mov_b32 v98, v147
	s_delay_alu instid0(VALU_DEP_3) | instskip(NEXT) | instid1(VALU_DEP_3)
	v_fmac_f32_e32 v47, v217, v136
	v_dual_fma_f32 v15, v216, v136, -v19 :: v_dual_add_f32 v7, v7, v45
	s_delay_alu instid0(VALU_DEP_3) | instskip(SKIP_1) | instid1(VALU_DEP_3)
	v_dual_add_f32 v9, v9, v13 :: v_dual_fmac_f32 v49, v219, v138
	v_dual_mul_f32 v235, v220, v141 :: v_dual_mul_f32 v237, v222, v143
	v_dual_fma_f32 v13, v218, v138, -v21 :: v_dual_add_f32 v7, v7, v47
	s_wait_loadcnt 0x3
	s_delay_alu instid0(VALU_DEP_3) | instskip(SKIP_1) | instid1(VALU_DEP_3)
	v_dual_add_f32 v9, v9, v15 :: v_dual_mov_b32 v102, v151
	v_pk_mul_f32 v[96:97], v[160:161], v[144:145] op_sel:[1,1] op_sel_hi:[0,1]
	v_dual_fmac_f32 v235, v221, v140 :: v_dual_add_f32 v105, v7, v49
	s_delay_alu instid0(VALU_DEP_3) | instskip(SKIP_1) | instid1(VALU_DEP_4)
	v_dual_fma_f32 v234, v220, v140, -v23 :: v_dual_add_f32 v104, v9, v13
	v_dual_fmac_f32 v237, v223, v142 :: v_dual_fma_f32 v236, v222, v142, -v11
	v_pk_fma_f32 v[106:107], v[160:161], v[144:145], v[96:97] op_sel_hi:[1,0,1]
	v_pk_mul_f32 v[98:99], v[226:227], v[98:99] op_sel_hi:[1,0]
	s_delay_alu instid0(VALU_DEP_4)
	v_pk_add_f32 v[104:105], v[104:105], v[234:235]
	v_pk_fma_f32 v[96:97], v[160:161], v[144:145], v[96:97] neg_lo:[0,0,1] neg_hi:[0,0,1]
	v_pk_mul_f32 v[100:101], v[164:165], v[148:149] op_sel:[1,1] op_sel_hi:[0,1]
	v_mov_b32_e32 v97, v107
	v_pk_fma_f32 v[106:107], v[162:163], v[146:147], v[98:99] op_sel_hi:[1,0,1]
	v_pk_add_f32 v[104:105], v[104:105], v[236:237]
	v_pk_fma_f32 v[98:99], v[162:163], v[146:147], v[98:99] neg_lo:[0,0,1] neg_hi:[0,0,1]
	v_pk_fma_f32 v[110:111], v[164:165], v[148:149], v[100:101] op_sel_hi:[1,0,1]
	v_pk_mul_f32 v[102:103], v[228:229], v[102:103] op_sel_hi:[1,0]
	v_mov_b32_e32 v99, v107
	v_pk_add_f32 v[96:97], v[104:105], v[96:97]
	s_wait_loadcnt 0x2
	v_pk_mul_f32 v[108:109], v[168:169], v[152:153] op_sel:[1,1] op_sel_hi:[0,1]
	v_mov_b32_e32 v104, v155
	v_pk_fma_f32 v[100:101], v[164:165], v[148:149], v[100:101] neg_lo:[0,0,1] neg_hi:[0,0,1]
	v_mov_b32_e32 v101, v111
	v_pk_fma_f32 v[106:107], v[166:167], v[150:151], v[102:103] op_sel_hi:[1,0,1]
	v_pk_add_f32 v[96:97], v[96:97], v[98:99]
	v_pk_fma_f32 v[98:99], v[168:169], v[152:153], v[108:109] op_sel_hi:[1,0,1]
	v_pk_mul_f32 v[104:105], v[230:231], v[104:105] op_sel_hi:[1,0]
	v_pk_fma_f32 v[102:103], v[166:167], v[150:151], v[102:103] neg_lo:[0,0,1] neg_hi:[0,0,1]
	v_mov_b32_e32 v103, v107
	v_pk_add_f32 v[96:97], v[96:97], v[100:101]
	v_pk_fma_f32 v[106:107], v[168:169], v[152:153], v[108:109] neg_lo:[0,0,1] neg_hi:[0,0,1]
	v_mov_b32_e32 v107, v99
	v_pk_fma_f32 v[98:99], v[170:171], v[154:155], v[104:105] op_sel_hi:[1,0,1]
	s_wait_loadcnt 0x1
	v_pk_mul_f32 v[100:101], v[172:173], v[156:157] op_sel:[1,1] op_sel_hi:[0,1]
	v_pk_add_f32 v[96:97], v[96:97], v[102:103]
	v_mov_b32_e32 v98, v159
	v_pk_fma_f32 v[104:105], v[170:171], v[154:155], v[104:105] neg_lo:[0,0,1] neg_hi:[0,0,1]
	v_mov_b32_e32 v105, v99
	v_pk_fma_f32 v[102:103], v[172:173], v[156:157], v[100:101] op_sel_hi:[1,0,1]
	v_pk_add_f32 v[96:97], v[96:97], v[106:107]
	v_pk_mul_f32 v[98:99], v[232:233], v[98:99] op_sel_hi:[1,0]
	v_pk_fma_f32 v[100:101], v[172:173], v[156:157], v[100:101] neg_lo:[0,0,1] neg_hi:[0,0,1]
	s_delay_alu instid0(VALU_DEP_4) | instskip(NEXT) | instid1(VALU_DEP_4)
	v_mov_b32_e32 v101, v103
	v_pk_add_f32 v[96:97], v[96:97], v[104:105]
	s_delay_alu instid0(VALU_DEP_4) | instskip(SKIP_1) | instid1(VALU_DEP_2)
	v_pk_fma_f32 v[102:103], v[174:175], v[158:159], v[98:99] op_sel_hi:[1,0,1]
	v_pk_fma_f32 v[98:99], v[174:175], v[158:159], v[98:99] neg_lo:[0,0,1] neg_hi:[0,0,1]
	v_mov_b32_e32 v99, v103
	s_delay_alu instid0(VALU_DEP_4) | instskip(NEXT) | instid1(VALU_DEP_1)
	v_pk_add_f32 v[96:97], v[96:97], v[100:101]
	v_pk_add_f32 v[96:97], v[96:97], v[98:99]
	s_wait_loadcnt 0x0
	s_delay_alu instid0(VALU_DEP_1)
	v_pk_add_f32 v[96:97], v[224:225], v[96:97] neg_lo:[0,1] neg_hi:[0,1]
	scratch_store_b64 off, v[96:97], off offset:112
	s_wait_xcnt 0x0
	v_cmpx_lt_u32_e32 13, v0
	s_cbranch_execz .LBB110_269
; %bb.268:
	scratch_load_b64 v[96:97], off, off offset:104
	v_mov_b64_e32 v[98:99], 0
	scratch_store_b64 off, v[98:99], off offset:104
	s_wait_loadcnt 0x0
	ds_store_b64 v1, v[96:97]
.LBB110_269:
	s_wait_xcnt 0x0
	s_or_b32 exec_lo, exec_lo, s0
	s_wait_storecnt_dscnt 0x0
	s_barrier_signal -1
	s_barrier_wait -1
	s_clause 0x11
	scratch_load_b128 v[96:99], off, off offset:112
	scratch_load_b128 v[100:103], off, off offset:128
	;; [unrolled: 1-line block ×16, first 2 shown]
	scratch_load_b64 v[224:225], off, off offset:368
	scratch_load_b64 v[226:227], off, off offset:104
	v_mov_b32_e32 v7, 0
	ds_load_b128 v[160:163], v7 offset:688
	ds_load_b128 v[164:167], v7 offset:704
	;; [unrolled: 1-line block ×16, first 2 shown]
	ds_load_b64 v[228:229], v7 offset:752
	s_mov_b32 s0, exec_lo
	s_wait_dscnt 0x10
	v_dual_mov_b32 v230, v163 :: v_dual_mov_b32 v231, v162
	s_wait_dscnt 0xd
	v_dual_mov_b32 v232, v167 :: v_dual_mov_b32 v237, v174
	v_dual_mov_b32 v233, v166 :: v_dual_mov_b32 v234, v171
	;; [unrolled: 1-line block ×3, first 2 shown]
	s_wait_loadcnt_dscnt 0x110c
	v_dual_mul_f32 v9, v176, v97 :: v_dual_mul_f32 v55, v177, v97
	v_dual_mul_f32 v57, v179, v99 :: v_dual_mul_f32 v11, v178, v99
	s_wait_loadcnt_dscnt 0x100b
	v_mul_f32_e32 v13, v180, v101
	s_wait_loadcnt_dscnt 0xe09
	v_dual_mul_f32 v67, v189, v109 :: v_dual_fma_f32 v55, v176, v96, -v55
	v_dual_fmac_f32 v9, v177, v96 :: v_dual_mul_f32 v69, v191, v111
	v_dual_mul_f32 v59, v181, v101 :: v_dual_mul_f32 v61, v183, v103
	v_dual_fmac_f32 v11, v179, v98 :: v_dual_fma_f32 v57, v178, v98, -v57
	s_delay_alu instid0(VALU_DEP_3) | instskip(SKIP_4) | instid1(VALU_DEP_3)
	v_dual_add_f32 v9, 0, v9 :: v_dual_add_f32 v55, 0, v55
	v_dual_mul_f32 v15, v182, v103 :: v_dual_mul_f32 v17, v184, v105
	s_wait_loadcnt_dscnt 0xd08
	v_dual_mul_f32 v71, v193, v113 :: v_dual_fma_f32 v59, v180, v100, -v59
	v_fmac_f32_e32 v13, v181, v100
	v_dual_add_f32 v9, v9, v11 :: v_dual_fmac_f32 v15, v183, v102
	v_add_f32_e32 v11, v55, v57
	v_dual_mul_f32 v63, v185, v105 :: v_dual_mul_f32 v65, v187, v107
	v_dual_mul_f32 v55, v195, v115 :: v_dual_fma_f32 v57, v182, v102, -v61
	s_delay_alu instid0(VALU_DEP_3) | instskip(SKIP_3) | instid1(VALU_DEP_3)
	v_dual_add_f32 v9, v9, v13 :: v_dual_add_f32 v11, v11, v59
	v_dual_mul_f32 v19, v186, v107 :: v_dual_mul_f32 v21, v188, v109
	s_wait_loadcnt_dscnt 0xc07
	v_dual_mul_f32 v13, v197, v117 :: v_dual_fma_f32 v59, v184, v104, -v63
	v_dual_fmac_f32 v17, v185, v104 :: v_dual_add_f32 v11, v11, v57
	s_delay_alu instid0(VALU_DEP_3) | instskip(SKIP_1) | instid1(VALU_DEP_2)
	v_dual_add_f32 v9, v9, v15 :: v_dual_fmac_f32 v19, v187, v106
	v_dual_mul_f32 v15, v199, v119 :: v_dual_fma_f32 v57, v186, v106, -v65
	v_dual_add_f32 v11, v11, v59 :: v_dual_add_f32 v9, v9, v17
	v_dual_mul_f32 v23, v190, v111 :: v_dual_mul_f32 v25, v192, v113
	s_wait_loadcnt_dscnt 0xb06
	v_dual_mul_f32 v17, v201, v121 :: v_dual_fma_f32 v59, v188, v108, -v67
	s_delay_alu instid0(VALU_DEP_3) | instskip(NEXT) | instid1(VALU_DEP_3)
	v_dual_fmac_f32 v21, v189, v108 :: v_dual_add_f32 v11, v11, v57
	v_dual_add_f32 v9, v9, v19 :: v_dual_fmac_f32 v23, v191, v110
	v_dual_mul_f32 v19, v203, v123 :: v_dual_fma_f32 v57, v190, v110, -v69
	s_delay_alu instid0(VALU_DEP_2) | instskip(SKIP_3) | instid1(VALU_DEP_3)
	v_dual_add_f32 v11, v11, v59 :: v_dual_add_f32 v9, v9, v21
	v_dual_mul_f32 v27, v194, v115 :: v_dual_mul_f32 v29, v196, v117
	s_wait_loadcnt_dscnt 0xa05
	v_dual_mul_f32 v21, v205, v125 :: v_dual_fma_f32 v59, v192, v112, -v71
	v_dual_fmac_f32 v25, v193, v112 :: v_dual_add_f32 v11, v11, v57
	s_delay_alu instid0(VALU_DEP_3) | instskip(SKIP_1) | instid1(VALU_DEP_2)
	v_dual_add_f32 v9, v9, v23 :: v_dual_fmac_f32 v27, v195, v114
	v_dual_mul_f32 v23, v207, v127 :: v_dual_fma_f32 v55, v194, v114, -v55
	v_dual_add_f32 v11, v11, v59 :: v_dual_add_f32 v9, v9, v25
	v_dual_mul_f32 v31, v198, v119 :: v_dual_mul_f32 v33, v200, v121
	s_wait_loadcnt_dscnt 0x904
	v_dual_mul_f32 v25, v209, v129 :: v_dual_fma_f32 v13, v196, v116, -v13
	s_delay_alu instid0(VALU_DEP_3) | instskip(NEXT) | instid1(VALU_DEP_3)
	v_dual_fmac_f32 v29, v197, v116 :: v_dual_add_f32 v11, v11, v55
	v_dual_add_f32 v9, v9, v27 :: v_dual_fmac_f32 v31, v199, v118
	v_dual_mul_f32 v27, v211, v131 :: v_dual_fma_f32 v15, v198, v118, -v15
	s_delay_alu instid0(VALU_DEP_3) | instskip(NEXT) | instid1(VALU_DEP_3)
	v_dual_add_f32 v11, v11, v13 :: v_dual_fmac_f32 v33, v201, v120
	v_dual_add_f32 v9, v9, v29 :: v_dual_fma_f32 v17, v200, v120, -v17
	v_dual_mul_f32 v35, v202, v123 :: v_dual_mul_f32 v37, v204, v125
	s_wait_loadcnt_dscnt 0x803
	s_delay_alu instid0(VALU_DEP_3) | instskip(NEXT) | instid1(VALU_DEP_2)
	v_dual_mul_f32 v13, v213, v133 :: v_dual_add_f32 v11, v11, v15
	v_dual_add_f32 v9, v9, v31 :: v_dual_fmac_f32 v35, v203, v122
	v_dual_mul_f32 v15, v215, v135 :: v_dual_fma_f32 v19, v202, v122, -v19
	s_delay_alu instid0(VALU_DEP_3) | instskip(NEXT) | instid1(VALU_DEP_3)
	v_dual_add_f32 v11, v11, v17 :: v_dual_fmac_f32 v37, v205, v124
	v_dual_add_f32 v9, v9, v33 :: v_dual_fma_f32 v21, v204, v124, -v21
	v_dual_mul_f32 v39, v206, v127 :: v_dual_mul_f32 v41, v208, v129
	s_wait_loadcnt_dscnt 0x702
	s_delay_alu instid0(VALU_DEP_3) | instskip(NEXT) | instid1(VALU_DEP_2)
	v_dual_mul_f32 v17, v217, v137 :: v_dual_add_f32 v11, v11, v19
	;; [unrolled: 9-line block ×3, first 2 shown]
	v_dual_add_f32 v9, v9, v39 :: v_dual_fmac_f32 v43, v211, v130
	v_dual_mul_f32 v23, v223, v143 :: v_dual_fma_f32 v27, v210, v130, -v27
	s_delay_alu instid0(VALU_DEP_3) | instskip(NEXT) | instid1(VALU_DEP_3)
	v_dual_add_f32 v11, v11, v25 :: v_dual_fmac_f32 v45, v213, v132
	v_dual_add_f32 v9, v9, v41 :: v_dual_fma_f32 v13, v212, v132, -v13
	v_dual_mul_f32 v47, v214, v135 :: v_dual_mul_f32 v49, v216, v137
	s_wait_loadcnt 0x5
	s_delay_alu instid0(VALU_DEP_3) | instskip(NEXT) | instid1(VALU_DEP_3)
	v_dual_mul_f32 v25, v161, v145 :: v_dual_add_f32 v11, v11, v27
	v_dual_add_f32 v9, v9, v43 :: v_dual_mov_b32 v96, v147
	s_delay_alu instid0(VALU_DEP_3) | instskip(NEXT) | instid1(VALU_DEP_3)
	v_fmac_f32_e32 v47, v215, v134
	v_dual_fma_f32 v15, v214, v134, -v15 :: v_dual_add_f32 v11, v11, v13
	s_delay_alu instid0(VALU_DEP_3) | instskip(SKIP_1) | instid1(VALU_DEP_3)
	v_dual_add_f32 v9, v9, v45 :: v_dual_mul_f32 v51, v218, v139
	v_dual_mul_f32 v53, v220, v141 :: v_dual_fmac_f32 v49, v217, v136
	v_dual_add_f32 v11, v11, v15 :: v_dual_fma_f32 v13, v216, v136, -v17
	s_wait_loadcnt 0x4
	s_delay_alu instid0(VALU_DEP_3) | instskip(SKIP_3) | instid1(VALU_DEP_4)
	v_dual_add_f32 v9, v9, v47 :: v_dual_mov_b32 v100, v151
	v_fma_f32 v15, v218, v138, -v19
	v_fmac_f32_e32 v51, v219, v138
	v_dual_add_f32 v11, v11, v13 :: v_dual_fmac_f32 v53, v221, v140
	v_dual_add_f32 v9, v9, v49 :: v_dual_mul_f32 v239, v222, v143
	v_mul_f32_e32 v241, v160, v145
	s_delay_alu instid0(VALU_DEP_3) | instskip(NEXT) | instid1(VALU_DEP_3)
	v_dual_fma_f32 v13, v220, v140, -v21 :: v_dual_add_f32 v11, v11, v15
	v_dual_fma_f32 v238, v222, v142, -v23 :: v_dual_add_f32 v9, v9, v51
	s_delay_alu instid0(VALU_DEP_4) | instskip(SKIP_1) | instid1(VALU_DEP_4)
	v_fmac_f32_e32 v239, v223, v142
	v_pk_mul_f32 v[96:97], v[230:231], v[96:97] op_sel_hi:[1,0]
	v_dual_add_f32 v104, v11, v13 :: v_dual_fmac_f32 v241, v161, v144
	s_delay_alu instid0(VALU_DEP_4)
	v_add_f32_e32 v105, v9, v53
	v_pk_mul_f32 v[98:99], v[164:165], v[148:149] op_sel:[1,1] op_sel_hi:[0,1]
	s_wait_loadcnt 0x3
	v_dual_mov_b32 v106, v155 :: v_dual_fma_f32 v240, v160, v144, -v25
	v_pk_fma_f32 v[108:109], v[162:163], v[146:147], v[96:97] op_sel_hi:[1,0,1]
	v_pk_add_f32 v[104:105], v[104:105], v[238:239]
	v_pk_fma_f32 v[96:97], v[162:163], v[146:147], v[96:97] neg_lo:[0,0,1] neg_hi:[0,0,1]
	v_pk_fma_f32 v[110:111], v[164:165], v[148:149], v[98:99] op_sel_hi:[1,0,1]
	v_pk_mul_f32 v[100:101], v[232:233], v[100:101] op_sel_hi:[1,0]
	v_mov_b32_e32 v97, v109
	v_pk_add_f32 v[104:105], v[104:105], v[240:241]
	v_pk_fma_f32 v[98:99], v[164:165], v[148:149], v[98:99] neg_lo:[0,0,1] neg_hi:[0,0,1]
	v_pk_mul_f32 v[102:103], v[168:169], v[152:153] op_sel:[1,1] op_sel_hi:[0,1]
	v_mov_b32_e32 v99, v111
	v_pk_fma_f32 v[110:111], v[166:167], v[150:151], v[100:101] op_sel_hi:[1,0,1]
	v_pk_add_f32 v[96:97], v[104:105], v[96:97]
	v_pk_fma_f32 v[100:101], v[166:167], v[150:151], v[100:101] neg_lo:[0,0,1] neg_hi:[0,0,1]
	v_pk_fma_f32 v[104:105], v[168:169], v[152:153], v[102:103] op_sel_hi:[1,0,1]
	v_pk_mul_f32 v[106:107], v[234:235], v[106:107] op_sel_hi:[1,0]
	v_mov_b32_e32 v101, v111
	v_pk_add_f32 v[96:97], v[96:97], v[98:99]
	v_pk_fma_f32 v[102:103], v[168:169], v[152:153], v[102:103] neg_lo:[0,0,1] neg_hi:[0,0,1]
	s_wait_loadcnt 0x2
	v_pk_mul_f32 v[108:109], v[172:173], v[156:157] op_sel:[1,1] op_sel_hi:[0,1]
	v_dual_mov_b32 v98, v159 :: v_dual_mov_b32 v103, v105
	v_pk_fma_f32 v[104:105], v[170:171], v[154:155], v[106:107] op_sel_hi:[1,0,1]
	v_pk_add_f32 v[96:97], v[96:97], v[100:101]
	v_pk_fma_f32 v[106:107], v[170:171], v[154:155], v[106:107] neg_lo:[0,0,1] neg_hi:[0,0,1]
	v_pk_fma_f32 v[100:101], v[172:173], v[156:157], v[108:109] op_sel_hi:[1,0,1]
	v_pk_mul_f32 v[98:99], v[236:237], v[98:99] op_sel_hi:[1,0]
	v_mov_b32_e32 v107, v105
	v_pk_add_f32 v[96:97], v[96:97], v[102:103]
	v_pk_fma_f32 v[102:103], v[172:173], v[156:157], v[108:109] neg_lo:[0,0,1] neg_hi:[0,0,1]
	v_mov_b32_e32 v103, v101
	v_pk_fma_f32 v[100:101], v[174:175], v[158:159], v[98:99] op_sel_hi:[1,0,1]
	s_wait_loadcnt_dscnt 0x100
	v_pk_mul_f32 v[104:105], v[228:229], v[224:225] op_sel:[1,1] op_sel_hi:[0,1]
	v_pk_add_f32 v[96:97], v[96:97], v[106:107]
	v_pk_fma_f32 v[98:99], v[174:175], v[158:159], v[98:99] neg_lo:[0,0,1] neg_hi:[0,0,1]
	v_mov_b32_e32 v99, v101
	s_delay_alu instid0(VALU_DEP_4) | instskip(NEXT) | instid1(VALU_DEP_4)
	v_pk_fma_f32 v[100:101], v[228:229], v[224:225], v[104:105] op_sel_hi:[1,0,1]
	v_pk_add_f32 v[96:97], v[96:97], v[102:103]
	v_pk_fma_f32 v[102:103], v[228:229], v[224:225], v[104:105] neg_lo:[0,0,1] neg_hi:[0,0,1]
	s_delay_alu instid0(VALU_DEP_3) | instskip(NEXT) | instid1(VALU_DEP_3)
	v_mov_b32_e32 v103, v101
	v_pk_add_f32 v[96:97], v[96:97], v[98:99]
	s_delay_alu instid0(VALU_DEP_1) | instskip(SKIP_1) | instid1(VALU_DEP_1)
	v_pk_add_f32 v[96:97], v[96:97], v[102:103]
	s_wait_loadcnt 0x0
	v_pk_add_f32 v[96:97], v[226:227], v[96:97] neg_lo:[0,1] neg_hi:[0,1]
	scratch_store_b64 off, v[96:97], off offset:104
	s_wait_xcnt 0x0
	v_cmpx_lt_u32_e32 12, v0
	s_cbranch_execz .LBB110_271
; %bb.270:
	scratch_load_b64 v[96:97], off, off offset:96
	v_mov_b64_e32 v[98:99], 0
	scratch_store_b64 off, v[98:99], off offset:96
	s_wait_loadcnt 0x0
	ds_store_b64 v1, v[96:97]
.LBB110_271:
	s_wait_xcnt 0x0
	s_or_b32 exec_lo, exec_lo, s0
	s_wait_storecnt_dscnt 0x0
	s_barrier_signal -1
	s_barrier_wait -1
	s_clause 0x11
	scratch_load_b128 v[96:99], off, off offset:104
	scratch_load_b128 v[100:103], off, off offset:120
	;; [unrolled: 1-line block ×17, first 2 shown]
	scratch_load_b64 v[232:233], off, off offset:96
	ds_load_2addr_b64 v[164:167], v7 offset0:87 offset1:88
	ds_load_2addr_b64 v[168:171], v7 offset0:89 offset1:90
	ds_load_2addr_b64 v[172:175], v7 offset0:91 offset1:92
	ds_load_2addr_b64 v[176:179], v7 offset0:93 offset1:94
	ds_load_2addr_b64 v[180:183], v7 offset0:85 offset1:86
	ds_load_2addr_b64 v[184:187], v7 offset0:61 offset1:62
	ds_load_2addr_b64 v[188:191], v7 offset0:63 offset1:64
	ds_load_2addr_b64 v[192:195], v7 offset0:65 offset1:66
	ds_load_2addr_b64 v[196:199], v7 offset0:67 offset1:68
	ds_load_2addr_b64 v[200:203], v7 offset0:69 offset1:70
	ds_load_2addr_b64 v[204:207], v7 offset0:71 offset1:72
	ds_load_2addr_b64 v[208:211], v7 offset0:73 offset1:74
	ds_load_2addr_b64 v[212:215], v7 offset0:75 offset1:76
	ds_load_2addr_b64 v[216:219], v7 offset0:77 offset1:78
	ds_load_2addr_b64 v[220:223], v7 offset0:79 offset1:80
	ds_load_2addr_b64 v[224:227], v7 offset0:81 offset1:82
	ds_load_2addr_b64 v[228:231], v7 offset0:83 offset1:84
	s_mov_b32 s0, exec_lo
	s_wait_dscnt 0x10
	v_dual_mov_b32 v234, v167 :: v_dual_mov_b32 v235, v166
	s_wait_dscnt 0xf
	v_dual_mov_b32 v236, v171 :: v_dual_mov_b32 v237, v170
	;; [unrolled: 2-line block ×4, first 2 shown]
	s_wait_loadcnt_dscnt 0x110b
	v_dual_mul_f32 v7, v184, v97 :: v_dual_mul_f32 v9, v186, v99
	v_dual_mul_f32 v55, v185, v97 :: v_dual_mul_f32 v57, v187, v99
	s_wait_loadcnt_dscnt 0x100a
	v_dual_mul_f32 v11, v188, v101 :: v_dual_mul_f32 v13, v190, v103
	s_delay_alu instid0(VALU_DEP_3) | instskip(SKIP_3) | instid1(VALU_DEP_3)
	v_dual_fmac_f32 v7, v185, v96 :: v_dual_fmac_f32 v9, v187, v98
	s_wait_loadcnt_dscnt 0xe08
	v_dual_fma_f32 v55, v184, v96, -v55 :: v_dual_mul_f32 v67, v197, v109
	v_dual_mul_f32 v59, v189, v101 :: v_dual_mul_f32 v61, v191, v103
	v_dual_fma_f32 v57, v186, v98, -v57 :: v_dual_add_f32 v7, 0, v7
	s_delay_alu instid0(VALU_DEP_3) | instskip(SKIP_1) | instid1(VALU_DEP_4)
	v_dual_add_f32 v55, 0, v55 :: v_dual_fmac_f32 v11, v189, v100
	v_dual_mul_f32 v15, v192, v105 :: v_dual_mul_f32 v17, v194, v107
	v_dual_mul_f32 v69, v199, v111 :: v_dual_fma_f32 v59, v188, v100, -v59
	s_delay_alu instid0(VALU_DEP_4) | instskip(NEXT) | instid1(VALU_DEP_3)
	v_add_f32_e32 v7, v7, v9
	v_dual_add_f32 v9, v55, v57 :: v_dual_fmac_f32 v15, v193, v104
	v_dual_mul_f32 v63, v193, v105 :: v_dual_mul_f32 v65, v195, v107
	s_wait_loadcnt_dscnt 0xd07
	v_dual_mul_f32 v55, v201, v113 :: v_dual_fmac_f32 v13, v191, v102
	v_dual_fma_f32 v57, v190, v102, -v61 :: v_dual_add_f32 v7, v7, v11
	s_delay_alu instid0(VALU_DEP_3) | instskip(SKIP_1) | instid1(VALU_DEP_3)
	v_dual_add_f32 v9, v9, v59 :: v_dual_fma_f32 v59, v192, v104, -v63
	v_dual_mul_f32 v19, v196, v109 :: v_dual_mul_f32 v21, v198, v111
	v_add_f32_e32 v7, v7, v13
	s_delay_alu instid0(VALU_DEP_3) | instskip(SKIP_2) | instid1(VALU_DEP_3)
	v_dual_mul_f32 v11, v203, v115 :: v_dual_add_f32 v9, v9, v57
	s_wait_loadcnt_dscnt 0xc06
	v_dual_mul_f32 v13, v205, v117 :: v_dual_fmac_f32 v17, v195, v106
	v_dual_fma_f32 v57, v194, v106, -v65 :: v_dual_add_f32 v7, v7, v15
	s_delay_alu instid0(VALU_DEP_3) | instskip(SKIP_1) | instid1(VALU_DEP_3)
	v_dual_add_f32 v9, v9, v59 :: v_dual_fma_f32 v59, v196, v108, -v67
	v_dual_mul_f32 v15, v207, v119 :: v_dual_fmac_f32 v19, v197, v108
	v_add_f32_e32 v7, v7, v17
	s_delay_alu instid0(VALU_DEP_3)
	v_dual_add_f32 v9, v9, v57 :: v_dual_fmac_f32 v21, v199, v110
	v_dual_mul_f32 v23, v200, v113 :: v_dual_mul_f32 v25, v202, v115
	s_wait_loadcnt_dscnt 0xb05
	v_dual_fma_f32 v57, v198, v110, -v69 :: v_dual_mul_f32 v17, v209, v121
	v_add_f32_e32 v7, v7, v19
	v_dual_add_f32 v9, v9, v59 :: v_dual_fma_f32 v55, v200, v112, -v55
	v_dual_mul_f32 v19, v211, v123 :: v_dual_fmac_f32 v23, v201, v112
	s_delay_alu instid0(VALU_DEP_3) | instskip(NEXT) | instid1(VALU_DEP_3)
	v_dual_add_f32 v7, v7, v21 :: v_dual_fma_f32 v11, v202, v114, -v11
	v_dual_add_f32 v9, v9, v57 :: v_dual_fmac_f32 v25, v203, v114
	v_dual_mul_f32 v27, v204, v117 :: v_dual_mul_f32 v29, v206, v119
	s_wait_loadcnt_dscnt 0xa04
	s_delay_alu instid0(VALU_DEP_3) | instskip(NEXT) | instid1(VALU_DEP_3)
	v_dual_mul_f32 v21, v213, v125 :: v_dual_add_f32 v7, v7, v23
	v_dual_add_f32 v9, v9, v55 :: v_dual_fma_f32 v13, v204, v116, -v13
	s_delay_alu instid0(VALU_DEP_3) | instskip(NEXT) | instid1(VALU_DEP_2)
	v_dual_mul_f32 v23, v215, v127 :: v_dual_fmac_f32 v27, v205, v116
	v_dual_add_f32 v7, v7, v25 :: v_dual_add_f32 v9, v9, v11
	v_dual_mul_f32 v31, v208, v121 :: v_dual_mul_f32 v33, v210, v123
	s_wait_loadcnt_dscnt 0x903
	v_dual_mul_f32 v11, v217, v129 :: v_dual_fmac_f32 v29, v207, v118
	s_delay_alu instid0(VALU_DEP_3) | instskip(SKIP_2) | instid1(VALU_DEP_2)
	v_dual_fma_f32 v15, v206, v118, -v15 :: v_dual_add_f32 v7, v7, v27
	v_dual_add_f32 v9, v9, v13 :: v_dual_mul_f32 v13, v219, v131
	v_dual_fmac_f32 v31, v209, v120 :: v_dual_fma_f32 v17, v208, v120, -v17
	v_dual_add_f32 v7, v7, v29 :: v_dual_add_f32 v9, v9, v15
	v_dual_mul_f32 v35, v212, v125 :: v_dual_mul_f32 v37, v214, v127
	s_wait_loadcnt_dscnt 0x802
	v_dual_mul_f32 v15, v221, v133 :: v_dual_fmac_f32 v33, v211, v122
	s_delay_alu instid0(VALU_DEP_3) | instskip(SKIP_2) | instid1(VALU_DEP_2)
	v_dual_fma_f32 v19, v210, v122, -v19 :: v_dual_add_f32 v7, v7, v31
	v_dual_add_f32 v9, v9, v17 :: v_dual_mul_f32 v17, v223, v135
	v_dual_fmac_f32 v35, v213, v124 :: v_dual_fma_f32 v21, v212, v124, -v21
	v_dual_add_f32 v7, v7, v33 :: v_dual_add_f32 v9, v9, v19
	v_dual_mul_f32 v39, v216, v129 :: v_dual_mul_f32 v41, v218, v131
	s_wait_loadcnt_dscnt 0x701
	v_dual_mul_f32 v19, v225, v137 :: v_dual_fmac_f32 v37, v215, v126
	s_delay_alu instid0(VALU_DEP_3) | instskip(SKIP_2) | instid1(VALU_DEP_3)
	v_dual_fma_f32 v23, v214, v126, -v23 :: v_dual_add_f32 v7, v7, v35
	v_dual_add_f32 v9, v9, v21 :: v_dual_mul_f32 v21, v227, v139
	v_fmac_f32_e32 v39, v217, v128
	v_dual_fma_f32 v11, v216, v128, -v11 :: v_dual_add_f32 v7, v7, v37
	s_delay_alu instid0(VALU_DEP_3)
	v_dual_add_f32 v9, v9, v23 :: v_dual_mul_f32 v43, v220, v133
	s_wait_loadcnt_dscnt 0x600
	v_dual_mul_f32 v45, v222, v135 :: v_dual_mul_f32 v23, v229, v141
	v_fmac_f32_e32 v41, v219, v130
	v_dual_fma_f32 v13, v218, v130, -v13 :: v_dual_add_f32 v7, v7, v39
	v_dual_add_f32 v9, v9, v11 :: v_dual_fma_f32 v15, v220, v132, -v15
	v_dual_mul_f32 v11, v231, v143 :: v_dual_fmac_f32 v43, v221, v132
	s_delay_alu instid0(VALU_DEP_3) | instskip(NEXT) | instid1(VALU_DEP_3)
	v_dual_add_f32 v7, v7, v41 :: v_dual_fma_f32 v17, v222, v134, -v17
	v_dual_add_f32 v9, v9, v13 :: v_dual_fmac_f32 v45, v223, v134
	v_dual_mul_f32 v47, v224, v137 :: v_dual_mul_f32 v49, v226, v139
	s_wait_loadcnt 0x5
	s_delay_alu instid0(VALU_DEP_3) | instskip(NEXT) | instid1(VALU_DEP_3)
	v_dual_mul_f32 v13, v181, v145 :: v_dual_add_f32 v7, v7, v43
	v_dual_add_f32 v9, v9, v15 :: v_dual_fma_f32 v19, v224, v136, -v19
	s_delay_alu instid0(VALU_DEP_3) | instskip(NEXT) | instid1(VALU_DEP_3)
	v_dual_mul_f32 v15, v183, v147 :: v_dual_fmac_f32 v47, v225, v136
	v_add_f32_e32 v7, v7, v45
	s_delay_alu instid0(VALU_DEP_3) | instskip(SKIP_1) | instid1(VALU_DEP_3)
	v_dual_add_f32 v9, v9, v17 :: v_dual_fmac_f32 v49, v227, v138
	v_dual_mul_f32 v51, v228, v141 :: v_dual_mul_f32 v53, v230, v143
	v_dual_fma_f32 v17, v226, v138, -v21 :: v_dual_add_f32 v7, v7, v47
	s_wait_loadcnt 0x4
	s_delay_alu instid0(VALU_DEP_3) | instskip(NEXT) | instid1(VALU_DEP_3)
	v_dual_add_f32 v9, v9, v19 :: v_dual_mov_b32 v98, v151
	v_fmac_f32_e32 v51, v229, v140
	s_delay_alu instid0(VALU_DEP_3) | instskip(NEXT) | instid1(VALU_DEP_3)
	v_dual_fma_f32 v19, v228, v140, -v23 :: v_dual_add_f32 v7, v7, v49
	v_dual_add_f32 v9, v9, v17 :: v_dual_fmac_f32 v53, v231, v142
	v_dual_mul_f32 v243, v180, v145 :: v_dual_mul_f32 v245, v182, v147
	s_delay_alu instid0(VALU_DEP_3) | instskip(SKIP_1) | instid1(VALU_DEP_3)
	v_dual_fma_f32 v11, v230, v142, -v11 :: v_dual_add_f32 v7, v7, v51
	s_wait_loadcnt 0x3
	v_dual_add_f32 v9, v9, v19 :: v_dual_mov_b32 v102, v155
	v_pk_mul_f32 v[96:97], v[164:165], v[148:149] op_sel:[1,1] op_sel_hi:[0,1]
	v_dual_fmac_f32 v243, v181, v144 :: v_dual_fma_f32 v242, v180, v144, -v13
	s_delay_alu instid0(VALU_DEP_3) | instskip(SKIP_1) | instid1(VALU_DEP_4)
	v_dual_add_f32 v105, v7, v53 :: v_dual_add_f32 v104, v9, v11
	v_dual_fmac_f32 v245, v183, v146 :: v_dual_fma_f32 v244, v182, v146, -v15
	v_pk_fma_f32 v[106:107], v[164:165], v[148:149], v[96:97] op_sel_hi:[1,0,1]
	v_pk_mul_f32 v[98:99], v[234:235], v[98:99] op_sel_hi:[1,0]
	s_delay_alu instid0(VALU_DEP_4)
	v_pk_add_f32 v[104:105], v[104:105], v[242:243]
	v_pk_fma_f32 v[96:97], v[164:165], v[148:149], v[96:97] neg_lo:[0,0,1] neg_hi:[0,0,1]
	v_pk_mul_f32 v[100:101], v[168:169], v[152:153] op_sel:[1,1] op_sel_hi:[0,1]
	v_mov_b32_e32 v97, v107
	v_pk_fma_f32 v[106:107], v[166:167], v[150:151], v[98:99] op_sel_hi:[1,0,1]
	v_pk_add_f32 v[104:105], v[104:105], v[244:245]
	v_pk_fma_f32 v[98:99], v[166:167], v[150:151], v[98:99] neg_lo:[0,0,1] neg_hi:[0,0,1]
	v_pk_fma_f32 v[110:111], v[168:169], v[152:153], v[100:101] op_sel_hi:[1,0,1]
	v_pk_mul_f32 v[102:103], v[236:237], v[102:103] op_sel_hi:[1,0]
	v_mov_b32_e32 v99, v107
	v_pk_add_f32 v[96:97], v[104:105], v[96:97]
	s_wait_loadcnt 0x2
	v_pk_mul_f32 v[108:109], v[172:173], v[156:157] op_sel:[1,1] op_sel_hi:[0,1]
	v_mov_b32_e32 v104, v159
	v_pk_fma_f32 v[100:101], v[168:169], v[152:153], v[100:101] neg_lo:[0,0,1] neg_hi:[0,0,1]
	v_mov_b32_e32 v101, v111
	v_pk_fma_f32 v[106:107], v[170:171], v[154:155], v[102:103] op_sel_hi:[1,0,1]
	v_pk_add_f32 v[96:97], v[96:97], v[98:99]
	v_pk_fma_f32 v[98:99], v[172:173], v[156:157], v[108:109] op_sel_hi:[1,0,1]
	v_pk_mul_f32 v[104:105], v[238:239], v[104:105] op_sel_hi:[1,0]
	v_pk_fma_f32 v[102:103], v[170:171], v[154:155], v[102:103] neg_lo:[0,0,1] neg_hi:[0,0,1]
	v_mov_b32_e32 v103, v107
	v_pk_add_f32 v[96:97], v[96:97], v[100:101]
	v_pk_fma_f32 v[106:107], v[172:173], v[156:157], v[108:109] neg_lo:[0,0,1] neg_hi:[0,0,1]
	v_mov_b32_e32 v107, v99
	v_pk_fma_f32 v[98:99], v[174:175], v[158:159], v[104:105] op_sel_hi:[1,0,1]
	s_wait_loadcnt 0x1
	v_pk_mul_f32 v[100:101], v[176:177], v[160:161] op_sel:[1,1] op_sel_hi:[0,1]
	v_pk_add_f32 v[96:97], v[96:97], v[102:103]
	v_mov_b32_e32 v98, v163
	v_pk_fma_f32 v[104:105], v[174:175], v[158:159], v[104:105] neg_lo:[0,0,1] neg_hi:[0,0,1]
	v_mov_b32_e32 v105, v99
	v_pk_fma_f32 v[102:103], v[176:177], v[160:161], v[100:101] op_sel_hi:[1,0,1]
	v_pk_add_f32 v[96:97], v[96:97], v[106:107]
	v_pk_mul_f32 v[98:99], v[240:241], v[98:99] op_sel_hi:[1,0]
	v_pk_fma_f32 v[100:101], v[176:177], v[160:161], v[100:101] neg_lo:[0,0,1] neg_hi:[0,0,1]
	s_delay_alu instid0(VALU_DEP_4) | instskip(NEXT) | instid1(VALU_DEP_4)
	v_mov_b32_e32 v101, v103
	v_pk_add_f32 v[96:97], v[96:97], v[104:105]
	s_delay_alu instid0(VALU_DEP_4) | instskip(SKIP_1) | instid1(VALU_DEP_2)
	v_pk_fma_f32 v[102:103], v[178:179], v[162:163], v[98:99] op_sel_hi:[1,0,1]
	v_pk_fma_f32 v[98:99], v[178:179], v[162:163], v[98:99] neg_lo:[0,0,1] neg_hi:[0,0,1]
	v_mov_b32_e32 v99, v103
	s_delay_alu instid0(VALU_DEP_4) | instskip(NEXT) | instid1(VALU_DEP_1)
	v_pk_add_f32 v[96:97], v[96:97], v[100:101]
	v_pk_add_f32 v[96:97], v[96:97], v[98:99]
	s_wait_loadcnt 0x0
	s_delay_alu instid0(VALU_DEP_1)
	v_pk_add_f32 v[96:97], v[232:233], v[96:97] neg_lo:[0,1] neg_hi:[0,1]
	scratch_store_b64 off, v[96:97], off offset:96
	s_wait_xcnt 0x0
	v_cmpx_lt_u32_e32 11, v0
	s_cbranch_execz .LBB110_273
; %bb.272:
	scratch_load_b64 v[96:97], off, off offset:88
	v_mov_b64_e32 v[98:99], 0
	scratch_store_b64 off, v[98:99], off offset:88
	s_wait_loadcnt 0x0
	ds_store_b64 v1, v[96:97]
.LBB110_273:
	s_wait_xcnt 0x0
	s_or_b32 exec_lo, exec_lo, s0
	s_wait_storecnt_dscnt 0x0
	s_barrier_signal -1
	s_barrier_wait -1
	s_clause 0x12
	scratch_load_b128 v[96:99], off, off offset:96
	scratch_load_b128 v[100:103], off, off offset:112
	scratch_load_b128 v[104:107], off, off offset:128
	scratch_load_b128 v[108:111], off, off offset:144
	scratch_load_b128 v[112:115], off, off offset:160
	scratch_load_b128 v[116:119], off, off offset:176
	scratch_load_b128 v[120:123], off, off offset:192
	scratch_load_b128 v[124:127], off, off offset:208
	scratch_load_b128 v[128:131], off, off offset:224
	scratch_load_b128 v[132:135], off, off offset:240
	scratch_load_b128 v[136:139], off, off offset:256
	scratch_load_b128 v[140:143], off, off offset:272
	scratch_load_b128 v[144:147], off, off offset:288
	scratch_load_b128 v[148:151], off, off offset:304
	scratch_load_b128 v[152:155], off, off offset:320
	scratch_load_b128 v[156:159], off, off offset:336
	scratch_load_b128 v[160:163], off, off offset:352
	scratch_load_b64 v[232:233], off, off offset:368
	scratch_load_b64 v[234:235], off, off offset:88
	v_mov_b32_e32 v7, 0
	ds_load_b128 v[164:167], v7 offset:688
	ds_load_b128 v[168:171], v7 offset:704
	;; [unrolled: 1-line block ×17, first 2 shown]
	ds_load_b64 v[236:237], v7 offset:752
	s_mov_b32 s0, exec_lo
	s_wait_dscnt 0x11
	v_dual_mov_b32 v238, v167 :: v_dual_mov_b32 v239, v166
	s_wait_dscnt 0x10
	v_dual_mov_b32 v240, v171 :: v_dual_mov_b32 v241, v170
	s_wait_dscnt 0xd
	v_dual_mov_b32 v242, v175 :: v_dual_mov_b32 v245, v182
	v_dual_mov_b32 v243, v174 :: v_dual_mov_b32 v244, v183
	s_wait_loadcnt_dscnt 0x120c
	v_dual_mul_f32 v9, v184, v97 :: v_dual_mul_f32 v59, v185, v97
	v_dual_mul_f32 v61, v187, v99 :: v_dual_mul_f32 v11, v186, v99
	s_wait_loadcnt_dscnt 0x110b
	v_mul_f32_e32 v13, v188, v101
	s_wait_loadcnt_dscnt 0xf09
	v_dual_mul_f32 v71, v197, v109 :: v_dual_fma_f32 v59, v184, v96, -v59
	v_dual_fmac_f32 v9, v185, v96 :: v_dual_mul_f32 v73, v199, v111
	v_dual_mul_f32 v63, v189, v101 :: v_dual_mul_f32 v65, v191, v103
	v_dual_fmac_f32 v11, v187, v98 :: v_dual_fma_f32 v61, v186, v98, -v61
	s_delay_alu instid0(VALU_DEP_3) | instskip(SKIP_4) | instid1(VALU_DEP_3)
	v_dual_add_f32 v9, 0, v9 :: v_dual_add_f32 v59, 0, v59
	v_dual_mul_f32 v15, v190, v103 :: v_dual_mul_f32 v17, v192, v105
	s_wait_loadcnt_dscnt 0xe08
	v_dual_mul_f32 v75, v201, v113 :: v_dual_fma_f32 v63, v188, v100, -v63
	v_fmac_f32_e32 v13, v189, v100
	v_dual_add_f32 v9, v9, v11 :: v_dual_fmac_f32 v15, v191, v102
	v_add_f32_e32 v11, v59, v61
	v_dual_mul_f32 v67, v193, v105 :: v_dual_mul_f32 v69, v195, v107
	v_dual_mul_f32 v59, v203, v115 :: v_dual_fma_f32 v61, v190, v102, -v65
	s_delay_alu instid0(VALU_DEP_3) | instskip(SKIP_3) | instid1(VALU_DEP_3)
	v_dual_add_f32 v9, v9, v13 :: v_dual_add_f32 v11, v11, v63
	v_dual_mul_f32 v19, v194, v107 :: v_dual_mul_f32 v21, v196, v109
	s_wait_loadcnt_dscnt 0xd07
	v_dual_mul_f32 v13, v205, v117 :: v_dual_fma_f32 v63, v192, v104, -v67
	v_dual_fmac_f32 v17, v193, v104 :: v_dual_add_f32 v11, v11, v61
	s_delay_alu instid0(VALU_DEP_3) | instskip(SKIP_1) | instid1(VALU_DEP_2)
	v_dual_add_f32 v9, v9, v15 :: v_dual_fmac_f32 v19, v195, v106
	v_dual_mul_f32 v15, v207, v119 :: v_dual_fma_f32 v61, v194, v106, -v69
	v_dual_add_f32 v11, v11, v63 :: v_dual_add_f32 v9, v9, v17
	v_dual_mul_f32 v23, v198, v111 :: v_dual_mul_f32 v25, v200, v113
	s_wait_loadcnt_dscnt 0xc06
	v_dual_mul_f32 v17, v209, v121 :: v_dual_fma_f32 v63, v196, v108, -v71
	s_delay_alu instid0(VALU_DEP_3) | instskip(NEXT) | instid1(VALU_DEP_3)
	v_dual_fmac_f32 v21, v197, v108 :: v_dual_add_f32 v11, v11, v61
	v_dual_add_f32 v9, v9, v19 :: v_dual_fmac_f32 v23, v199, v110
	v_dual_mul_f32 v19, v211, v123 :: v_dual_fma_f32 v61, v198, v110, -v73
	s_delay_alu instid0(VALU_DEP_2) | instskip(SKIP_3) | instid1(VALU_DEP_3)
	v_dual_add_f32 v11, v11, v63 :: v_dual_add_f32 v9, v9, v21
	v_dual_mul_f32 v27, v202, v115 :: v_dual_mul_f32 v29, v204, v117
	s_wait_loadcnt_dscnt 0xb05
	v_dual_mul_f32 v21, v213, v125 :: v_dual_fma_f32 v63, v200, v112, -v75
	v_dual_fmac_f32 v25, v201, v112 :: v_dual_add_f32 v11, v11, v61
	s_delay_alu instid0(VALU_DEP_3) | instskip(SKIP_1) | instid1(VALU_DEP_2)
	v_dual_add_f32 v9, v9, v23 :: v_dual_fmac_f32 v27, v203, v114
	v_dual_mul_f32 v23, v215, v127 :: v_dual_fma_f32 v59, v202, v114, -v59
	v_dual_add_f32 v11, v11, v63 :: v_dual_add_f32 v9, v9, v25
	v_dual_mul_f32 v31, v206, v119 :: v_dual_mul_f32 v33, v208, v121
	s_wait_loadcnt_dscnt 0xa04
	v_dual_mul_f32 v25, v217, v129 :: v_dual_fma_f32 v13, v204, v116, -v13
	s_delay_alu instid0(VALU_DEP_3) | instskip(NEXT) | instid1(VALU_DEP_3)
	v_dual_fmac_f32 v29, v205, v116 :: v_dual_add_f32 v11, v11, v59
	v_dual_add_f32 v9, v9, v27 :: v_dual_fmac_f32 v31, v207, v118
	v_dual_mul_f32 v27, v219, v131 :: v_dual_fma_f32 v15, v206, v118, -v15
	s_delay_alu instid0(VALU_DEP_3) | instskip(NEXT) | instid1(VALU_DEP_3)
	v_dual_add_f32 v11, v11, v13 :: v_dual_fmac_f32 v33, v209, v120
	v_dual_add_f32 v9, v9, v29 :: v_dual_fma_f32 v17, v208, v120, -v17
	v_dual_mul_f32 v35, v210, v123 :: v_dual_mul_f32 v37, v212, v125
	s_wait_loadcnt_dscnt 0x903
	s_delay_alu instid0(VALU_DEP_3) | instskip(NEXT) | instid1(VALU_DEP_2)
	v_dual_mul_f32 v13, v221, v133 :: v_dual_add_f32 v11, v11, v15
	v_dual_add_f32 v9, v9, v31 :: v_dual_fmac_f32 v35, v211, v122
	v_dual_mul_f32 v15, v223, v135 :: v_dual_fma_f32 v19, v210, v122, -v19
	s_delay_alu instid0(VALU_DEP_3) | instskip(NEXT) | instid1(VALU_DEP_3)
	v_dual_add_f32 v11, v11, v17 :: v_dual_fmac_f32 v37, v213, v124
	v_dual_add_f32 v9, v9, v33 :: v_dual_fma_f32 v21, v212, v124, -v21
	v_dual_mul_f32 v39, v214, v127 :: v_dual_mul_f32 v41, v216, v129
	s_wait_loadcnt_dscnt 0x802
	s_delay_alu instid0(VALU_DEP_3) | instskip(NEXT) | instid1(VALU_DEP_2)
	v_dual_mul_f32 v17, v225, v137 :: v_dual_add_f32 v11, v11, v19
	;; [unrolled: 9-line block ×3, first 2 shown]
	v_dual_add_f32 v9, v9, v39 :: v_dual_fmac_f32 v43, v219, v130
	v_dual_mul_f32 v23, v231, v143 :: v_dual_fma_f32 v27, v218, v130, -v27
	s_delay_alu instid0(VALU_DEP_3) | instskip(NEXT) | instid1(VALU_DEP_3)
	v_dual_add_f32 v11, v11, v25 :: v_dual_fmac_f32 v45, v221, v132
	v_dual_add_f32 v9, v9, v41 :: v_dual_fma_f32 v13, v220, v132, -v13
	v_dual_mul_f32 v47, v222, v135 :: v_dual_mul_f32 v49, v224, v137
	s_wait_loadcnt 0x6
	s_delay_alu instid0(VALU_DEP_3) | instskip(NEXT) | instid1(VALU_DEP_2)
	v_dual_mul_f32 v25, v177, v145 :: v_dual_add_f32 v11, v11, v27
	v_dual_add_f32 v9, v9, v43 :: v_dual_fmac_f32 v47, v223, v134
	v_dual_mul_f32 v27, v179, v147 :: v_dual_fma_f32 v15, v222, v134, -v15
	s_delay_alu instid0(VALU_DEP_3) | instskip(NEXT) | instid1(VALU_DEP_3)
	v_dual_add_f32 v11, v11, v13 :: v_dual_fmac_f32 v49, v225, v136
	v_dual_add_f32 v9, v9, v45 :: v_dual_fma_f32 v17, v224, v136, -v17
	v_dual_mul_f32 v51, v226, v139 :: v_dual_mul_f32 v53, v228, v141
	s_wait_loadcnt 0x5
	s_delay_alu instid0(VALU_DEP_3) | instskip(NEXT) | instid1(VALU_DEP_3)
	v_dual_mul_f32 v13, v165, v149 :: v_dual_add_f32 v11, v11, v15
	v_dual_add_f32 v9, v9, v47 :: v_dual_mov_b32 v96, v151
	s_delay_alu instid0(VALU_DEP_3) | instskip(NEXT) | instid1(VALU_DEP_3)
	v_fmac_f32_e32 v51, v227, v138
	v_dual_fma_f32 v15, v226, v138, -v19 :: v_dual_add_f32 v11, v11, v17
	s_delay_alu instid0(VALU_DEP_3) | instskip(SKIP_1) | instid1(VALU_DEP_3)
	v_dual_add_f32 v9, v9, v49 :: v_dual_mul_f32 v55, v230, v143
	v_dual_mul_f32 v57, v176, v145 :: v_dual_fmac_f32 v53, v229, v140
	v_dual_add_f32 v11, v11, v15 :: v_dual_fma_f32 v17, v228, v140, -v21
	s_wait_loadcnt 0x4
	s_delay_alu instid0(VALU_DEP_3) | instskip(SKIP_3) | instid1(VALU_DEP_4)
	v_dual_add_f32 v9, v9, v51 :: v_dual_mov_b32 v100, v155
	v_fma_f32 v15, v230, v142, -v23
	v_fmac_f32_e32 v55, v231, v142
	v_dual_add_f32 v11, v11, v17 :: v_dual_fmac_f32 v57, v177, v144
	v_dual_add_f32 v9, v9, v53 :: v_dual_mul_f32 v247, v178, v147
	v_mul_f32_e32 v249, v164, v149
	s_delay_alu instid0(VALU_DEP_3) | instskip(NEXT) | instid1(VALU_DEP_3)
	v_dual_fma_f32 v17, v176, v144, -v25 :: v_dual_add_f32 v11, v11, v15
	v_dual_fma_f32 v246, v178, v146, -v27 :: v_dual_add_f32 v9, v9, v55
	s_delay_alu instid0(VALU_DEP_4) | instskip(SKIP_1) | instid1(VALU_DEP_4)
	v_fmac_f32_e32 v247, v179, v146
	v_pk_mul_f32 v[96:97], v[238:239], v[96:97] op_sel_hi:[1,0]
	v_dual_add_f32 v104, v11, v17 :: v_dual_fmac_f32 v249, v165, v148
	s_delay_alu instid0(VALU_DEP_4)
	v_add_f32_e32 v105, v9, v57
	v_pk_mul_f32 v[98:99], v[168:169], v[152:153] op_sel:[1,1] op_sel_hi:[0,1]
	s_wait_loadcnt 0x3
	v_dual_mov_b32 v106, v159 :: v_dual_fma_f32 v248, v164, v148, -v13
	v_pk_fma_f32 v[108:109], v[166:167], v[150:151], v[96:97] op_sel_hi:[1,0,1]
	v_pk_add_f32 v[104:105], v[104:105], v[246:247]
	v_pk_fma_f32 v[96:97], v[166:167], v[150:151], v[96:97] neg_lo:[0,0,1] neg_hi:[0,0,1]
	v_pk_fma_f32 v[110:111], v[168:169], v[152:153], v[98:99] op_sel_hi:[1,0,1]
	v_pk_mul_f32 v[100:101], v[240:241], v[100:101] op_sel_hi:[1,0]
	v_mov_b32_e32 v97, v109
	v_pk_add_f32 v[104:105], v[104:105], v[248:249]
	v_pk_fma_f32 v[98:99], v[168:169], v[152:153], v[98:99] neg_lo:[0,0,1] neg_hi:[0,0,1]
	v_pk_mul_f32 v[102:103], v[172:173], v[156:157] op_sel:[1,1] op_sel_hi:[0,1]
	v_mov_b32_e32 v99, v111
	v_pk_fma_f32 v[110:111], v[170:171], v[154:155], v[100:101] op_sel_hi:[1,0,1]
	v_pk_add_f32 v[96:97], v[104:105], v[96:97]
	v_pk_fma_f32 v[100:101], v[170:171], v[154:155], v[100:101] neg_lo:[0,0,1] neg_hi:[0,0,1]
	v_pk_fma_f32 v[104:105], v[172:173], v[156:157], v[102:103] op_sel_hi:[1,0,1]
	v_pk_mul_f32 v[106:107], v[242:243], v[106:107] op_sel_hi:[1,0]
	v_mov_b32_e32 v101, v111
	v_pk_add_f32 v[96:97], v[96:97], v[98:99]
	v_pk_fma_f32 v[102:103], v[172:173], v[156:157], v[102:103] neg_lo:[0,0,1] neg_hi:[0,0,1]
	s_wait_loadcnt 0x2
	v_pk_mul_f32 v[108:109], v[180:181], v[160:161] op_sel:[1,1] op_sel_hi:[0,1]
	v_dual_mov_b32 v98, v163 :: v_dual_mov_b32 v103, v105
	v_pk_fma_f32 v[104:105], v[174:175], v[158:159], v[106:107] op_sel_hi:[1,0,1]
	v_pk_add_f32 v[96:97], v[96:97], v[100:101]
	v_pk_fma_f32 v[106:107], v[174:175], v[158:159], v[106:107] neg_lo:[0,0,1] neg_hi:[0,0,1]
	v_pk_fma_f32 v[100:101], v[180:181], v[160:161], v[108:109] op_sel_hi:[1,0,1]
	v_pk_mul_f32 v[98:99], v[244:245], v[98:99] op_sel_hi:[1,0]
	v_mov_b32_e32 v107, v105
	v_pk_add_f32 v[96:97], v[96:97], v[102:103]
	v_pk_fma_f32 v[102:103], v[180:181], v[160:161], v[108:109] neg_lo:[0,0,1] neg_hi:[0,0,1]
	v_mov_b32_e32 v103, v101
	v_pk_fma_f32 v[100:101], v[182:183], v[162:163], v[98:99] op_sel_hi:[1,0,1]
	s_wait_loadcnt_dscnt 0x100
	v_pk_mul_f32 v[104:105], v[236:237], v[232:233] op_sel:[1,1] op_sel_hi:[0,1]
	v_pk_add_f32 v[96:97], v[96:97], v[106:107]
	v_pk_fma_f32 v[98:99], v[182:183], v[162:163], v[98:99] neg_lo:[0,0,1] neg_hi:[0,0,1]
	v_mov_b32_e32 v99, v101
	s_delay_alu instid0(VALU_DEP_4) | instskip(NEXT) | instid1(VALU_DEP_4)
	v_pk_fma_f32 v[100:101], v[236:237], v[232:233], v[104:105] op_sel_hi:[1,0,1]
	v_pk_add_f32 v[96:97], v[96:97], v[102:103]
	v_pk_fma_f32 v[102:103], v[236:237], v[232:233], v[104:105] neg_lo:[0,0,1] neg_hi:[0,0,1]
	s_delay_alu instid0(VALU_DEP_3) | instskip(NEXT) | instid1(VALU_DEP_3)
	v_mov_b32_e32 v103, v101
	v_pk_add_f32 v[96:97], v[96:97], v[98:99]
	s_delay_alu instid0(VALU_DEP_1) | instskip(SKIP_1) | instid1(VALU_DEP_1)
	v_pk_add_f32 v[96:97], v[96:97], v[102:103]
	s_wait_loadcnt 0x0
	v_pk_add_f32 v[96:97], v[234:235], v[96:97] neg_lo:[0,1] neg_hi:[0,1]
	scratch_store_b64 off, v[96:97], off offset:88
	s_wait_xcnt 0x0
	v_cmpx_lt_u32_e32 10, v0
	s_cbranch_execz .LBB110_275
; %bb.274:
	scratch_load_b64 v[96:97], off, off offset:80
	v_mov_b64_e32 v[98:99], 0
	scratch_store_b64 off, v[98:99], off offset:80
	s_wait_loadcnt 0x0
	ds_store_b64 v1, v[96:97]
.LBB110_275:
	s_wait_xcnt 0x0
	s_or_b32 exec_lo, exec_lo, s0
	s_wait_storecnt_dscnt 0x0
	s_barrier_signal -1
	s_barrier_wait -1
	s_clause 0x12
	scratch_load_b128 v[96:99], off, off offset:88
	scratch_load_b128 v[100:103], off, off offset:104
	;; [unrolled: 1-line block ×18, first 2 shown]
	scratch_load_b64 v[240:241], off, off offset:80
	ds_load_2addr_b64 v[168:171], v7 offset0:87 offset1:88
	ds_load_2addr_b64 v[172:175], v7 offset0:89 offset1:90
	;; [unrolled: 1-line block ×18, first 2 shown]
	s_mov_b32 s0, exec_lo
	s_wait_dscnt 0x11
	v_dual_mov_b32 v242, v171 :: v_dual_mov_b32 v243, v170
	s_wait_dscnt 0x10
	v_dual_mov_b32 v244, v175 :: v_dual_mov_b32 v245, v174
	;; [unrolled: 2-line block ×4, first 2 shown]
	s_wait_loadcnt_dscnt 0x120d
	v_dual_mul_f32 v7, v184, v97 :: v_dual_mul_f32 v9, v186, v99
	v_dual_mul_f32 v59, v185, v97 :: v_dual_mul_f32 v61, v187, v99
	s_wait_loadcnt_dscnt 0x110c
	v_dual_mul_f32 v11, v188, v101 :: v_dual_mul_f32 v13, v190, v103
	s_delay_alu instid0(VALU_DEP_3) | instskip(SKIP_3) | instid1(VALU_DEP_3)
	v_dual_fmac_f32 v7, v185, v96 :: v_dual_fmac_f32 v9, v187, v98
	s_wait_loadcnt_dscnt 0xf0a
	v_dual_fma_f32 v59, v184, v96, -v59 :: v_dual_mul_f32 v71, v197, v109
	v_dual_mul_f32 v63, v189, v101 :: v_dual_mul_f32 v65, v191, v103
	v_dual_fma_f32 v61, v186, v98, -v61 :: v_dual_add_f32 v7, 0, v7
	s_delay_alu instid0(VALU_DEP_3) | instskip(SKIP_1) | instid1(VALU_DEP_4)
	v_dual_add_f32 v59, 0, v59 :: v_dual_fmac_f32 v11, v189, v100
	v_dual_mul_f32 v15, v192, v105 :: v_dual_mul_f32 v17, v194, v107
	v_dual_mul_f32 v73, v199, v111 :: v_dual_fma_f32 v63, v188, v100, -v63
	s_delay_alu instid0(VALU_DEP_4) | instskip(NEXT) | instid1(VALU_DEP_3)
	v_add_f32_e32 v7, v7, v9
	v_dual_add_f32 v9, v59, v61 :: v_dual_fmac_f32 v15, v193, v104
	v_dual_mul_f32 v67, v193, v105 :: v_dual_mul_f32 v69, v195, v107
	s_wait_loadcnt_dscnt 0xe09
	v_dual_mul_f32 v59, v201, v113 :: v_dual_fmac_f32 v13, v191, v102
	v_dual_fma_f32 v61, v190, v102, -v65 :: v_dual_add_f32 v7, v7, v11
	s_delay_alu instid0(VALU_DEP_3) | instskip(SKIP_1) | instid1(VALU_DEP_3)
	v_dual_add_f32 v9, v9, v63 :: v_dual_fma_f32 v63, v192, v104, -v67
	v_dual_mul_f32 v19, v196, v109 :: v_dual_mul_f32 v21, v198, v111
	v_add_f32_e32 v7, v7, v13
	s_delay_alu instid0(VALU_DEP_3) | instskip(SKIP_2) | instid1(VALU_DEP_3)
	v_dual_mul_f32 v11, v203, v115 :: v_dual_add_f32 v9, v9, v61
	s_wait_loadcnt_dscnt 0xd08
	v_dual_mul_f32 v13, v205, v117 :: v_dual_fmac_f32 v17, v195, v106
	v_dual_fma_f32 v61, v194, v106, -v69 :: v_dual_add_f32 v7, v7, v15
	s_delay_alu instid0(VALU_DEP_3) | instskip(SKIP_1) | instid1(VALU_DEP_3)
	v_dual_add_f32 v9, v9, v63 :: v_dual_fma_f32 v63, v196, v108, -v71
	v_dual_mul_f32 v15, v207, v119 :: v_dual_fmac_f32 v19, v197, v108
	v_add_f32_e32 v7, v7, v17
	s_delay_alu instid0(VALU_DEP_3)
	v_dual_add_f32 v9, v9, v61 :: v_dual_fmac_f32 v21, v199, v110
	v_dual_mul_f32 v23, v200, v113 :: v_dual_mul_f32 v25, v202, v115
	s_wait_loadcnt_dscnt 0xc07
	v_dual_fma_f32 v61, v198, v110, -v73 :: v_dual_mul_f32 v17, v209, v121
	v_add_f32_e32 v7, v7, v19
	v_dual_add_f32 v9, v9, v63 :: v_dual_fma_f32 v59, v200, v112, -v59
	v_dual_mul_f32 v19, v211, v123 :: v_dual_fmac_f32 v23, v201, v112
	s_delay_alu instid0(VALU_DEP_3) | instskip(NEXT) | instid1(VALU_DEP_3)
	v_dual_add_f32 v7, v7, v21 :: v_dual_fma_f32 v11, v202, v114, -v11
	v_dual_add_f32 v9, v9, v61 :: v_dual_fmac_f32 v25, v203, v114
	v_dual_mul_f32 v27, v204, v117 :: v_dual_mul_f32 v29, v206, v119
	s_wait_loadcnt_dscnt 0xb06
	s_delay_alu instid0(VALU_DEP_3) | instskip(NEXT) | instid1(VALU_DEP_3)
	v_dual_mul_f32 v21, v213, v125 :: v_dual_add_f32 v7, v7, v23
	v_dual_add_f32 v9, v9, v59 :: v_dual_fma_f32 v13, v204, v116, -v13
	s_delay_alu instid0(VALU_DEP_3) | instskip(NEXT) | instid1(VALU_DEP_2)
	v_dual_mul_f32 v23, v215, v127 :: v_dual_fmac_f32 v27, v205, v116
	v_dual_add_f32 v7, v7, v25 :: v_dual_add_f32 v9, v9, v11
	v_dual_mul_f32 v31, v208, v121 :: v_dual_mul_f32 v33, v210, v123
	s_wait_loadcnt_dscnt 0xa05
	v_dual_mul_f32 v11, v217, v129 :: v_dual_fmac_f32 v29, v207, v118
	s_delay_alu instid0(VALU_DEP_3) | instskip(SKIP_2) | instid1(VALU_DEP_2)
	v_dual_fma_f32 v15, v206, v118, -v15 :: v_dual_add_f32 v7, v7, v27
	v_dual_add_f32 v9, v9, v13 :: v_dual_mul_f32 v13, v219, v131
	v_dual_fmac_f32 v31, v209, v120 :: v_dual_fma_f32 v17, v208, v120, -v17
	v_dual_add_f32 v7, v7, v29 :: v_dual_add_f32 v9, v9, v15
	v_dual_mul_f32 v35, v212, v125 :: v_dual_mul_f32 v37, v214, v127
	s_wait_loadcnt_dscnt 0x904
	v_dual_mul_f32 v15, v221, v133 :: v_dual_fmac_f32 v33, v211, v122
	s_delay_alu instid0(VALU_DEP_3) | instskip(SKIP_2) | instid1(VALU_DEP_2)
	v_dual_fma_f32 v19, v210, v122, -v19 :: v_dual_add_f32 v7, v7, v31
	v_dual_add_f32 v9, v9, v17 :: v_dual_mul_f32 v17, v223, v135
	v_dual_fmac_f32 v35, v213, v124 :: v_dual_fma_f32 v21, v212, v124, -v21
	v_dual_add_f32 v7, v7, v33 :: v_dual_add_f32 v9, v9, v19
	v_dual_mul_f32 v39, v216, v129 :: v_dual_mul_f32 v41, v218, v131
	s_wait_loadcnt_dscnt 0x803
	v_dual_mul_f32 v19, v225, v137 :: v_dual_fmac_f32 v37, v215, v126
	s_delay_alu instid0(VALU_DEP_3) | instskip(SKIP_2) | instid1(VALU_DEP_3)
	v_dual_fma_f32 v23, v214, v126, -v23 :: v_dual_add_f32 v7, v7, v35
	v_dual_add_f32 v9, v9, v21 :: v_dual_mul_f32 v21, v227, v139
	v_fmac_f32_e32 v39, v217, v128
	v_dual_fma_f32 v11, v216, v128, -v11 :: v_dual_add_f32 v7, v7, v37
	s_delay_alu instid0(VALU_DEP_3)
	v_dual_add_f32 v9, v9, v23 :: v_dual_mul_f32 v43, v220, v133
	s_wait_loadcnt_dscnt 0x702
	v_dual_mul_f32 v45, v222, v135 :: v_dual_mul_f32 v23, v229, v141
	v_fmac_f32_e32 v41, v219, v130
	v_dual_fma_f32 v13, v218, v130, -v13 :: v_dual_add_f32 v7, v7, v39
	v_dual_add_f32 v9, v9, v11 :: v_dual_fma_f32 v15, v220, v132, -v15
	v_dual_mul_f32 v11, v231, v143 :: v_dual_fmac_f32 v43, v221, v132
	s_delay_alu instid0(VALU_DEP_3) | instskip(NEXT) | instid1(VALU_DEP_3)
	v_dual_add_f32 v7, v7, v41 :: v_dual_fma_f32 v17, v222, v134, -v17
	v_dual_add_f32 v9, v9, v13 :: v_dual_fmac_f32 v45, v223, v134
	v_dual_mul_f32 v47, v224, v137 :: v_dual_mul_f32 v49, v226, v139
	s_wait_loadcnt_dscnt 0x601
	s_delay_alu instid0(VALU_DEP_3) | instskip(NEXT) | instid1(VALU_DEP_3)
	v_dual_mul_f32 v13, v233, v145 :: v_dual_add_f32 v7, v7, v43
	v_dual_add_f32 v9, v9, v15 :: v_dual_fma_f32 v19, v224, v136, -v19
	s_delay_alu instid0(VALU_DEP_3) | instskip(NEXT) | instid1(VALU_DEP_3)
	v_dual_mul_f32 v15, v235, v147 :: v_dual_fmac_f32 v47, v225, v136
	v_dual_add_f32 v7, v7, v45 :: v_dual_fma_f32 v21, v226, v138, -v21
	s_delay_alu instid0(VALU_DEP_3) | instskip(SKIP_2) | instid1(VALU_DEP_3)
	v_dual_add_f32 v9, v9, v17 :: v_dual_fmac_f32 v49, v227, v138
	v_dual_mul_f32 v51, v228, v141 :: v_dual_mul_f32 v53, v230, v143
	s_wait_loadcnt_dscnt 0x500
	v_dual_mul_f32 v17, v237, v149 :: v_dual_add_f32 v7, v7, v47
	s_delay_alu instid0(VALU_DEP_3) | instskip(NEXT) | instid1(VALU_DEP_3)
	v_dual_add_f32 v9, v9, v19 :: v_dual_fma_f32 v23, v228, v140, -v23
	v_dual_mul_f32 v19, v239, v151 :: v_dual_fmac_f32 v51, v229, v140
	s_delay_alu instid0(VALU_DEP_3) | instskip(NEXT) | instid1(VALU_DEP_3)
	v_dual_add_f32 v7, v7, v49 :: v_dual_fma_f32 v11, v230, v142, -v11
	v_dual_add_f32 v9, v9, v21 :: v_dual_fmac_f32 v53, v231, v142
	v_dual_mul_f32 v55, v232, v145 :: v_dual_mul_f32 v57, v234, v147
	s_delay_alu instid0(VALU_DEP_3) | instskip(SKIP_1) | instid1(VALU_DEP_3)
	v_add_f32_e32 v7, v7, v51
	s_wait_loadcnt 0x4
	v_dual_add_f32 v9, v9, v23 :: v_dual_mov_b32 v98, v155
	s_delay_alu instid0(VALU_DEP_3) | instskip(NEXT) | instid1(VALU_DEP_2)
	v_dual_fmac_f32 v55, v233, v144 :: v_dual_fma_f32 v13, v232, v144, -v13
	v_dual_add_f32 v7, v7, v53 :: v_dual_add_f32 v9, v9, v11
	v_dual_fmac_f32 v57, v235, v146 :: v_dual_mul_f32 v251, v236, v149
	v_mul_f32_e32 v253, v238, v151
	s_delay_alu instid0(VALU_DEP_3) | instskip(SKIP_4) | instid1(VALU_DEP_3)
	v_dual_fma_f32 v11, v234, v146, -v15 :: v_dual_add_f32 v7, v7, v55
	s_wait_loadcnt 0x3
	v_dual_add_f32 v9, v9, v13 :: v_dual_mov_b32 v102, v159
	v_pk_mul_f32 v[96:97], v[168:169], v[152:153] op_sel:[1,1] op_sel_hi:[0,1]
	v_dual_fmac_f32 v251, v237, v148 :: v_dual_fma_f32 v250, v236, v148, -v17
	v_dual_add_f32 v105, v7, v57 :: v_dual_add_f32 v104, v9, v11
	v_dual_fmac_f32 v253, v239, v150 :: v_dual_fma_f32 v252, v238, v150, -v19
	s_delay_alu instid0(VALU_DEP_4) | instskip(SKIP_1) | instid1(VALU_DEP_4)
	v_pk_fma_f32 v[106:107], v[168:169], v[152:153], v[96:97] op_sel_hi:[1,0,1]
	v_pk_mul_f32 v[98:99], v[242:243], v[98:99] op_sel_hi:[1,0]
	v_pk_add_f32 v[104:105], v[104:105], v[250:251]
	v_pk_fma_f32 v[96:97], v[168:169], v[152:153], v[96:97] neg_lo:[0,0,1] neg_hi:[0,0,1]
	v_pk_mul_f32 v[100:101], v[172:173], v[156:157] op_sel:[1,1] op_sel_hi:[0,1]
	v_mov_b32_e32 v97, v107
	v_pk_fma_f32 v[106:107], v[170:171], v[154:155], v[98:99] op_sel_hi:[1,0,1]
	v_pk_add_f32 v[104:105], v[104:105], v[252:253]
	v_pk_fma_f32 v[98:99], v[170:171], v[154:155], v[98:99] neg_lo:[0,0,1] neg_hi:[0,0,1]
	v_pk_fma_f32 v[110:111], v[172:173], v[156:157], v[100:101] op_sel_hi:[1,0,1]
	v_pk_mul_f32 v[102:103], v[244:245], v[102:103] op_sel_hi:[1,0]
	v_mov_b32_e32 v99, v107
	v_pk_add_f32 v[96:97], v[104:105], v[96:97]
	s_wait_loadcnt 0x2
	v_pk_mul_f32 v[108:109], v[176:177], v[160:161] op_sel:[1,1] op_sel_hi:[0,1]
	v_mov_b32_e32 v104, v163
	v_pk_fma_f32 v[100:101], v[172:173], v[156:157], v[100:101] neg_lo:[0,0,1] neg_hi:[0,0,1]
	v_mov_b32_e32 v101, v111
	v_pk_fma_f32 v[106:107], v[174:175], v[158:159], v[102:103] op_sel_hi:[1,0,1]
	v_pk_add_f32 v[96:97], v[96:97], v[98:99]
	v_pk_fma_f32 v[98:99], v[176:177], v[160:161], v[108:109] op_sel_hi:[1,0,1]
	v_pk_mul_f32 v[104:105], v[246:247], v[104:105] op_sel_hi:[1,0]
	v_pk_fma_f32 v[102:103], v[174:175], v[158:159], v[102:103] neg_lo:[0,0,1] neg_hi:[0,0,1]
	v_mov_b32_e32 v103, v107
	v_pk_add_f32 v[96:97], v[96:97], v[100:101]
	v_pk_fma_f32 v[106:107], v[176:177], v[160:161], v[108:109] neg_lo:[0,0,1] neg_hi:[0,0,1]
	v_mov_b32_e32 v107, v99
	v_pk_fma_f32 v[98:99], v[178:179], v[162:163], v[104:105] op_sel_hi:[1,0,1]
	s_wait_loadcnt 0x1
	v_pk_mul_f32 v[100:101], v[180:181], v[164:165] op_sel:[1,1] op_sel_hi:[0,1]
	v_pk_add_f32 v[96:97], v[96:97], v[102:103]
	v_mov_b32_e32 v98, v167
	v_pk_fma_f32 v[104:105], v[178:179], v[162:163], v[104:105] neg_lo:[0,0,1] neg_hi:[0,0,1]
	v_mov_b32_e32 v105, v99
	v_pk_fma_f32 v[102:103], v[180:181], v[164:165], v[100:101] op_sel_hi:[1,0,1]
	v_pk_add_f32 v[96:97], v[96:97], v[106:107]
	v_pk_mul_f32 v[98:99], v[248:249], v[98:99] op_sel_hi:[1,0]
	v_pk_fma_f32 v[100:101], v[180:181], v[164:165], v[100:101] neg_lo:[0,0,1] neg_hi:[0,0,1]
	s_delay_alu instid0(VALU_DEP_4) | instskip(NEXT) | instid1(VALU_DEP_4)
	v_mov_b32_e32 v101, v103
	v_pk_add_f32 v[96:97], v[96:97], v[104:105]
	s_delay_alu instid0(VALU_DEP_4) | instskip(SKIP_1) | instid1(VALU_DEP_2)
	v_pk_fma_f32 v[102:103], v[182:183], v[166:167], v[98:99] op_sel_hi:[1,0,1]
	v_pk_fma_f32 v[98:99], v[182:183], v[166:167], v[98:99] neg_lo:[0,0,1] neg_hi:[0,0,1]
	v_mov_b32_e32 v99, v103
	s_delay_alu instid0(VALU_DEP_4) | instskip(NEXT) | instid1(VALU_DEP_1)
	v_pk_add_f32 v[96:97], v[96:97], v[100:101]
	v_pk_add_f32 v[96:97], v[96:97], v[98:99]
	s_wait_loadcnt 0x0
	s_delay_alu instid0(VALU_DEP_1)
	v_pk_add_f32 v[96:97], v[240:241], v[96:97] neg_lo:[0,1] neg_hi:[0,1]
	scratch_store_b64 off, v[96:97], off offset:80
	s_wait_xcnt 0x0
	v_cmpx_lt_u32_e32 9, v0
	s_cbranch_execz .LBB110_277
; %bb.276:
	scratch_load_b64 v[96:97], off, off offset:72
	v_mov_b64_e32 v[98:99], 0
	scratch_store_b64 off, v[98:99], off offset:72
	s_wait_loadcnt 0x0
	ds_store_b64 v1, v[96:97]
.LBB110_277:
	s_wait_xcnt 0x0
	s_or_b32 exec_lo, exec_lo, s0
	s_wait_storecnt_dscnt 0x0
	s_barrier_signal -1
	s_barrier_wait -1
	s_clause 0x13
	scratch_load_b128 v[96:99], off, off offset:80
	scratch_load_b128 v[100:103], off, off offset:96
	;; [unrolled: 1-line block ×18, first 2 shown]
	scratch_load_b64 v[240:241], off, off offset:368
	scratch_load_b64 v[242:243], off, off offset:72
	v_mov_b32_e32 v7, 0
	ds_load_b128 v[168:171], v7 offset:688
	ds_load_b128 v[172:175], v7 offset:704
	;; [unrolled: 1-line block ×18, first 2 shown]
	ds_load_b64 v[244:245], v7 offset:752
	s_mov_b32 s0, exec_lo
	s_wait_dscnt 0x12
	v_dual_mov_b32 v246, v171 :: v_dual_mov_b32 v247, v170
	s_wait_dscnt 0x11
	v_dual_mov_b32 v248, v175 :: v_dual_mov_b32 v249, v174
	;; [unrolled: 2-line block ×3, first 2 shown]
	v_dual_mov_b32 v251, v178 :: v_dual_mov_b32 v252, v191
	s_wait_loadcnt 0x13
	v_dual_mul_f32 v9, v180, v97 :: v_dual_mul_f32 v11, v182, v99
	s_wait_loadcnt 0x12
	v_dual_mul_f32 v13, v184, v101 :: v_dual_mul_f32 v65, v183, v99
	s_wait_loadcnt_dscnt 0x100b
	v_dual_mul_f32 v67, v185, v101 :: v_dual_mul_f32 v77, v199, v111
	v_dual_mul_f32 v15, v186, v103 :: v_dual_mul_f32 v17, v192, v105
	s_delay_alu instid0(VALU_DEP_3) | instskip(SKIP_3) | instid1(VALU_DEP_3)
	v_dual_fma_f32 v65, v182, v98, -v65 :: v_dual_mul_f32 v63, v181, v97
	v_dual_fmac_f32 v9, v181, v96 :: v_dual_mul_f32 v69, v187, v103
	s_wait_loadcnt_dscnt 0x601
	v_dual_mul_f32 v71, v193, v105 :: v_dual_mul_f32 v255, v238, v151
	v_fma_f32 v63, v180, v96, -v63
	s_delay_alu instid0(VALU_DEP_3) | instskip(SKIP_1) | instid1(VALU_DEP_3)
	v_dual_fmac_f32 v11, v183, v98 :: v_dual_add_f32 v9, 0, v9
	v_dual_fmac_f32 v13, v185, v100 :: v_dual_fma_f32 v67, v184, v100, -v67
	v_dual_add_f32 v63, 0, v63 :: v_dual_mul_f32 v79, v201, v113
	s_delay_alu instid0(VALU_DEP_3) | instskip(SKIP_1) | instid1(VALU_DEP_3)
	v_add_f32_e32 v9, v9, v11
	v_dual_mul_f32 v19, v194, v107 :: v_dual_mul_f32 v21, v196, v109
	v_add_f32_e32 v11, v63, v65
	v_dual_mul_f32 v63, v203, v115 :: v_dual_fma_f32 v65, v186, v102, -v69
	s_delay_alu instid0(VALU_DEP_4) | instskip(NEXT) | instid1(VALU_DEP_3)
	v_dual_fmac_f32 v15, v187, v102 :: v_dual_add_f32 v9, v9, v13
	v_dual_add_f32 v11, v11, v67 :: v_dual_mul_f32 v13, v205, v117
	v_dual_mul_f32 v73, v195, v107 :: v_dual_mul_f32 v75, v197, v109
	v_dual_fmac_f32 v17, v193, v104 :: v_dual_fma_f32 v67, v192, v104, -v71
	s_delay_alu instid0(VALU_DEP_3) | instskip(NEXT) | instid1(VALU_DEP_3)
	v_dual_add_f32 v9, v9, v15 :: v_dual_add_f32 v11, v11, v65
	v_dual_mul_f32 v15, v207, v119 :: v_dual_fma_f32 v65, v194, v106, -v73
	s_delay_alu instid0(VALU_DEP_2) | instskip(NEXT) | instid1(VALU_DEP_3)
	v_dual_fmac_f32 v19, v195, v106 :: v_dual_add_f32 v9, v9, v17
	v_dual_add_f32 v11, v11, v67 :: v_dual_mul_f32 v17, v209, v121
	v_dual_mul_f32 v23, v198, v111 :: v_dual_mul_f32 v25, v200, v113
	v_dual_fmac_f32 v21, v197, v108 :: v_dual_fma_f32 v67, v196, v108, -v75
	s_delay_alu instid0(VALU_DEP_3) | instskip(SKIP_1) | instid1(VALU_DEP_2)
	v_dual_add_f32 v9, v9, v19 :: v_dual_add_f32 v11, v11, v65
	v_dual_mul_f32 v19, v211, v123 :: v_dual_fma_f32 v65, v198, v110, -v77
	v_dual_fmac_f32 v23, v199, v110 :: v_dual_add_f32 v9, v9, v21
	s_delay_alu instid0(VALU_DEP_3) | instskip(SKIP_2) | instid1(VALU_DEP_3)
	v_dual_add_f32 v11, v11, v67 :: v_dual_mul_f32 v21, v213, v125
	v_dual_mul_f32 v27, v202, v115 :: v_dual_mul_f32 v29, v204, v117
	v_dual_fmac_f32 v25, v201, v112 :: v_dual_fma_f32 v67, v200, v112, -v79
	v_dual_add_f32 v9, v9, v23 :: v_dual_add_f32 v11, v11, v65
	v_dual_mul_f32 v23, v215, v127 :: v_dual_fma_f32 v63, v202, v114, -v63
	s_delay_alu instid0(VALU_DEP_2) | instskip(NEXT) | instid1(VALU_DEP_3)
	v_dual_fmac_f32 v27, v203, v114 :: v_dual_add_f32 v9, v9, v25
	v_dual_add_f32 v11, v11, v67 :: v_dual_mul_f32 v25, v217, v129
	v_dual_mul_f32 v31, v206, v119 :: v_dual_mul_f32 v33, v208, v121
	s_delay_alu instid0(VALU_DEP_2) | instskip(NEXT) | instid1(VALU_DEP_4)
	v_dual_fmac_f32 v29, v205, v116 :: v_dual_add_f32 v11, v11, v63
	v_dual_fma_f32 v13, v204, v116, -v13 :: v_dual_add_f32 v9, v9, v27
	v_dual_mul_f32 v27, v219, v131 :: v_dual_fma_f32 v15, v206, v118, -v15
	s_delay_alu instid0(VALU_DEP_4) | instskip(NEXT) | instid1(VALU_DEP_3)
	v_fmac_f32_e32 v31, v207, v118
	v_dual_add_f32 v11, v11, v13 :: v_dual_fmac_f32 v33, v209, v120
	s_delay_alu instid0(VALU_DEP_4) | instskip(SKIP_2) | instid1(VALU_DEP_3)
	v_dual_add_f32 v9, v9, v29 :: v_dual_mul_f32 v35, v210, v123
	v_mul_f32_e32 v37, v212, v125
	v_dual_mul_f32 v13, v221, v133 :: v_dual_fma_f32 v17, v208, v120, -v17
	v_dual_add_f32 v9, v9, v31 :: v_dual_fmac_f32 v35, v211, v122
	v_dual_add_f32 v11, v11, v15 :: v_dual_fma_f32 v19, v210, v122, -v19
	s_delay_alu instid0(VALU_DEP_2) | instskip(SKIP_1) | instid1(VALU_DEP_3)
	v_dual_mul_f32 v15, v223, v135 :: v_dual_add_f32 v9, v9, v33
	v_dual_mul_f32 v39, v214, v127 :: v_dual_mul_f32 v41, v216, v129
	v_dual_add_f32 v11, v11, v17 :: v_dual_fmac_f32 v37, v213, v124
	v_dual_mul_f32 v17, v225, v137 :: v_dual_fma_f32 v21, v212, v124, -v21
	s_delay_alu instid0(VALU_DEP_3) | instskip(NEXT) | instid1(VALU_DEP_3)
	v_dual_add_f32 v9, v9, v35 :: v_dual_fmac_f32 v39, v215, v126
	v_dual_add_f32 v11, v11, v19 :: v_dual_fma_f32 v23, v214, v126, -v23
	s_delay_alu instid0(VALU_DEP_2) | instskip(SKIP_1) | instid1(VALU_DEP_3)
	v_dual_mul_f32 v19, v227, v139 :: v_dual_add_f32 v9, v9, v37
	v_dual_mul_f32 v43, v218, v131 :: v_dual_mul_f32 v45, v220, v133
	v_dual_add_f32 v11, v11, v21 :: v_dual_fmac_f32 v41, v217, v128
	v_dual_mul_f32 v21, v229, v141 :: v_dual_fma_f32 v25, v216, v128, -v25
	s_delay_alu instid0(VALU_DEP_3) | instskip(NEXT) | instid1(VALU_DEP_3)
	;; [unrolled: 8-line block ×4, first 2 shown]
	v_dual_add_f32 v9, v9, v47 :: v_dual_fmac_f32 v51, v227, v138
	v_dual_add_f32 v11, v11, v15 :: v_dual_fma_f32 v19, v226, v138, -v19
	s_delay_alu instid0(VALU_DEP_2) | instskip(SKIP_1) | instid1(VALU_DEP_3)
	v_dual_mul_f32 v15, v239, v151 :: v_dual_add_f32 v9, v9, v49
	v_dual_mul_f32 v55, v230, v143 :: v_dual_mul_f32 v57, v232, v145
	v_dual_add_f32 v11, v11, v17 :: v_dual_fmac_f32 v53, v229, v140
	s_wait_loadcnt 0x5
	v_dual_mul_f32 v17, v169, v153 :: v_dual_fma_f32 v21, v228, v140, -v21
	v_dual_add_f32 v9, v9, v51 :: v_dual_mov_b32 v96, v155
	s_delay_alu instid0(VALU_DEP_3) | instskip(NEXT) | instid1(VALU_DEP_2)
	v_dual_add_f32 v11, v11, v19 :: v_dual_fma_f32 v19, v230, v142, -v23
	v_dual_fmac_f32 v55, v231, v142 :: v_dual_add_f32 v9, v9, v53
	v_dual_mul_f32 v59, v234, v147 :: v_dual_mul_f32 v61, v236, v149
	s_delay_alu instid0(VALU_DEP_3) | instskip(NEXT) | instid1(VALU_DEP_3)
	v_dual_add_f32 v11, v11, v21 :: v_dual_fmac_f32 v57, v233, v144
	v_dual_fma_f32 v21, v232, v144, -v25 :: v_dual_add_f32 v9, v9, v55
	s_wait_loadcnt 0x4
	v_mov_b32_e32 v100, v159
	s_delay_alu instid0(VALU_DEP_3) | instskip(SKIP_2) | instid1(VALU_DEP_3)
	v_dual_add_f32 v11, v11, v19 :: v_dual_fma_f32 v19, v234, v146, -v27
	v_dual_fmac_f32 v59, v235, v146 :: v_dual_fmac_f32 v61, v237, v148
	v_add_f32_e32 v9, v9, v57
	v_dual_add_f32 v11, v11, v21 :: v_dual_fma_f32 v13, v236, v148, -v13
	v_pk_mul_f32 v[96:97], v[246:247], v[96:97] op_sel_hi:[1,0]
	s_set_vgpr_msb 64                       ;  msbs: dst=1 src0=0 src1=0 src2=0
	v_dual_mul_f32 v1 /*v257*/, v168, v153 :: v_dual_fma_f32 v0 /*v256*/, v168, v152, -v17
	s_set_vgpr_msb 0                        ;  msbs: dst=0 src0=0 src1=0 src2=0
	v_dual_add_f32 v9, v9, v59 :: v_dual_fmac_f32 v255, v239, v150
	v_dual_add_f32 v11, v11, v19 :: v_dual_fma_f32 v254, v238, v150, -v15
	v_pk_fma_f32 v[108:109], v[170:171], v[154:155], v[96:97] op_sel_hi:[1,0,1]
	s_wait_loadcnt 0x3
	s_delay_alu instid0(VALU_DEP_3) | instskip(NEXT) | instid1(VALU_DEP_3)
	v_dual_add_f32 v105, v9, v61 :: v_dual_mov_b32 v106, v163
	v_add_f32_e32 v104, v11, v13
	v_pk_fma_f32 v[96:97], v[170:171], v[154:155], v[96:97] neg_lo:[0,0,1] neg_hi:[0,0,1]
	v_pk_mul_f32 v[98:99], v[172:173], v[156:157] op_sel:[1,1] op_sel_hi:[0,1]
	s_set_vgpr_msb 64                       ;  msbs: dst=1 src0=0 src1=0 src2=0
	v_fmac_f32_e32 v1 /*v257*/, v169, v152
	s_set_vgpr_msb 0                        ;  msbs: dst=0 src0=0 src1=0 src2=0
	v_mov_b32_e32 v97, v109
	v_pk_add_f32 v[104:105], v[104:105], v[254:255]
	v_pk_mul_f32 v[100:101], v[248:249], v[100:101] op_sel_hi:[1,0]
	v_pk_fma_f32 v[110:111], v[172:173], v[156:157], v[98:99] op_sel_hi:[1,0,1]
	v_pk_fma_f32 v[98:99], v[172:173], v[156:157], v[98:99] neg_lo:[0,0,1] neg_hi:[0,0,1]
	v_pk_mul_f32 v[102:103], v[176:177], v[160:161] op_sel:[1,1] op_sel_hi:[0,1]
	s_set_vgpr_msb 4                        ;  msbs: dst=0 src0=0 src1=1 src2=0
	v_pk_add_f32 v[104:105], v[104:105], v[0:1] /*v[256:257]*/
	s_set_vgpr_msb 0                        ;  msbs: dst=0 src0=0 src1=0 src2=0
	v_pk_mul_f32 v[106:107], v[250:251], v[106:107] op_sel_hi:[1,0]
	v_mov_b32_e32 v99, v111
	v_pk_fma_f32 v[110:111], v[174:175], v[158:159], v[100:101] op_sel_hi:[1,0,1]
	v_pk_fma_f32 v[100:101], v[174:175], v[158:159], v[100:101] neg_lo:[0,0,1] neg_hi:[0,0,1]
	v_pk_add_f32 v[96:97], v[104:105], v[96:97]
	v_pk_fma_f32 v[104:105], v[176:177], v[160:161], v[102:103] op_sel_hi:[1,0,1]
	v_pk_fma_f32 v[102:103], v[176:177], v[160:161], v[102:103] neg_lo:[0,0,1] neg_hi:[0,0,1]
	v_mov_b32_e32 v101, v111
	s_wait_loadcnt 0x2
	v_pk_mul_f32 v[108:109], v[188:189], v[164:165] op_sel:[1,1] op_sel_hi:[0,1]
	v_pk_add_f32 v[96:97], v[96:97], v[98:99]
	v_dual_mov_b32 v98, v167 :: v_dual_mov_b32 v103, v105
	v_pk_fma_f32 v[104:105], v[178:179], v[162:163], v[106:107] op_sel_hi:[1,0,1]
	v_pk_fma_f32 v[106:107], v[178:179], v[162:163], v[106:107] neg_lo:[0,0,1] neg_hi:[0,0,1]
	s_delay_alu instid0(VALU_DEP_4)
	v_pk_add_f32 v[96:97], v[96:97], v[100:101]
	v_pk_fma_f32 v[100:101], v[188:189], v[164:165], v[108:109] op_sel_hi:[1,0,1]
	v_pk_mul_f32 v[98:99], v[252:253], v[98:99] op_sel_hi:[1,0]
	v_mov_b32_e32 v107, v105
	s_wait_loadcnt_dscnt 0x100
	v_pk_mul_f32 v[104:105], v[244:245], v[240:241] op_sel:[1,1] op_sel_hi:[0,1]
	v_pk_add_f32 v[96:97], v[96:97], v[102:103]
	v_pk_fma_f32 v[102:103], v[188:189], v[164:165], v[108:109] neg_lo:[0,0,1] neg_hi:[0,0,1]
	v_mov_b32_e32 v103, v101
	v_pk_fma_f32 v[100:101], v[190:191], v[166:167], v[98:99] op_sel_hi:[1,0,1]
	v_pk_fma_f32 v[98:99], v[190:191], v[166:167], v[98:99] neg_lo:[0,0,1] neg_hi:[0,0,1]
	v_pk_add_f32 v[96:97], v[96:97], v[106:107]
	s_delay_alu instid0(VALU_DEP_3) | instskip(SKIP_1) | instid1(VALU_DEP_3)
	v_mov_b32_e32 v99, v101
	v_pk_fma_f32 v[100:101], v[244:245], v[240:241], v[104:105] op_sel_hi:[1,0,1]
	v_pk_add_f32 v[96:97], v[96:97], v[102:103]
	v_pk_fma_f32 v[102:103], v[244:245], v[240:241], v[104:105] neg_lo:[0,0,1] neg_hi:[0,0,1]
	s_delay_alu instid0(VALU_DEP_3) | instskip(NEXT) | instid1(VALU_DEP_3)
	v_mov_b32_e32 v103, v101
	v_pk_add_f32 v[96:97], v[96:97], v[98:99]
	s_delay_alu instid0(VALU_DEP_1) | instskip(SKIP_1) | instid1(VALU_DEP_1)
	v_pk_add_f32 v[96:97], v[96:97], v[102:103]
	s_wait_loadcnt 0x0
	v_pk_add_f32 v[96:97], v[242:243], v[96:97] neg_lo:[0,1] neg_hi:[0,1]
	scratch_store_b64 off, v[96:97], off offset:72
	s_wait_xcnt 0x0
	v_cmpx_lt_u32_e32 8, v0
	s_cbranch_execz .LBB110_279
; %bb.278:
	scratch_load_b64 v[96:97], off, off offset:64
	v_mov_b64_e32 v[98:99], 0
	scratch_store_b64 off, v[98:99], off offset:64
	s_wait_loadcnt 0x0
	ds_store_b64 v1, v[96:97]
.LBB110_279:
	s_wait_xcnt 0x0
	s_or_b32 exec_lo, exec_lo, s0
	s_wait_storecnt_dscnt 0x0
	s_barrier_signal -1
	s_barrier_wait -1
	s_clause 0x13
	scratch_load_b128 v[96:99], off, off offset:72
	scratch_load_b128 v[100:103], off, off offset:88
	;; [unrolled: 1-line block ×19, first 2 shown]
	scratch_load_b64 v[248:249], off, off offset:64
	ds_load_2addr_b64 v[172:175], v7 offset0:87 offset1:88
	ds_load_2addr_b64 v[176:179], v7 offset0:89 offset1:90
	;; [unrolled: 1-line block ×19, first 2 shown]
	s_mov_b32 s0, exec_lo
	s_wait_dscnt 0x12
	v_dual_mov_b32 v250, v175 :: v_dual_mov_b32 v251, v174
	s_wait_dscnt 0x11
	v_dual_mov_b32 v252, v179 :: v_dual_mov_b32 v253, v178
	;; [unrolled: 2-line block ×3, first 2 shown]
	s_wait_dscnt 0xe
	s_set_vgpr_msb 64                       ;  msbs: dst=1 src0=0 src1=0 src2=0
	v_dual_mov_b32 v0 /*v256*/, v191 :: v_dual_mov_b32 v1 /*v257*/, v190
	s_wait_loadcnt_dscnt 0x130d
	s_set_vgpr_msb 0                        ;  msbs: dst=0 src0=0 src1=0 src2=0
	v_dual_mul_f32 v7, v192, v97 :: v_dual_mul_f32 v9, v194, v99
	v_dual_mul_f32 v63, v193, v97 :: v_dual_mul_f32 v65, v195, v99
	s_wait_loadcnt_dscnt 0x120c
	v_dual_mul_f32 v11, v196, v101 :: v_dual_mul_f32 v13, v198, v103
	s_delay_alu instid0(VALU_DEP_3) | instskip(SKIP_3) | instid1(VALU_DEP_3)
	v_dual_fmac_f32 v7, v193, v96 :: v_dual_fmac_f32 v9, v195, v98
	s_wait_loadcnt_dscnt 0x100a
	v_dual_fma_f32 v63, v192, v96, -v63 :: v_dual_mul_f32 v75, v205, v109
	v_dual_mul_f32 v67, v197, v101 :: v_dual_mul_f32 v69, v199, v103
	v_dual_fma_f32 v65, v194, v98, -v65 :: v_dual_add_f32 v7, 0, v7
	s_delay_alu instid0(VALU_DEP_3) | instskip(SKIP_1) | instid1(VALU_DEP_4)
	v_dual_add_f32 v63, 0, v63 :: v_dual_fmac_f32 v11, v197, v100
	v_dual_mul_f32 v15, v200, v105 :: v_dual_mul_f32 v17, v202, v107
	v_dual_mul_f32 v77, v207, v111 :: v_dual_fma_f32 v67, v196, v100, -v67
	s_delay_alu instid0(VALU_DEP_4) | instskip(NEXT) | instid1(VALU_DEP_3)
	v_add_f32_e32 v7, v7, v9
	v_dual_add_f32 v9, v63, v65 :: v_dual_fmac_f32 v15, v201, v104
	v_dual_mul_f32 v71, v201, v105 :: v_dual_mul_f32 v73, v203, v107
	s_wait_loadcnt_dscnt 0xf09
	v_dual_mul_f32 v63, v209, v113 :: v_dual_fmac_f32 v13, v199, v102
	v_dual_fma_f32 v65, v198, v102, -v69 :: v_dual_add_f32 v7, v7, v11
	s_delay_alu instid0(VALU_DEP_3) | instskip(SKIP_1) | instid1(VALU_DEP_3)
	v_dual_add_f32 v9, v9, v67 :: v_dual_fma_f32 v67, v200, v104, -v71
	v_dual_mul_f32 v19, v204, v109 :: v_dual_mul_f32 v21, v206, v111
	v_add_f32_e32 v7, v7, v13
	s_delay_alu instid0(VALU_DEP_3) | instskip(SKIP_2) | instid1(VALU_DEP_3)
	v_dual_mul_f32 v11, v211, v115 :: v_dual_add_f32 v9, v9, v65
	s_wait_loadcnt_dscnt 0xe08
	v_dual_mul_f32 v13, v213, v117 :: v_dual_fmac_f32 v17, v203, v106
	v_dual_fma_f32 v65, v202, v106, -v73 :: v_dual_add_f32 v7, v7, v15
	s_delay_alu instid0(VALU_DEP_3) | instskip(SKIP_1) | instid1(VALU_DEP_3)
	v_dual_add_f32 v9, v9, v67 :: v_dual_fma_f32 v67, v204, v108, -v75
	v_dual_mul_f32 v15, v215, v119 :: v_dual_fmac_f32 v19, v205, v108
	v_add_f32_e32 v7, v7, v17
	s_delay_alu instid0(VALU_DEP_3)
	v_dual_add_f32 v9, v9, v65 :: v_dual_fmac_f32 v21, v207, v110
	v_dual_mul_f32 v23, v208, v113 :: v_dual_mul_f32 v25, v210, v115
	s_wait_loadcnt_dscnt 0xd07
	v_dual_fma_f32 v65, v206, v110, -v77 :: v_dual_mul_f32 v17, v217, v121
	v_add_f32_e32 v7, v7, v19
	v_dual_add_f32 v9, v9, v67 :: v_dual_fma_f32 v63, v208, v112, -v63
	v_dual_mul_f32 v19, v219, v123 :: v_dual_fmac_f32 v23, v209, v112
	s_delay_alu instid0(VALU_DEP_3) | instskip(NEXT) | instid1(VALU_DEP_3)
	v_dual_add_f32 v7, v7, v21 :: v_dual_fma_f32 v11, v210, v114, -v11
	v_dual_add_f32 v9, v9, v65 :: v_dual_fmac_f32 v25, v211, v114
	v_dual_mul_f32 v27, v212, v117 :: v_dual_mul_f32 v29, v214, v119
	s_wait_loadcnt_dscnt 0xc06
	s_delay_alu instid0(VALU_DEP_3) | instskip(NEXT) | instid1(VALU_DEP_3)
	v_dual_mul_f32 v21, v221, v125 :: v_dual_add_f32 v7, v7, v23
	v_dual_add_f32 v9, v9, v63 :: v_dual_fma_f32 v13, v212, v116, -v13
	s_delay_alu instid0(VALU_DEP_3) | instskip(NEXT) | instid1(VALU_DEP_2)
	v_dual_mul_f32 v23, v223, v127 :: v_dual_fmac_f32 v27, v213, v116
	v_dual_add_f32 v7, v7, v25 :: v_dual_add_f32 v9, v9, v11
	v_dual_mul_f32 v31, v216, v121 :: v_dual_mul_f32 v33, v218, v123
	s_wait_loadcnt_dscnt 0xb05
	v_dual_mul_f32 v11, v225, v129 :: v_dual_fmac_f32 v29, v215, v118
	s_delay_alu instid0(VALU_DEP_3) | instskip(SKIP_2) | instid1(VALU_DEP_2)
	v_dual_fma_f32 v15, v214, v118, -v15 :: v_dual_add_f32 v7, v7, v27
	v_dual_add_f32 v9, v9, v13 :: v_dual_mul_f32 v13, v227, v131
	v_dual_fmac_f32 v31, v217, v120 :: v_dual_fma_f32 v17, v216, v120, -v17
	v_dual_add_f32 v7, v7, v29 :: v_dual_add_f32 v9, v9, v15
	v_dual_mul_f32 v35, v220, v125 :: v_dual_mul_f32 v37, v222, v127
	s_wait_loadcnt_dscnt 0xa04
	v_dual_mul_f32 v15, v229, v133 :: v_dual_fmac_f32 v33, v219, v122
	s_delay_alu instid0(VALU_DEP_3) | instskip(SKIP_2) | instid1(VALU_DEP_2)
	v_dual_fma_f32 v19, v218, v122, -v19 :: v_dual_add_f32 v7, v7, v31
	v_dual_add_f32 v9, v9, v17 :: v_dual_mul_f32 v17, v231, v135
	v_dual_fmac_f32 v35, v221, v124 :: v_dual_fma_f32 v21, v220, v124, -v21
	v_dual_add_f32 v7, v7, v33 :: v_dual_add_f32 v9, v9, v19
	v_dual_mul_f32 v39, v224, v129 :: v_dual_mul_f32 v41, v226, v131
	s_wait_loadcnt_dscnt 0x903
	v_dual_mul_f32 v19, v233, v137 :: v_dual_fmac_f32 v37, v223, v126
	s_delay_alu instid0(VALU_DEP_3) | instskip(SKIP_2) | instid1(VALU_DEP_3)
	v_dual_fma_f32 v23, v222, v126, -v23 :: v_dual_add_f32 v7, v7, v35
	v_dual_add_f32 v9, v9, v21 :: v_dual_mul_f32 v21, v235, v139
	v_fmac_f32_e32 v39, v225, v128
	v_dual_fma_f32 v11, v224, v128, -v11 :: v_dual_add_f32 v7, v7, v37
	s_delay_alu instid0(VALU_DEP_3)
	v_dual_add_f32 v9, v9, v23 :: v_dual_mul_f32 v43, v228, v133
	s_wait_loadcnt_dscnt 0x802
	v_dual_mul_f32 v45, v230, v135 :: v_dual_mul_f32 v23, v237, v141
	v_fmac_f32_e32 v41, v227, v130
	v_dual_fma_f32 v13, v226, v130, -v13 :: v_dual_add_f32 v7, v7, v39
	v_dual_add_f32 v9, v9, v11 :: v_dual_fma_f32 v15, v228, v132, -v15
	v_dual_mul_f32 v11, v239, v143 :: v_dual_fmac_f32 v43, v229, v132
	s_delay_alu instid0(VALU_DEP_3) | instskip(NEXT) | instid1(VALU_DEP_3)
	v_dual_add_f32 v7, v7, v41 :: v_dual_fma_f32 v17, v230, v134, -v17
	v_dual_add_f32 v9, v9, v13 :: v_dual_fmac_f32 v45, v231, v134
	v_dual_mul_f32 v47, v232, v137 :: v_dual_mul_f32 v49, v234, v139
	s_wait_loadcnt_dscnt 0x701
	s_delay_alu instid0(VALU_DEP_3) | instskip(NEXT) | instid1(VALU_DEP_3)
	v_dual_mul_f32 v13, v241, v145 :: v_dual_add_f32 v7, v7, v43
	v_dual_add_f32 v9, v9, v15 :: v_dual_fma_f32 v19, v232, v136, -v19
	s_delay_alu instid0(VALU_DEP_3) | instskip(NEXT) | instid1(VALU_DEP_3)
	v_dual_mul_f32 v15, v243, v147 :: v_dual_fmac_f32 v47, v233, v136
	v_dual_add_f32 v7, v7, v45 :: v_dual_fma_f32 v21, v234, v138, -v21
	s_delay_alu instid0(VALU_DEP_3) | instskip(SKIP_2) | instid1(VALU_DEP_3)
	v_dual_add_f32 v9, v9, v17 :: v_dual_fmac_f32 v49, v235, v138
	v_dual_mul_f32 v51, v236, v141 :: v_dual_mul_f32 v53, v238, v143
	s_wait_loadcnt_dscnt 0x600
	v_dual_mul_f32 v17, v245, v149 :: v_dual_add_f32 v7, v7, v47
	s_delay_alu instid0(VALU_DEP_3) | instskip(NEXT) | instid1(VALU_DEP_3)
	v_dual_add_f32 v9, v9, v19 :: v_dual_fma_f32 v23, v236, v140, -v23
	v_dual_mul_f32 v19, v247, v151 :: v_dual_fmac_f32 v51, v237, v140
	s_delay_alu instid0(VALU_DEP_3) | instskip(NEXT) | instid1(VALU_DEP_3)
	v_dual_add_f32 v7, v7, v49 :: v_dual_fma_f32 v11, v238, v142, -v11
	v_dual_add_f32 v9, v9, v21 :: v_dual_fmac_f32 v53, v239, v142
	v_dual_mul_f32 v55, v240, v145 :: v_dual_mul_f32 v57, v242, v147
	s_wait_loadcnt 0x5
	s_delay_alu instid0(VALU_DEP_3) | instskip(NEXT) | instid1(VALU_DEP_3)
	v_dual_mul_f32 v21, v181, v153 :: v_dual_add_f32 v7, v7, v51
	v_dual_add_f32 v9, v9, v23 :: v_dual_fma_f32 v13, v240, v144, -v13
	s_delay_alu instid0(VALU_DEP_3) | instskip(NEXT) | instid1(VALU_DEP_2)
	v_dual_mul_f32 v23, v183, v155 :: v_dual_fmac_f32 v55, v241, v144
	v_dual_add_f32 v7, v7, v53 :: v_dual_add_f32 v9, v9, v11
	v_dual_mul_f32 v59, v244, v149 :: v_dual_mul_f32 v61, v246, v151
	v_dual_fmac_f32 v57, v243, v146 :: v_dual_fma_f32 v11, v242, v146, -v15
	s_delay_alu instid0(VALU_DEP_3) | instskip(SKIP_1) | instid1(VALU_DEP_3)
	v_dual_add_f32 v7, v7, v55 :: v_dual_add_f32 v9, v9, v13
	s_wait_loadcnt 0x4
	v_dual_mov_b32 v98, v159 :: v_dual_fmac_f32 v59, v245, v148
	s_delay_alu instid0(VALU_DEP_2) | instskip(NEXT) | instid1(VALU_DEP_3)
	v_dual_fma_f32 v13, v244, v148, -v17 :: v_dual_add_f32 v7, v7, v57
	v_dual_add_f32 v9, v9, v11 :: v_dual_fmac_f32 v61, v247, v150
	s_set_vgpr_msb 64                       ;  msbs: dst=1 src0=0 src1=0 src2=0
	v_dual_mul_f32 v3 /*v259*/, v180, v153 :: v_dual_mul_f32 v5 /*v261*/, v182, v155
	s_set_vgpr_msb 0                        ;  msbs: dst=0 src0=0 src1=0 src2=0
	v_dual_fma_f32 v11, v246, v150, -v19 :: v_dual_add_f32 v7, v7, v59
	s_wait_loadcnt 0x3
	v_dual_add_f32 v9, v9, v13 :: v_dual_mov_b32 v102, v163
	v_pk_mul_f32 v[96:97], v[172:173], v[156:157] op_sel:[1,1] op_sel_hi:[0,1]
	s_set_vgpr_msb 64                       ;  msbs: dst=1 src0=0 src1=0 src2=0
	v_dual_fmac_f32 v3 /*v259*/, v181, v152 :: v_dual_fmac_f32 v5 /*v261*/, v183, v154
	v_dual_fma_f32 v2 /*v258*/, v180, v152, -v21 :: v_dual_fma_f32 v4 /*v260*/, v182, v154, -v23
	s_set_vgpr_msb 0                        ;  msbs: dst=0 src0=0 src1=0 src2=0
	v_dual_add_f32 v105, v7, v61 :: v_dual_add_f32 v104, v9, v11
	v_pk_fma_f32 v[106:107], v[172:173], v[156:157], v[96:97] op_sel_hi:[1,0,1]
	v_pk_mul_f32 v[98:99], v[250:251], v[98:99] op_sel_hi:[1,0]
	v_pk_fma_f32 v[96:97], v[172:173], v[156:157], v[96:97] neg_lo:[0,0,1] neg_hi:[0,0,1]
	v_pk_mul_f32 v[100:101], v[176:177], v[160:161] op_sel:[1,1] op_sel_hi:[0,1]
	s_set_vgpr_msb 4                        ;  msbs: dst=0 src0=0 src1=1 src2=0
	v_pk_add_f32 v[104:105], v[104:105], v[2:3] /*v[258:259]*/
	v_mov_b32_e32 v97, v107
	s_set_vgpr_msb 0                        ;  msbs: dst=0 src0=0 src1=0 src2=0
	v_pk_fma_f32 v[106:107], v[174:175], v[158:159], v[98:99] op_sel_hi:[1,0,1]
	v_pk_fma_f32 v[98:99], v[174:175], v[158:159], v[98:99] neg_lo:[0,0,1] neg_hi:[0,0,1]
	v_pk_fma_f32 v[110:111], v[176:177], v[160:161], v[100:101] op_sel_hi:[1,0,1]
	s_set_vgpr_msb 4                        ;  msbs: dst=0 src0=0 src1=1 src2=0
	v_pk_add_f32 v[104:105], v[104:105], v[4:5] /*v[260:261]*/
	s_set_vgpr_msb 0                        ;  msbs: dst=0 src0=0 src1=0 src2=0
	v_pk_mul_f32 v[102:103], v[252:253], v[102:103] op_sel_hi:[1,0]
	v_mov_b32_e32 v99, v107
	s_wait_loadcnt 0x2
	v_pk_mul_f32 v[108:109], v[184:185], v[164:165] op_sel:[1,1] op_sel_hi:[0,1]
	v_pk_fma_f32 v[100:101], v[176:177], v[160:161], v[100:101] neg_lo:[0,0,1] neg_hi:[0,0,1]
	v_pk_add_f32 v[96:97], v[104:105], v[96:97]
	v_dual_mov_b32 v104, v167 :: v_dual_mov_b32 v101, v111
	v_pk_fma_f32 v[106:107], v[178:179], v[162:163], v[102:103] op_sel_hi:[1,0,1]
	v_pk_fma_f32 v[102:103], v[178:179], v[162:163], v[102:103] neg_lo:[0,0,1] neg_hi:[0,0,1]
	s_delay_alu instid0(VALU_DEP_4)
	v_pk_add_f32 v[96:97], v[96:97], v[98:99]
	v_pk_fma_f32 v[98:99], v[184:185], v[164:165], v[108:109] op_sel_hi:[1,0,1]
	v_pk_mul_f32 v[104:105], v[254:255], v[104:105] op_sel_hi:[1,0]
	v_mov_b32_e32 v103, v107
	v_pk_fma_f32 v[106:107], v[184:185], v[164:165], v[108:109] neg_lo:[0,0,1] neg_hi:[0,0,1]
	v_pk_add_f32 v[96:97], v[96:97], v[100:101]
	v_mov_b32_e32 v107, v99
	v_pk_fma_f32 v[98:99], v[186:187], v[166:167], v[104:105] op_sel_hi:[1,0,1]
	s_wait_loadcnt 0x1
	v_pk_mul_f32 v[100:101], v[188:189], v[168:169] op_sel:[1,1] op_sel_hi:[0,1]
	v_mov_b32_e32 v98, v171
	v_pk_add_f32 v[96:97], v[96:97], v[102:103]
	v_pk_fma_f32 v[104:105], v[186:187], v[166:167], v[104:105] neg_lo:[0,0,1] neg_hi:[0,0,1]
	v_mov_b32_e32 v105, v99
	v_pk_fma_f32 v[102:103], v[188:189], v[168:169], v[100:101] op_sel_hi:[1,0,1]
	s_set_vgpr_msb 1                        ;  msbs: dst=0 src0=1 src1=0 src2=0
	v_pk_mul_f32 v[98:99], v[0:1] /*v[256:257]*/, v[98:99] op_sel_hi:[1,0]
	s_set_vgpr_msb 0                        ;  msbs: dst=0 src0=0 src1=0 src2=0
	v_pk_add_f32 v[96:97], v[96:97], v[106:107]
	v_pk_fma_f32 v[100:101], v[188:189], v[168:169], v[100:101] neg_lo:[0,0,1] neg_hi:[0,0,1]
	v_mov_b32_e32 v101, v103
	v_pk_fma_f32 v[102:103], v[190:191], v[170:171], v[98:99] op_sel_hi:[1,0,1]
	s_delay_alu instid0(VALU_DEP_4) | instskip(SKIP_1) | instid1(VALU_DEP_3)
	v_pk_add_f32 v[96:97], v[96:97], v[104:105]
	v_pk_fma_f32 v[98:99], v[190:191], v[170:171], v[98:99] neg_lo:[0,0,1] neg_hi:[0,0,1]
	v_mov_b32_e32 v99, v103
	s_delay_alu instid0(VALU_DEP_3) | instskip(NEXT) | instid1(VALU_DEP_1)
	v_pk_add_f32 v[96:97], v[96:97], v[100:101]
	v_pk_add_f32 v[96:97], v[96:97], v[98:99]
	s_wait_loadcnt 0x0
	s_delay_alu instid0(VALU_DEP_1)
	v_pk_add_f32 v[96:97], v[248:249], v[96:97] neg_lo:[0,1] neg_hi:[0,1]
	scratch_store_b64 off, v[96:97], off offset:64
	s_wait_xcnt 0x0
	v_cmpx_lt_u32_e32 7, v0
	s_cbranch_execz .LBB110_281
; %bb.280:
	scratch_load_b64 v[96:97], off, off offset:56
	v_mov_b64_e32 v[98:99], 0
	scratch_store_b64 off, v[98:99], off offset:56
	s_wait_loadcnt 0x0
	ds_store_b64 v1, v[96:97]
.LBB110_281:
	s_wait_xcnt 0x0
	s_or_b32 exec_lo, exec_lo, s0
	s_wait_storecnt_dscnt 0x0
	s_barrier_signal -1
	s_barrier_wait -1
	s_clause 0x14
	scratch_load_b128 v[96:99], off, off offset:64
	scratch_load_b128 v[100:103], off, off offset:80
	;; [unrolled: 1-line block ×19, first 2 shown]
	scratch_load_b64 v[248:249], off, off offset:368
	scratch_load_b64 v[250:251], off, off offset:56
	v_mov_b32_e32 v7, 0
	ds_load_b128 v[172:175], v7 offset:688
	ds_load_b128 v[176:179], v7 offset:672
	;; [unrolled: 1-line block ×19, first 2 shown]
	ds_load_b64 v[252:253], v7 offset:752
	s_wait_dscnt 0x13
	v_dual_mov_b32 v255, v174 :: v_dual_mov_b32 v254, v175
	s_wait_dscnt 0x11
	s_set_vgpr_msb 64                       ;  msbs: dst=1 src0=0 src1=0 src2=0
	v_dual_mov_b32 v0 /*v256*/, v183 :: v_dual_mov_b32 v1 /*v257*/, v182
	s_wait_dscnt 0x10
	v_dual_mov_b32 v2 /*v258*/, v187 :: v_dual_mov_b32 v3 /*v259*/, v186
	s_wait_dscnt 0xd
	v_dual_mov_b32 v4 /*v260*/, v199 :: v_dual_mov_b32 v5 /*v261*/, v198
	s_mov_b32 s0, exec_lo
	s_wait_loadcnt 0x14
	s_set_vgpr_msb 0                        ;  msbs: dst=0 src0=0 src1=0 src2=0
	v_dual_mul_f32 v9, v188, v97 :: v_dual_mul_f32 v67, v189, v97
	v_dual_mul_f32 v69, v191, v99 :: v_dual_mul_f32 v11, v190, v99
	s_wait_loadcnt 0x13
	v_mul_f32_e32 v13, v192, v101
	s_wait_loadcnt_dscnt 0x110b
	v_dual_mul_f32 v79, v205, v109 :: v_dual_fma_f32 v67, v188, v96, -v67
	v_dual_fmac_f32 v9, v189, v96 :: v_dual_mul_f32 v81, v207, v111
	v_dual_mul_f32 v71, v193, v101 :: v_dual_mul_f32 v73, v195, v103
	v_dual_fmac_f32 v11, v191, v98 :: v_dual_fma_f32 v69, v190, v98, -v69
	s_delay_alu instid0(VALU_DEP_3) | instskip(SKIP_4) | instid1(VALU_DEP_3)
	v_dual_add_f32 v9, 0, v9 :: v_dual_add_f32 v67, 0, v67
	v_dual_mul_f32 v15, v194, v103 :: v_dual_mul_f32 v17, v200, v105
	s_wait_loadcnt_dscnt 0x100a
	v_dual_mul_f32 v83, v209, v113 :: v_dual_fma_f32 v71, v192, v100, -v71
	v_fmac_f32_e32 v13, v193, v100
	v_dual_add_f32 v9, v9, v11 :: v_dual_fmac_f32 v15, v195, v102
	v_add_f32_e32 v11, v67, v69
	v_dual_mul_f32 v75, v201, v105 :: v_dual_mul_f32 v77, v203, v107
	v_dual_mul_f32 v67, v211, v115 :: v_dual_fma_f32 v69, v194, v102, -v73
	s_delay_alu instid0(VALU_DEP_3) | instskip(SKIP_3) | instid1(VALU_DEP_3)
	v_dual_add_f32 v9, v9, v13 :: v_dual_add_f32 v11, v11, v71
	v_dual_mul_f32 v19, v202, v107 :: v_dual_mul_f32 v21, v204, v109
	s_wait_loadcnt_dscnt 0xf09
	v_dual_mul_f32 v13, v213, v117 :: v_dual_fma_f32 v71, v200, v104, -v75
	v_dual_fmac_f32 v17, v201, v104 :: v_dual_add_f32 v11, v11, v69
	s_delay_alu instid0(VALU_DEP_3) | instskip(SKIP_1) | instid1(VALU_DEP_2)
	v_dual_add_f32 v9, v9, v15 :: v_dual_fmac_f32 v19, v203, v106
	v_dual_mul_f32 v15, v215, v119 :: v_dual_fma_f32 v69, v202, v106, -v77
	v_dual_add_f32 v11, v11, v71 :: v_dual_add_f32 v9, v9, v17
	v_dual_mul_f32 v23, v206, v111 :: v_dual_mul_f32 v25, v208, v113
	s_wait_loadcnt_dscnt 0xe08
	v_dual_mul_f32 v17, v217, v121 :: v_dual_fma_f32 v71, v204, v108, -v79
	s_delay_alu instid0(VALU_DEP_3) | instskip(NEXT) | instid1(VALU_DEP_3)
	v_dual_fmac_f32 v21, v205, v108 :: v_dual_add_f32 v11, v11, v69
	v_dual_add_f32 v9, v9, v19 :: v_dual_fmac_f32 v23, v207, v110
	v_dual_mul_f32 v19, v219, v123 :: v_dual_fma_f32 v69, v206, v110, -v81
	s_delay_alu instid0(VALU_DEP_2) | instskip(SKIP_3) | instid1(VALU_DEP_3)
	v_dual_add_f32 v11, v11, v71 :: v_dual_add_f32 v9, v9, v21
	v_dual_mul_f32 v27, v210, v115 :: v_dual_mul_f32 v29, v212, v117
	s_wait_loadcnt_dscnt 0xd07
	v_dual_mul_f32 v21, v221, v125 :: v_dual_fma_f32 v71, v208, v112, -v83
	v_dual_fmac_f32 v25, v209, v112 :: v_dual_add_f32 v11, v11, v69
	s_delay_alu instid0(VALU_DEP_3) | instskip(SKIP_1) | instid1(VALU_DEP_2)
	v_dual_add_f32 v9, v9, v23 :: v_dual_fmac_f32 v27, v211, v114
	v_dual_mul_f32 v23, v223, v127 :: v_dual_fma_f32 v67, v210, v114, -v67
	v_dual_add_f32 v11, v11, v71 :: v_dual_add_f32 v9, v9, v25
	v_dual_mul_f32 v31, v214, v119 :: v_dual_mul_f32 v33, v216, v121
	s_wait_loadcnt_dscnt 0xc06
	v_dual_mul_f32 v25, v225, v129 :: v_dual_fma_f32 v13, v212, v116, -v13
	s_delay_alu instid0(VALU_DEP_3) | instskip(NEXT) | instid1(VALU_DEP_3)
	v_dual_fmac_f32 v29, v213, v116 :: v_dual_add_f32 v11, v11, v67
	v_dual_add_f32 v9, v9, v27 :: v_dual_fmac_f32 v31, v215, v118
	v_dual_mul_f32 v27, v227, v131 :: v_dual_fma_f32 v15, v214, v118, -v15
	s_delay_alu instid0(VALU_DEP_3) | instskip(NEXT) | instid1(VALU_DEP_3)
	v_dual_add_f32 v11, v11, v13 :: v_dual_fmac_f32 v33, v217, v120
	v_dual_add_f32 v9, v9, v29 :: v_dual_fma_f32 v17, v216, v120, -v17
	v_dual_mul_f32 v35, v218, v123 :: v_dual_mul_f32 v37, v220, v125
	s_wait_loadcnt_dscnt 0xb05
	s_delay_alu instid0(VALU_DEP_3) | instskip(NEXT) | instid1(VALU_DEP_2)
	v_dual_mul_f32 v13, v229, v133 :: v_dual_add_f32 v11, v11, v15
	v_dual_add_f32 v9, v9, v31 :: v_dual_fmac_f32 v35, v219, v122
	v_dual_mul_f32 v15, v231, v135 :: v_dual_fma_f32 v19, v218, v122, -v19
	s_delay_alu instid0(VALU_DEP_3) | instskip(NEXT) | instid1(VALU_DEP_3)
	v_dual_add_f32 v11, v11, v17 :: v_dual_fmac_f32 v37, v221, v124
	v_dual_add_f32 v9, v9, v33 :: v_dual_fma_f32 v21, v220, v124, -v21
	v_dual_mul_f32 v39, v222, v127 :: v_dual_mul_f32 v41, v224, v129
	s_wait_loadcnt_dscnt 0xa04
	s_delay_alu instid0(VALU_DEP_3) | instskip(NEXT) | instid1(VALU_DEP_2)
	v_dual_mul_f32 v17, v233, v137 :: v_dual_add_f32 v11, v11, v19
	;; [unrolled: 9-line block ×5, first 2 shown]
	v_dual_add_f32 v9, v9, v47 :: v_dual_fmac_f32 v51, v235, v138
	v_dual_mul_f32 v15, v247, v151 :: v_dual_fma_f32 v19, v234, v138, -v19
	s_delay_alu instid0(VALU_DEP_3) | instskip(NEXT) | instid1(VALU_DEP_3)
	v_dual_add_f32 v11, v11, v17 :: v_dual_fmac_f32 v53, v237, v140
	v_dual_add_f32 v9, v9, v49 :: v_dual_fma_f32 v21, v236, v140, -v21
	v_dual_mul_f32 v55, v238, v143 :: v_dual_mul_f32 v57, v240, v145
	s_wait_loadcnt 0x6
	s_delay_alu instid0(VALU_DEP_3) | instskip(NEXT) | instid1(VALU_DEP_2)
	v_dual_mul_f32 v17, v177, v153 :: v_dual_add_f32 v11, v11, v19
	v_dual_add_f32 v9, v9, v51 :: v_dual_fmac_f32 v55, v239, v142
	v_dual_mul_f32 v19, v179, v155 :: v_dual_fma_f32 v23, v238, v142, -v23
	s_delay_alu instid0(VALU_DEP_3) | instskip(NEXT) | instid1(VALU_DEP_3)
	v_dual_add_f32 v11, v11, v21 :: v_dual_fmac_f32 v57, v241, v144
	v_dual_add_f32 v9, v9, v53 :: v_dual_fma_f32 v25, v240, v144, -v25
	v_dual_mul_f32 v59, v242, v147 :: v_dual_mul_f32 v61, v244, v149
	s_wait_loadcnt 0x5
	s_delay_alu instid0(VALU_DEP_3) | instskip(NEXT) | instid1(VALU_DEP_3)
	v_dual_mul_f32 v21, v173, v157 :: v_dual_add_f32 v11, v11, v23
	v_dual_add_f32 v9, v9, v55 :: v_dual_mov_b32 v96, v159
	s_delay_alu instid0(VALU_DEP_3) | instskip(NEXT) | instid1(VALU_DEP_3)
	v_fmac_f32_e32 v59, v243, v146
	v_dual_fma_f32 v23, v242, v146, -v27 :: v_dual_add_f32 v11, v11, v25
	s_delay_alu instid0(VALU_DEP_3) | instskip(SKIP_1) | instid1(VALU_DEP_3)
	v_dual_add_f32 v9, v9, v57 :: v_dual_mul_f32 v63, v246, v151
	v_dual_mul_f32 v65, v176, v153 :: v_dual_fmac_f32 v61, v245, v148
	v_dual_add_f32 v11, v11, v23 :: v_dual_fma_f32 v13, v244, v148, -v13
	s_wait_loadcnt 0x4
	s_delay_alu instid0(VALU_DEP_3) | instskip(SKIP_3) | instid1(VALU_DEP_4)
	v_dual_add_f32 v9, v9, v59 :: v_dual_mov_b32 v100, v163
	v_fma_f32 v15, v246, v150, -v15
	v_fmac_f32_e32 v63, v247, v150
	v_dual_add_f32 v11, v11, v13 :: v_dual_fmac_f32 v65, v177, v152
	v_add_f32_e32 v9, v9, v61
	s_set_vgpr_msb 64                       ;  msbs: dst=1 src0=0 src1=0 src2=0
	v_dual_mul_f32 v7 /*v263*/, v178, v155 :: v_dual_mul_f32 v9 /*v265*/, v172, v157
	s_set_vgpr_msb 0                        ;  msbs: dst=0 src0=0 src1=0 src2=0
	v_fma_f32 v13, v176, v152, -v17
	v_pk_mul_f32 v[96:97], v[254:255], v[96:97] op_sel_hi:[1,0]
	v_add_f32_e32 v9, v9, v63
	v_add_f32_e32 v11, v11, v15
	s_set_vgpr_msb 64                       ;  msbs: dst=1 src0=0 src1=0 src2=0
	v_dual_fmac_f32 v7 /*v263*/, v179, v154 :: v_dual_fmac_f32 v9 /*v265*/, v173, v156
	v_dual_fma_f32 v6 /*v262*/, v178, v154, -v19 :: v_dual_fma_f32 v8 /*v264*/, v172, v156, -v21
	s_set_vgpr_msb 0                        ;  msbs: dst=0 src0=0 src1=0 src2=0
	v_add_f32_e32 v105, v9, v65
	v_pk_fma_f32 v[108:109], v[174:175], v[158:159], v[96:97] op_sel_hi:[1,0,1]
	v_add_f32_e32 v104, v11, v13
	v_pk_fma_f32 v[96:97], v[174:175], v[158:159], v[96:97] neg_lo:[0,0,1] neg_hi:[0,0,1]
	v_pk_mul_f32 v[98:99], v[180:181], v[160:161] op_sel:[1,1] op_sel_hi:[0,1]
	s_set_vgpr_msb 1                        ;  msbs: dst=0 src0=1 src1=0 src2=0
	v_pk_mul_f32 v[100:101], v[0:1] /*v[256:257]*/, v[100:101] op_sel_hi:[1,0]
	s_set_vgpr_msb 4                        ;  msbs: dst=0 src0=0 src1=1 src2=0
	v_mov_b32_e32 v97, v109
	v_pk_add_f32 v[104:105], v[104:105], v[6:7] /*v[262:263]*/
	s_wait_loadcnt 0x3
	s_set_vgpr_msb 0                        ;  msbs: dst=0 src0=0 src1=0 src2=0
	v_pk_mul_f32 v[102:103], v[184:185], v[164:165] op_sel:[1,1] op_sel_hi:[0,1]
	v_pk_fma_f32 v[110:111], v[180:181], v[160:161], v[98:99] op_sel_hi:[1,0,1]
	v_pk_fma_f32 v[98:99], v[180:181], v[160:161], v[98:99] neg_lo:[0,0,1] neg_hi:[0,0,1]
	v_mov_b32_e32 v106, v167
	s_set_vgpr_msb 4                        ;  msbs: dst=0 src0=0 src1=1 src2=0
	v_pk_add_f32 v[104:105], v[104:105], v[8:9] /*v[264:265]*/
	s_wait_loadcnt 0x2
	s_set_vgpr_msb 0                        ;  msbs: dst=0 src0=0 src1=0 src2=0
	v_pk_mul_f32 v[108:109], v[196:197], v[168:169] op_sel:[1,1] op_sel_hi:[0,1]
	v_mov_b32_e32 v99, v111
	v_pk_fma_f32 v[110:111], v[182:183], v[162:163], v[100:101] op_sel_hi:[1,0,1]
	v_pk_fma_f32 v[100:101], v[182:183], v[162:163], v[100:101] neg_lo:[0,0,1] neg_hi:[0,0,1]
	v_pk_add_f32 v[96:97], v[104:105], v[96:97]
	v_pk_fma_f32 v[104:105], v[184:185], v[164:165], v[102:103] op_sel_hi:[1,0,1]
	s_set_vgpr_msb 1                        ;  msbs: dst=0 src0=1 src1=0 src2=0
	v_pk_mul_f32 v[106:107], v[2:3] /*v[258:259]*/, v[106:107] op_sel_hi:[1,0]
	s_set_vgpr_msb 0                        ;  msbs: dst=0 src0=0 src1=0 src2=0
	v_mov_b32_e32 v101, v111
	v_pk_fma_f32 v[102:103], v[184:185], v[164:165], v[102:103] neg_lo:[0,0,1] neg_hi:[0,0,1]
	v_pk_add_f32 v[96:97], v[96:97], v[98:99]
	v_dual_mov_b32 v98, v171 :: v_dual_mov_b32 v103, v105
	v_pk_fma_f32 v[104:105], v[186:187], v[166:167], v[106:107] op_sel_hi:[1,0,1]
	v_pk_fma_f32 v[106:107], v[186:187], v[166:167], v[106:107] neg_lo:[0,0,1] neg_hi:[0,0,1]
	s_delay_alu instid0(VALU_DEP_4)
	v_pk_add_f32 v[96:97], v[96:97], v[100:101]
	v_pk_fma_f32 v[100:101], v[196:197], v[168:169], v[108:109] op_sel_hi:[1,0,1]
	s_set_vgpr_msb 1                        ;  msbs: dst=0 src0=1 src1=0 src2=0
	v_pk_mul_f32 v[98:99], v[4:5] /*v[260:261]*/, v[98:99] op_sel_hi:[1,0]
	s_set_vgpr_msb 0                        ;  msbs: dst=0 src0=0 src1=0 src2=0
	v_mov_b32_e32 v107, v105
	s_wait_loadcnt_dscnt 0x100
	v_pk_mul_f32 v[104:105], v[252:253], v[248:249] op_sel:[1,1] op_sel_hi:[0,1]
	v_pk_add_f32 v[96:97], v[96:97], v[102:103]
	v_pk_fma_f32 v[102:103], v[196:197], v[168:169], v[108:109] neg_lo:[0,0,1] neg_hi:[0,0,1]
	v_mov_b32_e32 v103, v101
	v_pk_fma_f32 v[100:101], v[198:199], v[170:171], v[98:99] op_sel_hi:[1,0,1]
	v_pk_fma_f32 v[98:99], v[198:199], v[170:171], v[98:99] neg_lo:[0,0,1] neg_hi:[0,0,1]
	v_pk_add_f32 v[96:97], v[96:97], v[106:107]
	s_delay_alu instid0(VALU_DEP_3) | instskip(SKIP_1) | instid1(VALU_DEP_3)
	v_mov_b32_e32 v99, v101
	v_pk_fma_f32 v[100:101], v[252:253], v[248:249], v[104:105] op_sel_hi:[1,0,1]
	v_pk_add_f32 v[96:97], v[96:97], v[102:103]
	v_pk_fma_f32 v[102:103], v[252:253], v[248:249], v[104:105] neg_lo:[0,0,1] neg_hi:[0,0,1]
	s_delay_alu instid0(VALU_DEP_3) | instskip(NEXT) | instid1(VALU_DEP_3)
	v_mov_b32_e32 v103, v101
	v_pk_add_f32 v[96:97], v[96:97], v[98:99]
	s_delay_alu instid0(VALU_DEP_1) | instskip(SKIP_1) | instid1(VALU_DEP_1)
	v_pk_add_f32 v[96:97], v[96:97], v[102:103]
	s_wait_loadcnt 0x0
	v_pk_add_f32 v[96:97], v[250:251], v[96:97] neg_lo:[0,1] neg_hi:[0,1]
	scratch_store_b64 off, v[96:97], off offset:56
	s_wait_xcnt 0x0
	v_cmpx_lt_u32_e32 6, v0
	s_cbranch_execz .LBB110_283
; %bb.282:
	scratch_load_b64 v[96:97], off, off offset:48
	v_mov_b64_e32 v[98:99], 0
	scratch_store_b64 off, v[98:99], off offset:48
	s_wait_loadcnt 0x0
	ds_store_b64 v1, v[96:97]
.LBB110_283:
	s_wait_xcnt 0x0
	s_or_b32 exec_lo, exec_lo, s0
	s_wait_storecnt_dscnt 0x0
	s_barrier_signal -1
	s_barrier_wait -1
	s_clause 0x15
	scratch_load_b128 v[96:99], off, off offset:56
	scratch_load_b128 v[100:103], off, off offset:72
	;; [unrolled: 1-line block ×20, first 2 shown]
	s_set_vgpr_msb 64                       ;  msbs: dst=1 src0=0 src1=0 src2=0
	scratch_load_b64 v[0:1] /*v[256:257]*/, off, off offset:48
	s_set_vgpr_msb 0                        ;  msbs: dst=0 src0=0 src1=0 src2=0
	ds_load_2addr_b64 v[176:179], v7 offset0:87 offset1:88
	ds_load_2addr_b64 v[180:183], v7 offset0:89 offset1:90
	;; [unrolled: 1-line block ×20, first 2 shown]
	s_wait_dscnt 0x13
	s_set_vgpr_msb 64                       ;  msbs: dst=1 src0=0 src1=0 src2=0
	v_dual_mov_b32 v2 /*v258*/, v179 :: v_dual_mov_b32 v3 /*v259*/, v178
	s_wait_dscnt 0x12
	v_dual_mov_b32 v4 /*v260*/, v183 :: v_dual_mov_b32 v5 /*v261*/, v182
	s_wait_dscnt 0xf
	;; [unrolled: 2-line block ×3, first 2 shown]
	v_dual_mov_b32 v8 /*v264*/, v199 :: v_dual_mov_b32 v9 /*v265*/, v198
	s_mov_b32 s0, exec_lo
	s_wait_loadcnt 0x14
	s_set_vgpr_msb 0                        ;  msbs: dst=0 src0=0 src1=0 src2=0
	v_dual_mul_f32 v7, v184, v97 :: v_dual_mul_f32 v9, v186, v99
	v_dual_mul_f32 v67, v185, v97 :: v_dual_mul_f32 v69, v187, v99
	s_wait_loadcnt 0x13
	v_dual_mul_f32 v11, v188, v101 :: v_dual_mul_f32 v13, v190, v103
	s_delay_alu instid0(VALU_DEP_3) | instskip(SKIP_3) | instid1(VALU_DEP_3)
	v_dual_fmac_f32 v7, v185, v96 :: v_dual_fmac_f32 v9, v187, v98
	s_wait_loadcnt_dscnt 0x110c
	v_dual_fma_f32 v67, v184, v96, -v67 :: v_dual_mul_f32 v79, v205, v109
	v_dual_mul_f32 v71, v189, v101 :: v_dual_mul_f32 v73, v191, v103
	v_dual_fma_f32 v69, v186, v98, -v69 :: v_dual_add_f32 v7, 0, v7
	s_delay_alu instid0(VALU_DEP_3) | instskip(SKIP_1) | instid1(VALU_DEP_4)
	v_dual_add_f32 v67, 0, v67 :: v_dual_fmac_f32 v11, v189, v100
	v_dual_mul_f32 v15, v200, v105 :: v_dual_mul_f32 v17, v202, v107
	v_dual_mul_f32 v81, v207, v111 :: v_dual_fma_f32 v71, v188, v100, -v71
	s_delay_alu instid0(VALU_DEP_4) | instskip(NEXT) | instid1(VALU_DEP_3)
	v_add_f32_e32 v7, v7, v9
	v_dual_add_f32 v9, v67, v69 :: v_dual_fmac_f32 v15, v201, v104
	v_dual_mul_f32 v75, v201, v105 :: v_dual_mul_f32 v77, v203, v107
	s_wait_loadcnt_dscnt 0x100b
	v_dual_mul_f32 v67, v209, v113 :: v_dual_fmac_f32 v13, v191, v102
	v_dual_fma_f32 v69, v190, v102, -v73 :: v_dual_add_f32 v7, v7, v11
	s_delay_alu instid0(VALU_DEP_3) | instskip(SKIP_1) | instid1(VALU_DEP_3)
	v_dual_add_f32 v9, v9, v71 :: v_dual_fma_f32 v71, v200, v104, -v75
	v_dual_mul_f32 v19, v204, v109 :: v_dual_mul_f32 v21, v206, v111
	v_add_f32_e32 v7, v7, v13
	s_delay_alu instid0(VALU_DEP_3) | instskip(SKIP_2) | instid1(VALU_DEP_3)
	v_dual_mul_f32 v11, v211, v115 :: v_dual_add_f32 v9, v9, v69
	s_wait_loadcnt_dscnt 0xf0a
	v_dual_mul_f32 v13, v213, v117 :: v_dual_fmac_f32 v17, v203, v106
	v_dual_fma_f32 v69, v202, v106, -v77 :: v_dual_add_f32 v7, v7, v15
	s_delay_alu instid0(VALU_DEP_3) | instskip(SKIP_1) | instid1(VALU_DEP_3)
	v_dual_add_f32 v9, v9, v71 :: v_dual_fma_f32 v71, v204, v108, -v79
	v_dual_mul_f32 v15, v215, v119 :: v_dual_fmac_f32 v19, v205, v108
	v_add_f32_e32 v7, v7, v17
	s_delay_alu instid0(VALU_DEP_3)
	v_dual_add_f32 v9, v9, v69 :: v_dual_fmac_f32 v21, v207, v110
	v_dual_mul_f32 v23, v208, v113 :: v_dual_mul_f32 v25, v210, v115
	s_wait_loadcnt_dscnt 0xe09
	v_dual_fma_f32 v69, v206, v110, -v81 :: v_dual_mul_f32 v17, v217, v121
	v_add_f32_e32 v7, v7, v19
	v_dual_add_f32 v9, v9, v71 :: v_dual_fma_f32 v67, v208, v112, -v67
	v_dual_mul_f32 v19, v219, v123 :: v_dual_fmac_f32 v23, v209, v112
	s_delay_alu instid0(VALU_DEP_3) | instskip(NEXT) | instid1(VALU_DEP_3)
	v_dual_add_f32 v7, v7, v21 :: v_dual_fma_f32 v11, v210, v114, -v11
	v_dual_add_f32 v9, v9, v69 :: v_dual_fmac_f32 v25, v211, v114
	v_dual_mul_f32 v27, v212, v117 :: v_dual_mul_f32 v29, v214, v119
	s_wait_loadcnt_dscnt 0xd08
	s_delay_alu instid0(VALU_DEP_3) | instskip(NEXT) | instid1(VALU_DEP_3)
	v_dual_mul_f32 v21, v221, v125 :: v_dual_add_f32 v7, v7, v23
	v_dual_add_f32 v9, v9, v67 :: v_dual_fma_f32 v13, v212, v116, -v13
	s_delay_alu instid0(VALU_DEP_3) | instskip(NEXT) | instid1(VALU_DEP_2)
	v_dual_mul_f32 v23, v223, v127 :: v_dual_fmac_f32 v27, v213, v116
	v_dual_add_f32 v7, v7, v25 :: v_dual_add_f32 v9, v9, v11
	v_dual_mul_f32 v31, v216, v121 :: v_dual_mul_f32 v33, v218, v123
	s_wait_loadcnt_dscnt 0xc07
	v_dual_mul_f32 v11, v225, v129 :: v_dual_fmac_f32 v29, v215, v118
	s_delay_alu instid0(VALU_DEP_3) | instskip(SKIP_2) | instid1(VALU_DEP_2)
	v_dual_fma_f32 v15, v214, v118, -v15 :: v_dual_add_f32 v7, v7, v27
	v_dual_add_f32 v9, v9, v13 :: v_dual_mul_f32 v13, v227, v131
	v_dual_fmac_f32 v31, v217, v120 :: v_dual_fma_f32 v17, v216, v120, -v17
	v_dual_add_f32 v7, v7, v29 :: v_dual_add_f32 v9, v9, v15
	v_dual_mul_f32 v35, v220, v125 :: v_dual_mul_f32 v37, v222, v127
	s_wait_loadcnt_dscnt 0xb06
	v_dual_mul_f32 v15, v229, v133 :: v_dual_fmac_f32 v33, v219, v122
	s_delay_alu instid0(VALU_DEP_3) | instskip(SKIP_2) | instid1(VALU_DEP_2)
	v_dual_fma_f32 v19, v218, v122, -v19 :: v_dual_add_f32 v7, v7, v31
	v_dual_add_f32 v9, v9, v17 :: v_dual_mul_f32 v17, v231, v135
	v_dual_fmac_f32 v35, v221, v124 :: v_dual_fma_f32 v21, v220, v124, -v21
	v_dual_add_f32 v7, v7, v33 :: v_dual_add_f32 v9, v9, v19
	v_dual_mul_f32 v39, v224, v129 :: v_dual_mul_f32 v41, v226, v131
	s_wait_loadcnt_dscnt 0xa05
	v_dual_mul_f32 v19, v233, v137 :: v_dual_fmac_f32 v37, v223, v126
	s_delay_alu instid0(VALU_DEP_3) | instskip(SKIP_2) | instid1(VALU_DEP_3)
	v_dual_fma_f32 v23, v222, v126, -v23 :: v_dual_add_f32 v7, v7, v35
	v_dual_add_f32 v9, v9, v21 :: v_dual_mul_f32 v21, v235, v139
	v_fmac_f32_e32 v39, v225, v128
	v_dual_fma_f32 v11, v224, v128, -v11 :: v_dual_add_f32 v7, v7, v37
	s_delay_alu instid0(VALU_DEP_3)
	v_dual_add_f32 v9, v9, v23 :: v_dual_mul_f32 v43, v228, v133
	s_wait_loadcnt_dscnt 0x904
	v_dual_mul_f32 v45, v230, v135 :: v_dual_mul_f32 v23, v237, v141
	v_fmac_f32_e32 v41, v227, v130
	v_dual_fma_f32 v13, v226, v130, -v13 :: v_dual_add_f32 v7, v7, v39
	v_dual_add_f32 v9, v9, v11 :: v_dual_fma_f32 v15, v228, v132, -v15
	v_dual_mul_f32 v11, v239, v143 :: v_dual_fmac_f32 v43, v229, v132
	s_delay_alu instid0(VALU_DEP_3) | instskip(NEXT) | instid1(VALU_DEP_3)
	v_dual_add_f32 v7, v7, v41 :: v_dual_fma_f32 v17, v230, v134, -v17
	v_dual_add_f32 v9, v9, v13 :: v_dual_fmac_f32 v45, v231, v134
	v_dual_mul_f32 v47, v232, v137 :: v_dual_mul_f32 v49, v234, v139
	s_wait_loadcnt_dscnt 0x803
	s_delay_alu instid0(VALU_DEP_3) | instskip(NEXT) | instid1(VALU_DEP_3)
	v_dual_mul_f32 v13, v241, v145 :: v_dual_add_f32 v7, v7, v43
	v_dual_add_f32 v9, v9, v15 :: v_dual_fma_f32 v19, v232, v136, -v19
	s_delay_alu instid0(VALU_DEP_3) | instskip(NEXT) | instid1(VALU_DEP_3)
	v_dual_mul_f32 v15, v243, v147 :: v_dual_fmac_f32 v47, v233, v136
	v_dual_add_f32 v7, v7, v45 :: v_dual_fma_f32 v21, v234, v138, -v21
	s_delay_alu instid0(VALU_DEP_3) | instskip(SKIP_2) | instid1(VALU_DEP_3)
	v_dual_add_f32 v9, v9, v17 :: v_dual_fmac_f32 v49, v235, v138
	v_dual_mul_f32 v51, v236, v141 :: v_dual_mul_f32 v53, v238, v143
	s_wait_loadcnt_dscnt 0x702
	v_dual_mul_f32 v17, v245, v149 :: v_dual_add_f32 v7, v7, v47
	s_delay_alu instid0(VALU_DEP_3) | instskip(NEXT) | instid1(VALU_DEP_3)
	v_dual_add_f32 v9, v9, v19 :: v_dual_fma_f32 v23, v236, v140, -v23
	v_dual_mul_f32 v19, v247, v151 :: v_dual_fmac_f32 v51, v237, v140
	s_delay_alu instid0(VALU_DEP_3) | instskip(NEXT) | instid1(VALU_DEP_3)
	v_dual_add_f32 v7, v7, v49 :: v_dual_fma_f32 v11, v238, v142, -v11
	v_dual_add_f32 v9, v9, v21 :: v_dual_fmac_f32 v53, v239, v142
	v_dual_mul_f32 v55, v240, v145 :: v_dual_mul_f32 v57, v242, v147
	s_wait_loadcnt_dscnt 0x601
	s_delay_alu instid0(VALU_DEP_3) | instskip(NEXT) | instid1(VALU_DEP_3)
	v_dual_mul_f32 v21, v249, v153 :: v_dual_add_f32 v7, v7, v51
	v_dual_add_f32 v9, v9, v23 :: v_dual_fma_f32 v13, v240, v144, -v13
	s_delay_alu instid0(VALU_DEP_3) | instskip(NEXT) | instid1(VALU_DEP_2)
	v_dual_mul_f32 v23, v251, v155 :: v_dual_fmac_f32 v55, v241, v144
	v_dual_add_f32 v7, v7, v53 :: v_dual_add_f32 v9, v9, v11
	v_dual_mul_f32 v59, v244, v149 :: v_dual_mul_f32 v61, v246, v151
	s_wait_loadcnt_dscnt 0x500
	v_dual_mul_f32 v11, v253, v157 :: v_dual_fmac_f32 v57, v243, v146
	s_delay_alu instid0(VALU_DEP_3) | instskip(SKIP_2) | instid1(VALU_DEP_2)
	v_dual_fma_f32 v15, v242, v146, -v15 :: v_dual_add_f32 v7, v7, v55
	v_dual_add_f32 v9, v9, v13 :: v_dual_mul_f32 v13, v255, v159
	v_dual_fmac_f32 v59, v245, v148 :: v_dual_fma_f32 v17, v244, v148, -v17
	v_dual_add_f32 v7, v7, v57 :: v_dual_add_f32 v9, v9, v15
	v_dual_mul_f32 v63, v248, v153 :: v_dual_mul_f32 v65, v250, v155
	v_dual_fmac_f32 v61, v247, v150 :: v_dual_fma_f32 v15, v246, v150, -v19
	s_delay_alu instid0(VALU_DEP_3) | instskip(SKIP_1) | instid1(VALU_DEP_3)
	v_dual_add_f32 v7, v7, v59 :: v_dual_add_f32 v9, v9, v17
	s_wait_loadcnt 0x4
	v_dual_mov_b32 v98, v163 :: v_dual_fmac_f32 v63, v249, v152
	s_delay_alu instid0(VALU_DEP_2) | instskip(NEXT) | instid1(VALU_DEP_3)
	v_dual_fma_f32 v17, v248, v152, -v21 :: v_dual_add_f32 v7, v7, v61
	v_dual_add_f32 v9, v9, v15 :: v_dual_fmac_f32 v65, v251, v154
	s_set_vgpr_msb 64                       ;  msbs: dst=1 src0=0 src1=0 src2=0
	v_dual_mul_f32 v11 /*v267*/, v252, v157 :: v_dual_mul_f32 v13 /*v269*/, v254, v159
	s_set_vgpr_msb 0                        ;  msbs: dst=0 src0=0 src1=0 src2=0
	v_dual_fma_f32 v15, v250, v154, -v23 :: v_dual_add_f32 v7, v7, v63
	s_wait_loadcnt 0x3
	v_dual_add_f32 v9, v9, v17 :: v_dual_mov_b32 v102, v167
	v_pk_mul_f32 v[96:97], v[176:177], v[160:161] op_sel:[1,1] op_sel_hi:[0,1]
	s_set_vgpr_msb 64                       ;  msbs: dst=1 src0=0 src1=0 src2=0
	v_dual_fmac_f32 v11 /*v267*/, v253, v156 :: v_dual_fmac_f32 v13 /*v269*/, v255, v158
	v_dual_fma_f32 v10 /*v266*/, v252, v156, -v11 :: v_dual_fma_f32 v12 /*v268*/, v254, v158, -v13
	s_set_vgpr_msb 0                        ;  msbs: dst=0 src0=0 src1=0 src2=0
	v_dual_add_f32 v105, v7, v65 :: v_dual_add_f32 v104, v9, v15
	v_pk_fma_f32 v[106:107], v[176:177], v[160:161], v[96:97] op_sel_hi:[1,0,1]
	s_set_vgpr_msb 1                        ;  msbs: dst=0 src0=1 src1=0 src2=0
	v_pk_mul_f32 v[98:99], v[2:3] /*v[258:259]*/, v[98:99] op_sel_hi:[1,0]
	s_set_vgpr_msb 0                        ;  msbs: dst=0 src0=0 src1=0 src2=0
	v_pk_fma_f32 v[96:97], v[176:177], v[160:161], v[96:97] neg_lo:[0,0,1] neg_hi:[0,0,1]
	v_pk_mul_f32 v[100:101], v[180:181], v[164:165] op_sel:[1,1] op_sel_hi:[0,1]
	s_set_vgpr_msb 4                        ;  msbs: dst=0 src0=0 src1=1 src2=0
	v_pk_add_f32 v[104:105], v[104:105], v[10:11] /*v[266:267]*/
	v_mov_b32_e32 v97, v107
	s_set_vgpr_msb 0                        ;  msbs: dst=0 src0=0 src1=0 src2=0
	v_pk_fma_f32 v[106:107], v[178:179], v[162:163], v[98:99] op_sel_hi:[1,0,1]
	v_pk_fma_f32 v[98:99], v[178:179], v[162:163], v[98:99] neg_lo:[0,0,1] neg_hi:[0,0,1]
	v_pk_fma_f32 v[110:111], v[180:181], v[164:165], v[100:101] op_sel_hi:[1,0,1]
	s_set_vgpr_msb 4                        ;  msbs: dst=0 src0=0 src1=1 src2=0
	v_pk_add_f32 v[104:105], v[104:105], v[12:13] /*v[268:269]*/
	s_set_vgpr_msb 1                        ;  msbs: dst=0 src0=1 src1=0 src2=0
	v_pk_mul_f32 v[102:103], v[4:5] /*v[260:261]*/, v[102:103] op_sel_hi:[1,0]
	s_set_vgpr_msb 0                        ;  msbs: dst=0 src0=0 src1=0 src2=0
	v_mov_b32_e32 v99, v107
	s_wait_loadcnt 0x2
	v_pk_mul_f32 v[108:109], v[192:193], v[168:169] op_sel:[1,1] op_sel_hi:[0,1]
	v_pk_fma_f32 v[100:101], v[180:181], v[164:165], v[100:101] neg_lo:[0,0,1] neg_hi:[0,0,1]
	v_pk_add_f32 v[96:97], v[104:105], v[96:97]
	v_dual_mov_b32 v104, v171 :: v_dual_mov_b32 v101, v111
	v_pk_fma_f32 v[106:107], v[182:183], v[166:167], v[102:103] op_sel_hi:[1,0,1]
	v_pk_fma_f32 v[102:103], v[182:183], v[166:167], v[102:103] neg_lo:[0,0,1] neg_hi:[0,0,1]
	s_delay_alu instid0(VALU_DEP_4)
	v_pk_add_f32 v[96:97], v[96:97], v[98:99]
	v_pk_fma_f32 v[98:99], v[192:193], v[168:169], v[108:109] op_sel_hi:[1,0,1]
	s_set_vgpr_msb 1                        ;  msbs: dst=0 src0=1 src1=0 src2=0
	v_pk_mul_f32 v[104:105], v[6:7] /*v[262:263]*/, v[104:105] op_sel_hi:[1,0]
	s_set_vgpr_msb 0                        ;  msbs: dst=0 src0=0 src1=0 src2=0
	v_mov_b32_e32 v103, v107
	v_pk_fma_f32 v[106:107], v[192:193], v[168:169], v[108:109] neg_lo:[0,0,1] neg_hi:[0,0,1]
	v_pk_add_f32 v[96:97], v[96:97], v[100:101]
	v_mov_b32_e32 v107, v99
	v_pk_fma_f32 v[98:99], v[194:195], v[170:171], v[104:105] op_sel_hi:[1,0,1]
	s_wait_loadcnt 0x1
	v_pk_mul_f32 v[100:101], v[196:197], v[172:173] op_sel:[1,1] op_sel_hi:[0,1]
	v_mov_b32_e32 v98, v175
	v_pk_add_f32 v[96:97], v[96:97], v[102:103]
	v_pk_fma_f32 v[104:105], v[194:195], v[170:171], v[104:105] neg_lo:[0,0,1] neg_hi:[0,0,1]
	v_mov_b32_e32 v105, v99
	v_pk_fma_f32 v[102:103], v[196:197], v[172:173], v[100:101] op_sel_hi:[1,0,1]
	s_set_vgpr_msb 1                        ;  msbs: dst=0 src0=1 src1=0 src2=0
	v_pk_mul_f32 v[98:99], v[8:9] /*v[264:265]*/, v[98:99] op_sel_hi:[1,0]
	s_set_vgpr_msb 0                        ;  msbs: dst=0 src0=0 src1=0 src2=0
	v_pk_add_f32 v[96:97], v[96:97], v[106:107]
	v_pk_fma_f32 v[100:101], v[196:197], v[172:173], v[100:101] neg_lo:[0,0,1] neg_hi:[0,0,1]
	v_mov_b32_e32 v101, v103
	v_pk_fma_f32 v[102:103], v[198:199], v[174:175], v[98:99] op_sel_hi:[1,0,1]
	s_delay_alu instid0(VALU_DEP_4) | instskip(SKIP_1) | instid1(VALU_DEP_3)
	v_pk_add_f32 v[96:97], v[96:97], v[104:105]
	v_pk_fma_f32 v[98:99], v[198:199], v[174:175], v[98:99] neg_lo:[0,0,1] neg_hi:[0,0,1]
	v_mov_b32_e32 v99, v103
	s_delay_alu instid0(VALU_DEP_3) | instskip(NEXT) | instid1(VALU_DEP_1)
	v_pk_add_f32 v[96:97], v[96:97], v[100:101]
	v_pk_add_f32 v[96:97], v[96:97], v[98:99]
	s_wait_loadcnt 0x0
	s_set_vgpr_msb 1                        ;  msbs: dst=0 src0=1 src1=0 src2=0
	s_delay_alu instid0(VALU_DEP_1)
	v_pk_add_f32 v[96:97], v[0:1] /*v[256:257]*/, v[96:97] neg_lo:[0,1] neg_hi:[0,1]
	scratch_store_b64 off, v[96:97], off offset:48
	s_wait_xcnt 0x0
	v_cmpx_lt_u32_e32 5, v0
	s_set_vgpr_msb 0                        ;  msbs: dst=0 src0=0 src1=0 src2=0
	s_cbranch_execz .LBB110_285
; %bb.284:
	scratch_load_b64 v[96:97], off, off offset:40
	v_mov_b64_e32 v[98:99], 0
	scratch_store_b64 off, v[98:99], off offset:40
	s_wait_loadcnt 0x0
	ds_store_b64 v1, v[96:97]
.LBB110_285:
	s_wait_xcnt 0x0
	s_or_b32 exec_lo, exec_lo, s0
	v_mov_b32_e32 v7, 0
	s_wait_storecnt_dscnt 0x0
	s_barrier_signal -1
	s_barrier_wait -1
	ds_load_b128 v[96:99], v7 offset:432
	ds_load_b128 v[100:103], v7 offset:448
	;; [unrolled: 1-line block ×4, first 2 shown]
	s_clause 0x10
	scratch_load_b128 v[112:115], off, off offset:48
	scratch_load_b128 v[116:119], off, off offset:64
	scratch_load_b128 v[212:215], off, off offset:272
	scratch_load_b128 v[220:223], off, off offset:288
	scratch_load_b128 v[120:123], off, off offset:80
	scratch_load_b128 v[124:127], off, off offset:96
	scratch_load_b128 v[228:231], off, off offset:304
	scratch_load_b128 v[132:135], off, off offset:112
	scratch_load_b128 v[140:143], off, off offset:128
	scratch_load_b128 v[148:151], off, off offset:144
	scratch_load_b128 v[156:159], off, off offset:160
	scratch_load_b128 v[164:167], off, off offset:176
	scratch_load_b128 v[172:175], off, off offset:192
	scratch_load_b128 v[180:183], off, off offset:208
	scratch_load_b128 v[188:191], off, off offset:224
	scratch_load_b128 v[196:199], off, off offset:240
	scratch_load_b128 v[204:207], off, off offset:256
	s_mov_b32 s0, exec_lo
	s_wait_loadcnt_dscnt 0x1003
	v_mul_f32_e32 v9, v96, v113
	ds_load_b128 v[208:211], v7 offset:656
	ds_load_b128 v[216:219], v7 offset:672
	;; [unrolled: 1-line block ×3, first 2 shown]
	v_dual_mul_f32 v11, v98, v115 :: v_dual_fmac_f32 v9, v97, v112
	ds_load_b128 v[128:131], v7 offset:496
	ds_load_b128 v[136:139], v7 offset:512
	;; [unrolled: 1-line block ×4, first 2 shown]
	v_dual_add_f32 v9, 0, v9 :: v_dual_fmac_f32 v11, v99, v114
	ds_load_b128 v[160:163], v7 offset:560
	ds_load_b128 v[168:171], v7 offset:576
	;; [unrolled: 1-line block ×4, first 2 shown]
	s_wait_loadcnt_dscnt 0xf0d
	v_dual_add_f32 v9, v9, v11 :: v_dual_mul_f32 v11, v100, v117
	ds_load_b128 v[192:195], v7 offset:624
	ds_load_b128 v[200:203], v7 offset:640
	s_clause 0x3
	scratch_load_b128 v[232:235], off, off offset:320
	scratch_load_b128 v[236:239], off, off offset:336
	;; [unrolled: 1-line block ×3, first 2 shown]
	scratch_load_b64 v[250:251], off, off offset:368
	s_wait_loadcnt_dscnt 0x110b
	v_dual_fmac_f32 v11, v101, v116 :: v_dual_mul_f32 v247, v218, v223
	s_wait_loadcnt_dscnt 0xe0a
	s_delay_alu instid0(VALU_DEP_1) | instskip(NEXT) | instid1(VALU_DEP_2)
	v_dual_mul_f32 v249, v224, v229 :: v_dual_add_f32 v9, v9, v11
	v_dual_mul_f32 v11, v102, v119 :: v_dual_fmac_f32 v247, v219, v222
	s_delay_alu instid0(VALU_DEP_1) | instskip(NEXT) | instid1(VALU_DEP_1)
	v_dual_fmac_f32 v249, v225, v228 :: v_dual_fmac_f32 v11, v103, v118
	v_dual_add_f32 v9, v9, v11 :: v_dual_mul_f32 v11, v104, v121
	s_delay_alu instid0(VALU_DEP_1) | instskip(NEXT) | instid1(VALU_DEP_1)
	v_fmac_f32_e32 v11, v105, v120
	v_add_f32_e32 v9, v9, v11
	v_mul_f32_e32 v11, v106, v123
	s_delay_alu instid0(VALU_DEP_1) | instskip(NEXT) | instid1(VALU_DEP_1)
	v_fmac_f32_e32 v11, v107, v122
	v_dual_add_f32 v9, v9, v11 :: v_dual_mul_f32 v11, v108, v125
	s_delay_alu instid0(VALU_DEP_1) | instskip(NEXT) | instid1(VALU_DEP_1)
	v_fmac_f32_e32 v11, v109, v124
	v_add_f32_e32 v9, v9, v11
	v_mul_f32_e32 v11, v110, v127
	s_delay_alu instid0(VALU_DEP_1) | instskip(SKIP_1) | instid1(VALU_DEP_1)
	v_fmac_f32_e32 v11, v111, v126
	s_wait_loadcnt_dscnt 0xd09
	v_dual_add_f32 v9, v9, v11 :: v_dual_mul_f32 v11, v128, v133
	s_delay_alu instid0(VALU_DEP_1) | instskip(NEXT) | instid1(VALU_DEP_1)
	v_fmac_f32_e32 v11, v129, v132
	v_add_f32_e32 v9, v9, v11
	v_mul_f32_e32 v11, v130, v135
	s_delay_alu instid0(VALU_DEP_1) | instskip(SKIP_1) | instid1(VALU_DEP_1)
	v_fmac_f32_e32 v11, v131, v134
	s_wait_loadcnt_dscnt 0xc08
	;; [unrolled: 8-line block ×10, first 2 shown]
	v_dual_add_f32 v9, v9, v11 :: v_dual_mul_f32 v11, v200, v205
	s_delay_alu instid0(VALU_DEP_1) | instskip(NEXT) | instid1(VALU_DEP_1)
	v_fmac_f32_e32 v11, v201, v204
	v_add_f32_e32 v9, v9, v11
	v_mul_f32_e32 v11, v202, v207
	s_delay_alu instid0(VALU_DEP_1) | instskip(NEXT) | instid1(VALU_DEP_1)
	v_fmac_f32_e32 v11, v203, v206
	v_dual_add_f32 v9, v9, v11 :: v_dual_mul_f32 v11, v208, v213
	s_delay_alu instid0(VALU_DEP_1) | instskip(NEXT) | instid1(VALU_DEP_1)
	v_fmac_f32_e32 v11, v209, v212
	v_add_f32_e32 v9, v9, v11
	v_mul_f32_e32 v11, v210, v215
	s_delay_alu instid0(VALU_DEP_1) | instskip(NEXT) | instid1(VALU_DEP_1)
	v_fmac_f32_e32 v11, v211, v214
	v_dual_add_f32 v9, v9, v11 :: v_dual_mul_f32 v11, v216, v221
	s_delay_alu instid0(VALU_DEP_1) | instskip(NEXT) | instid1(VALU_DEP_1)
	v_fmac_f32_e32 v11, v217, v220
	v_add_f32_e32 v245, v9, v11
	v_dual_mul_f32 v9, v97, v113 :: v_dual_mul_f32 v11, v99, v115
	s_delay_alu instid0(VALU_DEP_1) | instskip(NEXT) | instid1(VALU_DEP_2)
	v_dual_mov_b32 v113, v226 :: v_dual_fma_f32 v9, v96, v112, -v9
	v_dual_fma_f32 v11, v98, v114, -v11 :: v_dual_mov_b32 v112, v227
	s_delay_alu instid0(VALU_DEP_2) | instskip(NEXT) | instid1(VALU_DEP_1)
	v_dual_mov_b32 v114, v231 :: v_dual_add_f32 v9, 0, v9
	v_pk_mul_f32 v[112:113], v[112:113], v[114:115] op_sel_hi:[1,0]
	s_delay_alu instid0(VALU_DEP_2) | instskip(SKIP_1) | instid1(VALU_DEP_3)
	v_add_f32_e32 v9, v9, v11
	v_mul_f32_e32 v11, v101, v117
	v_pk_fma_f32 v[114:115], v[226:227], v[230:231], v[112:113] neg_lo:[0,0,1] neg_hi:[0,0,1]
	v_pk_fma_f32 v[112:113], v[226:227], v[230:231], v[112:113] op_sel_hi:[1,0,1]
	s_delay_alu instid0(VALU_DEP_1) | instskip(NEXT) | instid1(VALU_DEP_1)
	v_dual_fma_f32 v11, v100, v116, -v11 :: v_dual_mov_b32 v115, v113
	v_add_f32_e32 v9, v9, v11
	v_mul_f32_e32 v11, v103, v119
	s_delay_alu instid0(VALU_DEP_1) | instskip(NEXT) | instid1(VALU_DEP_1)
	v_fma_f32 v11, v102, v118, -v11
	v_add_f32_e32 v9, v9, v11
	v_mul_f32_e32 v11, v105, v121
	s_delay_alu instid0(VALU_DEP_1) | instskip(NEXT) | instid1(VALU_DEP_1)
	v_fma_f32 v11, v104, v120, -v11
	;; [unrolled: 4-line block ×3, first 2 shown]
	v_add_f32_e32 v9, v9, v11
	v_mul_f32_e32 v11, v109, v125
	s_delay_alu instid0(VALU_DEP_1)
	v_fma_f32 v11, v108, v124, -v11
	ds_load_b128 v[96:99], v7 offset:704
	ds_load_b128 v[100:103], v7 offset:720
	;; [unrolled: 1-line block ×3, first 2 shown]
	ds_load_b64 v[108:109], v7 offset:752
	v_add_f32_e32 v9, v9, v11
	v_mul_f32_e32 v11, v111, v127
	s_delay_alu instid0(VALU_DEP_1) | instskip(NEXT) | instid1(VALU_DEP_1)
	v_fma_f32 v11, v110, v126, -v11
	v_add_f32_e32 v9, v9, v11
	v_mul_f32_e32 v11, v129, v133
	s_wait_loadcnt_dscnt 0x303
	v_pk_mul_f32 v[112:113], v[96:97], v[232:233] op_sel:[1,1] op_sel_hi:[0,1]
	s_delay_alu instid0(VALU_DEP_2) | instskip(NEXT) | instid1(VALU_DEP_1)
	v_fma_f32 v11, v128, v132, -v11
	v_add_f32_e32 v9, v9, v11
	v_mul_f32_e32 v11, v131, v135
	s_delay_alu instid0(VALU_DEP_1) | instskip(NEXT) | instid1(VALU_DEP_1)
	v_fma_f32 v11, v130, v134, -v11
	v_add_f32_e32 v9, v9, v11
	v_mul_f32_e32 v11, v137, v141
	s_delay_alu instid0(VALU_DEP_1) | instskip(NEXT) | instid1(VALU_DEP_1)
	;; [unrolled: 4-line block ×23, first 2 shown]
	v_dual_fma_f32 v246, v218, v222, -v9 :: v_dual_mul_f32 v9, v225, v229
	v_pk_add_f32 v[110:111], v[244:245], v[246:247]
	s_delay_alu instid0(VALU_DEP_2) | instskip(NEXT) | instid1(VALU_DEP_1)
	v_fma_f32 v248, v224, v228, -v9
	v_pk_add_f32 v[110:111], v[110:111], v[248:249]
	s_delay_alu instid0(VALU_DEP_1) | instskip(SKIP_2) | instid1(VALU_DEP_1)
	v_pk_add_f32 v[110:111], v[110:111], v[114:115]
	v_pk_fma_f32 v[114:115], v[96:97], v[232:233], v[112:113] neg_lo:[0,0,1] neg_hi:[0,0,1]
	v_pk_fma_f32 v[96:97], v[96:97], v[232:233], v[112:113] op_sel_hi:[1,0,1]
	v_dual_mov_b32 v112, v235 :: v_dual_mov_b32 v115, v97
	s_delay_alu instid0(VALU_DEP_1) | instskip(SKIP_1) | instid1(VALU_DEP_1)
	v_pk_add_f32 v[96:97], v[110:111], v[114:115]
	v_dual_mov_b32 v110, v99 :: v_dual_mov_b32 v111, v98
	v_pk_mul_f32 v[110:111], v[110:111], v[112:113] op_sel_hi:[1,0]
	s_delay_alu instid0(VALU_DEP_1) | instskip(SKIP_1) | instid1(VALU_DEP_1)
	v_pk_fma_f32 v[112:113], v[98:99], v[234:235], v[110:111] neg_lo:[0,0,1] neg_hi:[0,0,1]
	v_pk_fma_f32 v[98:99], v[98:99], v[234:235], v[110:111] op_sel_hi:[1,0,1]
	v_mov_b32_e32 v113, v99
	s_wait_loadcnt_dscnt 0x202
	v_pk_mul_f32 v[98:99], v[100:101], v[236:237] op_sel:[1,1] op_sel_hi:[0,1]
	s_delay_alu instid0(VALU_DEP_2) | instskip(NEXT) | instid1(VALU_DEP_2)
	v_pk_add_f32 v[96:97], v[96:97], v[112:113]
	v_pk_fma_f32 v[110:111], v[100:101], v[236:237], v[98:99] neg_lo:[0,0,1] neg_hi:[0,0,1]
	v_pk_fma_f32 v[98:99], v[100:101], v[236:237], v[98:99] op_sel_hi:[1,0,1]
	v_dual_mov_b32 v98, v103 :: v_dual_mov_b32 v100, v239
	s_delay_alu instid0(VALU_DEP_2) | instskip(NEXT) | instid1(VALU_DEP_1)
	v_dual_mov_b32 v111, v99 :: v_dual_mov_b32 v99, v102
	v_pk_add_f32 v[96:97], v[96:97], v[110:111]
	s_delay_alu instid0(VALU_DEP_2) | instskip(NEXT) | instid1(VALU_DEP_1)
	v_pk_mul_f32 v[98:99], v[98:99], v[100:101] op_sel_hi:[1,0]
	v_pk_fma_f32 v[100:101], v[102:103], v[238:239], v[98:99] neg_lo:[0,0,1] neg_hi:[0,0,1]
	v_pk_fma_f32 v[98:99], v[102:103], v[238:239], v[98:99] op_sel_hi:[1,0,1]
	s_delay_alu instid0(VALU_DEP_1) | instskip(SKIP_2) | instid1(VALU_DEP_2)
	v_mov_b32_e32 v101, v99
	s_wait_loadcnt_dscnt 0x101
	v_pk_mul_f32 v[98:99], v[104:105], v[240:241] op_sel:[1,1] op_sel_hi:[0,1]
	v_pk_add_f32 v[96:97], v[96:97], v[100:101]
	s_delay_alu instid0(VALU_DEP_2) | instskip(SKIP_1) | instid1(VALU_DEP_1)
	v_pk_fma_f32 v[100:101], v[104:105], v[240:241], v[98:99] neg_lo:[0,0,1] neg_hi:[0,0,1]
	v_pk_fma_f32 v[98:99], v[104:105], v[240:241], v[98:99] op_sel_hi:[1,0,1]
	v_dual_mov_b32 v98, v107 :: v_dual_mov_b32 v101, v99
	v_mov_b32_e32 v99, v106
	s_delay_alu instid0(VALU_DEP_2) | instskip(SKIP_1) | instid1(VALU_DEP_1)
	v_pk_add_f32 v[96:97], v[96:97], v[100:101]
	v_mov_b32_e32 v100, v243
	v_pk_mul_f32 v[98:99], v[98:99], v[100:101] op_sel_hi:[1,0]
	s_delay_alu instid0(VALU_DEP_1) | instskip(SKIP_1) | instid1(VALU_DEP_1)
	v_pk_fma_f32 v[100:101], v[106:107], v[242:243], v[98:99] neg_lo:[0,0,1] neg_hi:[0,0,1]
	v_pk_fma_f32 v[98:99], v[106:107], v[242:243], v[98:99] op_sel_hi:[1,0,1]
	v_mov_b32_e32 v101, v99
	s_wait_loadcnt_dscnt 0x0
	v_pk_mul_f32 v[98:99], v[108:109], v[250:251] op_sel:[1,1] op_sel_hi:[0,1]
	s_delay_alu instid0(VALU_DEP_2) | instskip(NEXT) | instid1(VALU_DEP_2)
	v_pk_add_f32 v[96:97], v[96:97], v[100:101]
	v_pk_fma_f32 v[100:101], v[108:109], v[250:251], v[98:99] neg_lo:[0,0,1] neg_hi:[0,0,1]
	v_pk_fma_f32 v[98:99], v[108:109], v[250:251], v[98:99] op_sel_hi:[1,0,1]
	s_delay_alu instid0(VALU_DEP_1) | instskip(SKIP_3) | instid1(VALU_DEP_1)
	v_mov_b32_e32 v101, v99
	scratch_load_b64 v[98:99], off, off offset:40
	v_pk_add_f32 v[96:97], v[96:97], v[100:101]
	s_wait_loadcnt 0x0
	v_pk_add_f32 v[96:97], v[98:99], v[96:97] neg_lo:[0,1] neg_hi:[0,1]
	scratch_store_b64 off, v[96:97], off offset:40
	s_wait_xcnt 0x0
	v_cmpx_lt_u32_e32 4, v0
	s_cbranch_execz .LBB110_287
; %bb.286:
	scratch_load_b64 v[96:97], off, off offset:32
	v_mov_b64_e32 v[98:99], 0
	scratch_store_b64 off, v[98:99], off offset:32
	s_wait_loadcnt 0x0
	ds_store_b64 v1, v[96:97]
.LBB110_287:
	s_wait_xcnt 0x0
	s_or_b32 exec_lo, exec_lo, s0
	s_wait_storecnt_dscnt 0x0
	s_barrier_signal -1
	s_barrier_wait -1
	s_clause 0x10
	scratch_load_b128 v[100:103], off, off offset:40
	scratch_load_b128 v[108:111], off, off offset:56
	;; [unrolled: 1-line block ×17, first 2 shown]
	ds_load_2addr_b64 v[96:99], v7 offset0:53 offset1:54
	ds_load_2addr_b64 v[104:107], v7 offset0:55 offset1:56
	;; [unrolled: 1-line block ×17, first 2 shown]
	s_clause 0x3
	scratch_load_b128 v[232:235], off, off offset:312
	scratch_load_b128 v[236:239], off, off offset:328
	;; [unrolled: 1-line block ×4, first 2 shown]
	s_mov_b32 s0, exec_lo
	s_wait_loadcnt_dscnt 0x1410
	v_dual_mul_f32 v9, v96, v101 :: v_dual_mul_f32 v11, v98, v103
	s_wait_loadcnt_dscnt 0x120e
	v_dual_mul_f32 v251, v224, v229 :: v_dual_mul_f32 v253, v226, v231
	s_delay_alu instid0(VALU_DEP_2) | instskip(NEXT) | instid1(VALU_DEP_2)
	v_dual_fmac_f32 v9, v97, v100 :: v_dual_fmac_f32 v11, v99, v102
	v_dual_fmac_f32 v251, v225, v228 :: v_dual_fmac_f32 v253, v227, v230
	s_delay_alu instid0(VALU_DEP_2) | instskip(NEXT) | instid1(VALU_DEP_1)
	v_add_f32_e32 v9, 0, v9
	v_dual_add_f32 v9, v9, v11 :: v_dual_mul_f32 v11, v104, v109
	s_delay_alu instid0(VALU_DEP_1) | instskip(NEXT) | instid1(VALU_DEP_1)
	v_fmac_f32_e32 v11, v105, v108
	v_add_f32_e32 v9, v9, v11
	v_mul_f32_e32 v11, v106, v111
	s_delay_alu instid0(VALU_DEP_1) | instskip(SKIP_1) | instid1(VALU_DEP_1)
	v_fmac_f32_e32 v11, v107, v110
	s_wait_loadcnt_dscnt 0x110d
	v_dual_add_f32 v9, v9, v11 :: v_dual_mul_f32 v11, v112, v117
	s_delay_alu instid0(VALU_DEP_1) | instskip(NEXT) | instid1(VALU_DEP_1)
	v_fmac_f32_e32 v11, v113, v116
	v_add_f32_e32 v9, v9, v11
	v_mul_f32_e32 v11, v114, v119
	s_delay_alu instid0(VALU_DEP_1) | instskip(SKIP_1) | instid1(VALU_DEP_1)
	v_fmac_f32_e32 v11, v115, v118
	s_wait_loadcnt_dscnt 0x100c
	;; [unrolled: 8-line block ×14, first 2 shown]
	v_dual_add_f32 v9, v9, v11 :: v_dual_mul_f32 v11, v216, v221
	s_delay_alu instid0(VALU_DEP_1) | instskip(NEXT) | instid1(VALU_DEP_1)
	v_fmac_f32_e32 v11, v217, v220
	v_add_f32_e32 v9, v9, v11
	v_mul_f32_e32 v11, v218, v223
	s_delay_alu instid0(VALU_DEP_1) | instskip(NEXT) | instid1(VALU_DEP_1)
	v_fmac_f32_e32 v11, v219, v222
	v_add_f32_e32 v249, v9, v11
	v_dual_mul_f32 v9, v97, v101 :: v_dual_mul_f32 v11, v99, v103
	s_delay_alu instid0(VALU_DEP_1) | instskip(NEXT) | instid1(VALU_DEP_1)
	v_dual_fma_f32 v9, v96, v100, -v9 :: v_dual_fma_f32 v11, v98, v102, -v11
	v_add_f32_e32 v9, 0, v9
	s_delay_alu instid0(VALU_DEP_1) | instskip(SKIP_1) | instid1(VALU_DEP_1)
	v_add_f32_e32 v9, v9, v11
	v_mul_f32_e32 v11, v105, v109
	v_fma_f32 v11, v104, v108, -v11
	s_delay_alu instid0(VALU_DEP_1) | instskip(SKIP_1) | instid1(VALU_DEP_1)
	v_add_f32_e32 v9, v9, v11
	v_mul_f32_e32 v11, v107, v111
	v_fma_f32 v11, v106, v110, -v11
	ds_load_2addr_b64 v[96:99], v7 offset0:87 offset1:88
	ds_load_2addr_b64 v[100:103], v7 offset0:89 offset1:90
	;; [unrolled: 1-line block ×4, first 2 shown]
	v_add_f32_e32 v9, v9, v11
	v_mul_f32_e32 v11, v113, v117
	s_delay_alu instid0(VALU_DEP_1) | instskip(NEXT) | instid1(VALU_DEP_1)
	v_fma_f32 v11, v112, v116, -v11
	v_add_f32_e32 v9, v9, v11
	v_mul_f32_e32 v11, v115, v119
	s_delay_alu instid0(VALU_DEP_1) | instskip(SKIP_2) | instid1(VALU_DEP_2)
	v_fma_f32 v11, v114, v118, -v11
	s_wait_loadcnt_dscnt 0x303
	v_pk_mul_f32 v[114:115], v[96:97], v[232:233] op_sel:[1,1] op_sel_hi:[0,1]
	v_add_f32_e32 v9, v9, v11
	v_mul_f32_e32 v11, v121, v125
	s_delay_alu instid0(VALU_DEP_3) | instskip(SKIP_1) | instid1(VALU_DEP_3)
	v_pk_fma_f32 v[116:117], v[96:97], v[232:233], v[114:115] neg_lo:[0,0,1] neg_hi:[0,0,1]
	v_pk_fma_f32 v[96:97], v[96:97], v[232:233], v[114:115] op_sel_hi:[1,0,1]
	v_dual_mov_b32 v114, v235 :: v_dual_fma_f32 v11, v120, v124, -v11
	s_delay_alu instid0(VALU_DEP_2) | instskip(NEXT) | instid1(VALU_DEP_2)
	v_mov_b32_e32 v117, v97
	v_add_f32_e32 v9, v9, v11
	v_mul_f32_e32 v11, v123, v127
	s_delay_alu instid0(VALU_DEP_1) | instskip(NEXT) | instid1(VALU_DEP_1)
	v_fma_f32 v11, v122, v126, -v11
	v_add_f32_e32 v9, v9, v11
	v_mul_f32_e32 v11, v129, v133
	s_delay_alu instid0(VALU_DEP_1) | instskip(NEXT) | instid1(VALU_DEP_1)
	v_fma_f32 v11, v128, v132, -v11
	;; [unrolled: 4-line block ×25, first 2 shown]
	v_add_f32_e32 v248, v9, v11
	v_mul_f32_e32 v9, v225, v229
	s_delay_alu instid0(VALU_DEP_1) | instskip(NEXT) | instid1(VALU_DEP_1)
	v_dual_fma_f32 v250, v224, v228, -v9 :: v_dual_mul_f32 v9, v227, v231
	v_pk_add_f32 v[112:113], v[248:249], v[250:251]
	s_delay_alu instid0(VALU_DEP_2) | instskip(NEXT) | instid1(VALU_DEP_1)
	v_fma_f32 v252, v226, v230, -v9
	v_pk_add_f32 v[112:113], v[112:113], v[252:253]
	s_delay_alu instid0(VALU_DEP_1) | instskip(SKIP_1) | instid1(VALU_DEP_1)
	v_pk_add_f32 v[96:97], v[112:113], v[116:117]
	v_dual_mov_b32 v112, v99 :: v_dual_mov_b32 v113, v98
	v_pk_mul_f32 v[112:113], v[112:113], v[114:115] op_sel_hi:[1,0]
	s_delay_alu instid0(VALU_DEP_1) | instskip(SKIP_1) | instid1(VALU_DEP_1)
	v_pk_fma_f32 v[114:115], v[98:99], v[234:235], v[112:113] neg_lo:[0,0,1] neg_hi:[0,0,1]
	v_pk_fma_f32 v[98:99], v[98:99], v[234:235], v[112:113] op_sel_hi:[1,0,1]
	v_mov_b32_e32 v115, v99
	s_wait_loadcnt_dscnt 0x202
	v_pk_mul_f32 v[98:99], v[100:101], v[236:237] op_sel:[1,1] op_sel_hi:[0,1]
	s_delay_alu instid0(VALU_DEP_2) | instskip(NEXT) | instid1(VALU_DEP_2)
	v_pk_add_f32 v[96:97], v[96:97], v[114:115]
	v_pk_fma_f32 v[112:113], v[100:101], v[236:237], v[98:99] neg_lo:[0,0,1] neg_hi:[0,0,1]
	v_pk_fma_f32 v[98:99], v[100:101], v[236:237], v[98:99] op_sel_hi:[1,0,1]
	v_dual_mov_b32 v98, v103 :: v_dual_mov_b32 v100, v239
	s_delay_alu instid0(VALU_DEP_2) | instskip(NEXT) | instid1(VALU_DEP_1)
	v_dual_mov_b32 v113, v99 :: v_dual_mov_b32 v99, v102
	v_pk_add_f32 v[96:97], v[96:97], v[112:113]
	s_delay_alu instid0(VALU_DEP_2) | instskip(NEXT) | instid1(VALU_DEP_1)
	v_pk_mul_f32 v[98:99], v[98:99], v[100:101] op_sel_hi:[1,0]
	v_pk_fma_f32 v[100:101], v[102:103], v[238:239], v[98:99] neg_lo:[0,0,1] neg_hi:[0,0,1]
	v_pk_fma_f32 v[98:99], v[102:103], v[238:239], v[98:99] op_sel_hi:[1,0,1]
	s_delay_alu instid0(VALU_DEP_1) | instskip(SKIP_2) | instid1(VALU_DEP_2)
	v_mov_b32_e32 v101, v99
	s_wait_loadcnt_dscnt 0x101
	v_pk_mul_f32 v[98:99], v[104:105], v[240:241] op_sel:[1,1] op_sel_hi:[0,1]
	v_pk_add_f32 v[96:97], v[96:97], v[100:101]
	s_delay_alu instid0(VALU_DEP_2) | instskip(SKIP_1) | instid1(VALU_DEP_1)
	v_pk_fma_f32 v[100:101], v[104:105], v[240:241], v[98:99] neg_lo:[0,0,1] neg_hi:[0,0,1]
	v_pk_fma_f32 v[98:99], v[104:105], v[240:241], v[98:99] op_sel_hi:[1,0,1]
	v_dual_mov_b32 v98, v107 :: v_dual_mov_b32 v101, v99
	v_mov_b32_e32 v99, v106
	s_delay_alu instid0(VALU_DEP_2) | instskip(SKIP_1) | instid1(VALU_DEP_1)
	v_pk_add_f32 v[96:97], v[96:97], v[100:101]
	v_mov_b32_e32 v100, v243
	v_pk_mul_f32 v[98:99], v[98:99], v[100:101] op_sel_hi:[1,0]
	s_delay_alu instid0(VALU_DEP_1) | instskip(SKIP_1) | instid1(VALU_DEP_1)
	v_pk_fma_f32 v[100:101], v[106:107], v[242:243], v[98:99] neg_lo:[0,0,1] neg_hi:[0,0,1]
	v_pk_fma_f32 v[98:99], v[106:107], v[242:243], v[98:99] op_sel_hi:[1,0,1]
	v_mov_b32_e32 v101, v99
	s_wait_loadcnt_dscnt 0x0
	v_pk_mul_f32 v[98:99], v[108:109], v[244:245] op_sel:[1,1] op_sel_hi:[0,1]
	s_delay_alu instid0(VALU_DEP_2) | instskip(NEXT) | instid1(VALU_DEP_2)
	v_pk_add_f32 v[96:97], v[96:97], v[100:101]
	v_pk_fma_f32 v[100:101], v[108:109], v[244:245], v[98:99] neg_lo:[0,0,1] neg_hi:[0,0,1]
	v_pk_fma_f32 v[98:99], v[108:109], v[244:245], v[98:99] op_sel_hi:[1,0,1]
	s_delay_alu instid0(VALU_DEP_1) | instskip(SKIP_1) | instid1(VALU_DEP_2)
	v_dual_mov_b32 v98, v111 :: v_dual_mov_b32 v101, v99
	v_mov_b32_e32 v99, v110
	v_pk_add_f32 v[96:97], v[96:97], v[100:101]
	v_mov_b32_e32 v100, v247
	s_delay_alu instid0(VALU_DEP_1) | instskip(NEXT) | instid1(VALU_DEP_1)
	v_pk_mul_f32 v[98:99], v[98:99], v[100:101] op_sel_hi:[1,0]
	v_pk_fma_f32 v[100:101], v[110:111], v[246:247], v[98:99] neg_lo:[0,0,1] neg_hi:[0,0,1]
	v_pk_fma_f32 v[98:99], v[110:111], v[246:247], v[98:99] op_sel_hi:[1,0,1]
	s_delay_alu instid0(VALU_DEP_1) | instskip(SKIP_3) | instid1(VALU_DEP_1)
	v_mov_b32_e32 v101, v99
	scratch_load_b64 v[98:99], off, off offset:32
	v_pk_add_f32 v[96:97], v[96:97], v[100:101]
	s_wait_loadcnt 0x0
	v_pk_add_f32 v[96:97], v[98:99], v[96:97] neg_lo:[0,1] neg_hi:[0,1]
	scratch_store_b64 off, v[96:97], off offset:32
	s_wait_xcnt 0x0
	v_cmpx_lt_u32_e32 3, v0
	s_cbranch_execz .LBB110_289
; %bb.288:
	scratch_load_b64 v[96:97], off, off offset:24
	v_mov_b64_e32 v[98:99], 0
	scratch_store_b64 off, v[98:99], off offset:24
	s_wait_loadcnt 0x0
	ds_store_b64 v1, v[96:97]
.LBB110_289:
	s_wait_xcnt 0x0
	s_or_b32 exec_lo, exec_lo, s0
	v_mov_b32_e32 v7, 0
	s_wait_storecnt_dscnt 0x0
	s_barrier_signal -1
	s_barrier_wait -1
	ds_load_b128 v[96:99], v7 offset:416
	ds_load_b128 v[100:103], v7 offset:432
	;; [unrolled: 1-line block ×4, first 2 shown]
	s_clause 0x11
	scratch_load_b128 v[112:115], off, off offset:32
	scratch_load_b128 v[116:119], off, off offset:48
	;; [unrolled: 1-line block ×18, first 2 shown]
	s_mov_b32 s0, exec_lo
	s_wait_loadcnt_dscnt 0x1103
	v_mul_f32_e32 v9, v96, v113
	ds_load_b128 v[224:227], v7 offset:672
	ds_load_b128 v[232:235], v7 offset:688
	;; [unrolled: 1-line block ×4, first 2 shown]
	v_dual_fmac_f32 v9, v97, v112 :: v_dual_mul_f32 v11, v98, v115
	ds_load_b128 v[144:147], v7 offset:512
	ds_load_b128 v[152:155], v7 offset:528
	;; [unrolled: 1-line block ×4, first 2 shown]
	v_dual_add_f32 v9, 0, v9 :: v_dual_fmac_f32 v11, v99, v114
	ds_load_b128 v[176:179], v7 offset:576
	ds_load_b128 v[184:187], v7 offset:592
	;; [unrolled: 1-line block ×4, first 2 shown]
	s_wait_loadcnt_dscnt 0x100e
	v_dual_add_f32 v9, v9, v11 :: v_dual_mul_f32 v11, v100, v117
	ds_load_b128 v[208:211], v7 offset:640
	ds_load_b128 v[216:219], v7 offset:656
	s_wait_loadcnt_dscnt 0xf0d
	v_mul_f32_e32 v255, v226, v231
	s_clause 0x4
	scratch_load_b128 v[240:243], off, off offset:320
	scratch_load_b128 v[244:247], off, off offset:336
	;; [unrolled: 1-line block ×3, first 2 shown]
	s_set_vgpr_msb 64                       ;  msbs: dst=1 src0=0 src1=0 src2=0
	scratch_load_b64 v[2:3] /*v[258:259]*/, off, off offset:368
	s_set_vgpr_msb 0                        ;  msbs: dst=0 src0=0 src1=0 src2=0
	v_fmac_f32_e32 v11, v101, v116
	s_delay_alu instid0(VALU_DEP_1) | instskip(SKIP_1) | instid1(VALU_DEP_1)
	v_dual_fmac_f32 v255, v227, v230 :: v_dual_add_f32 v9, v9, v11
	v_mul_f32_e32 v11, v102, v119
	v_fmac_f32_e32 v11, v103, v118
	s_wait_loadcnt 0x11
	s_delay_alu instid0(VALU_DEP_1) | instskip(NEXT) | instid1(VALU_DEP_1)
	v_dual_add_f32 v9, v9, v11 :: v_dual_mul_f32 v11, v104, v121
	v_fmac_f32_e32 v11, v105, v120
	s_delay_alu instid0(VALU_DEP_1) | instskip(SKIP_1) | instid1(VALU_DEP_1)
	v_add_f32_e32 v9, v9, v11
	v_mul_f32_e32 v11, v106, v123
	v_fmac_f32_e32 v11, v107, v122
	s_wait_loadcnt 0x10
	s_delay_alu instid0(VALU_DEP_1) | instskip(NEXT) | instid1(VALU_DEP_1)
	v_dual_add_f32 v9, v9, v11 :: v_dual_mul_f32 v11, v108, v125
	v_fmac_f32_e32 v11, v109, v124
	s_delay_alu instid0(VALU_DEP_1) | instskip(SKIP_1) | instid1(VALU_DEP_1)
	v_add_f32_e32 v9, v9, v11
	v_mul_f32_e32 v11, v110, v127
	v_fmac_f32_e32 v11, v111, v126
	s_wait_loadcnt_dscnt 0xf0b
	s_delay_alu instid0(VALU_DEP_1) | instskip(NEXT) | instid1(VALU_DEP_1)
	v_dual_add_f32 v9, v9, v11 :: v_dual_mul_f32 v11, v128, v133
	v_fmac_f32_e32 v11, v129, v132
	s_delay_alu instid0(VALU_DEP_1) | instskip(SKIP_1) | instid1(VALU_DEP_1)
	v_add_f32_e32 v9, v9, v11
	v_mul_f32_e32 v11, v130, v135
	v_fmac_f32_e32 v11, v131, v134
	s_wait_loadcnt_dscnt 0xe0a
	s_delay_alu instid0(VALU_DEP_1) | instskip(NEXT) | instid1(VALU_DEP_1)
	v_dual_add_f32 v9, v9, v11 :: v_dual_mul_f32 v11, v136, v141
	v_fmac_f32_e32 v11, v137, v140
	s_delay_alu instid0(VALU_DEP_1) | instskip(SKIP_1) | instid1(VALU_DEP_1)
	v_add_f32_e32 v9, v9, v11
	v_mul_f32_e32 v11, v138, v143
	v_fmac_f32_e32 v11, v139, v142
	s_wait_loadcnt_dscnt 0xd09
	s_delay_alu instid0(VALU_DEP_1) | instskip(NEXT) | instid1(VALU_DEP_1)
	v_dual_add_f32 v9, v9, v11 :: v_dual_mul_f32 v11, v144, v149
	v_fmac_f32_e32 v11, v145, v148
	s_delay_alu instid0(VALU_DEP_1) | instskip(SKIP_1) | instid1(VALU_DEP_1)
	v_add_f32_e32 v9, v9, v11
	v_mul_f32_e32 v11, v146, v151
	v_fmac_f32_e32 v11, v147, v150
	s_wait_loadcnt_dscnt 0xc08
	s_delay_alu instid0(VALU_DEP_1) | instskip(NEXT) | instid1(VALU_DEP_1)
	v_dual_add_f32 v9, v9, v11 :: v_dual_mul_f32 v11, v152, v157
	v_fmac_f32_e32 v11, v153, v156
	s_delay_alu instid0(VALU_DEP_1) | instskip(SKIP_1) | instid1(VALU_DEP_1)
	v_add_f32_e32 v9, v9, v11
	v_mul_f32_e32 v11, v154, v159
	v_fmac_f32_e32 v11, v155, v158
	s_wait_loadcnt_dscnt 0xb07
	s_delay_alu instid0(VALU_DEP_1) | instskip(NEXT) | instid1(VALU_DEP_1)
	v_dual_add_f32 v9, v9, v11 :: v_dual_mul_f32 v11, v160, v165
	v_fmac_f32_e32 v11, v161, v164
	s_delay_alu instid0(VALU_DEP_1) | instskip(SKIP_1) | instid1(VALU_DEP_1)
	v_add_f32_e32 v9, v9, v11
	v_mul_f32_e32 v11, v162, v167
	v_fmac_f32_e32 v11, v163, v166
	s_wait_loadcnt_dscnt 0xa06
	s_delay_alu instid0(VALU_DEP_1) | instskip(NEXT) | instid1(VALU_DEP_1)
	v_dual_add_f32 v9, v9, v11 :: v_dual_mul_f32 v11, v168, v173
	v_fmac_f32_e32 v11, v169, v172
	s_delay_alu instid0(VALU_DEP_1) | instskip(SKIP_1) | instid1(VALU_DEP_1)
	v_add_f32_e32 v9, v9, v11
	v_mul_f32_e32 v11, v170, v175
	v_fmac_f32_e32 v11, v171, v174
	s_wait_loadcnt_dscnt 0x905
	s_delay_alu instid0(VALU_DEP_1) | instskip(NEXT) | instid1(VALU_DEP_1)
	v_dual_add_f32 v9, v9, v11 :: v_dual_mul_f32 v11, v176, v181
	v_fmac_f32_e32 v11, v177, v180
	s_delay_alu instid0(VALU_DEP_1) | instskip(SKIP_1) | instid1(VALU_DEP_1)
	v_add_f32_e32 v9, v9, v11
	v_mul_f32_e32 v11, v178, v183
	v_fmac_f32_e32 v11, v179, v182
	s_wait_loadcnt_dscnt 0x804
	s_delay_alu instid0(VALU_DEP_1) | instskip(NEXT) | instid1(VALU_DEP_1)
	v_dual_add_f32 v9, v9, v11 :: v_dual_mul_f32 v11, v184, v189
	v_fmac_f32_e32 v11, v185, v188
	s_delay_alu instid0(VALU_DEP_1) | instskip(SKIP_1) | instid1(VALU_DEP_1)
	v_add_f32_e32 v9, v9, v11
	v_mul_f32_e32 v11, v186, v191
	v_fmac_f32_e32 v11, v187, v190
	s_wait_loadcnt_dscnt 0x703
	s_delay_alu instid0(VALU_DEP_1) | instskip(NEXT) | instid1(VALU_DEP_1)
	v_dual_add_f32 v9, v9, v11 :: v_dual_mul_f32 v11, v192, v197
	v_fmac_f32_e32 v11, v193, v196
	s_delay_alu instid0(VALU_DEP_1) | instskip(SKIP_1) | instid1(VALU_DEP_1)
	v_add_f32_e32 v9, v9, v11
	v_mul_f32_e32 v11, v194, v199
	v_fmac_f32_e32 v11, v195, v198
	s_wait_loadcnt_dscnt 0x602
	s_delay_alu instid0(VALU_DEP_1) | instskip(NEXT) | instid1(VALU_DEP_1)
	v_dual_add_f32 v9, v9, v11 :: v_dual_mul_f32 v11, v200, v205
	v_fmac_f32_e32 v11, v201, v204
	s_delay_alu instid0(VALU_DEP_1) | instskip(SKIP_1) | instid1(VALU_DEP_1)
	v_add_f32_e32 v9, v9, v11
	v_mul_f32_e32 v11, v202, v207
	v_fmac_f32_e32 v11, v203, v206
	s_wait_loadcnt_dscnt 0x501
	s_delay_alu instid0(VALU_DEP_1) | instskip(NEXT) | instid1(VALU_DEP_1)
	v_dual_add_f32 v9, v9, v11 :: v_dual_mul_f32 v11, v208, v213
	v_fmac_f32_e32 v11, v209, v212
	s_delay_alu instid0(VALU_DEP_1) | instskip(SKIP_1) | instid1(VALU_DEP_1)
	v_add_f32_e32 v9, v9, v11
	v_mul_f32_e32 v11, v210, v215
	v_fmac_f32_e32 v11, v211, v214
	s_wait_loadcnt_dscnt 0x400
	s_delay_alu instid0(VALU_DEP_1) | instskip(NEXT) | instid1(VALU_DEP_1)
	v_dual_add_f32 v9, v9, v11 :: v_dual_mul_f32 v11, v216, v221
	v_fmac_f32_e32 v11, v217, v220
	s_delay_alu instid0(VALU_DEP_1) | instskip(SKIP_1) | instid1(VALU_DEP_1)
	v_add_f32_e32 v9, v9, v11
	v_mul_f32_e32 v11, v218, v223
	v_fmac_f32_e32 v11, v219, v222
	s_delay_alu instid0(VALU_DEP_1) | instskip(NEXT) | instid1(VALU_DEP_1)
	v_dual_add_f32 v9, v9, v11 :: v_dual_mul_f32 v11, v224, v229
	v_fmac_f32_e32 v11, v225, v228
	s_delay_alu instid0(VALU_DEP_1) | instskip(SKIP_1) | instid1(VALU_DEP_1)
	v_add_f32_e32 v253, v9, v11
	v_dual_mul_f32 v9, v97, v113 :: v_dual_mul_f32 v11, v99, v115
	v_dual_mov_b32 v113, v234 :: v_dual_fma_f32 v9, v96, v112, -v9
	s_delay_alu instid0(VALU_DEP_2) | instskip(NEXT) | instid1(VALU_DEP_2)
	v_dual_fma_f32 v11, v98, v114, -v11 :: v_dual_mov_b32 v112, v235
	v_dual_mov_b32 v114, v239 :: v_dual_add_f32 v9, 0, v9
	s_delay_alu instid0(VALU_DEP_1) | instskip(NEXT) | instid1(VALU_DEP_2)
	v_pk_mul_f32 v[112:113], v[112:113], v[114:115] op_sel_hi:[1,0]
	v_add_f32_e32 v9, v9, v11
	v_mul_f32_e32 v11, v101, v117
	s_delay_alu instid0(VALU_DEP_3) | instskip(SKIP_1) | instid1(VALU_DEP_1)
	v_pk_fma_f32 v[114:115], v[234:235], v[238:239], v[112:113] neg_lo:[0,0,1] neg_hi:[0,0,1]
	v_pk_fma_f32 v[112:113], v[234:235], v[238:239], v[112:113] op_sel_hi:[1,0,1]
	v_dual_fma_f32 v11, v100, v116, -v11 :: v_dual_mov_b32 v115, v113
	s_delay_alu instid0(VALU_DEP_1) | instskip(SKIP_1) | instid1(VALU_DEP_1)
	v_add_f32_e32 v9, v9, v11
	v_mul_f32_e32 v11, v103, v119
	v_fma_f32 v11, v102, v118, -v11
	s_delay_alu instid0(VALU_DEP_1) | instskip(SKIP_1) | instid1(VALU_DEP_1)
	v_add_f32_e32 v9, v9, v11
	v_mul_f32_e32 v11, v105, v121
	v_fma_f32 v11, v104, v120, -v11
	;; [unrolled: 4-line block ×4, first 2 shown]
	ds_load_b128 v[96:99], v7 offset:704
	ds_load_b128 v[100:103], v7 offset:720
	;; [unrolled: 1-line block ×3, first 2 shown]
	ds_load_b64 v[108:109], v7 offset:752
	v_add_f32_e32 v9, v9, v11
	v_mul_f32_e32 v11, v111, v127
	s_delay_alu instid0(VALU_DEP_1) | instskip(NEXT) | instid1(VALU_DEP_1)
	v_fma_f32 v11, v110, v126, -v11
	v_add_f32_e32 v9, v9, v11
	v_mul_f32_e32 v11, v129, v133
	s_wait_loadcnt_dscnt 0x303
	v_pk_mul_f32 v[112:113], v[96:97], v[240:241] op_sel:[1,1] op_sel_hi:[0,1]
	s_delay_alu instid0(VALU_DEP_2) | instskip(NEXT) | instid1(VALU_DEP_1)
	v_fma_f32 v11, v128, v132, -v11
	v_add_f32_e32 v9, v9, v11
	v_mul_f32_e32 v11, v131, v135
	s_delay_alu instid0(VALU_DEP_1) | instskip(NEXT) | instid1(VALU_DEP_1)
	v_fma_f32 v11, v130, v134, -v11
	v_add_f32_e32 v9, v9, v11
	v_mul_f32_e32 v11, v137, v141
	s_delay_alu instid0(VALU_DEP_1) | instskip(NEXT) | instid1(VALU_DEP_1)
	;; [unrolled: 4-line block ×24, first 2 shown]
	v_fma_f32 v11, v224, v228, -v11
	v_add_f32_e32 v252, v9, v11
	v_mul_f32_e32 v9, v227, v231
	s_delay_alu instid0(VALU_DEP_1) | instskip(SKIP_3) | instid1(VALU_DEP_2)
	v_dual_fma_f32 v254, v226, v230, -v9 :: v_dual_mul_f32 v9, v233, v237
	s_set_vgpr_msb 64                       ;  msbs: dst=1 src0=0 src1=0 src2=0
	v_mul_f32_e32 v1 /*v257*/, v232, v237
	s_set_vgpr_msb 0                        ;  msbs: dst=0 src0=0 src1=0 src2=0
	v_pk_add_f32 v[110:111], v[252:253], v[254:255]
	s_set_vgpr_msb 64                       ;  msbs: dst=1 src0=0 src1=0 src2=0
	v_fma_f32 v0 /*v256*/, v232, v236, -v9
	v_fmac_f32_e32 v1 /*v257*/, v233, v236
	s_set_vgpr_msb 4                        ;  msbs: dst=0 src0=0 src1=1 src2=0
	s_delay_alu instid0(VALU_DEP_1) | instskip(SKIP_1) | instid1(VALU_DEP_1)
	v_pk_add_f32 v[110:111], v[110:111], v[0:1] /*v[256:257]*/
	s_set_vgpr_msb 0                        ;  msbs: dst=0 src0=0 src1=0 src2=0
	v_pk_add_f32 v[110:111], v[110:111], v[114:115]
	v_pk_fma_f32 v[114:115], v[96:97], v[240:241], v[112:113] neg_lo:[0,0,1] neg_hi:[0,0,1]
	v_pk_fma_f32 v[96:97], v[96:97], v[240:241], v[112:113] op_sel_hi:[1,0,1]
	s_delay_alu instid0(VALU_DEP_1) | instskip(NEXT) | instid1(VALU_DEP_1)
	v_dual_mov_b32 v112, v243 :: v_dual_mov_b32 v115, v97
	v_pk_add_f32 v[96:97], v[110:111], v[114:115]
	v_dual_mov_b32 v110, v99 :: v_dual_mov_b32 v111, v98
	s_delay_alu instid0(VALU_DEP_1) | instskip(NEXT) | instid1(VALU_DEP_1)
	v_pk_mul_f32 v[110:111], v[110:111], v[112:113] op_sel_hi:[1,0]
	v_pk_fma_f32 v[112:113], v[98:99], v[242:243], v[110:111] neg_lo:[0,0,1] neg_hi:[0,0,1]
	v_pk_fma_f32 v[98:99], v[98:99], v[242:243], v[110:111] op_sel_hi:[1,0,1]
	s_delay_alu instid0(VALU_DEP_1) | instskip(SKIP_2) | instid1(VALU_DEP_2)
	v_mov_b32_e32 v113, v99
	s_wait_loadcnt_dscnt 0x202
	v_pk_mul_f32 v[98:99], v[100:101], v[244:245] op_sel:[1,1] op_sel_hi:[0,1]
	v_pk_add_f32 v[96:97], v[96:97], v[112:113]
	s_delay_alu instid0(VALU_DEP_2) | instskip(SKIP_2) | instid1(VALU_DEP_2)
	v_pk_fma_f32 v[110:111], v[100:101], v[244:245], v[98:99] neg_lo:[0,0,1] neg_hi:[0,0,1]
	v_pk_fma_f32 v[98:99], v[100:101], v[244:245], v[98:99] op_sel_hi:[1,0,1]
	v_dual_mov_b32 v98, v103 :: v_dual_mov_b32 v100, v247
	v_dual_mov_b32 v111, v99 :: v_dual_mov_b32 v99, v102
	s_delay_alu instid0(VALU_DEP_1) | instskip(NEXT) | instid1(VALU_DEP_2)
	v_pk_add_f32 v[96:97], v[96:97], v[110:111]
	v_pk_mul_f32 v[98:99], v[98:99], v[100:101] op_sel_hi:[1,0]
	s_delay_alu instid0(VALU_DEP_1) | instskip(SKIP_1) | instid1(VALU_DEP_1)
	v_pk_fma_f32 v[100:101], v[102:103], v[246:247], v[98:99] neg_lo:[0,0,1] neg_hi:[0,0,1]
	v_pk_fma_f32 v[98:99], v[102:103], v[246:247], v[98:99] op_sel_hi:[1,0,1]
	v_mov_b32_e32 v101, v99
	s_wait_loadcnt_dscnt 0x101
	v_pk_mul_f32 v[98:99], v[104:105], v[248:249] op_sel:[1,1] op_sel_hi:[0,1]
	s_delay_alu instid0(VALU_DEP_2) | instskip(NEXT) | instid1(VALU_DEP_2)
	v_pk_add_f32 v[96:97], v[96:97], v[100:101]
	v_pk_fma_f32 v[100:101], v[104:105], v[248:249], v[98:99] neg_lo:[0,0,1] neg_hi:[0,0,1]
	v_pk_fma_f32 v[98:99], v[104:105], v[248:249], v[98:99] op_sel_hi:[1,0,1]
	s_delay_alu instid0(VALU_DEP_1) | instskip(SKIP_1) | instid1(VALU_DEP_2)
	v_dual_mov_b32 v98, v107 :: v_dual_mov_b32 v101, v99
	v_mov_b32_e32 v99, v106
	v_pk_add_f32 v[96:97], v[96:97], v[100:101]
	v_mov_b32_e32 v100, v251
	s_delay_alu instid0(VALU_DEP_1) | instskip(NEXT) | instid1(VALU_DEP_1)
	v_pk_mul_f32 v[98:99], v[98:99], v[100:101] op_sel_hi:[1,0]
	v_pk_fma_f32 v[100:101], v[106:107], v[250:251], v[98:99] neg_lo:[0,0,1] neg_hi:[0,0,1]
	v_pk_fma_f32 v[98:99], v[106:107], v[250:251], v[98:99] op_sel_hi:[1,0,1]
	s_delay_alu instid0(VALU_DEP_1)
	v_mov_b32_e32 v101, v99
	s_wait_loadcnt_dscnt 0x0
	s_set_vgpr_msb 4                        ;  msbs: dst=0 src0=0 src1=1 src2=0
	v_pk_mul_f32 v[98:99], v[108:109], v[2:3] /*v[258:259]*/ op_sel:[1,1] op_sel_hi:[0,1]
	s_set_vgpr_msb 0                        ;  msbs: dst=0 src0=0 src1=0 src2=0
	v_pk_add_f32 v[96:97], v[96:97], v[100:101]
	s_set_vgpr_msb 4                        ;  msbs: dst=0 src0=0 src1=1 src2=0
	s_delay_alu instid0(VALU_DEP_2) | instskip(SKIP_1) | instid1(VALU_DEP_1)
	v_pk_fma_f32 v[100:101], v[108:109], v[2:3] /*v[258:259]*/, v[98:99] neg_lo:[0,0,1] neg_hi:[0,0,1]
	v_pk_fma_f32 v[98:99], v[108:109], v[2:3] /*v[258:259]*/, v[98:99] op_sel_hi:[1,0,1]
	v_mov_b32_e32 v101, v99
	scratch_load_b64 v[98:99], off, off offset:24
	s_set_vgpr_msb 0                        ;  msbs: dst=0 src0=0 src1=0 src2=0
	v_pk_add_f32 v[96:97], v[96:97], v[100:101]
	s_wait_loadcnt 0x0
	s_delay_alu instid0(VALU_DEP_1)
	v_pk_add_f32 v[96:97], v[98:99], v[96:97] neg_lo:[0,1] neg_hi:[0,1]
	scratch_store_b64 off, v[96:97], off offset:24
	s_wait_xcnt 0x0
	v_cmpx_lt_u32_e32 2, v0
	s_cbranch_execz .LBB110_291
; %bb.290:
	scratch_load_b64 v[96:97], off, off offset:16
	v_mov_b64_e32 v[98:99], 0
	scratch_store_b64 off, v[98:99], off offset:16
	s_wait_loadcnt 0x0
	ds_store_b64 v1, v[96:97]
.LBB110_291:
	s_wait_xcnt 0x0
	s_or_b32 exec_lo, exec_lo, s0
	s_wait_storecnt_dscnt 0x0
	s_barrier_signal -1
	s_barrier_wait -1
	s_clause 0xf
	scratch_load_b128 v[100:103], off, off offset:24
	scratch_load_b128 v[108:111], off, off offset:40
	;; [unrolled: 1-line block ×16, first 2 shown]
	ds_load_2addr_b64 v[96:99], v7 offset0:51 offset1:52
	ds_load_2addr_b64 v[104:107], v7 offset0:53 offset1:54
	s_clause 0x1
	scratch_load_b128 v[228:231], off, off offset:280
	scratch_load_b128 v[236:239], off, off offset:296
	ds_load_2addr_b64 v[112:115], v7 offset0:55 offset1:56
	ds_load_2addr_b64 v[120:123], v7 offset0:57 offset1:58
	;; [unrolled: 1-line block ×16, first 2 shown]
	s_clause 0x3
	scratch_load_b128 v[240:243], off, off offset:312
	scratch_load_b128 v[244:247], off, off offset:328
	;; [unrolled: 1-line block ×4, first 2 shown]
	s_mov_b32 s0, exec_lo
	s_wait_loadcnt_dscnt 0x1511
	v_dual_mul_f32 v9, v96, v101 :: v_dual_mul_f32 v11, v98, v103
	s_delay_alu instid0(VALU_DEP_1) | instskip(NEXT) | instid1(VALU_DEP_1)
	v_dual_fmac_f32 v9, v97, v100 :: v_dual_fmac_f32 v11, v99, v102
	v_add_f32_e32 v9, 0, v9
	s_wait_loadcnt_dscnt 0x1410
	s_delay_alu instid0(VALU_DEP_1)
	v_dual_add_f32 v9, v9, v11 :: v_dual_mul_f32 v11, v104, v109
	s_wait_loadcnt_dscnt 0x40a
	s_set_vgpr_msb 64                       ;  msbs: dst=1 src0=0 src1=0 src2=0
	v_dual_mul_f32 v3 /*v259*/, v232, v237 :: v_dual_mul_f32 v5 /*v261*/, v234, v239
	s_set_vgpr_msb 0                        ;  msbs: dst=0 src0=0 src1=0 src2=0
	v_fmac_f32_e32 v11, v105, v108
	s_set_vgpr_msb 64                       ;  msbs: dst=1 src0=0 src1=0 src2=0
	s_delay_alu instid0(VALU_DEP_2) | instskip(SKIP_1) | instid1(VALU_DEP_2)
	v_fmac_f32_e32 v3 /*v259*/, v233, v236
	s_set_vgpr_msb 0                        ;  msbs: dst=0 src0=0 src1=0 src2=0
	v_add_f32_e32 v9, v9, v11
	v_mul_f32_e32 v11, v106, v111
	s_delay_alu instid0(VALU_DEP_1) | instskip(NEXT) | instid1(VALU_DEP_1)
	v_fmac_f32_e32 v11, v107, v110
	v_dual_add_f32 v9, v9, v11 :: v_dual_mul_f32 v11, v112, v117
	s_delay_alu instid0(VALU_DEP_1) | instskip(NEXT) | instid1(VALU_DEP_1)
	v_fmac_f32_e32 v11, v113, v116
	v_add_f32_e32 v9, v9, v11
	v_mul_f32_e32 v11, v114, v119
	s_delay_alu instid0(VALU_DEP_1) | instskip(NEXT) | instid1(VALU_DEP_1)
	v_fmac_f32_e32 v11, v115, v118
	v_dual_add_f32 v9, v9, v11 :: v_dual_mul_f32 v11, v120, v125
	s_delay_alu instid0(VALU_DEP_1) | instskip(NEXT) | instid1(VALU_DEP_1)
	v_fmac_f32_e32 v11, v121, v124
	;; [unrolled: 7-line block ×4, first 2 shown]
	v_add_f32_e32 v9, v9, v11
	v_mul_f32_e32 v11, v138, v143
	s_delay_alu instid0(VALU_DEP_1) | instskip(SKIP_1) | instid1(VALU_DEP_1)
	v_fmac_f32_e32 v11, v139, v142
	s_wait_dscnt 0x9
	v_dual_add_f32 v9, v9, v11 :: v_dual_mul_f32 v11, v144, v149
	s_delay_alu instid0(VALU_DEP_1) | instskip(NEXT) | instid1(VALU_DEP_1)
	v_fmac_f32_e32 v11, v145, v148
	v_add_f32_e32 v9, v9, v11
	v_mul_f32_e32 v11, v146, v151
	s_delay_alu instid0(VALU_DEP_1) | instskip(SKIP_1) | instid1(VALU_DEP_1)
	v_fmac_f32_e32 v11, v147, v150
	s_wait_dscnt 0x8
	v_dual_add_f32 v9, v9, v11 :: v_dual_mul_f32 v11, v152, v157
	s_delay_alu instid0(VALU_DEP_1) | instskip(NEXT) | instid1(VALU_DEP_1)
	v_fmac_f32_e32 v11, v153, v156
	;; [unrolled: 8-line block ×10, first 2 shown]
	v_add_f32_e32 v9, v9, v11
	v_mul_f32_e32 v11, v218, v223
	s_delay_alu instid0(VALU_DEP_1) | instskip(NEXT) | instid1(VALU_DEP_1)
	v_fmac_f32_e32 v11, v219, v222
	v_dual_add_f32 v9, v9, v11 :: v_dual_mul_f32 v11, v224, v229
	s_delay_alu instid0(VALU_DEP_1) | instskip(NEXT) | instid1(VALU_DEP_1)
	v_fmac_f32_e32 v11, v225, v228
	v_add_f32_e32 v9, v9, v11
	v_mul_f32_e32 v11, v226, v231
	s_delay_alu instid0(VALU_DEP_1) | instskip(SKIP_1) | instid1(VALU_DEP_1)
	v_fmac_f32_e32 v11, v227, v230
	s_set_vgpr_msb 64                       ;  msbs: dst=1 src0=0 src1=0 src2=0
	v_add_f32_e32 v1 /*v257*/, v9, v11
	s_set_vgpr_msb 0                        ;  msbs: dst=0 src0=0 src1=0 src2=0
	v_dual_mul_f32 v9, v97, v101 :: v_dual_mul_f32 v11, v99, v103
	s_delay_alu instid0(VALU_DEP_1) | instskip(NEXT) | instid1(VALU_DEP_1)
	v_dual_fma_f32 v9, v96, v100, -v9 :: v_dual_fma_f32 v11, v98, v102, -v11
	v_add_f32_e32 v9, 0, v9
	s_delay_alu instid0(VALU_DEP_1) | instskip(SKIP_1) | instid1(VALU_DEP_1)
	v_add_f32_e32 v9, v9, v11
	v_mul_f32_e32 v11, v105, v109
	v_fma_f32 v11, v104, v108, -v11
	s_delay_alu instid0(VALU_DEP_1) | instskip(SKIP_1) | instid1(VALU_DEP_1)
	v_add_f32_e32 v9, v9, v11
	v_mul_f32_e32 v11, v107, v111
	v_fma_f32 v11, v106, v110, -v11
	ds_load_2addr_b64 v[96:99], v7 offset0:87 offset1:88
	ds_load_2addr_b64 v[100:103], v7 offset0:89 offset1:90
	;; [unrolled: 1-line block ×4, first 2 shown]
	v_add_f32_e32 v9, v9, v11
	v_mul_f32_e32 v11, v113, v117
	s_delay_alu instid0(VALU_DEP_1) | instskip(NEXT) | instid1(VALU_DEP_1)
	v_fma_f32 v11, v112, v116, -v11
	v_add_f32_e32 v9, v9, v11
	v_mul_f32_e32 v11, v115, v119
	s_delay_alu instid0(VALU_DEP_1) | instskip(SKIP_2) | instid1(VALU_DEP_2)
	v_fma_f32 v11, v114, v118, -v11
	s_wait_loadcnt_dscnt 0x303
	v_pk_mul_f32 v[114:115], v[96:97], v[240:241] op_sel:[1,1] op_sel_hi:[0,1]
	v_add_f32_e32 v9, v9, v11
	v_mul_f32_e32 v11, v121, v125
	s_delay_alu instid0(VALU_DEP_3) | instskip(SKIP_1) | instid1(VALU_DEP_3)
	v_pk_fma_f32 v[116:117], v[96:97], v[240:241], v[114:115] neg_lo:[0,0,1] neg_hi:[0,0,1]
	v_pk_fma_f32 v[96:97], v[96:97], v[240:241], v[114:115] op_sel_hi:[1,0,1]
	v_dual_mov_b32 v114, v243 :: v_dual_fma_f32 v11, v120, v124, -v11
	s_delay_alu instid0(VALU_DEP_2) | instskip(NEXT) | instid1(VALU_DEP_2)
	v_mov_b32_e32 v117, v97
	v_add_f32_e32 v9, v9, v11
	v_mul_f32_e32 v11, v123, v127
	s_delay_alu instid0(VALU_DEP_1) | instskip(NEXT) | instid1(VALU_DEP_1)
	v_fma_f32 v11, v122, v126, -v11
	v_add_f32_e32 v9, v9, v11
	v_mul_f32_e32 v11, v129, v133
	s_delay_alu instid0(VALU_DEP_1) | instskip(NEXT) | instid1(VALU_DEP_1)
	v_fma_f32 v11, v128, v132, -v11
	;; [unrolled: 4-line block ×26, first 2 shown]
	v_add_f32_e32 v9, v9, v11
	v_mul_f32_e32 v11, v227, v231
	s_delay_alu instid0(VALU_DEP_1) | instskip(SKIP_1) | instid1(VALU_DEP_1)
	v_fma_f32 v11, v226, v230, -v11
	s_set_vgpr_msb 64                       ;  msbs: dst=1 src0=0 src1=0 src2=0
	v_dual_fmac_f32 v5 /*v261*/, v235, v238 :: v_dual_add_f32 v0 /*v256*/, v9, v11
	s_set_vgpr_msb 0                        ;  msbs: dst=0 src0=0 src1=0 src2=0
	v_mul_f32_e32 v9, v233, v237
	s_set_vgpr_msb 64                       ;  msbs: dst=1 src0=0 src1=0 src2=0
	s_delay_alu instid0(VALU_DEP_1) | instskip(SKIP_3) | instid1(VALU_DEP_1)
	v_fma_f32 v2 /*v258*/, v232, v236, -v9
	s_set_vgpr_msb 0                        ;  msbs: dst=0 src0=0 src1=0 src2=0
	v_mul_f32_e32 v9, v235, v239
	s_set_vgpr_msb 64                       ;  msbs: dst=1 src0=0 src1=0 src2=0
	v_fma_f32 v4 /*v260*/, v234, v238, -v9
	s_set_vgpr_msb 5                        ;  msbs: dst=0 src0=1 src1=1 src2=0
	v_pk_add_f32 v[112:113], v[0:1] /*v[256:257]*/, v[2:3] /*v[258:259]*/
	s_set_vgpr_msb 4                        ;  msbs: dst=0 src0=0 src1=1 src2=0
	s_delay_alu instid0(VALU_DEP_1) | instskip(SKIP_1) | instid1(VALU_DEP_1)
	v_pk_add_f32 v[112:113], v[112:113], v[4:5] /*v[260:261]*/
	s_set_vgpr_msb 0                        ;  msbs: dst=0 src0=0 src1=0 src2=0
	v_pk_add_f32 v[96:97], v[112:113], v[116:117]
	v_dual_mov_b32 v112, v99 :: v_dual_mov_b32 v113, v98
	s_delay_alu instid0(VALU_DEP_1) | instskip(NEXT) | instid1(VALU_DEP_1)
	v_pk_mul_f32 v[112:113], v[112:113], v[114:115] op_sel_hi:[1,0]
	v_pk_fma_f32 v[114:115], v[98:99], v[242:243], v[112:113] neg_lo:[0,0,1] neg_hi:[0,0,1]
	v_pk_fma_f32 v[98:99], v[98:99], v[242:243], v[112:113] op_sel_hi:[1,0,1]
	s_delay_alu instid0(VALU_DEP_1) | instskip(SKIP_2) | instid1(VALU_DEP_2)
	v_mov_b32_e32 v115, v99
	s_wait_loadcnt_dscnt 0x202
	v_pk_mul_f32 v[98:99], v[100:101], v[244:245] op_sel:[1,1] op_sel_hi:[0,1]
	v_pk_add_f32 v[96:97], v[96:97], v[114:115]
	s_delay_alu instid0(VALU_DEP_2) | instskip(SKIP_2) | instid1(VALU_DEP_2)
	v_pk_fma_f32 v[112:113], v[100:101], v[244:245], v[98:99] neg_lo:[0,0,1] neg_hi:[0,0,1]
	v_pk_fma_f32 v[98:99], v[100:101], v[244:245], v[98:99] op_sel_hi:[1,0,1]
	v_dual_mov_b32 v98, v103 :: v_dual_mov_b32 v100, v247
	v_dual_mov_b32 v113, v99 :: v_dual_mov_b32 v99, v102
	s_delay_alu instid0(VALU_DEP_1) | instskip(NEXT) | instid1(VALU_DEP_2)
	v_pk_add_f32 v[96:97], v[96:97], v[112:113]
	v_pk_mul_f32 v[98:99], v[98:99], v[100:101] op_sel_hi:[1,0]
	s_delay_alu instid0(VALU_DEP_1) | instskip(SKIP_1) | instid1(VALU_DEP_1)
	v_pk_fma_f32 v[100:101], v[102:103], v[246:247], v[98:99] neg_lo:[0,0,1] neg_hi:[0,0,1]
	v_pk_fma_f32 v[98:99], v[102:103], v[246:247], v[98:99] op_sel_hi:[1,0,1]
	v_mov_b32_e32 v101, v99
	s_wait_loadcnt_dscnt 0x101
	v_pk_mul_f32 v[98:99], v[104:105], v[248:249] op_sel:[1,1] op_sel_hi:[0,1]
	s_delay_alu instid0(VALU_DEP_2) | instskip(NEXT) | instid1(VALU_DEP_2)
	v_pk_add_f32 v[96:97], v[96:97], v[100:101]
	v_pk_fma_f32 v[100:101], v[104:105], v[248:249], v[98:99] neg_lo:[0,0,1] neg_hi:[0,0,1]
	v_pk_fma_f32 v[98:99], v[104:105], v[248:249], v[98:99] op_sel_hi:[1,0,1]
	s_delay_alu instid0(VALU_DEP_1) | instskip(SKIP_1) | instid1(VALU_DEP_2)
	v_dual_mov_b32 v98, v107 :: v_dual_mov_b32 v101, v99
	v_mov_b32_e32 v99, v106
	v_pk_add_f32 v[96:97], v[96:97], v[100:101]
	v_mov_b32_e32 v100, v251
	s_delay_alu instid0(VALU_DEP_1) | instskip(NEXT) | instid1(VALU_DEP_1)
	v_pk_mul_f32 v[98:99], v[98:99], v[100:101] op_sel_hi:[1,0]
	v_pk_fma_f32 v[100:101], v[106:107], v[250:251], v[98:99] neg_lo:[0,0,1] neg_hi:[0,0,1]
	v_pk_fma_f32 v[98:99], v[106:107], v[250:251], v[98:99] op_sel_hi:[1,0,1]
	s_delay_alu instid0(VALU_DEP_1) | instskip(SKIP_2) | instid1(VALU_DEP_2)
	v_mov_b32_e32 v101, v99
	s_wait_loadcnt_dscnt 0x0
	v_pk_mul_f32 v[98:99], v[108:109], v[252:253] op_sel:[1,1] op_sel_hi:[0,1]
	v_pk_add_f32 v[96:97], v[96:97], v[100:101]
	s_delay_alu instid0(VALU_DEP_2) | instskip(SKIP_1) | instid1(VALU_DEP_1)
	v_pk_fma_f32 v[100:101], v[108:109], v[252:253], v[98:99] neg_lo:[0,0,1] neg_hi:[0,0,1]
	v_pk_fma_f32 v[98:99], v[108:109], v[252:253], v[98:99] op_sel_hi:[1,0,1]
	v_dual_mov_b32 v98, v111 :: v_dual_mov_b32 v101, v99
	v_mov_b32_e32 v99, v110
	s_delay_alu instid0(VALU_DEP_2) | instskip(SKIP_1) | instid1(VALU_DEP_1)
	v_pk_add_f32 v[96:97], v[96:97], v[100:101]
	v_mov_b32_e32 v100, v255
	v_pk_mul_f32 v[98:99], v[98:99], v[100:101] op_sel_hi:[1,0]
	s_delay_alu instid0(VALU_DEP_1) | instskip(SKIP_1) | instid1(VALU_DEP_1)
	v_pk_fma_f32 v[100:101], v[110:111], v[254:255], v[98:99] neg_lo:[0,0,1] neg_hi:[0,0,1]
	v_pk_fma_f32 v[98:99], v[110:111], v[254:255], v[98:99] op_sel_hi:[1,0,1]
	v_mov_b32_e32 v101, v99
	scratch_load_b64 v[98:99], off, off offset:16
	v_pk_add_f32 v[96:97], v[96:97], v[100:101]
	s_wait_loadcnt 0x0
	s_delay_alu instid0(VALU_DEP_1)
	v_pk_add_f32 v[96:97], v[98:99], v[96:97] neg_lo:[0,1] neg_hi:[0,1]
	scratch_store_b64 off, v[96:97], off offset:16
	s_wait_xcnt 0x0
	v_cmpx_lt_u32_e32 1, v0
	s_cbranch_execz .LBB110_293
; %bb.292:
	scratch_load_b64 v[96:97], off, off offset:8
	v_mov_b64_e32 v[98:99], 0
	scratch_store_b64 off, v[98:99], off offset:8
	s_wait_loadcnt 0x0
	ds_store_b64 v1, v[96:97]
.LBB110_293:
	s_wait_xcnt 0x0
	s_or_b32 exec_lo, exec_lo, s0
	s_wait_storecnt_dscnt 0x0
	s_barrier_signal -1
	s_barrier_wait -1
	s_clause 0x18
	scratch_load_b128 v[98:101], off, off offset:16
	scratch_load_b128 v[102:105], off, off offset:32
	;; [unrolled: 1-line block ×22, first 2 shown]
	s_set_vgpr_msb 64                       ;  msbs: dst=1 src0=0 src1=0 src2=0
	scratch_load_b64 v[18:19] /*v[274:275]*/, off, off offset:368
	scratch_load_b64 v[20:21] /*v[276:277]*/, off, off offset:8
	s_set_vgpr_msb 0                        ;  msbs: dst=0 src0=0 src1=0 src2=0
	v_dual_mov_b32 v96, 0 :: v_dual_ashrrev_i32 v51, 31, v50
	ds_load_b128 v[186:189], v96 offset:400
	ds_load_b128 v[190:193], v96 offset:416
	;; [unrolled: 1-line block ×18, first 2 shown]
	s_set_vgpr_msb 64                       ;  msbs: dst=1 src0=0 src1=0 src2=0
	ds_load_b128 v[2:5] /*v[258:261]*/, v96 offset:624
	ds_load_b128 v[6:9] /*v[262:265]*/, v96 offset:640
	ds_load_b128 v[10:13] /*v[266:269]*/, v96 offset:656
	ds_load_b128 v[14:17] /*v[270:273]*/, v96 offset:672
	ds_load_b64 v[22:23] /*v[278:279]*/, v96 offset:752
	s_wait_dscnt 0x14
	v_dual_mov_b32 v24 /*v280*/, v197 :: v_dual_mov_b32 v25 /*v281*/, v196
	s_wait_dscnt 0x11
	v_dual_mov_b32 v26 /*v282*/, v209 :: v_dual_mov_b32 v27 /*v283*/, v208
	;; [unrolled: 2-line block ×4, first 2 shown]
	s_set_vgpr_msb 0                        ;  msbs: dst=0 src0=0 src1=0 src2=0
	v_dual_ashrrev_i32 v7, 31, v6 :: v_dual_ashrrev_i32 v9, 31, v8
	v_dual_ashrrev_i32 v11, 31, v10 :: v_dual_ashrrev_i32 v13, 31, v12
	v_dual_ashrrev_i32 v15, 31, v14 :: v_dual_ashrrev_i32 v17, 31, v16
	v_dual_ashrrev_i32 v19, 31, v18 :: v_dual_ashrrev_i32 v21, 31, v20
	v_dual_ashrrev_i32 v23, 31, v22 :: v_dual_ashrrev_i32 v25, 31, v24
	v_dual_ashrrev_i32 v27, 31, v26 :: v_dual_ashrrev_i32 v29, 31, v28
	v_dual_ashrrev_i32 v31, 31, v30 :: v_dual_ashrrev_i32 v33, 31, v32
	v_dual_ashrrev_i32 v35, 31, v34 :: v_dual_ashrrev_i32 v37, 31, v36
	v_dual_ashrrev_i32 v39, 31, v38 :: v_dual_ashrrev_i32 v41, 31, v40
	v_dual_ashrrev_i32 v43, 31, v42 :: v_dual_ashrrev_i32 v45, 31, v44
	v_dual_ashrrev_i32 v47, 31, v46 :: v_dual_ashrrev_i32 v49, 31, v48
	v_dual_ashrrev_i32 v53, 31, v52 :: v_dual_ashrrev_i32 v55, 31, v54
	v_dual_ashrrev_i32 v57, 31, v56 :: v_dual_ashrrev_i32 v59, 31, v58
	v_dual_ashrrev_i32 v61, 31, v60 :: v_dual_ashrrev_i32 v63, 31, v62
	v_dual_ashrrev_i32 v65, 31, v64 :: v_dual_ashrrev_i32 v67, 31, v66
	v_dual_ashrrev_i32 v69, 31, v68 :: v_dual_ashrrev_i32 v71, 31, v70
	s_mov_b32 s0, exec_lo
	s_wait_loadcnt 0x17
	v_dual_mul_f32 v73, v186, v99 :: v_dual_mul_f32 v75, v188, v101
	v_dual_mul_f32 v77, v187, v99 :: v_dual_mul_f32 v79, v189, v101
	s_wait_loadcnt 0x16
	v_dual_mul_f32 v81, v190, v103 :: v_dual_mul_f32 v83, v192, v105
	s_delay_alu instid0(VALU_DEP_3)
	v_fmac_f32_e32 v73, v187, v98
	s_wait_loadcnt_dscnt 0xf0a
	s_set_vgpr_msb 64                       ;  msbs: dst=1 src0=0 src1=0 src2=0
	v_dual_mul_f32 v34 /*v290*/, v232, v129 :: v_dual_mul_f32 v35 /*v291*/, v234, v131
	s_set_vgpr_msb 0                        ;  msbs: dst=0 src0=0 src1=0 src2=0
	v_dual_mul_f32 v129, v233, v129 :: v_dual_fma_f32 v77, v186, v98, -v77
	v_dual_fmac_f32 v75, v189, v100 :: v_dual_add_f32 v73, 0, v73
	v_dual_mul_f32 v89, v191, v103 :: v_dual_mul_f32 v91, v193, v105
	s_wait_loadcnt_dscnt 0x904
	s_set_vgpr_msb 1                        ;  msbs: dst=0 src0=1 src1=0 src2=0
	v_mul_f32_e32 v98, v2 /*v258*/, v155
	s_set_vgpr_msb 0                        ;  msbs: dst=0 src0=0 src1=0 src2=0
	v_dual_fma_f32 v79, v188, v100, -v79 :: v_dual_add_f32 v77, 0, v77
	v_dual_fmac_f32 v81, v191, v102 :: v_dual_add_f32 v73, v73, v75
	v_dual_mul_f32 v85, v198, v107 :: v_dual_mul_f32 v87, v200, v109
	s_delay_alu instid0(VALU_DEP_3) | instskip(SKIP_1) | instid1(VALU_DEP_4)
	v_dual_fma_f32 v89, v190, v102, -v89 :: v_dual_add_f32 v75, v77, v79
	v_fmac_f32_e32 v83, v193, v104
	v_dual_fma_f32 v79, v192, v104, -v91 :: v_dual_add_f32 v73, v73, v81
	v_dual_mul_f32 v93, v199, v107 :: v_dual_mul_f32 v95, v201, v109
	s_delay_alu instid0(VALU_DEP_4) | instskip(NEXT) | instid1(VALU_DEP_3)
	v_add_f32_e32 v75, v75, v89
	v_dual_fmac_f32 v85, v199, v106 :: v_dual_add_f32 v73, v73, v83
	v_dual_mul_f32 v97, v202, v111 :: v_dual_mul_f32 v101, v204, v113
	s_delay_alu instid0(VALU_DEP_3) | instskip(SKIP_1) | instid1(VALU_DEP_4)
	v_dual_fma_f32 v89, v198, v106, -v93 :: v_dual_add_f32 v75, v75, v79
	v_fmac_f32_e32 v87, v201, v108
	v_dual_fma_f32 v83, v200, v108, -v95 :: v_dual_add_f32 v73, v73, v85
	v_dual_mul_f32 v99, v203, v111 :: v_dual_mul_f32 v107, v205, v113
	s_delay_alu instid0(VALU_DEP_4) | instskip(NEXT) | instid1(VALU_DEP_3)
	v_add_f32_e32 v75, v75, v89
	v_dual_fmac_f32 v97, v203, v110 :: v_dual_add_f32 v73, v73, v87
	v_dual_mul_f32 v103, v214, v115 :: v_dual_mul_f32 v105, v216, v117
	v_dual_mul_f32 v109, v215, v115 :: v_dual_mul_f32 v111, v217, v117
	s_delay_alu instid0(VALU_DEP_4) | instskip(SKIP_1) | instid1(VALU_DEP_4)
	v_dual_fma_f32 v89, v202, v110, -v99 :: v_dual_add_f32 v75, v75, v83
	v_dual_fmac_f32 v101, v205, v112 :: v_dual_fma_f32 v87, v204, v112, -v107
	v_dual_add_f32 v73, v73, v97 :: v_dual_fmac_f32 v103, v215, v114
	s_delay_alu instid0(VALU_DEP_3) | instskip(SKIP_1) | instid1(VALU_DEP_2)
	v_dual_add_f32 v75, v75, v89 :: v_dual_fma_f32 v89, v214, v114, -v109
	v_dual_mul_f32 v113, v218, v119 :: v_dual_mul_f32 v115, v220, v121
	v_dual_add_f32 v73, v73, v101 :: v_dual_add_f32 v75, v75, v87
	s_wait_loadcnt 0x5
	v_dual_mul_f32 v101, v194, v171 :: v_dual_fmac_f32 v105, v217, v116
	s_delay_alu instid0(VALU_DEP_2) | instskip(SKIP_2) | instid1(VALU_DEP_3)
	v_dual_fma_f32 v87, v216, v116, -v111 :: v_dual_add_f32 v73, v73, v103
	v_dual_mul_f32 v117, v219, v119 :: v_dual_mul_f32 v119, v221, v121
	v_add_f32_e32 v75, v75, v89
	v_dual_mul_f32 v89, v235, v131 :: v_dual_add_f32 v73, v73, v105
	v_dual_fmac_f32 v113, v219, v118 :: v_dual_mul_f32 v121, v226, v123
	s_delay_alu instid0(VALU_DEP_4) | instskip(NEXT) | instid1(VALU_DEP_4)
	v_dual_mul_f32 v123, v227, v123 :: v_dual_fma_f32 v91, v218, v118, -v117
	v_dual_add_f32 v75, v75, v87 :: v_dual_fmac_f32 v115, v221, v120
	v_dual_mul_f32 v87, v237, v133 :: v_dual_fma_f32 v93, v220, v120, -v119
	s_delay_alu instid0(VALU_DEP_4)
	v_add_f32_e32 v73, v73, v113
	s_set_vgpr_msb 64                       ;  msbs: dst=1 src0=0 src1=0 src2=0
	v_dual_mul_f32 v32 /*v288*/, v228, v125 :: v_dual_mul_f32 v33 /*v289*/, v230, v127
	s_set_vgpr_msb 0                        ;  msbs: dst=0 src0=0 src1=0 src2=0
	v_dual_mul_f32 v125, v229, v125 :: v_dual_mul_f32 v127, v231, v127
	v_dual_add_f32 v75, v75, v91 :: v_dual_fma_f32 v95, v226, v122, -v123
	v_dual_fmac_f32 v121, v227, v122 :: v_dual_add_f32 v73, v73, v115
	s_set_vgpr_msb 64                       ;  msbs: dst=1 src0=0 src1=0 src2=0
	v_dual_fmac_f32 v32 /*v288*/, v229, v124 :: v_dual_fmac_f32 v33 /*v289*/, v231, v126
	s_set_vgpr_msb 0                        ;  msbs: dst=0 src0=0 src1=0 src2=0
	v_dual_add_f32 v75, v75, v93 :: v_dual_fma_f32 v97, v228, v124, -v125
	v_add_f32_e32 v73, v73, v121
	s_set_vgpr_msb 64                       ;  msbs: dst=1 src0=0 src1=0 src2=0
	v_dual_fmac_f32 v34 /*v290*/, v233, v128 :: v_dual_fmac_f32 v35 /*v291*/, v235, v130
	s_set_vgpr_msb 0                        ;  msbs: dst=0 src0=0 src1=0 src2=0
	v_add_f32_e32 v75, v75, v95
	s_set_vgpr_msb 64                       ;  msbs: dst=1 src0=0 src1=0 src2=0
	v_dual_mul_f32 v36 /*v292*/, v236, v133 :: v_dual_mul_f32 v37 /*v293*/, v238, v135
	s_set_vgpr_msb 4                        ;  msbs: dst=0 src0=0 src1=1 src2=0
	v_add_f32_e32 v73, v73, v32 /*v288*/
	s_set_vgpr_msb 0                        ;  msbs: dst=0 src0=0 src1=0 src2=0
	v_dual_mul_f32 v95, v243, v139 :: v_dual_fma_f32 v102, v230, v126, -v127
	v_dual_add_f32 v75, v75, v97 :: v_dual_fma_f32 v103, v232, v128, -v129
	s_set_vgpr_msb 4                        ;  msbs: dst=0 src0=0 src1=1 src2=0
	v_add_f32_e32 v73, v73, v33 /*v289*/
	s_set_vgpr_msb 0                        ;  msbs: dst=0 src0=0 src1=0 src2=0
	v_mul_f32_e32 v97, v245, v141
	s_set_vgpr_msb 64                       ;  msbs: dst=1 src0=0 src1=0 src2=0
	v_dual_fmac_f32 v36 /*v292*/, v237, v132 :: v_dual_fmac_f32 v37 /*v293*/, v239, v134
	s_set_vgpr_msb 0                        ;  msbs: dst=0 src0=0 src1=0 src2=0
	v_add_f32_e32 v75, v75, v102
	s_set_vgpr_msb 4                        ;  msbs: dst=0 src0=0 src1=1 src2=0
	v_add_f32_e32 v73, v73, v34 /*v290*/
	s_set_vgpr_msb 64                       ;  msbs: dst=1 src0=0 src1=0 src2=0
	v_dual_mul_f32 v38 /*v294*/, v240, v137 :: v_dual_mul_f32 v39 /*v295*/, v242, v139
	s_set_vgpr_msb 0                        ;  msbs: dst=0 src0=0 src1=0 src2=0
	v_dual_mul_f32 v102, v247, v143 :: v_dual_fma_f32 v89, v234, v130, -v89
	s_set_vgpr_msb 4                        ;  msbs: dst=0 src0=0 src1=1 src2=0
	v_add_f32_e32 v73, v73, v35 /*v291*/
	s_set_vgpr_msb 0                        ;  msbs: dst=0 src0=0 src1=0 src2=0
	v_dual_add_f32 v75, v75, v103 :: v_dual_mul_f32 v103, v249, v145
	v_dual_mul_f32 v91, v239, v135 :: v_dual_mul_f32 v93, v241, v137
	s_set_vgpr_msb 4                        ;  msbs: dst=0 src0=0 src1=1 src2=0
	v_add_f32_e32 v73, v73, v36 /*v292*/
	s_set_vgpr_msb 0                        ;  msbs: dst=0 src0=0 src1=0 src2=0
	v_dual_fma_f32 v87, v236, v132, -v87 :: v_dual_add_f32 v75, v75, v89
	s_set_vgpr_msb 64                       ;  msbs: dst=1 src0=0 src1=0 src2=0
	v_dual_fmac_f32 v38 /*v294*/, v241, v136 :: v_dual_fmac_f32 v39 /*v295*/, v243, v138
	s_set_vgpr_msb 4                        ;  msbs: dst=0 src0=0 src1=1 src2=0
	v_add_f32_e32 v73, v73, v37 /*v293*/
	s_set_vgpr_msb 64                       ;  msbs: dst=1 src0=0 src1=0 src2=0
	v_dual_mul_f32 v40 /*v296*/, v244, v141 :: v_dual_mul_f32 v41 /*v297*/, v246, v143
	s_set_vgpr_msb 0                        ;  msbs: dst=0 src0=0 src1=0 src2=0
	v_dual_mul_f32 v89, v251, v147 :: v_dual_fma_f32 v91, v238, v134, -v91
	v_dual_add_f32 v75, v75, v87 :: v_dual_mul_f32 v87, v253, v149
	s_set_vgpr_msb 4                        ;  msbs: dst=0 src0=0 src1=1 src2=0
	v_add_f32_e32 v73, v73, v38 /*v294*/
	s_set_vgpr_msb 0                        ;  msbs: dst=0 src0=0 src1=0 src2=0
	v_fma_f32 v93, v240, v136, -v93
	s_set_vgpr_msb 64                       ;  msbs: dst=1 src0=0 src1=0 src2=0
	v_dual_fmac_f32 v40 /*v296*/, v245, v140 :: v_dual_fmac_f32 v41 /*v297*/, v247, v142
	s_set_vgpr_msb 0                        ;  msbs: dst=0 src0=0 src1=0 src2=0
	v_add_f32_e32 v75, v75, v91
	s_set_vgpr_msb 4                        ;  msbs: dst=0 src0=0 src1=1 src2=0
	v_add_f32_e32 v73, v73, v39 /*v295*/
	s_set_vgpr_msb 64                       ;  msbs: dst=1 src0=0 src1=0 src2=0
	v_dual_mul_f32 v42 /*v298*/, v248, v145 :: v_dual_mul_f32 v43 /*v299*/, v250, v147
	s_set_vgpr_msb 0                        ;  msbs: dst=0 src0=0 src1=0 src2=0
	v_dual_mul_f32 v91, v255, v151 :: v_dual_fma_f32 v95, v242, v138, -v95
	v_dual_add_f32 v75, v75, v93 :: v_dual_fma_f32 v97, v244, v140, -v97
	s_set_vgpr_msb 4                        ;  msbs: dst=0 src0=0 src1=1 src2=0
	v_add_f32_e32 v73, v73, v40 /*v296*/
	s_set_vgpr_msb 64                       ;  msbs: dst=1 src0=0 src1=0 src2=0
	v_dual_fmac_f32 v42 /*v298*/, v249, v144 :: v_dual_fmac_f32 v43 /*v299*/, v251, v146
	s_set_vgpr_msb 0                        ;  msbs: dst=0 src0=0 src1=0 src2=0
	v_dual_add_f32 v75, v75, v95 :: v_dual_fma_f32 v102, v246, v142, -v102
	s_set_vgpr_msb 4                        ;  msbs: dst=0 src0=0 src1=1 src2=0
	v_add_f32_e32 v73, v73, v41 /*v297*/
	s_set_vgpr_msb 64                       ;  msbs: dst=1 src0=0 src1=0 src2=0
	v_dual_mul_f32 v44 /*v300*/, v252, v149 :: v_dual_mul_f32 v45 /*v301*/, v254, v151
	s_set_vgpr_msb 0                        ;  msbs: dst=0 src0=0 src1=0 src2=0
	v_dual_add_f32 v75, v75, v97 :: v_dual_fma_f32 v103, v248, v144, -v103
	s_set_vgpr_msb 4                        ;  msbs: dst=0 src0=0 src1=1 src2=0
	v_add_f32_e32 v73, v73, v42 /*v298*/
	s_set_vgpr_msb 64                       ;  msbs: dst=1 src0=0 src1=0 src2=0
	v_dual_fmac_f32 v44 /*v300*/, v253, v148 :: v_dual_fmac_f32 v45 /*v301*/, v255, v150
	s_set_vgpr_msb 0                        ;  msbs: dst=0 src0=0 src1=0 src2=0
	v_dual_add_f32 v75, v75, v102 :: v_dual_fma_f32 v87, v252, v148, -v87
	s_set_vgpr_msb 4                        ;  msbs: dst=0 src0=0 src1=1 src2=0
	v_add_f32_e32 v73, v73, v43 /*v299*/
	s_set_vgpr_msb 0x41                     ;  msbs: dst=1 src0=1 src1=0 src2=0
	v_mul_f32_e32 v46 /*v302*/, v0 /*v256*/, v153
	s_set_vgpr_msb 0                        ;  msbs: dst=0 src0=0 src1=0 src2=0
	v_dual_fma_f32 v89, v250, v146, -v89 :: v_dual_add_f32 v75, v75, v103
	s_wait_dscnt 0x1
	s_set_vgpr_msb 1                        ;  msbs: dst=0 src0=1 src1=0 src2=0
	v_dual_mul_f32 v99, v16 /*v272*/, v169 :: v_dual_mul_f32 v95, v3 /*v259*/, v155
	s_set_vgpr_msb 4                        ;  msbs: dst=0 src0=0 src1=1 src2=0
	v_add_f32_e32 v73, v73, v44 /*v300*/
	s_set_vgpr_msb 0x41                     ;  msbs: dst=1 src0=1 src1=0 src2=0
	v_fmac_f32_e32 v46 /*v302*/, v1 /*v257*/, v152
	s_set_vgpr_msb 0                        ;  msbs: dst=0 src0=0 src1=0 src2=0
	v_dual_add_f32 v75, v75, v89 :: v_dual_fma_f32 v91, v254, v150, -v91
	s_set_vgpr_msb 1                        ;  msbs: dst=0 src0=1 src1=0 src2=0
	v_dual_mul_f32 v100, v4 /*v260*/, v157 :: v_dual_mul_f32 v77, v6 /*v262*/, v159
	s_set_vgpr_msb 4                        ;  msbs: dst=0 src0=0 src1=1 src2=0
	v_add_f32_e32 v73, v73, v45 /*v301*/
	s_set_vgpr_msb 1                        ;  msbs: dst=0 src0=1 src1=0 src2=0
	v_dual_mul_f32 v93, v1 /*v257*/, v153 :: v_dual_mul_f32 v102, v7 /*v263*/, v159
	v_dual_fmac_f32 v98, v3 /*v259*/, v154 :: v_dual_fma_f32 v95, v2 /*v258*/, v154, -v95
	s_set_vgpr_msb 4                        ;  msbs: dst=0 src0=0 src1=1 src2=0
	v_add_f32_e32 v73, v73, v46 /*v302*/
	s_set_vgpr_msb 0                        ;  msbs: dst=0 src0=0 src1=0 src2=0
	v_add_f32_e32 v75, v75, v87
	s_set_vgpr_msb 1                        ;  msbs: dst=0 src0=1 src1=0 src2=0
	v_dual_mul_f32 v103, v9 /*v265*/, v161 :: v_dual_fma_f32 v93, v0 /*v256*/, v152, -v93
	v_dual_fmac_f32 v100, v5 /*v261*/, v156 :: v_dual_fmac_f32 v77, v7 /*v263*/, v158
	s_set_vgpr_msb 0                        ;  msbs: dst=0 src0=0 src1=0 src2=0
	v_dual_add_f32 v73, v73, v98 :: v_dual_add_f32 v75, v75, v91
	s_set_vgpr_msb 1                        ;  msbs: dst=0 src0=1 src1=0 src2=0
	v_dual_mul_f32 v81, v8 /*v264*/, v161 :: v_dual_mul_f32 v79, v10 /*v266*/, v163
	v_dual_mul_f32 v97, v5 /*v261*/, v157 :: v_dual_mul_f32 v89, v11 /*v267*/, v163
	s_set_vgpr_msb 0                        ;  msbs: dst=0 src0=0 src1=0 src2=0
	v_dual_add_f32 v73, v73, v100 :: v_dual_add_f32 v75, v75, v93
	v_mov_b32_e32 v100, v173
	s_set_vgpr_msb 1                        ;  msbs: dst=0 src0=1 src1=0 src2=0
	v_dual_mul_f32 v93, v17 /*v273*/, v169 :: v_dual_fma_f32 v97, v4 /*v260*/, v156, -v97
	v_dual_fma_f32 v98, v6 /*v262*/, v158, -v102 :: v_dual_fmac_f32 v81, v9 /*v265*/, v160
	s_set_vgpr_msb 0                        ;  msbs: dst=0 src0=0 src1=0 src2=0
	v_dual_add_f32 v75, v75, v95 :: v_dual_add_f32 v73, v73, v77
	s_set_vgpr_msb 1                        ;  msbs: dst=0 src0=1 src1=0 src2=0
	v_dual_mul_f32 v85, v12 /*v268*/, v165 :: v_dual_mul_f32 v83, v14 /*v270*/, v167
	s_set_vgpr_msb 0                        ;  msbs: dst=0 src0=0 src1=0 src2=0
	v_mul_f32_e32 v95, v195, v171
	s_wait_loadcnt 0x4
	v_dual_add_f32 v75, v75, v97 :: v_dual_mov_b32 v104, v177
	s_set_vgpr_msb 1                        ;  msbs: dst=0 src0=1 src1=0 src2=0
	v_dual_fmac_f32 v79, v11 /*v267*/, v162 :: v_dual_fmac_f32 v85, v13 /*v269*/, v164
	s_set_vgpr_msb 0                        ;  msbs: dst=0 src0=0 src1=0 src2=0
	v_add_f32_e32 v73, v73, v81
	s_set_vgpr_msb 1                        ;  msbs: dst=0 src0=1 src1=0 src2=0
	v_dual_fma_f32 v97, v8 /*v264*/, v160, -v103 :: v_dual_fma_f32 v77, v10 /*v266*/, v162, -v89
	s_set_vgpr_msb 0                        ;  msbs: dst=0 src0=0 src1=0 src2=0
	v_add_f32_e32 v75, v75, v98
	s_set_vgpr_msb 1                        ;  msbs: dst=0 src0=1 src1=0 src2=0
	v_dual_mul_f32 v87, v13 /*v269*/, v165 :: v_dual_mul_f32 v91, v15 /*v271*/, v167
	s_set_vgpr_msb 0                        ;  msbs: dst=0 src0=0 src1=0 src2=0
	v_add_f32_e32 v73, v73, v79
	s_set_vgpr_msb 1                        ;  msbs: dst=0 src0=1 src1=0 src2=0
	v_dual_fmac_f32 v83, v15 /*v271*/, v166 :: v_dual_fma_f32 v98, v16 /*v272*/, v168, -v93
	v_pk_mul_f32 v[108:109], v[24:25] /*v[280:281]*/, v[100:101] op_sel_hi:[1,0]
	s_set_vgpr_msb 0                        ;  msbs: dst=0 src0=0 src1=0 src2=0
	v_dual_fmac_f32 v101, v195, v170 :: v_dual_add_f32 v73, v73, v85
	v_add_f32_e32 v75, v75, v97
	s_set_vgpr_msb 1                        ;  msbs: dst=0 src0=1 src1=0 src2=0
	v_fma_f32 v81, v12 /*v268*/, v164, -v87
	s_wait_loadcnt 0x3
	s_set_vgpr_msb 0                        ;  msbs: dst=0 src0=0 src1=0 src2=0
	v_mov_b32_e32 v112, v181
	s_set_vgpr_msb 1                        ;  msbs: dst=0 src0=1 src1=0 src2=0
	v_dual_fmac_f32 v99, v17 /*v273*/, v168 :: v_dual_ashrrev_i32 v79, 31, v78
	s_set_vgpr_msb 0                        ;  msbs: dst=0 src0=0 src1=0 src2=0
	v_dual_add_f32 v111, v73, v83 :: v_dual_add_f32 v75, v75, v77
	s_set_vgpr_msb 1                        ;  msbs: dst=0 src0=1 src1=0 src2=0
	v_dual_fma_f32 v77, v14 /*v270*/, v166, -v91 :: v_dual_ashrrev_i32 v73, 31, v72
	s_set_vgpr_msb 0                        ;  msbs: dst=0 src0=0 src1=0 src2=0
	v_fma_f32 v100, v194, v170, -v95
	v_pk_mul_f32 v[102:103], v[206:207], v[174:175] op_sel:[1,1] op_sel_hi:[0,1]
	v_add_f32_e32 v75, v75, v81
	v_pk_fma_f32 v[114:115], v[196:197], v[172:173], v[108:109] op_sel_hi:[1,0,1]
	v_pk_fma_f32 v[108:109], v[196:197], v[172:173], v[108:109] neg_lo:[0,0,1] neg_hi:[0,0,1]
	s_set_vgpr_msb 1                        ;  msbs: dst=0 src0=1 src1=0 src2=0
	v_pk_mul_f32 v[104:105], v[26:27] /*v[282:283]*/, v[104:105] op_sel_hi:[1,0]
	s_set_vgpr_msb 0                        ;  msbs: dst=0 src0=0 src1=0 src2=0
	v_pk_mul_f32 v[106:107], v[210:211], v[178:179] op_sel:[1,1] op_sel_hi:[0,1]
	v_add_f32_e32 v110, v75, v77
	v_mov_b32_e32 v109, v115
	s_set_vgpr_msb 1                        ;  msbs: dst=0 src0=1 src1=0 src2=0
	v_pk_mul_f32 v[112:113], v[28:29] /*v[284:285]*/, v[112:113] op_sel_hi:[1,0]
	v_dual_ashrrev_i32 v75, 31, v74 :: v_dual_ashrrev_i32 v81, 31, v80
	v_ashrrev_i32_e32 v83, 31, v82
	s_set_vgpr_msb 0                        ;  msbs: dst=0 src0=0 src1=0 src2=0
	v_pk_add_f32 v[98:99], v[110:111], v[98:99]
	v_pk_fma_f32 v[110:111], v[206:207], v[174:175], v[102:103] op_sel_hi:[1,0,1]
	v_pk_fma_f32 v[102:103], v[206:207], v[174:175], v[102:103] neg_lo:[0,0,1] neg_hi:[0,0,1]
	v_dual_ashrrev_i32 v85, 31, v84 :: v_dual_ashrrev_i32 v87, 31, v86
	s_delay_alu instid0(VALU_DEP_4) | instskip(NEXT) | instid1(VALU_DEP_4)
	v_pk_add_f32 v[98:99], v[98:99], v[100:101]
	v_mov_b32_e32 v103, v111
	v_pk_fma_f32 v[110:111], v[208:209], v[176:177], v[104:105] op_sel_hi:[1,0,1]
	v_pk_fma_f32 v[104:105], v[208:209], v[176:177], v[104:105] neg_lo:[0,0,1] neg_hi:[0,0,1]
	s_wait_loadcnt 0x2
	v_pk_mul_f32 v[100:101], v[222:223], v[182:183] op_sel:[1,1] op_sel_hi:[0,1]
	v_pk_add_f32 v[98:99], v[98:99], v[108:109]
	v_pk_fma_f32 v[108:109], v[210:211], v[178:179], v[106:107] op_sel_hi:[1,0,1]
	v_mov_b32_e32 v105, v111
	v_pk_fma_f32 v[106:107], v[210:211], v[178:179], v[106:107] neg_lo:[0,0,1] neg_hi:[0,0,1]
	v_pk_fma_f32 v[110:111], v[212:213], v[180:181], v[112:113] neg_lo:[0,0,1] neg_hi:[0,0,1]
	v_pk_add_f32 v[98:99], v[98:99], v[102:103]
	v_dual_mov_b32 v102, v185 :: v_dual_mov_b32 v107, v109
	v_pk_fma_f32 v[108:109], v[212:213], v[180:181], v[112:113] op_sel_hi:[1,0,1]
	v_dual_ashrrev_i32 v89, 31, v88 :: v_dual_ashrrev_i32 v91, 31, v90
	s_delay_alu instid0(VALU_DEP_4)
	v_pk_add_f32 v[98:99], v[98:99], v[104:105]
	v_pk_fma_f32 v[104:105], v[222:223], v[182:183], v[100:101] op_sel_hi:[1,0,1]
	s_set_vgpr_msb 1                        ;  msbs: dst=0 src0=1 src1=0 src2=0
	v_pk_mul_f32 v[102:103], v[30:31] /*v[286:287]*/, v[102:103] op_sel_hi:[1,0]
	s_set_vgpr_msb 0                        ;  msbs: dst=0 src0=0 src1=0 src2=0
	v_mov_b32_e32 v111, v109
	v_pk_fma_f32 v[100:101], v[222:223], v[182:183], v[100:101] neg_lo:[0,0,1] neg_hi:[0,0,1]
	v_pk_add_f32 v[98:99], v[98:99], v[106:107]
	v_mov_b32_e32 v101, v105
	v_pk_fma_f32 v[104:105], v[224:225], v[184:185], v[102:103] op_sel_hi:[1,0,1]
	s_wait_loadcnt_dscnt 0x100
	s_set_vgpr_msb 5                        ;  msbs: dst=0 src0=1 src1=1 src2=0
	v_pk_mul_f32 v[106:107], v[22:23] /*v[278:279]*/, v[18:19] /*v[274:275]*/ op_sel:[1,1] op_sel_hi:[0,1]
	s_set_vgpr_msb 0                        ;  msbs: dst=0 src0=0 src1=0 src2=0
	v_pk_fma_f32 v[102:103], v[224:225], v[184:185], v[102:103] neg_lo:[0,0,1] neg_hi:[0,0,1]
	v_pk_add_f32 v[98:99], v[98:99], v[110:111]
	v_dual_ashrrev_i32 v93, 31, v92 :: v_dual_ashrrev_i32 v95, 31, v94
	v_mov_b32_e32 v103, v105
	s_set_vgpr_msb 5                        ;  msbs: dst=0 src0=1 src1=1 src2=0
	v_pk_fma_f32 v[104:105], v[22:23] /*v[278:279]*/, v[18:19] /*v[274:275]*/, v[106:107] neg_lo:[0,0,1] neg_hi:[0,0,1]
	s_set_vgpr_msb 0                        ;  msbs: dst=0 src0=0 src1=0 src2=0
	v_pk_add_f32 v[98:99], v[98:99], v[100:101]
	s_set_vgpr_msb 5                        ;  msbs: dst=0 src0=1 src1=1 src2=0
	v_pk_fma_f32 v[100:101], v[22:23] /*v[278:279]*/, v[18:19] /*v[274:275]*/, v[106:107] op_sel_hi:[1,0,1]
	s_set_vgpr_msb 0                        ;  msbs: dst=0 src0=0 src1=0 src2=0
	v_ashrrev_i32_e32 v77, 31, v76
	v_pk_add_f32 v[98:99], v[98:99], v[102:103]
	s_delay_alu instid0(VALU_DEP_3) | instskip(NEXT) | instid1(VALU_DEP_1)
	v_mov_b32_e32 v105, v101
	v_pk_add_f32 v[98:99], v[98:99], v[104:105]
	s_wait_loadcnt 0x0
	s_set_vgpr_msb 1                        ;  msbs: dst=0 src0=1 src1=0 src2=0
	s_delay_alu instid0(VALU_DEP_1)
	v_pk_add_f32 v[98:99], v[20:21] /*v[276:277]*/, v[98:99] neg_lo:[0,1] neg_hi:[0,1]
	scratch_store_b64 off, v[98:99], off offset:8
	s_wait_xcnt 0x0
	v_cmpx_ne_u32_e32 0, v0
	s_set_vgpr_msb 0                        ;  msbs: dst=0 src0=0 src1=0 src2=0
	s_cbranch_execz .LBB110_295
; %bb.294:
	scratch_load_b64 v[98:99], off, off
	v_mov_b64_e32 v[100:101], 0
	scratch_store_b64 off, v[100:101], off
	s_wait_loadcnt 0x0
	ds_store_b64 v1, v[98:99]
.LBB110_295:
	s_wait_xcnt 0x0
	s_or_b32 exec_lo, exec_lo, s0
	s_wait_storecnt_dscnt 0x0
	s_barrier_signal -1
	s_barrier_wait -1
	s_clause 0x17
	scratch_load_b128 v[98:101], off, off offset:8
	scratch_load_b128 v[102:105], off, off offset:24
	;; [unrolled: 1-line block ×23, first 2 shown]
	scratch_load_b64 v[0:1], off, off
	ds_load_2addr_b64 v[190:193], v96 offset0:49 offset1:50
	ds_load_2addr_b64 v[194:197], v96 offset0:51 offset1:52
	;; [unrolled: 1-line block ×17, first 2 shown]
	s_set_vgpr_msb 64                       ;  msbs: dst=1 src0=0 src1=0 src2=0
	ds_load_2addr_b64 v[2:5] /*v[258:261]*/, v96 offset0:73 offset1:74
	ds_load_2addr_b64 v[6:9] /*v[262:265]*/, v96 offset0:75 offset1:76
	;; [unrolled: 1-line block ×6, first 2 shown]
	s_wait_dscnt 0x13
	s_set_vgpr_msb 0                        ;  msbs: dst=0 src0=0 src1=0 src2=0
	v_dual_mov_b32 v96, v205 :: v_dual_mov_b32 v97, v204
	s_wait_dscnt 0x12
	s_set_vgpr_msb 64                       ;  msbs: dst=1 src0=0 src1=0 src2=0
	v_dual_mov_b32 v26 /*v282*/, v209 :: v_dual_mov_b32 v27 /*v283*/, v208
	s_wait_dscnt 0xf
	v_dual_mov_b32 v28 /*v284*/, v221 :: v_dual_mov_b32 v29 /*v285*/, v220
	s_wait_dscnt 0xe
	v_dual_mov_b32 v30 /*v286*/, v225 :: v_dual_mov_b32 v31 /*v287*/, v224
	s_and_b32 vcc_lo, exec_lo, s12
	s_wait_loadcnt 0x17
	v_dual_mul_f32 v32 /*v288*/, v190, v99 :: v_dual_mul_f32 v34 /*v290*/, v192, v101
	s_set_vgpr_msb 0                        ;  msbs: dst=0 src0=0 src1=0 src2=0
	v_dual_mul_f32 v99, v191, v99 :: v_dual_mul_f32 v101, v193, v101
	s_wait_loadcnt 0x14
	s_set_vgpr_msb 64                       ;  msbs: dst=1 src0=0 src1=0 src2=0
	v_dual_mul_f32 v40 /*v296*/, v214, v111 :: v_dual_mul_f32 v41 /*v297*/, v216, v113
	s_set_vgpr_msb 0                        ;  msbs: dst=0 src0=0 src1=0 src2=0
	v_mul_f32_e32 v111, v215, v111
	s_set_vgpr_msb 64                       ;  msbs: dst=1 src0=0 src1=0 src2=0
	v_dual_mul_f32 v36 /*v292*/, v194, v103 :: v_dual_mul_f32 v37 /*v293*/, v196, v105
	s_set_vgpr_msb 0                        ;  msbs: dst=0 src0=0 src1=0 src2=0
	v_dual_mul_f32 v103, v195, v103 :: v_dual_mul_f32 v105, v197, v105
	s_set_vgpr_msb 64                       ;  msbs: dst=1 src0=0 src1=0 src2=0
	s_delay_alu instid0(VALU_DEP_2)
	v_dual_fmac_f32 v34 /*v290*/, v193, v100 :: v_dual_fmac_f32 v36 /*v292*/, v195, v102
	v_dual_mul_f32 v38 /*v294*/, v210, v107 :: v_dual_mul_f32 v39 /*v295*/, v212, v109
	v_fmac_f32_e32 v32 /*v288*/, v191, v98
	s_set_vgpr_msb 0                        ;  msbs: dst=0 src0=0 src1=0 src2=0
	v_dual_fma_f32 v98, v190, v98, -v99 :: v_dual_mul_f32 v99, v217, v113
	v_fma_f32 v100, v192, v100, -v101
	s_wait_loadcnt 0x5
	s_set_vgpr_msb 64                       ;  msbs: dst=1 src0=0 src1=0 src2=0
	v_mul_f32_e32 v33 /*v289*/, v198, v171
	s_wait_dscnt 0xd
	s_set_vgpr_msb 0                        ;  msbs: dst=0 src0=0 src1=0 src2=0
	v_dual_mul_f32 v113, v227, v115 :: v_dual_add_f32 v98, 0, v98
	v_dual_fma_f32 v102, v194, v102, -v103 :: v_dual_mul_f32 v107, v211, v107
	v_mul_f32_e32 v109, v213, v109
	s_set_vgpr_msb 64                       ;  msbs: dst=1 src0=0 src1=0 src2=0
	v_dual_fmac_f32 v37 /*v293*/, v197, v104 :: v_dual_fmac_f32 v38 /*v294*/, v211, v106
	s_set_vgpr_msb 0                        ;  msbs: dst=0 src0=0 src1=0 src2=0
	v_dual_add_f32 v98, v98, v100 :: v_dual_mul_f32 v100, v229, v117
	v_dual_fma_f32 v103, v196, v104, -v105 :: v_dual_fma_f32 v104, v210, v106, -v107
	v_fma_f32 v106, v214, v110, -v111
	s_delay_alu instid0(VALU_DEP_3)
	v_add_f32_e32 v98, v98, v102
	v_fma_f32 v107, v226, v114, -v113
	s_wait_dscnt 0xc
	v_dual_fma_f32 v105, v212, v108, -v109 :: v_dual_mul_f32 v102, v231, v119
	s_set_vgpr_msb 64                       ;  msbs: dst=1 src0=0 src1=0 src2=0
	v_dual_fmac_f32 v39 /*v295*/, v213, v108 :: v_dual_fmac_f32 v40 /*v296*/, v215, v110
	s_set_vgpr_msb 0                        ;  msbs: dst=0 src0=0 src1=0 src2=0
	v_dual_add_f32 v98, v98, v103 :: v_dual_mul_f32 v103, v233, v121
	s_set_vgpr_msb 4                        ;  msbs: dst=0 src0=0 src1=1 src2=0
	v_add_f32_e32 v101, 0, v32 /*v288*/
	s_set_vgpr_msb 64                       ;  msbs: dst=1 src0=0 src1=0 src2=0
	v_dual_mul_f32 v42 /*v298*/, v226, v115 :: v_dual_mul_f32 v43 /*v299*/, v228, v117
	s_wait_dscnt 0xb
	s_set_vgpr_msb 0                        ;  msbs: dst=0 src0=0 src1=0 src2=0
	v_dual_add_f32 v98, v98, v104 :: v_dual_mul_f32 v104, v235, v123
	v_fma_f32 v99, v216, v112, -v99
	s_set_vgpr_msb 64                       ;  msbs: dst=1 src0=0 src1=0 src2=0
	v_dual_fmac_f32 v41 /*v297*/, v217, v112 :: v_dual_fmac_f32 v42 /*v298*/, v227, v114
	s_set_vgpr_msb 0                        ;  msbs: dst=0 src0=0 src1=0 src2=0
	v_add_f32_e32 v98, v98, v105
	v_dual_mul_f32 v105, v237, v125 :: v_dual_fma_f32 v104, v234, v122, -v104
	s_set_vgpr_msb 64                       ;  msbs: dst=1 src0=0 src1=0 src2=0
	v_dual_mul_f32 v44 /*v300*/, v230, v119 :: v_dual_mul_f32 v45 /*v301*/, v232, v121
	s_wait_dscnt 0xa
	s_set_vgpr_msb 0                        ;  msbs: dst=0 src0=0 src1=0 src2=0
	v_dual_add_f32 v98, v98, v106 :: v_dual_mul_f32 v106, v239, v127
	v_fma_f32 v100, v228, v116, -v100
	s_set_vgpr_msb 64                       ;  msbs: dst=1 src0=0 src1=0 src2=0
	v_dual_fmac_f32 v43 /*v299*/, v229, v116 :: v_dual_fmac_f32 v44 /*v300*/, v231, v118
	s_set_vgpr_msb 0                        ;  msbs: dst=0 src0=0 src1=0 src2=0
	v_dual_add_f32 v98, v98, v99 :: v_dual_mul_f32 v99, v241, v129
	v_fma_f32 v102, v230, v118, -v102
	v_fma_f32 v106, v238, v126, -v106
	s_set_vgpr_msb 64                       ;  msbs: dst=1 src0=0 src1=0 src2=0
	v_dual_mul_f32 v46 /*v302*/, v234, v123 :: v_dual_mul_f32 v47 /*v303*/, v236, v125
	s_set_vgpr_msb 0                        ;  msbs: dst=0 src0=0 src1=0 src2=0
	v_add_f32_e32 v98, v98, v107
	s_wait_dscnt 0x9
	v_mul_f32_e32 v107, v243, v131
	s_set_vgpr_msb 64                       ;  msbs: dst=1 src0=0 src1=0 src2=0
	v_dual_fmac_f32 v45 /*v301*/, v233, v120 :: v_dual_fmac_f32 v46 /*v302*/, v235, v122
	v_dual_mul_f32 v48 /*v304*/, v238, v127 :: v_dual_mul_f32 v49 /*v305*/, v240, v129
	s_set_vgpr_msb 0                        ;  msbs: dst=0 src0=0 src1=0 src2=0
	v_add_f32_e32 v98, v98, v100
	v_dual_fma_f32 v103, v232, v120, -v103 :: v_dual_mul_f32 v100, v245, v133
	v_dual_fma_f32 v107, v242, v130, -v107 :: v_dual_fma_f32 v105, v236, v124, -v105
	s_wait_dscnt 0x8
	s_delay_alu instid0(VALU_DEP_3) | instskip(NEXT) | instid1(VALU_DEP_3)
	v_dual_add_f32 v98, v98, v102 :: v_dual_mul_f32 v102, v247, v135
	v_fma_f32 v100, v244, v132, -v100
	s_set_vgpr_msb 64                       ;  msbs: dst=1 src0=0 src1=0 src2=0
	v_dual_fmac_f32 v47 /*v303*/, v237, v124 :: v_dual_fmac_f32 v48 /*v304*/, v239, v126
	s_set_vgpr_msb 0                        ;  msbs: dst=0 src0=0 src1=0 src2=0
	v_dual_add_f32 v98, v98, v103 :: v_dual_mul_f32 v103, v249, v137
	v_fma_f32 v102, v246, v134, -v102
	s_set_vgpr_msb 64                       ;  msbs: dst=1 src0=0 src1=0 src2=0
	v_dual_mul_f32 v50 /*v306*/, v242, v131 :: v_dual_mul_f32 v51 /*v307*/, v244, v133
	s_wait_dscnt 0x7
	s_set_vgpr_msb 0                        ;  msbs: dst=0 src0=0 src1=0 src2=0
	v_dual_add_f32 v98, v98, v104 :: v_dual_mul_f32 v104, v251, v139
	v_fma_f32 v99, v240, v128, -v99
	s_set_vgpr_msb 64                       ;  msbs: dst=1 src0=0 src1=0 src2=0
	v_dual_fmac_f32 v49 /*v305*/, v241, v128 :: v_dual_fmac_f32 v50 /*v306*/, v243, v130
	s_set_vgpr_msb 0                        ;  msbs: dst=0 src0=0 src1=0 src2=0
	v_add_f32_e32 v98, v98, v105
	v_dual_mul_f32 v105, v253, v141 :: v_dual_fma_f32 v104, v250, v138, -v104
	s_set_vgpr_msb 64                       ;  msbs: dst=1 src0=0 src1=0 src2=0
	v_dual_mul_f32 v52 /*v308*/, v246, v135 :: v_dual_mul_f32 v53 /*v309*/, v248, v137
	s_wait_dscnt 0x6
	s_set_vgpr_msb 0                        ;  msbs: dst=0 src0=0 src1=0 src2=0
	v_dual_add_f32 v98, v98, v106 :: v_dual_mul_f32 v106, v255, v143
	v_fma_f32 v103, v248, v136, -v103
	s_set_vgpr_msb 64                       ;  msbs: dst=1 src0=0 src1=0 src2=0
	v_dual_fmac_f32 v51 /*v307*/, v245, v132 :: v_dual_fmac_f32 v52 /*v308*/, v247, v134
	s_set_vgpr_msb 0                        ;  msbs: dst=0 src0=0 src1=0 src2=0
	v_dual_add_f32 v98, v98, v99 :: v_dual_fma_f32 v105, v252, v140, -v105
	s_set_vgpr_msb 1                        ;  msbs: dst=0 src0=1 src1=0 src2=0
	v_mul_f32_e32 v99, v1 /*v257*/, v145
	s_set_vgpr_msb 0                        ;  msbs: dst=0 src0=0 src1=0 src2=0
	v_dual_fma_f32 v106, v254, v142, -v106 :: v_dual_mul_f32 v111, v201, v173
	v_add_f32_e32 v98, v98, v107
	s_wait_dscnt 0x5
	s_set_vgpr_msb 1                        ;  msbs: dst=0 src0=1 src1=0 src2=0
	v_mul_f32_e32 v107, v3 /*v259*/, v147
	s_set_vgpr_msb 64                       ;  msbs: dst=1 src0=0 src1=0 src2=0
	v_dual_mul_f32 v54 /*v310*/, v250, v139 :: v_dual_mul_f32 v55 /*v311*/, v252, v141
	v_fmac_f32_e32 v53 /*v309*/, v249, v136
	s_set_vgpr_msb 0                        ;  msbs: dst=0 src0=0 src1=0 src2=0
	v_add_f32_e32 v98, v98, v100
	s_set_vgpr_msb 1                        ;  msbs: dst=0 src0=1 src1=0 src2=0
	v_mul_f32_e32 v100, v5 /*v261*/, v149
	s_set_vgpr_msb 64                       ;  msbs: dst=1 src0=0 src1=0 src2=0
	v_dual_fmac_f32 v54 /*v310*/, v251, v138 :: v_dual_mul_f32 v56 /*v312*/, v254, v143
	v_mul_f32_e32 v35 /*v291*/, v200, v173
	s_set_vgpr_msb 0                        ;  msbs: dst=0 src0=0 src1=0 src2=0
	v_add_f32_e32 v98, v98, v102
	s_wait_dscnt 0x4
	s_set_vgpr_msb 1                        ;  msbs: dst=0 src0=1 src1=0 src2=0
	v_mul_f32_e32 v102, v7 /*v263*/, v151
	s_set_vgpr_msb 64                       ;  msbs: dst=1 src0=0 src1=0 src2=0
	v_dual_fmac_f32 v55 /*v311*/, v253, v140 :: v_dual_fmac_f32 v56 /*v312*/, v255, v142
	s_set_vgpr_msb 0x41                     ;  msbs: dst=1 src0=1 src1=0 src2=0
	v_dual_mul_f32 v57 /*v313*/, v0 /*v256*/, v145 :: v_dual_mul_f32 v58 /*v314*/, v2 /*v258*/, v147
	s_set_vgpr_msb 0                        ;  msbs: dst=0 src0=0 src1=0 src2=0
	v_add_f32_e32 v98, v98, v103
	s_set_vgpr_msb 1                        ;  msbs: dst=0 src0=1 src1=0 src2=0
	v_mul_f32_e32 v103, v9 /*v265*/, v153
	s_wait_dscnt 0x0
	s_set_vgpr_msb 0x41                     ;  msbs: dst=1 src0=1 src1=0 src2=0
	v_dual_mul_f32 v69 /*v325*/, v24 /*v280*/, v169 :: v_dual_fmac_f32 v57 /*v313*/, v1 /*v257*/, v144
	s_set_vgpr_msb 1                        ;  msbs: dst=0 src0=1 src1=0 src2=0
	v_fma_f32 v99, v0 /*v256*/, v144, -v99
	s_set_vgpr_msb 0                        ;  msbs: dst=0 src0=0 src1=0 src2=0
	v_add_f32_e32 v98, v98, v104
	s_set_vgpr_msb 1                        ;  msbs: dst=0 src0=1 src1=0 src2=0
	v_dual_mul_f32 v104, v11 /*v267*/, v155 :: v_dual_mul_f32 v108, v21 /*v277*/, v165
	v_dual_fma_f32 v107, v2 /*v258*/, v146, -v107 :: v_dual_mul_f32 v109, v23 /*v279*/, v167
	s_set_vgpr_msb 0                        ;  msbs: dst=0 src0=0 src1=0 src2=0
	v_add_f32_e32 v98, v98, v105
	s_set_vgpr_msb 1                        ;  msbs: dst=0 src0=1 src1=0 src2=0
	v_mul_f32_e32 v105, v13 /*v269*/, v157
	v_dual_mul_f32 v110, v25 /*v281*/, v169 :: v_dual_fma_f32 v100, v4 /*v260*/, v148, -v100
	s_set_vgpr_msb 0x41                     ;  msbs: dst=1 src0=1 src1=0 src2=0
	v_dual_mul_f32 v59 /*v315*/, v4 /*v260*/, v149 :: v_dual_mul_f32 v60 /*v316*/, v6 /*v262*/, v151
	s_set_vgpr_msb 0                        ;  msbs: dst=0 src0=0 src1=0 src2=0
	v_add_f32_e32 v98, v98, v106
	s_set_vgpr_msb 1                        ;  msbs: dst=0 src0=1 src1=0 src2=0
	v_dual_mul_f32 v106, v15 /*v271*/, v159 :: v_dual_fma_f32 v102, v6 /*v262*/, v150, -v102
	s_set_vgpr_msb 0x41                     ;  msbs: dst=1 src0=1 src1=0 src2=0
	v_dual_fmac_f32 v58 /*v314*/, v3 /*v259*/, v146 :: v_dual_fmac_f32 v59 /*v315*/, v5 /*v261*/, v148
	s_set_vgpr_msb 0                        ;  msbs: dst=0 src0=0 src1=0 src2=0
	v_add_f32_e32 v98, v98, v99
	s_set_vgpr_msb 1                        ;  msbs: dst=0 src0=1 src1=0 src2=0
	v_mul_f32_e32 v99, v17 /*v273*/, v161
	s_set_vgpr_msb 0x41                     ;  msbs: dst=1 src0=1 src1=0 src2=0
	v_dual_mul_f32 v61 /*v317*/, v8 /*v264*/, v153 :: v_dual_mul_f32 v62 /*v318*/, v10 /*v266*/, v155
	v_fmac_f32_e32 v60 /*v316*/, v7 /*v263*/, v150
	s_set_vgpr_msb 0                        ;  msbs: dst=0 src0=0 src1=0 src2=0
	v_add_f32_e32 v98, v98, v107
	s_set_vgpr_msb 1                        ;  msbs: dst=0 src0=1 src1=0 src2=0
	v_mul_f32_e32 v107, v19 /*v275*/, v163
	s_set_vgpr_msb 0x41                     ;  msbs: dst=1 src0=1 src1=0 src2=0
	v_dual_fmac_f32 v61 /*v317*/, v9 /*v265*/, v152 :: v_dual_mul_f32 v63 /*v319*/, v12 /*v268*/, v157
	v_mul_f32_e32 v64 /*v320*/, v14 /*v270*/, v159
	s_set_vgpr_msb 0                        ;  msbs: dst=0 src0=0 src1=0 src2=0
	v_add_f32_e32 v98, v98, v100
	s_set_vgpr_msb 1                        ;  msbs: dst=0 src0=1 src1=0 src2=0
	v_fma_f32 v100, v8 /*v264*/, v152, -v103
	v_fma_f32 v103, v18 /*v274*/, v162, -v107
	s_set_vgpr_msb 0x41                     ;  msbs: dst=1 src0=1 src1=0 src2=0
	v_dual_fmac_f32 v62 /*v318*/, v11 /*v267*/, v154 :: v_dual_fmac_f32 v63 /*v319*/, v13 /*v269*/, v156
	s_set_vgpr_msb 0                        ;  msbs: dst=0 src0=0 src1=0 src2=0
	v_add_f32_e32 v98, v98, v102
	s_set_vgpr_msb 1                        ;  msbs: dst=0 src0=1 src1=0 src2=0
	v_fma_f32 v102, v10 /*v266*/, v154, -v104
	v_fma_f32 v104, v20 /*v276*/, v164, -v108
	s_set_vgpr_msb 0x41                     ;  msbs: dst=1 src0=1 src1=0 src2=0
	v_dual_mul_f32 v65 /*v321*/, v16 /*v272*/, v161 :: v_dual_mul_f32 v66 /*v322*/, v18 /*v274*/, v163
	s_set_vgpr_msb 0                        ;  msbs: dst=0 src0=0 src1=0 src2=0
	v_add_f32_e32 v98, v98, v100
	s_set_vgpr_msb 1                        ;  msbs: dst=0 src0=1 src1=0 src2=0
	v_fma_f32 v100, v12 /*v268*/, v156, -v105
	v_dual_fma_f32 v107, v22 /*v278*/, v166, -v109 :: v_dual_fma_f32 v108, v24 /*v280*/, v168, -v110
	s_set_vgpr_msb 0                        ;  msbs: dst=0 src0=0 src1=0 src2=0
	v_dual_mul_f32 v105, v199, v171 :: v_dual_add_f32 v98, v98, v102
	s_set_vgpr_msb 1                        ;  msbs: dst=0 src0=1 src1=0 src2=0
	v_fma_f32 v102, v14 /*v270*/, v158, -v106
	s_set_vgpr_msb 0x41                     ;  msbs: dst=1 src0=1 src1=0 src2=0
	v_dual_fmac_f32 v64 /*v320*/, v15 /*v271*/, v158 :: v_dual_fmac_f32 v65 /*v321*/, v17 /*v273*/, v160
	s_set_vgpr_msb 64                       ;  msbs: dst=1 src0=0 src1=0 src2=0
	v_fma_f32 v32 /*v288*/, v198, v170, -v105
	s_set_vgpr_msb 0                        ;  msbs: dst=0 src0=0 src1=0 src2=0
	v_add_f32_e32 v98, v98, v100
	s_set_vgpr_msb 1                        ;  msbs: dst=0 src0=1 src1=0 src2=0
	v_fma_f32 v100, v16 /*v272*/, v160, -v99
	s_set_vgpr_msb 0x41                     ;  msbs: dst=1 src0=1 src1=0 src2=0
	v_dual_mul_f32 v67 /*v323*/, v20 /*v276*/, v165 :: v_dual_mul_f32 v68 /*v324*/, v22 /*v278*/, v167
	v_fmac_f32_e32 v66 /*v322*/, v19 /*v275*/, v162
	s_set_vgpr_msb 0                        ;  msbs: dst=0 src0=0 src1=0 src2=0
	v_add_f32_e32 v102, v98, v102
	s_wait_loadcnt 0x4
	v_pk_mul_f32 v[98:99], v[202:203], v[174:175] op_sel:[1,1] op_sel_hi:[0,1]
	s_set_vgpr_msb 0x41                     ;  msbs: dst=1 src0=1 src1=0 src2=0
	v_dual_fmac_f32 v67 /*v323*/, v21 /*v277*/, v164 :: v_dual_fmac_f32 v68 /*v324*/, v23 /*v279*/, v166
	v_fmac_f32_e32 v69 /*v325*/, v25 /*v281*/, v168
	s_set_vgpr_msb 0                        ;  msbs: dst=0 src0=0 src1=0 src2=0
	v_dual_add_f32 v102, v102, v100 :: v_dual_mov_b32 v100, v177
	s_set_vgpr_msb 4                        ;  msbs: dst=0 src0=0 src1=1 src2=0
	v_add_f32_e32 v101, v101, v34 /*v290*/
	s_set_vgpr_msb 64                       ;  msbs: dst=1 src0=0 src1=0 src2=0
	v_fma_f32 v34 /*v290*/, v200, v172, -v111
	v_dual_fmac_f32 v33 /*v289*/, v199, v170 :: v_dual_fmac_f32 v35 /*v291*/, v201, v172
	s_set_vgpr_msb 0                        ;  msbs: dst=0 src0=0 src1=0 src2=0
	v_add_f32_e32 v106, v102, v103
	s_wait_loadcnt 0x3
	v_pk_mul_f32 v[102:103], v[206:207], v[178:179] op_sel:[1,1] op_sel_hi:[0,1]
	s_delay_alu instid0(VALU_DEP_2) | instskip(NEXT) | instid1(VALU_DEP_2)
	v_dual_add_f32 v106, v106, v104 :: v_dual_mov_b32 v104, v181
	v_pk_fma_f32 v[112:113], v[206:207], v[178:179], v[102:103] op_sel_hi:[1,0,1]
	v_pk_fma_f32 v[102:103], v[206:207], v[178:179], v[102:103] neg_lo:[0,0,1] neg_hi:[0,0,1]
	s_delay_alu instid0(VALU_DEP_3)
	v_add_f32_e32 v110, v106, v107
	s_set_vgpr_msb 1                        ;  msbs: dst=0 src0=1 src1=0 src2=0
	v_pk_mul_f32 v[104:105], v[26:27] /*v[282:283]*/, v[104:105] op_sel_hi:[1,0]
	s_wait_loadcnt 0x2
	s_set_vgpr_msb 0                        ;  msbs: dst=0 src0=0 src1=0 src2=0
	v_pk_mul_f32 v[106:107], v[218:219], v[182:183] op_sel:[1,1] op_sel_hi:[0,1]
	v_dual_mov_b32 v103, v113 :: v_dual_add_f32 v108, v110, v108
	v_pk_fma_f32 v[110:111], v[202:203], v[174:175], v[98:99] op_sel_hi:[1,0,1]
	v_pk_fma_f32 v[98:99], v[202:203], v[174:175], v[98:99] neg_lo:[0,0,1] neg_hi:[0,0,1]
	s_set_vgpr_msb 4                        ;  msbs: dst=0 src0=0 src1=1 src2=0
	s_delay_alu instid0(VALU_DEP_2) | instskip(NEXT) | instid1(VALU_DEP_1)
	v_dual_mov_b32 v99, v111 :: v_dual_add_f32 v101, v101, v36 /*v292*/
	v_add_f32_e32 v101, v101, v37 /*v293*/
	s_delay_alu instid0(VALU_DEP_1) | instskip(NEXT) | instid1(VALU_DEP_1)
	v_add_f32_e32 v101, v101, v38 /*v294*/
	v_add_f32_e32 v101, v101, v39 /*v295*/
	s_delay_alu instid0(VALU_DEP_1) | instskip(NEXT) | instid1(VALU_DEP_1)
	v_add_f32_e32 v101, v101, v40 /*v296*/
	;; [unrolled: 3-line block ×16, first 2 shown]
	v_add_f32_e32 v109, v101, v69 /*v325*/
	s_set_vgpr_msb 0                        ;  msbs: dst=0 src0=0 src1=0 src2=0
	v_pk_mul_f32 v[96:97], v[96:97], v[100:101] op_sel_hi:[1,0]
	s_set_vgpr_msb 4                        ;  msbs: dst=0 src0=0 src1=1 src2=0
	s_delay_alu instid0(VALU_DEP_2) | instskip(SKIP_1) | instid1(VALU_DEP_2)
	v_pk_add_f32 v[100:101], v[108:109], v[32:33] /*v[288:289]*/
	s_set_vgpr_msb 0                        ;  msbs: dst=0 src0=0 src1=0 src2=0
	v_pk_fma_f32 v[110:111], v[204:205], v[176:177], v[96:97] op_sel_hi:[1,0,1]
	v_pk_fma_f32 v[96:97], v[204:205], v[176:177], v[96:97] neg_lo:[0,0,1] neg_hi:[0,0,1]
	v_mov_b32_e32 v108, v185
	s_set_vgpr_msb 4                        ;  msbs: dst=0 src0=0 src1=1 src2=0
	v_pk_add_f32 v[100:101], v[100:101], v[34:35] /*v[290:291]*/
	v_mov_b32_e32 v97, v111
	s_set_vgpr_msb 0                        ;  msbs: dst=0 src0=0 src1=0 src2=0
	v_pk_fma_f32 v[110:111], v[208:209], v[180:181], v[104:105] op_sel_hi:[1,0,1]
	v_pk_fma_f32 v[104:105], v[208:209], v[180:181], v[104:105] neg_lo:[0,0,1] neg_hi:[0,0,1]
	s_set_vgpr_msb 1                        ;  msbs: dst=0 src0=1 src1=0 src2=0
	v_pk_mul_f32 v[108:109], v[28:29] /*v[284:285]*/, v[108:109] op_sel_hi:[1,0]
	s_set_vgpr_msb 0                        ;  msbs: dst=0 src0=0 src1=0 src2=0
	v_pk_add_f32 v[98:99], v[100:101], v[98:99]
	s_wait_loadcnt 0x1
	v_pk_mul_f32 v[100:101], v[222:223], v[186:187] op_sel:[1,1] op_sel_hi:[0,1]
	v_mov_b32_e32 v105, v111
	s_delay_alu instid0(VALU_DEP_3) | instskip(SKIP_2) | instid1(VALU_DEP_3)
	v_pk_add_f32 v[96:97], v[98:99], v[96:97]
	v_pk_fma_f32 v[98:99], v[218:219], v[182:183], v[106:107] op_sel_hi:[1,0,1]
	v_mov_b32_e32 v98, v189
	v_pk_add_f32 v[96:97], v[96:97], v[102:103]
	v_pk_fma_f32 v[102:103], v[218:219], v[182:183], v[106:107] neg_lo:[0,0,1] neg_hi:[0,0,1]
	s_delay_alu instid0(VALU_DEP_4)
	v_mov_b32_e32 v103, v99
	v_pk_fma_f32 v[106:107], v[220:221], v[184:185], v[108:109] op_sel_hi:[1,0,1]
	v_pk_fma_f32 v[108:109], v[220:221], v[184:185], v[108:109] neg_lo:[0,0,1] neg_hi:[0,0,1]
	v_pk_add_f32 v[96:97], v[96:97], v[104:105]
	v_pk_fma_f32 v[104:105], v[222:223], v[186:187], v[100:101] op_sel_hi:[1,0,1]
	s_set_vgpr_msb 1                        ;  msbs: dst=0 src0=1 src1=0 src2=0
	v_pk_mul_f32 v[98:99], v[30:31] /*v[286:287]*/, v[98:99] op_sel_hi:[1,0]
	s_set_vgpr_msb 0                        ;  msbs: dst=0 src0=0 src1=0 src2=0
	v_mov_b32_e32 v109, v107
	v_pk_fma_f32 v[100:101], v[222:223], v[186:187], v[100:101] neg_lo:[0,0,1] neg_hi:[0,0,1]
	v_pk_add_f32 v[96:97], v[96:97], v[102:103]
	v_mov_b32_e32 v101, v105
	v_pk_fma_f32 v[102:103], v[224:225], v[188:189], v[98:99] op_sel_hi:[1,0,1]
	v_pk_fma_f32 v[98:99], v[224:225], v[188:189], v[98:99] neg_lo:[0,0,1] neg_hi:[0,0,1]
	s_delay_alu instid0(VALU_DEP_4) | instskip(NEXT) | instid1(VALU_DEP_3)
	v_pk_add_f32 v[96:97], v[96:97], v[108:109]
	v_mov_b32_e32 v99, v103
	s_delay_alu instid0(VALU_DEP_2) | instskip(NEXT) | instid1(VALU_DEP_1)
	v_pk_add_f32 v[96:97], v[96:97], v[100:101]
	v_pk_add_f32 v[96:97], v[96:97], v[98:99]
	s_wait_loadcnt 0x0
	s_delay_alu instid0(VALU_DEP_1)
	v_pk_add_f32 v[96:97], v[0:1], v[96:97] neg_lo:[0,1] neg_hi:[0,1]
	scratch_store_b64 off, v[96:97], off
	s_cbranch_vccz .LBB110_388
; %bb.296:
	v_mov_b32_e32 v0, 0
	global_load_b32 v1, v0, s[8:9] offset:180
	s_wait_loadcnt 0x0
	v_cmp_ne_u32_e32 vcc_lo, 46, v1
	s_cbranch_vccz .LBB110_298
; %bb.297:
	v_lshlrev_b32_e32 v1, 3, v1
	scratch_load_b64 v[96:97], v1, off offset:-8
	scratch_load_b64 v[98:99], off, off offset:360
	s_wait_loadcnt 0x1
	scratch_store_b64 off, v[96:97], off offset:360
	s_wait_loadcnt 0x0
	scratch_store_b64 v1, v[98:99], off offset:-8
.LBB110_298:
	global_load_b32 v0, v0, s[8:9] offset:176
	s_wait_loadcnt 0x0
	v_cmp_eq_u32_e32 vcc_lo, 45, v0
	s_cbranch_vccnz .LBB110_300
; %bb.299:
	s_wait_xcnt 0x0
	v_lshlrev_b32_e32 v0, 3, v0
	s_delay_alu instid0(VALU_DEP_1)
	v_mov_b32_e32 v98, v0
	scratch_load_b64 v[0:1], v98, off offset:-8
	scratch_load_b64 v[96:97], off, off offset:352
	s_wait_loadcnt 0x1
	scratch_store_b64 off, v[0:1], off offset:352
	s_wait_loadcnt 0x0
	scratch_store_b64 v98, v[96:97], off offset:-8
.LBB110_300:
	s_wait_xcnt 0x0
	v_mov_b32_e32 v0, 0
	global_load_b32 v1, v0, s[8:9] offset:172
	s_wait_loadcnt 0x0
	v_cmp_eq_u32_e32 vcc_lo, 44, v1
	s_cbranch_vccnz .LBB110_302
; %bb.301:
	v_lshlrev_b32_e32 v1, 3, v1
	scratch_load_b64 v[96:97], v1, off offset:-8
	scratch_load_b64 v[98:99], off, off offset:344
	s_wait_loadcnt 0x1
	scratch_store_b64 off, v[96:97], off offset:344
	s_wait_loadcnt 0x0
	scratch_store_b64 v1, v[98:99], off offset:-8
.LBB110_302:
	global_load_b32 v0, v0, s[8:9] offset:168
	s_wait_loadcnt 0x0
	v_cmp_eq_u32_e32 vcc_lo, 43, v0
	s_cbranch_vccnz .LBB110_304
; %bb.303:
	s_wait_xcnt 0x0
	v_lshlrev_b32_e32 v0, 3, v0
	s_delay_alu instid0(VALU_DEP_1)
	v_mov_b32_e32 v98, v0
	scratch_load_b64 v[0:1], v98, off offset:-8
	scratch_load_b64 v[96:97], off, off offset:336
	s_wait_loadcnt 0x1
	scratch_store_b64 off, v[0:1], off offset:336
	s_wait_loadcnt 0x0
	scratch_store_b64 v98, v[96:97], off offset:-8
.LBB110_304:
	s_wait_xcnt 0x0
	v_mov_b32_e32 v0, 0
	global_load_b32 v1, v0, s[8:9] offset:164
	s_wait_loadcnt 0x0
	v_cmp_eq_u32_e32 vcc_lo, 42, v1
	s_cbranch_vccnz .LBB110_306
; %bb.305:
	v_lshlrev_b32_e32 v1, 3, v1
	scratch_load_b64 v[96:97], v1, off offset:-8
	scratch_load_b64 v[98:99], off, off offset:328
	s_wait_loadcnt 0x1
	scratch_store_b64 off, v[96:97], off offset:328
	s_wait_loadcnt 0x0
	scratch_store_b64 v1, v[98:99], off offset:-8
.LBB110_306:
	;; [unrolled: 31-line block ×22, first 2 shown]
	global_load_b32 v0, v0, s[8:9]
	scratch_load_b64 v[96:97], off, off
	s_wait_loadcnt 0x1
	v_cmp_eq_u32_e32 vcc_lo, 1, v0
	s_cbranch_vccnz .LBB110_388
; %bb.387:
	s_wait_xcnt 0x1
	v_lshlrev_b32_e32 v0, 3, v0
	s_delay_alu instid0(VALU_DEP_1)
	v_mov_b32_e32 v98, v0
	scratch_load_b64 v[0:1], v98, off offset:-8
	s_wait_loadcnt 0x0
	scratch_store_b64 off, v[0:1], off
	scratch_store_b64 v98, v[96:97], off offset:-8
	scratch_load_b64 v[96:97], off, off
.LBB110_388:
	s_wait_loadcnt 0x0
	flat_store_b64 v[2:3], v[96:97]
	scratch_load_b64 v[2:3], off, off offset:8
	v_lshl_add_u64 v[140:141], v[6:7], 3, s[2:3]
	v_lshl_add_u64 v[138:139], v[8:9], 3, s[2:3]
	;; [unrolled: 1-line block ×45, first 2 shown]
	s_wait_loadcnt 0x0
	flat_store_b64 v[4:5], v[2:3]
	scratch_load_b64 v[2:3], off, off offset:16
	s_wait_loadcnt 0x0
	flat_store_b64 v[140:141], v[2:3]
	scratch_load_b64 v[2:3], off, off offset:24
	;; [unrolled: 3-line block ×45, first 2 shown]
	s_wait_loadcnt 0x0
	flat_store_b64 v[0:1], v[2:3]
	s_sendmsg sendmsg(MSG_DEALLOC_VGPRS)
	s_endpgm
	.section	.rodata,"a",@progbits
	.p2align	6, 0x0
	.amdhsa_kernel _ZN9rocsolver6v33100L18getri_kernel_smallILi47E19rocblas_complex_numIfEPKPS3_EEvT1_iilPiilS8_bb
		.amdhsa_group_segment_fixed_size 760
		.amdhsa_private_segment_fixed_size 384
		.amdhsa_kernarg_size 60
		.amdhsa_user_sgpr_count 2
		.amdhsa_user_sgpr_dispatch_ptr 0
		.amdhsa_user_sgpr_queue_ptr 0
		.amdhsa_user_sgpr_kernarg_segment_ptr 1
		.amdhsa_user_sgpr_dispatch_id 0
		.amdhsa_user_sgpr_kernarg_preload_length 0
		.amdhsa_user_sgpr_kernarg_preload_offset 0
		.amdhsa_user_sgpr_private_segment_size 0
		.amdhsa_wavefront_size32 1
		.amdhsa_uses_dynamic_stack 0
		.amdhsa_enable_private_segment 1
		.amdhsa_system_sgpr_workgroup_id_x 1
		.amdhsa_system_sgpr_workgroup_id_y 0
		.amdhsa_system_sgpr_workgroup_id_z 0
		.amdhsa_system_sgpr_workgroup_info 0
		.amdhsa_system_vgpr_workitem_id 0
		.amdhsa_next_free_vgpr 326
		.amdhsa_next_free_sgpr 19
		.amdhsa_named_barrier_count 0
		.amdhsa_reserve_vcc 1
		.amdhsa_float_round_mode_32 0
		.amdhsa_float_round_mode_16_64 0
		.amdhsa_float_denorm_mode_32 3
		.amdhsa_float_denorm_mode_16_64 3
		.amdhsa_fp16_overflow 0
		.amdhsa_memory_ordered 1
		.amdhsa_forward_progress 1
		.amdhsa_inst_pref_size 255
		.amdhsa_round_robin_scheduling 0
		.amdhsa_exception_fp_ieee_invalid_op 0
		.amdhsa_exception_fp_denorm_src 0
		.amdhsa_exception_fp_ieee_div_zero 0
		.amdhsa_exception_fp_ieee_overflow 0
		.amdhsa_exception_fp_ieee_underflow 0
		.amdhsa_exception_fp_ieee_inexact 0
		.amdhsa_exception_int_div_zero 0
	.end_amdhsa_kernel
	.section	.text._ZN9rocsolver6v33100L18getri_kernel_smallILi47E19rocblas_complex_numIfEPKPS3_EEvT1_iilPiilS8_bb,"axG",@progbits,_ZN9rocsolver6v33100L18getri_kernel_smallILi47E19rocblas_complex_numIfEPKPS3_EEvT1_iilPiilS8_bb,comdat
.Lfunc_end110:
	.size	_ZN9rocsolver6v33100L18getri_kernel_smallILi47E19rocblas_complex_numIfEPKPS3_EEvT1_iilPiilS8_bb, .Lfunc_end110-_ZN9rocsolver6v33100L18getri_kernel_smallILi47E19rocblas_complex_numIfEPKPS3_EEvT1_iilPiilS8_bb
                                        ; -- End function
	.set _ZN9rocsolver6v33100L18getri_kernel_smallILi47E19rocblas_complex_numIfEPKPS3_EEvT1_iilPiilS8_bb.num_vgpr, 326
	.set _ZN9rocsolver6v33100L18getri_kernel_smallILi47E19rocblas_complex_numIfEPKPS3_EEvT1_iilPiilS8_bb.num_agpr, 0
	.set _ZN9rocsolver6v33100L18getri_kernel_smallILi47E19rocblas_complex_numIfEPKPS3_EEvT1_iilPiilS8_bb.numbered_sgpr, 19
	.set _ZN9rocsolver6v33100L18getri_kernel_smallILi47E19rocblas_complex_numIfEPKPS3_EEvT1_iilPiilS8_bb.num_named_barrier, 0
	.set _ZN9rocsolver6v33100L18getri_kernel_smallILi47E19rocblas_complex_numIfEPKPS3_EEvT1_iilPiilS8_bb.private_seg_size, 384
	.set _ZN9rocsolver6v33100L18getri_kernel_smallILi47E19rocblas_complex_numIfEPKPS3_EEvT1_iilPiilS8_bb.uses_vcc, 1
	.set _ZN9rocsolver6v33100L18getri_kernel_smallILi47E19rocblas_complex_numIfEPKPS3_EEvT1_iilPiilS8_bb.uses_flat_scratch, 1
	.set _ZN9rocsolver6v33100L18getri_kernel_smallILi47E19rocblas_complex_numIfEPKPS3_EEvT1_iilPiilS8_bb.has_dyn_sized_stack, 0
	.set _ZN9rocsolver6v33100L18getri_kernel_smallILi47E19rocblas_complex_numIfEPKPS3_EEvT1_iilPiilS8_bb.has_recursion, 0
	.set _ZN9rocsolver6v33100L18getri_kernel_smallILi47E19rocblas_complex_numIfEPKPS3_EEvT1_iilPiilS8_bb.has_indirect_call, 0
	.section	.AMDGPU.csdata,"",@progbits
; Kernel info:
; codeLenInByte = 84400
; TotalNumSgprs: 21
; NumVgprs: 326
; ScratchSize: 384
; MemoryBound: 0
; FloatMode: 240
; IeeeMode: 1
; LDSByteSize: 760 bytes/workgroup (compile time only)
; SGPRBlocks: 0
; VGPRBlocks: 20
; NumSGPRsForWavesPerEU: 21
; NumVGPRsForWavesPerEU: 326
; NamedBarCnt: 0
; Occupancy: 3
; WaveLimiterHint : 1
; COMPUTE_PGM_RSRC2:SCRATCH_EN: 1
; COMPUTE_PGM_RSRC2:USER_SGPR: 2
; COMPUTE_PGM_RSRC2:TRAP_HANDLER: 0
; COMPUTE_PGM_RSRC2:TGID_X_EN: 1
; COMPUTE_PGM_RSRC2:TGID_Y_EN: 0
; COMPUTE_PGM_RSRC2:TGID_Z_EN: 0
; COMPUTE_PGM_RSRC2:TIDIG_COMP_CNT: 0
	.section	.text._ZN9rocsolver6v33100L18getri_kernel_smallILi48E19rocblas_complex_numIfEPKPS3_EEvT1_iilPiilS8_bb,"axG",@progbits,_ZN9rocsolver6v33100L18getri_kernel_smallILi48E19rocblas_complex_numIfEPKPS3_EEvT1_iilPiilS8_bb,comdat
	.globl	_ZN9rocsolver6v33100L18getri_kernel_smallILi48E19rocblas_complex_numIfEPKPS3_EEvT1_iilPiilS8_bb ; -- Begin function _ZN9rocsolver6v33100L18getri_kernel_smallILi48E19rocblas_complex_numIfEPKPS3_EEvT1_iilPiilS8_bb
	.p2align	8
	.type	_ZN9rocsolver6v33100L18getri_kernel_smallILi48E19rocblas_complex_numIfEPKPS3_EEvT1_iilPiilS8_bb,@function
_ZN9rocsolver6v33100L18getri_kernel_smallILi48E19rocblas_complex_numIfEPKPS3_EEvT1_iilPiilS8_bb: ; @_ZN9rocsolver6v33100L18getri_kernel_smallILi48E19rocblas_complex_numIfEPKPS3_EEvT1_iilPiilS8_bb
; %bb.0:
	s_mov_b32 s2, exec_lo
	v_cmpx_gt_u32_e32 48, v0
	s_cbranch_execz .LBB111_206
; %bb.1:
	s_clause 0x1
	s_load_b32 s13, s[0:1], 0x38
	s_load_b64 s[2:3], s[0:1], 0x0
	s_getreg_b32 s6, hwreg(HW_REG_IB_STS2, 6, 4)
	s_wait_kmcnt 0x0
	s_bitcmp1_b32 s13, 8
	s_cselect_b32 s12, -1, 0
	s_bfe_u32 s4, ttmp6, 0x4000c
	s_and_b32 s5, ttmp6, 15
	s_add_co_i32 s4, s4, 1
	s_delay_alu instid0(SALU_CYCLE_1) | instskip(NEXT) | instid1(SALU_CYCLE_1)
	s_mul_i32 s4, ttmp9, s4
	s_add_co_i32 s5, s5, s4
	s_cmp_eq_u32 s6, 0
	s_cselect_b32 s10, ttmp9, s5
	s_load_b128 s[4:7], s[0:1], 0x28
	s_ashr_i32 s11, s10, 31
	s_delay_alu instid0(SALU_CYCLE_1) | instskip(NEXT) | instid1(SALU_CYCLE_1)
	s_lshl_b64 s[8:9], s[10:11], 3
	s_add_nc_u64 s[2:3], s[2:3], s[8:9]
	s_bfe_u32 s8, s13, 0x10008
	s_load_b64 s[2:3], s[2:3], 0x0
	s_cmp_eq_u32 s8, 0
                                        ; implicit-def: $sgpr8_sgpr9
	s_cbranch_scc1 .LBB111_3
; %bb.2:
	s_load_b96 s[16:18], s[0:1], 0x18
	s_wait_kmcnt 0x0
	s_mul_u64 s[4:5], s[4:5], s[10:11]
	s_delay_alu instid0(SALU_CYCLE_1) | instskip(SKIP_4) | instid1(SALU_CYCLE_1)
	s_lshl_b64 s[4:5], s[4:5], 2
	s_ashr_i32 s9, s18, 31
	s_mov_b32 s8, s18
	s_add_nc_u64 s[4:5], s[16:17], s[4:5]
	s_lshl_b64 s[8:9], s[8:9], 2
	s_add_nc_u64 s[8:9], s[4:5], s[8:9]
.LBB111_3:
	s_wait_kmcnt 0x0
	s_clause 0x1
	s_load_b64 s[4:5], s[0:1], 0x8
	s_load_b32 s13, s[0:1], 0x38
	v_dual_mov_b32 v99, 0 :: v_dual_lshlrev_b32 v98, 3, v0
	s_wait_kmcnt 0x0
	s_ashr_i32 s1, s4, 31
	s_mov_b32 s0, s4
	s_delay_alu instid0(SALU_CYCLE_1) | instskip(NEXT) | instid1(SALU_CYCLE_1)
	s_lshl_b64 s[0:1], s[0:1], 3
	s_add_nc_u64 s[2:3], s[2:3], s[0:1]
	s_ashr_i32 s1, s5, 31
	flat_load_b64 v[6:7], v0, s[2:3] scale_offset
	v_add_nc_u64_e32 v[2:3], s[2:3], v[98:99]
	s_mov_b32 s0, s5
	s_bitcmp0_b32 s13, 0
	s_delay_alu instid0(VALU_DEP_1)
	v_lshl_add_u64 v[4:5], s[0:1], 3, v[2:3]
	s_mov_b32 s1, -1
	s_wait_loadcnt_dscnt 0x0
	scratch_store_b64 off, v[6:7], off
	flat_load_b64 v[8:9], v[4:5]
	s_wait_xcnt 0x1
	v_add3_u32 v6, s5, s5, v0
	s_wait_loadcnt_dscnt 0x0
	scratch_store_b64 off, v[8:9], off offset:8
	flat_load_b64 v[10:11], v6, s[2:3] scale_offset
	s_wait_xcnt 0x1
	v_add_nc_u32_e32 v8, s5, v6
	s_wait_loadcnt_dscnt 0x0
	scratch_store_b64 off, v[10:11], off offset:16
	flat_load_b64 v[12:13], v8, s[2:3] scale_offset
	s_wait_xcnt 0x1
	v_add_nc_u32_e32 v10, s5, v8
	;; [unrolled: 5-line block ×45, first 2 shown]
	s_wait_loadcnt_dscnt 0x0
	scratch_store_b64 off, v[100:101], off offset:368
	flat_load_b64 v[100:101], v96, s[2:3] scale_offset
	s_wait_loadcnt_dscnt 0x0
	scratch_store_b64 off, v[100:101], off offset:376
	s_cbranch_scc1 .LBB111_204
; %bb.4:
	v_cmp_eq_u32_e64 s0, 0, v0
	s_wait_xcnt 0x0
	s_and_saveexec_b32 s1, s0
; %bb.5:
	v_mov_b32_e32 v1, 0
	ds_store_b32 v1, v1 offset:768
; %bb.6:
	s_or_b32 exec_lo, exec_lo, s1
	s_wait_storecnt_dscnt 0x0
	s_barrier_signal -1
	s_barrier_wait -1
	scratch_load_b64 v[100:101], v0, off scale_offset
	s_wait_loadcnt 0x0
	v_cmp_eq_f32_e32 vcc_lo, 0, v100
	v_cmp_eq_f32_e64 s1, 0, v101
	s_and_b32 s1, vcc_lo, s1
	s_delay_alu instid0(SALU_CYCLE_1)
	s_and_saveexec_b32 s4, s1
	s_cbranch_execz .LBB111_10
; %bb.7:
	v_mov_b32_e32 v1, 0
	s_mov_b32 s5, 0
	ds_load_b32 v7, v1 offset:768
	s_wait_dscnt 0x0
	v_readfirstlane_b32 s1, v7
	v_add_nc_u32_e32 v7, 1, v0
	s_cmp_eq_u32 s1, 0
	s_delay_alu instid0(VALU_DEP_1) | instskip(SKIP_1) | instid1(SALU_CYCLE_1)
	v_cmp_gt_i32_e32 vcc_lo, s1, v7
	s_cselect_b32 s13, -1, 0
	s_or_b32 s13, s13, vcc_lo
	s_delay_alu instid0(SALU_CYCLE_1)
	s_and_b32 exec_lo, exec_lo, s13
	s_cbranch_execz .LBB111_10
; %bb.8:
	v_mov_b32_e32 v9, s1
.LBB111_9:                              ; =>This Inner Loop Header: Depth=1
	ds_cmpstore_rtn_b32 v9, v1, v7, v9 offset:768
	s_wait_dscnt 0x0
	v_cmp_ne_u32_e32 vcc_lo, 0, v9
	v_cmp_le_i32_e64 s1, v9, v7
	s_and_b32 s1, vcc_lo, s1
	s_delay_alu instid0(SALU_CYCLE_1) | instskip(NEXT) | instid1(SALU_CYCLE_1)
	s_and_b32 s1, exec_lo, s1
	s_or_b32 s5, s1, s5
	s_delay_alu instid0(SALU_CYCLE_1)
	s_and_not1_b32 exec_lo, exec_lo, s5
	s_cbranch_execnz .LBB111_9
.LBB111_10:
	s_or_b32 exec_lo, exec_lo, s4
	v_mov_b32_e32 v1, 0
	s_barrier_signal -1
	s_barrier_wait -1
	ds_load_b32 v7, v1 offset:768
	s_and_saveexec_b32 s1, s0
	s_cbranch_execz .LBB111_12
; %bb.11:
	s_lshl_b64 s[4:5], s[10:11], 2
	s_delay_alu instid0(SALU_CYCLE_1)
	s_add_nc_u64 s[4:5], s[6:7], s[4:5]
	s_wait_dscnt 0x0
	global_store_b32 v1, v7, s[4:5]
.LBB111_12:
	s_wait_xcnt 0x0
	s_or_b32 exec_lo, exec_lo, s1
	s_wait_dscnt 0x0
	v_cmp_ne_u32_e32 vcc_lo, 0, v7
	s_mov_b32 s1, 0
	s_cbranch_vccnz .LBB111_204
; %bb.13:
	v_lshl_add_u32 v7, v0, 3, 0
                                        ; implicit-def: $vgpr103
                                        ; implicit-def: $vgpr104
	scratch_load_b64 v[100:101], v7, off
	s_wait_loadcnt 0x0
	v_cmp_ngt_f32_e64 s1, |v100|, |v101|
	s_wait_xcnt 0x0
	s_and_saveexec_b32 s4, s1
	s_delay_alu instid0(SALU_CYCLE_1)
	s_xor_b32 s1, exec_lo, s4
	s_cbranch_execz .LBB111_15
; %bb.14:
	v_div_scale_f32 v1, null, v101, v101, v100
	v_div_scale_f32 v13, vcc_lo, v100, v101, v100
	s_delay_alu instid0(VALU_DEP_2) | instskip(SKIP_1) | instid1(TRANS32_DEP_1)
	v_rcp_f32_e32 v9, v1
	v_nop
	v_fma_f32 v11, -v1, v9, 1.0
	s_delay_alu instid0(VALU_DEP_1) | instskip(NEXT) | instid1(VALU_DEP_1)
	v_fmac_f32_e32 v9, v11, v9
	v_mul_f32_e32 v11, v13, v9
	s_delay_alu instid0(VALU_DEP_1) | instskip(NEXT) | instid1(VALU_DEP_1)
	v_fma_f32 v15, -v1, v11, v13
	v_fmac_f32_e32 v11, v15, v9
	s_delay_alu instid0(VALU_DEP_1) | instskip(NEXT) | instid1(VALU_DEP_1)
	v_fma_f32 v1, -v1, v11, v13
	v_div_fmas_f32 v1, v1, v9, v11
	s_delay_alu instid0(VALU_DEP_1) | instskip(NEXT) | instid1(VALU_DEP_1)
	v_div_fixup_f32 v1, v1, v101, v100
	v_fmac_f32_e32 v101, v100, v1
	s_delay_alu instid0(VALU_DEP_1) | instskip(NEXT) | instid1(VALU_DEP_1)
	v_div_scale_f32 v9, null, v101, v101, -1.0
	v_rcp_f32_e32 v11, v9
	v_nop
	s_delay_alu instid0(TRANS32_DEP_1) | instskip(NEXT) | instid1(VALU_DEP_1)
	v_fma_f32 v13, -v9, v11, 1.0
	v_fmac_f32_e32 v11, v13, v11
	v_div_scale_f32 v13, vcc_lo, -1.0, v101, -1.0
	s_delay_alu instid0(VALU_DEP_1) | instskip(NEXT) | instid1(VALU_DEP_1)
	v_mul_f32_e32 v15, v13, v11
	v_fma_f32 v17, -v9, v15, v13
	s_delay_alu instid0(VALU_DEP_1) | instskip(NEXT) | instid1(VALU_DEP_1)
	v_fmac_f32_e32 v15, v17, v11
	v_fma_f32 v9, -v9, v15, v13
	s_delay_alu instid0(VALU_DEP_1) | instskip(NEXT) | instid1(VALU_DEP_1)
	v_div_fmas_f32 v9, v9, v11, v15
	v_div_fixup_f32 v103, v9, v101, -1.0
                                        ; implicit-def: $vgpr100_vgpr101
	s_delay_alu instid0(VALU_DEP_1) | instskip(NEXT) | instid1(VALU_DEP_1)
	v_mul_f32_e32 v104, v1, v103
	v_xor_b32_e32 v102, 0x80000000, v104
.LBB111_15:
	s_and_not1_saveexec_b32 s1, s1
	s_cbranch_execz .LBB111_17
; %bb.16:
	v_div_scale_f32 v1, null, v100, v100, v101
	v_div_scale_f32 v13, vcc_lo, v101, v100, v101
	s_delay_alu instid0(VALU_DEP_2) | instskip(SKIP_1) | instid1(TRANS32_DEP_1)
	v_rcp_f32_e32 v9, v1
	v_nop
	v_fma_f32 v11, -v1, v9, 1.0
	s_delay_alu instid0(VALU_DEP_1) | instskip(NEXT) | instid1(VALU_DEP_1)
	v_fmac_f32_e32 v9, v11, v9
	v_mul_f32_e32 v11, v13, v9
	s_delay_alu instid0(VALU_DEP_1) | instskip(NEXT) | instid1(VALU_DEP_1)
	v_fma_f32 v15, -v1, v11, v13
	v_fmac_f32_e32 v11, v15, v9
	s_delay_alu instid0(VALU_DEP_1) | instskip(NEXT) | instid1(VALU_DEP_1)
	v_fma_f32 v1, -v1, v11, v13
	v_div_fmas_f32 v1, v1, v9, v11
	s_delay_alu instid0(VALU_DEP_1) | instskip(NEXT) | instid1(VALU_DEP_1)
	v_div_fixup_f32 v1, v1, v100, v101
	v_fmac_f32_e32 v100, v101, v1
	s_delay_alu instid0(VALU_DEP_1) | instskip(SKIP_1) | instid1(VALU_DEP_2)
	v_div_scale_f32 v9, null, v100, v100, 1.0
	v_div_scale_f32 v15, vcc_lo, 1.0, v100, 1.0
	v_rcp_f32_e32 v11, v9
	v_nop
	s_delay_alu instid0(TRANS32_DEP_1) | instskip(NEXT) | instid1(VALU_DEP_1)
	v_fma_f32 v13, -v9, v11, 1.0
	v_fmac_f32_e32 v11, v13, v11
	s_delay_alu instid0(VALU_DEP_1) | instskip(NEXT) | instid1(VALU_DEP_1)
	v_mul_f32_e32 v13, v15, v11
	v_fma_f32 v17, -v9, v13, v15
	s_delay_alu instid0(VALU_DEP_1) | instskip(NEXT) | instid1(VALU_DEP_1)
	v_fmac_f32_e32 v13, v17, v11
	v_fma_f32 v9, -v9, v13, v15
	s_delay_alu instid0(VALU_DEP_1) | instskip(NEXT) | instid1(VALU_DEP_1)
	v_div_fmas_f32 v9, v9, v11, v13
	v_div_fixup_f32 v102, v9, v100, 1.0
	s_delay_alu instid0(VALU_DEP_1)
	v_xor_b32_e32 v104, 0x80000000, v102
	v_mul_f32_e64 v103, v1, -v102
.LBB111_17:
	s_or_b32 exec_lo, exec_lo, s1
	scratch_store_b64 v7, v[102:103], off
	scratch_load_b64 v[100:101], off, off offset:8
	v_xor_b32_e32 v105, 0x80000000, v103
	v_add_nc_u32_e32 v1, 0x180, v98
	s_wait_loadcnt 0x0
	ds_store_2addr_b64 v98, v[104:105], v[100:101] offset1:48
	s_wait_storecnt_dscnt 0x0
	s_barrier_signal -1
	s_barrier_wait -1
	s_wait_xcnt 0x0
	s_and_saveexec_b32 s1, s0
	s_cbranch_execz .LBB111_19
; %bb.18:
	scratch_load_b64 v[100:101], v7, off
	ds_load_b64 v[102:103], v1
	s_wait_loadcnt_dscnt 0x0
	v_pk_mul_f32 v[106:107], v[102:103], v[100:101] op_sel:[1,1] op_sel_hi:[0,1]
	s_delay_alu instid0(VALU_DEP_1) | instskip(SKIP_2) | instid1(VALU_DEP_3)
	v_pk_fma_f32 v[108:109], v[102:103], v[100:101], v[106:107] op_sel_hi:[1,0,1]
	v_mov_b32_e32 v9, 0
	v_pk_fma_f32 v[100:101], v[102:103], v[100:101], v[106:107] neg_lo:[0,0,1] neg_hi:[0,0,1]
	v_mov_b32_e32 v101, v109
	ds_load_b64 v[104:105], v9 offset:8
	v_pk_add_f32 v[100:101], v[100:101], 0 op_sel_hi:[1,0]
	s_wait_dscnt 0x0
	s_delay_alu instid0(VALU_DEP_1) | instskip(NEXT) | instid1(VALU_DEP_1)
	v_pk_mul_f32 v[102:103], v[100:101], v[104:105] op_sel:[1,1] op_sel_hi:[0,1]
	v_pk_fma_f32 v[106:107], v[100:101], v[104:105], v[102:103] op_sel_hi:[1,0,1]
	v_pk_fma_f32 v[100:101], v[100:101], v[104:105], v[102:103] neg_lo:[0,0,1] neg_hi:[0,0,1]
	s_delay_alu instid0(VALU_DEP_2)
	v_mov_b32_e32 v101, v107
	scratch_store_b64 off, v[100:101], off offset:8
.LBB111_19:
	s_wait_xcnt 0x0
	s_or_b32 exec_lo, exec_lo, s1
	s_wait_storecnt 0x0
	s_barrier_signal -1
	s_barrier_wait -1
	scratch_load_b64 v[100:101], off, off offset:16
	s_mov_b32 s1, exec_lo
	s_wait_loadcnt 0x0
	ds_store_b64 v1, v[100:101]
	s_wait_dscnt 0x0
	s_barrier_signal -1
	s_barrier_wait -1
	v_cmpx_gt_u32_e32 2, v0
	s_cbranch_execz .LBB111_23
; %bb.20:
	scratch_load_b64 v[100:101], v7, off
	ds_load_b64 v[102:103], v1
	s_wait_loadcnt_dscnt 0x0
	v_pk_mul_f32 v[104:105], v[102:103], v[100:101] op_sel:[1,1] op_sel_hi:[0,1]
	s_delay_alu instid0(VALU_DEP_1) | instskip(SKIP_1) | instid1(VALU_DEP_2)
	v_pk_fma_f32 v[106:107], v[102:103], v[100:101], v[104:105] op_sel_hi:[1,0,1]
	v_pk_fma_f32 v[100:101], v[102:103], v[100:101], v[104:105] neg_lo:[0,0,1] neg_hi:[0,0,1]
	v_mov_b32_e32 v101, v107
	s_delay_alu instid0(VALU_DEP_1)
	v_pk_add_f32 v[100:101], v[100:101], 0 op_sel_hi:[1,0]
	s_and_saveexec_b32 s4, s0
	s_cbranch_execz .LBB111_22
; %bb.21:
	scratch_load_b64 v[102:103], off, off offset:8
	v_mov_b32_e32 v7, 0
	ds_load_b64 v[104:105], v7 offset:392
	s_wait_loadcnt_dscnt 0x0
	v_pk_mul_f32 v[106:107], v[104:105], v[102:103] op_sel:[1,1] op_sel_hi:[0,1]
	s_delay_alu instid0(VALU_DEP_1) | instskip(SKIP_1) | instid1(VALU_DEP_2)
	v_pk_fma_f32 v[108:109], v[104:105], v[102:103], v[106:107] op_sel_hi:[1,0,1]
	v_pk_fma_f32 v[102:103], v[104:105], v[102:103], v[106:107] neg_lo:[0,0,1] neg_hi:[0,0,1]
	v_mov_b32_e32 v103, v109
	s_delay_alu instid0(VALU_DEP_1)
	v_pk_add_f32 v[100:101], v[100:101], v[102:103]
.LBB111_22:
	s_or_b32 exec_lo, exec_lo, s4
	v_mov_b32_e32 v7, 0
	ds_load_b64 v[102:103], v7 offset:16
	s_wait_dscnt 0x0
	v_pk_mul_f32 v[104:105], v[100:101], v[102:103] op_sel:[1,1] op_sel_hi:[0,1]
	s_delay_alu instid0(VALU_DEP_1) | instskip(SKIP_1) | instid1(VALU_DEP_2)
	v_pk_fma_f32 v[106:107], v[100:101], v[102:103], v[104:105] op_sel_hi:[1,0,1]
	v_pk_fma_f32 v[100:101], v[100:101], v[102:103], v[104:105] neg_lo:[0,0,1] neg_hi:[0,0,1]
	v_mov_b32_e32 v101, v107
	scratch_store_b64 off, v[100:101], off offset:16
.LBB111_23:
	s_wait_xcnt 0x0
	s_or_b32 exec_lo, exec_lo, s1
	s_wait_storecnt 0x0
	s_barrier_signal -1
	s_barrier_wait -1
	scratch_load_b64 v[100:101], off, off offset:24
	v_add_nc_u32_e32 v7, -1, v0
	s_mov_b32 s0, exec_lo
	s_wait_loadcnt 0x0
	ds_store_b64 v1, v[100:101]
	s_wait_dscnt 0x0
	s_barrier_signal -1
	s_barrier_wait -1
	v_cmpx_gt_u32_e32 3, v0
	s_cbranch_execz .LBB111_27
; %bb.24:
	v_dual_mov_b32 v100, 0 :: v_dual_add_nc_u32 v9, -1, v0
	v_add_nc_u32_e32 v11, 0x180, v98
	v_mov_b32_e32 v13, v98
	s_mov_b32 s1, 0
	s_delay_alu instid0(VALU_DEP_3)
	v_mov_b32_e32 v101, v100
.LBB111_25:                             ; =>This Inner Loop Header: Depth=1
	scratch_load_b64 v[102:103], v13, off
	ds_load_b64 v[104:105], v11
	s_wait_xcnt 0x0
	v_dual_add_nc_u32 v11, 8, v11 :: v_dual_add_nc_u32 v13, 8, v13
	s_wait_loadcnt_dscnt 0x0
	v_pk_mul_f32 v[106:107], v[104:105], v[102:103] op_sel:[1,1] op_sel_hi:[0,1]
	s_delay_alu instid0(VALU_DEP_1) | instskip(SKIP_2) | instid1(VALU_DEP_3)
	v_pk_fma_f32 v[108:109], v[104:105], v[102:103], v[106:107] op_sel_hi:[1,0,1]
	v_add_nc_u32_e32 v9, 1, v9
	v_pk_fma_f32 v[102:103], v[104:105], v[102:103], v[106:107] neg_lo:[0,0,1] neg_hi:[0,0,1]
	v_mov_b32_e32 v103, v109
	s_delay_alu instid0(VALU_DEP_3) | instskip(NEXT) | instid1(VALU_DEP_2)
	v_cmp_lt_u32_e32 vcc_lo, 1, v9
	v_pk_add_f32 v[100:101], v[100:101], v[102:103]
	s_or_b32 s1, vcc_lo, s1
	s_delay_alu instid0(SALU_CYCLE_1)
	s_and_not1_b32 exec_lo, exec_lo, s1
	s_cbranch_execnz .LBB111_25
; %bb.26:
	s_or_b32 exec_lo, exec_lo, s1
	v_mov_b32_e32 v9, 0
	ds_load_b64 v[102:103], v9 offset:24
	s_wait_dscnt 0x0
	v_pk_mul_f32 v[104:105], v[100:101], v[102:103] op_sel:[1,1] op_sel_hi:[0,1]
	s_delay_alu instid0(VALU_DEP_1) | instskip(SKIP_1) | instid1(VALU_DEP_2)
	v_pk_fma_f32 v[106:107], v[100:101], v[102:103], v[104:105] op_sel_hi:[1,0,1]
	v_pk_fma_f32 v[100:101], v[100:101], v[102:103], v[104:105] neg_lo:[0,0,1] neg_hi:[0,0,1]
	v_mov_b32_e32 v101, v107
	scratch_store_b64 off, v[100:101], off offset:24
.LBB111_27:
	s_wait_xcnt 0x0
	s_or_b32 exec_lo, exec_lo, s0
	s_wait_storecnt 0x0
	s_barrier_signal -1
	s_barrier_wait -1
	scratch_load_b64 v[100:101], off, off offset:32
	s_mov_b32 s0, exec_lo
	s_wait_loadcnt 0x0
	ds_store_b64 v1, v[100:101]
	s_wait_dscnt 0x0
	s_barrier_signal -1
	s_barrier_wait -1
	v_cmpx_gt_u32_e32 4, v0
	s_cbranch_execz .LBB111_31
; %bb.28:
	v_dual_mov_b32 v100, 0 :: v_dual_add_nc_u32 v9, -1, v0
	v_add_nc_u32_e32 v11, 0x180, v98
	v_mov_b32_e32 v13, v98
	s_mov_b32 s1, 0
	s_delay_alu instid0(VALU_DEP_3)
	v_mov_b32_e32 v101, v100
.LBB111_29:                             ; =>This Inner Loop Header: Depth=1
	scratch_load_b64 v[102:103], v13, off
	ds_load_b64 v[104:105], v11
	s_wait_xcnt 0x0
	v_dual_add_nc_u32 v11, 8, v11 :: v_dual_add_nc_u32 v13, 8, v13
	s_wait_loadcnt_dscnt 0x0
	v_pk_mul_f32 v[106:107], v[104:105], v[102:103] op_sel:[1,1] op_sel_hi:[0,1]
	s_delay_alu instid0(VALU_DEP_1) | instskip(SKIP_2) | instid1(VALU_DEP_3)
	v_pk_fma_f32 v[108:109], v[104:105], v[102:103], v[106:107] op_sel_hi:[1,0,1]
	v_add_nc_u32_e32 v9, 1, v9
	v_pk_fma_f32 v[102:103], v[104:105], v[102:103], v[106:107] neg_lo:[0,0,1] neg_hi:[0,0,1]
	v_mov_b32_e32 v103, v109
	s_delay_alu instid0(VALU_DEP_3) | instskip(NEXT) | instid1(VALU_DEP_2)
	v_cmp_lt_u32_e32 vcc_lo, 2, v9
	v_pk_add_f32 v[100:101], v[100:101], v[102:103]
	s_or_b32 s1, vcc_lo, s1
	s_delay_alu instid0(SALU_CYCLE_1)
	s_and_not1_b32 exec_lo, exec_lo, s1
	s_cbranch_execnz .LBB111_29
; %bb.30:
	s_or_b32 exec_lo, exec_lo, s1
	v_mov_b32_e32 v9, 0
	ds_load_b64 v[102:103], v9 offset:32
	s_wait_dscnt 0x0
	v_pk_mul_f32 v[104:105], v[100:101], v[102:103] op_sel:[1,1] op_sel_hi:[0,1]
	s_delay_alu instid0(VALU_DEP_1) | instskip(SKIP_1) | instid1(VALU_DEP_2)
	v_pk_fma_f32 v[106:107], v[100:101], v[102:103], v[104:105] op_sel_hi:[1,0,1]
	v_pk_fma_f32 v[100:101], v[100:101], v[102:103], v[104:105] neg_lo:[0,0,1] neg_hi:[0,0,1]
	v_mov_b32_e32 v101, v107
	scratch_store_b64 off, v[100:101], off offset:32
.LBB111_31:
	s_wait_xcnt 0x0
	s_or_b32 exec_lo, exec_lo, s0
	s_wait_storecnt 0x0
	s_barrier_signal -1
	s_barrier_wait -1
	scratch_load_b64 v[100:101], off, off offset:40
	;; [unrolled: 52-line block ×19, first 2 shown]
	s_mov_b32 s0, exec_lo
	s_wait_loadcnt 0x0
	ds_store_b64 v1, v[100:101]
	s_wait_dscnt 0x0
	s_barrier_signal -1
	s_barrier_wait -1
	v_cmpx_gt_u32_e32 22, v0
	s_cbranch_execz .LBB111_103
; %bb.100:
	v_dual_mov_b32 v100, 0 :: v_dual_add_nc_u32 v9, -1, v0
	v_add_nc_u32_e32 v11, 0x180, v98
	v_mov_b32_e32 v13, v98
	s_mov_b32 s1, 0
	s_delay_alu instid0(VALU_DEP_3)
	v_mov_b32_e32 v101, v100
.LBB111_101:                            ; =>This Inner Loop Header: Depth=1
	scratch_load_b64 v[102:103], v13, off
	ds_load_b64 v[104:105], v11
	s_wait_xcnt 0x0
	v_dual_add_nc_u32 v11, 8, v11 :: v_dual_add_nc_u32 v13, 8, v13
	s_wait_loadcnt_dscnt 0x0
	v_pk_mul_f32 v[106:107], v[104:105], v[102:103] op_sel:[1,1] op_sel_hi:[0,1]
	s_delay_alu instid0(VALU_DEP_1) | instskip(SKIP_2) | instid1(VALU_DEP_3)
	v_pk_fma_f32 v[108:109], v[104:105], v[102:103], v[106:107] op_sel_hi:[1,0,1]
	v_add_nc_u32_e32 v9, 1, v9
	v_pk_fma_f32 v[102:103], v[104:105], v[102:103], v[106:107] neg_lo:[0,0,1] neg_hi:[0,0,1]
	v_mov_b32_e32 v103, v109
	s_delay_alu instid0(VALU_DEP_3) | instskip(NEXT) | instid1(VALU_DEP_2)
	v_cmp_lt_u32_e32 vcc_lo, 20, v9
	v_pk_add_f32 v[100:101], v[100:101], v[102:103]
	s_or_b32 s1, vcc_lo, s1
	s_delay_alu instid0(SALU_CYCLE_1)
	s_and_not1_b32 exec_lo, exec_lo, s1
	s_cbranch_execnz .LBB111_101
; %bb.102:
	s_or_b32 exec_lo, exec_lo, s1
	v_mov_b32_e32 v9, 0
	ds_load_b64 v[102:103], v9 offset:176
	s_wait_dscnt 0x0
	v_pk_mul_f32 v[104:105], v[100:101], v[102:103] op_sel:[1,1] op_sel_hi:[0,1]
	s_delay_alu instid0(VALU_DEP_1) | instskip(SKIP_1) | instid1(VALU_DEP_2)
	v_pk_fma_f32 v[106:107], v[100:101], v[102:103], v[104:105] op_sel_hi:[1,0,1]
	v_pk_fma_f32 v[100:101], v[100:101], v[102:103], v[104:105] neg_lo:[0,0,1] neg_hi:[0,0,1]
	v_mov_b32_e32 v101, v107
	scratch_store_b64 off, v[100:101], off offset:176
.LBB111_103:
	s_wait_xcnt 0x0
	s_or_b32 exec_lo, exec_lo, s0
	s_wait_storecnt 0x0
	s_barrier_signal -1
	s_barrier_wait -1
	scratch_load_b64 v[100:101], off, off offset:184
	s_mov_b32 s0, exec_lo
	s_wait_loadcnt 0x0
	ds_store_b64 v1, v[100:101]
	s_wait_dscnt 0x0
	s_barrier_signal -1
	s_barrier_wait -1
	v_cmpx_gt_u32_e32 23, v0
	s_cbranch_execz .LBB111_107
; %bb.104:
	v_dual_mov_b32 v100, 0 :: v_dual_add_nc_u32 v9, -1, v0
	v_add_nc_u32_e32 v11, 0x180, v98
	v_mov_b32_e32 v13, v98
	s_mov_b32 s1, 0
	s_delay_alu instid0(VALU_DEP_3)
	v_mov_b32_e32 v101, v100
.LBB111_105:                            ; =>This Inner Loop Header: Depth=1
	scratch_load_b64 v[102:103], v13, off
	ds_load_b64 v[104:105], v11
	s_wait_xcnt 0x0
	v_dual_add_nc_u32 v11, 8, v11 :: v_dual_add_nc_u32 v13, 8, v13
	s_wait_loadcnt_dscnt 0x0
	v_pk_mul_f32 v[106:107], v[104:105], v[102:103] op_sel:[1,1] op_sel_hi:[0,1]
	s_delay_alu instid0(VALU_DEP_1) | instskip(SKIP_2) | instid1(VALU_DEP_3)
	v_pk_fma_f32 v[108:109], v[104:105], v[102:103], v[106:107] op_sel_hi:[1,0,1]
	v_add_nc_u32_e32 v9, 1, v9
	v_pk_fma_f32 v[102:103], v[104:105], v[102:103], v[106:107] neg_lo:[0,0,1] neg_hi:[0,0,1]
	v_mov_b32_e32 v103, v109
	s_delay_alu instid0(VALU_DEP_3) | instskip(NEXT) | instid1(VALU_DEP_2)
	v_cmp_lt_u32_e32 vcc_lo, 21, v9
	v_pk_add_f32 v[100:101], v[100:101], v[102:103]
	s_or_b32 s1, vcc_lo, s1
	s_delay_alu instid0(SALU_CYCLE_1)
	s_and_not1_b32 exec_lo, exec_lo, s1
	s_cbranch_execnz .LBB111_105
; %bb.106:
	s_or_b32 exec_lo, exec_lo, s1
	v_mov_b32_e32 v9, 0
	ds_load_b64 v[102:103], v9 offset:184
	s_wait_dscnt 0x0
	v_pk_mul_f32 v[104:105], v[100:101], v[102:103] op_sel:[1,1] op_sel_hi:[0,1]
	s_delay_alu instid0(VALU_DEP_1) | instskip(SKIP_1) | instid1(VALU_DEP_2)
	v_pk_fma_f32 v[106:107], v[100:101], v[102:103], v[104:105] op_sel_hi:[1,0,1]
	v_pk_fma_f32 v[100:101], v[100:101], v[102:103], v[104:105] neg_lo:[0,0,1] neg_hi:[0,0,1]
	v_mov_b32_e32 v101, v107
	scratch_store_b64 off, v[100:101], off offset:184
.LBB111_107:
	s_wait_xcnt 0x0
	s_or_b32 exec_lo, exec_lo, s0
	s_wait_storecnt 0x0
	s_barrier_signal -1
	s_barrier_wait -1
	scratch_load_b64 v[100:101], off, off offset:192
	;; [unrolled: 52-line block ×25, first 2 shown]
	s_mov_b32 s0, exec_lo
	s_wait_loadcnt 0x0
	ds_store_b64 v1, v[100:101]
	s_wait_dscnt 0x0
	s_barrier_signal -1
	s_barrier_wait -1
	v_cmpx_ne_u32_e32 47, v0
	s_cbranch_execz .LBB111_203
; %bb.200:
	v_dual_mov_b32 v100, 0 :: v_dual_mov_b32 v9, v98
	s_mov_b32 s1, 0
	s_delay_alu instid0(VALU_DEP_1)
	v_mov_b32_e32 v101, v100
.LBB111_201:                            ; =>This Inner Loop Header: Depth=1
	scratch_load_b64 v[98:99], v9, off
	ds_load_b64 v[102:103], v1
	v_add_nc_u32_e32 v1, 8, v1
	s_wait_xcnt 0x0
	v_add_nc_u32_e32 v9, 8, v9
	s_wait_loadcnt_dscnt 0x0
	v_pk_mul_f32 v[104:105], v[102:103], v[98:99] op_sel:[1,1] op_sel_hi:[0,1]
	s_delay_alu instid0(VALU_DEP_1) | instskip(SKIP_2) | instid1(VALU_DEP_3)
	v_pk_fma_f32 v[106:107], v[102:103], v[98:99], v[104:105] op_sel_hi:[1,0,1]
	v_add_nc_u32_e32 v7, 1, v7
	v_pk_fma_f32 v[98:99], v[102:103], v[98:99], v[104:105] neg_lo:[0,0,1] neg_hi:[0,0,1]
	v_mov_b32_e32 v99, v107
	s_delay_alu instid0(VALU_DEP_3) | instskip(NEXT) | instid1(VALU_DEP_2)
	v_cmp_lt_u32_e32 vcc_lo, 45, v7
	v_pk_add_f32 v[100:101], v[100:101], v[98:99]
	s_or_b32 s1, vcc_lo, s1
	s_delay_alu instid0(SALU_CYCLE_1)
	s_and_not1_b32 exec_lo, exec_lo, s1
	s_cbranch_execnz .LBB111_201
; %bb.202:
	s_or_b32 exec_lo, exec_lo, s1
	v_mov_b32_e32 v1, 0
	ds_load_b64 v[98:99], v1 offset:376
	s_wait_dscnt 0x0
	v_pk_mul_f32 v[102:103], v[100:101], v[98:99] op_sel:[1,1] op_sel_hi:[0,1]
	s_delay_alu instid0(VALU_DEP_1) | instskip(SKIP_1) | instid1(VALU_DEP_2)
	v_pk_fma_f32 v[104:105], v[100:101], v[98:99], v[102:103] op_sel_hi:[1,0,1]
	v_pk_fma_f32 v[98:99], v[100:101], v[98:99], v[102:103] neg_lo:[0,0,1] neg_hi:[0,0,1]
	v_mov_b32_e32 v99, v105
	scratch_store_b64 off, v[98:99], off offset:376
.LBB111_203:
	s_wait_xcnt 0x0
	s_or_b32 exec_lo, exec_lo, s0
	s_mov_b32 s1, -1
	s_wait_storecnt 0x0
	s_barrier_signal -1
	s_barrier_wait -1
.LBB111_204:
	s_and_b32 vcc_lo, exec_lo, s1
	s_cbranch_vccz .LBB111_206
; %bb.205:
	v_mov_b32_e32 v1, 0
	s_lshl_b64 s[0:1], s[10:11], 2
	s_delay_alu instid0(SALU_CYCLE_1)
	s_add_nc_u64 s[0:1], s[6:7], s[0:1]
	global_load_b32 v1, v1, s[0:1]
	s_wait_loadcnt 0x0
	v_cmp_ne_u32_e32 vcc_lo, 0, v1
	s_cbranch_vccz .LBB111_207
.LBB111_206:
	s_sendmsg sendmsg(MSG_DEALLOC_VGPRS)
	s_endpgm
.LBB111_207:
	s_wait_xcnt 0x0
	v_lshl_add_u32 v1, v0, 3, 0x180
	s_mov_b32 s0, exec_lo
	v_cmpx_eq_u32_e32 47, v0
	s_cbranch_execz .LBB111_209
; %bb.208:
	scratch_load_b64 v[98:99], off, off offset:368
	v_mov_b64_e32 v[100:101], 0
	scratch_store_b64 off, v[100:101], off offset:368
	s_wait_loadcnt 0x0
	ds_store_b64 v1, v[98:99]
.LBB111_209:
	s_wait_xcnt 0x0
	s_or_b32 exec_lo, exec_lo, s0
	s_wait_storecnt_dscnt 0x0
	s_barrier_signal -1
	s_barrier_wait -1
	s_clause 0x1
	scratch_load_b64 v[98:99], off, off offset:376
	scratch_load_b64 v[100:101], off, off offset:368
	v_mov_b32_e32 v7, 0
	s_mov_b32 s0, exec_lo
	ds_load_b64 v[102:103], v7 offset:760
	s_wait_loadcnt_dscnt 0x100
	v_pk_mul_f32 v[104:105], v[102:103], v[98:99] op_sel:[1,1] op_sel_hi:[0,1]
	s_delay_alu instid0(VALU_DEP_1) | instskip(SKIP_1) | instid1(VALU_DEP_2)
	v_pk_fma_f32 v[106:107], v[102:103], v[98:99], v[104:105] op_sel_hi:[1,0,1]
	v_pk_fma_f32 v[98:99], v[102:103], v[98:99], v[104:105] neg_lo:[0,0,1] neg_hi:[0,0,1]
	v_mov_b32_e32 v99, v107
	s_delay_alu instid0(VALU_DEP_1) | instskip(SKIP_1) | instid1(VALU_DEP_1)
	v_pk_add_f32 v[98:99], v[98:99], 0 op_sel_hi:[1,0]
	s_wait_loadcnt 0x0
	v_pk_add_f32 v[98:99], v[100:101], v[98:99] neg_lo:[0,1] neg_hi:[0,1]
	scratch_store_b64 off, v[98:99], off offset:368
	s_wait_xcnt 0x0
	v_cmpx_lt_u32_e32 45, v0
	s_cbranch_execz .LBB111_211
; %bb.210:
	scratch_load_b64 v[98:99], off, off offset:360
	v_mov_b64_e32 v[100:101], 0
	scratch_store_b64 off, v[100:101], off offset:360
	s_wait_loadcnt 0x0
	ds_store_b64 v1, v[98:99]
.LBB111_211:
	s_wait_xcnt 0x0
	s_or_b32 exec_lo, exec_lo, s0
	s_wait_storecnt_dscnt 0x0
	s_barrier_signal -1
	s_barrier_wait -1
	s_clause 0x1
	scratch_load_b128 v[98:101], off, off offset:368
	scratch_load_b64 v[106:107], off, off offset:360
	ds_load_b128 v[102:105], v7 offset:752
	s_mov_b32 s0, exec_lo
	s_wait_dscnt 0x0
	v_dual_mov_b32 v108, v105 :: v_dual_mov_b32 v109, v104
	s_wait_loadcnt 0x1
	v_pk_mul_f32 v[110:111], v[102:103], v[98:99] op_sel:[1,1] op_sel_hi:[0,1]
	s_delay_alu instid0(VALU_DEP_1) | instskip(SKIP_2) | instid1(VALU_DEP_3)
	v_pk_fma_f32 v[114:115], v[102:103], v[98:99], v[110:111] op_sel_hi:[1,0,1]
	v_mov_b32_e32 v112, v101
	v_pk_fma_f32 v[98:99], v[102:103], v[98:99], v[110:111] neg_lo:[0,0,1] neg_hi:[0,0,1]
	v_mov_b32_e32 v99, v115
	s_delay_alu instid0(VALU_DEP_3) | instskip(NEXT) | instid1(VALU_DEP_2)
	v_pk_mul_f32 v[108:109], v[108:109], v[112:113] op_sel_hi:[1,0]
	v_pk_add_f32 v[98:99], v[98:99], 0 op_sel_hi:[1,0]
	s_delay_alu instid0(VALU_DEP_2) | instskip(SKIP_1) | instid1(VALU_DEP_2)
	v_pk_fma_f32 v[102:103], v[104:105], v[100:101], v[108:109] op_sel_hi:[1,0,1]
	v_pk_fma_f32 v[100:101], v[104:105], v[100:101], v[108:109] neg_lo:[0,0,1] neg_hi:[0,0,1]
	v_mov_b32_e32 v101, v103
	s_delay_alu instid0(VALU_DEP_1) | instskip(SKIP_1) | instid1(VALU_DEP_1)
	v_pk_add_f32 v[98:99], v[98:99], v[100:101]
	s_wait_loadcnt 0x0
	v_pk_add_f32 v[98:99], v[106:107], v[98:99] neg_lo:[0,1] neg_hi:[0,1]
	scratch_store_b64 off, v[98:99], off offset:360
	s_wait_xcnt 0x0
	v_cmpx_lt_u32_e32 44, v0
	s_cbranch_execz .LBB111_213
; %bb.212:
	scratch_load_b64 v[98:99], off, off offset:352
	v_mov_b64_e32 v[100:101], 0
	scratch_store_b64 off, v[100:101], off offset:352
	s_wait_loadcnt 0x0
	ds_store_b64 v1, v[98:99]
.LBB111_213:
	s_wait_xcnt 0x0
	s_or_b32 exec_lo, exec_lo, s0
	s_wait_storecnt_dscnt 0x0
	s_barrier_signal -1
	s_barrier_wait -1
	s_clause 0x2
	scratch_load_b128 v[98:101], off, off offset:360
	scratch_load_b64 v[106:107], off, off offset:376
	scratch_load_b64 v[108:109], off, off offset:352
	v_mov_b32_e32 v7, 0
	ds_load_2addr_b64 v[102:105], v7 offset0:93 offset1:94
	ds_load_b64 v[110:111], v7 offset:760
	s_mov_b32 s0, exec_lo
	s_wait_dscnt 0x1
	v_dual_mov_b32 v112, v105 :: v_dual_mov_b32 v113, v104
	s_wait_loadcnt 0x2
	v_mov_b32_e32 v116, v101
	v_pk_mul_f32 v[114:115], v[102:103], v[98:99] op_sel:[1,1] op_sel_hi:[0,1]
	s_delay_alu instid0(VALU_DEP_2) | instskip(NEXT) | instid1(VALU_DEP_2)
	v_pk_mul_f32 v[112:113], v[112:113], v[116:117] op_sel_hi:[1,0]
	v_pk_fma_f32 v[118:119], v[102:103], v[98:99], v[114:115] op_sel_hi:[1,0,1]
	v_pk_fma_f32 v[98:99], v[102:103], v[98:99], v[114:115] neg_lo:[0,0,1] neg_hi:[0,0,1]
	s_wait_loadcnt_dscnt 0x100
	v_pk_mul_f32 v[114:115], v[110:111], v[106:107] op_sel:[1,1] op_sel_hi:[0,1]
	v_pk_fma_f32 v[102:103], v[104:105], v[100:101], v[112:113] op_sel_hi:[1,0,1]
	v_mov_b32_e32 v99, v119
	v_pk_fma_f32 v[100:101], v[104:105], v[100:101], v[112:113] neg_lo:[0,0,1] neg_hi:[0,0,1]
	s_delay_alu instid0(VALU_DEP_4) | instskip(NEXT) | instid1(VALU_DEP_4)
	v_pk_fma_f32 v[104:105], v[110:111], v[106:107], v[114:115] neg_lo:[0,0,1] neg_hi:[0,0,1]
	v_mov_b32_e32 v101, v103
	s_delay_alu instid0(VALU_DEP_4) | instskip(SKIP_1) | instid1(VALU_DEP_2)
	v_pk_add_f32 v[98:99], v[98:99], 0 op_sel_hi:[1,0]
	v_pk_fma_f32 v[102:103], v[110:111], v[106:107], v[114:115] op_sel_hi:[1,0,1]
	v_pk_add_f32 v[98:99], v[98:99], v[100:101]
	s_delay_alu instid0(VALU_DEP_2) | instskip(NEXT) | instid1(VALU_DEP_1)
	v_mov_b32_e32 v105, v103
	v_pk_add_f32 v[98:99], v[98:99], v[104:105]
	s_wait_loadcnt 0x0
	s_delay_alu instid0(VALU_DEP_1)
	v_pk_add_f32 v[98:99], v[108:109], v[98:99] neg_lo:[0,1] neg_hi:[0,1]
	scratch_store_b64 off, v[98:99], off offset:352
	s_wait_xcnt 0x0
	v_cmpx_lt_u32_e32 43, v0
	s_cbranch_execz .LBB111_215
; %bb.214:
	scratch_load_b64 v[98:99], off, off offset:344
	v_mov_b64_e32 v[100:101], 0
	scratch_store_b64 off, v[100:101], off offset:344
	s_wait_loadcnt 0x0
	ds_store_b64 v1, v[98:99]
.LBB111_215:
	s_wait_xcnt 0x0
	s_or_b32 exec_lo, exec_lo, s0
	s_wait_storecnt_dscnt 0x0
	s_barrier_signal -1
	s_barrier_wait -1
	s_clause 0x2
	scratch_load_b128 v[98:101], off, off offset:352
	scratch_load_b128 v[102:105], off, off offset:368
	scratch_load_b64 v[114:115], off, off offset:344
	ds_load_b128 v[106:109], v7 offset:736
	ds_load_b128 v[110:113], v7 offset:752
	s_mov_b32 s0, exec_lo
	s_wait_dscnt 0x1
	v_dual_mov_b32 v116, v109 :: v_dual_mov_b32 v117, v108
	s_wait_loadcnt_dscnt 0x200
	v_dual_mov_b32 v122, v113 :: v_dual_mov_b32 v120, v101
	v_pk_mul_f32 v[118:119], v[106:107], v[98:99] op_sel:[1,1] op_sel_hi:[0,1]
	s_delay_alu instid0(VALU_DEP_2) | instskip(NEXT) | instid1(VALU_DEP_2)
	v_pk_mul_f32 v[116:117], v[116:117], v[120:121] op_sel_hi:[1,0]
	v_pk_fma_f32 v[124:125], v[106:107], v[98:99], v[118:119] op_sel_hi:[1,0,1]
	v_pk_fma_f32 v[98:99], v[106:107], v[98:99], v[118:119] neg_lo:[0,0,1] neg_hi:[0,0,1]
	v_mov_b32_e32 v123, v112
	s_wait_loadcnt 0x1
	v_pk_mul_f32 v[120:121], v[110:111], v[102:103] op_sel:[1,1] op_sel_hi:[0,1]
	v_pk_fma_f32 v[106:107], v[108:109], v[100:101], v[116:117] op_sel_hi:[1,0,1]
	v_dual_mov_b32 v99, v125 :: v_dual_mov_b32 v106, v105
	v_pk_fma_f32 v[100:101], v[108:109], v[100:101], v[116:117] neg_lo:[0,0,1] neg_hi:[0,0,1]
	s_delay_alu instid0(VALU_DEP_4) | instskip(NEXT) | instid1(VALU_DEP_4)
	v_pk_fma_f32 v[118:119], v[110:111], v[102:103], v[120:121] op_sel_hi:[1,0,1]
	v_mov_b32_e32 v101, v107
	s_delay_alu instid0(VALU_DEP_4) | instskip(SKIP_2) | instid1(VALU_DEP_3)
	v_pk_add_f32 v[98:99], v[98:99], 0 op_sel_hi:[1,0]
	v_pk_mul_f32 v[106:107], v[122:123], v[106:107] op_sel_hi:[1,0]
	v_pk_fma_f32 v[102:103], v[110:111], v[102:103], v[120:121] neg_lo:[0,0,1] neg_hi:[0,0,1]
	v_pk_add_f32 v[98:99], v[98:99], v[100:101]
	s_delay_alu instid0(VALU_DEP_3) | instskip(SKIP_2) | instid1(VALU_DEP_3)
	v_pk_fma_f32 v[100:101], v[112:113], v[104:105], v[106:107] op_sel_hi:[1,0,1]
	v_mov_b32_e32 v103, v119
	v_pk_fma_f32 v[104:105], v[112:113], v[104:105], v[106:107] neg_lo:[0,0,1] neg_hi:[0,0,1]
	v_mov_b32_e32 v105, v101
	s_delay_alu instid0(VALU_DEP_3) | instskip(NEXT) | instid1(VALU_DEP_1)
	v_pk_add_f32 v[98:99], v[98:99], v[102:103]
	v_pk_add_f32 v[98:99], v[98:99], v[104:105]
	s_wait_loadcnt 0x0
	s_delay_alu instid0(VALU_DEP_1)
	v_pk_add_f32 v[98:99], v[114:115], v[98:99] neg_lo:[0,1] neg_hi:[0,1]
	scratch_store_b64 off, v[98:99], off offset:344
	s_wait_xcnt 0x0
	v_cmpx_lt_u32_e32 42, v0
	s_cbranch_execz .LBB111_217
; %bb.216:
	scratch_load_b64 v[98:99], off, off offset:336
	v_mov_b64_e32 v[100:101], 0
	scratch_store_b64 off, v[100:101], off offset:336
	s_wait_loadcnt 0x0
	ds_store_b64 v1, v[98:99]
.LBB111_217:
	s_wait_xcnt 0x0
	s_or_b32 exec_lo, exec_lo, s0
	s_wait_storecnt_dscnt 0x0
	s_barrier_signal -1
	s_barrier_wait -1
	s_clause 0x3
	scratch_load_b128 v[98:101], off, off offset:344
	scratch_load_b128 v[102:105], off, off offset:360
	scratch_load_b64 v[114:115], off, off offset:376
	scratch_load_b64 v[116:117], off, off offset:336
	v_mov_b32_e32 v7, 0
	ds_load_2addr_b64 v[106:109], v7 offset0:91 offset1:92
	ds_load_2addr_b64 v[110:113], v7 offset0:93 offset1:94
	s_mov_b32 s0, exec_lo
	s_wait_dscnt 0x1
	v_dual_mov_b32 v118, v109 :: v_dual_mov_b32 v119, v108
	ds_load_b64 v[124:125], v7 offset:760
	s_wait_dscnt 0x1
	v_dual_mov_b32 v126, v113 :: v_dual_mov_b32 v127, v112
	s_wait_loadcnt 0x3
	v_pk_mul_f32 v[120:121], v[106:107], v[98:99] op_sel:[1,1] op_sel_hi:[0,1]
	v_mov_b32_e32 v122, v101
	s_delay_alu instid0(VALU_DEP_2) | instskip(NEXT) | instid1(VALU_DEP_2)
	v_pk_fma_f32 v[128:129], v[106:107], v[98:99], v[120:121] op_sel_hi:[1,0,1]
	v_pk_mul_f32 v[118:119], v[118:119], v[122:123] op_sel_hi:[1,0]
	v_pk_fma_f32 v[98:99], v[106:107], v[98:99], v[120:121] neg_lo:[0,0,1] neg_hi:[0,0,1]
	s_wait_loadcnt 0x2
	v_pk_mul_f32 v[122:123], v[110:111], v[102:103] op_sel:[1,1] op_sel_hi:[0,1]
	v_dual_mov_b32 v128, v105 :: v_dual_mov_b32 v99, v129
	v_pk_fma_f32 v[106:107], v[108:109], v[100:101], v[118:119] op_sel_hi:[1,0,1]
	v_pk_fma_f32 v[100:101], v[108:109], v[100:101], v[118:119] neg_lo:[0,0,1] neg_hi:[0,0,1]
	s_delay_alu instid0(VALU_DEP_4) | instskip(NEXT) | instid1(VALU_DEP_4)
	v_pk_fma_f32 v[120:121], v[110:111], v[102:103], v[122:123] op_sel_hi:[1,0,1]
	v_pk_mul_f32 v[126:127], v[126:127], v[128:129] op_sel_hi:[1,0]
	v_pk_add_f32 v[98:99], v[98:99], 0 op_sel_hi:[1,0]
	v_mov_b32_e32 v101, v107
	v_pk_fma_f32 v[102:103], v[110:111], v[102:103], v[122:123] neg_lo:[0,0,1] neg_hi:[0,0,1]
	v_mov_b32_e32 v103, v121
	v_pk_fma_f32 v[106:107], v[112:113], v[104:105], v[126:127] op_sel_hi:[1,0,1]
	v_pk_fma_f32 v[104:105], v[112:113], v[104:105], v[126:127] neg_lo:[0,0,1] neg_hi:[0,0,1]
	v_pk_add_f32 v[98:99], v[98:99], v[100:101]
	s_wait_loadcnt_dscnt 0x100
	v_pk_mul_f32 v[100:101], v[124:125], v[114:115] op_sel:[1,1] op_sel_hi:[0,1]
	s_delay_alu instid0(VALU_DEP_2) | instskip(NEXT) | instid1(VALU_DEP_2)
	v_pk_add_f32 v[98:99], v[98:99], v[102:103]
	v_pk_fma_f32 v[102:103], v[124:125], v[114:115], v[100:101] op_sel_hi:[1,0,1]
	v_mov_b32_e32 v105, v107
	v_pk_fma_f32 v[100:101], v[124:125], v[114:115], v[100:101] neg_lo:[0,0,1] neg_hi:[0,0,1]
	s_delay_alu instid0(VALU_DEP_3) | instskip(NEXT) | instid1(VALU_DEP_3)
	v_mov_b32_e32 v101, v103
	v_pk_add_f32 v[98:99], v[98:99], v[104:105]
	s_delay_alu instid0(VALU_DEP_1) | instskip(SKIP_1) | instid1(VALU_DEP_1)
	v_pk_add_f32 v[98:99], v[98:99], v[100:101]
	s_wait_loadcnt 0x0
	v_pk_add_f32 v[98:99], v[116:117], v[98:99] neg_lo:[0,1] neg_hi:[0,1]
	scratch_store_b64 off, v[98:99], off offset:336
	s_wait_xcnt 0x0
	v_cmpx_lt_u32_e32 41, v0
	s_cbranch_execz .LBB111_219
; %bb.218:
	scratch_load_b64 v[98:99], off, off offset:328
	v_mov_b64_e32 v[100:101], 0
	scratch_store_b64 off, v[100:101], off offset:328
	s_wait_loadcnt 0x0
	ds_store_b64 v1, v[98:99]
.LBB111_219:
	s_wait_xcnt 0x0
	s_or_b32 exec_lo, exec_lo, s0
	s_wait_storecnt_dscnt 0x0
	s_barrier_signal -1
	s_barrier_wait -1
	s_clause 0x3
	scratch_load_b128 v[98:101], off, off offset:336
	scratch_load_b128 v[102:105], off, off offset:352
	;; [unrolled: 1-line block ×3, first 2 shown]
	scratch_load_b64 v[122:123], off, off offset:328
	ds_load_b128 v[110:113], v7 offset:720
	ds_load_b128 v[114:117], v7 offset:736
	;; [unrolled: 1-line block ×3, first 2 shown]
	s_mov_b32 s0, exec_lo
	s_wait_dscnt 0x2
	v_dual_mov_b32 v124, v113 :: v_dual_mov_b32 v125, v112
	s_wait_dscnt 0x1
	v_dual_mov_b32 v126, v117 :: v_dual_mov_b32 v127, v116
	;; [unrolled: 2-line block ×3, first 2 shown]
	s_wait_loadcnt 0x3
	v_pk_mul_f32 v[128:129], v[110:111], v[98:99] op_sel:[1,1] op_sel_hi:[0,1]
	v_mov_b32_e32 v130, v101
	s_delay_alu instid0(VALU_DEP_2) | instskip(NEXT) | instid1(VALU_DEP_2)
	v_pk_fma_f32 v[134:135], v[110:111], v[98:99], v[128:129] op_sel_hi:[1,0,1]
	v_pk_mul_f32 v[124:125], v[124:125], v[130:131] op_sel_hi:[1,0]
	v_pk_fma_f32 v[98:99], v[110:111], v[98:99], v[128:129] neg_lo:[0,0,1] neg_hi:[0,0,1]
	s_wait_loadcnt 0x2
	v_pk_mul_f32 v[130:131], v[114:115], v[102:103] op_sel:[1,1] op_sel_hi:[0,1]
	v_mov_b32_e32 v134, v105
	v_pk_fma_f32 v[110:111], v[112:113], v[100:101], v[124:125] op_sel_hi:[1,0,1]
	v_mov_b32_e32 v99, v135
	v_pk_fma_f32 v[100:101], v[112:113], v[100:101], v[124:125] neg_lo:[0,0,1] neg_hi:[0,0,1]
	v_pk_fma_f32 v[128:129], v[114:115], v[102:103], v[130:131] op_sel_hi:[1,0,1]
	v_pk_mul_f32 v[126:127], v[126:127], v[134:135] op_sel_hi:[1,0]
	v_mov_b32_e32 v101, v111
	v_pk_add_f32 v[98:99], v[98:99], 0 op_sel_hi:[1,0]
	v_pk_fma_f32 v[102:103], v[114:115], v[102:103], v[130:131] neg_lo:[0,0,1] neg_hi:[0,0,1]
	s_wait_loadcnt 0x1
	v_pk_mul_f32 v[110:111], v[118:119], v[106:107] op_sel:[1,1] op_sel_hi:[0,1]
	v_mov_b32_e32 v103, v129
	v_pk_fma_f32 v[112:113], v[116:117], v[104:105], v[126:127] op_sel_hi:[1,0,1]
	v_pk_add_f32 v[98:99], v[98:99], v[100:101]
	v_mov_b32_e32 v100, v109
	v_pk_fma_f32 v[104:105], v[116:117], v[104:105], v[126:127] neg_lo:[0,0,1] neg_hi:[0,0,1]
	v_pk_fma_f32 v[114:115], v[118:119], v[106:107], v[110:111] op_sel_hi:[1,0,1]
	v_mov_b32_e32 v105, v113
	v_pk_add_f32 v[98:99], v[98:99], v[102:103]
	v_pk_mul_f32 v[100:101], v[132:133], v[100:101] op_sel_hi:[1,0]
	v_pk_fma_f32 v[102:103], v[118:119], v[106:107], v[110:111] neg_lo:[0,0,1] neg_hi:[0,0,1]
	v_mov_b32_e32 v103, v115
	s_delay_alu instid0(VALU_DEP_4) | instskip(NEXT) | instid1(VALU_DEP_4)
	v_pk_add_f32 v[98:99], v[98:99], v[104:105]
	v_pk_fma_f32 v[104:105], v[120:121], v[108:109], v[100:101] op_sel_hi:[1,0,1]
	v_pk_fma_f32 v[100:101], v[120:121], v[108:109], v[100:101] neg_lo:[0,0,1] neg_hi:[0,0,1]
	s_delay_alu instid0(VALU_DEP_3) | instskip(NEXT) | instid1(VALU_DEP_3)
	v_pk_add_f32 v[98:99], v[98:99], v[102:103]
	v_mov_b32_e32 v101, v105
	s_delay_alu instid0(VALU_DEP_1) | instskip(SKIP_1) | instid1(VALU_DEP_1)
	v_pk_add_f32 v[98:99], v[98:99], v[100:101]
	s_wait_loadcnt 0x0
	v_pk_add_f32 v[98:99], v[122:123], v[98:99] neg_lo:[0,1] neg_hi:[0,1]
	scratch_store_b64 off, v[98:99], off offset:328
	s_wait_xcnt 0x0
	v_cmpx_lt_u32_e32 40, v0
	s_cbranch_execz .LBB111_221
; %bb.220:
	scratch_load_b64 v[98:99], off, off offset:320
	v_mov_b64_e32 v[100:101], 0
	scratch_store_b64 off, v[100:101], off offset:320
	s_wait_loadcnt 0x0
	ds_store_b64 v1, v[98:99]
.LBB111_221:
	s_wait_xcnt 0x0
	s_or_b32 exec_lo, exec_lo, s0
	s_wait_storecnt_dscnt 0x0
	s_barrier_signal -1
	s_barrier_wait -1
	s_clause 0x4
	scratch_load_b128 v[98:101], off, off offset:328
	scratch_load_b128 v[102:105], off, off offset:344
	;; [unrolled: 1-line block ×3, first 2 shown]
	scratch_load_b64 v[122:123], off, off offset:376
	scratch_load_b64 v[124:125], off, off offset:320
	v_mov_b32_e32 v7, 0
	ds_load_2addr_b64 v[110:113], v7 offset0:89 offset1:90
	ds_load_2addr_b64 v[114:117], v7 offset0:91 offset1:92
	ds_load_2addr_b64 v[118:121], v7 offset0:93 offset1:94
	ds_load_b64 v[126:127], v7 offset:760
	s_mov_b32 s0, exec_lo
	s_wait_dscnt 0x3
	v_dual_mov_b32 v128, v113 :: v_dual_mov_b32 v129, v112
	s_wait_dscnt 0x2
	v_dual_mov_b32 v130, v117 :: v_dual_mov_b32 v131, v116
	;; [unrolled: 2-line block ×3, first 2 shown]
	s_wait_loadcnt 0x4
	v_pk_mul_f32 v[132:133], v[110:111], v[98:99] op_sel:[1,1] op_sel_hi:[0,1]
	v_mov_b32_e32 v134, v101
	s_wait_loadcnt 0x3
	v_pk_mul_f32 v[138:139], v[114:115], v[102:103] op_sel:[1,1] op_sel_hi:[0,1]
	s_wait_loadcnt 0x2
	v_pk_mul_f32 v[142:143], v[118:119], v[106:107] op_sel:[1,1] op_sel_hi:[0,1]
	v_pk_fma_f32 v[140:141], v[110:111], v[98:99], v[132:133] op_sel_hi:[1,0,1]
	v_pk_mul_f32 v[128:129], v[128:129], v[134:135] op_sel_hi:[1,0]
	v_pk_fma_f32 v[98:99], v[110:111], v[98:99], v[132:133] neg_lo:[0,0,1] neg_hi:[0,0,1]
	v_mov_b32_e32 v134, v105
	v_pk_fma_f32 v[132:133], v[114:115], v[102:103], v[138:139] op_sel_hi:[1,0,1]
	v_mov_b32_e32 v99, v141
	v_pk_fma_f32 v[110:111], v[112:113], v[100:101], v[128:129] op_sel_hi:[1,0,1]
	v_pk_fma_f32 v[100:101], v[112:113], v[100:101], v[128:129] neg_lo:[0,0,1] neg_hi:[0,0,1]
	v_pk_mul_f32 v[130:131], v[130:131], v[134:135] op_sel_hi:[1,0]
	v_pk_fma_f32 v[102:103], v[114:115], v[102:103], v[138:139] neg_lo:[0,0,1] neg_hi:[0,0,1]
	v_pk_add_f32 v[98:99], v[98:99], 0 op_sel_hi:[1,0]
	v_dual_mov_b32 v101, v111 :: v_dual_mov_b32 v110, v109
	s_delay_alu instid0(VALU_DEP_4) | instskip(SKIP_2) | instid1(VALU_DEP_4)
	v_pk_fma_f32 v[112:113], v[116:117], v[104:105], v[130:131] op_sel_hi:[1,0,1]
	v_mov_b32_e32 v103, v133
	v_pk_fma_f32 v[104:105], v[116:117], v[104:105], v[130:131] neg_lo:[0,0,1] neg_hi:[0,0,1]
	v_pk_add_f32 v[98:99], v[98:99], v[100:101]
	v_pk_fma_f32 v[100:101], v[118:119], v[106:107], v[142:143] op_sel_hi:[1,0,1]
	v_pk_mul_f32 v[110:111], v[136:137], v[110:111] op_sel_hi:[1,0]
	v_mov_b32_e32 v105, v113
	s_delay_alu instid0(VALU_DEP_4)
	v_pk_add_f32 v[98:99], v[98:99], v[102:103]
	v_pk_fma_f32 v[102:103], v[118:119], v[106:107], v[142:143] neg_lo:[0,0,1] neg_hi:[0,0,1]
	v_mov_b32_e32 v103, v101
	v_pk_fma_f32 v[100:101], v[120:121], v[108:109], v[110:111] op_sel_hi:[1,0,1]
	v_pk_fma_f32 v[106:107], v[120:121], v[108:109], v[110:111] neg_lo:[0,0,1] neg_hi:[0,0,1]
	v_pk_add_f32 v[98:99], v[98:99], v[104:105]
	s_wait_loadcnt_dscnt 0x100
	v_pk_mul_f32 v[104:105], v[126:127], v[122:123] op_sel:[1,1] op_sel_hi:[0,1]
	v_mov_b32_e32 v107, v101
	s_delay_alu instid0(VALU_DEP_3) | instskip(NEXT) | instid1(VALU_DEP_3)
	v_pk_add_f32 v[98:99], v[98:99], v[102:103]
	v_pk_fma_f32 v[100:101], v[126:127], v[122:123], v[104:105] op_sel_hi:[1,0,1]
	v_pk_fma_f32 v[102:103], v[126:127], v[122:123], v[104:105] neg_lo:[0,0,1] neg_hi:[0,0,1]
	s_delay_alu instid0(VALU_DEP_3) | instskip(NEXT) | instid1(VALU_DEP_3)
	v_pk_add_f32 v[98:99], v[98:99], v[106:107]
	v_mov_b32_e32 v103, v101
	s_delay_alu instid0(VALU_DEP_1) | instskip(SKIP_1) | instid1(VALU_DEP_1)
	v_pk_add_f32 v[98:99], v[98:99], v[102:103]
	s_wait_loadcnt 0x0
	v_pk_add_f32 v[98:99], v[124:125], v[98:99] neg_lo:[0,1] neg_hi:[0,1]
	scratch_store_b64 off, v[98:99], off offset:320
	s_wait_xcnt 0x0
	v_cmpx_lt_u32_e32 39, v0
	s_cbranch_execz .LBB111_223
; %bb.222:
	scratch_load_b64 v[98:99], off, off offset:312
	v_mov_b64_e32 v[100:101], 0
	scratch_store_b64 off, v[100:101], off offset:312
	s_wait_loadcnt 0x0
	ds_store_b64 v1, v[98:99]
.LBB111_223:
	s_wait_xcnt 0x0
	s_or_b32 exec_lo, exec_lo, s0
	s_wait_storecnt_dscnt 0x0
	s_barrier_signal -1
	s_barrier_wait -1
	s_clause 0x4
	scratch_load_b128 v[98:101], off, off offset:320
	scratch_load_b128 v[102:105], off, off offset:336
	scratch_load_b128 v[106:109], off, off offset:352
	scratch_load_b128 v[110:113], off, off offset:368
	scratch_load_b64 v[130:131], off, off offset:312
	ds_load_b128 v[114:117], v7 offset:704
	ds_load_b128 v[118:121], v7 offset:720
	;; [unrolled: 1-line block ×4, first 2 shown]
	s_mov_b32 s0, exec_lo
	s_wait_dscnt 0x3
	v_dual_mov_b32 v132, v117 :: v_dual_mov_b32 v133, v116
	s_wait_dscnt 0x2
	v_dual_mov_b32 v134, v121 :: v_dual_mov_b32 v135, v120
	;; [unrolled: 2-line block ×3, first 2 shown]
	v_dual_mov_b32 v137, v124 :: v_dual_mov_b32 v142, v129
	s_wait_loadcnt 0x4
	v_mov_b32_e32 v140, v101
	v_pk_mul_f32 v[138:139], v[114:115], v[98:99] op_sel:[1,1] op_sel_hi:[0,1]
	s_wait_loadcnt 0x3
	v_pk_mul_f32 v[144:145], v[118:119], v[102:103] op_sel:[1,1] op_sel_hi:[0,1]
	s_wait_loadcnt 0x2
	v_pk_mul_f32 v[148:149], v[122:123], v[106:107] op_sel:[1,1] op_sel_hi:[0,1]
	v_pk_mul_f32 v[132:133], v[132:133], v[140:141] op_sel_hi:[1,0]
	v_pk_fma_f32 v[146:147], v[114:115], v[98:99], v[138:139] op_sel_hi:[1,0,1]
	v_pk_fma_f32 v[98:99], v[114:115], v[98:99], v[138:139] neg_lo:[0,0,1] neg_hi:[0,0,1]
	v_mov_b32_e32 v140, v105
	v_pk_fma_f32 v[138:139], v[118:119], v[102:103], v[144:145] op_sel_hi:[1,0,1]
	v_pk_fma_f32 v[114:115], v[116:117], v[100:101], v[132:133] op_sel_hi:[1,0,1]
	v_mov_b32_e32 v99, v147
	v_pk_fma_f32 v[100:101], v[116:117], v[100:101], v[132:133] neg_lo:[0,0,1] neg_hi:[0,0,1]
	v_pk_mul_f32 v[134:135], v[134:135], v[140:141] op_sel_hi:[1,0]
	s_delay_alu instid0(VALU_DEP_4) | instskip(NEXT) | instid1(VALU_DEP_4)
	v_dual_mov_b32 v114, v109 :: v_dual_mov_b32 v101, v115
	v_pk_add_f32 v[98:99], v[98:99], 0 op_sel_hi:[1,0]
	v_pk_fma_f32 v[102:103], v[118:119], v[102:103], v[144:145] neg_lo:[0,0,1] neg_hi:[0,0,1]
	v_mov_b32_e32 v103, v139
	v_pk_fma_f32 v[116:117], v[120:121], v[104:105], v[134:135] op_sel_hi:[1,0,1]
	v_pk_mul_f32 v[114:115], v[136:137], v[114:115] op_sel_hi:[1,0]
	v_pk_add_f32 v[98:99], v[98:99], v[100:101]
	v_pk_fma_f32 v[100:101], v[122:123], v[106:107], v[148:149] op_sel_hi:[1,0,1]
	v_pk_fma_f32 v[104:105], v[120:121], v[104:105], v[134:135] neg_lo:[0,0,1] neg_hi:[0,0,1]
	v_mov_b32_e32 v105, v117
	v_pk_fma_f32 v[106:107], v[122:123], v[106:107], v[148:149] neg_lo:[0,0,1] neg_hi:[0,0,1]
	v_pk_add_f32 v[98:99], v[98:99], v[102:103]
	v_mov_b32_e32 v107, v101
	v_pk_fma_f32 v[100:101], v[124:125], v[108:109], v[114:115] op_sel_hi:[1,0,1]
	s_wait_loadcnt 0x1
	v_pk_mul_f32 v[102:103], v[126:127], v[110:111] op_sel:[1,1] op_sel_hi:[0,1]
	v_mov_b32_e32 v100, v113
	v_pk_add_f32 v[98:99], v[98:99], v[104:105]
	v_pk_fma_f32 v[108:109], v[124:125], v[108:109], v[114:115] neg_lo:[0,0,1] neg_hi:[0,0,1]
	v_mov_b32_e32 v109, v101
	v_pk_fma_f32 v[104:105], v[126:127], v[110:111], v[102:103] op_sel_hi:[1,0,1]
	v_pk_mul_f32 v[100:101], v[142:143], v[100:101] op_sel_hi:[1,0]
	v_pk_add_f32 v[98:99], v[98:99], v[106:107]
	v_pk_fma_f32 v[102:103], v[126:127], v[110:111], v[102:103] neg_lo:[0,0,1] neg_hi:[0,0,1]
	s_delay_alu instid0(VALU_DEP_4) | instskip(NEXT) | instid1(VALU_DEP_4)
	v_mov_b32_e32 v103, v105
	v_pk_fma_f32 v[104:105], v[128:129], v[112:113], v[100:101] op_sel_hi:[1,0,1]
	s_delay_alu instid0(VALU_DEP_4) | instskip(SKIP_1) | instid1(VALU_DEP_3)
	v_pk_add_f32 v[98:99], v[98:99], v[108:109]
	v_pk_fma_f32 v[100:101], v[128:129], v[112:113], v[100:101] neg_lo:[0,0,1] neg_hi:[0,0,1]
	v_mov_b32_e32 v101, v105
	s_delay_alu instid0(VALU_DEP_3) | instskip(NEXT) | instid1(VALU_DEP_1)
	v_pk_add_f32 v[98:99], v[98:99], v[102:103]
	v_pk_add_f32 v[98:99], v[98:99], v[100:101]
	s_wait_loadcnt 0x0
	s_delay_alu instid0(VALU_DEP_1)
	v_pk_add_f32 v[98:99], v[130:131], v[98:99] neg_lo:[0,1] neg_hi:[0,1]
	scratch_store_b64 off, v[98:99], off offset:312
	s_wait_xcnt 0x0
	v_cmpx_lt_u32_e32 38, v0
	s_cbranch_execz .LBB111_225
; %bb.224:
	scratch_load_b64 v[98:99], off, off offset:304
	v_mov_b64_e32 v[100:101], 0
	scratch_store_b64 off, v[100:101], off offset:304
	s_wait_loadcnt 0x0
	ds_store_b64 v1, v[98:99]
.LBB111_225:
	s_wait_xcnt 0x0
	s_or_b32 exec_lo, exec_lo, s0
	s_wait_storecnt_dscnt 0x0
	s_barrier_signal -1
	s_barrier_wait -1
	s_clause 0x5
	scratch_load_b128 v[98:101], off, off offset:312
	scratch_load_b128 v[102:105], off, off offset:328
	;; [unrolled: 1-line block ×4, first 2 shown]
	scratch_load_b64 v[130:131], off, off offset:376
	scratch_load_b64 v[132:133], off, off offset:304
	v_mov_b32_e32 v7, 0
	ds_load_2addr_b64 v[114:117], v7 offset0:87 offset1:88
	ds_load_2addr_b64 v[118:121], v7 offset0:89 offset1:90
	;; [unrolled: 1-line block ×4, first 2 shown]
	ds_load_b64 v[134:135], v7 offset:760
	s_mov_b32 s0, exec_lo
	s_wait_dscnt 0x4
	v_dual_mov_b32 v136, v117 :: v_dual_mov_b32 v137, v116
	s_wait_dscnt 0x1
	v_dual_mov_b32 v138, v121 :: v_dual_mov_b32 v143, v128
	v_dual_mov_b32 v139, v120 :: v_dual_mov_b32 v140, v125
	;; [unrolled: 1-line block ×3, first 2 shown]
	s_wait_loadcnt 0x5
	v_dual_mov_b32 v144, v101 :: v_dual_mul_f32 v145, v114, v99
	v_mul_f32_e32 v9, v115, v99
	s_wait_loadcnt 0x4
	v_pk_mul_f32 v[146:147], v[118:119], v[102:103] op_sel:[1,1] op_sel_hi:[0,1]
	v_mov_b32_e32 v148, v105
	s_wait_loadcnt 0x3
	v_pk_mul_f32 v[150:151], v[122:123], v[106:107] op_sel:[1,1] op_sel_hi:[0,1]
	v_pk_mul_f32 v[136:137], v[136:137], v[144:145] op_sel_hi:[1,0]
	v_fmac_f32_e32 v145, v115, v98
	v_dual_fma_f32 v144, v114, v98, -v9 :: v_dual_mov_b32 v98, v109
	v_pk_fma_f32 v[152:153], v[118:119], v[102:103], v[146:147] op_sel_hi:[1,0,1]
	s_delay_alu instid0(VALU_DEP_4)
	v_pk_fma_f32 v[114:115], v[116:117], v[100:101], v[136:137] op_sel_hi:[1,0,1]
	v_pk_fma_f32 v[100:101], v[116:117], v[100:101], v[136:137] neg_lo:[0,0,1] neg_hi:[0,0,1]
	v_pk_mul_f32 v[138:139], v[138:139], v[148:149] op_sel_hi:[1,0]
	v_pk_add_f32 v[144:145], v[144:145], 0 op_sel_hi:[1,0]
	v_pk_fma_f32 v[102:103], v[118:119], v[102:103], v[146:147] neg_lo:[0,0,1] neg_hi:[0,0,1]
	v_dual_mov_b32 v101, v115 :: v_dual_mov_b32 v103, v153
	s_delay_alu instid0(VALU_DEP_4) | instskip(SKIP_2) | instid1(VALU_DEP_4)
	v_pk_fma_f32 v[116:117], v[120:121], v[104:105], v[138:139] op_sel_hi:[1,0,1]
	v_pk_fma_f32 v[104:105], v[120:121], v[104:105], v[138:139] neg_lo:[0,0,1] neg_hi:[0,0,1]
	v_pk_fma_f32 v[118:119], v[122:123], v[106:107], v[150:151] op_sel_hi:[1,0,1]
	v_pk_add_f32 v[100:101], v[144:145], v[100:101]
	v_pk_mul_f32 v[98:99], v[140:141], v[98:99] op_sel_hi:[1,0]
	v_mov_b32_e32 v105, v117
	v_pk_fma_f32 v[106:107], v[122:123], v[106:107], v[150:151] neg_lo:[0,0,1] neg_hi:[0,0,1]
	s_wait_loadcnt 0x2
	v_pk_mul_f32 v[114:115], v[126:127], v[110:111] op_sel:[1,1] op_sel_hi:[0,1]
	v_pk_add_f32 v[100:101], v[100:101], v[102:103]
	v_mov_b32_e32 v102, v113
	v_pk_fma_f32 v[116:117], v[124:125], v[108:109], v[98:99] op_sel_hi:[1,0,1]
	v_mov_b32_e32 v107, v119
	v_pk_fma_f32 v[98:99], v[124:125], v[108:109], v[98:99] neg_lo:[0,0,1] neg_hi:[0,0,1]
	v_pk_add_f32 v[100:101], v[100:101], v[104:105]
	v_pk_fma_f32 v[104:105], v[126:127], v[110:111], v[114:115] op_sel_hi:[1,0,1]
	v_pk_mul_f32 v[102:103], v[142:143], v[102:103] op_sel_hi:[1,0]
	v_mov_b32_e32 v99, v117
	s_delay_alu instid0(VALU_DEP_4)
	v_pk_add_f32 v[100:101], v[100:101], v[106:107]
	v_pk_fma_f32 v[106:107], v[126:127], v[110:111], v[114:115] neg_lo:[0,0,1] neg_hi:[0,0,1]
	v_mov_b32_e32 v107, v105
	v_pk_fma_f32 v[104:105], v[128:129], v[112:113], v[102:103] op_sel_hi:[1,0,1]
	v_pk_fma_f32 v[102:103], v[128:129], v[112:113], v[102:103] neg_lo:[0,0,1] neg_hi:[0,0,1]
	v_pk_add_f32 v[98:99], v[100:101], v[98:99]
	s_wait_loadcnt_dscnt 0x100
	v_pk_mul_f32 v[100:101], v[134:135], v[130:131] op_sel:[1,1] op_sel_hi:[0,1]
	v_mov_b32_e32 v103, v105
	s_delay_alu instid0(VALU_DEP_3) | instskip(NEXT) | instid1(VALU_DEP_3)
	v_pk_add_f32 v[98:99], v[98:99], v[106:107]
	v_pk_fma_f32 v[104:105], v[134:135], v[130:131], v[100:101] op_sel_hi:[1,0,1]
	v_pk_fma_f32 v[100:101], v[134:135], v[130:131], v[100:101] neg_lo:[0,0,1] neg_hi:[0,0,1]
	s_delay_alu instid0(VALU_DEP_3) | instskip(NEXT) | instid1(VALU_DEP_3)
	v_pk_add_f32 v[98:99], v[98:99], v[102:103]
	v_mov_b32_e32 v101, v105
	s_delay_alu instid0(VALU_DEP_1) | instskip(SKIP_1) | instid1(VALU_DEP_1)
	v_pk_add_f32 v[98:99], v[98:99], v[100:101]
	s_wait_loadcnt 0x0
	v_pk_add_f32 v[98:99], v[132:133], v[98:99] neg_lo:[0,1] neg_hi:[0,1]
	scratch_store_b64 off, v[98:99], off offset:304
	s_wait_xcnt 0x0
	v_cmpx_lt_u32_e32 37, v0
	s_cbranch_execz .LBB111_227
; %bb.226:
	scratch_load_b64 v[98:99], off, off offset:296
	v_mov_b64_e32 v[100:101], 0
	scratch_store_b64 off, v[100:101], off offset:296
	s_wait_loadcnt 0x0
	ds_store_b64 v1, v[98:99]
.LBB111_227:
	s_wait_xcnt 0x0
	s_or_b32 exec_lo, exec_lo, s0
	s_wait_storecnt_dscnt 0x0
	s_barrier_signal -1
	s_barrier_wait -1
	s_clause 0x5
	scratch_load_b128 v[98:101], off, off offset:304
	scratch_load_b128 v[102:105], off, off offset:320
	;; [unrolled: 1-line block ×5, first 2 shown]
	scratch_load_b64 v[138:139], off, off offset:296
	ds_load_b128 v[118:121], v7 offset:704
	ds_load_b128 v[122:125], v7 offset:720
	;; [unrolled: 1-line block ×5, first 2 shown]
	s_mov_b32 s0, exec_lo
	s_wait_dscnt 0x4
	v_dual_mov_b32 v140, v121 :: v_dual_mov_b32 v141, v120
	s_wait_dscnt 0x3
	v_dual_mov_b32 v142, v125 :: v_dual_mov_b32 v143, v124
	s_wait_dscnt 0x2
	v_dual_mov_b32 v144, v129 :: v_dual_mov_b32 v145, v128
	s_wait_dscnt 0x1
	v_dual_mov_b32 v146, v133 :: v_dual_mov_b32 v147, v132
	s_wait_loadcnt_dscnt 0x500
	v_dual_mul_f32 v149, v134, v99 :: v_dual_mul_f32 v151, v136, v101
	v_dual_mul_f32 v7, v135, v99 :: v_dual_mul_f32 v9, v137, v101
	s_wait_loadcnt 0x4
	v_pk_mul_f32 v[152:153], v[118:119], v[102:103] op_sel:[1,1] op_sel_hi:[0,1]
	s_wait_loadcnt 0x3
	v_dual_mov_b32 v154, v105 :: v_dual_mov_b32 v158, v109
	v_dual_fmac_f32 v149, v135, v98 :: v_dual_fma_f32 v148, v134, v98, -v7
	v_dual_fmac_f32 v151, v137, v100 :: v_dual_fma_f32 v150, v136, v100, -v9
	v_pk_fma_f32 v[98:99], v[118:119], v[102:103], v[152:153] op_sel_hi:[1,0,1]
	s_delay_alu instid0(VALU_DEP_4) | instskip(NEXT) | instid1(VALU_DEP_4)
	v_pk_mul_f32 v[100:101], v[140:141], v[154:155] op_sel_hi:[1,0]
	v_pk_add_f32 v[134:135], v[148:149], 0 op_sel_hi:[1,0]
	v_pk_fma_f32 v[102:103], v[118:119], v[102:103], v[152:153] neg_lo:[0,0,1] neg_hi:[0,0,1]
	v_pk_mul_f32 v[156:157], v[122:123], v[106:107] op_sel:[1,1] op_sel_hi:[0,1]
	v_mov_b32_e32 v103, v99
	v_pk_fma_f32 v[98:99], v[120:121], v[104:105], v[100:101] op_sel_hi:[1,0,1]
	v_pk_add_f32 v[118:119], v[134:135], v[150:151]
	v_pk_fma_f32 v[100:101], v[120:121], v[104:105], v[100:101] neg_lo:[0,0,1] neg_hi:[0,0,1]
	v_pk_fma_f32 v[134:135], v[122:123], v[106:107], v[156:157] op_sel_hi:[1,0,1]
	v_pk_mul_f32 v[140:141], v[142:143], v[158:159] op_sel_hi:[1,0]
	v_mov_b32_e32 v101, v99
	v_pk_add_f32 v[98:99], v[118:119], v[102:103]
	s_wait_loadcnt 0x2
	v_pk_mul_f32 v[136:137], v[126:127], v[110:111] op_sel:[1,1] op_sel_hi:[0,1]
	v_mov_b32_e32 v102, v113
	v_pk_fma_f32 v[104:105], v[122:123], v[106:107], v[156:157] neg_lo:[0,0,1] neg_hi:[0,0,1]
	v_mov_b32_e32 v105, v135
	v_pk_fma_f32 v[106:107], v[124:125], v[108:109], v[140:141] op_sel_hi:[1,0,1]
	v_pk_add_f32 v[98:99], v[98:99], v[100:101]
	v_pk_fma_f32 v[100:101], v[126:127], v[110:111], v[136:137] op_sel_hi:[1,0,1]
	v_pk_mul_f32 v[102:103], v[144:145], v[102:103] op_sel_hi:[1,0]
	v_pk_fma_f32 v[108:109], v[124:125], v[108:109], v[140:141] neg_lo:[0,0,1] neg_hi:[0,0,1]
	v_mov_b32_e32 v109, v107
	v_pk_add_f32 v[98:99], v[98:99], v[104:105]
	v_pk_fma_f32 v[106:107], v[126:127], v[110:111], v[136:137] neg_lo:[0,0,1] neg_hi:[0,0,1]
	v_mov_b32_e32 v107, v101
	v_pk_fma_f32 v[100:101], v[128:129], v[112:113], v[102:103] op_sel_hi:[1,0,1]
	s_wait_loadcnt 0x1
	v_pk_mul_f32 v[104:105], v[130:131], v[114:115] op_sel:[1,1] op_sel_hi:[0,1]
	v_pk_add_f32 v[98:99], v[98:99], v[108:109]
	v_mov_b32_e32 v100, v117
	v_pk_fma_f32 v[102:103], v[128:129], v[112:113], v[102:103] neg_lo:[0,0,1] neg_hi:[0,0,1]
	v_mov_b32_e32 v103, v101
	v_pk_fma_f32 v[108:109], v[130:131], v[114:115], v[104:105] op_sel_hi:[1,0,1]
	v_pk_add_f32 v[98:99], v[98:99], v[106:107]
	v_pk_mul_f32 v[100:101], v[146:147], v[100:101] op_sel_hi:[1,0]
	v_pk_fma_f32 v[104:105], v[130:131], v[114:115], v[104:105] neg_lo:[0,0,1] neg_hi:[0,0,1]
	s_delay_alu instid0(VALU_DEP_3) | instskip(NEXT) | instid1(VALU_DEP_3)
	v_pk_add_f32 v[98:99], v[98:99], v[102:103]
	v_pk_fma_f32 v[102:103], v[132:133], v[116:117], v[100:101] op_sel_hi:[1,0,1]
	v_mov_b32_e32 v105, v109
	v_pk_fma_f32 v[100:101], v[132:133], v[116:117], v[100:101] neg_lo:[0,0,1] neg_hi:[0,0,1]
	s_delay_alu instid0(VALU_DEP_3) | instskip(NEXT) | instid1(VALU_DEP_3)
	v_mov_b32_e32 v101, v103
	v_pk_add_f32 v[98:99], v[98:99], v[104:105]
	s_delay_alu instid0(VALU_DEP_1) | instskip(SKIP_1) | instid1(VALU_DEP_1)
	v_pk_add_f32 v[98:99], v[98:99], v[100:101]
	s_wait_loadcnt 0x0
	v_pk_add_f32 v[98:99], v[138:139], v[98:99] neg_lo:[0,1] neg_hi:[0,1]
	scratch_store_b64 off, v[98:99], off offset:296
	s_wait_xcnt 0x0
	v_cmpx_lt_u32_e32 36, v0
	s_cbranch_execz .LBB111_229
; %bb.228:
	scratch_load_b64 v[98:99], off, off offset:288
	v_mov_b64_e32 v[100:101], 0
	scratch_store_b64 off, v[100:101], off offset:288
	s_wait_loadcnt 0x0
	ds_store_b64 v1, v[98:99]
.LBB111_229:
	s_wait_xcnt 0x0
	s_or_b32 exec_lo, exec_lo, s0
	s_wait_storecnt_dscnt 0x0
	s_barrier_signal -1
	s_barrier_wait -1
	s_clause 0x6
	scratch_load_b128 v[98:101], off, off offset:296
	scratch_load_b128 v[102:105], off, off offset:312
	;; [unrolled: 1-line block ×5, first 2 shown]
	scratch_load_b64 v[138:139], off, off offset:376
	scratch_load_b64 v[140:141], off, off offset:288
	v_mov_b32_e32 v7, 0
	ds_load_2addr_b64 v[118:121], v7 offset0:87 offset1:88
	ds_load_2addr_b64 v[122:125], v7 offset0:89 offset1:90
	;; [unrolled: 1-line block ×5, first 2 shown]
	ds_load_b64 v[142:143], v7 offset:760
	s_mov_b32 s0, exec_lo
	s_wait_dscnt 0x5
	v_dual_mov_b32 v144, v121 :: v_dual_mov_b32 v145, v120
	s_wait_dscnt 0x2
	v_dual_mov_b32 v146, v125 :: v_dual_mov_b32 v151, v132
	v_dual_mov_b32 v147, v124 :: v_dual_mov_b32 v148, v129
	;; [unrolled: 1-line block ×3, first 2 shown]
	s_wait_loadcnt_dscnt 0x601
	v_dual_mul_f32 v9, v134, v99 :: v_dual_mul_f32 v11, v135, v99
	v_dual_mul_f32 v13, v137, v101 :: v_dual_mul_f32 v153, v136, v101
	s_wait_loadcnt 0x5
	v_dual_mul_f32 v155, v118, v103 :: v_dual_mul_f32 v15, v119, v103
	s_wait_loadcnt 0x4
	v_dual_mov_b32 v154, v105 :: v_dual_mov_b32 v158, v109
	v_dual_fmac_f32 v9, v135, v98 :: v_dual_fma_f32 v11, v134, v98, -v11
	v_fmac_f32_e32 v153, v137, v100
	v_pk_mul_f32 v[156:157], v[122:123], v[106:107] op_sel:[1,1] op_sel_hi:[0,1]
	s_delay_alu instid0(VALU_DEP_3)
	v_dual_fma_f32 v152, v136, v100, -v13 :: v_dual_add_f32 v101, 0, v9
	v_pk_mul_f32 v[98:99], v[144:145], v[154:155] op_sel_hi:[1,0]
	s_wait_loadcnt 0x3
	v_dual_add_f32 v100, 0, v11 :: v_dual_mov_b32 v134, v113
	v_fmac_f32_e32 v155, v119, v102
	v_fma_f32 v154, v118, v102, -v15
	v_pk_fma_f32 v[102:103], v[120:121], v[104:105], v[98:99] op_sel_hi:[1,0,1]
	s_delay_alu instid0(VALU_DEP_4) | instskip(SKIP_4) | instid1(VALU_DEP_4)
	v_pk_add_f32 v[100:101], v[100:101], v[152:153]
	v_pk_fma_f32 v[118:119], v[122:123], v[106:107], v[156:157] op_sel_hi:[1,0,1]
	v_pk_fma_f32 v[98:99], v[120:121], v[104:105], v[98:99] neg_lo:[0,0,1] neg_hi:[0,0,1]
	v_pk_fma_f32 v[104:105], v[122:123], v[106:107], v[156:157] neg_lo:[0,0,1] neg_hi:[0,0,1]
	v_pk_mul_f32 v[136:137], v[146:147], v[158:159] op_sel_hi:[1,0]
	v_dual_mov_b32 v99, v103 :: v_dual_mov_b32 v105, v119
	v_pk_add_f32 v[100:101], v[100:101], v[154:155]
	v_pk_mul_f32 v[160:161], v[126:127], v[110:111] op_sel:[1,1] op_sel_hi:[0,1]
	s_delay_alu instid0(VALU_DEP_4)
	v_pk_fma_f32 v[106:107], v[124:125], v[108:109], v[136:137] op_sel_hi:[1,0,1]
	v_pk_fma_f32 v[108:109], v[124:125], v[108:109], v[136:137] neg_lo:[0,0,1] neg_hi:[0,0,1]
	v_pk_mul_f32 v[118:119], v[148:149], v[134:135] op_sel_hi:[1,0]
	v_pk_add_f32 v[98:99], v[100:101], v[98:99]
	v_pk_fma_f32 v[100:101], v[126:127], v[110:111], v[160:161] op_sel_hi:[1,0,1]
	s_wait_loadcnt 0x2
	v_dual_mov_b32 v109, v107 :: v_dual_mov_b32 v100, v117
	v_pk_mul_f32 v[102:103], v[130:131], v[114:115] op_sel:[1,1] op_sel_hi:[0,1]
	v_pk_add_f32 v[98:99], v[98:99], v[104:105]
	v_pk_fma_f32 v[104:105], v[126:127], v[110:111], v[160:161] neg_lo:[0,0,1] neg_hi:[0,0,1]
	v_pk_fma_f32 v[106:107], v[128:129], v[112:113], v[118:119] op_sel_hi:[1,0,1]
	v_mov_b32_e32 v105, v101
	v_pk_fma_f32 v[110:111], v[128:129], v[112:113], v[118:119] neg_lo:[0,0,1] neg_hi:[0,0,1]
	v_pk_add_f32 v[98:99], v[98:99], v[108:109]
	v_pk_fma_f32 v[108:109], v[130:131], v[114:115], v[102:103] op_sel_hi:[1,0,1]
	v_pk_mul_f32 v[100:101], v[150:151], v[100:101] op_sel_hi:[1,0]
	v_mov_b32_e32 v111, v107
	v_pk_fma_f32 v[102:103], v[130:131], v[114:115], v[102:103] neg_lo:[0,0,1] neg_hi:[0,0,1]
	v_pk_add_f32 v[98:99], v[98:99], v[104:105]
	s_wait_loadcnt_dscnt 0x100
	v_pk_mul_f32 v[106:107], v[142:143], v[138:139] op_sel:[1,1] op_sel_hi:[0,1]
	v_pk_fma_f32 v[104:105], v[132:133], v[116:117], v[100:101] op_sel_hi:[1,0,1]
	v_mov_b32_e32 v103, v109
	v_pk_fma_f32 v[100:101], v[132:133], v[116:117], v[100:101] neg_lo:[0,0,1] neg_hi:[0,0,1]
	v_pk_add_f32 v[98:99], v[98:99], v[110:111]
	s_delay_alu instid0(VALU_DEP_4) | instskip(SKIP_1) | instid1(VALU_DEP_3)
	v_mov_b32_e32 v101, v105
	v_pk_fma_f32 v[104:105], v[142:143], v[138:139], v[106:107] neg_lo:[0,0,1] neg_hi:[0,0,1]
	v_pk_add_f32 v[98:99], v[98:99], v[102:103]
	v_pk_fma_f32 v[102:103], v[142:143], v[138:139], v[106:107] op_sel_hi:[1,0,1]
	s_delay_alu instid0(VALU_DEP_2) | instskip(NEXT) | instid1(VALU_DEP_2)
	v_pk_add_f32 v[98:99], v[98:99], v[100:101]
	v_mov_b32_e32 v105, v103
	s_delay_alu instid0(VALU_DEP_1) | instskip(SKIP_1) | instid1(VALU_DEP_1)
	v_pk_add_f32 v[98:99], v[98:99], v[104:105]
	s_wait_loadcnt 0x0
	v_pk_add_f32 v[98:99], v[140:141], v[98:99] neg_lo:[0,1] neg_hi:[0,1]
	scratch_store_b64 off, v[98:99], off offset:288
	s_wait_xcnt 0x0
	v_cmpx_lt_u32_e32 35, v0
	s_cbranch_execz .LBB111_231
; %bb.230:
	scratch_load_b64 v[98:99], off, off offset:280
	v_mov_b64_e32 v[100:101], 0
	scratch_store_b64 off, v[100:101], off offset:280
	s_wait_loadcnt 0x0
	ds_store_b64 v1, v[98:99]
.LBB111_231:
	s_wait_xcnt 0x0
	s_or_b32 exec_lo, exec_lo, s0
	s_wait_storecnt_dscnt 0x0
	s_barrier_signal -1
	s_barrier_wait -1
	s_clause 0x6
	scratch_load_b128 v[98:101], off, off offset:288
	scratch_load_b128 v[102:105], off, off offset:304
	;; [unrolled: 1-line block ×6, first 2 shown]
	scratch_load_b64 v[146:147], off, off offset:280
	ds_load_b128 v[122:125], v7 offset:704
	ds_load_b128 v[126:129], v7 offset:720
	;; [unrolled: 1-line block ×6, first 2 shown]
	s_mov_b32 s0, exec_lo
	s_wait_dscnt 0x5
	v_dual_mov_b32 v148, v125 :: v_dual_mov_b32 v149, v124
	s_wait_dscnt 0x4
	v_dual_mov_b32 v150, v129 :: v_dual_mov_b32 v151, v128
	s_wait_dscnt 0x3
	v_dual_mov_b32 v152, v133 :: v_dual_mov_b32 v153, v132
	s_wait_dscnt 0x2
	v_dual_mov_b32 v154, v137 :: v_dual_mov_b32 v155, v136
	s_wait_loadcnt_dscnt 0x601
	v_dual_mul_f32 v7, v138, v99 :: v_dual_mul_f32 v9, v140, v101
	v_dual_mul_f32 v11, v139, v99 :: v_dual_mul_f32 v13, v141, v101
	s_wait_loadcnt 0x4
	s_delay_alu instid0(VALU_DEP_2)
	v_dual_mov_b32 v162, v109 :: v_dual_fmac_f32 v7, v139, v98
	s_wait_dscnt 0x0
	v_dual_mul_f32 v157, v142, v103 :: v_dual_mul_f32 v159, v144, v105
	v_dual_fma_f32 v11, v138, v98, -v11 :: v_dual_fmac_f32 v9, v141, v100
	v_dual_mul_f32 v15, v143, v103 :: v_dual_mul_f32 v17, v145, v105
	v_dual_fma_f32 v13, v140, v100, -v13 :: v_dual_add_f32 v7, 0, v7
	s_wait_loadcnt 0x3
	s_delay_alu instid0(VALU_DEP_3) | instskip(SKIP_3) | instid1(VALU_DEP_4)
	v_dual_add_f32 v11, 0, v11 :: v_dual_mov_b32 v100, v113
	v_pk_mul_f32 v[160:161], v[122:123], v[106:107] op_sel:[1,1] op_sel_hi:[0,1]
	v_dual_fmac_f32 v157, v143, v102 :: v_dual_fma_f32 v156, v142, v102, -v15
	v_dual_add_f32 v103, v7, v9 :: v_dual_fmac_f32 v159, v145, v104
	v_dual_add_f32 v102, v11, v13 :: v_dual_fma_f32 v158, v144, v104, -v17
	s_delay_alu instid0(VALU_DEP_4) | instskip(SKIP_2) | instid1(VALU_DEP_4)
	v_pk_fma_f32 v[104:105], v[122:123], v[106:107], v[160:161] op_sel_hi:[1,0,1]
	v_pk_mul_f32 v[138:139], v[148:149], v[162:163] op_sel_hi:[1,0]
	v_pk_fma_f32 v[106:107], v[122:123], v[106:107], v[160:161] neg_lo:[0,0,1] neg_hi:[0,0,1]
	v_pk_add_f32 v[102:103], v[102:103], v[156:157]
	v_pk_mul_f32 v[98:99], v[126:127], v[110:111] op_sel:[1,1] op_sel_hi:[0,1]
	v_mov_b32_e32 v107, v105
	v_pk_fma_f32 v[104:105], v[124:125], v[108:109], v[138:139] op_sel_hi:[1,0,1]
	v_pk_fma_f32 v[108:109], v[124:125], v[108:109], v[138:139] neg_lo:[0,0,1] neg_hi:[0,0,1]
	v_pk_add_f32 v[102:103], v[102:103], v[158:159]
	v_pk_fma_f32 v[122:123], v[126:127], v[110:111], v[98:99] op_sel_hi:[1,0,1]
	v_pk_mul_f32 v[100:101], v[150:151], v[100:101] op_sel_hi:[1,0]
	v_mov_b32_e32 v109, v105
	v_pk_fma_f32 v[98:99], v[126:127], v[110:111], v[98:99] neg_lo:[0,0,1] neg_hi:[0,0,1]
	v_pk_add_f32 v[102:103], v[102:103], v[106:107]
	s_wait_loadcnt 0x2
	v_pk_mul_f32 v[140:141], v[130:131], v[114:115] op_sel:[1,1] op_sel_hi:[0,1]
	v_dual_mov_b32 v104, v117 :: v_dual_mov_b32 v99, v123
	v_pk_fma_f32 v[106:107], v[128:129], v[112:113], v[100:101] op_sel_hi:[1,0,1]
	v_pk_add_f32 v[102:103], v[102:103], v[108:109]
	v_pk_fma_f32 v[100:101], v[128:129], v[112:113], v[100:101] neg_lo:[0,0,1] neg_hi:[0,0,1]
	v_pk_fma_f32 v[108:109], v[130:131], v[114:115], v[140:141] op_sel_hi:[1,0,1]
	v_pk_mul_f32 v[104:105], v[152:153], v[104:105] op_sel_hi:[1,0]
	v_mov_b32_e32 v101, v107
	v_pk_add_f32 v[98:99], v[102:103], v[98:99]
	v_pk_fma_f32 v[106:107], v[130:131], v[114:115], v[140:141] neg_lo:[0,0,1] neg_hi:[0,0,1]
	s_wait_loadcnt 0x1
	v_pk_mul_f32 v[102:103], v[134:135], v[118:119] op_sel:[1,1] op_sel_hi:[0,1]
	v_mov_b32_e32 v107, v109
	v_pk_fma_f32 v[108:109], v[132:133], v[116:117], v[104:105] op_sel_hi:[1,0,1]
	v_pk_add_f32 v[98:99], v[98:99], v[100:101]
	v_mov_b32_e32 v100, v121
	v_pk_fma_f32 v[104:105], v[132:133], v[116:117], v[104:105] neg_lo:[0,0,1] neg_hi:[0,0,1]
	v_pk_fma_f32 v[110:111], v[134:135], v[118:119], v[102:103] op_sel_hi:[1,0,1]
	v_mov_b32_e32 v105, v109
	v_pk_add_f32 v[98:99], v[98:99], v[106:107]
	v_pk_mul_f32 v[100:101], v[154:155], v[100:101] op_sel_hi:[1,0]
	v_pk_fma_f32 v[102:103], v[134:135], v[118:119], v[102:103] neg_lo:[0,0,1] neg_hi:[0,0,1]
	s_delay_alu instid0(VALU_DEP_3) | instskip(NEXT) | instid1(VALU_DEP_3)
	v_pk_add_f32 v[98:99], v[98:99], v[104:105]
	v_pk_fma_f32 v[104:105], v[136:137], v[120:121], v[100:101] op_sel_hi:[1,0,1]
	v_mov_b32_e32 v103, v111
	v_pk_fma_f32 v[100:101], v[136:137], v[120:121], v[100:101] neg_lo:[0,0,1] neg_hi:[0,0,1]
	s_delay_alu instid0(VALU_DEP_3) | instskip(NEXT) | instid1(VALU_DEP_3)
	v_mov_b32_e32 v101, v105
	v_pk_add_f32 v[98:99], v[98:99], v[102:103]
	s_delay_alu instid0(VALU_DEP_1) | instskip(SKIP_1) | instid1(VALU_DEP_1)
	v_pk_add_f32 v[98:99], v[98:99], v[100:101]
	s_wait_loadcnt 0x0
	v_pk_add_f32 v[98:99], v[146:147], v[98:99] neg_lo:[0,1] neg_hi:[0,1]
	scratch_store_b64 off, v[98:99], off offset:280
	s_wait_xcnt 0x0
	v_cmpx_lt_u32_e32 34, v0
	s_cbranch_execz .LBB111_233
; %bb.232:
	scratch_load_b64 v[98:99], off, off offset:272
	v_mov_b64_e32 v[100:101], 0
	scratch_store_b64 off, v[100:101], off offset:272
	s_wait_loadcnt 0x0
	ds_store_b64 v1, v[98:99]
.LBB111_233:
	s_wait_xcnt 0x0
	s_or_b32 exec_lo, exec_lo, s0
	s_wait_storecnt_dscnt 0x0
	s_barrier_signal -1
	s_barrier_wait -1
	s_clause 0x7
	scratch_load_b128 v[98:101], off, off offset:280
	scratch_load_b128 v[102:105], off, off offset:296
	;; [unrolled: 1-line block ×6, first 2 shown]
	scratch_load_b64 v[146:147], off, off offset:376
	scratch_load_b64 v[148:149], off, off offset:272
	v_mov_b32_e32 v7, 0
	ds_load_2addr_b64 v[122:125], v7 offset0:87 offset1:88
	ds_load_2addr_b64 v[126:129], v7 offset0:89 offset1:90
	;; [unrolled: 1-line block ×6, first 2 shown]
	ds_load_b64 v[150:151], v7 offset:760
	s_mov_b32 s0, exec_lo
	s_wait_dscnt 0x6
	v_dual_mov_b32 v152, v125 :: v_dual_mov_b32 v153, v124
	s_wait_dscnt 0x3
	v_dual_mov_b32 v154, v129 :: v_dual_mov_b32 v159, v136
	v_dual_mov_b32 v155, v128 :: v_dual_mov_b32 v156, v133
	;; [unrolled: 1-line block ×3, first 2 shown]
	s_wait_loadcnt_dscnt 0x702
	v_dual_mul_f32 v9, v138, v99 :: v_dual_mul_f32 v15, v139, v99
	v_dual_mul_f32 v17, v141, v101 :: v_dual_mul_f32 v11, v140, v101
	s_wait_loadcnt_dscnt 0x601
	s_delay_alu instid0(VALU_DEP_2) | instskip(NEXT) | instid1(VALU_DEP_3)
	v_dual_mul_f32 v13, v142, v103 :: v_dual_fmac_f32 v9, v139, v98
	v_dual_fma_f32 v15, v138, v98, -v15 :: v_dual_mul_f32 v19, v143, v103
	v_mul_f32_e32 v21, v145, v105
	s_wait_loadcnt 0x4
	v_dual_mov_b32 v98, v113 :: v_dual_fma_f32 v17, v140, v100, -v17
	v_dual_fmac_f32 v11, v141, v100 :: v_dual_add_f32 v9, 0, v9
	v_dual_add_f32 v15, 0, v15 :: v_dual_fmac_f32 v13, v143, v102
	v_dual_mul_f32 v161, v144, v105 :: v_dual_mul_f32 v163, v122, v107
	v_dual_mul_f32 v23, v123, v107 :: v_dual_mov_b32 v162, v109
	s_delay_alu instid0(VALU_DEP_4) | instskip(NEXT) | instid1(VALU_DEP_3)
	v_dual_fma_f32 v19, v142, v102, -v19 :: v_dual_add_f32 v9, v9, v11
	v_dual_add_f32 v11, v15, v17 :: v_dual_fmac_f32 v161, v145, v104
	v_pk_mul_f32 v[164:165], v[126:127], v[110:111] op_sel:[1,1] op_sel_hi:[0,1]
	s_delay_alu instid0(VALU_DEP_3)
	v_dual_fma_f32 v160, v144, v104, -v21 :: v_dual_add_f32 v105, v9, v13
	v_pk_mul_f32 v[102:103], v[152:153], v[162:163] op_sel_hi:[1,0]
	s_wait_loadcnt 0x3
	v_dual_add_f32 v104, v11, v19 :: v_dual_mov_b32 v138, v117
	v_fmac_f32_e32 v163, v123, v106
	v_fma_f32 v162, v122, v106, -v23
	v_pk_fma_f32 v[106:107], v[124:125], v[108:109], v[102:103] op_sel_hi:[1,0,1]
	s_delay_alu instid0(VALU_DEP_4) | instskip(SKIP_4) | instid1(VALU_DEP_4)
	v_pk_add_f32 v[104:105], v[104:105], v[160:161]
	v_pk_fma_f32 v[122:123], v[126:127], v[110:111], v[164:165] op_sel_hi:[1,0,1]
	v_pk_fma_f32 v[102:103], v[124:125], v[108:109], v[102:103] neg_lo:[0,0,1] neg_hi:[0,0,1]
	v_pk_fma_f32 v[108:109], v[126:127], v[110:111], v[164:165] neg_lo:[0,0,1] neg_hi:[0,0,1]
	v_pk_mul_f32 v[98:99], v[154:155], v[98:99] op_sel_hi:[1,0]
	v_dual_mov_b32 v103, v107 :: v_dual_mov_b32 v109, v123
	v_pk_add_f32 v[104:105], v[104:105], v[162:163]
	v_pk_mul_f32 v[100:101], v[130:131], v[114:115] op_sel:[1,1] op_sel_hi:[0,1]
	s_delay_alu instid0(VALU_DEP_4)
	v_pk_fma_f32 v[110:111], v[128:129], v[112:113], v[98:99] op_sel_hi:[1,0,1]
	v_pk_fma_f32 v[98:99], v[128:129], v[112:113], v[98:99] neg_lo:[0,0,1] neg_hi:[0,0,1]
	v_pk_mul_f32 v[122:123], v[156:157], v[138:139] op_sel_hi:[1,0]
	v_pk_add_f32 v[102:103], v[104:105], v[102:103]
	v_pk_fma_f32 v[104:105], v[130:131], v[114:115], v[100:101] op_sel_hi:[1,0,1]
	s_wait_loadcnt 0x2
	v_dual_mov_b32 v99, v111 :: v_dual_mov_b32 v104, v121
	v_pk_fma_f32 v[100:101], v[130:131], v[114:115], v[100:101] neg_lo:[0,0,1] neg_hi:[0,0,1]
	v_pk_add_f32 v[102:103], v[102:103], v[108:109]
	v_pk_mul_f32 v[106:107], v[134:135], v[118:119] op_sel:[1,1] op_sel_hi:[0,1]
	v_pk_fma_f32 v[108:109], v[132:133], v[116:117], v[122:123] op_sel_hi:[1,0,1]
	v_mov_b32_e32 v101, v105
	v_pk_fma_f32 v[110:111], v[132:133], v[116:117], v[122:123] neg_lo:[0,0,1] neg_hi:[0,0,1]
	v_pk_add_f32 v[98:99], v[102:103], v[98:99]
	v_pk_fma_f32 v[102:103], v[134:135], v[118:119], v[106:107] op_sel_hi:[1,0,1]
	v_pk_mul_f32 v[104:105], v[158:159], v[104:105] op_sel_hi:[1,0]
	v_mov_b32_e32 v111, v109
	s_delay_alu instid0(VALU_DEP_4)
	v_pk_add_f32 v[98:99], v[98:99], v[100:101]
	v_pk_fma_f32 v[100:101], v[134:135], v[118:119], v[106:107] neg_lo:[0,0,1] neg_hi:[0,0,1]
	v_mov_b32_e32 v101, v103
	v_pk_fma_f32 v[102:103], v[136:137], v[120:121], v[104:105] op_sel_hi:[1,0,1]
	s_wait_loadcnt_dscnt 0x100
	v_pk_mul_f32 v[106:107], v[150:151], v[146:147] op_sel:[1,1] op_sel_hi:[0,1]
	v_pk_add_f32 v[98:99], v[98:99], v[110:111]
	v_pk_fma_f32 v[104:105], v[136:137], v[120:121], v[104:105] neg_lo:[0,0,1] neg_hi:[0,0,1]
	v_mov_b32_e32 v105, v103
	s_delay_alu instid0(VALU_DEP_4) | instskip(NEXT) | instid1(VALU_DEP_4)
	v_pk_fma_f32 v[102:103], v[150:151], v[146:147], v[106:107] neg_lo:[0,0,1] neg_hi:[0,0,1]
	v_pk_add_f32 v[98:99], v[98:99], v[100:101]
	v_pk_fma_f32 v[100:101], v[150:151], v[146:147], v[106:107] op_sel_hi:[1,0,1]
	s_delay_alu instid0(VALU_DEP_2) | instskip(NEXT) | instid1(VALU_DEP_2)
	v_pk_add_f32 v[98:99], v[98:99], v[104:105]
	v_mov_b32_e32 v103, v101
	s_delay_alu instid0(VALU_DEP_1) | instskip(SKIP_1) | instid1(VALU_DEP_1)
	v_pk_add_f32 v[98:99], v[98:99], v[102:103]
	s_wait_loadcnt 0x0
	v_pk_add_f32 v[98:99], v[148:149], v[98:99] neg_lo:[0,1] neg_hi:[0,1]
	scratch_store_b64 off, v[98:99], off offset:272
	s_wait_xcnt 0x0
	v_cmpx_lt_u32_e32 33, v0
	s_cbranch_execz .LBB111_235
; %bb.234:
	scratch_load_b64 v[98:99], off, off offset:264
	v_mov_b64_e32 v[100:101], 0
	scratch_store_b64 off, v[100:101], off offset:264
	s_wait_loadcnt 0x0
	ds_store_b64 v1, v[98:99]
.LBB111_235:
	s_wait_xcnt 0x0
	s_or_b32 exec_lo, exec_lo, s0
	s_wait_storecnt_dscnt 0x0
	s_barrier_signal -1
	s_barrier_wait -1
	s_clause 0x7
	scratch_load_b128 v[98:101], off, off offset:272
	scratch_load_b128 v[102:105], off, off offset:288
	;; [unrolled: 1-line block ×7, first 2 shown]
	scratch_load_b64 v[154:155], off, off offset:264
	ds_load_b128 v[126:129], v7 offset:704
	ds_load_b128 v[130:133], v7 offset:720
	;; [unrolled: 1-line block ×7, first 2 shown]
	s_mov_b32 s0, exec_lo
	s_wait_dscnt 0x6
	v_dual_mov_b32 v156, v129 :: v_dual_mov_b32 v157, v128
	s_wait_dscnt 0x5
	v_dual_mov_b32 v158, v133 :: v_dual_mov_b32 v159, v132
	;; [unrolled: 2-line block ×4, first 2 shown]
	s_wait_loadcnt_dscnt 0x702
	v_dual_mul_f32 v7, v142, v99 :: v_dual_mul_f32 v9, v144, v101
	v_dual_mul_f32 v15, v143, v99 :: v_dual_mul_f32 v17, v145, v101
	s_wait_loadcnt_dscnt 0x601
	v_dual_mul_f32 v11, v146, v103 :: v_dual_mul_f32 v13, v148, v105
	s_delay_alu instid0(VALU_DEP_3) | instskip(NEXT) | instid1(VALU_DEP_3)
	v_dual_fmac_f32 v7, v143, v98 :: v_dual_fmac_f32 v9, v145, v100
	v_dual_fma_f32 v15, v142, v98, -v15 :: v_dual_fma_f32 v17, v144, v100, -v17
	v_dual_mul_f32 v19, v147, v103 :: v_dual_mul_f32 v21, v149, v105
	s_wait_loadcnt 0x4
	s_delay_alu instid0(VALU_DEP_3) | instskip(NEXT) | instid1(VALU_DEP_3)
	v_dual_add_f32 v7, 0, v7 :: v_dual_mov_b32 v100, v113
	v_dual_add_f32 v15, 0, v15 :: v_dual_fmac_f32 v11, v147, v102
	s_delay_alu instid0(VALU_DEP_2) | instskip(SKIP_2) | instid1(VALU_DEP_3)
	v_dual_fma_f32 v19, v146, v102, -v19 :: v_dual_add_f32 v7, v7, v9
	s_wait_dscnt 0x0
	v_dual_mul_f32 v165, v150, v107 :: v_dual_mul_f32 v167, v152, v109
	v_dual_add_f32 v9, v15, v17 :: v_dual_fmac_f32 v13, v149, v104
	v_dual_mul_f32 v23, v151, v107 :: v_dual_mul_f32 v25, v153, v109
	v_dual_fma_f32 v15, v148, v104, -v21 :: v_dual_add_f32 v7, v7, v11
	s_delay_alu instid0(VALU_DEP_3) | instskip(SKIP_3) | instid1(VALU_DEP_3)
	v_dual_add_f32 v9, v9, v19 :: v_dual_fmac_f32 v165, v151, v106
	v_pk_mul_f32 v[98:99], v[126:127], v[110:111] op_sel:[1,1] op_sel_hi:[0,1]
	s_wait_loadcnt 0x3
	v_dual_mov_b32 v104, v117 :: v_dual_fma_f32 v164, v150, v106, -v23
	v_dual_add_f32 v107, v7, v13 :: v_dual_add_f32 v106, v9, v15
	v_dual_fmac_f32 v167, v153, v108 :: v_dual_fma_f32 v166, v152, v108, -v25
	v_pk_fma_f32 v[108:109], v[126:127], v[110:111], v[98:99] op_sel_hi:[1,0,1]
	v_pk_mul_f32 v[100:101], v[156:157], v[100:101] op_sel_hi:[1,0]
	s_delay_alu instid0(VALU_DEP_4)
	v_pk_add_f32 v[106:107], v[106:107], v[164:165]
	v_pk_fma_f32 v[98:99], v[126:127], v[110:111], v[98:99] neg_lo:[0,0,1] neg_hi:[0,0,1]
	v_pk_mul_f32 v[102:103], v[130:131], v[114:115] op_sel:[1,1] op_sel_hi:[0,1]
	v_mov_b32_e32 v99, v109
	v_pk_fma_f32 v[108:109], v[128:129], v[112:113], v[100:101] op_sel_hi:[1,0,1]
	v_pk_add_f32 v[106:107], v[106:107], v[166:167]
	v_pk_fma_f32 v[100:101], v[128:129], v[112:113], v[100:101] neg_lo:[0,0,1] neg_hi:[0,0,1]
	v_pk_fma_f32 v[110:111], v[130:131], v[114:115], v[102:103] op_sel_hi:[1,0,1]
	v_pk_mul_f32 v[104:105], v[158:159], v[104:105] op_sel_hi:[1,0]
	v_mov_b32_e32 v101, v109
	v_pk_add_f32 v[98:99], v[106:107], v[98:99]
	s_wait_loadcnt 0x2
	v_pk_mul_f32 v[142:143], v[134:135], v[118:119] op_sel:[1,1] op_sel_hi:[0,1]
	v_mov_b32_e32 v106, v121
	v_pk_fma_f32 v[102:103], v[130:131], v[114:115], v[102:103] neg_lo:[0,0,1] neg_hi:[0,0,1]
	v_mov_b32_e32 v103, v111
	v_pk_fma_f32 v[108:109], v[132:133], v[116:117], v[104:105] op_sel_hi:[1,0,1]
	v_pk_add_f32 v[98:99], v[98:99], v[100:101]
	v_pk_fma_f32 v[100:101], v[134:135], v[118:119], v[142:143] op_sel_hi:[1,0,1]
	v_pk_mul_f32 v[106:107], v[160:161], v[106:107] op_sel_hi:[1,0]
	v_pk_fma_f32 v[104:105], v[132:133], v[116:117], v[104:105] neg_lo:[0,0,1] neg_hi:[0,0,1]
	v_mov_b32_e32 v105, v109
	v_pk_add_f32 v[98:99], v[98:99], v[102:103]
	v_pk_fma_f32 v[108:109], v[134:135], v[118:119], v[142:143] neg_lo:[0,0,1] neg_hi:[0,0,1]
	v_mov_b32_e32 v109, v101
	v_pk_fma_f32 v[100:101], v[136:137], v[120:121], v[106:107] op_sel_hi:[1,0,1]
	s_wait_loadcnt 0x1
	v_pk_mul_f32 v[102:103], v[138:139], v[122:123] op_sel:[1,1] op_sel_hi:[0,1]
	v_pk_add_f32 v[98:99], v[98:99], v[104:105]
	v_mov_b32_e32 v100, v125
	v_pk_fma_f32 v[106:107], v[136:137], v[120:121], v[106:107] neg_lo:[0,0,1] neg_hi:[0,0,1]
	v_mov_b32_e32 v107, v101
	v_pk_fma_f32 v[104:105], v[138:139], v[122:123], v[102:103] op_sel_hi:[1,0,1]
	v_pk_add_f32 v[98:99], v[98:99], v[108:109]
	v_pk_mul_f32 v[100:101], v[162:163], v[100:101] op_sel_hi:[1,0]
	v_pk_fma_f32 v[102:103], v[138:139], v[122:123], v[102:103] neg_lo:[0,0,1] neg_hi:[0,0,1]
	s_delay_alu instid0(VALU_DEP_4) | instskip(NEXT) | instid1(VALU_DEP_4)
	v_mov_b32_e32 v103, v105
	v_pk_add_f32 v[98:99], v[98:99], v[106:107]
	s_delay_alu instid0(VALU_DEP_4) | instskip(SKIP_1) | instid1(VALU_DEP_2)
	v_pk_fma_f32 v[104:105], v[140:141], v[124:125], v[100:101] op_sel_hi:[1,0,1]
	v_pk_fma_f32 v[100:101], v[140:141], v[124:125], v[100:101] neg_lo:[0,0,1] neg_hi:[0,0,1]
	v_mov_b32_e32 v101, v105
	s_delay_alu instid0(VALU_DEP_4) | instskip(NEXT) | instid1(VALU_DEP_1)
	v_pk_add_f32 v[98:99], v[98:99], v[102:103]
	v_pk_add_f32 v[98:99], v[98:99], v[100:101]
	s_wait_loadcnt 0x0
	s_delay_alu instid0(VALU_DEP_1)
	v_pk_add_f32 v[98:99], v[154:155], v[98:99] neg_lo:[0,1] neg_hi:[0,1]
	scratch_store_b64 off, v[98:99], off offset:264
	s_wait_xcnt 0x0
	v_cmpx_lt_u32_e32 32, v0
	s_cbranch_execz .LBB111_237
; %bb.236:
	scratch_load_b64 v[98:99], off, off offset:256
	v_mov_b64_e32 v[100:101], 0
	scratch_store_b64 off, v[100:101], off offset:256
	s_wait_loadcnt 0x0
	ds_store_b64 v1, v[98:99]
.LBB111_237:
	s_wait_xcnt 0x0
	s_or_b32 exec_lo, exec_lo, s0
	s_wait_storecnt_dscnt 0x0
	s_barrier_signal -1
	s_barrier_wait -1
	s_clause 0x8
	scratch_load_b128 v[98:101], off, off offset:264
	scratch_load_b128 v[102:105], off, off offset:280
	;; [unrolled: 1-line block ×7, first 2 shown]
	scratch_load_b64 v[154:155], off, off offset:376
	scratch_load_b64 v[156:157], off, off offset:256
	v_mov_b32_e32 v7, 0
	ds_load_2addr_b64 v[126:129], v7 offset0:87 offset1:88
	ds_load_2addr_b64 v[130:133], v7 offset0:89 offset1:90
	;; [unrolled: 1-line block ×7, first 2 shown]
	ds_load_b64 v[158:159], v7 offset:760
	s_mov_b32 s0, exec_lo
	s_wait_dscnt 0x7
	v_dual_mov_b32 v160, v129 :: v_dual_mov_b32 v161, v128
	s_wait_dscnt 0x4
	v_dual_mov_b32 v162, v133 :: v_dual_mov_b32 v167, v140
	v_dual_mov_b32 v163, v132 :: v_dual_mov_b32 v164, v137
	;; [unrolled: 1-line block ×3, first 2 shown]
	s_wait_loadcnt_dscnt 0x803
	v_dual_mul_f32 v9, v142, v99 :: v_dual_mul_f32 v19, v143, v99
	v_dual_mul_f32 v21, v145, v101 :: v_dual_mul_f32 v11, v144, v101
	s_wait_loadcnt_dscnt 0x702
	v_mul_f32_e32 v13, v146, v103
	s_wait_loadcnt 0x5
	v_dual_mul_f32 v31, v127, v111 :: v_dual_fma_f32 v19, v142, v98, -v19
	v_dual_fmac_f32 v9, v143, v98 :: v_dual_mov_b32 v98, v113
	v_dual_mul_f32 v23, v147, v103 :: v_dual_mul_f32 v25, v149, v105
	v_dual_fmac_f32 v11, v145, v100 :: v_dual_fma_f32 v21, v144, v100, -v21
	s_delay_alu instid0(VALU_DEP_3) | instskip(SKIP_3) | instid1(VALU_DEP_3)
	v_dual_add_f32 v9, 0, v9 :: v_dual_add_f32 v19, 0, v19
	s_wait_dscnt 0x1
	v_dual_mul_f32 v15, v148, v105 :: v_dual_mul_f32 v17, v150, v107
	v_dual_fmac_f32 v13, v147, v102 :: v_dual_fma_f32 v23, v146, v102, -v23
	v_dual_add_f32 v9, v9, v11 :: v_dual_add_f32 v11, v19, v21
	v_dual_mul_f32 v27, v151, v107 :: v_dual_mul_f32 v29, v153, v109
	s_wait_loadcnt 0x4
	v_dual_mov_b32 v102, v117 :: v_dual_fma_f32 v19, v148, v104, -v25
	s_delay_alu instid0(VALU_DEP_3) | instskip(SKIP_2) | instid1(VALU_DEP_2)
	v_dual_fmac_f32 v15, v149, v104 :: v_dual_add_f32 v11, v11, v23
	v_dual_add_f32 v9, v9, v13 :: v_dual_fmac_f32 v17, v151, v106
	v_dual_mul_f32 v169, v152, v109 :: v_dual_mul_f32 v171, v126, v111
	v_dual_fma_f32 v13, v150, v106, -v27 :: v_dual_add_f32 v9, v9, v15
	s_delay_alu instid0(VALU_DEP_2) | instskip(SKIP_1) | instid1(VALU_DEP_3)
	v_dual_add_f32 v11, v11, v19 :: v_dual_fmac_f32 v169, v153, v108
	v_pk_mul_f32 v[100:101], v[130:131], v[114:115] op_sel:[1,1] op_sel_hi:[0,1]
	v_dual_fma_f32 v168, v152, v108, -v29 :: v_dual_add_f32 v107, v9, v17
	v_pk_mul_f32 v[98:99], v[160:161], v[98:99] op_sel_hi:[1,0]
	s_wait_loadcnt 0x3
	v_dual_add_f32 v106, v11, v13 :: v_dual_mov_b32 v108, v121
	v_fmac_f32_e32 v171, v127, v110
	v_fma_f32 v170, v126, v110, -v31
	v_pk_fma_f32 v[110:111], v[128:129], v[112:113], v[98:99] op_sel_hi:[1,0,1]
	s_delay_alu instid0(VALU_DEP_4) | instskip(SKIP_4) | instid1(VALU_DEP_4)
	v_pk_add_f32 v[106:107], v[106:107], v[168:169]
	v_pk_fma_f32 v[126:127], v[130:131], v[114:115], v[100:101] op_sel_hi:[1,0,1]
	v_pk_fma_f32 v[98:99], v[128:129], v[112:113], v[98:99] neg_lo:[0,0,1] neg_hi:[0,0,1]
	v_pk_fma_f32 v[100:101], v[130:131], v[114:115], v[100:101] neg_lo:[0,0,1] neg_hi:[0,0,1]
	v_pk_mul_f32 v[102:103], v[162:163], v[102:103] op_sel_hi:[1,0]
	v_dual_mov_b32 v99, v111 :: v_dual_mov_b32 v101, v127
	v_pk_add_f32 v[106:107], v[106:107], v[170:171]
	v_pk_mul_f32 v[104:105], v[134:135], v[118:119] op_sel:[1,1] op_sel_hi:[0,1]
	s_delay_alu instid0(VALU_DEP_4)
	v_pk_fma_f32 v[112:113], v[132:133], v[116:117], v[102:103] op_sel_hi:[1,0,1]
	v_pk_fma_f32 v[102:103], v[132:133], v[116:117], v[102:103] neg_lo:[0,0,1] neg_hi:[0,0,1]
	v_pk_mul_f32 v[108:109], v[164:165], v[108:109] op_sel_hi:[1,0]
	v_pk_add_f32 v[98:99], v[106:107], v[98:99]
	v_pk_fma_f32 v[106:107], v[134:135], v[118:119], v[104:105] op_sel_hi:[1,0,1]
	v_mov_b32_e32 v103, v113
	v_pk_fma_f32 v[104:105], v[134:135], v[118:119], v[104:105] neg_lo:[0,0,1] neg_hi:[0,0,1]
	s_wait_loadcnt 0x2
	v_pk_mul_f32 v[110:111], v[138:139], v[122:123] op_sel:[1,1] op_sel_hi:[0,1]
	v_pk_add_f32 v[98:99], v[98:99], v[100:101]
	v_dual_mov_b32 v100, v125 :: v_dual_mov_b32 v105, v107
	v_pk_fma_f32 v[106:107], v[136:137], v[120:121], v[108:109] op_sel_hi:[1,0,1]
	v_pk_fma_f32 v[108:109], v[136:137], v[120:121], v[108:109] neg_lo:[0,0,1] neg_hi:[0,0,1]
	s_delay_alu instid0(VALU_DEP_4)
	v_pk_add_f32 v[98:99], v[98:99], v[102:103]
	v_pk_fma_f32 v[102:103], v[138:139], v[122:123], v[110:111] op_sel_hi:[1,0,1]
	v_pk_mul_f32 v[100:101], v[166:167], v[100:101] op_sel_hi:[1,0]
	v_mov_b32_e32 v109, v107
	s_wait_loadcnt_dscnt 0x100
	v_pk_mul_f32 v[106:107], v[158:159], v[154:155] op_sel:[1,1] op_sel_hi:[0,1]
	v_pk_add_f32 v[98:99], v[98:99], v[104:105]
	v_pk_fma_f32 v[104:105], v[138:139], v[122:123], v[110:111] neg_lo:[0,0,1] neg_hi:[0,0,1]
	v_mov_b32_e32 v105, v103
	v_pk_fma_f32 v[102:103], v[140:141], v[124:125], v[100:101] op_sel_hi:[1,0,1]
	v_pk_fma_f32 v[100:101], v[140:141], v[124:125], v[100:101] neg_lo:[0,0,1] neg_hi:[0,0,1]
	v_pk_add_f32 v[98:99], v[98:99], v[108:109]
	s_delay_alu instid0(VALU_DEP_3) | instskip(SKIP_1) | instid1(VALU_DEP_3)
	v_mov_b32_e32 v101, v103
	v_pk_fma_f32 v[102:103], v[158:159], v[154:155], v[106:107] op_sel_hi:[1,0,1]
	v_pk_add_f32 v[98:99], v[98:99], v[104:105]
	v_pk_fma_f32 v[104:105], v[158:159], v[154:155], v[106:107] neg_lo:[0,0,1] neg_hi:[0,0,1]
	s_delay_alu instid0(VALU_DEP_3) | instskip(NEXT) | instid1(VALU_DEP_3)
	v_mov_b32_e32 v105, v103
	v_pk_add_f32 v[98:99], v[98:99], v[100:101]
	s_delay_alu instid0(VALU_DEP_1) | instskip(SKIP_1) | instid1(VALU_DEP_1)
	v_pk_add_f32 v[98:99], v[98:99], v[104:105]
	s_wait_loadcnt 0x0
	v_pk_add_f32 v[98:99], v[156:157], v[98:99] neg_lo:[0,1] neg_hi:[0,1]
	scratch_store_b64 off, v[98:99], off offset:256
	s_wait_xcnt 0x0
	v_cmpx_lt_u32_e32 31, v0
	s_cbranch_execz .LBB111_239
; %bb.238:
	scratch_load_b64 v[98:99], off, off offset:248
	v_mov_b64_e32 v[100:101], 0
	scratch_store_b64 off, v[100:101], off offset:248
	s_wait_loadcnt 0x0
	ds_store_b64 v1, v[98:99]
.LBB111_239:
	s_wait_xcnt 0x0
	s_or_b32 exec_lo, exec_lo, s0
	s_wait_storecnt_dscnt 0x0
	s_barrier_signal -1
	s_barrier_wait -1
	s_clause 0x8
	scratch_load_b128 v[98:101], off, off offset:256
	scratch_load_b128 v[102:105], off, off offset:272
	;; [unrolled: 1-line block ×8, first 2 shown]
	scratch_load_b64 v[162:163], off, off offset:248
	ds_load_b128 v[130:133], v7 offset:704
	ds_load_b128 v[134:137], v7 offset:720
	;; [unrolled: 1-line block ×8, first 2 shown]
	s_mov_b32 s0, exec_lo
	s_wait_dscnt 0x7
	v_dual_mov_b32 v164, v133 :: v_dual_mov_b32 v165, v132
	s_wait_dscnt 0x6
	v_dual_mov_b32 v166, v137 :: v_dual_mov_b32 v167, v136
	;; [unrolled: 2-line block ×4, first 2 shown]
	s_wait_loadcnt_dscnt 0x803
	v_dual_mul_f32 v7, v146, v99 :: v_dual_mul_f32 v9, v148, v101
	v_dual_mul_f32 v19, v147, v99 :: v_dual_mul_f32 v21, v149, v101
	s_wait_loadcnt_dscnt 0x702
	v_dual_mul_f32 v11, v150, v103 :: v_dual_mul_f32 v13, v152, v105
	s_delay_alu instid0(VALU_DEP_3) | instskip(SKIP_3) | instid1(VALU_DEP_3)
	v_dual_fmac_f32 v7, v147, v98 :: v_dual_fmac_f32 v9, v149, v100
	s_wait_loadcnt_dscnt 0x500
	v_dual_fma_f32 v19, v146, v98, -v19 :: v_dual_mul_f32 v31, v159, v111
	v_dual_mul_f32 v23, v151, v103 :: v_dual_mul_f32 v25, v153, v105
	v_dual_fma_f32 v21, v148, v100, -v21 :: v_dual_add_f32 v7, 0, v7
	s_delay_alu instid0(VALU_DEP_3) | instskip(SKIP_1) | instid1(VALU_DEP_3)
	v_dual_add_f32 v19, 0, v19 :: v_dual_mul_f32 v33, v161, v113
	v_dual_fmac_f32 v11, v151, v102 :: v_dual_fmac_f32 v13, v153, v104
	v_dual_fma_f32 v23, v150, v102, -v23 :: v_dual_add_f32 v7, v7, v9
	s_delay_alu instid0(VALU_DEP_3) | instskip(SKIP_4) | instid1(VALU_DEP_3)
	v_dual_add_f32 v9, v19, v21 :: v_dual_fma_f32 v19, v152, v104, -v25
	v_dual_mul_f32 v15, v154, v107 :: v_dual_mul_f32 v17, v156, v109
	v_dual_mul_f32 v27, v155, v107 :: v_dual_mul_f32 v29, v157, v109
	s_wait_loadcnt 0x4
	v_dual_add_f32 v7, v7, v11 :: v_dual_mov_b32 v100, v117
	v_dual_add_f32 v9, v9, v23 :: v_dual_fmac_f32 v15, v155, v106
	s_delay_alu instid0(VALU_DEP_2) | instskip(SKIP_1) | instid1(VALU_DEP_3)
	v_dual_fma_f32 v11, v154, v106, -v27 :: v_dual_add_f32 v7, v7, v13
	v_dual_mul_f32 v173, v158, v111 :: v_dual_mul_f32 v175, v160, v113
	v_dual_add_f32 v9, v9, v19 :: v_dual_fma_f32 v13, v156, v108, -v29
	s_delay_alu instid0(VALU_DEP_3) | instskip(SKIP_1) | instid1(VALU_DEP_3)
	v_dual_fmac_f32 v17, v157, v108 :: v_dual_add_f32 v7, v7, v15
	v_pk_mul_f32 v[98:99], v[130:131], v[114:115] op_sel:[1,1] op_sel_hi:[0,1]
	v_dual_add_f32 v9, v9, v11 :: v_dual_fmac_f32 v173, v159, v110
	s_wait_loadcnt 0x3
	v_dual_mov_b32 v104, v121 :: v_dual_fma_f32 v172, v158, v110, -v31
	v_dual_add_f32 v107, v7, v17 :: v_dual_fmac_f32 v175, v161, v112
	s_delay_alu instid0(VALU_DEP_3) | instskip(SKIP_3) | instid1(VALU_DEP_4)
	v_dual_add_f32 v106, v9, v13 :: v_dual_fma_f32 v174, v160, v112, -v33
	v_pk_fma_f32 v[108:109], v[130:131], v[114:115], v[98:99] op_sel_hi:[1,0,1]
	v_pk_mul_f32 v[100:101], v[164:165], v[100:101] op_sel_hi:[1,0]
	v_pk_fma_f32 v[98:99], v[130:131], v[114:115], v[98:99] neg_lo:[0,0,1] neg_hi:[0,0,1]
	v_pk_add_f32 v[106:107], v[106:107], v[172:173]
	v_pk_mul_f32 v[102:103], v[134:135], v[118:119] op_sel:[1,1] op_sel_hi:[0,1]
	v_mov_b32_e32 v99, v109
	v_pk_fma_f32 v[108:109], v[132:133], v[116:117], v[100:101] op_sel_hi:[1,0,1]
	v_pk_fma_f32 v[100:101], v[132:133], v[116:117], v[100:101] neg_lo:[0,0,1] neg_hi:[0,0,1]
	v_pk_add_f32 v[106:107], v[106:107], v[174:175]
	v_pk_fma_f32 v[112:113], v[134:135], v[118:119], v[102:103] op_sel_hi:[1,0,1]
	v_pk_mul_f32 v[104:105], v[166:167], v[104:105] op_sel_hi:[1,0]
	v_mov_b32_e32 v101, v109
	s_wait_loadcnt 0x2
	v_pk_mul_f32 v[110:111], v[138:139], v[122:123] op_sel:[1,1] op_sel_hi:[0,1]
	v_pk_add_f32 v[98:99], v[106:107], v[98:99]
	v_mov_b32_e32 v106, v125
	v_pk_fma_f32 v[102:103], v[134:135], v[118:119], v[102:103] neg_lo:[0,0,1] neg_hi:[0,0,1]
	v_mov_b32_e32 v103, v113
	v_pk_fma_f32 v[108:109], v[136:137], v[120:121], v[104:105] op_sel_hi:[1,0,1]
	v_pk_add_f32 v[98:99], v[98:99], v[100:101]
	v_pk_fma_f32 v[100:101], v[138:139], v[122:123], v[110:111] op_sel_hi:[1,0,1]
	v_pk_mul_f32 v[106:107], v[168:169], v[106:107] op_sel_hi:[1,0]
	v_pk_fma_f32 v[104:105], v[136:137], v[120:121], v[104:105] neg_lo:[0,0,1] neg_hi:[0,0,1]
	v_mov_b32_e32 v105, v109
	v_pk_add_f32 v[98:99], v[98:99], v[102:103]
	v_pk_fma_f32 v[108:109], v[138:139], v[122:123], v[110:111] neg_lo:[0,0,1] neg_hi:[0,0,1]
	v_mov_b32_e32 v109, v101
	v_pk_fma_f32 v[100:101], v[140:141], v[124:125], v[106:107] op_sel_hi:[1,0,1]
	s_wait_loadcnt 0x1
	v_pk_mul_f32 v[102:103], v[142:143], v[126:127] op_sel:[1,1] op_sel_hi:[0,1]
	v_pk_add_f32 v[98:99], v[98:99], v[104:105]
	v_mov_b32_e32 v100, v129
	v_pk_fma_f32 v[106:107], v[140:141], v[124:125], v[106:107] neg_lo:[0,0,1] neg_hi:[0,0,1]
	v_mov_b32_e32 v107, v101
	v_pk_fma_f32 v[104:105], v[142:143], v[126:127], v[102:103] op_sel_hi:[1,0,1]
	v_pk_add_f32 v[98:99], v[98:99], v[108:109]
	v_pk_mul_f32 v[100:101], v[170:171], v[100:101] op_sel_hi:[1,0]
	v_pk_fma_f32 v[102:103], v[142:143], v[126:127], v[102:103] neg_lo:[0,0,1] neg_hi:[0,0,1]
	s_delay_alu instid0(VALU_DEP_4) | instskip(NEXT) | instid1(VALU_DEP_4)
	v_mov_b32_e32 v103, v105
	v_pk_add_f32 v[98:99], v[98:99], v[106:107]
	s_delay_alu instid0(VALU_DEP_4) | instskip(SKIP_1) | instid1(VALU_DEP_2)
	v_pk_fma_f32 v[104:105], v[144:145], v[128:129], v[100:101] op_sel_hi:[1,0,1]
	v_pk_fma_f32 v[100:101], v[144:145], v[128:129], v[100:101] neg_lo:[0,0,1] neg_hi:[0,0,1]
	v_mov_b32_e32 v101, v105
	s_delay_alu instid0(VALU_DEP_4) | instskip(NEXT) | instid1(VALU_DEP_1)
	v_pk_add_f32 v[98:99], v[98:99], v[102:103]
	v_pk_add_f32 v[98:99], v[98:99], v[100:101]
	s_wait_loadcnt 0x0
	s_delay_alu instid0(VALU_DEP_1)
	v_pk_add_f32 v[98:99], v[162:163], v[98:99] neg_lo:[0,1] neg_hi:[0,1]
	scratch_store_b64 off, v[98:99], off offset:248
	s_wait_xcnt 0x0
	v_cmpx_lt_u32_e32 30, v0
	s_cbranch_execz .LBB111_241
; %bb.240:
	scratch_load_b64 v[98:99], off, off offset:240
	v_mov_b64_e32 v[100:101], 0
	scratch_store_b64 off, v[100:101], off offset:240
	s_wait_loadcnt 0x0
	ds_store_b64 v1, v[98:99]
.LBB111_241:
	s_wait_xcnt 0x0
	s_or_b32 exec_lo, exec_lo, s0
	s_wait_storecnt_dscnt 0x0
	s_barrier_signal -1
	s_barrier_wait -1
	s_clause 0x9
	scratch_load_b128 v[98:101], off, off offset:248
	scratch_load_b128 v[102:105], off, off offset:264
	;; [unrolled: 1-line block ×8, first 2 shown]
	scratch_load_b64 v[162:163], off, off offset:376
	scratch_load_b64 v[164:165], off, off offset:240
	v_mov_b32_e32 v7, 0
	ds_load_2addr_b64 v[130:133], v7 offset0:87 offset1:88
	ds_load_2addr_b64 v[134:137], v7 offset0:89 offset1:90
	;; [unrolled: 1-line block ×8, first 2 shown]
	ds_load_b64 v[166:167], v7 offset:760
	s_mov_b32 s0, exec_lo
	s_wait_dscnt 0x8
	v_dual_mov_b32 v168, v133 :: v_dual_mov_b32 v169, v132
	s_wait_dscnt 0x5
	v_dual_mov_b32 v170, v137 :: v_dual_mov_b32 v175, v144
	v_dual_mov_b32 v171, v136 :: v_dual_mov_b32 v172, v141
	;; [unrolled: 1-line block ×3, first 2 shown]
	s_wait_loadcnt_dscnt 0x904
	v_dual_mul_f32 v9, v146, v99 :: v_dual_mul_f32 v23, v147, v99
	v_dual_mul_f32 v25, v149, v101 :: v_dual_mul_f32 v11, v148, v101
	s_wait_loadcnt_dscnt 0x803
	v_mul_f32_e32 v13, v150, v103
	s_wait_loadcnt_dscnt 0x601
	v_dual_mul_f32 v35, v159, v111 :: v_dual_fma_f32 v23, v146, v98, -v23
	v_dual_fmac_f32 v9, v147, v98 :: v_dual_mul_f32 v37, v161, v113
	v_dual_mul_f32 v27, v151, v103 :: v_dual_mul_f32 v29, v153, v105
	v_dual_fmac_f32 v11, v149, v100 :: v_dual_fma_f32 v25, v148, v100, -v25
	s_delay_alu instid0(VALU_DEP_3) | instskip(SKIP_3) | instid1(VALU_DEP_3)
	v_dual_add_f32 v9, 0, v9 :: v_dual_add_f32 v23, 0, v23
	v_dual_mul_f32 v15, v152, v105 :: v_dual_mul_f32 v17, v154, v107
	s_wait_loadcnt 0x5
	v_dual_mul_f32 v39, v131, v115 :: v_dual_fma_f32 v27, v150, v102, -v27
	v_dual_fmac_f32 v13, v151, v102 :: v_dual_add_f32 v9, v9, v11
	v_dual_add_f32 v11, v23, v25 :: v_dual_mov_b32 v98, v117
	v_dual_mul_f32 v31, v155, v107 :: v_dual_mul_f32 v33, v157, v109
	v_dual_fmac_f32 v15, v153, v104 :: v_dual_fma_f32 v23, v152, v104, -v29
	s_delay_alu instid0(VALU_DEP_3) | instskip(SKIP_1) | instid1(VALU_DEP_4)
	v_dual_add_f32 v9, v9, v13 :: v_dual_add_f32 v11, v11, v27
	v_dual_mul_f32 v19, v156, v109 :: v_dual_mul_f32 v21, v158, v111
	v_dual_fmac_f32 v17, v155, v106 :: v_dual_fma_f32 v13, v154, v106, -v31
	s_delay_alu instid0(VALU_DEP_3) | instskip(SKIP_3) | instid1(VALU_DEP_3)
	v_dual_add_f32 v9, v9, v15 :: v_dual_fma_f32 v15, v156, v108, -v33
	s_wait_loadcnt 0x4
	v_dual_add_f32 v11, v11, v23 :: v_dual_mov_b32 v102, v121
	v_fmac_f32_e32 v19, v157, v108
	v_dual_add_f32 v9, v9, v17 :: v_dual_fmac_f32 v21, v159, v110
	s_delay_alu instid0(VALU_DEP_3) | instskip(SKIP_1) | instid1(VALU_DEP_3)
	v_add_f32_e32 v11, v11, v13
	v_dual_mul_f32 v177, v160, v113 :: v_dual_mul_f32 v179, v130, v115
	v_dual_fma_f32 v13, v158, v110, -v35 :: v_dual_add_f32 v9, v9, v19
	s_delay_alu instid0(VALU_DEP_2) | instskip(SKIP_1) | instid1(VALU_DEP_3)
	v_dual_add_f32 v11, v11, v15 :: v_dual_fmac_f32 v177, v161, v112
	v_pk_mul_f32 v[100:101], v[134:135], v[118:119] op_sel:[1,1] op_sel_hi:[0,1]
	v_dual_fma_f32 v176, v160, v112, -v37 :: v_dual_add_f32 v107, v9, v21
	v_pk_mul_f32 v[98:99], v[168:169], v[98:99] op_sel_hi:[1,0]
	s_wait_loadcnt 0x3
	v_dual_add_f32 v106, v11, v13 :: v_dual_mov_b32 v108, v125
	v_pk_fma_f32 v[112:113], v[134:135], v[118:119], v[100:101] op_sel_hi:[1,0,1]
	v_fmac_f32_e32 v179, v131, v114
	v_pk_fma_f32 v[110:111], v[132:133], v[116:117], v[98:99] op_sel_hi:[1,0,1]
	v_fma_f32 v178, v130, v114, -v39
	v_pk_add_f32 v[106:107], v[106:107], v[176:177]
	v_pk_fma_f32 v[98:99], v[132:133], v[116:117], v[98:99] neg_lo:[0,0,1] neg_hi:[0,0,1]
	v_pk_fma_f32 v[100:101], v[134:135], v[118:119], v[100:101] neg_lo:[0,0,1] neg_hi:[0,0,1]
	v_pk_mul_f32 v[102:103], v[170:171], v[102:103] op_sel_hi:[1,0]
	v_dual_mov_b32 v99, v111 :: v_dual_mov_b32 v101, v113
	v_pk_add_f32 v[106:107], v[106:107], v[178:179]
	v_pk_mul_f32 v[104:105], v[138:139], v[122:123] op_sel:[1,1] op_sel_hi:[0,1]
	s_delay_alu instid0(VALU_DEP_4)
	v_pk_fma_f32 v[112:113], v[136:137], v[120:121], v[102:103] op_sel_hi:[1,0,1]
	v_pk_fma_f32 v[102:103], v[136:137], v[120:121], v[102:103] neg_lo:[0,0,1] neg_hi:[0,0,1]
	v_pk_mul_f32 v[108:109], v[172:173], v[108:109] op_sel_hi:[1,0]
	v_pk_add_f32 v[98:99], v[106:107], v[98:99]
	v_pk_fma_f32 v[106:107], v[138:139], v[122:123], v[104:105] op_sel_hi:[1,0,1]
	v_mov_b32_e32 v103, v113
	v_pk_fma_f32 v[104:105], v[138:139], v[122:123], v[104:105] neg_lo:[0,0,1] neg_hi:[0,0,1]
	s_wait_loadcnt 0x2
	v_pk_mul_f32 v[110:111], v[142:143], v[126:127] op_sel:[1,1] op_sel_hi:[0,1]
	v_pk_add_f32 v[98:99], v[98:99], v[100:101]
	v_dual_mov_b32 v100, v129 :: v_dual_mov_b32 v105, v107
	v_pk_fma_f32 v[106:107], v[140:141], v[124:125], v[108:109] op_sel_hi:[1,0,1]
	v_pk_fma_f32 v[108:109], v[140:141], v[124:125], v[108:109] neg_lo:[0,0,1] neg_hi:[0,0,1]
	s_delay_alu instid0(VALU_DEP_4)
	v_pk_add_f32 v[98:99], v[98:99], v[102:103]
	v_pk_fma_f32 v[102:103], v[142:143], v[126:127], v[110:111] op_sel_hi:[1,0,1]
	v_pk_mul_f32 v[100:101], v[174:175], v[100:101] op_sel_hi:[1,0]
	v_mov_b32_e32 v109, v107
	s_wait_loadcnt_dscnt 0x100
	v_pk_mul_f32 v[106:107], v[166:167], v[162:163] op_sel:[1,1] op_sel_hi:[0,1]
	v_pk_add_f32 v[98:99], v[98:99], v[104:105]
	v_pk_fma_f32 v[104:105], v[142:143], v[126:127], v[110:111] neg_lo:[0,0,1] neg_hi:[0,0,1]
	v_mov_b32_e32 v105, v103
	v_pk_fma_f32 v[102:103], v[144:145], v[128:129], v[100:101] op_sel_hi:[1,0,1]
	v_pk_fma_f32 v[100:101], v[144:145], v[128:129], v[100:101] neg_lo:[0,0,1] neg_hi:[0,0,1]
	v_pk_add_f32 v[98:99], v[98:99], v[108:109]
	s_delay_alu instid0(VALU_DEP_3) | instskip(SKIP_1) | instid1(VALU_DEP_3)
	v_mov_b32_e32 v101, v103
	v_pk_fma_f32 v[102:103], v[166:167], v[162:163], v[106:107] op_sel_hi:[1,0,1]
	v_pk_add_f32 v[98:99], v[98:99], v[104:105]
	v_pk_fma_f32 v[104:105], v[166:167], v[162:163], v[106:107] neg_lo:[0,0,1] neg_hi:[0,0,1]
	s_delay_alu instid0(VALU_DEP_3) | instskip(NEXT) | instid1(VALU_DEP_3)
	v_mov_b32_e32 v105, v103
	v_pk_add_f32 v[98:99], v[98:99], v[100:101]
	s_delay_alu instid0(VALU_DEP_1) | instskip(SKIP_1) | instid1(VALU_DEP_1)
	v_pk_add_f32 v[98:99], v[98:99], v[104:105]
	s_wait_loadcnt 0x0
	v_pk_add_f32 v[98:99], v[164:165], v[98:99] neg_lo:[0,1] neg_hi:[0,1]
	scratch_store_b64 off, v[98:99], off offset:240
	s_wait_xcnt 0x0
	v_cmpx_lt_u32_e32 29, v0
	s_cbranch_execz .LBB111_243
; %bb.242:
	scratch_load_b64 v[98:99], off, off offset:232
	v_mov_b64_e32 v[100:101], 0
	scratch_store_b64 off, v[100:101], off offset:232
	s_wait_loadcnt 0x0
	ds_store_b64 v1, v[98:99]
.LBB111_243:
	s_wait_xcnt 0x0
	s_or_b32 exec_lo, exec_lo, s0
	s_wait_storecnt_dscnt 0x0
	s_barrier_signal -1
	s_barrier_wait -1
	s_clause 0x9
	scratch_load_b128 v[98:101], off, off offset:240
	scratch_load_b128 v[102:105], off, off offset:256
	;; [unrolled: 1-line block ×9, first 2 shown]
	scratch_load_b64 v[170:171], off, off offset:232
	ds_load_b128 v[134:137], v7 offset:704
	ds_load_b128 v[138:141], v7 offset:720
	;; [unrolled: 1-line block ×9, first 2 shown]
	s_mov_b32 s0, exec_lo
	s_wait_dscnt 0x8
	v_dual_mov_b32 v172, v137 :: v_dual_mov_b32 v173, v136
	s_wait_dscnt 0x7
	v_dual_mov_b32 v174, v141 :: v_dual_mov_b32 v175, v140
	;; [unrolled: 2-line block ×4, first 2 shown]
	s_wait_loadcnt_dscnt 0x904
	v_dual_mul_f32 v7, v150, v99 :: v_dual_mul_f32 v9, v152, v101
	v_dual_mul_f32 v23, v151, v99 :: v_dual_mul_f32 v25, v153, v101
	s_wait_loadcnt_dscnt 0x803
	v_dual_mul_f32 v11, v154, v103 :: v_dual_mul_f32 v13, v156, v105
	s_delay_alu instid0(VALU_DEP_3) | instskip(SKIP_3) | instid1(VALU_DEP_3)
	v_dual_fmac_f32 v7, v151, v98 :: v_dual_fmac_f32 v9, v153, v100
	s_wait_loadcnt_dscnt 0x601
	v_dual_fma_f32 v23, v150, v98, -v23 :: v_dual_mul_f32 v35, v163, v111
	v_dual_mul_f32 v27, v155, v103 :: v_dual_mul_f32 v29, v157, v105
	v_dual_fma_f32 v25, v152, v100, -v25 :: v_dual_add_f32 v7, 0, v7
	s_delay_alu instid0(VALU_DEP_3) | instskip(SKIP_1) | instid1(VALU_DEP_3)
	v_dual_add_f32 v23, 0, v23 :: v_dual_mul_f32 v37, v165, v113
	v_dual_fmac_f32 v11, v155, v102 :: v_dual_fmac_f32 v13, v157, v104
	v_dual_fma_f32 v27, v154, v102, -v27 :: v_dual_add_f32 v7, v7, v9
	s_delay_alu instid0(VALU_DEP_3) | instskip(SKIP_2) | instid1(VALU_DEP_4)
	v_dual_add_f32 v9, v23, v25 :: v_dual_fma_f32 v25, v156, v104, -v29
	v_dual_mul_f32 v15, v158, v107 :: v_dual_mul_f32 v17, v160, v109
	v_dual_mul_f32 v31, v159, v107 :: v_dual_mul_f32 v33, v161, v109
	v_add_f32_e32 v7, v7, v11
	s_delay_alu instid0(VALU_DEP_3) | instskip(NEXT) | instid1(VALU_DEP_3)
	v_dual_add_f32 v9, v9, v27 :: v_dual_fmac_f32 v15, v159, v106
	v_fma_f32 v27, v158, v106, -v31
	v_dual_mul_f32 v19, v162, v111 :: v_dual_mul_f32 v21, v164, v113
	s_delay_alu instid0(VALU_DEP_4) | instskip(NEXT) | instid1(VALU_DEP_4)
	v_dual_add_f32 v7, v7, v13 :: v_dual_fmac_f32 v17, v161, v108
	v_dual_add_f32 v9, v9, v25 :: v_dual_fma_f32 v13, v160, v108, -v33
	s_wait_loadcnt 0x4
	s_delay_alu instid0(VALU_DEP_2) | instskip(NEXT) | instid1(VALU_DEP_2)
	v_dual_mov_b32 v100, v121 :: v_dual_add_f32 v7, v7, v15
	v_dual_fmac_f32 v19, v163, v110 :: v_dual_add_f32 v9, v9, v27
	v_fma_f32 v15, v162, v110, -v35
	s_wait_dscnt 0x0
	v_dual_mul_f32 v181, v166, v115 :: v_dual_mul_f32 v183, v168, v117
	v_add_f32_e32 v7, v7, v17
	v_dual_add_f32 v9, v9, v13 :: v_dual_fma_f32 v13, v164, v112, -v37
	v_dual_mul_f32 v23, v167, v115 :: v_dual_mul_f32 v11, v169, v117
	s_delay_alu instid0(VALU_DEP_3) | instskip(NEXT) | instid1(VALU_DEP_3)
	v_dual_fmac_f32 v21, v165, v112 :: v_dual_add_f32 v7, v7, v19
	v_dual_add_f32 v9, v9, v15 :: v_dual_fmac_f32 v181, v167, v114
	v_pk_mul_f32 v[98:99], v[134:135], v[118:119] op_sel:[1,1] op_sel_hi:[0,1]
	s_wait_loadcnt 0x3
	v_dual_mov_b32 v104, v125 :: v_dual_fma_f32 v180, v166, v114, -v23
	v_dual_add_f32 v107, v7, v21 :: v_dual_fmac_f32 v183, v169, v116
	v_dual_add_f32 v106, v9, v13 :: v_dual_fma_f32 v182, v168, v116, -v11
	v_pk_fma_f32 v[108:109], v[134:135], v[118:119], v[98:99] op_sel_hi:[1,0,1]
	v_pk_mul_f32 v[100:101], v[172:173], v[100:101] op_sel_hi:[1,0]
	v_pk_fma_f32 v[98:99], v[134:135], v[118:119], v[98:99] neg_lo:[0,0,1] neg_hi:[0,0,1]
	s_delay_alu instid0(VALU_DEP_4)
	v_pk_add_f32 v[106:107], v[106:107], v[180:181]
	v_pk_mul_f32 v[102:103], v[138:139], v[122:123] op_sel:[1,1] op_sel_hi:[0,1]
	v_mov_b32_e32 v99, v109
	v_pk_fma_f32 v[108:109], v[136:137], v[120:121], v[100:101] op_sel_hi:[1,0,1]
	v_pk_fma_f32 v[100:101], v[136:137], v[120:121], v[100:101] neg_lo:[0,0,1] neg_hi:[0,0,1]
	v_pk_add_f32 v[106:107], v[106:107], v[182:183]
	v_pk_fma_f32 v[112:113], v[138:139], v[122:123], v[102:103] op_sel_hi:[1,0,1]
	v_pk_mul_f32 v[104:105], v[174:175], v[104:105] op_sel_hi:[1,0]
	v_mov_b32_e32 v101, v109
	s_wait_loadcnt 0x2
	v_pk_mul_f32 v[110:111], v[142:143], v[126:127] op_sel:[1,1] op_sel_hi:[0,1]
	v_pk_add_f32 v[98:99], v[106:107], v[98:99]
	v_mov_b32_e32 v106, v129
	v_pk_fma_f32 v[102:103], v[138:139], v[122:123], v[102:103] neg_lo:[0,0,1] neg_hi:[0,0,1]
	v_mov_b32_e32 v103, v113
	v_pk_fma_f32 v[108:109], v[140:141], v[124:125], v[104:105] op_sel_hi:[1,0,1]
	v_pk_add_f32 v[98:99], v[98:99], v[100:101]
	v_pk_fma_f32 v[100:101], v[142:143], v[126:127], v[110:111] op_sel_hi:[1,0,1]
	v_pk_mul_f32 v[106:107], v[176:177], v[106:107] op_sel_hi:[1,0]
	v_pk_fma_f32 v[104:105], v[140:141], v[124:125], v[104:105] neg_lo:[0,0,1] neg_hi:[0,0,1]
	v_mov_b32_e32 v105, v109
	v_pk_add_f32 v[98:99], v[98:99], v[102:103]
	v_pk_fma_f32 v[108:109], v[142:143], v[126:127], v[110:111] neg_lo:[0,0,1] neg_hi:[0,0,1]
	v_mov_b32_e32 v109, v101
	v_pk_fma_f32 v[100:101], v[144:145], v[128:129], v[106:107] op_sel_hi:[1,0,1]
	s_wait_loadcnt 0x1
	v_pk_mul_f32 v[102:103], v[146:147], v[130:131] op_sel:[1,1] op_sel_hi:[0,1]
	v_pk_add_f32 v[98:99], v[98:99], v[104:105]
	v_mov_b32_e32 v100, v133
	v_pk_fma_f32 v[106:107], v[144:145], v[128:129], v[106:107] neg_lo:[0,0,1] neg_hi:[0,0,1]
	v_mov_b32_e32 v107, v101
	v_pk_fma_f32 v[104:105], v[146:147], v[130:131], v[102:103] op_sel_hi:[1,0,1]
	v_pk_add_f32 v[98:99], v[98:99], v[108:109]
	v_pk_mul_f32 v[100:101], v[178:179], v[100:101] op_sel_hi:[1,0]
	v_pk_fma_f32 v[102:103], v[146:147], v[130:131], v[102:103] neg_lo:[0,0,1] neg_hi:[0,0,1]
	s_delay_alu instid0(VALU_DEP_4) | instskip(NEXT) | instid1(VALU_DEP_4)
	v_mov_b32_e32 v103, v105
	v_pk_add_f32 v[98:99], v[98:99], v[106:107]
	s_delay_alu instid0(VALU_DEP_4) | instskip(SKIP_1) | instid1(VALU_DEP_2)
	v_pk_fma_f32 v[104:105], v[148:149], v[132:133], v[100:101] op_sel_hi:[1,0,1]
	v_pk_fma_f32 v[100:101], v[148:149], v[132:133], v[100:101] neg_lo:[0,0,1] neg_hi:[0,0,1]
	v_mov_b32_e32 v101, v105
	s_delay_alu instid0(VALU_DEP_4) | instskip(NEXT) | instid1(VALU_DEP_1)
	v_pk_add_f32 v[98:99], v[98:99], v[102:103]
	v_pk_add_f32 v[98:99], v[98:99], v[100:101]
	s_wait_loadcnt 0x0
	s_delay_alu instid0(VALU_DEP_1)
	v_pk_add_f32 v[98:99], v[170:171], v[98:99] neg_lo:[0,1] neg_hi:[0,1]
	scratch_store_b64 off, v[98:99], off offset:232
	s_wait_xcnt 0x0
	v_cmpx_lt_u32_e32 28, v0
	s_cbranch_execz .LBB111_245
; %bb.244:
	scratch_load_b64 v[98:99], off, off offset:224
	v_mov_b64_e32 v[100:101], 0
	scratch_store_b64 off, v[100:101], off offset:224
	s_wait_loadcnt 0x0
	ds_store_b64 v1, v[98:99]
.LBB111_245:
	s_wait_xcnt 0x0
	s_or_b32 exec_lo, exec_lo, s0
	s_wait_storecnt_dscnt 0x0
	s_barrier_signal -1
	s_barrier_wait -1
	s_clause 0xa
	scratch_load_b128 v[98:101], off, off offset:232
	scratch_load_b128 v[102:105], off, off offset:248
	;; [unrolled: 1-line block ×9, first 2 shown]
	scratch_load_b64 v[170:171], off, off offset:376
	scratch_load_b64 v[172:173], off, off offset:224
	v_mov_b32_e32 v7, 0
	ds_load_2addr_b64 v[134:137], v7 offset0:87 offset1:88
	ds_load_2addr_b64 v[138:141], v7 offset0:89 offset1:90
	;; [unrolled: 1-line block ×9, first 2 shown]
	ds_load_b64 v[174:175], v7 offset:760
	s_mov_b32 s0, exec_lo
	s_wait_dscnt 0x9
	v_dual_mov_b32 v176, v137 :: v_dual_mov_b32 v177, v136
	s_wait_dscnt 0x6
	v_dual_mov_b32 v178, v141 :: v_dual_mov_b32 v183, v148
	v_dual_mov_b32 v179, v140 :: v_dual_mov_b32 v180, v145
	;; [unrolled: 1-line block ×3, first 2 shown]
	s_wait_loadcnt_dscnt 0xa05
	v_dual_mul_f32 v9, v150, v99 :: v_dual_mul_f32 v27, v151, v99
	v_dual_mul_f32 v29, v153, v101 :: v_dual_mul_f32 v11, v152, v101
	s_wait_loadcnt_dscnt 0x904
	v_mul_f32_e32 v13, v154, v103
	s_wait_loadcnt_dscnt 0x702
	v_dual_mul_f32 v39, v163, v111 :: v_dual_fma_f32 v27, v150, v98, -v27
	v_dual_fmac_f32 v9, v151, v98 :: v_dual_mul_f32 v41, v165, v113
	v_dual_mul_f32 v31, v155, v103 :: v_dual_mul_f32 v33, v157, v105
	v_dual_fmac_f32 v11, v153, v100 :: v_dual_fma_f32 v29, v152, v100, -v29
	s_delay_alu instid0(VALU_DEP_3) | instskip(SKIP_3) | instid1(VALU_DEP_3)
	v_dual_add_f32 v9, 0, v9 :: v_dual_add_f32 v27, 0, v27
	v_dual_mul_f32 v15, v156, v105 :: v_dual_mul_f32 v17, v158, v107
	s_wait_loadcnt_dscnt 0x601
	v_dual_mul_f32 v43, v167, v115 :: v_dual_fma_f32 v31, v154, v102, -v31
	v_dual_fmac_f32 v13, v155, v102 :: v_dual_add_f32 v9, v9, v11
	s_delay_alu instid0(VALU_DEP_3) | instskip(SKIP_2) | instid1(VALU_DEP_3)
	v_dual_add_f32 v11, v27, v29 :: v_dual_fmac_f32 v15, v157, v104
	v_dual_mul_f32 v35, v159, v107 :: v_dual_mul_f32 v37, v161, v109
	v_dual_mul_f32 v27, v169, v117 :: v_dual_fma_f32 v29, v156, v104, -v33
	v_dual_add_f32 v9, v9, v13 :: v_dual_add_f32 v11, v11, v31
	v_dual_mul_f32 v19, v160, v109 :: v_dual_mul_f32 v21, v162, v111
	s_wait_loadcnt 0x5
	v_dual_mul_f32 v13, v135, v119 :: v_dual_fma_f32 v31, v158, v106, -v35
	s_delay_alu instid0(VALU_DEP_3) | instskip(SKIP_2) | instid1(VALU_DEP_2)
	v_dual_fmac_f32 v17, v159, v106 :: v_dual_add_f32 v9, v9, v15
	v_dual_add_f32 v11, v11, v29 :: v_dual_mov_b32 v98, v121
	v_dual_fmac_f32 v19, v161, v108 :: v_dual_fma_f32 v15, v160, v108, -v37
	v_dual_add_f32 v9, v9, v17 :: v_dual_add_f32 v11, v11, v31
	v_dual_mul_f32 v23, v164, v113 :: v_dual_mul_f32 v25, v166, v115
	v_dual_fmac_f32 v21, v163, v110 :: v_dual_fma_f32 v17, v162, v110, -v39
	s_delay_alu instid0(VALU_DEP_3) | instskip(SKIP_3) | instid1(VALU_DEP_3)
	v_add_f32_e32 v9, v9, v19
	s_wait_loadcnt 0x4
	v_dual_add_f32 v11, v11, v15 :: v_dual_mov_b32 v102, v125
	v_dual_fmac_f32 v23, v165, v112 :: v_dual_fma_f32 v15, v164, v112, -v41
	v_dual_add_f32 v9, v9, v21 :: v_dual_fmac_f32 v25, v167, v114
	s_delay_alu instid0(VALU_DEP_3) | instskip(SKIP_1) | instid1(VALU_DEP_3)
	v_add_f32_e32 v11, v11, v17
	v_dual_mul_f32 v185, v168, v117 :: v_dual_mul_f32 v187, v134, v119
	v_dual_fma_f32 v17, v166, v114, -v43 :: v_dual_add_f32 v9, v9, v23
	s_delay_alu instid0(VALU_DEP_2) | instskip(SKIP_2) | instid1(VALU_DEP_4)
	v_dual_add_f32 v11, v11, v15 :: v_dual_fmac_f32 v185, v169, v116
	v_fma_f32 v184, v168, v116, -v27
	v_pk_mul_f32 v[98:99], v[176:177], v[98:99] op_sel_hi:[1,0]
	v_add_f32_e32 v107, v9, v25
	s_wait_loadcnt 0x3
	v_dual_add_f32 v106, v11, v17 :: v_dual_mov_b32 v108, v129
	v_pk_mul_f32 v[100:101], v[138:139], v[122:123] op_sel:[1,1] op_sel_hi:[0,1]
	v_dual_fmac_f32 v187, v135, v118 :: v_dual_fma_f32 v186, v134, v118, -v13
	v_pk_fma_f32 v[110:111], v[136:137], v[120:121], v[98:99] op_sel_hi:[1,0,1]
	s_delay_alu instid0(VALU_DEP_4)
	v_pk_add_f32 v[106:107], v[106:107], v[184:185]
	v_pk_fma_f32 v[98:99], v[136:137], v[120:121], v[98:99] neg_lo:[0,0,1] neg_hi:[0,0,1]
	v_pk_fma_f32 v[112:113], v[138:139], v[122:123], v[100:101] op_sel_hi:[1,0,1]
	v_pk_mul_f32 v[102:103], v[178:179], v[102:103] op_sel_hi:[1,0]
	v_mov_b32_e32 v99, v111
	v_pk_add_f32 v[106:107], v[106:107], v[186:187]
	v_pk_fma_f32 v[100:101], v[138:139], v[122:123], v[100:101] neg_lo:[0,0,1] neg_hi:[0,0,1]
	v_pk_mul_f32 v[104:105], v[142:143], v[126:127] op_sel:[1,1] op_sel_hi:[0,1]
	v_mov_b32_e32 v101, v113
	v_pk_fma_f32 v[112:113], v[140:141], v[124:125], v[102:103] op_sel_hi:[1,0,1]
	v_pk_add_f32 v[98:99], v[106:107], v[98:99]
	v_pk_fma_f32 v[102:103], v[140:141], v[124:125], v[102:103] neg_lo:[0,0,1] neg_hi:[0,0,1]
	v_pk_fma_f32 v[106:107], v[142:143], v[126:127], v[104:105] op_sel_hi:[1,0,1]
	v_pk_mul_f32 v[108:109], v[180:181], v[108:109] op_sel_hi:[1,0]
	v_mov_b32_e32 v103, v113
	v_pk_add_f32 v[98:99], v[98:99], v[100:101]
	v_pk_fma_f32 v[104:105], v[142:143], v[126:127], v[104:105] neg_lo:[0,0,1] neg_hi:[0,0,1]
	s_wait_loadcnt 0x2
	v_pk_mul_f32 v[110:111], v[146:147], v[130:131] op_sel:[1,1] op_sel_hi:[0,1]
	v_dual_mov_b32 v100, v133 :: v_dual_mov_b32 v105, v107
	v_pk_fma_f32 v[106:107], v[144:145], v[128:129], v[108:109] op_sel_hi:[1,0,1]
	v_pk_add_f32 v[98:99], v[98:99], v[102:103]
	v_pk_fma_f32 v[108:109], v[144:145], v[128:129], v[108:109] neg_lo:[0,0,1] neg_hi:[0,0,1]
	v_pk_fma_f32 v[102:103], v[146:147], v[130:131], v[110:111] op_sel_hi:[1,0,1]
	v_pk_mul_f32 v[100:101], v[182:183], v[100:101] op_sel_hi:[1,0]
	v_mov_b32_e32 v109, v107
	v_pk_add_f32 v[98:99], v[98:99], v[104:105]
	v_pk_fma_f32 v[104:105], v[146:147], v[130:131], v[110:111] neg_lo:[0,0,1] neg_hi:[0,0,1]
	v_mov_b32_e32 v105, v103
	v_pk_fma_f32 v[102:103], v[148:149], v[132:133], v[100:101] op_sel_hi:[1,0,1]
	s_wait_loadcnt_dscnt 0x100
	v_pk_mul_f32 v[106:107], v[174:175], v[170:171] op_sel:[1,1] op_sel_hi:[0,1]
	v_pk_add_f32 v[98:99], v[98:99], v[108:109]
	v_pk_fma_f32 v[100:101], v[148:149], v[132:133], v[100:101] neg_lo:[0,0,1] neg_hi:[0,0,1]
	v_mov_b32_e32 v101, v103
	s_delay_alu instid0(VALU_DEP_4) | instskip(NEXT) | instid1(VALU_DEP_4)
	v_pk_fma_f32 v[102:103], v[174:175], v[170:171], v[106:107] op_sel_hi:[1,0,1]
	v_pk_add_f32 v[98:99], v[98:99], v[104:105]
	v_pk_fma_f32 v[104:105], v[174:175], v[170:171], v[106:107] neg_lo:[0,0,1] neg_hi:[0,0,1]
	s_delay_alu instid0(VALU_DEP_3) | instskip(NEXT) | instid1(VALU_DEP_3)
	v_mov_b32_e32 v105, v103
	v_pk_add_f32 v[98:99], v[98:99], v[100:101]
	s_delay_alu instid0(VALU_DEP_1) | instskip(SKIP_1) | instid1(VALU_DEP_1)
	v_pk_add_f32 v[98:99], v[98:99], v[104:105]
	s_wait_loadcnt 0x0
	v_pk_add_f32 v[98:99], v[172:173], v[98:99] neg_lo:[0,1] neg_hi:[0,1]
	scratch_store_b64 off, v[98:99], off offset:224
	s_wait_xcnt 0x0
	v_cmpx_lt_u32_e32 27, v0
	s_cbranch_execz .LBB111_247
; %bb.246:
	scratch_load_b64 v[98:99], off, off offset:216
	v_mov_b64_e32 v[100:101], 0
	scratch_store_b64 off, v[100:101], off offset:216
	s_wait_loadcnt 0x0
	ds_store_b64 v1, v[98:99]
.LBB111_247:
	s_wait_xcnt 0x0
	s_or_b32 exec_lo, exec_lo, s0
	s_wait_storecnt_dscnt 0x0
	s_barrier_signal -1
	s_barrier_wait -1
	s_clause 0xa
	scratch_load_b128 v[98:101], off, off offset:224
	scratch_load_b128 v[102:105], off, off offset:240
	;; [unrolled: 1-line block ×10, first 2 shown]
	scratch_load_b64 v[178:179], off, off offset:216
	ds_load_b128 v[138:141], v7 offset:704
	ds_load_b128 v[142:145], v7 offset:720
	;; [unrolled: 1-line block ×10, first 2 shown]
	s_mov_b32 s0, exec_lo
	s_wait_dscnt 0x9
	v_dual_mov_b32 v180, v141 :: v_dual_mov_b32 v181, v140
	s_wait_dscnt 0x8
	v_dual_mov_b32 v182, v145 :: v_dual_mov_b32 v183, v144
	;; [unrolled: 2-line block ×4, first 2 shown]
	s_wait_loadcnt_dscnt 0xa05
	v_dual_mul_f32 v7, v154, v99 :: v_dual_mul_f32 v9, v156, v101
	v_dual_mul_f32 v27, v155, v99 :: v_dual_mul_f32 v29, v157, v101
	s_wait_loadcnt_dscnt 0x904
	v_dual_mul_f32 v11, v158, v103 :: v_dual_mul_f32 v13, v160, v105
	s_delay_alu instid0(VALU_DEP_3) | instskip(SKIP_3) | instid1(VALU_DEP_3)
	v_dual_fmac_f32 v7, v155, v98 :: v_dual_fmac_f32 v9, v157, v100
	s_wait_loadcnt_dscnt 0x702
	v_dual_fma_f32 v27, v154, v98, -v27 :: v_dual_mul_f32 v39, v167, v111
	v_dual_mul_f32 v31, v159, v103 :: v_dual_mul_f32 v33, v161, v105
	v_dual_fma_f32 v29, v156, v100, -v29 :: v_dual_add_f32 v7, 0, v7
	s_delay_alu instid0(VALU_DEP_3) | instskip(SKIP_1) | instid1(VALU_DEP_3)
	v_dual_add_f32 v27, 0, v27 :: v_dual_mul_f32 v41, v169, v113
	v_dual_fmac_f32 v11, v159, v102 :: v_dual_fmac_f32 v13, v161, v104
	v_dual_fma_f32 v31, v158, v102, -v31 :: v_dual_add_f32 v7, v7, v9
	s_delay_alu instid0(VALU_DEP_3) | instskip(SKIP_2) | instid1(VALU_DEP_4)
	v_dual_add_f32 v9, v27, v29 :: v_dual_fma_f32 v29, v160, v104, -v33
	v_dual_mul_f32 v15, v162, v107 :: v_dual_mul_f32 v17, v164, v109
	v_dual_mul_f32 v35, v163, v107 :: v_dual_mul_f32 v37, v165, v109
	v_add_f32_e32 v7, v7, v11
	s_delay_alu instid0(VALU_DEP_3) | instskip(NEXT) | instid1(VALU_DEP_3)
	v_dual_add_f32 v9, v9, v31 :: v_dual_fmac_f32 v15, v163, v106
	v_fma_f32 v31, v162, v106, -v35
	v_dual_mul_f32 v19, v166, v111 :: v_dual_mul_f32 v21, v168, v113
	s_delay_alu instid0(VALU_DEP_4) | instskip(SKIP_2) | instid1(VALU_DEP_2)
	v_dual_add_f32 v7, v7, v13 :: v_dual_fmac_f32 v17, v165, v108
	s_wait_loadcnt_dscnt 0x500
	v_dual_add_f32 v9, v9, v29 :: v_dual_mul_f32 v13, v175, v119
	v_dual_fma_f32 v29, v164, v108, -v37 :: v_dual_add_f32 v7, v7, v15
	v_mul_f32_e32 v15, v177, v121
	s_delay_alu instid0(VALU_DEP_3) | instskip(NEXT) | instid1(VALU_DEP_3)
	v_dual_add_f32 v9, v9, v31 :: v_dual_fmac_f32 v19, v167, v110
	v_dual_fma_f32 v31, v166, v110, -v39 :: v_dual_add_f32 v7, v7, v17
	v_fmac_f32_e32 v21, v169, v112
	s_delay_alu instid0(VALU_DEP_3) | instskip(SKIP_4) | instid1(VALU_DEP_3)
	v_dual_add_f32 v9, v9, v29 :: v_dual_fma_f32 v17, v168, v112, -v41
	v_dual_mul_f32 v23, v170, v115 :: v_dual_mul_f32 v25, v172, v117
	v_dual_mul_f32 v27, v171, v115 :: v_dual_mul_f32 v11, v173, v117
	s_wait_loadcnt 0x4
	v_dual_add_f32 v7, v7, v19 :: v_dual_mov_b32 v100, v125
	v_dual_add_f32 v9, v9, v31 :: v_dual_fmac_f32 v23, v171, v114
	s_delay_alu instid0(VALU_DEP_2) | instskip(SKIP_1) | instid1(VALU_DEP_3)
	v_dual_fma_f32 v19, v170, v114, -v27 :: v_dual_add_f32 v7, v7, v21
	v_dual_mul_f32 v189, v174, v119 :: v_dual_mul_f32 v191, v176, v121
	v_dual_add_f32 v9, v9, v17 :: v_dual_fma_f32 v11, v172, v116, -v11
	s_delay_alu instid0(VALU_DEP_3) | instskip(SKIP_1) | instid1(VALU_DEP_3)
	v_dual_fmac_f32 v25, v173, v116 :: v_dual_add_f32 v7, v7, v23
	v_pk_mul_f32 v[98:99], v[138:139], v[122:123] op_sel:[1,1] op_sel_hi:[0,1]
	v_dual_add_f32 v9, v9, v19 :: v_dual_fmac_f32 v189, v175, v118
	s_wait_loadcnt 0x3
	v_dual_mov_b32 v104, v129 :: v_dual_fma_f32 v188, v174, v118, -v13
	s_delay_alu instid0(VALU_DEP_2)
	v_dual_add_f32 v107, v7, v25 :: v_dual_add_f32 v106, v9, v11
	v_fmac_f32_e32 v191, v177, v120
	v_pk_fma_f32 v[108:109], v[138:139], v[122:123], v[98:99] op_sel_hi:[1,0,1]
	v_fma_f32 v190, v176, v120, -v15
	v_pk_mul_f32 v[100:101], v[180:181], v[100:101] op_sel_hi:[1,0]
	v_pk_add_f32 v[106:107], v[106:107], v[188:189]
	v_pk_fma_f32 v[98:99], v[138:139], v[122:123], v[98:99] neg_lo:[0,0,1] neg_hi:[0,0,1]
	v_pk_mul_f32 v[102:103], v[142:143], v[126:127] op_sel:[1,1] op_sel_hi:[0,1]
	v_mov_b32_e32 v99, v109
	v_pk_fma_f32 v[108:109], v[140:141], v[124:125], v[100:101] op_sel_hi:[1,0,1]
	v_pk_add_f32 v[106:107], v[106:107], v[190:191]
	v_pk_fma_f32 v[100:101], v[140:141], v[124:125], v[100:101] neg_lo:[0,0,1] neg_hi:[0,0,1]
	v_pk_fma_f32 v[112:113], v[142:143], v[126:127], v[102:103] op_sel_hi:[1,0,1]
	v_pk_mul_f32 v[104:105], v[182:183], v[104:105] op_sel_hi:[1,0]
	v_mov_b32_e32 v101, v109
	v_pk_add_f32 v[98:99], v[106:107], v[98:99]
	s_wait_loadcnt 0x2
	v_pk_mul_f32 v[110:111], v[146:147], v[130:131] op_sel:[1,1] op_sel_hi:[0,1]
	v_mov_b32_e32 v106, v133
	v_pk_fma_f32 v[102:103], v[142:143], v[126:127], v[102:103] neg_lo:[0,0,1] neg_hi:[0,0,1]
	v_pk_fma_f32 v[108:109], v[144:145], v[128:129], v[104:105] op_sel_hi:[1,0,1]
	v_mov_b32_e32 v103, v113
	v_pk_add_f32 v[98:99], v[98:99], v[100:101]
	v_pk_fma_f32 v[100:101], v[146:147], v[130:131], v[110:111] op_sel_hi:[1,0,1]
	v_pk_mul_f32 v[106:107], v[184:185], v[106:107] op_sel_hi:[1,0]
	v_pk_fma_f32 v[104:105], v[144:145], v[128:129], v[104:105] neg_lo:[0,0,1] neg_hi:[0,0,1]
	v_mov_b32_e32 v105, v109
	v_pk_add_f32 v[98:99], v[98:99], v[102:103]
	v_pk_fma_f32 v[108:109], v[146:147], v[130:131], v[110:111] neg_lo:[0,0,1] neg_hi:[0,0,1]
	v_mov_b32_e32 v109, v101
	v_pk_fma_f32 v[100:101], v[148:149], v[132:133], v[106:107] op_sel_hi:[1,0,1]
	s_wait_loadcnt 0x1
	v_pk_mul_f32 v[102:103], v[150:151], v[134:135] op_sel:[1,1] op_sel_hi:[0,1]
	v_pk_add_f32 v[98:99], v[98:99], v[104:105]
	v_mov_b32_e32 v100, v137
	v_pk_fma_f32 v[106:107], v[148:149], v[132:133], v[106:107] neg_lo:[0,0,1] neg_hi:[0,0,1]
	s_delay_alu instid0(VALU_DEP_4)
	v_pk_fma_f32 v[104:105], v[150:151], v[134:135], v[102:103] op_sel_hi:[1,0,1]
	v_mov_b32_e32 v107, v101
	v_pk_add_f32 v[98:99], v[98:99], v[108:109]
	v_pk_mul_f32 v[100:101], v[186:187], v[100:101] op_sel_hi:[1,0]
	v_pk_fma_f32 v[102:103], v[150:151], v[134:135], v[102:103] neg_lo:[0,0,1] neg_hi:[0,0,1]
	v_mov_b32_e32 v103, v105
	s_delay_alu instid0(VALU_DEP_4) | instskip(NEXT) | instid1(VALU_DEP_4)
	v_pk_add_f32 v[98:99], v[98:99], v[106:107]
	v_pk_fma_f32 v[104:105], v[152:153], v[136:137], v[100:101] op_sel_hi:[1,0,1]
	v_pk_fma_f32 v[100:101], v[152:153], v[136:137], v[100:101] neg_lo:[0,0,1] neg_hi:[0,0,1]
	s_delay_alu instid0(VALU_DEP_3) | instskip(NEXT) | instid1(VALU_DEP_3)
	v_pk_add_f32 v[98:99], v[98:99], v[102:103]
	v_mov_b32_e32 v101, v105
	s_delay_alu instid0(VALU_DEP_1) | instskip(SKIP_1) | instid1(VALU_DEP_1)
	v_pk_add_f32 v[98:99], v[98:99], v[100:101]
	s_wait_loadcnt 0x0
	v_pk_add_f32 v[98:99], v[178:179], v[98:99] neg_lo:[0,1] neg_hi:[0,1]
	scratch_store_b64 off, v[98:99], off offset:216
	s_wait_xcnt 0x0
	v_cmpx_lt_u32_e32 26, v0
	s_cbranch_execz .LBB111_249
; %bb.248:
	scratch_load_b64 v[98:99], off, off offset:208
	v_mov_b64_e32 v[100:101], 0
	scratch_store_b64 off, v[100:101], off offset:208
	s_wait_loadcnt 0x0
	ds_store_b64 v1, v[98:99]
.LBB111_249:
	s_wait_xcnt 0x0
	s_or_b32 exec_lo, exec_lo, s0
	s_wait_storecnt_dscnt 0x0
	s_barrier_signal -1
	s_barrier_wait -1
	s_clause 0xb
	scratch_load_b128 v[98:101], off, off offset:216
	scratch_load_b128 v[102:105], off, off offset:232
	;; [unrolled: 1-line block ×10, first 2 shown]
	scratch_load_b64 v[178:179], off, off offset:376
	scratch_load_b64 v[180:181], off, off offset:208
	v_mov_b32_e32 v7, 0
	ds_load_2addr_b64 v[138:141], v7 offset0:87 offset1:88
	ds_load_2addr_b64 v[142:145], v7 offset0:89 offset1:90
	;; [unrolled: 1-line block ×10, first 2 shown]
	ds_load_b64 v[182:183], v7 offset:760
	s_mov_b32 s0, exec_lo
	s_wait_dscnt 0xa
	v_dual_mov_b32 v184, v141 :: v_dual_mov_b32 v185, v140
	s_wait_dscnt 0x7
	v_dual_mov_b32 v186, v145 :: v_dual_mov_b32 v191, v152
	v_dual_mov_b32 v187, v144 :: v_dual_mov_b32 v188, v149
	v_dual_mov_b32 v189, v148 :: v_dual_mov_b32 v190, v153
	s_wait_loadcnt_dscnt 0xb06
	v_dual_mul_f32 v9, v154, v99 :: v_dual_mul_f32 v31, v155, v99
	v_dual_mul_f32 v33, v157, v101 :: v_dual_mul_f32 v11, v156, v101
	s_wait_loadcnt_dscnt 0xa05
	v_mul_f32_e32 v13, v158, v103
	s_wait_loadcnt_dscnt 0x803
	v_dual_mul_f32 v43, v167, v111 :: v_dual_fma_f32 v31, v154, v98, -v31
	v_dual_fmac_f32 v9, v155, v98 :: v_dual_mul_f32 v45, v169, v113
	v_dual_mul_f32 v35, v159, v103 :: v_dual_mul_f32 v37, v161, v105
	v_dual_fmac_f32 v11, v157, v100 :: v_dual_fma_f32 v33, v156, v100, -v33
	s_delay_alu instid0(VALU_DEP_3) | instskip(SKIP_3) | instid1(VALU_DEP_3)
	v_dual_add_f32 v9, 0, v9 :: v_dual_add_f32 v31, 0, v31
	v_dual_mul_f32 v15, v160, v105 :: v_dual_mul_f32 v17, v162, v107
	s_wait_loadcnt_dscnt 0x702
	v_dual_mul_f32 v47, v171, v115 :: v_dual_fma_f32 v35, v158, v102, -v35
	v_dual_fmac_f32 v13, v159, v102 :: v_dual_add_f32 v9, v9, v11
	s_delay_alu instid0(VALU_DEP_3) | instskip(SKIP_2) | instid1(VALU_DEP_3)
	v_dual_add_f32 v11, v31, v33 :: v_dual_fmac_f32 v15, v161, v104
	v_dual_mul_f32 v39, v163, v107 :: v_dual_mul_f32 v41, v165, v109
	v_dual_mul_f32 v31, v173, v117 :: v_dual_fma_f32 v33, v160, v104, -v37
	v_dual_add_f32 v9, v9, v13 :: v_dual_add_f32 v11, v11, v35
	v_dual_mul_f32 v19, v164, v109 :: v_dual_mul_f32 v21, v166, v111
	s_wait_loadcnt_dscnt 0x601
	v_dual_mul_f32 v13, v175, v119 :: v_dual_fma_f32 v35, v162, v106, -v39
	s_delay_alu instid0(VALU_DEP_3) | instskip(NEXT) | instid1(VALU_DEP_3)
	v_dual_fmac_f32 v17, v163, v106 :: v_dual_add_f32 v9, v9, v15
	v_dual_add_f32 v11, v11, v33 :: v_dual_fmac_f32 v19, v165, v108
	v_dual_mul_f32 v15, v177, v121 :: v_dual_fma_f32 v33, v164, v108, -v41
	s_delay_alu instid0(VALU_DEP_2) | instskip(SKIP_3) | instid1(VALU_DEP_3)
	v_dual_add_f32 v9, v9, v17 :: v_dual_add_f32 v11, v11, v35
	v_dual_mul_f32 v23, v168, v113 :: v_dual_mul_f32 v25, v170, v115
	s_wait_loadcnt 0x5
	v_dual_mul_f32 v17, v139, v123 :: v_dual_fma_f32 v35, v166, v110, -v43
	v_dual_fmac_f32 v21, v167, v110 :: v_dual_add_f32 v9, v9, v19
	v_dual_add_f32 v11, v11, v33 :: v_dual_mov_b32 v98, v125
	v_dual_fmac_f32 v23, v169, v112 :: v_dual_fma_f32 v19, v168, v112, -v45
	s_delay_alu instid0(VALU_DEP_2) | instskip(SKIP_2) | instid1(VALU_DEP_3)
	v_dual_add_f32 v9, v9, v21 :: v_dual_add_f32 v11, v11, v35
	v_dual_mul_f32 v27, v172, v117 :: v_dual_mul_f32 v29, v174, v119
	v_dual_fmac_f32 v25, v171, v114 :: v_dual_fma_f32 v21, v170, v114, -v47
	v_add_f32_e32 v9, v9, v23
	s_wait_loadcnt 0x4
	v_dual_add_f32 v11, v11, v19 :: v_dual_mov_b32 v102, v129
	v_fmac_f32_e32 v27, v173, v116
	s_delay_alu instid0(VALU_DEP_3) | instskip(SKIP_1) | instid1(VALU_DEP_4)
	v_dual_fma_f32 v19, v172, v116, -v31 :: v_dual_add_f32 v9, v9, v25
	v_fmac_f32_e32 v29, v175, v118
	v_add_f32_e32 v11, v11, v21
	v_dual_mul_f32 v193, v176, v121 :: v_dual_mul_f32 v195, v138, v123
	s_delay_alu instid0(VALU_DEP_4) | instskip(NEXT) | instid1(VALU_DEP_2)
	v_dual_fma_f32 v13, v174, v118, -v13 :: v_dual_add_f32 v9, v9, v27
	v_dual_add_f32 v11, v11, v19 :: v_dual_fmac_f32 v193, v177, v120
	v_fma_f32 v192, v176, v120, -v15
	v_pk_mul_f32 v[98:99], v[184:185], v[98:99] op_sel_hi:[1,0]
	s_delay_alu instid0(VALU_DEP_4)
	v_add_f32_e32 v107, v9, v29
	s_wait_loadcnt 0x3
	v_dual_add_f32 v106, v11, v13 :: v_dual_mov_b32 v108, v133
	v_pk_mul_f32 v[100:101], v[142:143], v[126:127] op_sel:[1,1] op_sel_hi:[0,1]
	v_dual_fmac_f32 v195, v139, v122 :: v_dual_fma_f32 v194, v138, v122, -v17
	v_pk_fma_f32 v[110:111], v[140:141], v[124:125], v[98:99] op_sel_hi:[1,0,1]
	s_delay_alu instid0(VALU_DEP_4)
	v_pk_add_f32 v[106:107], v[106:107], v[192:193]
	v_pk_fma_f32 v[98:99], v[140:141], v[124:125], v[98:99] neg_lo:[0,0,1] neg_hi:[0,0,1]
	v_pk_fma_f32 v[112:113], v[142:143], v[126:127], v[100:101] op_sel_hi:[1,0,1]
	v_pk_mul_f32 v[102:103], v[186:187], v[102:103] op_sel_hi:[1,0]
	v_mov_b32_e32 v99, v111
	v_pk_add_f32 v[106:107], v[106:107], v[194:195]
	v_pk_fma_f32 v[100:101], v[142:143], v[126:127], v[100:101] neg_lo:[0,0,1] neg_hi:[0,0,1]
	v_pk_mul_f32 v[104:105], v[146:147], v[130:131] op_sel:[1,1] op_sel_hi:[0,1]
	v_mov_b32_e32 v101, v113
	v_pk_fma_f32 v[112:113], v[144:145], v[128:129], v[102:103] op_sel_hi:[1,0,1]
	v_pk_add_f32 v[98:99], v[106:107], v[98:99]
	v_pk_fma_f32 v[102:103], v[144:145], v[128:129], v[102:103] neg_lo:[0,0,1] neg_hi:[0,0,1]
	v_pk_fma_f32 v[106:107], v[146:147], v[130:131], v[104:105] op_sel_hi:[1,0,1]
	v_pk_mul_f32 v[108:109], v[188:189], v[108:109] op_sel_hi:[1,0]
	v_mov_b32_e32 v103, v113
	v_pk_add_f32 v[98:99], v[98:99], v[100:101]
	v_pk_fma_f32 v[104:105], v[146:147], v[130:131], v[104:105] neg_lo:[0,0,1] neg_hi:[0,0,1]
	s_wait_loadcnt 0x2
	v_pk_mul_f32 v[110:111], v[150:151], v[134:135] op_sel:[1,1] op_sel_hi:[0,1]
	v_dual_mov_b32 v100, v137 :: v_dual_mov_b32 v105, v107
	v_pk_fma_f32 v[106:107], v[148:149], v[132:133], v[108:109] op_sel_hi:[1,0,1]
	v_pk_add_f32 v[98:99], v[98:99], v[102:103]
	v_pk_fma_f32 v[108:109], v[148:149], v[132:133], v[108:109] neg_lo:[0,0,1] neg_hi:[0,0,1]
	v_pk_fma_f32 v[102:103], v[150:151], v[134:135], v[110:111] op_sel_hi:[1,0,1]
	v_pk_mul_f32 v[100:101], v[190:191], v[100:101] op_sel_hi:[1,0]
	v_mov_b32_e32 v109, v107
	v_pk_add_f32 v[98:99], v[98:99], v[104:105]
	v_pk_fma_f32 v[104:105], v[150:151], v[134:135], v[110:111] neg_lo:[0,0,1] neg_hi:[0,0,1]
	v_mov_b32_e32 v105, v103
	v_pk_fma_f32 v[102:103], v[152:153], v[136:137], v[100:101] op_sel_hi:[1,0,1]
	s_wait_loadcnt_dscnt 0x100
	v_pk_mul_f32 v[106:107], v[182:183], v[178:179] op_sel:[1,1] op_sel_hi:[0,1]
	v_pk_add_f32 v[98:99], v[98:99], v[108:109]
	v_pk_fma_f32 v[100:101], v[152:153], v[136:137], v[100:101] neg_lo:[0,0,1] neg_hi:[0,0,1]
	v_mov_b32_e32 v101, v103
	s_delay_alu instid0(VALU_DEP_4) | instskip(NEXT) | instid1(VALU_DEP_4)
	v_pk_fma_f32 v[102:103], v[182:183], v[178:179], v[106:107] op_sel_hi:[1,0,1]
	v_pk_add_f32 v[98:99], v[98:99], v[104:105]
	v_pk_fma_f32 v[104:105], v[182:183], v[178:179], v[106:107] neg_lo:[0,0,1] neg_hi:[0,0,1]
	s_delay_alu instid0(VALU_DEP_3) | instskip(NEXT) | instid1(VALU_DEP_3)
	v_mov_b32_e32 v105, v103
	v_pk_add_f32 v[98:99], v[98:99], v[100:101]
	s_delay_alu instid0(VALU_DEP_1) | instskip(SKIP_1) | instid1(VALU_DEP_1)
	v_pk_add_f32 v[98:99], v[98:99], v[104:105]
	s_wait_loadcnt 0x0
	v_pk_add_f32 v[98:99], v[180:181], v[98:99] neg_lo:[0,1] neg_hi:[0,1]
	scratch_store_b64 off, v[98:99], off offset:208
	s_wait_xcnt 0x0
	v_cmpx_lt_u32_e32 25, v0
	s_cbranch_execz .LBB111_251
; %bb.250:
	scratch_load_b64 v[98:99], off, off offset:200
	v_mov_b64_e32 v[100:101], 0
	scratch_store_b64 off, v[100:101], off offset:200
	s_wait_loadcnt 0x0
	ds_store_b64 v1, v[98:99]
.LBB111_251:
	s_wait_xcnt 0x0
	s_or_b32 exec_lo, exec_lo, s0
	s_wait_storecnt_dscnt 0x0
	s_barrier_signal -1
	s_barrier_wait -1
	s_clause 0xb
	scratch_load_b128 v[98:101], off, off offset:208
	scratch_load_b128 v[102:105], off, off offset:224
	;; [unrolled: 1-line block ×11, first 2 shown]
	scratch_load_b64 v[186:187], off, off offset:200
	ds_load_b128 v[142:145], v7 offset:704
	ds_load_b128 v[146:149], v7 offset:720
	;; [unrolled: 1-line block ×11, first 2 shown]
	s_mov_b32 s0, exec_lo
	s_wait_dscnt 0xa
	v_dual_mov_b32 v188, v145 :: v_dual_mov_b32 v189, v144
	s_wait_dscnt 0x9
	v_dual_mov_b32 v190, v149 :: v_dual_mov_b32 v191, v148
	s_wait_dscnt 0x8
	v_dual_mov_b32 v192, v153 :: v_dual_mov_b32 v193, v152
	s_wait_dscnt 0x7
	v_dual_mov_b32 v194, v157 :: v_dual_mov_b32 v195, v156
	s_wait_loadcnt_dscnt 0xb06
	v_dual_mul_f32 v7, v158, v99 :: v_dual_mul_f32 v9, v160, v101
	v_dual_mul_f32 v31, v159, v99 :: v_dual_mul_f32 v33, v161, v101
	s_wait_loadcnt_dscnt 0xa05
	v_dual_mul_f32 v11, v162, v103 :: v_dual_mul_f32 v13, v164, v105
	s_delay_alu instid0(VALU_DEP_3) | instskip(SKIP_3) | instid1(VALU_DEP_3)
	v_dual_fmac_f32 v7, v159, v98 :: v_dual_fmac_f32 v9, v161, v100
	s_wait_loadcnt_dscnt 0x803
	v_dual_fma_f32 v31, v158, v98, -v31 :: v_dual_mul_f32 v43, v171, v111
	v_dual_mul_f32 v35, v163, v103 :: v_dual_mul_f32 v37, v165, v105
	v_dual_fma_f32 v33, v160, v100, -v33 :: v_dual_add_f32 v7, 0, v7
	s_delay_alu instid0(VALU_DEP_3) | instskip(SKIP_1) | instid1(VALU_DEP_3)
	v_dual_add_f32 v31, 0, v31 :: v_dual_mul_f32 v45, v173, v113
	v_dual_fmac_f32 v11, v163, v102 :: v_dual_fmac_f32 v13, v165, v104
	v_dual_fma_f32 v35, v162, v102, -v35 :: v_dual_add_f32 v7, v7, v9
	s_delay_alu instid0(VALU_DEP_3) | instskip(SKIP_2) | instid1(VALU_DEP_4)
	v_dual_add_f32 v9, v31, v33 :: v_dual_fma_f32 v33, v164, v104, -v37
	v_dual_mul_f32 v15, v166, v107 :: v_dual_mul_f32 v17, v168, v109
	v_dual_mul_f32 v39, v167, v107 :: v_dual_mul_f32 v41, v169, v109
	v_add_f32_e32 v7, v7, v11
	s_delay_alu instid0(VALU_DEP_3) | instskip(NEXT) | instid1(VALU_DEP_3)
	v_dual_add_f32 v9, v9, v35 :: v_dual_fmac_f32 v15, v167, v106
	v_fma_f32 v35, v166, v106, -v39
	v_dual_mul_f32 v19, v170, v111 :: v_dual_mul_f32 v21, v172, v113
	s_delay_alu instid0(VALU_DEP_4) | instskip(SKIP_2) | instid1(VALU_DEP_2)
	v_dual_add_f32 v7, v7, v13 :: v_dual_fmac_f32 v17, v169, v108
	s_wait_loadcnt_dscnt 0x601
	v_dual_add_f32 v9, v9, v33 :: v_dual_mul_f32 v13, v179, v119
	v_dual_fma_f32 v33, v168, v108, -v41 :: v_dual_add_f32 v7, v7, v15
	v_mul_f32_e32 v15, v181, v121
	s_delay_alu instid0(VALU_DEP_3) | instskip(NEXT) | instid1(VALU_DEP_3)
	v_dual_add_f32 v9, v9, v35 :: v_dual_fmac_f32 v19, v171, v110
	v_dual_fma_f32 v35, v170, v110, -v43 :: v_dual_add_f32 v7, v7, v17
	v_fmac_f32_e32 v21, v173, v112
	s_wait_loadcnt_dscnt 0x500
	s_delay_alu instid0(VALU_DEP_3) | instskip(SKIP_3) | instid1(VALU_DEP_3)
	v_dual_add_f32 v9, v9, v33 :: v_dual_mul_f32 v17, v183, v123
	v_dual_mul_f32 v23, v174, v115 :: v_dual_mul_f32 v25, v176, v117
	v_dual_mul_f32 v31, v175, v115 :: v_dual_mul_f32 v11, v177, v117
	v_dual_fma_f32 v33, v172, v112, -v45 :: v_dual_add_f32 v7, v7, v19
	v_dual_add_f32 v9, v9, v35 :: v_dual_fmac_f32 v23, v175, v114
	s_delay_alu instid0(VALU_DEP_3) | instskip(NEXT) | instid1(VALU_DEP_3)
	v_dual_mul_f32 v19, v185, v125 :: v_dual_fma_f32 v31, v174, v114, -v31
	v_dual_add_f32 v7, v7, v21 :: v_dual_fmac_f32 v25, v177, v116
	s_delay_alu instid0(VALU_DEP_3) | instskip(SKIP_2) | instid1(VALU_DEP_3)
	v_dual_add_f32 v9, v9, v33 :: v_dual_fma_f32 v11, v176, v116, -v11
	v_dual_mul_f32 v27, v178, v119 :: v_dual_mul_f32 v29, v180, v121
	s_wait_loadcnt 0x4
	v_dual_add_f32 v7, v7, v23 :: v_dual_mov_b32 v100, v129
	s_delay_alu instid0(VALU_DEP_2) | instskip(NEXT) | instid1(VALU_DEP_2)
	v_dual_add_f32 v9, v9, v31 :: v_dual_fmac_f32 v27, v179, v118
	v_dual_fma_f32 v13, v178, v118, -v13 :: v_dual_add_f32 v7, v7, v25
	v_dual_mul_f32 v197, v182, v123 :: v_dual_mul_f32 v199, v184, v125
	s_delay_alu instid0(VALU_DEP_3) | instskip(NEXT) | instid1(VALU_DEP_3)
	v_dual_add_f32 v9, v9, v11 :: v_dual_fma_f32 v11, v180, v120, -v15
	v_dual_fmac_f32 v29, v181, v120 :: v_dual_add_f32 v7, v7, v27
	v_pk_mul_f32 v[98:99], v[142:143], v[126:127] op_sel:[1,1] op_sel_hi:[0,1]
	s_delay_alu instid0(VALU_DEP_3) | instskip(SKIP_2) | instid1(VALU_DEP_2)
	v_dual_add_f32 v9, v9, v13 :: v_dual_fmac_f32 v197, v183, v122
	s_wait_loadcnt 0x3
	v_dual_mov_b32 v104, v133 :: v_dual_fma_f32 v196, v182, v122, -v17
	v_dual_add_f32 v107, v7, v29 :: v_dual_add_f32 v106, v9, v11
	v_fmac_f32_e32 v199, v185, v124
	v_pk_fma_f32 v[108:109], v[142:143], v[126:127], v[98:99] op_sel_hi:[1,0,1]
	v_fma_f32 v198, v184, v124, -v19
	v_pk_mul_f32 v[100:101], v[188:189], v[100:101] op_sel_hi:[1,0]
	v_pk_add_f32 v[106:107], v[106:107], v[196:197]
	v_pk_fma_f32 v[98:99], v[142:143], v[126:127], v[98:99] neg_lo:[0,0,1] neg_hi:[0,0,1]
	v_pk_mul_f32 v[102:103], v[146:147], v[130:131] op_sel:[1,1] op_sel_hi:[0,1]
	v_mov_b32_e32 v99, v109
	v_pk_fma_f32 v[108:109], v[144:145], v[128:129], v[100:101] op_sel_hi:[1,0,1]
	v_pk_add_f32 v[106:107], v[106:107], v[198:199]
	v_pk_fma_f32 v[100:101], v[144:145], v[128:129], v[100:101] neg_lo:[0,0,1] neg_hi:[0,0,1]
	v_pk_fma_f32 v[112:113], v[146:147], v[130:131], v[102:103] op_sel_hi:[1,0,1]
	v_pk_mul_f32 v[104:105], v[190:191], v[104:105] op_sel_hi:[1,0]
	v_mov_b32_e32 v101, v109
	v_pk_add_f32 v[98:99], v[106:107], v[98:99]
	s_wait_loadcnt 0x2
	v_pk_mul_f32 v[110:111], v[150:151], v[134:135] op_sel:[1,1] op_sel_hi:[0,1]
	v_mov_b32_e32 v106, v137
	v_pk_fma_f32 v[102:103], v[146:147], v[130:131], v[102:103] neg_lo:[0,0,1] neg_hi:[0,0,1]
	v_pk_fma_f32 v[108:109], v[148:149], v[132:133], v[104:105] op_sel_hi:[1,0,1]
	v_mov_b32_e32 v103, v113
	v_pk_add_f32 v[98:99], v[98:99], v[100:101]
	v_pk_fma_f32 v[100:101], v[150:151], v[134:135], v[110:111] op_sel_hi:[1,0,1]
	v_pk_mul_f32 v[106:107], v[192:193], v[106:107] op_sel_hi:[1,0]
	v_pk_fma_f32 v[104:105], v[148:149], v[132:133], v[104:105] neg_lo:[0,0,1] neg_hi:[0,0,1]
	v_mov_b32_e32 v105, v109
	v_pk_add_f32 v[98:99], v[98:99], v[102:103]
	v_pk_fma_f32 v[108:109], v[150:151], v[134:135], v[110:111] neg_lo:[0,0,1] neg_hi:[0,0,1]
	v_mov_b32_e32 v109, v101
	v_pk_fma_f32 v[100:101], v[152:153], v[136:137], v[106:107] op_sel_hi:[1,0,1]
	s_wait_loadcnt 0x1
	v_pk_mul_f32 v[102:103], v[154:155], v[138:139] op_sel:[1,1] op_sel_hi:[0,1]
	v_pk_add_f32 v[98:99], v[98:99], v[104:105]
	v_mov_b32_e32 v100, v141
	v_pk_fma_f32 v[106:107], v[152:153], v[136:137], v[106:107] neg_lo:[0,0,1] neg_hi:[0,0,1]
	s_delay_alu instid0(VALU_DEP_4)
	v_pk_fma_f32 v[104:105], v[154:155], v[138:139], v[102:103] op_sel_hi:[1,0,1]
	v_mov_b32_e32 v107, v101
	v_pk_add_f32 v[98:99], v[98:99], v[108:109]
	v_pk_mul_f32 v[100:101], v[194:195], v[100:101] op_sel_hi:[1,0]
	v_pk_fma_f32 v[102:103], v[154:155], v[138:139], v[102:103] neg_lo:[0,0,1] neg_hi:[0,0,1]
	v_mov_b32_e32 v103, v105
	s_delay_alu instid0(VALU_DEP_4) | instskip(NEXT) | instid1(VALU_DEP_4)
	v_pk_add_f32 v[98:99], v[98:99], v[106:107]
	v_pk_fma_f32 v[104:105], v[156:157], v[140:141], v[100:101] op_sel_hi:[1,0,1]
	v_pk_fma_f32 v[100:101], v[156:157], v[140:141], v[100:101] neg_lo:[0,0,1] neg_hi:[0,0,1]
	s_delay_alu instid0(VALU_DEP_3) | instskip(NEXT) | instid1(VALU_DEP_3)
	v_pk_add_f32 v[98:99], v[98:99], v[102:103]
	v_mov_b32_e32 v101, v105
	s_delay_alu instid0(VALU_DEP_1) | instskip(SKIP_1) | instid1(VALU_DEP_1)
	v_pk_add_f32 v[98:99], v[98:99], v[100:101]
	s_wait_loadcnt 0x0
	v_pk_add_f32 v[98:99], v[186:187], v[98:99] neg_lo:[0,1] neg_hi:[0,1]
	scratch_store_b64 off, v[98:99], off offset:200
	s_wait_xcnt 0x0
	v_cmpx_lt_u32_e32 24, v0
	s_cbranch_execz .LBB111_253
; %bb.252:
	scratch_load_b64 v[98:99], off, off offset:192
	v_mov_b64_e32 v[100:101], 0
	scratch_store_b64 off, v[100:101], off offset:192
	s_wait_loadcnt 0x0
	ds_store_b64 v1, v[98:99]
.LBB111_253:
	s_wait_xcnt 0x0
	s_or_b32 exec_lo, exec_lo, s0
	s_wait_storecnt_dscnt 0x0
	s_barrier_signal -1
	s_barrier_wait -1
	s_clause 0xc
	scratch_load_b128 v[98:101], off, off offset:200
	scratch_load_b128 v[102:105], off, off offset:216
	;; [unrolled: 1-line block ×11, first 2 shown]
	scratch_load_b64 v[186:187], off, off offset:376
	scratch_load_b64 v[188:189], off, off offset:192
	v_mov_b32_e32 v7, 0
	ds_load_2addr_b64 v[142:145], v7 offset0:87 offset1:88
	ds_load_2addr_b64 v[146:149], v7 offset0:89 offset1:90
	;; [unrolled: 1-line block ×11, first 2 shown]
	ds_load_b64 v[190:191], v7 offset:760
	s_mov_b32 s0, exec_lo
	s_wait_dscnt 0xb
	v_dual_mov_b32 v192, v145 :: v_dual_mov_b32 v193, v144
	s_wait_dscnt 0x8
	v_dual_mov_b32 v194, v149 :: v_dual_mov_b32 v199, v156
	v_dual_mov_b32 v195, v148 :: v_dual_mov_b32 v196, v153
	;; [unrolled: 1-line block ×3, first 2 shown]
	s_wait_loadcnt_dscnt 0xc07
	v_dual_mul_f32 v9, v158, v99 :: v_dual_mul_f32 v35, v159, v99
	v_dual_mul_f32 v37, v161, v101 :: v_dual_mul_f32 v11, v160, v101
	s_wait_loadcnt_dscnt 0xb06
	v_mul_f32_e32 v13, v162, v103
	s_wait_loadcnt_dscnt 0x904
	v_dual_mul_f32 v47, v171, v111 :: v_dual_fma_f32 v35, v158, v98, -v35
	v_dual_fmac_f32 v9, v159, v98 :: v_dual_mul_f32 v49, v173, v113
	v_dual_mul_f32 v39, v163, v103 :: v_dual_mul_f32 v41, v165, v105
	v_dual_fmac_f32 v11, v161, v100 :: v_dual_fma_f32 v37, v160, v100, -v37
	s_delay_alu instid0(VALU_DEP_3) | instskip(SKIP_3) | instid1(VALU_DEP_3)
	v_dual_add_f32 v9, 0, v9 :: v_dual_add_f32 v35, 0, v35
	v_dual_mul_f32 v15, v164, v105 :: v_dual_mul_f32 v17, v166, v107
	s_wait_loadcnt_dscnt 0x803
	v_dual_mul_f32 v51, v175, v115 :: v_dual_fma_f32 v39, v162, v102, -v39
	v_dual_fmac_f32 v13, v163, v102 :: v_dual_add_f32 v9, v9, v11
	s_delay_alu instid0(VALU_DEP_3) | instskip(SKIP_2) | instid1(VALU_DEP_3)
	v_dual_add_f32 v11, v35, v37 :: v_dual_fmac_f32 v15, v165, v104
	v_dual_mul_f32 v43, v167, v107 :: v_dual_mul_f32 v45, v169, v109
	v_dual_mul_f32 v35, v177, v117 :: v_dual_fma_f32 v37, v164, v104, -v41
	v_dual_add_f32 v9, v9, v13 :: v_dual_add_f32 v11, v11, v39
	v_dual_mul_f32 v19, v168, v109 :: v_dual_mul_f32 v21, v170, v111
	s_wait_loadcnt_dscnt 0x701
	v_dual_mul_f32 v13, v183, v119 :: v_dual_fma_f32 v39, v166, v106, -v43
	s_delay_alu instid0(VALU_DEP_3) | instskip(NEXT) | instid1(VALU_DEP_3)
	v_dual_fmac_f32 v17, v167, v106 :: v_dual_add_f32 v9, v9, v15
	v_dual_add_f32 v11, v11, v37 :: v_dual_fmac_f32 v19, v169, v108
	v_dual_mul_f32 v15, v185, v121 :: v_dual_fma_f32 v37, v168, v108, -v45
	s_delay_alu instid0(VALU_DEP_2) | instskip(SKIP_3) | instid1(VALU_DEP_3)
	v_dual_add_f32 v9, v9, v17 :: v_dual_add_f32 v11, v11, v39
	v_dual_mul_f32 v23, v172, v113 :: v_dual_mul_f32 v25, v174, v115
	s_wait_loadcnt 0x6
	v_dual_mul_f32 v17, v179, v123 :: v_dual_fma_f32 v39, v170, v110, -v47
	v_dual_fmac_f32 v21, v171, v110 :: v_dual_add_f32 v9, v9, v19
	s_delay_alu instid0(VALU_DEP_3) | instskip(SKIP_1) | instid1(VALU_DEP_2)
	v_dual_add_f32 v11, v11, v37 :: v_dual_fmac_f32 v23, v173, v112
	v_dual_mul_f32 v19, v181, v125 :: v_dual_fma_f32 v37, v172, v112, -v49
	v_dual_add_f32 v9, v9, v21 :: v_dual_add_f32 v11, v11, v39
	v_dual_mul_f32 v27, v176, v117 :: v_dual_mul_f32 v29, v182, v119
	s_wait_loadcnt 0x5
	v_dual_mul_f32 v21, v143, v127 :: v_dual_fma_f32 v39, v174, v114, -v51
	s_delay_alu instid0(VALU_DEP_3) | instskip(SKIP_2) | instid1(VALU_DEP_3)
	v_dual_fmac_f32 v25, v175, v114 :: v_dual_add_f32 v9, v9, v23
	v_dual_add_f32 v11, v11, v37 :: v_dual_mov_b32 v98, v129
	v_fmac_f32_e32 v27, v177, v116
	v_dual_fma_f32 v23, v176, v116, -v35 :: v_dual_add_f32 v9, v9, v25
	s_delay_alu instid0(VALU_DEP_3) | instskip(SKIP_1) | instid1(VALU_DEP_3)
	v_dual_add_f32 v11, v11, v39 :: v_dual_mul_f32 v31, v184, v121
	v_dual_mul_f32 v33, v178, v123 :: v_dual_fmac_f32 v29, v183, v118
	v_dual_add_f32 v9, v9, v27 :: v_dual_fma_f32 v13, v182, v118, -v13
	s_wait_loadcnt 0x4
	s_delay_alu instid0(VALU_DEP_3) | instskip(SKIP_3) | instid1(VALU_DEP_4)
	v_dual_add_f32 v11, v11, v23 :: v_dual_mov_b32 v102, v133
	v_fma_f32 v15, v184, v120, -v15
	v_fmac_f32_e32 v31, v185, v120
	v_dual_add_f32 v9, v9, v29 :: v_dual_fmac_f32 v33, v179, v122
	v_add_f32_e32 v11, v11, v13
	v_dual_mul_f32 v201, v180, v125 :: v_dual_mul_f32 v203, v142, v127
	s_delay_alu instid0(VALU_DEP_3) | instskip(NEXT) | instid1(VALU_DEP_2)
	v_dual_fma_f32 v13, v178, v122, -v17 :: v_dual_add_f32 v9, v9, v31
	v_dual_add_f32 v11, v11, v15 :: v_dual_fmac_f32 v201, v181, v124
	v_fma_f32 v200, v180, v124, -v19
	v_pk_mul_f32 v[98:99], v[192:193], v[98:99] op_sel_hi:[1,0]
	s_delay_alu instid0(VALU_DEP_4)
	v_add_f32_e32 v107, v9, v33
	s_wait_loadcnt 0x3
	v_dual_add_f32 v106, v11, v13 :: v_dual_mov_b32 v108, v137
	v_pk_mul_f32 v[100:101], v[146:147], v[130:131] op_sel:[1,1] op_sel_hi:[0,1]
	v_dual_fmac_f32 v203, v143, v126 :: v_dual_fma_f32 v202, v142, v126, -v21
	v_pk_fma_f32 v[110:111], v[144:145], v[128:129], v[98:99] op_sel_hi:[1,0,1]
	s_delay_alu instid0(VALU_DEP_4)
	v_pk_add_f32 v[106:107], v[106:107], v[200:201]
	v_pk_fma_f32 v[98:99], v[144:145], v[128:129], v[98:99] neg_lo:[0,0,1] neg_hi:[0,0,1]
	v_pk_fma_f32 v[112:113], v[146:147], v[130:131], v[100:101] op_sel_hi:[1,0,1]
	v_pk_mul_f32 v[102:103], v[194:195], v[102:103] op_sel_hi:[1,0]
	v_mov_b32_e32 v99, v111
	v_pk_add_f32 v[106:107], v[106:107], v[202:203]
	v_pk_fma_f32 v[100:101], v[146:147], v[130:131], v[100:101] neg_lo:[0,0,1] neg_hi:[0,0,1]
	v_pk_mul_f32 v[104:105], v[150:151], v[134:135] op_sel:[1,1] op_sel_hi:[0,1]
	v_mov_b32_e32 v101, v113
	v_pk_fma_f32 v[112:113], v[148:149], v[132:133], v[102:103] op_sel_hi:[1,0,1]
	v_pk_add_f32 v[98:99], v[106:107], v[98:99]
	v_pk_fma_f32 v[102:103], v[148:149], v[132:133], v[102:103] neg_lo:[0,0,1] neg_hi:[0,0,1]
	v_pk_fma_f32 v[106:107], v[150:151], v[134:135], v[104:105] op_sel_hi:[1,0,1]
	v_pk_mul_f32 v[108:109], v[196:197], v[108:109] op_sel_hi:[1,0]
	v_mov_b32_e32 v103, v113
	v_pk_add_f32 v[98:99], v[98:99], v[100:101]
	v_pk_fma_f32 v[104:105], v[150:151], v[134:135], v[104:105] neg_lo:[0,0,1] neg_hi:[0,0,1]
	s_wait_loadcnt 0x2
	v_pk_mul_f32 v[110:111], v[154:155], v[138:139] op_sel:[1,1] op_sel_hi:[0,1]
	v_dual_mov_b32 v100, v141 :: v_dual_mov_b32 v105, v107
	v_pk_fma_f32 v[106:107], v[152:153], v[136:137], v[108:109] op_sel_hi:[1,0,1]
	v_pk_add_f32 v[98:99], v[98:99], v[102:103]
	v_pk_fma_f32 v[108:109], v[152:153], v[136:137], v[108:109] neg_lo:[0,0,1] neg_hi:[0,0,1]
	v_pk_fma_f32 v[102:103], v[154:155], v[138:139], v[110:111] op_sel_hi:[1,0,1]
	v_pk_mul_f32 v[100:101], v[198:199], v[100:101] op_sel_hi:[1,0]
	v_mov_b32_e32 v109, v107
	v_pk_add_f32 v[98:99], v[98:99], v[104:105]
	v_pk_fma_f32 v[104:105], v[154:155], v[138:139], v[110:111] neg_lo:[0,0,1] neg_hi:[0,0,1]
	v_mov_b32_e32 v105, v103
	v_pk_fma_f32 v[102:103], v[156:157], v[140:141], v[100:101] op_sel_hi:[1,0,1]
	s_wait_loadcnt_dscnt 0x100
	v_pk_mul_f32 v[106:107], v[190:191], v[186:187] op_sel:[1,1] op_sel_hi:[0,1]
	v_pk_add_f32 v[98:99], v[98:99], v[108:109]
	v_pk_fma_f32 v[100:101], v[156:157], v[140:141], v[100:101] neg_lo:[0,0,1] neg_hi:[0,0,1]
	v_mov_b32_e32 v101, v103
	s_delay_alu instid0(VALU_DEP_4) | instskip(NEXT) | instid1(VALU_DEP_4)
	v_pk_fma_f32 v[102:103], v[190:191], v[186:187], v[106:107] op_sel_hi:[1,0,1]
	v_pk_add_f32 v[98:99], v[98:99], v[104:105]
	v_pk_fma_f32 v[104:105], v[190:191], v[186:187], v[106:107] neg_lo:[0,0,1] neg_hi:[0,0,1]
	s_delay_alu instid0(VALU_DEP_3) | instskip(NEXT) | instid1(VALU_DEP_3)
	v_mov_b32_e32 v105, v103
	v_pk_add_f32 v[98:99], v[98:99], v[100:101]
	s_delay_alu instid0(VALU_DEP_1) | instskip(SKIP_1) | instid1(VALU_DEP_1)
	v_pk_add_f32 v[98:99], v[98:99], v[104:105]
	s_wait_loadcnt 0x0
	v_pk_add_f32 v[98:99], v[188:189], v[98:99] neg_lo:[0,1] neg_hi:[0,1]
	scratch_store_b64 off, v[98:99], off offset:192
	s_wait_xcnt 0x0
	v_cmpx_lt_u32_e32 23, v0
	s_cbranch_execz .LBB111_255
; %bb.254:
	scratch_load_b64 v[98:99], off, off offset:184
	v_mov_b64_e32 v[100:101], 0
	scratch_store_b64 off, v[100:101], off offset:184
	s_wait_loadcnt 0x0
	ds_store_b64 v1, v[98:99]
.LBB111_255:
	s_wait_xcnt 0x0
	s_or_b32 exec_lo, exec_lo, s0
	s_wait_storecnt_dscnt 0x0
	s_barrier_signal -1
	s_barrier_wait -1
	s_clause 0xc
	scratch_load_b128 v[98:101], off, off offset:192
	scratch_load_b128 v[102:105], off, off offset:208
	;; [unrolled: 1-line block ×12, first 2 shown]
	scratch_load_b64 v[194:195], off, off offset:184
	ds_load_b128 v[146:149], v7 offset:704
	ds_load_b128 v[150:153], v7 offset:720
	;; [unrolled: 1-line block ×12, first 2 shown]
	s_mov_b32 s0, exec_lo
	s_wait_dscnt 0xb
	v_dual_mov_b32 v196, v149 :: v_dual_mov_b32 v197, v148
	s_wait_dscnt 0xa
	v_dual_mov_b32 v198, v153 :: v_dual_mov_b32 v199, v152
	;; [unrolled: 2-line block ×4, first 2 shown]
	s_wait_loadcnt_dscnt 0xc07
	v_dual_mul_f32 v7, v162, v99 :: v_dual_mul_f32 v9, v164, v101
	v_dual_mul_f32 v35, v163, v99 :: v_dual_mul_f32 v37, v165, v101
	s_wait_loadcnt_dscnt 0xb06
	v_dual_mul_f32 v11, v166, v103 :: v_dual_mul_f32 v13, v168, v105
	s_delay_alu instid0(VALU_DEP_3) | instskip(SKIP_3) | instid1(VALU_DEP_3)
	v_dual_fmac_f32 v7, v163, v98 :: v_dual_fmac_f32 v9, v165, v100
	s_wait_loadcnt_dscnt 0x904
	v_dual_fma_f32 v35, v162, v98, -v35 :: v_dual_mul_f32 v47, v175, v111
	v_dual_mul_f32 v39, v167, v103 :: v_dual_mul_f32 v41, v169, v105
	v_dual_fma_f32 v37, v164, v100, -v37 :: v_dual_add_f32 v7, 0, v7
	s_delay_alu instid0(VALU_DEP_3) | instskip(SKIP_1) | instid1(VALU_DEP_3)
	v_dual_add_f32 v35, 0, v35 :: v_dual_mul_f32 v49, v177, v113
	v_dual_fmac_f32 v11, v167, v102 :: v_dual_fmac_f32 v13, v169, v104
	v_dual_fma_f32 v39, v166, v102, -v39 :: v_dual_add_f32 v7, v7, v9
	s_delay_alu instid0(VALU_DEP_3) | instskip(SKIP_2) | instid1(VALU_DEP_4)
	v_dual_add_f32 v9, v35, v37 :: v_dual_fma_f32 v37, v168, v104, -v41
	v_dual_mul_f32 v15, v170, v107 :: v_dual_mul_f32 v17, v172, v109
	v_dual_mul_f32 v43, v171, v107 :: v_dual_mul_f32 v45, v173, v109
	v_add_f32_e32 v7, v7, v11
	s_delay_alu instid0(VALU_DEP_3) | instskip(NEXT) | instid1(VALU_DEP_3)
	v_dual_add_f32 v9, v9, v39 :: v_dual_fmac_f32 v15, v171, v106
	v_fma_f32 v39, v170, v106, -v43
	v_dual_mul_f32 v19, v174, v111 :: v_dual_mul_f32 v21, v176, v113
	s_delay_alu instid0(VALU_DEP_4) | instskip(SKIP_2) | instid1(VALU_DEP_2)
	v_dual_add_f32 v7, v7, v13 :: v_dual_fmac_f32 v17, v173, v108
	s_wait_loadcnt_dscnt 0x702
	v_dual_add_f32 v9, v9, v37 :: v_dual_mul_f32 v13, v183, v119
	v_dual_fma_f32 v37, v172, v108, -v45 :: v_dual_add_f32 v7, v7, v15
	v_mul_f32_e32 v15, v185, v121
	s_delay_alu instid0(VALU_DEP_3) | instskip(NEXT) | instid1(VALU_DEP_3)
	v_dual_add_f32 v9, v9, v39 :: v_dual_fmac_f32 v19, v175, v110
	v_dual_fma_f32 v39, v174, v110, -v47 :: v_dual_add_f32 v7, v7, v17
	v_fmac_f32_e32 v21, v177, v112
	s_wait_loadcnt_dscnt 0x601
	s_delay_alu instid0(VALU_DEP_3) | instskip(SKIP_3) | instid1(VALU_DEP_3)
	v_dual_add_f32 v9, v9, v37 :: v_dual_mul_f32 v17, v187, v123
	v_dual_mul_f32 v23, v178, v115 :: v_dual_mul_f32 v25, v180, v117
	v_dual_mul_f32 v35, v179, v115 :: v_dual_mul_f32 v11, v181, v117
	v_dual_fma_f32 v37, v176, v112, -v49 :: v_dual_add_f32 v7, v7, v19
	v_dual_add_f32 v9, v9, v39 :: v_dual_fmac_f32 v23, v179, v114
	s_delay_alu instid0(VALU_DEP_3) | instskip(NEXT) | instid1(VALU_DEP_3)
	v_dual_mul_f32 v19, v189, v125 :: v_dual_fma_f32 v35, v178, v114, -v35
	v_dual_add_f32 v7, v7, v21 :: v_dual_fmac_f32 v25, v181, v116
	s_wait_loadcnt_dscnt 0x500
	s_delay_alu instid0(VALU_DEP_3) | instskip(SKIP_1) | instid1(VALU_DEP_3)
	v_dual_add_f32 v9, v9, v37 :: v_dual_mul_f32 v21, v191, v127
	v_dual_mul_f32 v27, v182, v119 :: v_dual_mul_f32 v29, v184, v121
	v_dual_fma_f32 v11, v180, v116, -v11 :: v_dual_add_f32 v7, v7, v23
	s_delay_alu instid0(VALU_DEP_2) | instskip(SKIP_1) | instid1(VALU_DEP_2)
	v_dual_add_f32 v9, v9, v35 :: v_dual_fmac_f32 v27, v183, v118
	v_dual_mul_f32 v23, v193, v129 :: v_dual_fma_f32 v13, v182, v118, -v13
	v_dual_add_f32 v7, v7, v25 :: v_dual_add_f32 v9, v9, v11
	v_dual_mul_f32 v31, v186, v123 :: v_dual_mul_f32 v33, v188, v125
	v_dual_fmac_f32 v29, v185, v120 :: v_dual_fma_f32 v11, v184, v120, -v15
	s_delay_alu instid0(VALU_DEP_3) | instskip(SKIP_1) | instid1(VALU_DEP_3)
	v_dual_add_f32 v7, v7, v27 :: v_dual_add_f32 v9, v9, v13
	s_wait_loadcnt 0x4
	v_dual_mov_b32 v100, v133 :: v_dual_fmac_f32 v31, v187, v122
	s_delay_alu instid0(VALU_DEP_2) | instskip(NEXT) | instid1(VALU_DEP_3)
	v_dual_fma_f32 v13, v186, v122, -v17 :: v_dual_add_f32 v7, v7, v29
	v_dual_add_f32 v9, v9, v11 :: v_dual_fma_f32 v11, v188, v124, -v19
	v_dual_mul_f32 v205, v190, v127 :: v_dual_mul_f32 v207, v192, v129
	s_delay_alu instid0(VALU_DEP_3) | instskip(NEXT) | instid1(VALU_DEP_2)
	v_dual_fmac_f32 v33, v189, v124 :: v_dual_add_f32 v7, v7, v31
	v_dual_add_f32 v9, v9, v13 :: v_dual_fmac_f32 v205, v191, v126
	v_pk_mul_f32 v[98:99], v[146:147], v[130:131] op_sel:[1,1] op_sel_hi:[0,1]
	s_wait_loadcnt 0x3
	v_dual_mov_b32 v104, v137 :: v_dual_fma_f32 v204, v190, v126, -v21
	s_delay_alu instid0(VALU_DEP_3)
	v_dual_add_f32 v107, v7, v33 :: v_dual_add_f32 v106, v9, v11
	v_fmac_f32_e32 v207, v193, v128
	v_pk_fma_f32 v[108:109], v[146:147], v[130:131], v[98:99] op_sel_hi:[1,0,1]
	v_fma_f32 v206, v192, v128, -v23
	v_pk_mul_f32 v[100:101], v[196:197], v[100:101] op_sel_hi:[1,0]
	v_pk_add_f32 v[106:107], v[106:107], v[204:205]
	v_pk_fma_f32 v[98:99], v[146:147], v[130:131], v[98:99] neg_lo:[0,0,1] neg_hi:[0,0,1]
	v_pk_mul_f32 v[102:103], v[150:151], v[134:135] op_sel:[1,1] op_sel_hi:[0,1]
	v_mov_b32_e32 v99, v109
	v_pk_fma_f32 v[108:109], v[148:149], v[132:133], v[100:101] op_sel_hi:[1,0,1]
	v_pk_add_f32 v[106:107], v[106:107], v[206:207]
	v_pk_fma_f32 v[100:101], v[148:149], v[132:133], v[100:101] neg_lo:[0,0,1] neg_hi:[0,0,1]
	v_pk_fma_f32 v[112:113], v[150:151], v[134:135], v[102:103] op_sel_hi:[1,0,1]
	v_pk_mul_f32 v[104:105], v[198:199], v[104:105] op_sel_hi:[1,0]
	v_mov_b32_e32 v101, v109
	v_pk_add_f32 v[98:99], v[106:107], v[98:99]
	s_wait_loadcnt 0x2
	v_pk_mul_f32 v[110:111], v[154:155], v[138:139] op_sel:[1,1] op_sel_hi:[0,1]
	v_mov_b32_e32 v106, v141
	v_pk_fma_f32 v[102:103], v[150:151], v[134:135], v[102:103] neg_lo:[0,0,1] neg_hi:[0,0,1]
	v_pk_fma_f32 v[108:109], v[152:153], v[136:137], v[104:105] op_sel_hi:[1,0,1]
	v_mov_b32_e32 v103, v113
	v_pk_add_f32 v[98:99], v[98:99], v[100:101]
	v_pk_fma_f32 v[100:101], v[154:155], v[138:139], v[110:111] op_sel_hi:[1,0,1]
	v_pk_mul_f32 v[106:107], v[200:201], v[106:107] op_sel_hi:[1,0]
	v_pk_fma_f32 v[104:105], v[152:153], v[136:137], v[104:105] neg_lo:[0,0,1] neg_hi:[0,0,1]
	v_mov_b32_e32 v105, v109
	v_pk_add_f32 v[98:99], v[98:99], v[102:103]
	v_pk_fma_f32 v[108:109], v[154:155], v[138:139], v[110:111] neg_lo:[0,0,1] neg_hi:[0,0,1]
	v_mov_b32_e32 v109, v101
	v_pk_fma_f32 v[100:101], v[156:157], v[140:141], v[106:107] op_sel_hi:[1,0,1]
	s_wait_loadcnt 0x1
	v_pk_mul_f32 v[102:103], v[158:159], v[142:143] op_sel:[1,1] op_sel_hi:[0,1]
	v_pk_add_f32 v[98:99], v[98:99], v[104:105]
	v_mov_b32_e32 v100, v145
	v_pk_fma_f32 v[106:107], v[156:157], v[140:141], v[106:107] neg_lo:[0,0,1] neg_hi:[0,0,1]
	s_delay_alu instid0(VALU_DEP_4)
	v_pk_fma_f32 v[104:105], v[158:159], v[142:143], v[102:103] op_sel_hi:[1,0,1]
	v_mov_b32_e32 v107, v101
	v_pk_add_f32 v[98:99], v[98:99], v[108:109]
	v_pk_mul_f32 v[100:101], v[202:203], v[100:101] op_sel_hi:[1,0]
	v_pk_fma_f32 v[102:103], v[158:159], v[142:143], v[102:103] neg_lo:[0,0,1] neg_hi:[0,0,1]
	v_mov_b32_e32 v103, v105
	s_delay_alu instid0(VALU_DEP_4) | instskip(NEXT) | instid1(VALU_DEP_4)
	v_pk_add_f32 v[98:99], v[98:99], v[106:107]
	v_pk_fma_f32 v[104:105], v[160:161], v[144:145], v[100:101] op_sel_hi:[1,0,1]
	v_pk_fma_f32 v[100:101], v[160:161], v[144:145], v[100:101] neg_lo:[0,0,1] neg_hi:[0,0,1]
	s_delay_alu instid0(VALU_DEP_3) | instskip(NEXT) | instid1(VALU_DEP_3)
	v_pk_add_f32 v[98:99], v[98:99], v[102:103]
	v_mov_b32_e32 v101, v105
	s_delay_alu instid0(VALU_DEP_1) | instskip(SKIP_1) | instid1(VALU_DEP_1)
	v_pk_add_f32 v[98:99], v[98:99], v[100:101]
	s_wait_loadcnt 0x0
	v_pk_add_f32 v[98:99], v[194:195], v[98:99] neg_lo:[0,1] neg_hi:[0,1]
	scratch_store_b64 off, v[98:99], off offset:184
	s_wait_xcnt 0x0
	v_cmpx_lt_u32_e32 22, v0
	s_cbranch_execz .LBB111_257
; %bb.256:
	scratch_load_b64 v[98:99], off, off offset:176
	v_mov_b64_e32 v[100:101], 0
	scratch_store_b64 off, v[100:101], off offset:176
	s_wait_loadcnt 0x0
	ds_store_b64 v1, v[98:99]
.LBB111_257:
	s_wait_xcnt 0x0
	s_or_b32 exec_lo, exec_lo, s0
	s_wait_storecnt_dscnt 0x0
	s_barrier_signal -1
	s_barrier_wait -1
	s_clause 0xd
	scratch_load_b128 v[98:101], off, off offset:184
	scratch_load_b128 v[102:105], off, off offset:200
	;; [unrolled: 1-line block ×12, first 2 shown]
	scratch_load_b64 v[194:195], off, off offset:376
	scratch_load_b64 v[196:197], off, off offset:176
	v_mov_b32_e32 v7, 0
	ds_load_2addr_b64 v[146:149], v7 offset0:87 offset1:88
	ds_load_2addr_b64 v[150:153], v7 offset0:89 offset1:90
	ds_load_2addr_b64 v[154:157], v7 offset0:91 offset1:92
	ds_load_2addr_b64 v[158:161], v7 offset0:93 offset1:94
	ds_load_2addr_b64 v[162:165], v7 offset0:71 offset1:72
	ds_load_2addr_b64 v[166:169], v7 offset0:73 offset1:74
	ds_load_2addr_b64 v[170:173], v7 offset0:75 offset1:76
	ds_load_2addr_b64 v[174:177], v7 offset0:77 offset1:78
	ds_load_2addr_b64 v[178:181], v7 offset0:79 offset1:80
	ds_load_2addr_b64 v[182:185], v7 offset0:81 offset1:82
	ds_load_2addr_b64 v[186:189], v7 offset0:83 offset1:84
	ds_load_2addr_b64 v[190:193], v7 offset0:85 offset1:86
	ds_load_b64 v[198:199], v7 offset:760
	s_mov_b32 s0, exec_lo
	s_wait_dscnt 0xc
	v_dual_mov_b32 v200, v149 :: v_dual_mov_b32 v201, v148
	s_wait_dscnt 0x9
	v_dual_mov_b32 v202, v153 :: v_dual_mov_b32 v207, v160
	v_dual_mov_b32 v203, v152 :: v_dual_mov_b32 v204, v157
	;; [unrolled: 1-line block ×3, first 2 shown]
	s_wait_loadcnt_dscnt 0xd08
	v_dual_mul_f32 v9, v162, v99 :: v_dual_mul_f32 v39, v163, v99
	v_dual_mul_f32 v41, v165, v101 :: v_dual_mul_f32 v11, v164, v101
	s_wait_loadcnt_dscnt 0xc07
	v_mul_f32_e32 v13, v166, v103
	s_wait_loadcnt_dscnt 0xa05
	v_dual_mul_f32 v51, v175, v111 :: v_dual_fma_f32 v39, v162, v98, -v39
	v_dual_fmac_f32 v9, v163, v98 :: v_dual_mul_f32 v53, v177, v113
	v_dual_mul_f32 v43, v167, v103 :: v_dual_mul_f32 v45, v169, v105
	v_dual_fmac_f32 v11, v165, v100 :: v_dual_fma_f32 v41, v164, v100, -v41
	s_delay_alu instid0(VALU_DEP_3) | instskip(SKIP_3) | instid1(VALU_DEP_3)
	v_dual_add_f32 v9, 0, v9 :: v_dual_add_f32 v39, 0, v39
	v_dual_mul_f32 v15, v168, v105 :: v_dual_mul_f32 v17, v170, v107
	s_wait_loadcnt_dscnt 0x904
	v_dual_mul_f32 v55, v179, v115 :: v_dual_fma_f32 v43, v166, v102, -v43
	v_dual_fmac_f32 v13, v167, v102 :: v_dual_add_f32 v9, v9, v11
	s_delay_alu instid0(VALU_DEP_3) | instskip(SKIP_2) | instid1(VALU_DEP_3)
	v_dual_add_f32 v11, v39, v41 :: v_dual_fmac_f32 v15, v169, v104
	v_dual_mul_f32 v47, v171, v107 :: v_dual_mul_f32 v49, v173, v109
	v_dual_mul_f32 v39, v181, v117 :: v_dual_fma_f32 v41, v168, v104, -v45
	v_dual_add_f32 v9, v9, v13 :: v_dual_add_f32 v11, v11, v43
	v_dual_mul_f32 v19, v172, v109 :: v_dual_mul_f32 v21, v174, v111
	s_wait_loadcnt_dscnt 0x803
	v_dual_mul_f32 v13, v183, v119 :: v_dual_fma_f32 v43, v170, v106, -v47
	s_delay_alu instid0(VALU_DEP_3) | instskip(NEXT) | instid1(VALU_DEP_3)
	v_dual_fmac_f32 v17, v171, v106 :: v_dual_add_f32 v9, v9, v15
	v_dual_add_f32 v11, v11, v41 :: v_dual_fmac_f32 v19, v173, v108
	v_dual_mul_f32 v15, v185, v121 :: v_dual_fma_f32 v41, v172, v108, -v49
	s_delay_alu instid0(VALU_DEP_2) | instskip(SKIP_3) | instid1(VALU_DEP_3)
	v_dual_add_f32 v9, v9, v17 :: v_dual_add_f32 v11, v11, v43
	v_dual_mul_f32 v23, v176, v113 :: v_dual_mul_f32 v25, v178, v115
	s_wait_loadcnt_dscnt 0x702
	v_dual_mul_f32 v17, v187, v123 :: v_dual_fma_f32 v43, v174, v110, -v51
	v_dual_fmac_f32 v21, v175, v110 :: v_dual_add_f32 v9, v9, v19
	s_delay_alu instid0(VALU_DEP_3) | instskip(SKIP_1) | instid1(VALU_DEP_2)
	v_dual_add_f32 v11, v11, v41 :: v_dual_fmac_f32 v23, v177, v112
	v_dual_mul_f32 v19, v189, v125 :: v_dual_fma_f32 v41, v176, v112, -v53
	v_dual_add_f32 v9, v9, v21 :: v_dual_add_f32 v11, v11, v43
	v_dual_mul_f32 v27, v180, v117 :: v_dual_mul_f32 v29, v182, v119
	s_wait_loadcnt_dscnt 0x601
	v_dual_mul_f32 v21, v191, v127 :: v_dual_fma_f32 v43, v178, v114, -v55
	s_delay_alu instid0(VALU_DEP_3) | instskip(NEXT) | instid1(VALU_DEP_3)
	v_dual_fmac_f32 v25, v179, v114 :: v_dual_add_f32 v9, v9, v23
	v_dual_add_f32 v11, v11, v41 :: v_dual_fmac_f32 v27, v181, v116
	v_dual_mul_f32 v23, v193, v129 :: v_dual_fma_f32 v39, v180, v116, -v39
	s_delay_alu instid0(VALU_DEP_2) | instskip(SKIP_3) | instid1(VALU_DEP_3)
	v_dual_add_f32 v9, v9, v25 :: v_dual_add_f32 v11, v11, v43
	v_dual_mul_f32 v31, v184, v121 :: v_dual_mul_f32 v33, v186, v123
	s_wait_loadcnt 0x5
	v_dual_mul_f32 v25, v147, v131 :: v_dual_fma_f32 v13, v182, v118, -v13
	v_dual_fmac_f32 v29, v183, v118 :: v_dual_add_f32 v9, v9, v27
	v_dual_add_f32 v11, v11, v39 :: v_dual_mov_b32 v98, v133
	v_fmac_f32_e32 v31, v185, v120
	s_delay_alu instid0(VALU_DEP_3) | instskip(NEXT) | instid1(VALU_DEP_3)
	v_dual_fma_f32 v15, v184, v120, -v15 :: v_dual_add_f32 v9, v9, v29
	v_add_f32_e32 v11, v11, v13
	v_dual_mul_f32 v35, v188, v125 :: v_dual_mul_f32 v37, v190, v127
	s_delay_alu instid0(VALU_DEP_3) | instskip(NEXT) | instid1(VALU_DEP_3)
	v_dual_fmac_f32 v33, v187, v122 :: v_dual_add_f32 v9, v9, v31
	v_dual_fma_f32 v13, v186, v122, -v17 :: v_dual_add_f32 v11, v11, v15
	s_wait_loadcnt 0x4
	v_dual_mov_b32 v102, v137 :: v_dual_fma_f32 v15, v188, v124, -v19
	v_fmac_f32_e32 v35, v189, v124
	v_dual_add_f32 v9, v9, v33 :: v_dual_fmac_f32 v37, v191, v126
	v_add_f32_e32 v11, v11, v13
	v_dual_mul_f32 v209, v192, v129 :: v_dual_mul_f32 v211, v146, v131
	s_delay_alu instid0(VALU_DEP_3) | instskip(NEXT) | instid1(VALU_DEP_2)
	v_dual_fma_f32 v13, v190, v126, -v21 :: v_dual_add_f32 v9, v9, v35
	v_dual_add_f32 v11, v11, v15 :: v_dual_fmac_f32 v209, v193, v128
	v_fma_f32 v208, v192, v128, -v23
	v_pk_mul_f32 v[98:99], v[200:201], v[98:99] op_sel_hi:[1,0]
	s_delay_alu instid0(VALU_DEP_4)
	v_add_f32_e32 v107, v9, v37
	s_wait_loadcnt 0x3
	v_dual_add_f32 v106, v11, v13 :: v_dual_mov_b32 v108, v141
	v_pk_mul_f32 v[100:101], v[150:151], v[134:135] op_sel:[1,1] op_sel_hi:[0,1]
	v_dual_fmac_f32 v211, v147, v130 :: v_dual_fma_f32 v210, v146, v130, -v25
	v_pk_fma_f32 v[110:111], v[148:149], v[132:133], v[98:99] op_sel_hi:[1,0,1]
	s_delay_alu instid0(VALU_DEP_4)
	v_pk_add_f32 v[106:107], v[106:107], v[208:209]
	v_pk_fma_f32 v[98:99], v[148:149], v[132:133], v[98:99] neg_lo:[0,0,1] neg_hi:[0,0,1]
	v_pk_fma_f32 v[112:113], v[150:151], v[134:135], v[100:101] op_sel_hi:[1,0,1]
	v_pk_mul_f32 v[102:103], v[202:203], v[102:103] op_sel_hi:[1,0]
	v_mov_b32_e32 v99, v111
	v_pk_add_f32 v[106:107], v[106:107], v[210:211]
	v_pk_fma_f32 v[100:101], v[150:151], v[134:135], v[100:101] neg_lo:[0,0,1] neg_hi:[0,0,1]
	v_pk_mul_f32 v[104:105], v[154:155], v[138:139] op_sel:[1,1] op_sel_hi:[0,1]
	v_mov_b32_e32 v101, v113
	v_pk_fma_f32 v[112:113], v[152:153], v[136:137], v[102:103] op_sel_hi:[1,0,1]
	v_pk_add_f32 v[98:99], v[106:107], v[98:99]
	v_pk_fma_f32 v[102:103], v[152:153], v[136:137], v[102:103] neg_lo:[0,0,1] neg_hi:[0,0,1]
	v_pk_fma_f32 v[106:107], v[154:155], v[138:139], v[104:105] op_sel_hi:[1,0,1]
	v_pk_mul_f32 v[108:109], v[204:205], v[108:109] op_sel_hi:[1,0]
	v_mov_b32_e32 v103, v113
	v_pk_add_f32 v[98:99], v[98:99], v[100:101]
	v_pk_fma_f32 v[104:105], v[154:155], v[138:139], v[104:105] neg_lo:[0,0,1] neg_hi:[0,0,1]
	s_wait_loadcnt 0x2
	v_pk_mul_f32 v[110:111], v[158:159], v[142:143] op_sel:[1,1] op_sel_hi:[0,1]
	v_dual_mov_b32 v100, v145 :: v_dual_mov_b32 v105, v107
	v_pk_fma_f32 v[106:107], v[156:157], v[140:141], v[108:109] op_sel_hi:[1,0,1]
	v_pk_add_f32 v[98:99], v[98:99], v[102:103]
	v_pk_fma_f32 v[108:109], v[156:157], v[140:141], v[108:109] neg_lo:[0,0,1] neg_hi:[0,0,1]
	v_pk_fma_f32 v[102:103], v[158:159], v[142:143], v[110:111] op_sel_hi:[1,0,1]
	v_pk_mul_f32 v[100:101], v[206:207], v[100:101] op_sel_hi:[1,0]
	v_mov_b32_e32 v109, v107
	v_pk_add_f32 v[98:99], v[98:99], v[104:105]
	v_pk_fma_f32 v[104:105], v[158:159], v[142:143], v[110:111] neg_lo:[0,0,1] neg_hi:[0,0,1]
	v_mov_b32_e32 v105, v103
	v_pk_fma_f32 v[102:103], v[160:161], v[144:145], v[100:101] op_sel_hi:[1,0,1]
	s_wait_loadcnt_dscnt 0x100
	v_pk_mul_f32 v[106:107], v[198:199], v[194:195] op_sel:[1,1] op_sel_hi:[0,1]
	v_pk_add_f32 v[98:99], v[98:99], v[108:109]
	v_pk_fma_f32 v[100:101], v[160:161], v[144:145], v[100:101] neg_lo:[0,0,1] neg_hi:[0,0,1]
	v_mov_b32_e32 v101, v103
	s_delay_alu instid0(VALU_DEP_4) | instskip(NEXT) | instid1(VALU_DEP_4)
	v_pk_fma_f32 v[102:103], v[198:199], v[194:195], v[106:107] op_sel_hi:[1,0,1]
	v_pk_add_f32 v[98:99], v[98:99], v[104:105]
	v_pk_fma_f32 v[104:105], v[198:199], v[194:195], v[106:107] neg_lo:[0,0,1] neg_hi:[0,0,1]
	s_delay_alu instid0(VALU_DEP_3) | instskip(NEXT) | instid1(VALU_DEP_3)
	v_mov_b32_e32 v105, v103
	v_pk_add_f32 v[98:99], v[98:99], v[100:101]
	s_delay_alu instid0(VALU_DEP_1) | instskip(SKIP_1) | instid1(VALU_DEP_1)
	v_pk_add_f32 v[98:99], v[98:99], v[104:105]
	s_wait_loadcnt 0x0
	v_pk_add_f32 v[98:99], v[196:197], v[98:99] neg_lo:[0,1] neg_hi:[0,1]
	scratch_store_b64 off, v[98:99], off offset:176
	s_wait_xcnt 0x0
	v_cmpx_lt_u32_e32 21, v0
	s_cbranch_execz .LBB111_259
; %bb.258:
	scratch_load_b64 v[98:99], off, off offset:168
	v_mov_b64_e32 v[100:101], 0
	scratch_store_b64 off, v[100:101], off offset:168
	s_wait_loadcnt 0x0
	ds_store_b64 v1, v[98:99]
.LBB111_259:
	s_wait_xcnt 0x0
	s_or_b32 exec_lo, exec_lo, s0
	s_wait_storecnt_dscnt 0x0
	s_barrier_signal -1
	s_barrier_wait -1
	s_clause 0xd
	scratch_load_b128 v[98:101], off, off offset:176
	scratch_load_b128 v[102:105], off, off offset:192
	;; [unrolled: 1-line block ×13, first 2 shown]
	scratch_load_b64 v[202:203], off, off offset:168
	ds_load_b128 v[150:153], v7 offset:704
	ds_load_b128 v[154:157], v7 offset:720
	ds_load_b128 v[158:161], v7 offset:736
	ds_load_b128 v[162:165], v7 offset:752
	ds_load_b128 v[166:169], v7 offset:560
	ds_load_b128 v[170:173], v7 offset:576
	ds_load_b128 v[174:177], v7 offset:592
	ds_load_b128 v[178:181], v7 offset:608
	ds_load_b128 v[182:185], v7 offset:688
	ds_load_b128 v[186:189], v7 offset:624
	ds_load_b128 v[190:193], v7 offset:640
	ds_load_b128 v[194:197], v7 offset:656
	ds_load_b128 v[198:201], v7 offset:672
	s_mov_b32 s0, exec_lo
	s_wait_dscnt 0xc
	v_dual_mov_b32 v204, v153 :: v_dual_mov_b32 v205, v152
	s_wait_dscnt 0xb
	v_dual_mov_b32 v206, v157 :: v_dual_mov_b32 v207, v156
	;; [unrolled: 2-line block ×4, first 2 shown]
	s_wait_loadcnt_dscnt 0xd08
	v_dual_mul_f32 v7, v166, v99 :: v_dual_mul_f32 v9, v168, v101
	v_dual_mul_f32 v39, v167, v99 :: v_dual_mul_f32 v41, v169, v101
	s_wait_loadcnt_dscnt 0xc07
	v_dual_mul_f32 v11, v170, v103 :: v_dual_mul_f32 v13, v172, v105
	s_delay_alu instid0(VALU_DEP_3) | instskip(SKIP_3) | instid1(VALU_DEP_3)
	v_dual_fmac_f32 v7, v167, v98 :: v_dual_fmac_f32 v9, v169, v100
	s_wait_loadcnt_dscnt 0xa05
	v_dual_fma_f32 v39, v166, v98, -v39 :: v_dual_mul_f32 v51, v179, v111
	v_dual_mul_f32 v43, v171, v103 :: v_dual_mul_f32 v45, v173, v105
	v_dual_fma_f32 v41, v168, v100, -v41 :: v_dual_add_f32 v7, 0, v7
	s_delay_alu instid0(VALU_DEP_3) | instskip(SKIP_1) | instid1(VALU_DEP_3)
	v_dual_add_f32 v39, 0, v39 :: v_dual_mul_f32 v53, v181, v113
	v_dual_fmac_f32 v11, v171, v102 :: v_dual_fmac_f32 v13, v173, v104
	v_dual_fma_f32 v43, v170, v102, -v43 :: v_dual_add_f32 v7, v7, v9
	s_delay_alu instid0(VALU_DEP_3) | instskip(SKIP_2) | instid1(VALU_DEP_4)
	v_dual_add_f32 v9, v39, v41 :: v_dual_fma_f32 v41, v172, v104, -v45
	v_dual_mul_f32 v15, v174, v107 :: v_dual_mul_f32 v17, v176, v109
	v_dual_mul_f32 v47, v175, v107 :: v_dual_mul_f32 v49, v177, v109
	v_add_f32_e32 v7, v7, v11
	s_delay_alu instid0(VALU_DEP_3) | instskip(NEXT) | instid1(VALU_DEP_3)
	v_dual_add_f32 v9, v9, v43 :: v_dual_fmac_f32 v15, v175, v106
	v_fma_f32 v43, v174, v106, -v47
	v_dual_mul_f32 v19, v178, v111 :: v_dual_mul_f32 v21, v180, v113
	s_delay_alu instid0(VALU_DEP_4) | instskip(SKIP_2) | instid1(VALU_DEP_2)
	v_dual_add_f32 v7, v7, v13 :: v_dual_fmac_f32 v17, v177, v108
	s_wait_loadcnt_dscnt 0x802
	v_dual_add_f32 v9, v9, v41 :: v_dual_mul_f32 v13, v191, v119
	v_dual_fma_f32 v41, v176, v108, -v49 :: v_dual_add_f32 v7, v7, v15
	v_mul_f32_e32 v15, v193, v121
	s_delay_alu instid0(VALU_DEP_3) | instskip(NEXT) | instid1(VALU_DEP_3)
	v_dual_add_f32 v9, v9, v43 :: v_dual_fmac_f32 v19, v179, v110
	v_dual_fma_f32 v43, v178, v110, -v51 :: v_dual_add_f32 v7, v7, v17
	v_fmac_f32_e32 v21, v181, v112
	s_wait_loadcnt_dscnt 0x701
	s_delay_alu instid0(VALU_DEP_3) | instskip(SKIP_3) | instid1(VALU_DEP_3)
	v_dual_add_f32 v9, v9, v41 :: v_dual_mul_f32 v17, v195, v123
	v_dual_mul_f32 v23, v186, v115 :: v_dual_mul_f32 v25, v188, v117
	v_dual_mul_f32 v39, v187, v115 :: v_dual_mul_f32 v11, v189, v117
	v_dual_fma_f32 v41, v180, v112, -v53 :: v_dual_add_f32 v7, v7, v19
	v_dual_add_f32 v9, v9, v43 :: v_dual_fmac_f32 v23, v187, v114
	s_delay_alu instid0(VALU_DEP_3) | instskip(NEXT) | instid1(VALU_DEP_3)
	v_dual_mul_f32 v19, v197, v125 :: v_dual_fma_f32 v39, v186, v114, -v39
	v_dual_add_f32 v7, v7, v21 :: v_dual_fmac_f32 v25, v189, v116
	s_wait_loadcnt_dscnt 0x600
	s_delay_alu instid0(VALU_DEP_3) | instskip(SKIP_1) | instid1(VALU_DEP_3)
	v_dual_add_f32 v9, v9, v41 :: v_dual_mul_f32 v21, v199, v127
	v_dual_mul_f32 v27, v190, v119 :: v_dual_mul_f32 v29, v192, v121
	v_dual_fma_f32 v11, v188, v116, -v11 :: v_dual_add_f32 v7, v7, v23
	s_delay_alu instid0(VALU_DEP_2) | instskip(SKIP_1) | instid1(VALU_DEP_2)
	v_dual_add_f32 v9, v9, v39 :: v_dual_fmac_f32 v27, v191, v118
	v_dual_mul_f32 v23, v201, v129 :: v_dual_fma_f32 v13, v190, v118, -v13
	v_dual_add_f32 v7, v7, v25 :: v_dual_add_f32 v9, v9, v11
	v_dual_mul_f32 v31, v194, v123 :: v_dual_mul_f32 v33, v196, v125
	s_wait_loadcnt 0x5
	v_dual_mul_f32 v11, v183, v131 :: v_dual_fmac_f32 v29, v193, v120
	s_delay_alu instid0(VALU_DEP_3) | instskip(NEXT) | instid1(VALU_DEP_3)
	v_dual_fma_f32 v15, v192, v120, -v15 :: v_dual_add_f32 v7, v7, v27
	v_dual_add_f32 v9, v9, v13 :: v_dual_fmac_f32 v31, v195, v122
	v_dual_mul_f32 v13, v185, v133 :: v_dual_fma_f32 v17, v194, v122, -v17
	s_delay_alu instid0(VALU_DEP_2) | instskip(SKIP_2) | instid1(VALU_DEP_3)
	v_dual_add_f32 v7, v7, v29 :: v_dual_add_f32 v9, v9, v15
	v_dual_mul_f32 v35, v198, v127 :: v_dual_mul_f32 v37, v200, v129
	v_dual_fmac_f32 v33, v197, v124 :: v_dual_fma_f32 v15, v196, v124, -v19
	v_dual_add_f32 v7, v7, v31 :: v_dual_add_f32 v9, v9, v17
	s_wait_loadcnt 0x4
	s_delay_alu instid0(VALU_DEP_3) | instskip(NEXT) | instid1(VALU_DEP_2)
	v_dual_mov_b32 v100, v137 :: v_dual_fmac_f32 v35, v199, v126
	v_dual_fma_f32 v17, v198, v126, -v21 :: v_dual_add_f32 v7, v7, v33
	s_delay_alu instid0(VALU_DEP_3) | instskip(SKIP_1) | instid1(VALU_DEP_3)
	v_dual_add_f32 v9, v9, v15 :: v_dual_fma_f32 v15, v200, v128, -v23
	v_dual_mul_f32 v213, v182, v131 :: v_dual_mul_f32 v215, v184, v133
	v_dual_fmac_f32 v37, v201, v128 :: v_dual_add_f32 v7, v7, v35
	s_delay_alu instid0(VALU_DEP_2) | instskip(SKIP_3) | instid1(VALU_DEP_3)
	v_dual_add_f32 v9, v9, v17 :: v_dual_fmac_f32 v213, v183, v130
	v_pk_mul_f32 v[98:99], v[150:151], v[134:135] op_sel:[1,1] op_sel_hi:[0,1]
	s_wait_loadcnt 0x3
	v_dual_mov_b32 v104, v141 :: v_dual_fma_f32 v212, v182, v130, -v11
	v_dual_add_f32 v107, v7, v37 :: v_dual_add_f32 v106, v9, v15
	v_dual_fmac_f32 v215, v185, v132 :: v_dual_fma_f32 v214, v184, v132, -v13
	v_pk_fma_f32 v[108:109], v[150:151], v[134:135], v[98:99] op_sel_hi:[1,0,1]
	v_pk_mul_f32 v[100:101], v[204:205], v[100:101] op_sel_hi:[1,0]
	s_delay_alu instid0(VALU_DEP_4)
	v_pk_add_f32 v[106:107], v[106:107], v[212:213]
	v_pk_fma_f32 v[98:99], v[150:151], v[134:135], v[98:99] neg_lo:[0,0,1] neg_hi:[0,0,1]
	v_pk_mul_f32 v[102:103], v[154:155], v[138:139] op_sel:[1,1] op_sel_hi:[0,1]
	v_mov_b32_e32 v99, v109
	v_pk_fma_f32 v[108:109], v[152:153], v[136:137], v[100:101] op_sel_hi:[1,0,1]
	v_pk_add_f32 v[106:107], v[106:107], v[214:215]
	v_pk_fma_f32 v[100:101], v[152:153], v[136:137], v[100:101] neg_lo:[0,0,1] neg_hi:[0,0,1]
	v_pk_fma_f32 v[112:113], v[154:155], v[138:139], v[102:103] op_sel_hi:[1,0,1]
	v_pk_mul_f32 v[104:105], v[206:207], v[104:105] op_sel_hi:[1,0]
	v_mov_b32_e32 v101, v109
	v_pk_add_f32 v[98:99], v[106:107], v[98:99]
	s_wait_loadcnt 0x2
	v_pk_mul_f32 v[110:111], v[158:159], v[142:143] op_sel:[1,1] op_sel_hi:[0,1]
	v_mov_b32_e32 v106, v145
	v_pk_fma_f32 v[102:103], v[154:155], v[138:139], v[102:103] neg_lo:[0,0,1] neg_hi:[0,0,1]
	v_mov_b32_e32 v103, v113
	v_pk_fma_f32 v[108:109], v[156:157], v[140:141], v[104:105] op_sel_hi:[1,0,1]
	v_pk_add_f32 v[98:99], v[98:99], v[100:101]
	v_pk_fma_f32 v[100:101], v[158:159], v[142:143], v[110:111] op_sel_hi:[1,0,1]
	v_pk_mul_f32 v[106:107], v[208:209], v[106:107] op_sel_hi:[1,0]
	v_pk_fma_f32 v[104:105], v[156:157], v[140:141], v[104:105] neg_lo:[0,0,1] neg_hi:[0,0,1]
	v_mov_b32_e32 v105, v109
	v_pk_add_f32 v[98:99], v[98:99], v[102:103]
	v_pk_fma_f32 v[108:109], v[158:159], v[142:143], v[110:111] neg_lo:[0,0,1] neg_hi:[0,0,1]
	v_mov_b32_e32 v109, v101
	v_pk_fma_f32 v[100:101], v[160:161], v[144:145], v[106:107] op_sel_hi:[1,0,1]
	s_wait_loadcnt 0x1
	v_pk_mul_f32 v[102:103], v[162:163], v[146:147] op_sel:[1,1] op_sel_hi:[0,1]
	v_pk_add_f32 v[98:99], v[98:99], v[104:105]
	v_mov_b32_e32 v100, v149
	v_pk_fma_f32 v[106:107], v[160:161], v[144:145], v[106:107] neg_lo:[0,0,1] neg_hi:[0,0,1]
	v_mov_b32_e32 v107, v101
	v_pk_fma_f32 v[104:105], v[162:163], v[146:147], v[102:103] op_sel_hi:[1,0,1]
	v_pk_add_f32 v[98:99], v[98:99], v[108:109]
	v_pk_mul_f32 v[100:101], v[210:211], v[100:101] op_sel_hi:[1,0]
	v_pk_fma_f32 v[102:103], v[162:163], v[146:147], v[102:103] neg_lo:[0,0,1] neg_hi:[0,0,1]
	s_delay_alu instid0(VALU_DEP_4) | instskip(NEXT) | instid1(VALU_DEP_4)
	v_mov_b32_e32 v103, v105
	v_pk_add_f32 v[98:99], v[98:99], v[106:107]
	s_delay_alu instid0(VALU_DEP_4) | instskip(SKIP_1) | instid1(VALU_DEP_2)
	v_pk_fma_f32 v[104:105], v[164:165], v[148:149], v[100:101] op_sel_hi:[1,0,1]
	v_pk_fma_f32 v[100:101], v[164:165], v[148:149], v[100:101] neg_lo:[0,0,1] neg_hi:[0,0,1]
	v_mov_b32_e32 v101, v105
	s_delay_alu instid0(VALU_DEP_4) | instskip(NEXT) | instid1(VALU_DEP_1)
	v_pk_add_f32 v[98:99], v[98:99], v[102:103]
	v_pk_add_f32 v[98:99], v[98:99], v[100:101]
	s_wait_loadcnt 0x0
	s_delay_alu instid0(VALU_DEP_1)
	v_pk_add_f32 v[98:99], v[202:203], v[98:99] neg_lo:[0,1] neg_hi:[0,1]
	scratch_store_b64 off, v[98:99], off offset:168
	s_wait_xcnt 0x0
	v_cmpx_lt_u32_e32 20, v0
	s_cbranch_execz .LBB111_261
; %bb.260:
	scratch_load_b64 v[98:99], off, off offset:160
	v_mov_b64_e32 v[100:101], 0
	scratch_store_b64 off, v[100:101], off offset:160
	s_wait_loadcnt 0x0
	ds_store_b64 v1, v[98:99]
.LBB111_261:
	s_wait_xcnt 0x0
	s_or_b32 exec_lo, exec_lo, s0
	s_wait_storecnt_dscnt 0x0
	s_barrier_signal -1
	s_barrier_wait -1
	s_clause 0xe
	scratch_load_b128 v[98:101], off, off offset:168
	scratch_load_b128 v[102:105], off, off offset:184
	;; [unrolled: 1-line block ×13, first 2 shown]
	scratch_load_b64 v[202:203], off, off offset:376
	scratch_load_b64 v[204:205], off, off offset:160
	v_mov_b32_e32 v7, 0
	ds_load_2addr_b64 v[150:153], v7 offset0:87 offset1:88
	ds_load_2addr_b64 v[154:157], v7 offset0:89 offset1:90
	;; [unrolled: 1-line block ×13, first 2 shown]
	ds_load_b64 v[206:207], v7 offset:760
	s_mov_b32 s0, exec_lo
	s_wait_dscnt 0xd
	v_dual_mov_b32 v208, v153 :: v_dual_mov_b32 v209, v152
	s_wait_dscnt 0xa
	v_dual_mov_b32 v210, v157 :: v_dual_mov_b32 v215, v164
	v_dual_mov_b32 v211, v156 :: v_dual_mov_b32 v212, v161
	;; [unrolled: 1-line block ×3, first 2 shown]
	s_wait_loadcnt_dscnt 0xe09
	v_dual_mul_f32 v9, v166, v99 :: v_dual_mul_f32 v43, v167, v99
	v_dual_mul_f32 v45, v169, v101 :: v_dual_mul_f32 v11, v168, v101
	s_wait_loadcnt_dscnt 0xd08
	v_mul_f32_e32 v13, v170, v103
	s_wait_loadcnt_dscnt 0xb05
	v_dual_mul_f32 v55, v183, v111 :: v_dual_fma_f32 v43, v166, v98, -v43
	v_dual_fmac_f32 v9, v167, v98 :: v_dual_mul_f32 v57, v185, v113
	v_dual_mul_f32 v47, v171, v103 :: v_dual_mul_f32 v49, v173, v105
	v_dual_fmac_f32 v11, v169, v100 :: v_dual_fma_f32 v45, v168, v100, -v45
	s_delay_alu instid0(VALU_DEP_3) | instskip(SKIP_3) | instid1(VALU_DEP_3)
	v_dual_add_f32 v9, 0, v9 :: v_dual_add_f32 v43, 0, v43
	v_dual_mul_f32 v15, v172, v105 :: v_dual_mul_f32 v17, v174, v107
	s_wait_loadcnt_dscnt 0xa04
	v_dual_mul_f32 v59, v187, v115 :: v_dual_fma_f32 v47, v170, v102, -v47
	v_dual_fmac_f32 v13, v171, v102 :: v_dual_add_f32 v9, v9, v11
	s_delay_alu instid0(VALU_DEP_3) | instskip(SKIP_2) | instid1(VALU_DEP_3)
	v_dual_add_f32 v11, v43, v45 :: v_dual_fmac_f32 v15, v173, v104
	v_dual_mul_f32 v51, v175, v107 :: v_dual_mul_f32 v53, v177, v109
	v_dual_mul_f32 v43, v189, v117 :: v_dual_fma_f32 v45, v172, v104, -v49
	v_dual_add_f32 v9, v9, v13 :: v_dual_add_f32 v11, v11, v47
	v_dual_mul_f32 v19, v176, v109 :: v_dual_mul_f32 v21, v182, v111
	s_wait_loadcnt_dscnt 0x903
	v_dual_mul_f32 v13, v191, v119 :: v_dual_fma_f32 v47, v174, v106, -v51
	s_delay_alu instid0(VALU_DEP_3) | instskip(NEXT) | instid1(VALU_DEP_3)
	v_dual_fmac_f32 v17, v175, v106 :: v_dual_add_f32 v9, v9, v15
	v_dual_add_f32 v11, v11, v45 :: v_dual_fmac_f32 v19, v177, v108
	v_dual_mul_f32 v15, v193, v121 :: v_dual_fma_f32 v45, v176, v108, -v53
	s_delay_alu instid0(VALU_DEP_2) | instskip(SKIP_3) | instid1(VALU_DEP_3)
	v_dual_add_f32 v9, v9, v17 :: v_dual_add_f32 v11, v11, v47
	v_dual_mul_f32 v23, v184, v113 :: v_dual_mul_f32 v25, v186, v115
	s_wait_loadcnt_dscnt 0x802
	v_dual_mul_f32 v17, v195, v123 :: v_dual_fma_f32 v47, v182, v110, -v55
	v_dual_fmac_f32 v21, v183, v110 :: v_dual_add_f32 v9, v9, v19
	s_delay_alu instid0(VALU_DEP_3) | instskip(SKIP_1) | instid1(VALU_DEP_2)
	v_dual_add_f32 v11, v11, v45 :: v_dual_fmac_f32 v23, v185, v112
	v_dual_mul_f32 v19, v197, v125 :: v_dual_fma_f32 v45, v184, v112, -v57
	v_dual_add_f32 v9, v9, v21 :: v_dual_add_f32 v11, v11, v47
	v_dual_mul_f32 v27, v188, v117 :: v_dual_mul_f32 v29, v190, v119
	s_wait_loadcnt_dscnt 0x701
	v_dual_mul_f32 v21, v199, v127 :: v_dual_fma_f32 v47, v186, v114, -v59
	s_delay_alu instid0(VALU_DEP_3) | instskip(NEXT) | instid1(VALU_DEP_3)
	v_dual_fmac_f32 v25, v187, v114 :: v_dual_add_f32 v9, v9, v23
	v_dual_add_f32 v11, v11, v45 :: v_dual_fmac_f32 v27, v189, v116
	v_dual_mul_f32 v23, v201, v129 :: v_dual_fma_f32 v43, v188, v116, -v43
	s_delay_alu instid0(VALU_DEP_2) | instskip(SKIP_3) | instid1(VALU_DEP_3)
	v_dual_add_f32 v9, v9, v25 :: v_dual_add_f32 v11, v11, v47
	v_dual_mul_f32 v31, v192, v121 :: v_dual_mul_f32 v33, v194, v123
	s_wait_loadcnt 0x6
	v_dual_mul_f32 v25, v179, v131 :: v_dual_fma_f32 v13, v190, v118, -v13
	v_dual_fmac_f32 v29, v191, v118 :: v_dual_add_f32 v9, v9, v27
	v_dual_add_f32 v11, v11, v43 :: v_dual_mul_f32 v27, v181, v133
	v_fmac_f32_e32 v31, v193, v120
	s_delay_alu instid0(VALU_DEP_3) | instskip(NEXT) | instid1(VALU_DEP_3)
	v_dual_fma_f32 v15, v192, v120, -v15 :: v_dual_add_f32 v9, v9, v29
	v_add_f32_e32 v11, v11, v13
	v_dual_mul_f32 v35, v196, v125 :: v_dual_mul_f32 v37, v198, v127
	s_wait_loadcnt 0x5
	v_dual_mul_f32 v13, v151, v135 :: v_dual_fma_f32 v17, v194, v122, -v17
	v_dual_fmac_f32 v33, v195, v122 :: v_dual_add_f32 v9, v9, v31
	v_dual_add_f32 v11, v11, v15 :: v_dual_mov_b32 v98, v137
	v_fmac_f32_e32 v35, v197, v124
	s_delay_alu instid0(VALU_DEP_3) | instskip(NEXT) | instid1(VALU_DEP_3)
	v_dual_fma_f32 v15, v196, v124, -v19 :: v_dual_add_f32 v9, v9, v33
	v_add_f32_e32 v11, v11, v17
	v_dual_mul_f32 v39, v200, v129 :: v_dual_mul_f32 v41, v178, v131
	s_delay_alu instid0(VALU_DEP_3) | instskip(NEXT) | instid1(VALU_DEP_3)
	v_dual_fmac_f32 v37, v199, v126 :: v_dual_add_f32 v9, v9, v35
	v_dual_fma_f32 v17, v198, v126, -v21 :: v_dual_add_f32 v11, v11, v15
	s_wait_loadcnt 0x4
	v_dual_mov_b32 v102, v141 :: v_dual_fma_f32 v15, v200, v128, -v23
	v_fmac_f32_e32 v39, v201, v128
	v_dual_add_f32 v9, v9, v37 :: v_dual_fmac_f32 v41, v179, v130
	v_add_f32_e32 v11, v11, v17
	v_dual_mul_f32 v217, v180, v133 :: v_dual_mul_f32 v219, v150, v135
	s_delay_alu instid0(VALU_DEP_3) | instskip(NEXT) | instid1(VALU_DEP_2)
	v_dual_fma_f32 v17, v178, v130, -v25 :: v_dual_add_f32 v9, v9, v39
	v_dual_add_f32 v11, v11, v15 :: v_dual_fmac_f32 v217, v181, v132
	v_fma_f32 v216, v180, v132, -v27
	v_pk_mul_f32 v[98:99], v[208:209], v[98:99] op_sel_hi:[1,0]
	s_delay_alu instid0(VALU_DEP_4)
	v_add_f32_e32 v107, v9, v41
	s_wait_loadcnt 0x3
	v_dual_add_f32 v106, v11, v17 :: v_dual_mov_b32 v108, v145
	v_pk_mul_f32 v[100:101], v[154:155], v[138:139] op_sel:[1,1] op_sel_hi:[0,1]
	v_dual_fmac_f32 v219, v151, v134 :: v_dual_fma_f32 v218, v150, v134, -v13
	v_pk_fma_f32 v[110:111], v[152:153], v[136:137], v[98:99] op_sel_hi:[1,0,1]
	s_delay_alu instid0(VALU_DEP_4)
	v_pk_add_f32 v[106:107], v[106:107], v[216:217]
	v_pk_fma_f32 v[98:99], v[152:153], v[136:137], v[98:99] neg_lo:[0,0,1] neg_hi:[0,0,1]
	v_pk_fma_f32 v[112:113], v[154:155], v[138:139], v[100:101] op_sel_hi:[1,0,1]
	v_pk_mul_f32 v[102:103], v[210:211], v[102:103] op_sel_hi:[1,0]
	v_mov_b32_e32 v99, v111
	v_pk_add_f32 v[106:107], v[106:107], v[218:219]
	v_pk_fma_f32 v[100:101], v[154:155], v[138:139], v[100:101] neg_lo:[0,0,1] neg_hi:[0,0,1]
	v_pk_mul_f32 v[104:105], v[158:159], v[142:143] op_sel:[1,1] op_sel_hi:[0,1]
	v_mov_b32_e32 v101, v113
	v_pk_fma_f32 v[112:113], v[156:157], v[140:141], v[102:103] op_sel_hi:[1,0,1]
	v_pk_add_f32 v[98:99], v[106:107], v[98:99]
	v_pk_fma_f32 v[102:103], v[156:157], v[140:141], v[102:103] neg_lo:[0,0,1] neg_hi:[0,0,1]
	v_pk_fma_f32 v[106:107], v[158:159], v[142:143], v[104:105] op_sel_hi:[1,0,1]
	v_pk_mul_f32 v[108:109], v[212:213], v[108:109] op_sel_hi:[1,0]
	v_mov_b32_e32 v103, v113
	v_pk_add_f32 v[98:99], v[98:99], v[100:101]
	v_pk_fma_f32 v[104:105], v[158:159], v[142:143], v[104:105] neg_lo:[0,0,1] neg_hi:[0,0,1]
	s_wait_loadcnt 0x2
	v_pk_mul_f32 v[110:111], v[162:163], v[146:147] op_sel:[1,1] op_sel_hi:[0,1]
	v_dual_mov_b32 v100, v149 :: v_dual_mov_b32 v105, v107
	v_pk_fma_f32 v[106:107], v[160:161], v[144:145], v[108:109] op_sel_hi:[1,0,1]
	v_pk_add_f32 v[98:99], v[98:99], v[102:103]
	v_pk_fma_f32 v[108:109], v[160:161], v[144:145], v[108:109] neg_lo:[0,0,1] neg_hi:[0,0,1]
	v_pk_fma_f32 v[102:103], v[162:163], v[146:147], v[110:111] op_sel_hi:[1,0,1]
	v_pk_mul_f32 v[100:101], v[214:215], v[100:101] op_sel_hi:[1,0]
	v_mov_b32_e32 v109, v107
	v_pk_add_f32 v[98:99], v[98:99], v[104:105]
	v_pk_fma_f32 v[104:105], v[162:163], v[146:147], v[110:111] neg_lo:[0,0,1] neg_hi:[0,0,1]
	v_mov_b32_e32 v105, v103
	v_pk_fma_f32 v[102:103], v[164:165], v[148:149], v[100:101] op_sel_hi:[1,0,1]
	s_wait_loadcnt_dscnt 0x100
	v_pk_mul_f32 v[106:107], v[206:207], v[202:203] op_sel:[1,1] op_sel_hi:[0,1]
	v_pk_add_f32 v[98:99], v[98:99], v[108:109]
	v_pk_fma_f32 v[100:101], v[164:165], v[148:149], v[100:101] neg_lo:[0,0,1] neg_hi:[0,0,1]
	v_mov_b32_e32 v101, v103
	s_delay_alu instid0(VALU_DEP_4) | instskip(NEXT) | instid1(VALU_DEP_4)
	v_pk_fma_f32 v[102:103], v[206:207], v[202:203], v[106:107] op_sel_hi:[1,0,1]
	v_pk_add_f32 v[98:99], v[98:99], v[104:105]
	v_pk_fma_f32 v[104:105], v[206:207], v[202:203], v[106:107] neg_lo:[0,0,1] neg_hi:[0,0,1]
	s_delay_alu instid0(VALU_DEP_3) | instskip(NEXT) | instid1(VALU_DEP_3)
	v_mov_b32_e32 v105, v103
	v_pk_add_f32 v[98:99], v[98:99], v[100:101]
	s_delay_alu instid0(VALU_DEP_1) | instskip(SKIP_1) | instid1(VALU_DEP_1)
	v_pk_add_f32 v[98:99], v[98:99], v[104:105]
	s_wait_loadcnt 0x0
	v_pk_add_f32 v[98:99], v[204:205], v[98:99] neg_lo:[0,1] neg_hi:[0,1]
	scratch_store_b64 off, v[98:99], off offset:160
	s_wait_xcnt 0x0
	v_cmpx_lt_u32_e32 19, v0
	s_cbranch_execz .LBB111_263
; %bb.262:
	scratch_load_b64 v[98:99], off, off offset:152
	v_mov_b64_e32 v[100:101], 0
	scratch_store_b64 off, v[100:101], off offset:152
	s_wait_loadcnt 0x0
	ds_store_b64 v1, v[98:99]
.LBB111_263:
	s_wait_xcnt 0x0
	s_or_b32 exec_lo, exec_lo, s0
	s_wait_storecnt_dscnt 0x0
	s_barrier_signal -1
	s_barrier_wait -1
	s_clause 0xe
	scratch_load_b128 v[98:101], off, off offset:160
	scratch_load_b128 v[102:105], off, off offset:176
	;; [unrolled: 1-line block ×14, first 2 shown]
	scratch_load_b64 v[210:211], off, off offset:152
	ds_load_b128 v[154:157], v7 offset:704
	ds_load_b128 v[158:161], v7 offset:720
	;; [unrolled: 1-line block ×14, first 2 shown]
	s_mov_b32 s0, exec_lo
	s_wait_dscnt 0xd
	v_dual_mov_b32 v212, v157 :: v_dual_mov_b32 v213, v156
	s_wait_dscnt 0xc
	v_dual_mov_b32 v214, v161 :: v_dual_mov_b32 v215, v160
	;; [unrolled: 2-line block ×4, first 2 shown]
	s_wait_loadcnt_dscnt 0xe09
	v_dual_mul_f32 v7, v170, v99 :: v_dual_mul_f32 v9, v172, v101
	v_dual_mul_f32 v43, v171, v99 :: v_dual_mul_f32 v45, v173, v101
	s_wait_loadcnt_dscnt 0xd08
	v_dual_mul_f32 v11, v174, v103 :: v_dual_mul_f32 v13, v176, v105
	s_delay_alu instid0(VALU_DEP_3) | instskip(SKIP_3) | instid1(VALU_DEP_3)
	v_dual_fmac_f32 v7, v171, v98 :: v_dual_fmac_f32 v9, v173, v100
	s_wait_loadcnt_dscnt 0xb06
	v_dual_fma_f32 v43, v170, v98, -v43 :: v_dual_mul_f32 v55, v183, v111
	v_dual_mul_f32 v47, v175, v103 :: v_dual_mul_f32 v49, v177, v105
	v_dual_fma_f32 v45, v172, v100, -v45 :: v_dual_add_f32 v7, 0, v7
	s_delay_alu instid0(VALU_DEP_3) | instskip(SKIP_1) | instid1(VALU_DEP_3)
	v_dual_add_f32 v43, 0, v43 :: v_dual_mul_f32 v57, v185, v113
	v_dual_fmac_f32 v11, v175, v102 :: v_dual_fmac_f32 v13, v177, v104
	v_dual_fma_f32 v47, v174, v102, -v47 :: v_dual_add_f32 v7, v7, v9
	s_delay_alu instid0(VALU_DEP_3) | instskip(SKIP_2) | instid1(VALU_DEP_4)
	v_dual_add_f32 v9, v43, v45 :: v_dual_fma_f32 v45, v176, v104, -v49
	v_dual_mul_f32 v15, v178, v107 :: v_dual_mul_f32 v17, v180, v109
	v_dual_mul_f32 v51, v179, v107 :: v_dual_mul_f32 v53, v181, v109
	v_add_f32_e32 v7, v7, v11
	s_delay_alu instid0(VALU_DEP_3) | instskip(NEXT) | instid1(VALU_DEP_3)
	v_dual_add_f32 v9, v9, v47 :: v_dual_fmac_f32 v15, v179, v106
	v_fma_f32 v47, v178, v106, -v51
	v_dual_mul_f32 v19, v182, v111 :: v_dual_mul_f32 v21, v184, v113
	s_delay_alu instid0(VALU_DEP_4) | instskip(SKIP_2) | instid1(VALU_DEP_2)
	v_dual_add_f32 v7, v7, v13 :: v_dual_fmac_f32 v17, v181, v108
	s_wait_loadcnt_dscnt 0x904
	v_dual_add_f32 v9, v9, v45 :: v_dual_mul_f32 v13, v191, v119
	v_dual_fma_f32 v45, v180, v108, -v53 :: v_dual_add_f32 v7, v7, v15
	v_mul_f32_e32 v15, v193, v121
	s_delay_alu instid0(VALU_DEP_3) | instskip(NEXT) | instid1(VALU_DEP_3)
	v_dual_add_f32 v9, v9, v47 :: v_dual_fmac_f32 v19, v183, v110
	v_dual_fma_f32 v47, v182, v110, -v55 :: v_dual_add_f32 v7, v7, v17
	v_fmac_f32_e32 v21, v185, v112
	s_wait_loadcnt_dscnt 0x803
	s_delay_alu instid0(VALU_DEP_3) | instskip(SKIP_3) | instid1(VALU_DEP_3)
	v_dual_add_f32 v9, v9, v45 :: v_dual_mul_f32 v17, v195, v123
	v_dual_mul_f32 v23, v186, v115 :: v_dual_mul_f32 v25, v188, v117
	v_dual_mul_f32 v43, v187, v115 :: v_dual_mul_f32 v11, v189, v117
	v_dual_fma_f32 v45, v184, v112, -v57 :: v_dual_add_f32 v7, v7, v19
	v_dual_add_f32 v9, v9, v47 :: v_dual_fmac_f32 v23, v187, v114
	s_delay_alu instid0(VALU_DEP_3) | instskip(NEXT) | instid1(VALU_DEP_3)
	v_dual_mul_f32 v19, v197, v125 :: v_dual_fma_f32 v43, v186, v114, -v43
	v_dual_add_f32 v7, v7, v21 :: v_dual_fmac_f32 v25, v189, v116
	s_wait_loadcnt_dscnt 0x702
	s_delay_alu instid0(VALU_DEP_3) | instskip(SKIP_1) | instid1(VALU_DEP_3)
	v_dual_add_f32 v9, v9, v45 :: v_dual_mul_f32 v21, v199, v127
	v_dual_mul_f32 v27, v190, v119 :: v_dual_mul_f32 v29, v192, v121
	v_dual_fma_f32 v11, v188, v116, -v11 :: v_dual_add_f32 v7, v7, v23
	s_delay_alu instid0(VALU_DEP_2) | instskip(SKIP_1) | instid1(VALU_DEP_2)
	v_dual_add_f32 v9, v9, v43 :: v_dual_fmac_f32 v27, v191, v118
	v_dual_mul_f32 v23, v201, v129 :: v_dual_fma_f32 v13, v190, v118, -v13
	v_dual_add_f32 v7, v7, v25 :: v_dual_add_f32 v9, v9, v11
	v_dual_mul_f32 v31, v194, v123 :: v_dual_mul_f32 v33, v196, v125
	s_wait_loadcnt_dscnt 0x601
	v_dual_mul_f32 v11, v203, v131 :: v_dual_fmac_f32 v29, v193, v120
	s_delay_alu instid0(VALU_DEP_3) | instskip(NEXT) | instid1(VALU_DEP_3)
	v_dual_fma_f32 v15, v192, v120, -v15 :: v_dual_add_f32 v7, v7, v27
	v_dual_add_f32 v9, v9, v13 :: v_dual_fmac_f32 v31, v195, v122
	v_dual_mul_f32 v13, v205, v133 :: v_dual_fma_f32 v17, v194, v122, -v17
	s_delay_alu instid0(VALU_DEP_2) | instskip(SKIP_3) | instid1(VALU_DEP_3)
	v_dual_add_f32 v7, v7, v29 :: v_dual_add_f32 v9, v9, v15
	v_dual_mul_f32 v35, v198, v127 :: v_dual_mul_f32 v37, v200, v129
	s_wait_loadcnt_dscnt 0x500
	v_dual_mul_f32 v15, v207, v135 :: v_dual_fmac_f32 v33, v197, v124
	v_dual_fma_f32 v19, v196, v124, -v19 :: v_dual_add_f32 v7, v7, v31
	s_delay_alu instid0(VALU_DEP_3) | instskip(SKIP_1) | instid1(VALU_DEP_2)
	v_dual_add_f32 v9, v9, v17 :: v_dual_fmac_f32 v35, v199, v126
	v_dual_mul_f32 v17, v209, v137 :: v_dual_fma_f32 v21, v198, v126, -v21
	v_dual_add_f32 v7, v7, v33 :: v_dual_add_f32 v9, v9, v19
	v_dual_mul_f32 v39, v202, v131 :: v_dual_mul_f32 v41, v204, v133
	v_dual_fmac_f32 v37, v201, v128 :: v_dual_fma_f32 v19, v200, v128, -v23
	s_delay_alu instid0(VALU_DEP_3) | instskip(SKIP_1) | instid1(VALU_DEP_3)
	v_dual_add_f32 v7, v7, v35 :: v_dual_add_f32 v9, v9, v21
	s_wait_loadcnt 0x4
	v_dual_mov_b32 v100, v141 :: v_dual_fmac_f32 v39, v203, v130
	s_delay_alu instid0(VALU_DEP_2) | instskip(NEXT) | instid1(VALU_DEP_3)
	v_dual_fma_f32 v11, v202, v130, -v11 :: v_dual_add_f32 v7, v7, v37
	v_dual_add_f32 v9, v9, v19 :: v_dual_fma_f32 v13, v204, v132, -v13
	v_dual_mul_f32 v221, v206, v135 :: v_dual_mul_f32 v223, v208, v137
	s_delay_alu instid0(VALU_DEP_3) | instskip(NEXT) | instid1(VALU_DEP_2)
	v_dual_fmac_f32 v41, v205, v132 :: v_dual_add_f32 v7, v7, v39
	v_dual_add_f32 v9, v9, v11 :: v_dual_fmac_f32 v221, v207, v134
	v_pk_mul_f32 v[98:99], v[154:155], v[138:139] op_sel:[1,1] op_sel_hi:[0,1]
	s_wait_loadcnt 0x3
	v_dual_mov_b32 v104, v145 :: v_dual_fma_f32 v220, v206, v134, -v15
	v_dual_add_f32 v107, v7, v41 :: v_dual_fmac_f32 v223, v209, v136
	v_dual_add_f32 v106, v9, v13 :: v_dual_fma_f32 v222, v208, v136, -v17
	v_pk_fma_f32 v[108:109], v[154:155], v[138:139], v[98:99] op_sel_hi:[1,0,1]
	v_pk_mul_f32 v[100:101], v[212:213], v[100:101] op_sel_hi:[1,0]
	v_pk_fma_f32 v[98:99], v[154:155], v[138:139], v[98:99] neg_lo:[0,0,1] neg_hi:[0,0,1]
	s_delay_alu instid0(VALU_DEP_4)
	v_pk_add_f32 v[106:107], v[106:107], v[220:221]
	v_pk_mul_f32 v[102:103], v[158:159], v[142:143] op_sel:[1,1] op_sel_hi:[0,1]
	v_mov_b32_e32 v99, v109
	v_pk_fma_f32 v[108:109], v[156:157], v[140:141], v[100:101] op_sel_hi:[1,0,1]
	v_pk_fma_f32 v[100:101], v[156:157], v[140:141], v[100:101] neg_lo:[0,0,1] neg_hi:[0,0,1]
	v_pk_add_f32 v[106:107], v[106:107], v[222:223]
	v_pk_fma_f32 v[112:113], v[158:159], v[142:143], v[102:103] op_sel_hi:[1,0,1]
	v_pk_mul_f32 v[104:105], v[214:215], v[104:105] op_sel_hi:[1,0]
	v_mov_b32_e32 v101, v109
	s_wait_loadcnt 0x2
	v_pk_mul_f32 v[110:111], v[162:163], v[146:147] op_sel:[1,1] op_sel_hi:[0,1]
	v_pk_add_f32 v[98:99], v[106:107], v[98:99]
	v_mov_b32_e32 v106, v149
	v_pk_fma_f32 v[102:103], v[158:159], v[142:143], v[102:103] neg_lo:[0,0,1] neg_hi:[0,0,1]
	v_mov_b32_e32 v103, v113
	v_pk_fma_f32 v[108:109], v[160:161], v[144:145], v[104:105] op_sel_hi:[1,0,1]
	v_pk_add_f32 v[98:99], v[98:99], v[100:101]
	v_pk_fma_f32 v[100:101], v[162:163], v[146:147], v[110:111] op_sel_hi:[1,0,1]
	v_pk_mul_f32 v[106:107], v[216:217], v[106:107] op_sel_hi:[1,0]
	v_pk_fma_f32 v[104:105], v[160:161], v[144:145], v[104:105] neg_lo:[0,0,1] neg_hi:[0,0,1]
	v_mov_b32_e32 v105, v109
	v_pk_add_f32 v[98:99], v[98:99], v[102:103]
	v_pk_fma_f32 v[108:109], v[162:163], v[146:147], v[110:111] neg_lo:[0,0,1] neg_hi:[0,0,1]
	v_mov_b32_e32 v109, v101
	v_pk_fma_f32 v[100:101], v[164:165], v[148:149], v[106:107] op_sel_hi:[1,0,1]
	s_wait_loadcnt 0x1
	v_pk_mul_f32 v[102:103], v[166:167], v[150:151] op_sel:[1,1] op_sel_hi:[0,1]
	v_pk_add_f32 v[98:99], v[98:99], v[104:105]
	v_mov_b32_e32 v100, v153
	v_pk_fma_f32 v[106:107], v[164:165], v[148:149], v[106:107] neg_lo:[0,0,1] neg_hi:[0,0,1]
	v_mov_b32_e32 v107, v101
	v_pk_fma_f32 v[104:105], v[166:167], v[150:151], v[102:103] op_sel_hi:[1,0,1]
	v_pk_add_f32 v[98:99], v[98:99], v[108:109]
	v_pk_mul_f32 v[100:101], v[218:219], v[100:101] op_sel_hi:[1,0]
	v_pk_fma_f32 v[102:103], v[166:167], v[150:151], v[102:103] neg_lo:[0,0,1] neg_hi:[0,0,1]
	s_delay_alu instid0(VALU_DEP_4) | instskip(NEXT) | instid1(VALU_DEP_4)
	v_mov_b32_e32 v103, v105
	v_pk_add_f32 v[98:99], v[98:99], v[106:107]
	s_delay_alu instid0(VALU_DEP_4) | instskip(SKIP_1) | instid1(VALU_DEP_2)
	v_pk_fma_f32 v[104:105], v[168:169], v[152:153], v[100:101] op_sel_hi:[1,0,1]
	v_pk_fma_f32 v[100:101], v[168:169], v[152:153], v[100:101] neg_lo:[0,0,1] neg_hi:[0,0,1]
	v_mov_b32_e32 v101, v105
	s_delay_alu instid0(VALU_DEP_4) | instskip(NEXT) | instid1(VALU_DEP_1)
	v_pk_add_f32 v[98:99], v[98:99], v[102:103]
	v_pk_add_f32 v[98:99], v[98:99], v[100:101]
	s_wait_loadcnt 0x0
	s_delay_alu instid0(VALU_DEP_1)
	v_pk_add_f32 v[98:99], v[210:211], v[98:99] neg_lo:[0,1] neg_hi:[0,1]
	scratch_store_b64 off, v[98:99], off offset:152
	s_wait_xcnt 0x0
	v_cmpx_lt_u32_e32 18, v0
	s_cbranch_execz .LBB111_265
; %bb.264:
	scratch_load_b64 v[98:99], off, off offset:144
	v_mov_b64_e32 v[100:101], 0
	scratch_store_b64 off, v[100:101], off offset:144
	s_wait_loadcnt 0x0
	ds_store_b64 v1, v[98:99]
.LBB111_265:
	s_wait_xcnt 0x0
	s_or_b32 exec_lo, exec_lo, s0
	s_wait_storecnt_dscnt 0x0
	s_barrier_signal -1
	s_barrier_wait -1
	s_clause 0xf
	scratch_load_b128 v[98:101], off, off offset:152
	scratch_load_b128 v[102:105], off, off offset:168
	;; [unrolled: 1-line block ×14, first 2 shown]
	scratch_load_b64 v[210:211], off, off offset:376
	scratch_load_b64 v[212:213], off, off offset:144
	v_mov_b32_e32 v7, 0
	ds_load_2addr_b64 v[154:157], v7 offset0:87 offset1:88
	ds_load_2addr_b64 v[158:161], v7 offset0:89 offset1:90
	;; [unrolled: 1-line block ×14, first 2 shown]
	ds_load_b64 v[214:215], v7 offset:760
	s_mov_b32 s0, exec_lo
	s_wait_dscnt 0xe
	v_dual_mov_b32 v216, v157 :: v_dual_mov_b32 v217, v156
	s_wait_dscnt 0xb
	v_dual_mov_b32 v218, v161 :: v_dual_mov_b32 v223, v168
	v_dual_mov_b32 v219, v160 :: v_dual_mov_b32 v220, v165
	;; [unrolled: 1-line block ×3, first 2 shown]
	s_wait_loadcnt_dscnt 0xf0a
	v_dual_mul_f32 v9, v170, v99 :: v_dual_mul_f32 v47, v171, v99
	v_dual_mul_f32 v49, v173, v101 :: v_dual_mul_f32 v11, v172, v101
	s_wait_loadcnt_dscnt 0xe09
	v_mul_f32_e32 v13, v174, v103
	s_wait_loadcnt_dscnt 0xc07
	v_dual_mul_f32 v59, v183, v111 :: v_dual_fma_f32 v47, v170, v98, -v47
	v_dual_fmac_f32 v9, v171, v98 :: v_dual_mul_f32 v61, v185, v113
	v_dual_mul_f32 v51, v175, v103 :: v_dual_mul_f32 v53, v177, v105
	v_dual_fmac_f32 v11, v173, v100 :: v_dual_fma_f32 v49, v172, v100, -v49
	s_delay_alu instid0(VALU_DEP_3) | instskip(SKIP_3) | instid1(VALU_DEP_3)
	v_dual_add_f32 v9, 0, v9 :: v_dual_add_f32 v47, 0, v47
	v_dual_mul_f32 v15, v176, v105 :: v_dual_mul_f32 v17, v178, v107
	s_wait_loadcnt_dscnt 0xb06
	v_dual_mul_f32 v63, v187, v115 :: v_dual_fma_f32 v51, v174, v102, -v51
	v_dual_fmac_f32 v13, v175, v102 :: v_dual_add_f32 v9, v9, v11
	s_delay_alu instid0(VALU_DEP_3) | instskip(SKIP_2) | instid1(VALU_DEP_3)
	v_dual_add_f32 v11, v47, v49 :: v_dual_fmac_f32 v15, v177, v104
	v_dual_mul_f32 v55, v179, v107 :: v_dual_mul_f32 v57, v181, v109
	v_dual_mul_f32 v47, v189, v117 :: v_dual_fma_f32 v49, v176, v104, -v53
	v_dual_add_f32 v9, v9, v13 :: v_dual_add_f32 v11, v11, v51
	v_dual_mul_f32 v19, v180, v109 :: v_dual_mul_f32 v21, v182, v111
	s_wait_loadcnt_dscnt 0xa05
	v_dual_mul_f32 v13, v191, v119 :: v_dual_fma_f32 v51, v178, v106, -v55
	s_delay_alu instid0(VALU_DEP_3) | instskip(NEXT) | instid1(VALU_DEP_3)
	v_dual_fmac_f32 v17, v179, v106 :: v_dual_add_f32 v9, v9, v15
	v_dual_add_f32 v11, v11, v49 :: v_dual_fmac_f32 v19, v181, v108
	v_dual_mul_f32 v15, v193, v121 :: v_dual_fma_f32 v49, v180, v108, -v57
	s_delay_alu instid0(VALU_DEP_2) | instskip(SKIP_3) | instid1(VALU_DEP_3)
	v_dual_add_f32 v9, v9, v17 :: v_dual_add_f32 v11, v11, v51
	v_dual_mul_f32 v23, v184, v113 :: v_dual_mul_f32 v25, v186, v115
	s_wait_loadcnt_dscnt 0x904
	v_dual_mul_f32 v17, v195, v123 :: v_dual_fma_f32 v51, v182, v110, -v59
	v_dual_fmac_f32 v21, v183, v110 :: v_dual_add_f32 v9, v9, v19
	s_delay_alu instid0(VALU_DEP_3) | instskip(SKIP_1) | instid1(VALU_DEP_2)
	v_dual_add_f32 v11, v11, v49 :: v_dual_fmac_f32 v23, v185, v112
	v_dual_mul_f32 v19, v197, v125 :: v_dual_fma_f32 v49, v184, v112, -v61
	v_dual_add_f32 v9, v9, v21 :: v_dual_add_f32 v11, v11, v51
	v_dual_mul_f32 v27, v188, v117 :: v_dual_mul_f32 v29, v190, v119
	s_wait_loadcnt_dscnt 0x803
	v_dual_mul_f32 v21, v199, v127 :: v_dual_fma_f32 v51, v186, v114, -v63
	s_delay_alu instid0(VALU_DEP_3) | instskip(NEXT) | instid1(VALU_DEP_3)
	v_dual_fmac_f32 v25, v187, v114 :: v_dual_add_f32 v9, v9, v23
	v_dual_add_f32 v11, v11, v49 :: v_dual_fmac_f32 v27, v189, v116
	v_dual_mul_f32 v23, v201, v129 :: v_dual_fma_f32 v47, v188, v116, -v47
	s_delay_alu instid0(VALU_DEP_2) | instskip(SKIP_3) | instid1(VALU_DEP_3)
	v_dual_add_f32 v9, v9, v25 :: v_dual_add_f32 v11, v11, v51
	v_dual_mul_f32 v31, v192, v121 :: v_dual_mul_f32 v33, v194, v123
	s_wait_loadcnt_dscnt 0x702
	v_dual_mul_f32 v25, v203, v131 :: v_dual_fma_f32 v13, v190, v118, -v13
	v_dual_fmac_f32 v29, v191, v118 :: v_dual_add_f32 v9, v9, v27
	v_dual_add_f32 v11, v11, v47 :: v_dual_mul_f32 v27, v205, v133
	v_fmac_f32_e32 v31, v193, v120
	s_delay_alu instid0(VALU_DEP_3) | instskip(NEXT) | instid1(VALU_DEP_3)
	v_dual_fma_f32 v15, v192, v120, -v15 :: v_dual_add_f32 v9, v9, v29
	v_add_f32_e32 v11, v11, v13
	v_dual_mul_f32 v35, v196, v125 :: v_dual_mul_f32 v37, v198, v127
	s_wait_loadcnt_dscnt 0x601
	v_dual_mul_f32 v13, v207, v135 :: v_dual_fma_f32 v17, v194, v122, -v17
	v_dual_fmac_f32 v33, v195, v122 :: v_dual_add_f32 v9, v9, v31
	v_dual_add_f32 v11, v11, v15 :: v_dual_mul_f32 v15, v209, v137
	v_fmac_f32_e32 v35, v197, v124
	s_delay_alu instid0(VALU_DEP_3) | instskip(NEXT) | instid1(VALU_DEP_3)
	v_dual_fma_f32 v19, v196, v124, -v19 :: v_dual_add_f32 v9, v9, v33
	v_add_f32_e32 v11, v11, v17
	v_dual_mul_f32 v39, v200, v129 :: v_dual_mul_f32 v41, v202, v131
	s_wait_loadcnt 0x5
	v_dual_mul_f32 v17, v155, v139 :: v_dual_fma_f32 v21, v198, v126, -v21
	v_dual_fmac_f32 v37, v199, v126 :: v_dual_add_f32 v9, v9, v35
	v_dual_add_f32 v11, v11, v19 :: v_dual_mov_b32 v98, v141
	v_fmac_f32_e32 v39, v201, v128
	s_delay_alu instid0(VALU_DEP_3) | instskip(NEXT) | instid1(VALU_DEP_3)
	v_dual_fma_f32 v19, v200, v128, -v23 :: v_dual_add_f32 v9, v9, v37
	v_add_f32_e32 v11, v11, v21
	v_dual_mul_f32 v43, v204, v133 :: v_dual_mul_f32 v45, v206, v135
	s_delay_alu instid0(VALU_DEP_3) | instskip(NEXT) | instid1(VALU_DEP_3)
	v_dual_fmac_f32 v41, v203, v130 :: v_dual_add_f32 v9, v9, v39
	v_dual_fma_f32 v21, v202, v130, -v25 :: v_dual_add_f32 v11, v11, v19
	s_wait_loadcnt 0x4
	v_dual_mov_b32 v102, v145 :: v_dual_fma_f32 v19, v204, v132, -v27
	v_fmac_f32_e32 v43, v205, v132
	v_dual_add_f32 v9, v9, v41 :: v_dual_fmac_f32 v45, v207, v134
	v_add_f32_e32 v11, v11, v21
	v_dual_mul_f32 v225, v208, v137 :: v_dual_mul_f32 v227, v154, v139
	s_delay_alu instid0(VALU_DEP_3) | instskip(NEXT) | instid1(VALU_DEP_2)
	v_dual_fma_f32 v13, v206, v134, -v13 :: v_dual_add_f32 v9, v9, v43
	v_dual_add_f32 v11, v11, v19 :: v_dual_fmac_f32 v225, v209, v136
	v_fma_f32 v224, v208, v136, -v15
	v_pk_mul_f32 v[98:99], v[216:217], v[98:99] op_sel_hi:[1,0]
	s_delay_alu instid0(VALU_DEP_4)
	v_add_f32_e32 v107, v9, v45
	s_wait_loadcnt 0x3
	v_dual_add_f32 v106, v11, v13 :: v_dual_mov_b32 v108, v149
	v_pk_mul_f32 v[100:101], v[158:159], v[142:143] op_sel:[1,1] op_sel_hi:[0,1]
	v_dual_fmac_f32 v227, v155, v138 :: v_dual_fma_f32 v226, v154, v138, -v17
	v_pk_fma_f32 v[110:111], v[156:157], v[140:141], v[98:99] op_sel_hi:[1,0,1]
	s_delay_alu instid0(VALU_DEP_4)
	v_pk_add_f32 v[106:107], v[106:107], v[224:225]
	v_pk_fma_f32 v[98:99], v[156:157], v[140:141], v[98:99] neg_lo:[0,0,1] neg_hi:[0,0,1]
	v_pk_fma_f32 v[112:113], v[158:159], v[142:143], v[100:101] op_sel_hi:[1,0,1]
	v_pk_mul_f32 v[102:103], v[218:219], v[102:103] op_sel_hi:[1,0]
	v_mov_b32_e32 v99, v111
	v_pk_add_f32 v[106:107], v[106:107], v[226:227]
	v_pk_fma_f32 v[100:101], v[158:159], v[142:143], v[100:101] neg_lo:[0,0,1] neg_hi:[0,0,1]
	v_pk_mul_f32 v[104:105], v[162:163], v[146:147] op_sel:[1,1] op_sel_hi:[0,1]
	v_mov_b32_e32 v101, v113
	v_pk_fma_f32 v[112:113], v[160:161], v[144:145], v[102:103] op_sel_hi:[1,0,1]
	v_pk_add_f32 v[98:99], v[106:107], v[98:99]
	v_pk_fma_f32 v[102:103], v[160:161], v[144:145], v[102:103] neg_lo:[0,0,1] neg_hi:[0,0,1]
	v_pk_fma_f32 v[106:107], v[162:163], v[146:147], v[104:105] op_sel_hi:[1,0,1]
	v_pk_mul_f32 v[108:109], v[220:221], v[108:109] op_sel_hi:[1,0]
	v_mov_b32_e32 v103, v113
	v_pk_add_f32 v[98:99], v[98:99], v[100:101]
	v_pk_fma_f32 v[104:105], v[162:163], v[146:147], v[104:105] neg_lo:[0,0,1] neg_hi:[0,0,1]
	s_wait_loadcnt 0x2
	v_pk_mul_f32 v[110:111], v[166:167], v[150:151] op_sel:[1,1] op_sel_hi:[0,1]
	v_dual_mov_b32 v100, v153 :: v_dual_mov_b32 v105, v107
	v_pk_fma_f32 v[106:107], v[164:165], v[148:149], v[108:109] op_sel_hi:[1,0,1]
	v_pk_add_f32 v[98:99], v[98:99], v[102:103]
	v_pk_fma_f32 v[108:109], v[164:165], v[148:149], v[108:109] neg_lo:[0,0,1] neg_hi:[0,0,1]
	v_pk_fma_f32 v[102:103], v[166:167], v[150:151], v[110:111] op_sel_hi:[1,0,1]
	v_pk_mul_f32 v[100:101], v[222:223], v[100:101] op_sel_hi:[1,0]
	v_mov_b32_e32 v109, v107
	v_pk_add_f32 v[98:99], v[98:99], v[104:105]
	v_pk_fma_f32 v[104:105], v[166:167], v[150:151], v[110:111] neg_lo:[0,0,1] neg_hi:[0,0,1]
	v_mov_b32_e32 v105, v103
	v_pk_fma_f32 v[102:103], v[168:169], v[152:153], v[100:101] op_sel_hi:[1,0,1]
	s_wait_loadcnt_dscnt 0x100
	v_pk_mul_f32 v[106:107], v[214:215], v[210:211] op_sel:[1,1] op_sel_hi:[0,1]
	v_pk_add_f32 v[98:99], v[98:99], v[108:109]
	v_pk_fma_f32 v[100:101], v[168:169], v[152:153], v[100:101] neg_lo:[0,0,1] neg_hi:[0,0,1]
	v_mov_b32_e32 v101, v103
	s_delay_alu instid0(VALU_DEP_4) | instskip(NEXT) | instid1(VALU_DEP_4)
	v_pk_fma_f32 v[102:103], v[214:215], v[210:211], v[106:107] op_sel_hi:[1,0,1]
	v_pk_add_f32 v[98:99], v[98:99], v[104:105]
	v_pk_fma_f32 v[104:105], v[214:215], v[210:211], v[106:107] neg_lo:[0,0,1] neg_hi:[0,0,1]
	s_delay_alu instid0(VALU_DEP_3) | instskip(NEXT) | instid1(VALU_DEP_3)
	v_mov_b32_e32 v105, v103
	v_pk_add_f32 v[98:99], v[98:99], v[100:101]
	s_delay_alu instid0(VALU_DEP_1) | instskip(SKIP_1) | instid1(VALU_DEP_1)
	v_pk_add_f32 v[98:99], v[98:99], v[104:105]
	s_wait_loadcnt 0x0
	v_pk_add_f32 v[98:99], v[212:213], v[98:99] neg_lo:[0,1] neg_hi:[0,1]
	scratch_store_b64 off, v[98:99], off offset:144
	s_wait_xcnt 0x0
	v_cmpx_lt_u32_e32 17, v0
	s_cbranch_execz .LBB111_267
; %bb.266:
	scratch_load_b64 v[98:99], off, off offset:136
	v_mov_b64_e32 v[100:101], 0
	scratch_store_b64 off, v[100:101], off offset:136
	s_wait_loadcnt 0x0
	ds_store_b64 v1, v[98:99]
.LBB111_267:
	s_wait_xcnt 0x0
	s_or_b32 exec_lo, exec_lo, s0
	s_wait_storecnt_dscnt 0x0
	s_barrier_signal -1
	s_barrier_wait -1
	s_clause 0xf
	scratch_load_b128 v[98:101], off, off offset:144
	scratch_load_b128 v[102:105], off, off offset:160
	;; [unrolled: 1-line block ×15, first 2 shown]
	scratch_load_b64 v[218:219], off, off offset:136
	ds_load_b128 v[158:161], v7 offset:704
	ds_load_b128 v[162:165], v7 offset:720
	;; [unrolled: 1-line block ×15, first 2 shown]
	s_mov_b32 s0, exec_lo
	s_wait_dscnt 0xe
	v_dual_mov_b32 v220, v161 :: v_dual_mov_b32 v221, v160
	s_wait_dscnt 0xd
	v_dual_mov_b32 v222, v165 :: v_dual_mov_b32 v223, v164
	;; [unrolled: 2-line block ×4, first 2 shown]
	s_wait_loadcnt_dscnt 0xf0a
	v_dual_mul_f32 v7, v174, v99 :: v_dual_mul_f32 v9, v176, v101
	v_dual_mul_f32 v47, v175, v99 :: v_dual_mul_f32 v49, v177, v101
	s_wait_loadcnt_dscnt 0xe09
	v_dual_mul_f32 v11, v178, v103 :: v_dual_mul_f32 v13, v180, v105
	s_delay_alu instid0(VALU_DEP_3) | instskip(SKIP_3) | instid1(VALU_DEP_3)
	v_dual_fmac_f32 v7, v175, v98 :: v_dual_fmac_f32 v9, v177, v100
	s_wait_loadcnt_dscnt 0xc06
	v_dual_fma_f32 v47, v174, v98, -v47 :: v_dual_mul_f32 v59, v191, v111
	v_dual_mul_f32 v51, v179, v103 :: v_dual_mul_f32 v53, v181, v105
	v_dual_fma_f32 v49, v176, v100, -v49 :: v_dual_add_f32 v7, 0, v7
	s_delay_alu instid0(VALU_DEP_3) | instskip(SKIP_1) | instid1(VALU_DEP_3)
	v_dual_add_f32 v47, 0, v47 :: v_dual_mul_f32 v61, v193, v113
	v_dual_fmac_f32 v11, v179, v102 :: v_dual_fmac_f32 v13, v181, v104
	v_dual_fma_f32 v51, v178, v102, -v51 :: v_dual_add_f32 v7, v7, v9
	s_delay_alu instid0(VALU_DEP_3) | instskip(SKIP_2) | instid1(VALU_DEP_4)
	v_dual_add_f32 v9, v47, v49 :: v_dual_fma_f32 v49, v180, v104, -v53
	v_dual_mul_f32 v15, v186, v107 :: v_dual_mul_f32 v17, v188, v109
	v_dual_mul_f32 v55, v187, v107 :: v_dual_mul_f32 v57, v189, v109
	v_add_f32_e32 v7, v7, v11
	s_delay_alu instid0(VALU_DEP_3) | instskip(NEXT) | instid1(VALU_DEP_3)
	v_dual_add_f32 v9, v9, v51 :: v_dual_fmac_f32 v15, v187, v106
	v_fma_f32 v51, v186, v106, -v55
	v_dual_mul_f32 v19, v190, v111 :: v_dual_mul_f32 v21, v192, v113
	s_delay_alu instid0(VALU_DEP_4) | instskip(SKIP_2) | instid1(VALU_DEP_2)
	v_dual_add_f32 v7, v7, v13 :: v_dual_fmac_f32 v17, v189, v108
	s_wait_loadcnt_dscnt 0xa04
	v_dual_add_f32 v9, v9, v49 :: v_dual_mul_f32 v13, v199, v119
	v_dual_fma_f32 v49, v188, v108, -v57 :: v_dual_add_f32 v7, v7, v15
	v_mul_f32_e32 v15, v201, v121
	s_delay_alu instid0(VALU_DEP_3) | instskip(NEXT) | instid1(VALU_DEP_3)
	v_dual_add_f32 v9, v9, v51 :: v_dual_fmac_f32 v19, v191, v110
	v_dual_fma_f32 v51, v190, v110, -v59 :: v_dual_add_f32 v7, v7, v17
	v_fmac_f32_e32 v21, v193, v112
	s_wait_loadcnt_dscnt 0x903
	s_delay_alu instid0(VALU_DEP_3) | instskip(SKIP_3) | instid1(VALU_DEP_3)
	v_dual_add_f32 v9, v9, v49 :: v_dual_mul_f32 v17, v203, v123
	v_dual_mul_f32 v23, v194, v115 :: v_dual_mul_f32 v25, v196, v117
	v_dual_mul_f32 v47, v195, v115 :: v_dual_mul_f32 v11, v197, v117
	v_dual_fma_f32 v49, v192, v112, -v61 :: v_dual_add_f32 v7, v7, v19
	v_dual_add_f32 v9, v9, v51 :: v_dual_fmac_f32 v23, v195, v114
	s_delay_alu instid0(VALU_DEP_3) | instskip(NEXT) | instid1(VALU_DEP_3)
	v_dual_mul_f32 v19, v205, v125 :: v_dual_fma_f32 v47, v194, v114, -v47
	v_dual_add_f32 v7, v7, v21 :: v_dual_fmac_f32 v25, v197, v116
	s_wait_loadcnt_dscnt 0x802
	s_delay_alu instid0(VALU_DEP_3) | instskip(SKIP_1) | instid1(VALU_DEP_3)
	v_dual_add_f32 v9, v9, v49 :: v_dual_mul_f32 v21, v207, v127
	v_dual_mul_f32 v27, v198, v119 :: v_dual_mul_f32 v29, v200, v121
	v_dual_fma_f32 v11, v196, v116, -v11 :: v_dual_add_f32 v7, v7, v23
	s_delay_alu instid0(VALU_DEP_2) | instskip(SKIP_1) | instid1(VALU_DEP_2)
	v_dual_add_f32 v9, v9, v47 :: v_dual_fmac_f32 v27, v199, v118
	v_dual_mul_f32 v23, v209, v129 :: v_dual_fma_f32 v13, v198, v118, -v13
	v_dual_add_f32 v7, v7, v25 :: v_dual_add_f32 v9, v9, v11
	v_dual_mul_f32 v31, v202, v123 :: v_dual_mul_f32 v33, v204, v125
	s_wait_loadcnt_dscnt 0x701
	v_dual_mul_f32 v11, v211, v131 :: v_dual_fmac_f32 v29, v201, v120
	s_delay_alu instid0(VALU_DEP_3) | instskip(NEXT) | instid1(VALU_DEP_3)
	v_dual_fma_f32 v15, v200, v120, -v15 :: v_dual_add_f32 v7, v7, v27
	v_dual_add_f32 v9, v9, v13 :: v_dual_fmac_f32 v31, v203, v122
	v_dual_mul_f32 v13, v213, v133 :: v_dual_fma_f32 v17, v202, v122, -v17
	s_delay_alu instid0(VALU_DEP_2) | instskip(SKIP_3) | instid1(VALU_DEP_3)
	v_dual_add_f32 v7, v7, v29 :: v_dual_add_f32 v9, v9, v15
	v_dual_mul_f32 v35, v206, v127 :: v_dual_mul_f32 v37, v208, v129
	s_wait_loadcnt_dscnt 0x600
	v_dual_mul_f32 v15, v215, v135 :: v_dual_fmac_f32 v33, v205, v124
	v_dual_fma_f32 v19, v204, v124, -v19 :: v_dual_add_f32 v7, v7, v31
	s_delay_alu instid0(VALU_DEP_3) | instskip(SKIP_1) | instid1(VALU_DEP_2)
	v_dual_add_f32 v9, v9, v17 :: v_dual_fmac_f32 v35, v207, v126
	v_dual_mul_f32 v17, v217, v137 :: v_dual_fma_f32 v21, v206, v126, -v21
	v_dual_add_f32 v7, v7, v33 :: v_dual_add_f32 v9, v9, v19
	v_dual_mul_f32 v39, v210, v131 :: v_dual_mul_f32 v41, v212, v133
	s_wait_loadcnt 0x5
	v_dual_mul_f32 v19, v183, v139 :: v_dual_fmac_f32 v37, v209, v128
	s_delay_alu instid0(VALU_DEP_3) | instskip(NEXT) | instid1(VALU_DEP_3)
	v_dual_fma_f32 v23, v208, v128, -v23 :: v_dual_add_f32 v7, v7, v35
	v_dual_add_f32 v9, v9, v21 :: v_dual_fmac_f32 v39, v211, v130
	v_dual_mul_f32 v21, v185, v141 :: v_dual_fma_f32 v11, v210, v130, -v11
	s_delay_alu instid0(VALU_DEP_2) | instskip(SKIP_1) | instid1(VALU_DEP_2)
	v_dual_add_f32 v7, v7, v37 :: v_dual_add_f32 v9, v9, v23
	v_dual_mul_f32 v43, v214, v135 :: v_dual_mul_f32 v45, v216, v137
	v_dual_fmac_f32 v41, v213, v132 :: v_dual_add_f32 v7, v7, v39
	s_delay_alu instid0(VALU_DEP_3) | instskip(SKIP_1) | instid1(VALU_DEP_3)
	v_dual_fma_f32 v13, v212, v132, -v13 :: v_dual_add_f32 v9, v9, v11
	s_wait_loadcnt 0x4
	v_dual_mov_b32 v100, v145 :: v_dual_fmac_f32 v43, v215, v134
	s_delay_alu instid0(VALU_DEP_3) | instskip(NEXT) | instid1(VALU_DEP_3)
	v_dual_fma_f32 v11, v214, v134, -v15 :: v_dual_add_f32 v7, v7, v41
	v_dual_add_f32 v9, v9, v13 :: v_dual_fma_f32 v13, v216, v136, -v17
	v_dual_mul_f32 v229, v182, v139 :: v_dual_mul_f32 v231, v184, v141
	s_delay_alu instid0(VALU_DEP_3) | instskip(NEXT) | instid1(VALU_DEP_2)
	v_dual_fmac_f32 v45, v217, v136 :: v_dual_add_f32 v7, v7, v43
	v_dual_add_f32 v9, v9, v11 :: v_dual_fmac_f32 v229, v183, v138
	v_pk_mul_f32 v[98:99], v[158:159], v[142:143] op_sel:[1,1] op_sel_hi:[0,1]
	s_wait_loadcnt 0x3
	v_dual_mov_b32 v104, v149 :: v_dual_fma_f32 v228, v182, v138, -v19
	v_dual_add_f32 v107, v7, v45 :: v_dual_fmac_f32 v231, v185, v140
	v_dual_add_f32 v106, v9, v13 :: v_dual_fma_f32 v230, v184, v140, -v21
	v_pk_fma_f32 v[108:109], v[158:159], v[142:143], v[98:99] op_sel_hi:[1,0,1]
	v_pk_mul_f32 v[100:101], v[220:221], v[100:101] op_sel_hi:[1,0]
	v_pk_fma_f32 v[98:99], v[158:159], v[142:143], v[98:99] neg_lo:[0,0,1] neg_hi:[0,0,1]
	s_delay_alu instid0(VALU_DEP_4)
	v_pk_add_f32 v[106:107], v[106:107], v[228:229]
	v_pk_mul_f32 v[102:103], v[162:163], v[146:147] op_sel:[1,1] op_sel_hi:[0,1]
	v_mov_b32_e32 v99, v109
	v_pk_fma_f32 v[108:109], v[160:161], v[144:145], v[100:101] op_sel_hi:[1,0,1]
	v_pk_fma_f32 v[100:101], v[160:161], v[144:145], v[100:101] neg_lo:[0,0,1] neg_hi:[0,0,1]
	v_pk_add_f32 v[106:107], v[106:107], v[230:231]
	v_pk_fma_f32 v[112:113], v[162:163], v[146:147], v[102:103] op_sel_hi:[1,0,1]
	v_pk_mul_f32 v[104:105], v[222:223], v[104:105] op_sel_hi:[1,0]
	v_mov_b32_e32 v101, v109
	s_wait_loadcnt 0x2
	v_pk_mul_f32 v[110:111], v[166:167], v[150:151] op_sel:[1,1] op_sel_hi:[0,1]
	v_pk_add_f32 v[98:99], v[106:107], v[98:99]
	v_mov_b32_e32 v106, v153
	v_pk_fma_f32 v[102:103], v[162:163], v[146:147], v[102:103] neg_lo:[0,0,1] neg_hi:[0,0,1]
	v_mov_b32_e32 v103, v113
	v_pk_fma_f32 v[108:109], v[164:165], v[148:149], v[104:105] op_sel_hi:[1,0,1]
	v_pk_add_f32 v[98:99], v[98:99], v[100:101]
	v_pk_fma_f32 v[100:101], v[166:167], v[150:151], v[110:111] op_sel_hi:[1,0,1]
	v_pk_mul_f32 v[106:107], v[224:225], v[106:107] op_sel_hi:[1,0]
	v_pk_fma_f32 v[104:105], v[164:165], v[148:149], v[104:105] neg_lo:[0,0,1] neg_hi:[0,0,1]
	v_mov_b32_e32 v105, v109
	v_pk_add_f32 v[98:99], v[98:99], v[102:103]
	v_pk_fma_f32 v[108:109], v[166:167], v[150:151], v[110:111] neg_lo:[0,0,1] neg_hi:[0,0,1]
	v_mov_b32_e32 v109, v101
	v_pk_fma_f32 v[100:101], v[168:169], v[152:153], v[106:107] op_sel_hi:[1,0,1]
	s_wait_loadcnt 0x1
	v_pk_mul_f32 v[102:103], v[170:171], v[154:155] op_sel:[1,1] op_sel_hi:[0,1]
	v_pk_add_f32 v[98:99], v[98:99], v[104:105]
	v_mov_b32_e32 v100, v157
	v_pk_fma_f32 v[106:107], v[168:169], v[152:153], v[106:107] neg_lo:[0,0,1] neg_hi:[0,0,1]
	v_mov_b32_e32 v107, v101
	v_pk_fma_f32 v[104:105], v[170:171], v[154:155], v[102:103] op_sel_hi:[1,0,1]
	v_pk_add_f32 v[98:99], v[98:99], v[108:109]
	v_pk_mul_f32 v[100:101], v[226:227], v[100:101] op_sel_hi:[1,0]
	v_pk_fma_f32 v[102:103], v[170:171], v[154:155], v[102:103] neg_lo:[0,0,1] neg_hi:[0,0,1]
	s_delay_alu instid0(VALU_DEP_4) | instskip(NEXT) | instid1(VALU_DEP_4)
	v_mov_b32_e32 v103, v105
	v_pk_add_f32 v[98:99], v[98:99], v[106:107]
	s_delay_alu instid0(VALU_DEP_4) | instskip(SKIP_1) | instid1(VALU_DEP_2)
	v_pk_fma_f32 v[104:105], v[172:173], v[156:157], v[100:101] op_sel_hi:[1,0,1]
	v_pk_fma_f32 v[100:101], v[172:173], v[156:157], v[100:101] neg_lo:[0,0,1] neg_hi:[0,0,1]
	v_mov_b32_e32 v101, v105
	s_delay_alu instid0(VALU_DEP_4) | instskip(NEXT) | instid1(VALU_DEP_1)
	v_pk_add_f32 v[98:99], v[98:99], v[102:103]
	v_pk_add_f32 v[98:99], v[98:99], v[100:101]
	s_wait_loadcnt 0x0
	s_delay_alu instid0(VALU_DEP_1)
	v_pk_add_f32 v[98:99], v[218:219], v[98:99] neg_lo:[0,1] neg_hi:[0,1]
	scratch_store_b64 off, v[98:99], off offset:136
	s_wait_xcnt 0x0
	v_cmpx_lt_u32_e32 16, v0
	s_cbranch_execz .LBB111_269
; %bb.268:
	scratch_load_b64 v[98:99], off, off offset:128
	v_mov_b64_e32 v[100:101], 0
	scratch_store_b64 off, v[100:101], off offset:128
	s_wait_loadcnt 0x0
	ds_store_b64 v1, v[98:99]
.LBB111_269:
	s_wait_xcnt 0x0
	s_or_b32 exec_lo, exec_lo, s0
	s_wait_storecnt_dscnt 0x0
	s_barrier_signal -1
	s_barrier_wait -1
	s_clause 0x10
	scratch_load_b128 v[98:101], off, off offset:136
	scratch_load_b128 v[102:105], off, off offset:152
	;; [unrolled: 1-line block ×15, first 2 shown]
	scratch_load_b64 v[218:219], off, off offset:376
	scratch_load_b64 v[220:221], off, off offset:128
	v_mov_b32_e32 v7, 0
	ds_load_2addr_b64 v[158:161], v7 offset0:87 offset1:88
	ds_load_2addr_b64 v[162:165], v7 offset0:89 offset1:90
	;; [unrolled: 1-line block ×15, first 2 shown]
	ds_load_b64 v[222:223], v7 offset:760
	s_mov_b32 s0, exec_lo
	s_wait_dscnt 0xf
	v_dual_mov_b32 v224, v161 :: v_dual_mov_b32 v225, v160
	s_wait_dscnt 0xc
	v_dual_mov_b32 v226, v165 :: v_dual_mov_b32 v231, v172
	v_dual_mov_b32 v227, v164 :: v_dual_mov_b32 v228, v169
	;; [unrolled: 1-line block ×3, first 2 shown]
	s_wait_loadcnt_dscnt 0x100b
	v_dual_mul_f32 v9, v174, v99 :: v_dual_mul_f32 v51, v175, v99
	v_dual_mul_f32 v53, v177, v101 :: v_dual_mul_f32 v11, v176, v101
	s_wait_loadcnt_dscnt 0xf09
	v_mul_f32_e32 v13, v182, v103
	s_wait_loadcnt_dscnt 0xd07
	v_dual_mul_f32 v63, v191, v111 :: v_dual_fma_f32 v51, v174, v98, -v51
	v_dual_fmac_f32 v9, v175, v98 :: v_dual_mul_f32 v65, v193, v113
	v_dual_mul_f32 v55, v183, v103 :: v_dual_mul_f32 v57, v185, v105
	v_dual_fmac_f32 v11, v177, v100 :: v_dual_fma_f32 v53, v176, v100, -v53
	s_delay_alu instid0(VALU_DEP_3) | instskip(SKIP_3) | instid1(VALU_DEP_3)
	v_dual_add_f32 v9, 0, v9 :: v_dual_add_f32 v51, 0, v51
	v_dual_mul_f32 v15, v184, v105 :: v_dual_mul_f32 v17, v186, v107
	s_wait_loadcnt_dscnt 0xc06
	v_dual_mul_f32 v67, v195, v115 :: v_dual_fma_f32 v55, v182, v102, -v55
	v_dual_fmac_f32 v13, v183, v102 :: v_dual_add_f32 v9, v9, v11
	s_delay_alu instid0(VALU_DEP_3) | instskip(SKIP_2) | instid1(VALU_DEP_3)
	v_dual_add_f32 v11, v51, v53 :: v_dual_fmac_f32 v15, v185, v104
	v_dual_mul_f32 v59, v187, v107 :: v_dual_mul_f32 v61, v189, v109
	v_dual_mul_f32 v51, v197, v117 :: v_dual_fma_f32 v53, v184, v104, -v57
	v_dual_add_f32 v9, v9, v13 :: v_dual_add_f32 v11, v11, v55
	v_dual_mul_f32 v19, v188, v109 :: v_dual_mul_f32 v21, v190, v111
	s_wait_loadcnt_dscnt 0xb05
	v_dual_mul_f32 v13, v199, v119 :: v_dual_fma_f32 v55, v186, v106, -v59
	s_delay_alu instid0(VALU_DEP_3) | instskip(NEXT) | instid1(VALU_DEP_3)
	v_dual_fmac_f32 v17, v187, v106 :: v_dual_add_f32 v9, v9, v15
	v_dual_add_f32 v11, v11, v53 :: v_dual_fmac_f32 v19, v189, v108
	v_dual_mul_f32 v15, v201, v121 :: v_dual_fma_f32 v53, v188, v108, -v61
	s_delay_alu instid0(VALU_DEP_2) | instskip(SKIP_3) | instid1(VALU_DEP_3)
	v_dual_add_f32 v9, v9, v17 :: v_dual_add_f32 v11, v11, v55
	v_dual_mul_f32 v23, v192, v113 :: v_dual_mul_f32 v25, v194, v115
	s_wait_loadcnt_dscnt 0xa04
	v_dual_mul_f32 v17, v203, v123 :: v_dual_fma_f32 v55, v190, v110, -v63
	v_dual_fmac_f32 v21, v191, v110 :: v_dual_add_f32 v9, v9, v19
	s_delay_alu instid0(VALU_DEP_3) | instskip(SKIP_1) | instid1(VALU_DEP_2)
	v_dual_add_f32 v11, v11, v53 :: v_dual_fmac_f32 v23, v193, v112
	v_dual_mul_f32 v19, v205, v125 :: v_dual_fma_f32 v53, v192, v112, -v65
	v_dual_add_f32 v9, v9, v21 :: v_dual_add_f32 v11, v11, v55
	v_dual_mul_f32 v27, v196, v117 :: v_dual_mul_f32 v29, v198, v119
	s_wait_loadcnt_dscnt 0x903
	v_dual_mul_f32 v21, v207, v127 :: v_dual_fma_f32 v55, v194, v114, -v67
	s_delay_alu instid0(VALU_DEP_3) | instskip(NEXT) | instid1(VALU_DEP_3)
	v_dual_fmac_f32 v25, v195, v114 :: v_dual_add_f32 v9, v9, v23
	v_dual_add_f32 v11, v11, v53 :: v_dual_fmac_f32 v27, v197, v116
	v_dual_mul_f32 v23, v209, v129 :: v_dual_fma_f32 v51, v196, v116, -v51
	s_delay_alu instid0(VALU_DEP_2) | instskip(SKIP_3) | instid1(VALU_DEP_3)
	v_dual_add_f32 v9, v9, v25 :: v_dual_add_f32 v11, v11, v55
	v_dual_mul_f32 v31, v200, v121 :: v_dual_mul_f32 v33, v202, v123
	s_wait_loadcnt_dscnt 0x802
	v_dual_mul_f32 v25, v211, v131 :: v_dual_fma_f32 v13, v198, v118, -v13
	v_dual_fmac_f32 v29, v199, v118 :: v_dual_add_f32 v9, v9, v27
	v_dual_add_f32 v11, v11, v51 :: v_dual_mul_f32 v27, v213, v133
	v_fmac_f32_e32 v31, v201, v120
	s_delay_alu instid0(VALU_DEP_3) | instskip(NEXT) | instid1(VALU_DEP_3)
	v_dual_fma_f32 v15, v200, v120, -v15 :: v_dual_add_f32 v9, v9, v29
	v_add_f32_e32 v11, v11, v13
	v_dual_mul_f32 v35, v204, v125 :: v_dual_mul_f32 v37, v206, v127
	s_wait_loadcnt_dscnt 0x701
	v_dual_mul_f32 v13, v215, v135 :: v_dual_fma_f32 v17, v202, v122, -v17
	v_dual_fmac_f32 v33, v203, v122 :: v_dual_add_f32 v9, v9, v31
	v_dual_add_f32 v11, v11, v15 :: v_dual_mul_f32 v15, v217, v137
	v_fmac_f32_e32 v35, v205, v124
	s_delay_alu instid0(VALU_DEP_3) | instskip(NEXT) | instid1(VALU_DEP_3)
	v_dual_fma_f32 v19, v204, v124, -v19 :: v_dual_add_f32 v9, v9, v33
	v_add_f32_e32 v11, v11, v17
	v_dual_mul_f32 v39, v208, v129 :: v_dual_mul_f32 v41, v210, v131
	s_wait_loadcnt 0x6
	v_dual_mul_f32 v17, v179, v139 :: v_dual_fma_f32 v21, v206, v126, -v21
	v_dual_fmac_f32 v37, v207, v126 :: v_dual_add_f32 v9, v9, v35
	v_dual_add_f32 v11, v11, v19 :: v_dual_mul_f32 v19, v181, v141
	v_fmac_f32_e32 v39, v209, v128
	s_delay_alu instid0(VALU_DEP_3) | instskip(NEXT) | instid1(VALU_DEP_3)
	v_dual_fma_f32 v23, v208, v128, -v23 :: v_dual_add_f32 v9, v9, v37
	v_add_f32_e32 v11, v11, v21
	v_dual_mul_f32 v43, v212, v133 :: v_dual_mul_f32 v45, v214, v135
	s_wait_loadcnt 0x5
	v_dual_mul_f32 v21, v159, v143 :: v_dual_fma_f32 v25, v210, v130, -v25
	v_dual_fmac_f32 v41, v211, v130 :: v_dual_add_f32 v9, v9, v39
	v_dual_add_f32 v11, v11, v23 :: v_dual_mov_b32 v98, v145
	v_fmac_f32_e32 v43, v213, v132
	s_delay_alu instid0(VALU_DEP_3) | instskip(NEXT) | instid1(VALU_DEP_3)
	v_dual_fma_f32 v23, v212, v132, -v27 :: v_dual_add_f32 v9, v9, v41
	v_add_f32_e32 v11, v11, v25
	v_dual_mul_f32 v47, v216, v137 :: v_dual_mul_f32 v49, v178, v139
	s_delay_alu instid0(VALU_DEP_3) | instskip(NEXT) | instid1(VALU_DEP_3)
	v_dual_fmac_f32 v45, v215, v134 :: v_dual_add_f32 v9, v9, v43
	v_dual_fma_f32 v13, v214, v134, -v13 :: v_dual_add_f32 v11, v11, v23
	s_wait_loadcnt 0x4
	v_dual_mov_b32 v102, v149 :: v_dual_fma_f32 v15, v216, v136, -v15
	v_fmac_f32_e32 v47, v217, v136
	v_dual_add_f32 v9, v9, v45 :: v_dual_fmac_f32 v49, v179, v138
	v_add_f32_e32 v11, v11, v13
	v_dual_mul_f32 v233, v180, v141 :: v_dual_mul_f32 v235, v158, v143
	s_delay_alu instid0(VALU_DEP_3) | instskip(NEXT) | instid1(VALU_DEP_2)
	v_dual_fma_f32 v13, v178, v138, -v17 :: v_dual_add_f32 v9, v9, v47
	v_dual_add_f32 v11, v11, v15 :: v_dual_fmac_f32 v233, v181, v140
	v_fma_f32 v232, v180, v140, -v19
	v_pk_mul_f32 v[98:99], v[224:225], v[98:99] op_sel_hi:[1,0]
	s_delay_alu instid0(VALU_DEP_4)
	v_add_f32_e32 v107, v9, v49
	s_wait_loadcnt 0x3
	v_dual_add_f32 v106, v11, v13 :: v_dual_mov_b32 v108, v153
	v_pk_mul_f32 v[100:101], v[162:163], v[146:147] op_sel:[1,1] op_sel_hi:[0,1]
	v_dual_fmac_f32 v235, v159, v142 :: v_dual_fma_f32 v234, v158, v142, -v21
	v_pk_fma_f32 v[110:111], v[160:161], v[144:145], v[98:99] op_sel_hi:[1,0,1]
	s_delay_alu instid0(VALU_DEP_4)
	v_pk_add_f32 v[106:107], v[106:107], v[232:233]
	v_pk_fma_f32 v[98:99], v[160:161], v[144:145], v[98:99] neg_lo:[0,0,1] neg_hi:[0,0,1]
	v_pk_fma_f32 v[112:113], v[162:163], v[146:147], v[100:101] op_sel_hi:[1,0,1]
	v_pk_mul_f32 v[102:103], v[226:227], v[102:103] op_sel_hi:[1,0]
	v_mov_b32_e32 v99, v111
	v_pk_add_f32 v[106:107], v[106:107], v[234:235]
	v_pk_fma_f32 v[100:101], v[162:163], v[146:147], v[100:101] neg_lo:[0,0,1] neg_hi:[0,0,1]
	v_pk_mul_f32 v[104:105], v[166:167], v[150:151] op_sel:[1,1] op_sel_hi:[0,1]
	v_mov_b32_e32 v101, v113
	v_pk_fma_f32 v[112:113], v[164:165], v[148:149], v[102:103] op_sel_hi:[1,0,1]
	v_pk_add_f32 v[98:99], v[106:107], v[98:99]
	v_pk_fma_f32 v[102:103], v[164:165], v[148:149], v[102:103] neg_lo:[0,0,1] neg_hi:[0,0,1]
	v_pk_fma_f32 v[106:107], v[166:167], v[150:151], v[104:105] op_sel_hi:[1,0,1]
	v_pk_mul_f32 v[108:109], v[228:229], v[108:109] op_sel_hi:[1,0]
	v_mov_b32_e32 v103, v113
	v_pk_add_f32 v[98:99], v[98:99], v[100:101]
	v_pk_fma_f32 v[104:105], v[166:167], v[150:151], v[104:105] neg_lo:[0,0,1] neg_hi:[0,0,1]
	s_wait_loadcnt 0x2
	v_pk_mul_f32 v[110:111], v[170:171], v[154:155] op_sel:[1,1] op_sel_hi:[0,1]
	v_dual_mov_b32 v100, v157 :: v_dual_mov_b32 v105, v107
	v_pk_fma_f32 v[106:107], v[168:169], v[152:153], v[108:109] op_sel_hi:[1,0,1]
	v_pk_add_f32 v[98:99], v[98:99], v[102:103]
	v_pk_fma_f32 v[108:109], v[168:169], v[152:153], v[108:109] neg_lo:[0,0,1] neg_hi:[0,0,1]
	v_pk_fma_f32 v[102:103], v[170:171], v[154:155], v[110:111] op_sel_hi:[1,0,1]
	v_pk_mul_f32 v[100:101], v[230:231], v[100:101] op_sel_hi:[1,0]
	v_mov_b32_e32 v109, v107
	v_pk_add_f32 v[98:99], v[98:99], v[104:105]
	v_pk_fma_f32 v[104:105], v[170:171], v[154:155], v[110:111] neg_lo:[0,0,1] neg_hi:[0,0,1]
	v_mov_b32_e32 v105, v103
	v_pk_fma_f32 v[102:103], v[172:173], v[156:157], v[100:101] op_sel_hi:[1,0,1]
	s_wait_loadcnt_dscnt 0x100
	v_pk_mul_f32 v[106:107], v[222:223], v[218:219] op_sel:[1,1] op_sel_hi:[0,1]
	v_pk_add_f32 v[98:99], v[98:99], v[108:109]
	v_pk_fma_f32 v[100:101], v[172:173], v[156:157], v[100:101] neg_lo:[0,0,1] neg_hi:[0,0,1]
	v_mov_b32_e32 v101, v103
	s_delay_alu instid0(VALU_DEP_4) | instskip(NEXT) | instid1(VALU_DEP_4)
	v_pk_fma_f32 v[102:103], v[222:223], v[218:219], v[106:107] op_sel_hi:[1,0,1]
	v_pk_add_f32 v[98:99], v[98:99], v[104:105]
	v_pk_fma_f32 v[104:105], v[222:223], v[218:219], v[106:107] neg_lo:[0,0,1] neg_hi:[0,0,1]
	s_delay_alu instid0(VALU_DEP_3) | instskip(NEXT) | instid1(VALU_DEP_3)
	v_mov_b32_e32 v105, v103
	v_pk_add_f32 v[98:99], v[98:99], v[100:101]
	s_delay_alu instid0(VALU_DEP_1) | instskip(SKIP_1) | instid1(VALU_DEP_1)
	v_pk_add_f32 v[98:99], v[98:99], v[104:105]
	s_wait_loadcnt 0x0
	v_pk_add_f32 v[98:99], v[220:221], v[98:99] neg_lo:[0,1] neg_hi:[0,1]
	scratch_store_b64 off, v[98:99], off offset:128
	s_wait_xcnt 0x0
	v_cmpx_lt_u32_e32 15, v0
	s_cbranch_execz .LBB111_271
; %bb.270:
	scratch_load_b64 v[98:99], off, off offset:120
	v_mov_b64_e32 v[100:101], 0
	scratch_store_b64 off, v[100:101], off offset:120
	s_wait_loadcnt 0x0
	ds_store_b64 v1, v[98:99]
.LBB111_271:
	s_wait_xcnt 0x0
	s_or_b32 exec_lo, exec_lo, s0
	s_wait_storecnt_dscnt 0x0
	s_barrier_signal -1
	s_barrier_wait -1
	s_clause 0x10
	scratch_load_b128 v[98:101], off, off offset:128
	scratch_load_b128 v[102:105], off, off offset:144
	scratch_load_b128 v[106:109], off, off offset:160
	scratch_load_b128 v[110:113], off, off offset:176
	scratch_load_b128 v[114:117], off, off offset:192
	scratch_load_b128 v[118:121], off, off offset:208
	scratch_load_b128 v[122:125], off, off offset:224
	scratch_load_b128 v[126:129], off, off offset:240
	scratch_load_b128 v[130:133], off, off offset:256
	scratch_load_b128 v[134:137], off, off offset:272
	scratch_load_b128 v[138:141], off, off offset:288
	scratch_load_b128 v[142:145], off, off offset:304
	scratch_load_b128 v[146:149], off, off offset:320
	scratch_load_b128 v[150:153], off, off offset:336
	scratch_load_b128 v[154:157], off, off offset:352
	scratch_load_b128 v[158:161], off, off offset:368
	scratch_load_b64 v[226:227], off, off offset:120
	ds_load_b128 v[162:165], v7 offset:704
	ds_load_b128 v[166:169], v7 offset:720
	;; [unrolled: 1-line block ×16, first 2 shown]
	s_mov_b32 s0, exec_lo
	s_wait_dscnt 0xf
	v_dual_mov_b32 v228, v165 :: v_dual_mov_b32 v229, v164
	s_wait_dscnt 0xe
	v_dual_mov_b32 v230, v169 :: v_dual_mov_b32 v231, v168
	;; [unrolled: 2-line block ×4, first 2 shown]
	s_wait_loadcnt_dscnt 0x100b
	v_dual_mul_f32 v7, v178, v99 :: v_dual_mul_f32 v9, v180, v101
	v_dual_mul_f32 v51, v179, v99 :: v_dual_mul_f32 v53, v181, v101
	s_wait_loadcnt_dscnt 0xf0a
	v_dual_mul_f32 v11, v182, v103 :: v_dual_mul_f32 v13, v184, v105
	s_delay_alu instid0(VALU_DEP_3) | instskip(SKIP_3) | instid1(VALU_DEP_3)
	v_dual_fmac_f32 v7, v179, v98 :: v_dual_fmac_f32 v9, v181, v100
	s_wait_loadcnt_dscnt 0xd08
	v_dual_fma_f32 v51, v178, v98, -v51 :: v_dual_mul_f32 v63, v191, v111
	v_dual_mul_f32 v55, v183, v103 :: v_dual_mul_f32 v57, v185, v105
	v_dual_fma_f32 v53, v180, v100, -v53 :: v_dual_add_f32 v7, 0, v7
	s_delay_alu instid0(VALU_DEP_3) | instskip(SKIP_1) | instid1(VALU_DEP_3)
	v_dual_add_f32 v51, 0, v51 :: v_dual_mul_f32 v65, v193, v113
	v_dual_fmac_f32 v11, v183, v102 :: v_dual_fmac_f32 v13, v185, v104
	v_dual_fma_f32 v55, v182, v102, -v55 :: v_dual_add_f32 v7, v7, v9
	s_delay_alu instid0(VALU_DEP_3) | instskip(SKIP_2) | instid1(VALU_DEP_4)
	v_dual_add_f32 v9, v51, v53 :: v_dual_fma_f32 v53, v184, v104, -v57
	v_dual_mul_f32 v15, v186, v107 :: v_dual_mul_f32 v17, v188, v109
	v_dual_mul_f32 v59, v187, v107 :: v_dual_mul_f32 v61, v189, v109
	v_add_f32_e32 v7, v7, v11
	s_delay_alu instid0(VALU_DEP_3) | instskip(NEXT) | instid1(VALU_DEP_3)
	v_dual_add_f32 v9, v9, v55 :: v_dual_fmac_f32 v15, v187, v106
	v_fma_f32 v55, v186, v106, -v59
	v_dual_mul_f32 v19, v190, v111 :: v_dual_mul_f32 v21, v192, v113
	s_delay_alu instid0(VALU_DEP_4) | instskip(SKIP_2) | instid1(VALU_DEP_2)
	v_dual_add_f32 v7, v7, v13 :: v_dual_fmac_f32 v17, v189, v108
	s_wait_loadcnt_dscnt 0xb06
	v_dual_add_f32 v9, v9, v53 :: v_dual_mul_f32 v13, v199, v119
	v_dual_fma_f32 v53, v188, v108, -v61 :: v_dual_add_f32 v7, v7, v15
	v_mul_f32_e32 v15, v201, v121
	s_delay_alu instid0(VALU_DEP_3) | instskip(NEXT) | instid1(VALU_DEP_3)
	v_dual_add_f32 v9, v9, v55 :: v_dual_fmac_f32 v19, v191, v110
	v_dual_fma_f32 v55, v190, v110, -v63 :: v_dual_add_f32 v7, v7, v17
	v_fmac_f32_e32 v21, v193, v112
	s_wait_loadcnt_dscnt 0xa05
	s_delay_alu instid0(VALU_DEP_3) | instskip(SKIP_3) | instid1(VALU_DEP_3)
	v_dual_add_f32 v9, v9, v53 :: v_dual_mul_f32 v17, v203, v123
	v_dual_mul_f32 v23, v194, v115 :: v_dual_mul_f32 v25, v196, v117
	v_dual_mul_f32 v51, v195, v115 :: v_dual_mul_f32 v11, v197, v117
	v_dual_fma_f32 v53, v192, v112, -v65 :: v_dual_add_f32 v7, v7, v19
	v_dual_add_f32 v9, v9, v55 :: v_dual_fmac_f32 v23, v195, v114
	s_delay_alu instid0(VALU_DEP_3) | instskip(NEXT) | instid1(VALU_DEP_3)
	v_dual_mul_f32 v19, v205, v125 :: v_dual_fma_f32 v51, v194, v114, -v51
	v_dual_add_f32 v7, v7, v21 :: v_dual_fmac_f32 v25, v197, v116
	s_wait_loadcnt_dscnt 0x904
	s_delay_alu instid0(VALU_DEP_3) | instskip(SKIP_1) | instid1(VALU_DEP_3)
	v_dual_add_f32 v9, v9, v53 :: v_dual_mul_f32 v21, v207, v127
	v_dual_mul_f32 v27, v198, v119 :: v_dual_mul_f32 v29, v200, v121
	v_dual_fma_f32 v11, v196, v116, -v11 :: v_dual_add_f32 v7, v7, v23
	s_delay_alu instid0(VALU_DEP_2) | instskip(SKIP_1) | instid1(VALU_DEP_2)
	v_dual_add_f32 v9, v9, v51 :: v_dual_fmac_f32 v27, v199, v118
	v_dual_mul_f32 v23, v209, v129 :: v_dual_fma_f32 v13, v198, v118, -v13
	v_dual_add_f32 v7, v7, v25 :: v_dual_add_f32 v9, v9, v11
	v_dual_mul_f32 v31, v202, v123 :: v_dual_mul_f32 v33, v204, v125
	s_wait_loadcnt_dscnt 0x803
	v_dual_mul_f32 v11, v211, v131 :: v_dual_fmac_f32 v29, v201, v120
	s_delay_alu instid0(VALU_DEP_3) | instskip(NEXT) | instid1(VALU_DEP_3)
	v_dual_fma_f32 v15, v200, v120, -v15 :: v_dual_add_f32 v7, v7, v27
	v_dual_add_f32 v9, v9, v13 :: v_dual_fmac_f32 v31, v203, v122
	v_dual_mul_f32 v13, v213, v133 :: v_dual_fma_f32 v17, v202, v122, -v17
	s_delay_alu instid0(VALU_DEP_2) | instskip(SKIP_3) | instid1(VALU_DEP_3)
	v_dual_add_f32 v7, v7, v29 :: v_dual_add_f32 v9, v9, v15
	v_dual_mul_f32 v35, v206, v127 :: v_dual_mul_f32 v37, v208, v129
	s_wait_loadcnt_dscnt 0x702
	v_dual_mul_f32 v15, v215, v135 :: v_dual_fmac_f32 v33, v205, v124
	v_dual_fma_f32 v19, v204, v124, -v19 :: v_dual_add_f32 v7, v7, v31
	s_delay_alu instid0(VALU_DEP_3) | instskip(SKIP_1) | instid1(VALU_DEP_2)
	v_dual_add_f32 v9, v9, v17 :: v_dual_fmac_f32 v35, v207, v126
	v_dual_mul_f32 v17, v217, v137 :: v_dual_fma_f32 v21, v206, v126, -v21
	v_dual_add_f32 v7, v7, v33 :: v_dual_add_f32 v9, v9, v19
	v_dual_mul_f32 v39, v210, v131 :: v_dual_mul_f32 v41, v212, v133
	s_wait_loadcnt_dscnt 0x601
	v_dual_mul_f32 v19, v219, v139 :: v_dual_fmac_f32 v37, v209, v128
	s_delay_alu instid0(VALU_DEP_3) | instskip(NEXT) | instid1(VALU_DEP_3)
	v_dual_fma_f32 v23, v208, v128, -v23 :: v_dual_add_f32 v7, v7, v35
	v_dual_add_f32 v9, v9, v21 :: v_dual_fmac_f32 v39, v211, v130
	v_dual_mul_f32 v21, v221, v141 :: v_dual_fma_f32 v11, v210, v130, -v11
	s_delay_alu instid0(VALU_DEP_2) | instskip(SKIP_3) | instid1(VALU_DEP_3)
	v_dual_add_f32 v7, v7, v37 :: v_dual_add_f32 v9, v9, v23
	v_dual_mul_f32 v43, v214, v135 :: v_dual_mul_f32 v45, v216, v137
	s_wait_loadcnt_dscnt 0x500
	v_dual_mul_f32 v23, v223, v143 :: v_dual_fmac_f32 v41, v213, v132
	v_dual_fma_f32 v13, v212, v132, -v13 :: v_dual_add_f32 v7, v7, v39
	s_delay_alu instid0(VALU_DEP_3) | instskip(SKIP_1) | instid1(VALU_DEP_3)
	v_dual_add_f32 v9, v9, v11 :: v_dual_fmac_f32 v43, v215, v134
	v_dual_mul_f32 v11, v225, v145 :: v_dual_fma_f32 v15, v214, v134, -v15
	v_dual_add_f32 v7, v7, v41 :: v_dual_fmac_f32 v45, v217, v136
	s_delay_alu instid0(VALU_DEP_3) | instskip(SKIP_2) | instid1(VALU_DEP_3)
	v_dual_add_f32 v9, v9, v13 :: v_dual_fma_f32 v13, v216, v136, -v17
	v_dual_mul_f32 v47, v218, v139 :: v_dual_mul_f32 v49, v220, v141
	s_wait_loadcnt 0x4
	v_dual_add_f32 v7, v7, v43 :: v_dual_mov_b32 v100, v149
	s_delay_alu instid0(VALU_DEP_2) | instskip(NEXT) | instid1(VALU_DEP_2)
	v_dual_add_f32 v9, v9, v15 :: v_dual_fmac_f32 v47, v219, v138
	v_dual_fma_f32 v15, v218, v138, -v19 :: v_dual_add_f32 v7, v7, v45
	v_dual_mul_f32 v237, v222, v143 :: v_dual_mul_f32 v239, v224, v145
	s_delay_alu instid0(VALU_DEP_3) | instskip(NEXT) | instid1(VALU_DEP_3)
	v_dual_add_f32 v9, v9, v13 :: v_dual_fma_f32 v13, v220, v140, -v21
	v_dual_fmac_f32 v49, v221, v140 :: v_dual_add_f32 v7, v7, v47
	v_pk_mul_f32 v[98:99], v[162:163], v[146:147] op_sel:[1,1] op_sel_hi:[0,1]
	s_delay_alu instid0(VALU_DEP_3) | instskip(SKIP_3) | instid1(VALU_DEP_3)
	v_dual_add_f32 v9, v9, v15 :: v_dual_fmac_f32 v237, v223, v142
	s_wait_loadcnt 0x3
	v_dual_mov_b32 v104, v153 :: v_dual_fma_f32 v236, v222, v142, -v23
	v_dual_add_f32 v107, v7, v49 :: v_dual_fmac_f32 v239, v225, v144
	v_dual_add_f32 v106, v9, v13 :: v_dual_fma_f32 v238, v224, v144, -v11
	v_pk_fma_f32 v[108:109], v[162:163], v[146:147], v[98:99] op_sel_hi:[1,0,1]
	v_pk_mul_f32 v[100:101], v[228:229], v[100:101] op_sel_hi:[1,0]
	v_pk_fma_f32 v[98:99], v[162:163], v[146:147], v[98:99] neg_lo:[0,0,1] neg_hi:[0,0,1]
	s_delay_alu instid0(VALU_DEP_4)
	v_pk_add_f32 v[106:107], v[106:107], v[236:237]
	v_pk_mul_f32 v[102:103], v[166:167], v[150:151] op_sel:[1,1] op_sel_hi:[0,1]
	v_mov_b32_e32 v99, v109
	v_pk_fma_f32 v[108:109], v[164:165], v[148:149], v[100:101] op_sel_hi:[1,0,1]
	v_pk_fma_f32 v[100:101], v[164:165], v[148:149], v[100:101] neg_lo:[0,0,1] neg_hi:[0,0,1]
	v_pk_add_f32 v[106:107], v[106:107], v[238:239]
	v_pk_fma_f32 v[112:113], v[166:167], v[150:151], v[102:103] op_sel_hi:[1,0,1]
	v_pk_mul_f32 v[104:105], v[230:231], v[104:105] op_sel_hi:[1,0]
	v_mov_b32_e32 v101, v109
	s_wait_loadcnt 0x2
	v_pk_mul_f32 v[110:111], v[170:171], v[154:155] op_sel:[1,1] op_sel_hi:[0,1]
	v_pk_add_f32 v[98:99], v[106:107], v[98:99]
	v_mov_b32_e32 v106, v157
	v_pk_fma_f32 v[102:103], v[166:167], v[150:151], v[102:103] neg_lo:[0,0,1] neg_hi:[0,0,1]
	v_mov_b32_e32 v103, v113
	v_pk_fma_f32 v[108:109], v[168:169], v[152:153], v[104:105] op_sel_hi:[1,0,1]
	v_pk_add_f32 v[98:99], v[98:99], v[100:101]
	v_pk_fma_f32 v[100:101], v[170:171], v[154:155], v[110:111] op_sel_hi:[1,0,1]
	v_pk_mul_f32 v[106:107], v[232:233], v[106:107] op_sel_hi:[1,0]
	v_pk_fma_f32 v[104:105], v[168:169], v[152:153], v[104:105] neg_lo:[0,0,1] neg_hi:[0,0,1]
	v_mov_b32_e32 v105, v109
	v_pk_add_f32 v[98:99], v[98:99], v[102:103]
	v_pk_fma_f32 v[108:109], v[170:171], v[154:155], v[110:111] neg_lo:[0,0,1] neg_hi:[0,0,1]
	v_mov_b32_e32 v109, v101
	v_pk_fma_f32 v[100:101], v[172:173], v[156:157], v[106:107] op_sel_hi:[1,0,1]
	s_wait_loadcnt 0x1
	v_pk_mul_f32 v[102:103], v[174:175], v[158:159] op_sel:[1,1] op_sel_hi:[0,1]
	v_pk_add_f32 v[98:99], v[98:99], v[104:105]
	v_mov_b32_e32 v100, v161
	v_pk_fma_f32 v[106:107], v[172:173], v[156:157], v[106:107] neg_lo:[0,0,1] neg_hi:[0,0,1]
	v_mov_b32_e32 v107, v101
	v_pk_fma_f32 v[104:105], v[174:175], v[158:159], v[102:103] op_sel_hi:[1,0,1]
	v_pk_add_f32 v[98:99], v[98:99], v[108:109]
	v_pk_mul_f32 v[100:101], v[234:235], v[100:101] op_sel_hi:[1,0]
	v_pk_fma_f32 v[102:103], v[174:175], v[158:159], v[102:103] neg_lo:[0,0,1] neg_hi:[0,0,1]
	s_delay_alu instid0(VALU_DEP_4) | instskip(NEXT) | instid1(VALU_DEP_4)
	v_mov_b32_e32 v103, v105
	v_pk_add_f32 v[98:99], v[98:99], v[106:107]
	s_delay_alu instid0(VALU_DEP_4) | instskip(SKIP_1) | instid1(VALU_DEP_2)
	v_pk_fma_f32 v[104:105], v[176:177], v[160:161], v[100:101] op_sel_hi:[1,0,1]
	v_pk_fma_f32 v[100:101], v[176:177], v[160:161], v[100:101] neg_lo:[0,0,1] neg_hi:[0,0,1]
	v_mov_b32_e32 v101, v105
	s_delay_alu instid0(VALU_DEP_4) | instskip(NEXT) | instid1(VALU_DEP_1)
	v_pk_add_f32 v[98:99], v[98:99], v[102:103]
	v_pk_add_f32 v[98:99], v[98:99], v[100:101]
	s_wait_loadcnt 0x0
	s_delay_alu instid0(VALU_DEP_1)
	v_pk_add_f32 v[98:99], v[226:227], v[98:99] neg_lo:[0,1] neg_hi:[0,1]
	scratch_store_b64 off, v[98:99], off offset:120
	s_wait_xcnt 0x0
	v_cmpx_lt_u32_e32 14, v0
	s_cbranch_execz .LBB111_273
; %bb.272:
	scratch_load_b64 v[98:99], off, off offset:112
	v_mov_b64_e32 v[100:101], 0
	scratch_store_b64 off, v[100:101], off offset:112
	s_wait_loadcnt 0x0
	ds_store_b64 v1, v[98:99]
.LBB111_273:
	s_wait_xcnt 0x0
	s_or_b32 exec_lo, exec_lo, s0
	s_wait_storecnt_dscnt 0x0
	s_barrier_signal -1
	s_barrier_wait -1
	s_clause 0x11
	scratch_load_b128 v[98:101], off, off offset:120
	scratch_load_b128 v[102:105], off, off offset:136
	;; [unrolled: 1-line block ×16, first 2 shown]
	scratch_load_b64 v[226:227], off, off offset:376
	scratch_load_b64 v[228:229], off, off offset:112
	v_mov_b32_e32 v7, 0
	ds_load_2addr_b64 v[162:165], v7 offset0:87 offset1:88
	ds_load_2addr_b64 v[166:169], v7 offset0:89 offset1:90
	;; [unrolled: 1-line block ×16, first 2 shown]
	ds_load_b64 v[230:231], v7 offset:760
	s_mov_b32 s0, exec_lo
	s_wait_dscnt 0x10
	v_dual_mov_b32 v232, v165 :: v_dual_mov_b32 v233, v164
	s_wait_dscnt 0xd
	v_dual_mov_b32 v234, v169 :: v_dual_mov_b32 v239, v176
	v_dual_mov_b32 v235, v168 :: v_dual_mov_b32 v236, v173
	;; [unrolled: 1-line block ×3, first 2 shown]
	s_wait_loadcnt_dscnt 0x110c
	v_dual_mul_f32 v9, v178, v99 :: v_dual_mul_f32 v55, v179, v99
	v_dual_mul_f32 v57, v181, v101 :: v_dual_mul_f32 v11, v180, v101
	s_wait_loadcnt_dscnt 0x100b
	v_mul_f32_e32 v13, v182, v103
	s_wait_loadcnt_dscnt 0xe09
	v_dual_mul_f32 v67, v191, v111 :: v_dual_fma_f32 v55, v178, v98, -v55
	v_dual_fmac_f32 v9, v179, v98 :: v_dual_mul_f32 v69, v193, v113
	v_dual_mul_f32 v59, v183, v103 :: v_dual_mul_f32 v61, v185, v105
	v_dual_fmac_f32 v11, v181, v100 :: v_dual_fma_f32 v57, v180, v100, -v57
	s_delay_alu instid0(VALU_DEP_3) | instskip(SKIP_3) | instid1(VALU_DEP_3)
	v_dual_add_f32 v9, 0, v9 :: v_dual_add_f32 v55, 0, v55
	v_dual_mul_f32 v15, v184, v105 :: v_dual_mul_f32 v17, v186, v107
	s_wait_loadcnt_dscnt 0xd08
	v_dual_mul_f32 v71, v195, v115 :: v_dual_fma_f32 v59, v182, v102, -v59
	v_dual_fmac_f32 v13, v183, v102 :: v_dual_add_f32 v9, v9, v11
	s_delay_alu instid0(VALU_DEP_3) | instskip(SKIP_2) | instid1(VALU_DEP_3)
	v_dual_add_f32 v11, v55, v57 :: v_dual_fmac_f32 v15, v185, v104
	v_dual_mul_f32 v63, v187, v107 :: v_dual_mul_f32 v65, v189, v109
	v_dual_mul_f32 v55, v197, v117 :: v_dual_fma_f32 v57, v184, v104, -v61
	v_dual_add_f32 v9, v9, v13 :: v_dual_add_f32 v11, v11, v59
	v_dual_mul_f32 v19, v188, v109 :: v_dual_mul_f32 v21, v190, v111
	s_wait_loadcnt_dscnt 0xc07
	v_dual_mul_f32 v13, v199, v119 :: v_dual_fma_f32 v59, v186, v106, -v63
	s_delay_alu instid0(VALU_DEP_3) | instskip(NEXT) | instid1(VALU_DEP_3)
	v_dual_fmac_f32 v17, v187, v106 :: v_dual_add_f32 v9, v9, v15
	v_dual_add_f32 v11, v11, v57 :: v_dual_fmac_f32 v19, v189, v108
	v_dual_mul_f32 v15, v201, v121 :: v_dual_fma_f32 v57, v188, v108, -v65
	s_delay_alu instid0(VALU_DEP_2) | instskip(SKIP_3) | instid1(VALU_DEP_3)
	v_dual_add_f32 v9, v9, v17 :: v_dual_add_f32 v11, v11, v59
	v_dual_mul_f32 v23, v192, v113 :: v_dual_mul_f32 v25, v194, v115
	s_wait_loadcnt_dscnt 0xb06
	v_dual_mul_f32 v17, v203, v123 :: v_dual_fma_f32 v59, v190, v110, -v67
	v_dual_fmac_f32 v21, v191, v110 :: v_dual_add_f32 v9, v9, v19
	s_delay_alu instid0(VALU_DEP_3) | instskip(SKIP_1) | instid1(VALU_DEP_2)
	v_dual_add_f32 v11, v11, v57 :: v_dual_fmac_f32 v23, v193, v112
	v_dual_mul_f32 v19, v205, v125 :: v_dual_fma_f32 v57, v192, v112, -v69
	v_dual_add_f32 v9, v9, v21 :: v_dual_add_f32 v11, v11, v59
	v_dual_mul_f32 v27, v196, v117 :: v_dual_mul_f32 v29, v198, v119
	s_wait_loadcnt_dscnt 0xa05
	v_dual_mul_f32 v21, v207, v127 :: v_dual_fma_f32 v59, v194, v114, -v71
	s_delay_alu instid0(VALU_DEP_3) | instskip(NEXT) | instid1(VALU_DEP_3)
	v_dual_fmac_f32 v25, v195, v114 :: v_dual_add_f32 v9, v9, v23
	v_dual_add_f32 v11, v11, v57 :: v_dual_fmac_f32 v27, v197, v116
	v_dual_mul_f32 v23, v209, v129 :: v_dual_fma_f32 v55, v196, v116, -v55
	s_delay_alu instid0(VALU_DEP_2) | instskip(SKIP_3) | instid1(VALU_DEP_3)
	v_dual_add_f32 v9, v9, v25 :: v_dual_add_f32 v11, v11, v59
	v_dual_mul_f32 v31, v200, v121 :: v_dual_mul_f32 v33, v202, v123
	s_wait_loadcnt_dscnt 0x904
	v_dual_mul_f32 v25, v211, v131 :: v_dual_fma_f32 v13, v198, v118, -v13
	v_dual_fmac_f32 v29, v199, v118 :: v_dual_add_f32 v9, v9, v27
	v_dual_add_f32 v11, v11, v55 :: v_dual_mul_f32 v27, v213, v133
	v_fmac_f32_e32 v31, v201, v120
	s_delay_alu instid0(VALU_DEP_3) | instskip(NEXT) | instid1(VALU_DEP_3)
	v_dual_fma_f32 v15, v200, v120, -v15 :: v_dual_add_f32 v9, v9, v29
	v_add_f32_e32 v11, v11, v13
	v_dual_mul_f32 v35, v204, v125 :: v_dual_mul_f32 v37, v206, v127
	s_wait_loadcnt_dscnt 0x803
	v_dual_mul_f32 v13, v215, v135 :: v_dual_fma_f32 v17, v202, v122, -v17
	v_dual_fmac_f32 v33, v203, v122 :: v_dual_add_f32 v9, v9, v31
	v_dual_add_f32 v11, v11, v15 :: v_dual_mul_f32 v15, v217, v137
	v_fmac_f32_e32 v35, v205, v124
	s_delay_alu instid0(VALU_DEP_3) | instskip(NEXT) | instid1(VALU_DEP_3)
	v_dual_fma_f32 v19, v204, v124, -v19 :: v_dual_add_f32 v9, v9, v33
	v_add_f32_e32 v11, v11, v17
	;; [unrolled: 9-line block ×4, first 2 shown]
	v_dual_mul_f32 v47, v216, v137 :: v_dual_mul_f32 v49, v218, v139
	s_wait_loadcnt 0x5
	v_dual_mul_f32 v25, v163, v147 :: v_dual_fma_f32 v13, v214, v134, -v13
	v_dual_fmac_f32 v45, v215, v134 :: v_dual_add_f32 v9, v9, v43
	v_dual_add_f32 v11, v11, v27 :: v_dual_mov_b32 v98, v149
	v_fmac_f32_e32 v47, v217, v136
	s_delay_alu instid0(VALU_DEP_3) | instskip(NEXT) | instid1(VALU_DEP_3)
	v_dual_fma_f32 v15, v216, v136, -v15 :: v_dual_add_f32 v9, v9, v45
	v_add_f32_e32 v11, v11, v13
	v_dual_mul_f32 v51, v220, v141 :: v_dual_mul_f32 v53, v222, v143
	s_delay_alu instid0(VALU_DEP_3) | instskip(NEXT) | instid1(VALU_DEP_3)
	v_dual_fmac_f32 v49, v219, v138 :: v_dual_add_f32 v9, v9, v47
	v_dual_fma_f32 v13, v218, v138, -v17 :: v_dual_add_f32 v11, v11, v15
	s_wait_loadcnt 0x4
	v_dual_mov_b32 v102, v153 :: v_dual_fma_f32 v15, v220, v140, -v19
	v_fmac_f32_e32 v51, v221, v140
	v_dual_add_f32 v9, v9, v49 :: v_dual_fmac_f32 v53, v223, v142
	v_add_f32_e32 v11, v11, v13
	v_dual_mul_f32 v241, v224, v145 :: v_dual_mul_f32 v243, v162, v147
	s_delay_alu instid0(VALU_DEP_3) | instskip(NEXT) | instid1(VALU_DEP_2)
	v_dual_fma_f32 v13, v222, v142, -v21 :: v_dual_add_f32 v9, v9, v51
	v_dual_add_f32 v11, v11, v15 :: v_dual_fmac_f32 v241, v225, v144
	v_fma_f32 v240, v224, v144, -v23
	v_pk_mul_f32 v[98:99], v[232:233], v[98:99] op_sel_hi:[1,0]
	s_delay_alu instid0(VALU_DEP_4)
	v_add_f32_e32 v107, v9, v53
	s_wait_loadcnt 0x3
	v_dual_add_f32 v106, v11, v13 :: v_dual_mov_b32 v108, v157
	v_pk_mul_f32 v[100:101], v[166:167], v[150:151] op_sel:[1,1] op_sel_hi:[0,1]
	v_dual_fmac_f32 v243, v163, v146 :: v_dual_fma_f32 v242, v162, v146, -v25
	v_pk_fma_f32 v[110:111], v[164:165], v[148:149], v[98:99] op_sel_hi:[1,0,1]
	s_delay_alu instid0(VALU_DEP_4)
	v_pk_add_f32 v[106:107], v[106:107], v[240:241]
	v_pk_fma_f32 v[98:99], v[164:165], v[148:149], v[98:99] neg_lo:[0,0,1] neg_hi:[0,0,1]
	v_pk_fma_f32 v[112:113], v[166:167], v[150:151], v[100:101] op_sel_hi:[1,0,1]
	v_pk_mul_f32 v[102:103], v[234:235], v[102:103] op_sel_hi:[1,0]
	v_mov_b32_e32 v99, v111
	v_pk_add_f32 v[106:107], v[106:107], v[242:243]
	v_pk_fma_f32 v[100:101], v[166:167], v[150:151], v[100:101] neg_lo:[0,0,1] neg_hi:[0,0,1]
	v_pk_mul_f32 v[104:105], v[170:171], v[154:155] op_sel:[1,1] op_sel_hi:[0,1]
	v_mov_b32_e32 v101, v113
	v_pk_fma_f32 v[112:113], v[168:169], v[152:153], v[102:103] op_sel_hi:[1,0,1]
	v_pk_add_f32 v[98:99], v[106:107], v[98:99]
	v_pk_fma_f32 v[102:103], v[168:169], v[152:153], v[102:103] neg_lo:[0,0,1] neg_hi:[0,0,1]
	v_pk_fma_f32 v[106:107], v[170:171], v[154:155], v[104:105] op_sel_hi:[1,0,1]
	v_pk_mul_f32 v[108:109], v[236:237], v[108:109] op_sel_hi:[1,0]
	v_mov_b32_e32 v103, v113
	v_pk_add_f32 v[98:99], v[98:99], v[100:101]
	v_pk_fma_f32 v[104:105], v[170:171], v[154:155], v[104:105] neg_lo:[0,0,1] neg_hi:[0,0,1]
	s_wait_loadcnt 0x2
	v_pk_mul_f32 v[110:111], v[174:175], v[158:159] op_sel:[1,1] op_sel_hi:[0,1]
	v_dual_mov_b32 v100, v161 :: v_dual_mov_b32 v105, v107
	v_pk_fma_f32 v[106:107], v[172:173], v[156:157], v[108:109] op_sel_hi:[1,0,1]
	v_pk_add_f32 v[98:99], v[98:99], v[102:103]
	v_pk_fma_f32 v[108:109], v[172:173], v[156:157], v[108:109] neg_lo:[0,0,1] neg_hi:[0,0,1]
	v_pk_fma_f32 v[102:103], v[174:175], v[158:159], v[110:111] op_sel_hi:[1,0,1]
	v_pk_mul_f32 v[100:101], v[238:239], v[100:101] op_sel_hi:[1,0]
	v_mov_b32_e32 v109, v107
	v_pk_add_f32 v[98:99], v[98:99], v[104:105]
	v_pk_fma_f32 v[104:105], v[174:175], v[158:159], v[110:111] neg_lo:[0,0,1] neg_hi:[0,0,1]
	v_mov_b32_e32 v105, v103
	v_pk_fma_f32 v[102:103], v[176:177], v[160:161], v[100:101] op_sel_hi:[1,0,1]
	s_wait_loadcnt_dscnt 0x100
	v_pk_mul_f32 v[106:107], v[230:231], v[226:227] op_sel:[1,1] op_sel_hi:[0,1]
	v_pk_add_f32 v[98:99], v[98:99], v[108:109]
	v_pk_fma_f32 v[100:101], v[176:177], v[160:161], v[100:101] neg_lo:[0,0,1] neg_hi:[0,0,1]
	v_mov_b32_e32 v101, v103
	s_delay_alu instid0(VALU_DEP_4) | instskip(NEXT) | instid1(VALU_DEP_4)
	v_pk_fma_f32 v[102:103], v[230:231], v[226:227], v[106:107] op_sel_hi:[1,0,1]
	v_pk_add_f32 v[98:99], v[98:99], v[104:105]
	v_pk_fma_f32 v[104:105], v[230:231], v[226:227], v[106:107] neg_lo:[0,0,1] neg_hi:[0,0,1]
	s_delay_alu instid0(VALU_DEP_3) | instskip(NEXT) | instid1(VALU_DEP_3)
	v_mov_b32_e32 v105, v103
	v_pk_add_f32 v[98:99], v[98:99], v[100:101]
	s_delay_alu instid0(VALU_DEP_1) | instskip(SKIP_1) | instid1(VALU_DEP_1)
	v_pk_add_f32 v[98:99], v[98:99], v[104:105]
	s_wait_loadcnt 0x0
	v_pk_add_f32 v[98:99], v[228:229], v[98:99] neg_lo:[0,1] neg_hi:[0,1]
	scratch_store_b64 off, v[98:99], off offset:112
	s_wait_xcnt 0x0
	v_cmpx_lt_u32_e32 13, v0
	s_cbranch_execz .LBB111_275
; %bb.274:
	scratch_load_b64 v[98:99], off, off offset:104
	v_mov_b64_e32 v[100:101], 0
	scratch_store_b64 off, v[100:101], off offset:104
	s_wait_loadcnt 0x0
	ds_store_b64 v1, v[98:99]
.LBB111_275:
	s_wait_xcnt 0x0
	s_or_b32 exec_lo, exec_lo, s0
	s_wait_storecnt_dscnt 0x0
	s_barrier_signal -1
	s_barrier_wait -1
	s_clause 0x11
	scratch_load_b128 v[98:101], off, off offset:112
	scratch_load_b128 v[102:105], off, off offset:128
	;; [unrolled: 1-line block ×17, first 2 shown]
	scratch_load_b64 v[234:235], off, off offset:104
	ds_load_b128 v[166:169], v7 offset:704
	ds_load_b128 v[170:173], v7 offset:720
	;; [unrolled: 1-line block ×17, first 2 shown]
	s_mov_b32 s0, exec_lo
	s_wait_dscnt 0x10
	v_dual_mov_b32 v236, v169 :: v_dual_mov_b32 v237, v168
	s_wait_dscnt 0xf
	v_dual_mov_b32 v238, v173 :: v_dual_mov_b32 v239, v172
	;; [unrolled: 2-line block ×4, first 2 shown]
	s_wait_loadcnt_dscnt 0x110b
	v_dual_mul_f32 v7, v186, v99 :: v_dual_mul_f32 v9, v188, v101
	v_dual_mul_f32 v55, v187, v99 :: v_dual_mul_f32 v57, v189, v101
	s_wait_loadcnt_dscnt 0x100a
	v_dual_mul_f32 v11, v190, v103 :: v_dual_mul_f32 v13, v192, v105
	s_delay_alu instid0(VALU_DEP_3) | instskip(SKIP_3) | instid1(VALU_DEP_3)
	v_dual_fmac_f32 v7, v187, v98 :: v_dual_fmac_f32 v9, v189, v100
	s_wait_loadcnt_dscnt 0xe08
	v_dual_fma_f32 v55, v186, v98, -v55 :: v_dual_mul_f32 v67, v199, v111
	v_dual_mul_f32 v59, v191, v103 :: v_dual_mul_f32 v61, v193, v105
	v_dual_fma_f32 v57, v188, v100, -v57 :: v_dual_add_f32 v7, 0, v7
	s_delay_alu instid0(VALU_DEP_3) | instskip(SKIP_1) | instid1(VALU_DEP_3)
	v_dual_add_f32 v55, 0, v55 :: v_dual_mul_f32 v69, v201, v113
	v_dual_fmac_f32 v11, v191, v102 :: v_dual_fmac_f32 v13, v193, v104
	v_dual_fma_f32 v59, v190, v102, -v59 :: v_dual_add_f32 v7, v7, v9
	s_delay_alu instid0(VALU_DEP_3) | instskip(SKIP_2) | instid1(VALU_DEP_4)
	v_dual_add_f32 v9, v55, v57 :: v_dual_fma_f32 v57, v192, v104, -v61
	v_dual_mul_f32 v15, v194, v107 :: v_dual_mul_f32 v17, v196, v109
	v_dual_mul_f32 v63, v195, v107 :: v_dual_mul_f32 v65, v197, v109
	v_add_f32_e32 v7, v7, v11
	s_delay_alu instid0(VALU_DEP_3) | instskip(NEXT) | instid1(VALU_DEP_3)
	v_dual_add_f32 v9, v9, v59 :: v_dual_fmac_f32 v15, v195, v106
	v_fma_f32 v59, v194, v106, -v63
	v_dual_mul_f32 v19, v198, v111 :: v_dual_mul_f32 v21, v200, v113
	s_delay_alu instid0(VALU_DEP_4) | instskip(SKIP_2) | instid1(VALU_DEP_2)
	v_dual_add_f32 v7, v7, v13 :: v_dual_fmac_f32 v17, v197, v108
	s_wait_loadcnt_dscnt 0xc06
	v_dual_add_f32 v9, v9, v57 :: v_dual_mul_f32 v13, v207, v119
	v_dual_fma_f32 v57, v196, v108, -v65 :: v_dual_add_f32 v7, v7, v15
	v_mul_f32_e32 v15, v209, v121
	s_delay_alu instid0(VALU_DEP_3) | instskip(NEXT) | instid1(VALU_DEP_3)
	v_dual_add_f32 v9, v9, v59 :: v_dual_fmac_f32 v19, v199, v110
	v_dual_fma_f32 v59, v198, v110, -v67 :: v_dual_add_f32 v7, v7, v17
	v_fmac_f32_e32 v21, v201, v112
	s_wait_loadcnt_dscnt 0xb05
	s_delay_alu instid0(VALU_DEP_3) | instskip(SKIP_3) | instid1(VALU_DEP_3)
	v_dual_add_f32 v9, v9, v57 :: v_dual_mul_f32 v17, v211, v123
	v_dual_mul_f32 v23, v202, v115 :: v_dual_mul_f32 v25, v204, v117
	v_dual_mul_f32 v55, v203, v115 :: v_dual_mul_f32 v11, v205, v117
	v_dual_fma_f32 v57, v200, v112, -v69 :: v_dual_add_f32 v7, v7, v19
	v_dual_add_f32 v9, v9, v59 :: v_dual_fmac_f32 v23, v203, v114
	s_delay_alu instid0(VALU_DEP_3) | instskip(NEXT) | instid1(VALU_DEP_3)
	v_dual_mul_f32 v19, v213, v125 :: v_dual_fma_f32 v55, v202, v114, -v55
	v_dual_add_f32 v7, v7, v21 :: v_dual_fmac_f32 v25, v205, v116
	s_wait_loadcnt_dscnt 0xa04
	s_delay_alu instid0(VALU_DEP_3) | instskip(SKIP_1) | instid1(VALU_DEP_3)
	v_dual_add_f32 v9, v9, v57 :: v_dual_mul_f32 v21, v215, v127
	v_dual_mul_f32 v27, v206, v119 :: v_dual_mul_f32 v29, v208, v121
	v_dual_fma_f32 v11, v204, v116, -v11 :: v_dual_add_f32 v7, v7, v23
	s_delay_alu instid0(VALU_DEP_2) | instskip(SKIP_1) | instid1(VALU_DEP_2)
	v_dual_add_f32 v9, v9, v55 :: v_dual_fmac_f32 v27, v207, v118
	v_dual_mul_f32 v23, v217, v129 :: v_dual_fma_f32 v13, v206, v118, -v13
	v_dual_add_f32 v7, v7, v25 :: v_dual_add_f32 v9, v9, v11
	v_dual_mul_f32 v31, v210, v123 :: v_dual_mul_f32 v33, v212, v125
	s_wait_loadcnt_dscnt 0x903
	v_dual_mul_f32 v11, v219, v131 :: v_dual_fmac_f32 v29, v209, v120
	s_delay_alu instid0(VALU_DEP_3) | instskip(NEXT) | instid1(VALU_DEP_3)
	v_dual_fma_f32 v15, v208, v120, -v15 :: v_dual_add_f32 v7, v7, v27
	v_dual_add_f32 v9, v9, v13 :: v_dual_fmac_f32 v31, v211, v122
	v_dual_mul_f32 v13, v221, v133 :: v_dual_fma_f32 v17, v210, v122, -v17
	s_delay_alu instid0(VALU_DEP_2) | instskip(SKIP_3) | instid1(VALU_DEP_3)
	v_dual_add_f32 v7, v7, v29 :: v_dual_add_f32 v9, v9, v15
	v_dual_mul_f32 v35, v214, v127 :: v_dual_mul_f32 v37, v216, v129
	s_wait_loadcnt_dscnt 0x802
	v_dual_mul_f32 v15, v223, v135 :: v_dual_fmac_f32 v33, v213, v124
	v_dual_fma_f32 v19, v212, v124, -v19 :: v_dual_add_f32 v7, v7, v31
	s_delay_alu instid0(VALU_DEP_3) | instskip(SKIP_1) | instid1(VALU_DEP_2)
	v_dual_add_f32 v9, v9, v17 :: v_dual_fmac_f32 v35, v215, v126
	v_dual_mul_f32 v17, v225, v137 :: v_dual_fma_f32 v21, v214, v126, -v21
	v_dual_add_f32 v7, v7, v33 :: v_dual_add_f32 v9, v9, v19
	v_dual_mul_f32 v39, v218, v131 :: v_dual_mul_f32 v41, v220, v133
	s_wait_loadcnt_dscnt 0x701
	v_dual_mul_f32 v19, v227, v139 :: v_dual_fmac_f32 v37, v217, v128
	s_delay_alu instid0(VALU_DEP_3) | instskip(NEXT) | instid1(VALU_DEP_3)
	v_dual_fma_f32 v23, v216, v128, -v23 :: v_dual_add_f32 v7, v7, v35
	v_dual_add_f32 v9, v9, v21 :: v_dual_fmac_f32 v39, v219, v130
	v_dual_mul_f32 v21, v229, v141 :: v_dual_fma_f32 v11, v218, v130, -v11
	s_delay_alu instid0(VALU_DEP_2) | instskip(SKIP_3) | instid1(VALU_DEP_3)
	v_dual_add_f32 v7, v7, v37 :: v_dual_add_f32 v9, v9, v23
	v_dual_mul_f32 v43, v222, v135 :: v_dual_mul_f32 v45, v224, v137
	s_wait_loadcnt_dscnt 0x600
	v_dual_mul_f32 v23, v231, v143 :: v_dual_fmac_f32 v41, v221, v132
	v_dual_fma_f32 v13, v220, v132, -v13 :: v_dual_add_f32 v7, v7, v39
	s_delay_alu instid0(VALU_DEP_3) | instskip(SKIP_1) | instid1(VALU_DEP_3)
	v_dual_add_f32 v9, v9, v11 :: v_dual_fmac_f32 v43, v223, v134
	v_dual_mul_f32 v11, v233, v145 :: v_dual_fma_f32 v15, v222, v134, -v15
	v_dual_add_f32 v7, v7, v41 :: v_dual_fmac_f32 v45, v225, v136
	s_wait_loadcnt 0x5
	s_delay_alu instid0(VALU_DEP_3) | instskip(SKIP_1) | instid1(VALU_DEP_3)
	v_dual_add_f32 v9, v9, v13 :: v_dual_mul_f32 v13, v183, v147
	v_dual_mul_f32 v47, v226, v139 :: v_dual_mul_f32 v49, v228, v141
	v_dual_fma_f32 v17, v224, v136, -v17 :: v_dual_add_f32 v7, v7, v43
	s_delay_alu instid0(VALU_DEP_2) | instskip(SKIP_1) | instid1(VALU_DEP_3)
	v_dual_add_f32 v9, v9, v15 :: v_dual_fmac_f32 v47, v227, v138
	v_dual_mul_f32 v15, v185, v149 :: v_dual_fma_f32 v19, v226, v138, -v19
	v_dual_add_f32 v7, v7, v45 :: v_dual_fmac_f32 v49, v229, v140
	s_delay_alu instid0(VALU_DEP_3) | instskip(SKIP_2) | instid1(VALU_DEP_3)
	v_dual_add_f32 v9, v9, v17 :: v_dual_fma_f32 v17, v228, v140, -v21
	v_dual_mul_f32 v51, v230, v143 :: v_dual_mul_f32 v53, v232, v145
	s_wait_loadcnt 0x4
	v_dual_add_f32 v7, v7, v47 :: v_dual_mov_b32 v100, v153
	s_delay_alu instid0(VALU_DEP_2) | instskip(NEXT) | instid1(VALU_DEP_2)
	v_dual_add_f32 v9, v9, v19 :: v_dual_fmac_f32 v51, v231, v142
	v_dual_fma_f32 v19, v230, v142, -v23 :: v_dual_add_f32 v7, v7, v49
	v_dual_mul_f32 v245, v182, v147 :: v_dual_mul_f32 v247, v184, v149
	s_delay_alu instid0(VALU_DEP_3) | instskip(NEXT) | instid1(VALU_DEP_3)
	v_dual_add_f32 v9, v9, v17 :: v_dual_fma_f32 v11, v232, v144, -v11
	v_dual_fmac_f32 v53, v233, v144 :: v_dual_add_f32 v7, v7, v51
	v_pk_mul_f32 v[98:99], v[166:167], v[150:151] op_sel:[1,1] op_sel_hi:[0,1]
	s_delay_alu instid0(VALU_DEP_3) | instskip(SKIP_2) | instid1(VALU_DEP_2)
	v_dual_add_f32 v9, v9, v19 :: v_dual_fmac_f32 v245, v183, v146
	s_wait_loadcnt 0x3
	v_dual_mov_b32 v104, v157 :: v_dual_fma_f32 v244, v182, v146, -v13
	v_dual_add_f32 v107, v7, v53 :: v_dual_add_f32 v106, v9, v11
	v_fmac_f32_e32 v247, v185, v148
	v_pk_fma_f32 v[108:109], v[166:167], v[150:151], v[98:99] op_sel_hi:[1,0,1]
	v_fma_f32 v246, v184, v148, -v15
	v_pk_mul_f32 v[100:101], v[236:237], v[100:101] op_sel_hi:[1,0]
	v_pk_add_f32 v[106:107], v[106:107], v[244:245]
	v_pk_fma_f32 v[98:99], v[166:167], v[150:151], v[98:99] neg_lo:[0,0,1] neg_hi:[0,0,1]
	v_pk_mul_f32 v[102:103], v[170:171], v[154:155] op_sel:[1,1] op_sel_hi:[0,1]
	v_mov_b32_e32 v99, v109
	v_pk_fma_f32 v[108:109], v[168:169], v[152:153], v[100:101] op_sel_hi:[1,0,1]
	v_pk_add_f32 v[106:107], v[106:107], v[246:247]
	v_pk_fma_f32 v[100:101], v[168:169], v[152:153], v[100:101] neg_lo:[0,0,1] neg_hi:[0,0,1]
	v_pk_fma_f32 v[112:113], v[170:171], v[154:155], v[102:103] op_sel_hi:[1,0,1]
	v_pk_mul_f32 v[104:105], v[238:239], v[104:105] op_sel_hi:[1,0]
	v_mov_b32_e32 v101, v109
	v_pk_add_f32 v[98:99], v[106:107], v[98:99]
	s_wait_loadcnt 0x2
	v_pk_mul_f32 v[110:111], v[174:175], v[158:159] op_sel:[1,1] op_sel_hi:[0,1]
	v_mov_b32_e32 v106, v161
	v_pk_fma_f32 v[102:103], v[170:171], v[154:155], v[102:103] neg_lo:[0,0,1] neg_hi:[0,0,1]
	v_pk_fma_f32 v[108:109], v[172:173], v[156:157], v[104:105] op_sel_hi:[1,0,1]
	v_mov_b32_e32 v103, v113
	v_pk_add_f32 v[98:99], v[98:99], v[100:101]
	v_pk_fma_f32 v[100:101], v[174:175], v[158:159], v[110:111] op_sel_hi:[1,0,1]
	v_pk_mul_f32 v[106:107], v[240:241], v[106:107] op_sel_hi:[1,0]
	v_pk_fma_f32 v[104:105], v[172:173], v[156:157], v[104:105] neg_lo:[0,0,1] neg_hi:[0,0,1]
	v_mov_b32_e32 v105, v109
	v_pk_add_f32 v[98:99], v[98:99], v[102:103]
	v_pk_fma_f32 v[108:109], v[174:175], v[158:159], v[110:111] neg_lo:[0,0,1] neg_hi:[0,0,1]
	v_mov_b32_e32 v109, v101
	v_pk_fma_f32 v[100:101], v[176:177], v[160:161], v[106:107] op_sel_hi:[1,0,1]
	s_wait_loadcnt 0x1
	v_pk_mul_f32 v[102:103], v[178:179], v[162:163] op_sel:[1,1] op_sel_hi:[0,1]
	v_pk_add_f32 v[98:99], v[98:99], v[104:105]
	v_mov_b32_e32 v100, v165
	v_pk_fma_f32 v[106:107], v[176:177], v[160:161], v[106:107] neg_lo:[0,0,1] neg_hi:[0,0,1]
	s_delay_alu instid0(VALU_DEP_4)
	v_pk_fma_f32 v[104:105], v[178:179], v[162:163], v[102:103] op_sel_hi:[1,0,1]
	v_mov_b32_e32 v107, v101
	v_pk_add_f32 v[98:99], v[98:99], v[108:109]
	v_pk_mul_f32 v[100:101], v[242:243], v[100:101] op_sel_hi:[1,0]
	v_pk_fma_f32 v[102:103], v[178:179], v[162:163], v[102:103] neg_lo:[0,0,1] neg_hi:[0,0,1]
	v_mov_b32_e32 v103, v105
	s_delay_alu instid0(VALU_DEP_4) | instskip(NEXT) | instid1(VALU_DEP_4)
	v_pk_add_f32 v[98:99], v[98:99], v[106:107]
	v_pk_fma_f32 v[104:105], v[180:181], v[164:165], v[100:101] op_sel_hi:[1,0,1]
	v_pk_fma_f32 v[100:101], v[180:181], v[164:165], v[100:101] neg_lo:[0,0,1] neg_hi:[0,0,1]
	s_delay_alu instid0(VALU_DEP_3) | instskip(NEXT) | instid1(VALU_DEP_3)
	v_pk_add_f32 v[98:99], v[98:99], v[102:103]
	v_mov_b32_e32 v101, v105
	s_delay_alu instid0(VALU_DEP_1) | instskip(SKIP_1) | instid1(VALU_DEP_1)
	v_pk_add_f32 v[98:99], v[98:99], v[100:101]
	s_wait_loadcnt 0x0
	v_pk_add_f32 v[98:99], v[234:235], v[98:99] neg_lo:[0,1] neg_hi:[0,1]
	scratch_store_b64 off, v[98:99], off offset:104
	s_wait_xcnt 0x0
	v_cmpx_lt_u32_e32 12, v0
	s_cbranch_execz .LBB111_277
; %bb.276:
	scratch_load_b64 v[98:99], off, off offset:96
	v_mov_b64_e32 v[100:101], 0
	scratch_store_b64 off, v[100:101], off offset:96
	s_wait_loadcnt 0x0
	ds_store_b64 v1, v[98:99]
.LBB111_277:
	s_wait_xcnt 0x0
	s_or_b32 exec_lo, exec_lo, s0
	s_wait_storecnt_dscnt 0x0
	s_barrier_signal -1
	s_barrier_wait -1
	s_clause 0x12
	scratch_load_b128 v[98:101], off, off offset:104
	scratch_load_b128 v[102:105], off, off offset:120
	;; [unrolled: 1-line block ×17, first 2 shown]
	scratch_load_b64 v[234:235], off, off offset:376
	scratch_load_b64 v[236:237], off, off offset:96
	v_mov_b32_e32 v7, 0
	ds_load_2addr_b64 v[166:169], v7 offset0:87 offset1:88
	ds_load_2addr_b64 v[170:173], v7 offset0:89 offset1:90
	;; [unrolled: 1-line block ×17, first 2 shown]
	ds_load_b64 v[238:239], v7 offset:760
	s_mov_b32 s0, exec_lo
	s_wait_dscnt 0x11
	v_dual_mov_b32 v240, v169 :: v_dual_mov_b32 v241, v168
	s_wait_dscnt 0x10
	v_dual_mov_b32 v242, v173 :: v_dual_mov_b32 v243, v172
	;; [unrolled: 2-line block ×3, first 2 shown]
	v_dual_mov_b32 v245, v176 :: v_dual_mov_b32 v246, v185
	s_wait_loadcnt_dscnt 0x120c
	v_dual_mul_f32 v9, v186, v99 :: v_dual_mul_f32 v59, v187, v99
	v_dual_mul_f32 v61, v189, v101 :: v_dual_mul_f32 v11, v188, v101
	s_wait_loadcnt_dscnt 0x110b
	v_mul_f32_e32 v13, v190, v103
	s_wait_loadcnt_dscnt 0xf09
	v_dual_mul_f32 v71, v199, v111 :: v_dual_fma_f32 v59, v186, v98, -v59
	v_dual_fmac_f32 v9, v187, v98 :: v_dual_mul_f32 v73, v201, v113
	v_dual_mul_f32 v63, v191, v103 :: v_dual_mul_f32 v65, v193, v105
	v_dual_fmac_f32 v11, v189, v100 :: v_dual_fma_f32 v61, v188, v100, -v61
	s_delay_alu instid0(VALU_DEP_3) | instskip(SKIP_3) | instid1(VALU_DEP_3)
	v_dual_add_f32 v9, 0, v9 :: v_dual_add_f32 v59, 0, v59
	v_dual_mul_f32 v15, v192, v105 :: v_dual_mul_f32 v17, v194, v107
	s_wait_loadcnt_dscnt 0xe08
	v_dual_mul_f32 v75, v203, v115 :: v_dual_fma_f32 v63, v190, v102, -v63
	v_dual_fmac_f32 v13, v191, v102 :: v_dual_add_f32 v9, v9, v11
	s_delay_alu instid0(VALU_DEP_3) | instskip(SKIP_2) | instid1(VALU_DEP_3)
	v_dual_add_f32 v11, v59, v61 :: v_dual_fmac_f32 v15, v193, v104
	v_dual_mul_f32 v67, v195, v107 :: v_dual_mul_f32 v69, v197, v109
	v_dual_mul_f32 v59, v205, v117 :: v_dual_fma_f32 v61, v192, v104, -v65
	v_dual_add_f32 v9, v9, v13 :: v_dual_add_f32 v11, v11, v63
	v_dual_mul_f32 v19, v196, v109 :: v_dual_mul_f32 v21, v198, v111
	s_wait_loadcnt_dscnt 0xd07
	v_dual_mul_f32 v13, v207, v119 :: v_dual_fma_f32 v63, v194, v106, -v67
	s_delay_alu instid0(VALU_DEP_3) | instskip(NEXT) | instid1(VALU_DEP_3)
	v_dual_fmac_f32 v17, v195, v106 :: v_dual_add_f32 v9, v9, v15
	v_dual_add_f32 v11, v11, v61 :: v_dual_fmac_f32 v19, v197, v108
	v_dual_mul_f32 v15, v209, v121 :: v_dual_fma_f32 v61, v196, v108, -v69
	s_delay_alu instid0(VALU_DEP_2) | instskip(SKIP_3) | instid1(VALU_DEP_3)
	v_dual_add_f32 v9, v9, v17 :: v_dual_add_f32 v11, v11, v63
	v_dual_mul_f32 v23, v200, v113 :: v_dual_mul_f32 v25, v202, v115
	s_wait_loadcnt_dscnt 0xc06
	v_dual_mul_f32 v17, v211, v123 :: v_dual_fma_f32 v63, v198, v110, -v71
	v_dual_fmac_f32 v21, v199, v110 :: v_dual_add_f32 v9, v9, v19
	s_delay_alu instid0(VALU_DEP_3) | instskip(SKIP_1) | instid1(VALU_DEP_2)
	v_dual_add_f32 v11, v11, v61 :: v_dual_fmac_f32 v23, v201, v112
	v_dual_mul_f32 v19, v213, v125 :: v_dual_fma_f32 v61, v200, v112, -v73
	v_dual_add_f32 v9, v9, v21 :: v_dual_add_f32 v11, v11, v63
	v_dual_mul_f32 v27, v204, v117 :: v_dual_mul_f32 v29, v206, v119
	s_wait_loadcnt_dscnt 0xb05
	v_dual_mul_f32 v21, v215, v127 :: v_dual_fma_f32 v63, v202, v114, -v75
	s_delay_alu instid0(VALU_DEP_3) | instskip(NEXT) | instid1(VALU_DEP_3)
	v_dual_fmac_f32 v25, v203, v114 :: v_dual_add_f32 v9, v9, v23
	v_dual_add_f32 v11, v11, v61 :: v_dual_fmac_f32 v27, v205, v116
	v_dual_mul_f32 v23, v217, v129 :: v_dual_fma_f32 v59, v204, v116, -v59
	s_delay_alu instid0(VALU_DEP_2) | instskip(SKIP_3) | instid1(VALU_DEP_3)
	v_dual_add_f32 v9, v9, v25 :: v_dual_add_f32 v11, v11, v63
	v_dual_mul_f32 v31, v208, v121 :: v_dual_mul_f32 v33, v210, v123
	s_wait_loadcnt_dscnt 0xa04
	v_dual_mul_f32 v25, v219, v131 :: v_dual_fma_f32 v13, v206, v118, -v13
	v_dual_fmac_f32 v29, v207, v118 :: v_dual_add_f32 v9, v9, v27
	v_dual_add_f32 v11, v11, v59 :: v_dual_mul_f32 v27, v221, v133
	v_fmac_f32_e32 v31, v209, v120
	s_delay_alu instid0(VALU_DEP_3) | instskip(NEXT) | instid1(VALU_DEP_3)
	v_dual_fma_f32 v15, v208, v120, -v15 :: v_dual_add_f32 v9, v9, v29
	v_add_f32_e32 v11, v11, v13
	v_dual_mul_f32 v35, v212, v125 :: v_dual_mul_f32 v37, v214, v127
	s_wait_loadcnt_dscnt 0x903
	v_dual_mul_f32 v13, v223, v135 :: v_dual_fma_f32 v17, v210, v122, -v17
	v_dual_fmac_f32 v33, v211, v122 :: v_dual_add_f32 v9, v9, v31
	v_dual_add_f32 v11, v11, v15 :: v_dual_mul_f32 v15, v225, v137
	v_fmac_f32_e32 v35, v213, v124
	s_delay_alu instid0(VALU_DEP_3) | instskip(NEXT) | instid1(VALU_DEP_3)
	v_dual_fma_f32 v19, v212, v124, -v19 :: v_dual_add_f32 v9, v9, v33
	v_add_f32_e32 v11, v11, v17
	;; [unrolled: 9-line block ×4, first 2 shown]
	v_dual_mul_f32 v47, v224, v137 :: v_dual_mul_f32 v49, v226, v139
	s_wait_loadcnt 0x6
	v_dual_mul_f32 v25, v179, v147 :: v_dual_fma_f32 v13, v222, v134, -v13
	v_dual_fmac_f32 v45, v223, v134 :: v_dual_add_f32 v9, v9, v43
	v_dual_add_f32 v11, v11, v27 :: v_dual_mul_f32 v27, v181, v149
	v_fmac_f32_e32 v47, v225, v136
	s_delay_alu instid0(VALU_DEP_3) | instskip(NEXT) | instid1(VALU_DEP_3)
	v_dual_fma_f32 v15, v224, v136, -v15 :: v_dual_add_f32 v9, v9, v45
	v_add_f32_e32 v11, v11, v13
	v_dual_mul_f32 v51, v228, v141 :: v_dual_mul_f32 v53, v230, v143
	s_wait_loadcnt 0x5
	v_dual_mul_f32 v13, v167, v151 :: v_dual_fma_f32 v17, v226, v138, -v17
	v_dual_fmac_f32 v49, v227, v138 :: v_dual_add_f32 v9, v9, v47
	v_dual_add_f32 v11, v11, v15 :: v_dual_mov_b32 v98, v153
	v_fmac_f32_e32 v51, v229, v140
	s_delay_alu instid0(VALU_DEP_3) | instskip(NEXT) | instid1(VALU_DEP_3)
	v_dual_fma_f32 v15, v228, v140, -v19 :: v_dual_add_f32 v9, v9, v49
	v_add_f32_e32 v11, v11, v17
	v_dual_mul_f32 v55, v232, v145 :: v_dual_mul_f32 v57, v178, v147
	s_delay_alu instid0(VALU_DEP_3) | instskip(NEXT) | instid1(VALU_DEP_3)
	v_dual_fmac_f32 v53, v231, v142 :: v_dual_add_f32 v9, v9, v51
	v_dual_fma_f32 v17, v230, v142, -v21 :: v_dual_add_f32 v11, v11, v15
	s_wait_loadcnt 0x4
	v_dual_mov_b32 v102, v157 :: v_dual_fma_f32 v15, v232, v144, -v23
	v_fmac_f32_e32 v55, v233, v144
	v_dual_add_f32 v9, v9, v53 :: v_dual_fmac_f32 v57, v179, v146
	v_add_f32_e32 v11, v11, v17
	v_dual_mul_f32 v249, v180, v149 :: v_dual_mul_f32 v251, v166, v151
	s_delay_alu instid0(VALU_DEP_3) | instskip(NEXT) | instid1(VALU_DEP_2)
	v_dual_fma_f32 v17, v178, v146, -v25 :: v_dual_add_f32 v9, v9, v55
	v_dual_add_f32 v11, v11, v15 :: v_dual_fmac_f32 v249, v181, v148
	v_fma_f32 v248, v180, v148, -v27
	v_pk_mul_f32 v[98:99], v[240:241], v[98:99] op_sel_hi:[1,0]
	s_delay_alu instid0(VALU_DEP_4)
	v_add_f32_e32 v107, v9, v57
	s_wait_loadcnt 0x3
	v_dual_add_f32 v106, v11, v17 :: v_dual_mov_b32 v108, v161
	v_pk_mul_f32 v[100:101], v[170:171], v[154:155] op_sel:[1,1] op_sel_hi:[0,1]
	v_dual_fmac_f32 v251, v167, v150 :: v_dual_fma_f32 v250, v166, v150, -v13
	v_pk_fma_f32 v[110:111], v[168:169], v[152:153], v[98:99] op_sel_hi:[1,0,1]
	s_delay_alu instid0(VALU_DEP_4)
	v_pk_add_f32 v[106:107], v[106:107], v[248:249]
	v_pk_fma_f32 v[98:99], v[168:169], v[152:153], v[98:99] neg_lo:[0,0,1] neg_hi:[0,0,1]
	v_pk_fma_f32 v[112:113], v[170:171], v[154:155], v[100:101] op_sel_hi:[1,0,1]
	v_pk_mul_f32 v[102:103], v[242:243], v[102:103] op_sel_hi:[1,0]
	v_mov_b32_e32 v99, v111
	v_pk_add_f32 v[106:107], v[106:107], v[250:251]
	v_pk_fma_f32 v[100:101], v[170:171], v[154:155], v[100:101] neg_lo:[0,0,1] neg_hi:[0,0,1]
	v_pk_mul_f32 v[104:105], v[174:175], v[158:159] op_sel:[1,1] op_sel_hi:[0,1]
	v_mov_b32_e32 v101, v113
	v_pk_fma_f32 v[112:113], v[172:173], v[156:157], v[102:103] op_sel_hi:[1,0,1]
	v_pk_add_f32 v[98:99], v[106:107], v[98:99]
	v_pk_fma_f32 v[102:103], v[172:173], v[156:157], v[102:103] neg_lo:[0,0,1] neg_hi:[0,0,1]
	v_pk_fma_f32 v[106:107], v[174:175], v[158:159], v[104:105] op_sel_hi:[1,0,1]
	v_pk_mul_f32 v[108:109], v[244:245], v[108:109] op_sel_hi:[1,0]
	v_mov_b32_e32 v103, v113
	v_pk_add_f32 v[98:99], v[98:99], v[100:101]
	v_pk_fma_f32 v[104:105], v[174:175], v[158:159], v[104:105] neg_lo:[0,0,1] neg_hi:[0,0,1]
	s_wait_loadcnt 0x2
	v_pk_mul_f32 v[110:111], v[182:183], v[162:163] op_sel:[1,1] op_sel_hi:[0,1]
	v_dual_mov_b32 v100, v165 :: v_dual_mov_b32 v105, v107
	v_pk_fma_f32 v[106:107], v[176:177], v[160:161], v[108:109] op_sel_hi:[1,0,1]
	v_pk_add_f32 v[98:99], v[98:99], v[102:103]
	v_pk_fma_f32 v[108:109], v[176:177], v[160:161], v[108:109] neg_lo:[0,0,1] neg_hi:[0,0,1]
	v_pk_fma_f32 v[102:103], v[182:183], v[162:163], v[110:111] op_sel_hi:[1,0,1]
	v_pk_mul_f32 v[100:101], v[246:247], v[100:101] op_sel_hi:[1,0]
	v_mov_b32_e32 v109, v107
	v_pk_add_f32 v[98:99], v[98:99], v[104:105]
	v_pk_fma_f32 v[104:105], v[182:183], v[162:163], v[110:111] neg_lo:[0,0,1] neg_hi:[0,0,1]
	v_mov_b32_e32 v105, v103
	v_pk_fma_f32 v[102:103], v[184:185], v[164:165], v[100:101] op_sel_hi:[1,0,1]
	s_wait_loadcnt_dscnt 0x100
	v_pk_mul_f32 v[106:107], v[238:239], v[234:235] op_sel:[1,1] op_sel_hi:[0,1]
	v_pk_add_f32 v[98:99], v[98:99], v[108:109]
	v_pk_fma_f32 v[100:101], v[184:185], v[164:165], v[100:101] neg_lo:[0,0,1] neg_hi:[0,0,1]
	v_mov_b32_e32 v101, v103
	s_delay_alu instid0(VALU_DEP_4) | instskip(NEXT) | instid1(VALU_DEP_4)
	v_pk_fma_f32 v[102:103], v[238:239], v[234:235], v[106:107] op_sel_hi:[1,0,1]
	v_pk_add_f32 v[98:99], v[98:99], v[104:105]
	v_pk_fma_f32 v[104:105], v[238:239], v[234:235], v[106:107] neg_lo:[0,0,1] neg_hi:[0,0,1]
	s_delay_alu instid0(VALU_DEP_3) | instskip(NEXT) | instid1(VALU_DEP_3)
	v_mov_b32_e32 v105, v103
	v_pk_add_f32 v[98:99], v[98:99], v[100:101]
	s_delay_alu instid0(VALU_DEP_1) | instskip(SKIP_1) | instid1(VALU_DEP_1)
	v_pk_add_f32 v[98:99], v[98:99], v[104:105]
	s_wait_loadcnt 0x0
	v_pk_add_f32 v[98:99], v[236:237], v[98:99] neg_lo:[0,1] neg_hi:[0,1]
	scratch_store_b64 off, v[98:99], off offset:96
	s_wait_xcnt 0x0
	v_cmpx_lt_u32_e32 11, v0
	s_cbranch_execz .LBB111_279
; %bb.278:
	scratch_load_b64 v[98:99], off, off offset:88
	v_mov_b64_e32 v[100:101], 0
	scratch_store_b64 off, v[100:101], off offset:88
	s_wait_loadcnt 0x0
	ds_store_b64 v1, v[98:99]
.LBB111_279:
	s_wait_xcnt 0x0
	s_or_b32 exec_lo, exec_lo, s0
	s_wait_storecnt_dscnt 0x0
	s_barrier_signal -1
	s_barrier_wait -1
	s_clause 0x12
	scratch_load_b128 v[98:101], off, off offset:96
	scratch_load_b128 v[102:105], off, off offset:112
	;; [unrolled: 1-line block ×18, first 2 shown]
	scratch_load_b64 v[242:243], off, off offset:88
	ds_load_b128 v[170:173], v7 offset:704
	ds_load_b128 v[174:177], v7 offset:720
	;; [unrolled: 1-line block ×18, first 2 shown]
	s_mov_b32 s0, exec_lo
	s_wait_dscnt 0x11
	v_dual_mov_b32 v244, v173 :: v_dual_mov_b32 v245, v172
	s_wait_dscnt 0x10
	v_dual_mov_b32 v246, v177 :: v_dual_mov_b32 v247, v176
	;; [unrolled: 2-line block ×4, first 2 shown]
	s_wait_loadcnt_dscnt 0x120d
	v_dual_mul_f32 v7, v186, v99 :: v_dual_mul_f32 v9, v188, v101
	v_dual_mul_f32 v59, v187, v99 :: v_dual_mul_f32 v61, v189, v101
	s_wait_loadcnt_dscnt 0x110c
	v_dual_mul_f32 v11, v190, v103 :: v_dual_mul_f32 v13, v192, v105
	s_delay_alu instid0(VALU_DEP_3) | instskip(SKIP_3) | instid1(VALU_DEP_3)
	v_dual_fmac_f32 v7, v187, v98 :: v_dual_fmac_f32 v9, v189, v100
	s_wait_loadcnt_dscnt 0xf0a
	v_dual_fma_f32 v59, v186, v98, -v59 :: v_dual_mul_f32 v71, v199, v111
	v_dual_mul_f32 v63, v191, v103 :: v_dual_mul_f32 v65, v193, v105
	v_dual_fma_f32 v61, v188, v100, -v61 :: v_dual_add_f32 v7, 0, v7
	s_delay_alu instid0(VALU_DEP_3) | instskip(SKIP_1) | instid1(VALU_DEP_3)
	v_dual_add_f32 v59, 0, v59 :: v_dual_mul_f32 v73, v201, v113
	v_dual_fmac_f32 v11, v191, v102 :: v_dual_fmac_f32 v13, v193, v104
	v_dual_fma_f32 v63, v190, v102, -v63 :: v_dual_add_f32 v7, v7, v9
	s_delay_alu instid0(VALU_DEP_3) | instskip(SKIP_2) | instid1(VALU_DEP_4)
	v_dual_add_f32 v9, v59, v61 :: v_dual_fma_f32 v61, v192, v104, -v65
	v_dual_mul_f32 v15, v194, v107 :: v_dual_mul_f32 v17, v196, v109
	v_dual_mul_f32 v67, v195, v107 :: v_dual_mul_f32 v69, v197, v109
	v_add_f32_e32 v7, v7, v11
	s_delay_alu instid0(VALU_DEP_3) | instskip(NEXT) | instid1(VALU_DEP_3)
	v_dual_add_f32 v9, v9, v63 :: v_dual_fmac_f32 v15, v195, v106
	v_fma_f32 v63, v194, v106, -v67
	v_dual_mul_f32 v19, v198, v111 :: v_dual_mul_f32 v21, v200, v113
	s_delay_alu instid0(VALU_DEP_4) | instskip(SKIP_2) | instid1(VALU_DEP_2)
	v_dual_add_f32 v7, v7, v13 :: v_dual_fmac_f32 v17, v197, v108
	s_wait_loadcnt_dscnt 0xd08
	v_dual_add_f32 v9, v9, v61 :: v_dual_mul_f32 v13, v207, v119
	v_dual_fma_f32 v61, v196, v108, -v69 :: v_dual_add_f32 v7, v7, v15
	v_mul_f32_e32 v15, v209, v121
	s_delay_alu instid0(VALU_DEP_3) | instskip(NEXT) | instid1(VALU_DEP_3)
	v_dual_add_f32 v9, v9, v63 :: v_dual_fmac_f32 v19, v199, v110
	v_dual_fma_f32 v63, v198, v110, -v71 :: v_dual_add_f32 v7, v7, v17
	v_fmac_f32_e32 v21, v201, v112
	s_wait_loadcnt_dscnt 0xc07
	s_delay_alu instid0(VALU_DEP_3) | instskip(SKIP_3) | instid1(VALU_DEP_3)
	v_dual_add_f32 v9, v9, v61 :: v_dual_mul_f32 v17, v211, v123
	v_dual_mul_f32 v23, v202, v115 :: v_dual_mul_f32 v25, v204, v117
	v_dual_mul_f32 v59, v203, v115 :: v_dual_mul_f32 v11, v205, v117
	v_dual_fma_f32 v61, v200, v112, -v73 :: v_dual_add_f32 v7, v7, v19
	v_dual_add_f32 v9, v9, v63 :: v_dual_fmac_f32 v23, v203, v114
	s_delay_alu instid0(VALU_DEP_3) | instskip(NEXT) | instid1(VALU_DEP_3)
	v_dual_mul_f32 v19, v213, v125 :: v_dual_fma_f32 v59, v202, v114, -v59
	v_dual_add_f32 v7, v7, v21 :: v_dual_fmac_f32 v25, v205, v116
	s_wait_loadcnt_dscnt 0xb06
	s_delay_alu instid0(VALU_DEP_3) | instskip(SKIP_1) | instid1(VALU_DEP_3)
	v_dual_add_f32 v9, v9, v61 :: v_dual_mul_f32 v21, v215, v127
	v_dual_mul_f32 v27, v206, v119 :: v_dual_mul_f32 v29, v208, v121
	v_dual_fma_f32 v11, v204, v116, -v11 :: v_dual_add_f32 v7, v7, v23
	s_delay_alu instid0(VALU_DEP_2) | instskip(SKIP_1) | instid1(VALU_DEP_2)
	v_dual_add_f32 v9, v9, v59 :: v_dual_fmac_f32 v27, v207, v118
	v_dual_mul_f32 v23, v217, v129 :: v_dual_fma_f32 v13, v206, v118, -v13
	v_dual_add_f32 v7, v7, v25 :: v_dual_add_f32 v9, v9, v11
	v_dual_mul_f32 v31, v210, v123 :: v_dual_mul_f32 v33, v212, v125
	s_wait_loadcnt_dscnt 0xa05
	v_dual_mul_f32 v11, v219, v131 :: v_dual_fmac_f32 v29, v209, v120
	s_delay_alu instid0(VALU_DEP_3) | instskip(NEXT) | instid1(VALU_DEP_3)
	v_dual_fma_f32 v15, v208, v120, -v15 :: v_dual_add_f32 v7, v7, v27
	v_dual_add_f32 v9, v9, v13 :: v_dual_fmac_f32 v31, v211, v122
	v_dual_mul_f32 v13, v221, v133 :: v_dual_fma_f32 v17, v210, v122, -v17
	s_delay_alu instid0(VALU_DEP_2) | instskip(SKIP_3) | instid1(VALU_DEP_3)
	v_dual_add_f32 v7, v7, v29 :: v_dual_add_f32 v9, v9, v15
	v_dual_mul_f32 v35, v214, v127 :: v_dual_mul_f32 v37, v216, v129
	s_wait_loadcnt_dscnt 0x904
	v_dual_mul_f32 v15, v223, v135 :: v_dual_fmac_f32 v33, v213, v124
	v_dual_fma_f32 v19, v212, v124, -v19 :: v_dual_add_f32 v7, v7, v31
	s_delay_alu instid0(VALU_DEP_3) | instskip(SKIP_1) | instid1(VALU_DEP_2)
	v_dual_add_f32 v9, v9, v17 :: v_dual_fmac_f32 v35, v215, v126
	v_dual_mul_f32 v17, v225, v137 :: v_dual_fma_f32 v21, v214, v126, -v21
	v_dual_add_f32 v7, v7, v33 :: v_dual_add_f32 v9, v9, v19
	v_dual_mul_f32 v39, v218, v131 :: v_dual_mul_f32 v41, v220, v133
	s_wait_loadcnt_dscnt 0x803
	v_dual_mul_f32 v19, v227, v139 :: v_dual_fmac_f32 v37, v217, v128
	s_delay_alu instid0(VALU_DEP_3) | instskip(NEXT) | instid1(VALU_DEP_3)
	v_dual_fma_f32 v23, v216, v128, -v23 :: v_dual_add_f32 v7, v7, v35
	v_dual_add_f32 v9, v9, v21 :: v_dual_fmac_f32 v39, v219, v130
	v_dual_mul_f32 v21, v229, v141 :: v_dual_fma_f32 v11, v218, v130, -v11
	s_delay_alu instid0(VALU_DEP_2) | instskip(SKIP_3) | instid1(VALU_DEP_3)
	v_dual_add_f32 v7, v7, v37 :: v_dual_add_f32 v9, v9, v23
	v_dual_mul_f32 v43, v222, v135 :: v_dual_mul_f32 v45, v224, v137
	s_wait_loadcnt_dscnt 0x702
	v_dual_mul_f32 v23, v231, v143 :: v_dual_fmac_f32 v41, v221, v132
	v_dual_fma_f32 v13, v220, v132, -v13 :: v_dual_add_f32 v7, v7, v39
	s_delay_alu instid0(VALU_DEP_3) | instskip(SKIP_1) | instid1(VALU_DEP_3)
	v_dual_add_f32 v9, v9, v11 :: v_dual_fmac_f32 v43, v223, v134
	v_dual_mul_f32 v11, v233, v145 :: v_dual_fma_f32 v15, v222, v134, -v15
	v_dual_add_f32 v7, v7, v41 :: v_dual_fmac_f32 v45, v225, v136
	s_wait_loadcnt_dscnt 0x601
	s_delay_alu instid0(VALU_DEP_3) | instskip(SKIP_1) | instid1(VALU_DEP_3)
	v_dual_add_f32 v9, v9, v13 :: v_dual_mul_f32 v13, v235, v147
	v_dual_mul_f32 v47, v226, v139 :: v_dual_mul_f32 v49, v228, v141
	v_dual_fma_f32 v17, v224, v136, -v17 :: v_dual_add_f32 v7, v7, v43
	s_delay_alu instid0(VALU_DEP_2) | instskip(SKIP_1) | instid1(VALU_DEP_3)
	v_dual_add_f32 v9, v9, v15 :: v_dual_fmac_f32 v47, v227, v138
	v_dual_mul_f32 v15, v237, v149 :: v_dual_fma_f32 v19, v226, v138, -v19
	v_dual_add_f32 v7, v7, v45 :: v_dual_fmac_f32 v49, v229, v140
	s_wait_loadcnt_dscnt 0x500
	s_delay_alu instid0(VALU_DEP_3) | instskip(SKIP_1) | instid1(VALU_DEP_3)
	v_dual_add_f32 v9, v9, v17 :: v_dual_mul_f32 v17, v239, v151
	v_dual_mul_f32 v51, v230, v143 :: v_dual_mul_f32 v53, v232, v145
	v_dual_fma_f32 v21, v228, v140, -v21 :: v_dual_add_f32 v7, v7, v47
	s_delay_alu instid0(VALU_DEP_2) | instskip(SKIP_1) | instid1(VALU_DEP_3)
	v_dual_add_f32 v9, v9, v19 :: v_dual_fmac_f32 v51, v231, v142
	v_dual_mul_f32 v19, v241, v153 :: v_dual_fma_f32 v23, v230, v142, -v23
	v_dual_add_f32 v7, v7, v49 :: v_dual_fmac_f32 v53, v233, v144
	s_delay_alu instid0(VALU_DEP_3) | instskip(SKIP_2) | instid1(VALU_DEP_3)
	v_dual_add_f32 v9, v9, v21 :: v_dual_fma_f32 v11, v232, v144, -v11
	v_dual_mul_f32 v55, v234, v147 :: v_dual_mul_f32 v57, v236, v149
	s_wait_loadcnt 0x4
	v_dual_add_f32 v7, v7, v51 :: v_dual_mov_b32 v100, v157
	s_delay_alu instid0(VALU_DEP_2) | instskip(NEXT) | instid1(VALU_DEP_2)
	v_dual_add_f32 v9, v9, v23 :: v_dual_fmac_f32 v55, v235, v146
	v_dual_fma_f32 v13, v234, v146, -v13 :: v_dual_add_f32 v7, v7, v53
	v_dual_mul_f32 v253, v238, v151 :: v_dual_mul_f32 v255, v240, v153
	s_delay_alu instid0(VALU_DEP_3) | instskip(NEXT) | instid1(VALU_DEP_3)
	v_dual_add_f32 v9, v9, v11 :: v_dual_fma_f32 v11, v236, v148, -v15
	v_dual_fmac_f32 v57, v237, v148 :: v_dual_add_f32 v7, v7, v55
	v_pk_mul_f32 v[98:99], v[170:171], v[154:155] op_sel:[1,1] op_sel_hi:[0,1]
	s_delay_alu instid0(VALU_DEP_3) | instskip(SKIP_2) | instid1(VALU_DEP_2)
	v_dual_add_f32 v9, v9, v13 :: v_dual_fmac_f32 v253, v239, v150
	s_wait_loadcnt 0x3
	v_dual_mov_b32 v104, v161 :: v_dual_fma_f32 v252, v238, v150, -v17
	v_dual_add_f32 v107, v7, v57 :: v_dual_add_f32 v106, v9, v11
	v_fmac_f32_e32 v255, v241, v152
	v_pk_fma_f32 v[108:109], v[170:171], v[154:155], v[98:99] op_sel_hi:[1,0,1]
	v_fma_f32 v254, v240, v152, -v19
	v_pk_mul_f32 v[100:101], v[244:245], v[100:101] op_sel_hi:[1,0]
	v_pk_add_f32 v[106:107], v[106:107], v[252:253]
	v_pk_fma_f32 v[98:99], v[170:171], v[154:155], v[98:99] neg_lo:[0,0,1] neg_hi:[0,0,1]
	v_pk_mul_f32 v[102:103], v[174:175], v[158:159] op_sel:[1,1] op_sel_hi:[0,1]
	v_mov_b32_e32 v99, v109
	v_pk_fma_f32 v[108:109], v[172:173], v[156:157], v[100:101] op_sel_hi:[1,0,1]
	v_pk_add_f32 v[106:107], v[106:107], v[254:255]
	v_pk_fma_f32 v[100:101], v[172:173], v[156:157], v[100:101] neg_lo:[0,0,1] neg_hi:[0,0,1]
	v_pk_fma_f32 v[112:113], v[174:175], v[158:159], v[102:103] op_sel_hi:[1,0,1]
	v_pk_mul_f32 v[104:105], v[246:247], v[104:105] op_sel_hi:[1,0]
	v_mov_b32_e32 v101, v109
	v_pk_add_f32 v[98:99], v[106:107], v[98:99]
	s_wait_loadcnt 0x2
	v_pk_mul_f32 v[110:111], v[178:179], v[162:163] op_sel:[1,1] op_sel_hi:[0,1]
	v_mov_b32_e32 v106, v165
	v_pk_fma_f32 v[102:103], v[174:175], v[158:159], v[102:103] neg_lo:[0,0,1] neg_hi:[0,0,1]
	v_pk_fma_f32 v[108:109], v[176:177], v[160:161], v[104:105] op_sel_hi:[1,0,1]
	v_mov_b32_e32 v103, v113
	v_pk_add_f32 v[98:99], v[98:99], v[100:101]
	v_pk_fma_f32 v[100:101], v[178:179], v[162:163], v[110:111] op_sel_hi:[1,0,1]
	v_pk_mul_f32 v[106:107], v[248:249], v[106:107] op_sel_hi:[1,0]
	v_pk_fma_f32 v[104:105], v[176:177], v[160:161], v[104:105] neg_lo:[0,0,1] neg_hi:[0,0,1]
	v_mov_b32_e32 v105, v109
	v_pk_add_f32 v[98:99], v[98:99], v[102:103]
	v_pk_fma_f32 v[108:109], v[178:179], v[162:163], v[110:111] neg_lo:[0,0,1] neg_hi:[0,0,1]
	v_mov_b32_e32 v109, v101
	v_pk_fma_f32 v[100:101], v[180:181], v[164:165], v[106:107] op_sel_hi:[1,0,1]
	s_wait_loadcnt 0x1
	v_pk_mul_f32 v[102:103], v[182:183], v[166:167] op_sel:[1,1] op_sel_hi:[0,1]
	v_pk_add_f32 v[98:99], v[98:99], v[104:105]
	v_mov_b32_e32 v100, v169
	v_pk_fma_f32 v[106:107], v[180:181], v[164:165], v[106:107] neg_lo:[0,0,1] neg_hi:[0,0,1]
	s_delay_alu instid0(VALU_DEP_4)
	v_pk_fma_f32 v[104:105], v[182:183], v[166:167], v[102:103] op_sel_hi:[1,0,1]
	v_mov_b32_e32 v107, v101
	v_pk_add_f32 v[98:99], v[98:99], v[108:109]
	v_pk_mul_f32 v[100:101], v[250:251], v[100:101] op_sel_hi:[1,0]
	v_pk_fma_f32 v[102:103], v[182:183], v[166:167], v[102:103] neg_lo:[0,0,1] neg_hi:[0,0,1]
	v_mov_b32_e32 v103, v105
	s_delay_alu instid0(VALU_DEP_4) | instskip(NEXT) | instid1(VALU_DEP_4)
	v_pk_add_f32 v[98:99], v[98:99], v[106:107]
	v_pk_fma_f32 v[104:105], v[184:185], v[168:169], v[100:101] op_sel_hi:[1,0,1]
	v_pk_fma_f32 v[100:101], v[184:185], v[168:169], v[100:101] neg_lo:[0,0,1] neg_hi:[0,0,1]
	s_delay_alu instid0(VALU_DEP_3) | instskip(NEXT) | instid1(VALU_DEP_3)
	v_pk_add_f32 v[98:99], v[98:99], v[102:103]
	v_mov_b32_e32 v101, v105
	s_delay_alu instid0(VALU_DEP_1) | instskip(SKIP_1) | instid1(VALU_DEP_1)
	v_pk_add_f32 v[98:99], v[98:99], v[100:101]
	s_wait_loadcnt 0x0
	v_pk_add_f32 v[98:99], v[242:243], v[98:99] neg_lo:[0,1] neg_hi:[0,1]
	scratch_store_b64 off, v[98:99], off offset:88
	s_wait_xcnt 0x0
	v_cmpx_lt_u32_e32 10, v0
	s_cbranch_execz .LBB111_281
; %bb.280:
	scratch_load_b64 v[98:99], off, off offset:80
	v_mov_b64_e32 v[100:101], 0
	scratch_store_b64 off, v[100:101], off offset:80
	s_wait_loadcnt 0x0
	ds_store_b64 v1, v[98:99]
.LBB111_281:
	s_wait_xcnt 0x0
	s_or_b32 exec_lo, exec_lo, s0
	s_wait_storecnt_dscnt 0x0
	s_barrier_signal -1
	s_barrier_wait -1
	s_clause 0x13
	scratch_load_b128 v[98:101], off, off offset:88
	scratch_load_b128 v[102:105], off, off offset:104
	;; [unrolled: 1-line block ×18, first 2 shown]
	scratch_load_b64 v[242:243], off, off offset:376
	scratch_load_b64 v[244:245], off, off offset:80
	v_mov_b32_e32 v7, 0
	ds_load_2addr_b64 v[170:173], v7 offset0:87 offset1:88
	ds_load_2addr_b64 v[174:177], v7 offset0:89 offset1:90
	;; [unrolled: 1-line block ×18, first 2 shown]
	ds_load_b64 v[246:247], v7 offset:760
	s_mov_b32 s0, exec_lo
	s_wait_dscnt 0x12
	v_dual_mov_b32 v248, v173 :: v_dual_mov_b32 v249, v172
	s_wait_dscnt 0x11
	v_dual_mov_b32 v250, v177 :: v_dual_mov_b32 v251, v176
	s_wait_dscnt 0xd
	v_dual_mov_b32 v252, v181 :: v_dual_mov_b32 v255, v192
	v_dual_mov_b32 v253, v180 :: v_dual_mov_b32 v254, v193
	s_wait_loadcnt 0x13
	v_dual_mul_f32 v9, v182, v99 :: v_dual_mul_f32 v63, v183, v99
	v_dual_mul_f32 v65, v185, v101 :: v_dual_mul_f32 v11, v184, v101
	s_wait_loadcnt 0x12
	v_mul_f32_e32 v13, v186, v103
	s_wait_loadcnt_dscnt 0x100b
	v_dual_mul_f32 v75, v199, v111 :: v_dual_fma_f32 v63, v182, v98, -v63
	v_dual_fmac_f32 v9, v183, v98 :: v_dual_mul_f32 v77, v201, v113
	v_dual_mul_f32 v67, v187, v103 :: v_dual_mul_f32 v69, v189, v105
	v_dual_fmac_f32 v11, v185, v100 :: v_dual_fma_f32 v65, v184, v100, -v65
	s_delay_alu instid0(VALU_DEP_3) | instskip(SKIP_3) | instid1(VALU_DEP_3)
	v_dual_add_f32 v9, 0, v9 :: v_dual_add_f32 v63, 0, v63
	v_dual_mul_f32 v15, v188, v105 :: v_dual_mul_f32 v17, v194, v107
	s_wait_loadcnt_dscnt 0xf0a
	v_dual_mul_f32 v79, v203, v115 :: v_dual_fma_f32 v67, v186, v102, -v67
	v_dual_fmac_f32 v13, v187, v102 :: v_dual_add_f32 v9, v9, v11
	s_delay_alu instid0(VALU_DEP_3) | instskip(SKIP_2) | instid1(VALU_DEP_3)
	v_dual_add_f32 v11, v63, v65 :: v_dual_fmac_f32 v15, v189, v104
	v_dual_mul_f32 v71, v195, v107 :: v_dual_mul_f32 v73, v197, v109
	v_dual_mul_f32 v63, v205, v117 :: v_dual_fma_f32 v65, v188, v104, -v69
	v_dual_add_f32 v9, v9, v13 :: v_dual_add_f32 v11, v11, v67
	v_dual_mul_f32 v19, v196, v109 :: v_dual_mul_f32 v21, v198, v111
	s_wait_loadcnt_dscnt 0xe09
	v_dual_mul_f32 v13, v207, v119 :: v_dual_fma_f32 v67, v194, v106, -v71
	s_delay_alu instid0(VALU_DEP_3) | instskip(NEXT) | instid1(VALU_DEP_3)
	v_dual_fmac_f32 v17, v195, v106 :: v_dual_add_f32 v9, v9, v15
	v_dual_add_f32 v11, v11, v65 :: v_dual_fmac_f32 v19, v197, v108
	v_dual_mul_f32 v15, v209, v121 :: v_dual_fma_f32 v65, v196, v108, -v73
	s_delay_alu instid0(VALU_DEP_2) | instskip(SKIP_3) | instid1(VALU_DEP_3)
	v_dual_add_f32 v9, v9, v17 :: v_dual_add_f32 v11, v11, v67
	v_dual_mul_f32 v23, v200, v113 :: v_dual_mul_f32 v25, v202, v115
	s_wait_loadcnt_dscnt 0xd08
	v_dual_mul_f32 v17, v211, v123 :: v_dual_fma_f32 v67, v198, v110, -v75
	v_dual_fmac_f32 v21, v199, v110 :: v_dual_add_f32 v9, v9, v19
	s_delay_alu instid0(VALU_DEP_3) | instskip(SKIP_1) | instid1(VALU_DEP_2)
	v_dual_add_f32 v11, v11, v65 :: v_dual_fmac_f32 v23, v201, v112
	v_dual_mul_f32 v19, v213, v125 :: v_dual_fma_f32 v65, v200, v112, -v77
	v_dual_add_f32 v9, v9, v21 :: v_dual_add_f32 v11, v11, v67
	v_dual_mul_f32 v27, v204, v117 :: v_dual_mul_f32 v29, v206, v119
	s_wait_loadcnt_dscnt 0xc07
	v_dual_mul_f32 v21, v215, v127 :: v_dual_fma_f32 v67, v202, v114, -v79
	s_delay_alu instid0(VALU_DEP_3) | instskip(NEXT) | instid1(VALU_DEP_3)
	v_dual_fmac_f32 v25, v203, v114 :: v_dual_add_f32 v9, v9, v23
	v_dual_add_f32 v11, v11, v65 :: v_dual_fmac_f32 v27, v205, v116
	v_dual_mul_f32 v23, v217, v129 :: v_dual_fma_f32 v63, v204, v116, -v63
	s_delay_alu instid0(VALU_DEP_2) | instskip(SKIP_3) | instid1(VALU_DEP_3)
	v_dual_add_f32 v9, v9, v25 :: v_dual_add_f32 v11, v11, v67
	v_dual_mul_f32 v31, v208, v121 :: v_dual_mul_f32 v33, v210, v123
	s_wait_loadcnt_dscnt 0xb06
	v_dual_mul_f32 v25, v219, v131 :: v_dual_fma_f32 v13, v206, v118, -v13
	v_dual_fmac_f32 v29, v207, v118 :: v_dual_add_f32 v9, v9, v27
	v_dual_add_f32 v11, v11, v63 :: v_dual_mul_f32 v27, v221, v133
	v_fmac_f32_e32 v31, v209, v120
	s_delay_alu instid0(VALU_DEP_3) | instskip(NEXT) | instid1(VALU_DEP_3)
	v_dual_fma_f32 v15, v208, v120, -v15 :: v_dual_add_f32 v9, v9, v29
	v_add_f32_e32 v11, v11, v13
	v_dual_mul_f32 v35, v212, v125 :: v_dual_mul_f32 v37, v214, v127
	s_wait_loadcnt_dscnt 0xa05
	v_dual_mul_f32 v13, v223, v135 :: v_dual_fma_f32 v17, v210, v122, -v17
	v_dual_fmac_f32 v33, v211, v122 :: v_dual_add_f32 v9, v9, v31
	v_dual_add_f32 v11, v11, v15 :: v_dual_mul_f32 v15, v225, v137
	v_fmac_f32_e32 v35, v213, v124
	s_delay_alu instid0(VALU_DEP_3) | instskip(NEXT) | instid1(VALU_DEP_3)
	v_dual_fma_f32 v19, v212, v124, -v19 :: v_dual_add_f32 v9, v9, v33
	v_add_f32_e32 v11, v11, v17
	;; [unrolled: 9-line block ×6, first 2 shown]
	v_dual_mul_f32 v55, v232, v145 :: v_dual_mul_f32 v57, v234, v147
	s_wait_loadcnt 0x5
	v_dual_mul_f32 v17, v171, v155 :: v_dual_fma_f32 v21, v230, v142, -v21
	v_dual_fmac_f32 v53, v231, v142 :: v_dual_add_f32 v9, v9, v51
	v_dual_add_f32 v11, v11, v19 :: v_dual_mov_b32 v98, v157
	v_fmac_f32_e32 v55, v233, v144
	s_delay_alu instid0(VALU_DEP_3) | instskip(NEXT) | instid1(VALU_DEP_3)
	v_dual_fma_f32 v19, v232, v144, -v23 :: v_dual_add_f32 v9, v9, v53
	v_add_f32_e32 v11, v11, v21
	v_dual_mul_f32 v59, v236, v149 :: v_dual_mul_f32 v61, v238, v151
	s_delay_alu instid0(VALU_DEP_3) | instskip(NEXT) | instid1(VALU_DEP_3)
	v_dual_fmac_f32 v57, v235, v146 :: v_dual_add_f32 v9, v9, v55
	v_dual_fma_f32 v21, v234, v146, -v25 :: v_dual_add_f32 v11, v11, v19
	s_wait_loadcnt 0x4
	v_dual_mov_b32 v102, v161 :: v_dual_fma_f32 v19, v236, v148, -v27
	v_fmac_f32_e32 v59, v237, v148
	v_dual_add_f32 v9, v9, v57 :: v_dual_fmac_f32 v61, v239, v150
	v_add_f32_e32 v11, v11, v21
	s_set_vgpr_msb 64                       ;  msbs: dst=1 src0=0 src1=0 src2=0
	v_dual_mul_f32 v1 /*v257*/, v240, v153 :: v_dual_mul_f32 v3 /*v259*/, v170, v155
	s_set_vgpr_msb 0                        ;  msbs: dst=0 src0=0 src1=0 src2=0
	v_dual_fma_f32 v13, v238, v150, -v13 :: v_dual_add_f32 v9, v9, v59
	v_add_f32_e32 v11, v11, v19
	s_set_vgpr_msb 64                       ;  msbs: dst=1 src0=0 src1=0 src2=0
	v_dual_fmac_f32 v1 /*v257*/, v241, v152 :: v_dual_fmac_f32 v3 /*v259*/, v171, v154
	v_dual_fma_f32 v0 /*v256*/, v240, v152, -v15 :: v_dual_fma_f32 v2 /*v258*/, v170, v154, -v17
	s_set_vgpr_msb 0                        ;  msbs: dst=0 src0=0 src1=0 src2=0
	v_pk_mul_f32 v[98:99], v[248:249], v[98:99] op_sel_hi:[1,0]
	v_add_f32_e32 v107, v9, v61
	s_wait_loadcnt 0x3
	v_dual_add_f32 v106, v11, v13 :: v_dual_mov_b32 v108, v165
	v_pk_mul_f32 v[100:101], v[174:175], v[158:159] op_sel:[1,1] op_sel_hi:[0,1]
	v_pk_fma_f32 v[110:111], v[172:173], v[156:157], v[98:99] op_sel_hi:[1,0,1]
	v_pk_fma_f32 v[98:99], v[172:173], v[156:157], v[98:99] neg_lo:[0,0,1] neg_hi:[0,0,1]
	s_set_vgpr_msb 4                        ;  msbs: dst=0 src0=0 src1=1 src2=0
	v_pk_add_f32 v[106:107], v[106:107], v[0:1] /*v[256:257]*/
	s_set_vgpr_msb 0                        ;  msbs: dst=0 src0=0 src1=0 src2=0
	v_pk_mul_f32 v[102:103], v[250:251], v[102:103] op_sel_hi:[1,0]
	v_pk_fma_f32 v[112:113], v[174:175], v[158:159], v[100:101] op_sel_hi:[1,0,1]
	v_mov_b32_e32 v99, v111
	v_pk_fma_f32 v[100:101], v[174:175], v[158:159], v[100:101] neg_lo:[0,0,1] neg_hi:[0,0,1]
	s_set_vgpr_msb 4                        ;  msbs: dst=0 src0=0 src1=1 src2=0
	v_pk_add_f32 v[106:107], v[106:107], v[2:3] /*v[258:259]*/
	s_set_vgpr_msb 0                        ;  msbs: dst=0 src0=0 src1=0 src2=0
	v_pk_mul_f32 v[104:105], v[178:179], v[162:163] op_sel:[1,1] op_sel_hi:[0,1]
	v_mov_b32_e32 v101, v113
	v_pk_fma_f32 v[112:113], v[176:177], v[160:161], v[102:103] op_sel_hi:[1,0,1]
	v_pk_fma_f32 v[102:103], v[176:177], v[160:161], v[102:103] neg_lo:[0,0,1] neg_hi:[0,0,1]
	v_pk_add_f32 v[98:99], v[106:107], v[98:99]
	v_pk_fma_f32 v[106:107], v[178:179], v[162:163], v[104:105] op_sel_hi:[1,0,1]
	v_pk_mul_f32 v[108:109], v[252:253], v[108:109] op_sel_hi:[1,0]
	v_mov_b32_e32 v103, v113
	v_pk_fma_f32 v[104:105], v[178:179], v[162:163], v[104:105] neg_lo:[0,0,1] neg_hi:[0,0,1]
	v_pk_add_f32 v[98:99], v[98:99], v[100:101]
	s_wait_loadcnt 0x2
	v_pk_mul_f32 v[110:111], v[190:191], v[166:167] op_sel:[1,1] op_sel_hi:[0,1]
	v_dual_mov_b32 v100, v169 :: v_dual_mov_b32 v105, v107
	v_pk_fma_f32 v[106:107], v[180:181], v[164:165], v[108:109] op_sel_hi:[1,0,1]
	v_pk_add_f32 v[98:99], v[98:99], v[102:103]
	v_pk_fma_f32 v[108:109], v[180:181], v[164:165], v[108:109] neg_lo:[0,0,1] neg_hi:[0,0,1]
	v_pk_fma_f32 v[102:103], v[190:191], v[166:167], v[110:111] op_sel_hi:[1,0,1]
	v_pk_mul_f32 v[100:101], v[254:255], v[100:101] op_sel_hi:[1,0]
	v_mov_b32_e32 v109, v107
	v_pk_add_f32 v[98:99], v[98:99], v[104:105]
	v_pk_fma_f32 v[104:105], v[190:191], v[166:167], v[110:111] neg_lo:[0,0,1] neg_hi:[0,0,1]
	v_mov_b32_e32 v105, v103
	v_pk_fma_f32 v[102:103], v[192:193], v[168:169], v[100:101] op_sel_hi:[1,0,1]
	s_wait_loadcnt_dscnt 0x100
	v_pk_mul_f32 v[106:107], v[246:247], v[242:243] op_sel:[1,1] op_sel_hi:[0,1]
	v_pk_add_f32 v[98:99], v[98:99], v[108:109]
	v_pk_fma_f32 v[100:101], v[192:193], v[168:169], v[100:101] neg_lo:[0,0,1] neg_hi:[0,0,1]
	v_mov_b32_e32 v101, v103
	s_delay_alu instid0(VALU_DEP_4) | instskip(NEXT) | instid1(VALU_DEP_4)
	v_pk_fma_f32 v[102:103], v[246:247], v[242:243], v[106:107] op_sel_hi:[1,0,1]
	v_pk_add_f32 v[98:99], v[98:99], v[104:105]
	v_pk_fma_f32 v[104:105], v[246:247], v[242:243], v[106:107] neg_lo:[0,0,1] neg_hi:[0,0,1]
	s_delay_alu instid0(VALU_DEP_3) | instskip(NEXT) | instid1(VALU_DEP_3)
	v_mov_b32_e32 v105, v103
	v_pk_add_f32 v[98:99], v[98:99], v[100:101]
	s_delay_alu instid0(VALU_DEP_1) | instskip(SKIP_1) | instid1(VALU_DEP_1)
	v_pk_add_f32 v[98:99], v[98:99], v[104:105]
	s_wait_loadcnt 0x0
	v_pk_add_f32 v[98:99], v[244:245], v[98:99] neg_lo:[0,1] neg_hi:[0,1]
	scratch_store_b64 off, v[98:99], off offset:80
	s_wait_xcnt 0x0
	v_cmpx_lt_u32_e32 9, v0
	s_cbranch_execz .LBB111_283
; %bb.282:
	scratch_load_b64 v[98:99], off, off offset:72
	v_mov_b64_e32 v[100:101], 0
	scratch_store_b64 off, v[100:101], off offset:72
	s_wait_loadcnt 0x0
	ds_store_b64 v1, v[98:99]
.LBB111_283:
	s_wait_xcnt 0x0
	s_or_b32 exec_lo, exec_lo, s0
	s_wait_storecnt_dscnt 0x0
	s_barrier_signal -1
	s_barrier_wait -1
	s_clause 0x13
	scratch_load_b128 v[98:101], off, off offset:80
	scratch_load_b128 v[102:105], off, off offset:96
	;; [unrolled: 1-line block ×19, first 2 shown]
	scratch_load_b64 v[250:251], off, off offset:72
	ds_load_b128 v[174:177], v7 offset:704
	ds_load_b128 v[178:181], v7 offset:720
	;; [unrolled: 1-line block ×19, first 2 shown]
	s_mov_b32 s0, exec_lo
	s_wait_dscnt 0x12
	v_dual_mov_b32 v252, v177 :: v_dual_mov_b32 v253, v176
	s_wait_dscnt 0x11
	v_dual_mov_b32 v254, v181 :: v_dual_mov_b32 v255, v180
	s_wait_dscnt 0xf
	s_set_vgpr_msb 64                       ;  msbs: dst=1 src0=0 src1=0 src2=0
	v_dual_mov_b32 v0 /*v256*/, v189 :: v_dual_mov_b32 v1 /*v257*/, v188
	s_wait_dscnt 0xe
	v_dual_mov_b32 v2 /*v258*/, v193 :: v_dual_mov_b32 v3 /*v259*/, v192
	s_wait_loadcnt_dscnt 0x130d
	s_set_vgpr_msb 0                        ;  msbs: dst=0 src0=0 src1=0 src2=0
	v_dual_mul_f32 v7, v194, v99 :: v_dual_mul_f32 v9, v196, v101
	v_dual_mul_f32 v63, v195, v99 :: v_dual_mul_f32 v65, v197, v101
	s_wait_loadcnt_dscnt 0x120c
	v_dual_mul_f32 v11, v198, v103 :: v_dual_mul_f32 v13, v200, v105
	s_delay_alu instid0(VALU_DEP_3) | instskip(SKIP_3) | instid1(VALU_DEP_3)
	v_dual_fmac_f32 v7, v195, v98 :: v_dual_fmac_f32 v9, v197, v100
	s_wait_loadcnt_dscnt 0x100a
	v_dual_fma_f32 v63, v194, v98, -v63 :: v_dual_mul_f32 v75, v207, v111
	v_dual_mul_f32 v67, v199, v103 :: v_dual_mul_f32 v69, v201, v105
	v_dual_fma_f32 v65, v196, v100, -v65 :: v_dual_add_f32 v7, 0, v7
	s_delay_alu instid0(VALU_DEP_3) | instskip(SKIP_1) | instid1(VALU_DEP_3)
	v_dual_add_f32 v63, 0, v63 :: v_dual_mul_f32 v77, v209, v113
	v_dual_fmac_f32 v11, v199, v102 :: v_dual_fmac_f32 v13, v201, v104
	v_dual_fma_f32 v67, v198, v102, -v67 :: v_dual_add_f32 v7, v7, v9
	s_delay_alu instid0(VALU_DEP_3) | instskip(SKIP_2) | instid1(VALU_DEP_4)
	v_dual_add_f32 v9, v63, v65 :: v_dual_fma_f32 v65, v200, v104, -v69
	v_dual_mul_f32 v15, v202, v107 :: v_dual_mul_f32 v17, v204, v109
	v_dual_mul_f32 v71, v203, v107 :: v_dual_mul_f32 v73, v205, v109
	v_add_f32_e32 v7, v7, v11
	s_delay_alu instid0(VALU_DEP_3) | instskip(NEXT) | instid1(VALU_DEP_3)
	v_dual_add_f32 v9, v9, v67 :: v_dual_fmac_f32 v15, v203, v106
	v_fma_f32 v67, v202, v106, -v71
	v_dual_mul_f32 v19, v206, v111 :: v_dual_mul_f32 v21, v208, v113
	s_delay_alu instid0(VALU_DEP_4) | instskip(SKIP_2) | instid1(VALU_DEP_2)
	v_dual_add_f32 v7, v7, v13 :: v_dual_fmac_f32 v17, v205, v108
	s_wait_loadcnt_dscnt 0xe08
	v_dual_add_f32 v9, v9, v65 :: v_dual_mul_f32 v13, v215, v119
	v_dual_fma_f32 v65, v204, v108, -v73 :: v_dual_add_f32 v7, v7, v15
	v_mul_f32_e32 v15, v217, v121
	s_delay_alu instid0(VALU_DEP_3) | instskip(NEXT) | instid1(VALU_DEP_3)
	v_dual_add_f32 v9, v9, v67 :: v_dual_fmac_f32 v19, v207, v110
	v_dual_fma_f32 v67, v206, v110, -v75 :: v_dual_add_f32 v7, v7, v17
	v_fmac_f32_e32 v21, v209, v112
	s_wait_loadcnt_dscnt 0xd07
	s_delay_alu instid0(VALU_DEP_3) | instskip(SKIP_3) | instid1(VALU_DEP_3)
	v_dual_add_f32 v9, v9, v65 :: v_dual_mul_f32 v17, v219, v123
	v_dual_mul_f32 v23, v210, v115 :: v_dual_mul_f32 v25, v212, v117
	v_dual_mul_f32 v63, v211, v115 :: v_dual_mul_f32 v11, v213, v117
	v_dual_fma_f32 v65, v208, v112, -v77 :: v_dual_add_f32 v7, v7, v19
	v_dual_add_f32 v9, v9, v67 :: v_dual_fmac_f32 v23, v211, v114
	s_delay_alu instid0(VALU_DEP_3) | instskip(NEXT) | instid1(VALU_DEP_3)
	v_dual_mul_f32 v19, v221, v125 :: v_dual_fma_f32 v63, v210, v114, -v63
	v_dual_add_f32 v7, v7, v21 :: v_dual_fmac_f32 v25, v213, v116
	s_wait_loadcnt_dscnt 0xc06
	s_delay_alu instid0(VALU_DEP_3) | instskip(SKIP_1) | instid1(VALU_DEP_3)
	v_dual_add_f32 v9, v9, v65 :: v_dual_mul_f32 v21, v223, v127
	v_dual_mul_f32 v27, v214, v119 :: v_dual_mul_f32 v29, v216, v121
	v_dual_fma_f32 v11, v212, v116, -v11 :: v_dual_add_f32 v7, v7, v23
	s_delay_alu instid0(VALU_DEP_2) | instskip(SKIP_1) | instid1(VALU_DEP_2)
	v_dual_add_f32 v9, v9, v63 :: v_dual_fmac_f32 v27, v215, v118
	v_dual_mul_f32 v23, v225, v129 :: v_dual_fma_f32 v13, v214, v118, -v13
	v_dual_add_f32 v7, v7, v25 :: v_dual_add_f32 v9, v9, v11
	v_dual_mul_f32 v31, v218, v123 :: v_dual_mul_f32 v33, v220, v125
	s_wait_loadcnt_dscnt 0xb05
	v_dual_mul_f32 v11, v227, v131 :: v_dual_fmac_f32 v29, v217, v120
	s_delay_alu instid0(VALU_DEP_3) | instskip(NEXT) | instid1(VALU_DEP_3)
	v_dual_fma_f32 v15, v216, v120, -v15 :: v_dual_add_f32 v7, v7, v27
	v_dual_add_f32 v9, v9, v13 :: v_dual_fmac_f32 v31, v219, v122
	v_dual_mul_f32 v13, v229, v133 :: v_dual_fma_f32 v17, v218, v122, -v17
	s_delay_alu instid0(VALU_DEP_2) | instskip(SKIP_3) | instid1(VALU_DEP_3)
	v_dual_add_f32 v7, v7, v29 :: v_dual_add_f32 v9, v9, v15
	v_dual_mul_f32 v35, v222, v127 :: v_dual_mul_f32 v37, v224, v129
	s_wait_loadcnt_dscnt 0xa04
	v_dual_mul_f32 v15, v231, v135 :: v_dual_fmac_f32 v33, v221, v124
	v_dual_fma_f32 v19, v220, v124, -v19 :: v_dual_add_f32 v7, v7, v31
	s_delay_alu instid0(VALU_DEP_3) | instskip(SKIP_1) | instid1(VALU_DEP_2)
	v_dual_add_f32 v9, v9, v17 :: v_dual_fmac_f32 v35, v223, v126
	v_dual_mul_f32 v17, v233, v137 :: v_dual_fma_f32 v21, v222, v126, -v21
	v_dual_add_f32 v7, v7, v33 :: v_dual_add_f32 v9, v9, v19
	v_dual_mul_f32 v39, v226, v131 :: v_dual_mul_f32 v41, v228, v133
	s_wait_loadcnt_dscnt 0x903
	v_dual_mul_f32 v19, v235, v139 :: v_dual_fmac_f32 v37, v225, v128
	s_delay_alu instid0(VALU_DEP_3) | instskip(NEXT) | instid1(VALU_DEP_3)
	v_dual_fma_f32 v23, v224, v128, -v23 :: v_dual_add_f32 v7, v7, v35
	v_dual_add_f32 v9, v9, v21 :: v_dual_fmac_f32 v39, v227, v130
	v_dual_mul_f32 v21, v237, v141 :: v_dual_fma_f32 v11, v226, v130, -v11
	s_delay_alu instid0(VALU_DEP_2) | instskip(SKIP_3) | instid1(VALU_DEP_3)
	v_dual_add_f32 v7, v7, v37 :: v_dual_add_f32 v9, v9, v23
	v_dual_mul_f32 v43, v230, v135 :: v_dual_mul_f32 v45, v232, v137
	s_wait_loadcnt_dscnt 0x802
	v_dual_mul_f32 v23, v239, v143 :: v_dual_fmac_f32 v41, v229, v132
	v_dual_fma_f32 v13, v228, v132, -v13 :: v_dual_add_f32 v7, v7, v39
	s_delay_alu instid0(VALU_DEP_3) | instskip(SKIP_1) | instid1(VALU_DEP_3)
	v_dual_add_f32 v9, v9, v11 :: v_dual_fmac_f32 v43, v231, v134
	v_dual_mul_f32 v11, v241, v145 :: v_dual_fma_f32 v15, v230, v134, -v15
	v_dual_add_f32 v7, v7, v41 :: v_dual_fmac_f32 v45, v233, v136
	s_wait_loadcnt_dscnt 0x701
	s_delay_alu instid0(VALU_DEP_3) | instskip(SKIP_1) | instid1(VALU_DEP_3)
	v_dual_add_f32 v9, v9, v13 :: v_dual_mul_f32 v13, v243, v147
	v_dual_mul_f32 v47, v234, v139 :: v_dual_mul_f32 v49, v236, v141
	v_dual_fma_f32 v17, v232, v136, -v17 :: v_dual_add_f32 v7, v7, v43
	s_delay_alu instid0(VALU_DEP_2) | instskip(SKIP_1) | instid1(VALU_DEP_3)
	v_dual_add_f32 v9, v9, v15 :: v_dual_fmac_f32 v47, v235, v138
	v_dual_mul_f32 v15, v245, v149 :: v_dual_fma_f32 v19, v234, v138, -v19
	v_dual_add_f32 v7, v7, v45 :: v_dual_fmac_f32 v49, v237, v140
	s_wait_loadcnt_dscnt 0x600
	s_delay_alu instid0(VALU_DEP_3) | instskip(SKIP_1) | instid1(VALU_DEP_3)
	v_dual_add_f32 v9, v9, v17 :: v_dual_mul_f32 v17, v247, v151
	v_dual_mul_f32 v51, v238, v143 :: v_dual_mul_f32 v53, v240, v145
	v_dual_fma_f32 v21, v236, v140, -v21 :: v_dual_add_f32 v7, v7, v47
	s_delay_alu instid0(VALU_DEP_2) | instskip(SKIP_1) | instid1(VALU_DEP_3)
	v_dual_add_f32 v9, v9, v19 :: v_dual_fmac_f32 v51, v239, v142
	v_dual_mul_f32 v19, v249, v153 :: v_dual_fma_f32 v23, v238, v142, -v23
	v_dual_add_f32 v7, v7, v49 :: v_dual_fmac_f32 v53, v241, v144
	s_wait_loadcnt 0x5
	s_delay_alu instid0(VALU_DEP_3) | instskip(SKIP_1) | instid1(VALU_DEP_3)
	v_dual_add_f32 v9, v9, v21 :: v_dual_mul_f32 v21, v183, v155
	v_dual_mul_f32 v55, v242, v147 :: v_dual_mul_f32 v57, v244, v149
	v_dual_fma_f32 v11, v240, v144, -v11 :: v_dual_add_f32 v7, v7, v51
	s_delay_alu instid0(VALU_DEP_2) | instskip(SKIP_1) | instid1(VALU_DEP_2)
	v_dual_add_f32 v9, v9, v23 :: v_dual_fmac_f32 v55, v243, v146
	v_dual_mul_f32 v23, v185, v157 :: v_dual_fma_f32 v13, v242, v146, -v13
	v_dual_add_f32 v7, v7, v53 :: v_dual_add_f32 v9, v9, v11
	v_dual_mul_f32 v59, v246, v151 :: v_dual_mul_f32 v61, v248, v153
	v_dual_fmac_f32 v57, v245, v148 :: v_dual_fma_f32 v11, v244, v148, -v15
	s_delay_alu instid0(VALU_DEP_3) | instskip(SKIP_1) | instid1(VALU_DEP_3)
	v_dual_add_f32 v7, v7, v55 :: v_dual_add_f32 v9, v9, v13
	s_wait_loadcnt 0x4
	v_dual_mov_b32 v100, v161 :: v_dual_fmac_f32 v59, v247, v150
	s_delay_alu instid0(VALU_DEP_2) | instskip(NEXT) | instid1(VALU_DEP_3)
	v_dual_fma_f32 v13, v246, v150, -v17 :: v_dual_add_f32 v7, v7, v57
	v_dual_add_f32 v9, v9, v11 :: v_dual_fma_f32 v11, v248, v152, -v19
	s_set_vgpr_msb 64                       ;  msbs: dst=1 src0=0 src1=0 src2=0
	v_dual_mul_f32 v5 /*v261*/, v182, v155 :: v_dual_mul_f32 v7 /*v263*/, v184, v157
	s_set_vgpr_msb 0                        ;  msbs: dst=0 src0=0 src1=0 src2=0
	v_dual_fmac_f32 v61, v249, v152 :: v_dual_add_f32 v7, v7, v59
	v_add_f32_e32 v9, v9, v13
	v_pk_mul_f32 v[98:99], v[174:175], v[158:159] op_sel:[1,1] op_sel_hi:[0,1]
	s_wait_loadcnt 0x3
	v_mov_b32_e32 v104, v165
	s_set_vgpr_msb 64                       ;  msbs: dst=1 src0=0 src1=0 src2=0
	v_dual_fmac_f32 v5 /*v261*/, v183, v154 :: v_dual_fmac_f32 v7 /*v263*/, v185, v156
	v_dual_fma_f32 v4 /*v260*/, v182, v154, -v21 :: v_dual_fma_f32 v6 /*v262*/, v184, v156, -v23
	s_set_vgpr_msb 0                        ;  msbs: dst=0 src0=0 src1=0 src2=0
	v_dual_add_f32 v107, v7, v61 :: v_dual_add_f32 v106, v9, v11
	v_pk_fma_f32 v[108:109], v[174:175], v[158:159], v[98:99] op_sel_hi:[1,0,1]
	v_pk_mul_f32 v[100:101], v[252:253], v[100:101] op_sel_hi:[1,0]
	v_pk_fma_f32 v[98:99], v[174:175], v[158:159], v[98:99] neg_lo:[0,0,1] neg_hi:[0,0,1]
	v_pk_mul_f32 v[102:103], v[178:179], v[162:163] op_sel:[1,1] op_sel_hi:[0,1]
	s_set_vgpr_msb 4                        ;  msbs: dst=0 src0=0 src1=1 src2=0
	v_pk_add_f32 v[106:107], v[106:107], v[4:5] /*v[260:261]*/
	v_mov_b32_e32 v99, v109
	s_set_vgpr_msb 0                        ;  msbs: dst=0 src0=0 src1=0 src2=0
	v_pk_fma_f32 v[108:109], v[176:177], v[160:161], v[100:101] op_sel_hi:[1,0,1]
	v_pk_fma_f32 v[100:101], v[176:177], v[160:161], v[100:101] neg_lo:[0,0,1] neg_hi:[0,0,1]
	v_pk_fma_f32 v[112:113], v[178:179], v[162:163], v[102:103] op_sel_hi:[1,0,1]
	s_set_vgpr_msb 4                        ;  msbs: dst=0 src0=0 src1=1 src2=0
	v_pk_add_f32 v[106:107], v[106:107], v[6:7] /*v[262:263]*/
	s_set_vgpr_msb 0                        ;  msbs: dst=0 src0=0 src1=0 src2=0
	v_pk_mul_f32 v[104:105], v[254:255], v[104:105] op_sel_hi:[1,0]
	v_mov_b32_e32 v101, v109
	s_wait_loadcnt 0x2
	v_pk_mul_f32 v[110:111], v[186:187], v[166:167] op_sel:[1,1] op_sel_hi:[0,1]
	v_pk_fma_f32 v[102:103], v[178:179], v[162:163], v[102:103] neg_lo:[0,0,1] neg_hi:[0,0,1]
	v_pk_add_f32 v[98:99], v[106:107], v[98:99]
	v_dual_mov_b32 v106, v169 :: v_dual_mov_b32 v103, v113
	v_pk_fma_f32 v[108:109], v[180:181], v[164:165], v[104:105] op_sel_hi:[1,0,1]
	v_pk_fma_f32 v[104:105], v[180:181], v[164:165], v[104:105] neg_lo:[0,0,1] neg_hi:[0,0,1]
	s_delay_alu instid0(VALU_DEP_4)
	v_pk_add_f32 v[98:99], v[98:99], v[100:101]
	v_pk_fma_f32 v[100:101], v[186:187], v[166:167], v[110:111] op_sel_hi:[1,0,1]
	s_set_vgpr_msb 1                        ;  msbs: dst=0 src0=1 src1=0 src2=0
	v_pk_mul_f32 v[106:107], v[0:1] /*v[256:257]*/, v[106:107] op_sel_hi:[1,0]
	s_set_vgpr_msb 0                        ;  msbs: dst=0 src0=0 src1=0 src2=0
	v_mov_b32_e32 v105, v109
	v_pk_fma_f32 v[108:109], v[186:187], v[166:167], v[110:111] neg_lo:[0,0,1] neg_hi:[0,0,1]
	v_pk_add_f32 v[98:99], v[98:99], v[102:103]
	v_mov_b32_e32 v109, v101
	v_pk_fma_f32 v[100:101], v[188:189], v[168:169], v[106:107] op_sel_hi:[1,0,1]
	s_wait_loadcnt 0x1
	v_pk_mul_f32 v[102:103], v[190:191], v[170:171] op_sel:[1,1] op_sel_hi:[0,1]
	v_mov_b32_e32 v100, v173
	v_pk_add_f32 v[98:99], v[98:99], v[104:105]
	v_pk_fma_f32 v[106:107], v[188:189], v[168:169], v[106:107] neg_lo:[0,0,1] neg_hi:[0,0,1]
	v_mov_b32_e32 v107, v101
	v_pk_fma_f32 v[104:105], v[190:191], v[170:171], v[102:103] op_sel_hi:[1,0,1]
	s_set_vgpr_msb 1                        ;  msbs: dst=0 src0=1 src1=0 src2=0
	v_pk_mul_f32 v[100:101], v[2:3] /*v[258:259]*/, v[100:101] op_sel_hi:[1,0]
	s_set_vgpr_msb 0                        ;  msbs: dst=0 src0=0 src1=0 src2=0
	v_pk_add_f32 v[98:99], v[98:99], v[108:109]
	v_pk_fma_f32 v[102:103], v[190:191], v[170:171], v[102:103] neg_lo:[0,0,1] neg_hi:[0,0,1]
	v_mov_b32_e32 v103, v105
	v_pk_fma_f32 v[104:105], v[192:193], v[172:173], v[100:101] op_sel_hi:[1,0,1]
	s_delay_alu instid0(VALU_DEP_4) | instskip(SKIP_1) | instid1(VALU_DEP_3)
	v_pk_add_f32 v[98:99], v[98:99], v[106:107]
	v_pk_fma_f32 v[100:101], v[192:193], v[172:173], v[100:101] neg_lo:[0,0,1] neg_hi:[0,0,1]
	v_mov_b32_e32 v101, v105
	s_delay_alu instid0(VALU_DEP_3) | instskip(NEXT) | instid1(VALU_DEP_1)
	v_pk_add_f32 v[98:99], v[98:99], v[102:103]
	v_pk_add_f32 v[98:99], v[98:99], v[100:101]
	s_wait_loadcnt 0x0
	s_delay_alu instid0(VALU_DEP_1)
	v_pk_add_f32 v[98:99], v[250:251], v[98:99] neg_lo:[0,1] neg_hi:[0,1]
	scratch_store_b64 off, v[98:99], off offset:72
	s_wait_xcnt 0x0
	v_cmpx_lt_u32_e32 8, v0
	s_cbranch_execz .LBB111_285
; %bb.284:
	scratch_load_b64 v[98:99], off, off offset:64
	v_mov_b64_e32 v[100:101], 0
	scratch_store_b64 off, v[100:101], off offset:64
	s_wait_loadcnt 0x0
	ds_store_b64 v1, v[98:99]
.LBB111_285:
	s_wait_xcnt 0x0
	s_or_b32 exec_lo, exec_lo, s0
	s_wait_storecnt_dscnt 0x0
	s_barrier_signal -1
	s_barrier_wait -1
	s_clause 0x14
	scratch_load_b128 v[98:101], off, off offset:72
	scratch_load_b128 v[102:105], off, off offset:88
	;; [unrolled: 1-line block ×19, first 2 shown]
	scratch_load_b64 v[250:251], off, off offset:376
	scratch_load_b64 v[252:253], off, off offset:64
	v_mov_b32_e32 v7, 0
	ds_load_2addr_b64 v[174:177], v7 offset0:87 offset1:88
	ds_load_2addr_b64 v[178:181], v7 offset0:85 offset1:86
	;; [unrolled: 1-line block ×19, first 2 shown]
	ds_load_b64 v[254:255], v7 offset:760
	s_wait_dscnt 0x13
	s_set_vgpr_msb 64                       ;  msbs: dst=1 src0=0 src1=0 src2=0
	v_dual_mov_b32 v0 /*v256*/, v177 :: v_dual_mov_b32 v1 /*v257*/, v176
	s_wait_dscnt 0x11
	v_dual_mov_b32 v2 /*v258*/, v185 :: v_dual_mov_b32 v3 /*v259*/, v184
	s_wait_dscnt 0x10
	v_dual_mov_b32 v4 /*v260*/, v189 :: v_dual_mov_b32 v5 /*v261*/, v188
	s_wait_dscnt 0xd
	v_dual_mov_b32 v6 /*v262*/, v201 :: v_dual_mov_b32 v7 /*v263*/, v200
	s_mov_b32 s0, exec_lo
	s_wait_loadcnt 0x14
	s_set_vgpr_msb 0                        ;  msbs: dst=0 src0=0 src1=0 src2=0
	v_dual_mul_f32 v9, v190, v99 :: v_dual_mul_f32 v67, v191, v99
	v_dual_mul_f32 v69, v193, v101 :: v_dual_mul_f32 v11, v192, v101
	s_wait_loadcnt 0x13
	v_mul_f32_e32 v13, v194, v103
	s_wait_loadcnt_dscnt 0x110b
	v_dual_mul_f32 v79, v207, v111 :: v_dual_fma_f32 v67, v190, v98, -v67
	v_dual_fmac_f32 v9, v191, v98 :: v_dual_mul_f32 v81, v209, v113
	v_dual_mul_f32 v71, v195, v103 :: v_dual_mul_f32 v73, v197, v105
	v_dual_fmac_f32 v11, v193, v100 :: v_dual_fma_f32 v69, v192, v100, -v69
	s_delay_alu instid0(VALU_DEP_3) | instskip(SKIP_3) | instid1(VALU_DEP_3)
	v_dual_add_f32 v9, 0, v9 :: v_dual_add_f32 v67, 0, v67
	v_dual_mul_f32 v15, v196, v105 :: v_dual_mul_f32 v17, v202, v107
	s_wait_loadcnt_dscnt 0x100a
	v_dual_mul_f32 v83, v211, v115 :: v_dual_fma_f32 v71, v194, v102, -v71
	v_dual_fmac_f32 v13, v195, v102 :: v_dual_add_f32 v9, v9, v11
	s_delay_alu instid0(VALU_DEP_3) | instskip(SKIP_2) | instid1(VALU_DEP_3)
	v_dual_add_f32 v11, v67, v69 :: v_dual_fmac_f32 v15, v197, v104
	v_dual_mul_f32 v75, v203, v107 :: v_dual_mul_f32 v77, v205, v109
	v_dual_mul_f32 v67, v213, v117 :: v_dual_fma_f32 v69, v196, v104, -v73
	v_dual_add_f32 v9, v9, v13 :: v_dual_add_f32 v11, v11, v71
	v_dual_mul_f32 v19, v204, v109 :: v_dual_mul_f32 v21, v206, v111
	s_wait_loadcnt_dscnt 0xf09
	v_dual_mul_f32 v13, v215, v119 :: v_dual_fma_f32 v71, v202, v106, -v75
	s_delay_alu instid0(VALU_DEP_3) | instskip(NEXT) | instid1(VALU_DEP_3)
	v_dual_fmac_f32 v17, v203, v106 :: v_dual_add_f32 v9, v9, v15
	v_dual_add_f32 v11, v11, v69 :: v_dual_fmac_f32 v19, v205, v108
	v_dual_mul_f32 v15, v217, v121 :: v_dual_fma_f32 v69, v204, v108, -v77
	s_delay_alu instid0(VALU_DEP_2) | instskip(SKIP_3) | instid1(VALU_DEP_3)
	v_dual_add_f32 v9, v9, v17 :: v_dual_add_f32 v11, v11, v71
	v_dual_mul_f32 v23, v208, v113 :: v_dual_mul_f32 v25, v210, v115
	s_wait_loadcnt_dscnt 0xe08
	v_dual_mul_f32 v17, v219, v123 :: v_dual_fma_f32 v71, v206, v110, -v79
	v_dual_fmac_f32 v21, v207, v110 :: v_dual_add_f32 v9, v9, v19
	s_delay_alu instid0(VALU_DEP_3) | instskip(SKIP_1) | instid1(VALU_DEP_2)
	v_dual_add_f32 v11, v11, v69 :: v_dual_fmac_f32 v23, v209, v112
	v_dual_mul_f32 v19, v221, v125 :: v_dual_fma_f32 v69, v208, v112, -v81
	v_dual_add_f32 v9, v9, v21 :: v_dual_add_f32 v11, v11, v71
	v_dual_mul_f32 v27, v212, v117 :: v_dual_mul_f32 v29, v214, v119
	s_wait_loadcnt_dscnt 0xd07
	v_dual_mul_f32 v21, v223, v127 :: v_dual_fma_f32 v71, v210, v114, -v83
	s_delay_alu instid0(VALU_DEP_3) | instskip(NEXT) | instid1(VALU_DEP_3)
	v_dual_fmac_f32 v25, v211, v114 :: v_dual_add_f32 v9, v9, v23
	v_dual_add_f32 v11, v11, v69 :: v_dual_fmac_f32 v27, v213, v116
	v_dual_mul_f32 v23, v225, v129 :: v_dual_fma_f32 v67, v212, v116, -v67
	s_delay_alu instid0(VALU_DEP_2) | instskip(SKIP_3) | instid1(VALU_DEP_3)
	v_dual_add_f32 v9, v9, v25 :: v_dual_add_f32 v11, v11, v71
	v_dual_mul_f32 v31, v216, v121 :: v_dual_mul_f32 v33, v218, v123
	s_wait_loadcnt_dscnt 0xc06
	v_dual_mul_f32 v25, v227, v131 :: v_dual_fma_f32 v13, v214, v118, -v13
	v_dual_fmac_f32 v29, v215, v118 :: v_dual_add_f32 v9, v9, v27
	v_dual_add_f32 v11, v11, v67 :: v_dual_mul_f32 v27, v229, v133
	v_fmac_f32_e32 v31, v217, v120
	s_delay_alu instid0(VALU_DEP_3) | instskip(NEXT) | instid1(VALU_DEP_3)
	v_dual_fma_f32 v15, v216, v120, -v15 :: v_dual_add_f32 v9, v9, v29
	v_add_f32_e32 v11, v11, v13
	v_dual_mul_f32 v35, v220, v125 :: v_dual_mul_f32 v37, v222, v127
	s_wait_loadcnt_dscnt 0xb05
	v_dual_mul_f32 v13, v231, v135 :: v_dual_fma_f32 v17, v218, v122, -v17
	v_dual_fmac_f32 v33, v219, v122 :: v_dual_add_f32 v9, v9, v31
	v_dual_add_f32 v11, v11, v15 :: v_dual_mul_f32 v15, v233, v137
	v_fmac_f32_e32 v35, v221, v124
	s_delay_alu instid0(VALU_DEP_3) | instskip(NEXT) | instid1(VALU_DEP_3)
	v_dual_fma_f32 v19, v220, v124, -v19 :: v_dual_add_f32 v9, v9, v33
	v_add_f32_e32 v11, v11, v17
	;; [unrolled: 9-line block ×6, first 2 shown]
	v_dual_mul_f32 v55, v240, v145 :: v_dual_mul_f32 v57, v242, v147
	s_wait_loadcnt 0x6
	v_dual_mul_f32 v17, v179, v155 :: v_dual_fma_f32 v21, v238, v142, -v21
	v_dual_fmac_f32 v53, v239, v142 :: v_dual_add_f32 v9, v9, v51
	v_dual_add_f32 v11, v11, v19 :: v_dual_mul_f32 v19, v181, v157
	v_fmac_f32_e32 v55, v241, v144
	s_delay_alu instid0(VALU_DEP_3) | instskip(NEXT) | instid1(VALU_DEP_3)
	v_dual_fma_f32 v23, v240, v144, -v23 :: v_dual_add_f32 v9, v9, v53
	v_add_f32_e32 v11, v11, v21
	v_dual_mul_f32 v59, v244, v149 :: v_dual_mul_f32 v61, v246, v151
	s_wait_loadcnt 0x5
	v_dual_mul_f32 v21, v175, v159 :: v_dual_fma_f32 v25, v242, v146, -v25
	v_dual_fmac_f32 v57, v243, v146 :: v_dual_add_f32 v9, v9, v55
	v_dual_add_f32 v11, v11, v23 :: v_dual_mov_b32 v98, v161
	v_fmac_f32_e32 v59, v245, v148
	s_delay_alu instid0(VALU_DEP_3) | instskip(NEXT) | instid1(VALU_DEP_3)
	v_dual_fma_f32 v23, v244, v148, -v27 :: v_dual_add_f32 v9, v9, v57
	v_add_f32_e32 v11, v11, v25
	v_dual_mul_f32 v63, v248, v153 :: v_dual_mul_f32 v65, v178, v155
	s_delay_alu instid0(VALU_DEP_3) | instskip(NEXT) | instid1(VALU_DEP_3)
	v_dual_fmac_f32 v61, v247, v150 :: v_dual_add_f32 v9, v9, v59
	v_dual_fma_f32 v13, v246, v150, -v13 :: v_dual_add_f32 v11, v11, v23
	s_wait_loadcnt 0x4
	v_dual_mov_b32 v102, v165 :: v_dual_fma_f32 v15, v248, v152, -v15
	v_fmac_f32_e32 v63, v249, v152
	v_dual_add_f32 v9, v9, v61 :: v_dual_fmac_f32 v65, v179, v154
	v_add_f32_e32 v11, v11, v13
	s_set_vgpr_msb 64                       ;  msbs: dst=1 src0=0 src1=0 src2=0
	v_dual_mul_f32 v9 /*v265*/, v180, v157 :: v_dual_mul_f32 v11 /*v267*/, v174, v159
	s_set_vgpr_msb 0                        ;  msbs: dst=0 src0=0 src1=0 src2=0
	v_dual_fma_f32 v13, v178, v154, -v17 :: v_dual_add_f32 v9, v9, v63
	v_add_f32_e32 v11, v11, v15
	s_set_vgpr_msb 64                       ;  msbs: dst=1 src0=0 src1=0 src2=0
	v_dual_fmac_f32 v9 /*v265*/, v181, v156 :: v_dual_fmac_f32 v11 /*v267*/, v175, v158
	v_dual_fma_f32 v8 /*v264*/, v180, v156, -v19 :: v_dual_fma_f32 v10 /*v266*/, v174, v158, -v21
	s_set_vgpr_msb 1                        ;  msbs: dst=0 src0=1 src1=0 src2=0
	v_pk_mul_f32 v[98:99], v[0:1] /*v[256:257]*/, v[98:99] op_sel_hi:[1,0]
	s_set_vgpr_msb 0                        ;  msbs: dst=0 src0=0 src1=0 src2=0
	v_add_f32_e32 v107, v9, v65
	s_wait_loadcnt 0x3
	v_dual_add_f32 v106, v11, v13 :: v_dual_mov_b32 v108, v169
	v_pk_mul_f32 v[100:101], v[182:183], v[162:163] op_sel:[1,1] op_sel_hi:[0,1]
	v_pk_fma_f32 v[110:111], v[176:177], v[160:161], v[98:99] op_sel_hi:[1,0,1]
	v_pk_fma_f32 v[98:99], v[176:177], v[160:161], v[98:99] neg_lo:[0,0,1] neg_hi:[0,0,1]
	s_set_vgpr_msb 4                        ;  msbs: dst=0 src0=0 src1=1 src2=0
	v_pk_add_f32 v[106:107], v[106:107], v[8:9] /*v[264:265]*/
	s_set_vgpr_msb 1                        ;  msbs: dst=0 src0=1 src1=0 src2=0
	v_pk_mul_f32 v[102:103], v[2:3] /*v[258:259]*/, v[102:103] op_sel_hi:[1,0]
	s_set_vgpr_msb 0                        ;  msbs: dst=0 src0=0 src1=0 src2=0
	v_pk_fma_f32 v[112:113], v[182:183], v[162:163], v[100:101] op_sel_hi:[1,0,1]
	v_mov_b32_e32 v99, v111
	v_pk_fma_f32 v[100:101], v[182:183], v[162:163], v[100:101] neg_lo:[0,0,1] neg_hi:[0,0,1]
	s_set_vgpr_msb 4                        ;  msbs: dst=0 src0=0 src1=1 src2=0
	v_pk_add_f32 v[106:107], v[106:107], v[10:11] /*v[266:267]*/
	s_set_vgpr_msb 0                        ;  msbs: dst=0 src0=0 src1=0 src2=0
	v_pk_mul_f32 v[104:105], v[186:187], v[166:167] op_sel:[1,1] op_sel_hi:[0,1]
	v_mov_b32_e32 v101, v113
	v_pk_fma_f32 v[112:113], v[184:185], v[164:165], v[102:103] op_sel_hi:[1,0,1]
	v_pk_fma_f32 v[102:103], v[184:185], v[164:165], v[102:103] neg_lo:[0,0,1] neg_hi:[0,0,1]
	v_pk_add_f32 v[98:99], v[106:107], v[98:99]
	v_pk_fma_f32 v[106:107], v[186:187], v[166:167], v[104:105] op_sel_hi:[1,0,1]
	s_set_vgpr_msb 1                        ;  msbs: dst=0 src0=1 src1=0 src2=0
	v_pk_mul_f32 v[108:109], v[4:5] /*v[260:261]*/, v[108:109] op_sel_hi:[1,0]
	s_set_vgpr_msb 0                        ;  msbs: dst=0 src0=0 src1=0 src2=0
	v_mov_b32_e32 v103, v113
	v_pk_fma_f32 v[104:105], v[186:187], v[166:167], v[104:105] neg_lo:[0,0,1] neg_hi:[0,0,1]
	v_pk_add_f32 v[98:99], v[98:99], v[100:101]
	s_wait_loadcnt 0x2
	v_pk_mul_f32 v[110:111], v[198:199], v[170:171] op_sel:[1,1] op_sel_hi:[0,1]
	v_dual_mov_b32 v100, v173 :: v_dual_mov_b32 v105, v107
	v_pk_fma_f32 v[106:107], v[188:189], v[168:169], v[108:109] op_sel_hi:[1,0,1]
	v_pk_add_f32 v[98:99], v[98:99], v[102:103]
	v_pk_fma_f32 v[108:109], v[188:189], v[168:169], v[108:109] neg_lo:[0,0,1] neg_hi:[0,0,1]
	v_pk_fma_f32 v[102:103], v[198:199], v[170:171], v[110:111] op_sel_hi:[1,0,1]
	s_set_vgpr_msb 1                        ;  msbs: dst=0 src0=1 src1=0 src2=0
	v_pk_mul_f32 v[100:101], v[6:7] /*v[262:263]*/, v[100:101] op_sel_hi:[1,0]
	s_set_vgpr_msb 0                        ;  msbs: dst=0 src0=0 src1=0 src2=0
	v_mov_b32_e32 v109, v107
	v_pk_add_f32 v[98:99], v[98:99], v[104:105]
	v_pk_fma_f32 v[104:105], v[198:199], v[170:171], v[110:111] neg_lo:[0,0,1] neg_hi:[0,0,1]
	v_mov_b32_e32 v105, v103
	v_pk_fma_f32 v[102:103], v[200:201], v[172:173], v[100:101] op_sel_hi:[1,0,1]
	s_wait_loadcnt_dscnt 0x100
	v_pk_mul_f32 v[106:107], v[254:255], v[250:251] op_sel:[1,1] op_sel_hi:[0,1]
	v_pk_add_f32 v[98:99], v[98:99], v[108:109]
	v_pk_fma_f32 v[100:101], v[200:201], v[172:173], v[100:101] neg_lo:[0,0,1] neg_hi:[0,0,1]
	v_mov_b32_e32 v101, v103
	s_delay_alu instid0(VALU_DEP_4) | instskip(NEXT) | instid1(VALU_DEP_4)
	v_pk_fma_f32 v[102:103], v[254:255], v[250:251], v[106:107] op_sel_hi:[1,0,1]
	v_pk_add_f32 v[98:99], v[98:99], v[104:105]
	v_pk_fma_f32 v[104:105], v[254:255], v[250:251], v[106:107] neg_lo:[0,0,1] neg_hi:[0,0,1]
	s_delay_alu instid0(VALU_DEP_3) | instskip(NEXT) | instid1(VALU_DEP_3)
	v_mov_b32_e32 v105, v103
	v_pk_add_f32 v[98:99], v[98:99], v[100:101]
	s_delay_alu instid0(VALU_DEP_1) | instskip(SKIP_1) | instid1(VALU_DEP_1)
	v_pk_add_f32 v[98:99], v[98:99], v[104:105]
	s_wait_loadcnt 0x0
	v_pk_add_f32 v[98:99], v[252:253], v[98:99] neg_lo:[0,1] neg_hi:[0,1]
	scratch_store_b64 off, v[98:99], off offset:64
	s_wait_xcnt 0x0
	v_cmpx_lt_u32_e32 7, v0
	s_cbranch_execz .LBB111_287
; %bb.286:
	scratch_load_b64 v[98:99], off, off offset:56
	v_mov_b64_e32 v[100:101], 0
	scratch_store_b64 off, v[100:101], off offset:56
	s_wait_loadcnt 0x0
	ds_store_b64 v1, v[98:99]
.LBB111_287:
	s_wait_xcnt 0x0
	s_or_b32 exec_lo, exec_lo, s0
	s_wait_storecnt_dscnt 0x0
	s_barrier_signal -1
	s_barrier_wait -1
	s_clause 0x15
	scratch_load_b128 v[98:101], off, off offset:64
	scratch_load_b128 v[102:105], off, off offset:80
	;; [unrolled: 1-line block ×20, first 2 shown]
	s_set_vgpr_msb 64                       ;  msbs: dst=1 src0=0 src1=0 src2=0
	scratch_load_b64 v[2:3] /*v[258:259]*/, off, off offset:56
	s_set_vgpr_msb 0                        ;  msbs: dst=0 src0=0 src1=0 src2=0
	ds_load_b128 v[178:181], v7 offset:704
	ds_load_b128 v[182:185], v7 offset:720
	ds_load_b128 v[186:189], v7 offset:448
	ds_load_b128 v[190:193], v7 offset:464
	ds_load_b128 v[194:197], v7 offset:736
	ds_load_b128 v[198:201], v7 offset:752
	ds_load_b128 v[202:205], v7 offset:480
	ds_load_b128 v[206:209], v7 offset:496
	ds_load_b128 v[210:213], v7 offset:512
	ds_load_b128 v[214:217], v7 offset:528
	ds_load_b128 v[218:221], v7 offset:544
	ds_load_b128 v[222:225], v7 offset:560
	ds_load_b128 v[226:229], v7 offset:576
	ds_load_b128 v[230:233], v7 offset:592
	ds_load_b128 v[234:237], v7 offset:608
	ds_load_b128 v[238:241], v7 offset:624
	ds_load_b128 v[242:245], v7 offset:640
	ds_load_b128 v[246:249], v7 offset:656
	ds_load_b128 v[250:253], v7 offset:672
	ds_load_b128 v[254:257], v7 offset:688
	s_wait_dscnt 0x13
	s_set_vgpr_msb 64                       ;  msbs: dst=1 src0=0 src1=0 src2=0
	v_dual_mov_b32 v4 /*v260*/, v181 :: v_dual_mov_b32 v5 /*v261*/, v180
	s_wait_dscnt 0x12
	v_dual_mov_b32 v6 /*v262*/, v185 :: v_dual_mov_b32 v7 /*v263*/, v184
	s_wait_dscnt 0xf
	;; [unrolled: 2-line block ×3, first 2 shown]
	v_dual_mov_b32 v10 /*v266*/, v201 :: v_dual_mov_b32 v11 /*v267*/, v200
	s_mov_b32 s0, exec_lo
	s_wait_loadcnt 0x14
	s_set_vgpr_msb 0                        ;  msbs: dst=0 src0=0 src1=0 src2=0
	v_dual_mul_f32 v7, v186, v99 :: v_dual_mul_f32 v9, v188, v101
	v_dual_mul_f32 v67, v187, v99 :: v_dual_mul_f32 v69, v189, v101
	s_wait_loadcnt 0x13
	v_dual_mul_f32 v11, v190, v103 :: v_dual_mul_f32 v13, v192, v105
	s_delay_alu instid0(VALU_DEP_3) | instskip(SKIP_3) | instid1(VALU_DEP_3)
	v_dual_fmac_f32 v7, v187, v98 :: v_dual_fmac_f32 v9, v189, v100
	s_wait_loadcnt_dscnt 0x110c
	v_dual_fma_f32 v67, v186, v98, -v67 :: v_dual_mul_f32 v79, v207, v111
	v_dual_mul_f32 v71, v191, v103 :: v_dual_mul_f32 v73, v193, v105
	v_dual_fma_f32 v69, v188, v100, -v69 :: v_dual_add_f32 v7, 0, v7
	s_delay_alu instid0(VALU_DEP_3) | instskip(SKIP_1) | instid1(VALU_DEP_3)
	v_dual_add_f32 v67, 0, v67 :: v_dual_mul_f32 v81, v209, v113
	v_dual_fmac_f32 v11, v191, v102 :: v_dual_fmac_f32 v13, v193, v104
	v_dual_fma_f32 v71, v190, v102, -v71 :: v_dual_add_f32 v7, v7, v9
	s_delay_alu instid0(VALU_DEP_3) | instskip(SKIP_2) | instid1(VALU_DEP_4)
	v_dual_add_f32 v9, v67, v69 :: v_dual_fma_f32 v69, v192, v104, -v73
	v_dual_mul_f32 v15, v202, v107 :: v_dual_mul_f32 v17, v204, v109
	v_dual_mul_f32 v75, v203, v107 :: v_dual_mul_f32 v77, v205, v109
	v_add_f32_e32 v7, v7, v11
	s_delay_alu instid0(VALU_DEP_3) | instskip(NEXT) | instid1(VALU_DEP_3)
	v_dual_add_f32 v9, v9, v71 :: v_dual_fmac_f32 v15, v203, v106
	v_fma_f32 v71, v202, v106, -v75
	v_dual_mul_f32 v19, v206, v111 :: v_dual_mul_f32 v21, v208, v113
	s_delay_alu instid0(VALU_DEP_4) | instskip(SKIP_2) | instid1(VALU_DEP_2)
	v_dual_add_f32 v7, v7, v13 :: v_dual_fmac_f32 v17, v205, v108
	s_wait_loadcnt_dscnt 0xf0a
	v_dual_add_f32 v9, v9, v69 :: v_dual_mul_f32 v13, v215, v119
	v_dual_fma_f32 v69, v204, v108, -v77 :: v_dual_add_f32 v7, v7, v15
	v_mul_f32_e32 v15, v217, v121
	s_delay_alu instid0(VALU_DEP_3) | instskip(NEXT) | instid1(VALU_DEP_3)
	v_dual_add_f32 v9, v9, v71 :: v_dual_fmac_f32 v19, v207, v110
	v_dual_fma_f32 v71, v206, v110, -v79 :: v_dual_add_f32 v7, v7, v17
	v_fmac_f32_e32 v21, v209, v112
	s_wait_loadcnt_dscnt 0xe09
	s_delay_alu instid0(VALU_DEP_3) | instskip(SKIP_3) | instid1(VALU_DEP_3)
	v_dual_add_f32 v9, v9, v69 :: v_dual_mul_f32 v17, v219, v123
	v_dual_mul_f32 v23, v210, v115 :: v_dual_mul_f32 v25, v212, v117
	v_dual_mul_f32 v67, v211, v115 :: v_dual_mul_f32 v11, v213, v117
	v_dual_fma_f32 v69, v208, v112, -v81 :: v_dual_add_f32 v7, v7, v19
	v_dual_add_f32 v9, v9, v71 :: v_dual_fmac_f32 v23, v211, v114
	s_delay_alu instid0(VALU_DEP_3) | instskip(NEXT) | instid1(VALU_DEP_3)
	v_dual_mul_f32 v19, v221, v125 :: v_dual_fma_f32 v67, v210, v114, -v67
	v_dual_add_f32 v7, v7, v21 :: v_dual_fmac_f32 v25, v213, v116
	s_wait_loadcnt_dscnt 0xd08
	s_delay_alu instid0(VALU_DEP_3) | instskip(SKIP_1) | instid1(VALU_DEP_3)
	v_dual_add_f32 v9, v9, v69 :: v_dual_mul_f32 v21, v223, v127
	v_dual_mul_f32 v27, v214, v119 :: v_dual_mul_f32 v29, v216, v121
	v_dual_fma_f32 v11, v212, v116, -v11 :: v_dual_add_f32 v7, v7, v23
	s_delay_alu instid0(VALU_DEP_2) | instskip(SKIP_1) | instid1(VALU_DEP_2)
	v_dual_add_f32 v9, v9, v67 :: v_dual_fmac_f32 v27, v215, v118
	v_dual_mul_f32 v23, v225, v129 :: v_dual_fma_f32 v13, v214, v118, -v13
	v_dual_add_f32 v7, v7, v25 :: v_dual_add_f32 v9, v9, v11
	v_dual_mul_f32 v31, v218, v123 :: v_dual_mul_f32 v33, v220, v125
	s_wait_loadcnt_dscnt 0xc07
	v_dual_mul_f32 v11, v227, v131 :: v_dual_fmac_f32 v29, v217, v120
	s_delay_alu instid0(VALU_DEP_3) | instskip(NEXT) | instid1(VALU_DEP_3)
	v_dual_fma_f32 v15, v216, v120, -v15 :: v_dual_add_f32 v7, v7, v27
	v_dual_add_f32 v9, v9, v13 :: v_dual_fmac_f32 v31, v219, v122
	v_dual_mul_f32 v13, v229, v133 :: v_dual_fma_f32 v17, v218, v122, -v17
	s_delay_alu instid0(VALU_DEP_2) | instskip(SKIP_3) | instid1(VALU_DEP_3)
	v_dual_add_f32 v7, v7, v29 :: v_dual_add_f32 v9, v9, v15
	v_dual_mul_f32 v35, v222, v127 :: v_dual_mul_f32 v37, v224, v129
	s_wait_loadcnt_dscnt 0xb06
	v_dual_mul_f32 v15, v231, v135 :: v_dual_fmac_f32 v33, v221, v124
	v_dual_fma_f32 v19, v220, v124, -v19 :: v_dual_add_f32 v7, v7, v31
	s_delay_alu instid0(VALU_DEP_3) | instskip(SKIP_1) | instid1(VALU_DEP_2)
	v_dual_add_f32 v9, v9, v17 :: v_dual_fmac_f32 v35, v223, v126
	v_dual_mul_f32 v17, v233, v137 :: v_dual_fma_f32 v21, v222, v126, -v21
	v_dual_add_f32 v7, v7, v33 :: v_dual_add_f32 v9, v9, v19
	v_dual_mul_f32 v39, v226, v131 :: v_dual_mul_f32 v41, v228, v133
	s_wait_loadcnt_dscnt 0xa05
	v_dual_mul_f32 v19, v235, v139 :: v_dual_fmac_f32 v37, v225, v128
	s_delay_alu instid0(VALU_DEP_3) | instskip(NEXT) | instid1(VALU_DEP_3)
	v_dual_fma_f32 v23, v224, v128, -v23 :: v_dual_add_f32 v7, v7, v35
	v_dual_add_f32 v9, v9, v21 :: v_dual_fmac_f32 v39, v227, v130
	v_dual_mul_f32 v21, v237, v141 :: v_dual_fma_f32 v11, v226, v130, -v11
	s_delay_alu instid0(VALU_DEP_2) | instskip(SKIP_3) | instid1(VALU_DEP_3)
	v_dual_add_f32 v7, v7, v37 :: v_dual_add_f32 v9, v9, v23
	v_dual_mul_f32 v43, v230, v135 :: v_dual_mul_f32 v45, v232, v137
	s_wait_loadcnt_dscnt 0x904
	v_dual_mul_f32 v23, v239, v143 :: v_dual_fmac_f32 v41, v229, v132
	v_dual_fma_f32 v13, v228, v132, -v13 :: v_dual_add_f32 v7, v7, v39
	s_delay_alu instid0(VALU_DEP_3) | instskip(SKIP_1) | instid1(VALU_DEP_3)
	v_dual_add_f32 v9, v9, v11 :: v_dual_fmac_f32 v43, v231, v134
	v_dual_mul_f32 v11, v241, v145 :: v_dual_fma_f32 v15, v230, v134, -v15
	v_dual_add_f32 v7, v7, v41 :: v_dual_fmac_f32 v45, v233, v136
	s_wait_loadcnt_dscnt 0x803
	s_delay_alu instid0(VALU_DEP_3) | instskip(SKIP_1) | instid1(VALU_DEP_3)
	v_dual_add_f32 v9, v9, v13 :: v_dual_mul_f32 v13, v243, v147
	v_dual_mul_f32 v47, v234, v139 :: v_dual_mul_f32 v49, v236, v141
	v_dual_fma_f32 v17, v232, v136, -v17 :: v_dual_add_f32 v7, v7, v43
	s_delay_alu instid0(VALU_DEP_2) | instskip(SKIP_1) | instid1(VALU_DEP_3)
	v_dual_add_f32 v9, v9, v15 :: v_dual_fmac_f32 v47, v235, v138
	v_dual_mul_f32 v15, v245, v149 :: v_dual_fma_f32 v19, v234, v138, -v19
	v_dual_add_f32 v7, v7, v45 :: v_dual_fmac_f32 v49, v237, v140
	s_wait_loadcnt_dscnt 0x702
	s_delay_alu instid0(VALU_DEP_3) | instskip(SKIP_1) | instid1(VALU_DEP_3)
	v_dual_add_f32 v9, v9, v17 :: v_dual_mul_f32 v17, v247, v151
	v_dual_mul_f32 v51, v238, v143 :: v_dual_mul_f32 v53, v240, v145
	v_dual_fma_f32 v21, v236, v140, -v21 :: v_dual_add_f32 v7, v7, v47
	s_delay_alu instid0(VALU_DEP_2) | instskip(SKIP_1) | instid1(VALU_DEP_3)
	v_dual_add_f32 v9, v9, v19 :: v_dual_fmac_f32 v51, v239, v142
	v_dual_mul_f32 v19, v249, v153 :: v_dual_fma_f32 v23, v238, v142, -v23
	v_dual_add_f32 v7, v7, v49 :: v_dual_fmac_f32 v53, v241, v144
	s_wait_loadcnt_dscnt 0x601
	s_delay_alu instid0(VALU_DEP_3) | instskip(SKIP_1) | instid1(VALU_DEP_3)
	v_dual_add_f32 v9, v9, v21 :: v_dual_mul_f32 v21, v251, v155
	v_dual_mul_f32 v55, v242, v147 :: v_dual_mul_f32 v57, v244, v149
	v_dual_fma_f32 v11, v240, v144, -v11 :: v_dual_add_f32 v7, v7, v51
	s_delay_alu instid0(VALU_DEP_2) | instskip(SKIP_1) | instid1(VALU_DEP_2)
	v_dual_add_f32 v9, v9, v23 :: v_dual_fmac_f32 v55, v243, v146
	v_dual_mul_f32 v23, v253, v157 :: v_dual_fma_f32 v13, v242, v146, -v13
	v_dual_add_f32 v7, v7, v53 :: v_dual_add_f32 v9, v9, v11
	v_dual_mul_f32 v59, v246, v151 :: v_dual_mul_f32 v61, v248, v153
	s_wait_loadcnt_dscnt 0x500
	v_dual_mul_f32 v11, v255, v159 :: v_dual_fmac_f32 v57, v245, v148
	s_delay_alu instid0(VALU_DEP_3) | instskip(NEXT) | instid1(VALU_DEP_3)
	v_dual_fma_f32 v15, v244, v148, -v15 :: v_dual_add_f32 v7, v7, v55
	v_dual_add_f32 v9, v9, v13 :: v_dual_fmac_f32 v59, v247, v150
	v_fma_f32 v17, v246, v150, -v17
	v_dual_mul_f32 v63, v250, v155 :: v_dual_mul_f32 v65, v252, v157
	s_delay_alu instid0(VALU_DEP_3) | instskip(SKIP_2) | instid1(VALU_DEP_2)
	v_dual_add_f32 v7, v7, v57 :: v_dual_add_f32 v9, v9, v15
	v_dual_fma_f32 v15, v248, v152, -v19 :: v_dual_fmac_f32 v61, v249, v152
	s_wait_loadcnt 0x4
	v_dual_mov_b32 v100, v165 :: v_dual_add_f32 v7, v7, v59
	s_delay_alu instid0(VALU_DEP_3)
	v_dual_add_f32 v9, v9, v17 :: v_dual_fmac_f32 v63, v251, v154
	v_fma_f32 v17, v250, v154, -v21
	s_set_vgpr_msb 64                       ;  msbs: dst=1 src0=0 src1=0 src2=0
	v_dual_mul_f32 v13 /*v269*/, v254, v159 :: v_dual_fma_f32 v12 /*v268*/, v254, v158, -v11
	s_set_vgpr_msb 0                        ;  msbs: dst=0 src0=0 src1=0 src2=0
	v_dual_add_f32 v7, v7, v61 :: v_dual_add_f32 v9, v9, v15
	v_dual_fmac_f32 v65, v253, v156 :: v_dual_fma_f32 v15, v252, v156, -v23
	s_set_vgpr_msb 1                        ;  msbs: dst=0 src0=1 src1=0 src2=0
	v_mul_f32_e32 v13, v1 /*v257*/, v161
	s_set_vgpr_msb 0                        ;  msbs: dst=0 src0=0 src1=0 src2=0
	v_dual_add_f32 v7, v7, v63 :: v_dual_add_f32 v9, v9, v17
	s_set_vgpr_msb 0x41                     ;  msbs: dst=1 src0=1 src1=0 src2=0
	v_mul_f32_e32 v15 /*v271*/, v0 /*v256*/, v161
	s_set_vgpr_msb 0                        ;  msbs: dst=0 src0=0 src1=0 src2=0
	v_pk_mul_f32 v[98:99], v[178:179], v[162:163] op_sel:[1,1] op_sel_hi:[0,1]
	s_wait_loadcnt 0x3
	v_dual_mov_b32 v104, v169 :: v_dual_add_f32 v107, v7, v65
	s_set_vgpr_msb 64                       ;  msbs: dst=1 src0=0 src1=0 src2=0
	v_fmac_f32_e32 v13 /*v269*/, v255, v158
	s_set_vgpr_msb 0                        ;  msbs: dst=0 src0=0 src1=0 src2=0
	v_add_f32_e32 v106, v9, v15
	s_set_vgpr_msb 0x41                     ;  msbs: dst=1 src0=1 src1=0 src2=0
	v_fma_f32 v14 /*v270*/, v0 /*v256*/, v160, -v13
	v_fmac_f32_e32 v15 /*v271*/, v1 /*v257*/, v160
	s_set_vgpr_msb 0                        ;  msbs: dst=0 src0=0 src1=0 src2=0
	v_pk_fma_f32 v[108:109], v[178:179], v[162:163], v[98:99] op_sel_hi:[1,0,1]
	s_set_vgpr_msb 1                        ;  msbs: dst=0 src0=1 src1=0 src2=0
	v_pk_mul_f32 v[100:101], v[4:5] /*v[260:261]*/, v[100:101] op_sel_hi:[1,0]
	s_set_vgpr_msb 4                        ;  msbs: dst=0 src0=0 src1=1 src2=0
	v_pk_add_f32 v[106:107], v[106:107], v[12:13] /*v[268:269]*/
	s_set_vgpr_msb 0                        ;  msbs: dst=0 src0=0 src1=0 src2=0
	v_pk_fma_f32 v[98:99], v[178:179], v[162:163], v[98:99] neg_lo:[0,0,1] neg_hi:[0,0,1]
	v_pk_mul_f32 v[102:103], v[182:183], v[166:167] op_sel:[1,1] op_sel_hi:[0,1]
	v_mov_b32_e32 v99, v109
	v_pk_fma_f32 v[108:109], v[180:181], v[164:165], v[100:101] op_sel_hi:[1,0,1]
	s_set_vgpr_msb 4                        ;  msbs: dst=0 src0=0 src1=1 src2=0
	v_pk_add_f32 v[106:107], v[106:107], v[14:15] /*v[270:271]*/
	s_set_vgpr_msb 0                        ;  msbs: dst=0 src0=0 src1=0 src2=0
	v_pk_fma_f32 v[100:101], v[180:181], v[164:165], v[100:101] neg_lo:[0,0,1] neg_hi:[0,0,1]
	v_pk_fma_f32 v[112:113], v[182:183], v[166:167], v[102:103] op_sel_hi:[1,0,1]
	s_set_vgpr_msb 1                        ;  msbs: dst=0 src0=1 src1=0 src2=0
	v_pk_mul_f32 v[104:105], v[6:7] /*v[262:263]*/, v[104:105] op_sel_hi:[1,0]
	s_set_vgpr_msb 0                        ;  msbs: dst=0 src0=0 src1=0 src2=0
	v_mov_b32_e32 v101, v109
	v_pk_add_f32 v[98:99], v[106:107], v[98:99]
	s_wait_loadcnt 0x2
	v_pk_mul_f32 v[110:111], v[194:195], v[170:171] op_sel:[1,1] op_sel_hi:[0,1]
	v_mov_b32_e32 v106, v173
	v_pk_fma_f32 v[102:103], v[182:183], v[166:167], v[102:103] neg_lo:[0,0,1] neg_hi:[0,0,1]
	v_mov_b32_e32 v103, v113
	v_pk_fma_f32 v[108:109], v[184:185], v[168:169], v[104:105] op_sel_hi:[1,0,1]
	v_pk_add_f32 v[98:99], v[98:99], v[100:101]
	v_pk_fma_f32 v[100:101], v[194:195], v[170:171], v[110:111] op_sel_hi:[1,0,1]
	s_set_vgpr_msb 1                        ;  msbs: dst=0 src0=1 src1=0 src2=0
	v_pk_mul_f32 v[106:107], v[8:9] /*v[264:265]*/, v[106:107] op_sel_hi:[1,0]
	s_set_vgpr_msb 0                        ;  msbs: dst=0 src0=0 src1=0 src2=0
	v_pk_fma_f32 v[104:105], v[184:185], v[168:169], v[104:105] neg_lo:[0,0,1] neg_hi:[0,0,1]
	v_mov_b32_e32 v105, v109
	v_pk_add_f32 v[98:99], v[98:99], v[102:103]
	v_pk_fma_f32 v[108:109], v[194:195], v[170:171], v[110:111] neg_lo:[0,0,1] neg_hi:[0,0,1]
	v_mov_b32_e32 v109, v101
	v_pk_fma_f32 v[100:101], v[196:197], v[172:173], v[106:107] op_sel_hi:[1,0,1]
	s_wait_loadcnt 0x1
	v_pk_mul_f32 v[102:103], v[198:199], v[174:175] op_sel:[1,1] op_sel_hi:[0,1]
	v_pk_add_f32 v[98:99], v[98:99], v[104:105]
	v_mov_b32_e32 v100, v177
	v_pk_fma_f32 v[106:107], v[196:197], v[172:173], v[106:107] neg_lo:[0,0,1] neg_hi:[0,0,1]
	v_mov_b32_e32 v107, v101
	v_pk_fma_f32 v[104:105], v[198:199], v[174:175], v[102:103] op_sel_hi:[1,0,1]
	v_pk_add_f32 v[98:99], v[98:99], v[108:109]
	s_set_vgpr_msb 1                        ;  msbs: dst=0 src0=1 src1=0 src2=0
	v_pk_mul_f32 v[100:101], v[10:11] /*v[266:267]*/, v[100:101] op_sel_hi:[1,0]
	s_set_vgpr_msb 0                        ;  msbs: dst=0 src0=0 src1=0 src2=0
	v_pk_fma_f32 v[102:103], v[198:199], v[174:175], v[102:103] neg_lo:[0,0,1] neg_hi:[0,0,1]
	v_mov_b32_e32 v103, v105
	v_pk_add_f32 v[98:99], v[98:99], v[106:107]
	v_pk_fma_f32 v[104:105], v[200:201], v[176:177], v[100:101] op_sel_hi:[1,0,1]
	v_pk_fma_f32 v[100:101], v[200:201], v[176:177], v[100:101] neg_lo:[0,0,1] neg_hi:[0,0,1]
	s_delay_alu instid0(VALU_DEP_2) | instskip(NEXT) | instid1(VALU_DEP_4)
	v_mov_b32_e32 v101, v105
	v_pk_add_f32 v[98:99], v[98:99], v[102:103]
	s_delay_alu instid0(VALU_DEP_1) | instskip(SKIP_2) | instid1(VALU_DEP_1)
	v_pk_add_f32 v[98:99], v[98:99], v[100:101]
	s_wait_loadcnt 0x0
	s_set_vgpr_msb 1                        ;  msbs: dst=0 src0=1 src1=0 src2=0
	v_pk_add_f32 v[98:99], v[2:3] /*v[258:259]*/, v[98:99] neg_lo:[0,1] neg_hi:[0,1]
	scratch_store_b64 off, v[98:99], off offset:56
	s_wait_xcnt 0x0
	v_cmpx_lt_u32_e32 6, v0
	s_set_vgpr_msb 0                        ;  msbs: dst=0 src0=0 src1=0 src2=0
	s_cbranch_execz .LBB111_289
; %bb.288:
	scratch_load_b64 v[98:99], off, off offset:48
	v_mov_b64_e32 v[100:101], 0
	scratch_store_b64 off, v[100:101], off offset:48
	s_wait_loadcnt 0x0
	ds_store_b64 v1, v[98:99]
.LBB111_289:
	s_wait_xcnt 0x0
	s_or_b32 exec_lo, exec_lo, s0
	s_wait_storecnt_dscnt 0x0
	s_barrier_signal -1
	s_barrier_wait -1
	s_clause 0x10
	scratch_load_b128 v[102:105], off, off offset:56
	scratch_load_b128 v[110:113], off, off offset:72
	;; [unrolled: 1-line block ×17, first 2 shown]
	v_mov_b32_e32 v7, 0
	s_mov_b32 s0, exec_lo
	ds_load_2addr_b64 v[98:101], v7 offset0:55 offset1:56
	ds_load_2addr_b64 v[106:109], v7 offset0:57 offset1:58
	s_wait_loadcnt_dscnt 0x1001
	v_mul_f32_e32 v9, v98, v103
	ds_load_2addr_b64 v[210:213], v7 offset0:83 offset1:84
	ds_load_2addr_b64 v[218:221], v7 offset0:85 offset1:86
	v_mul_f32_e32 v11, v100, v105
	ds_load_2addr_b64 v[114:117], v7 offset0:59 offset1:60
	ds_load_2addr_b64 v[122:125], v7 offset0:61 offset1:62
	v_fmac_f32_e32 v9, v99, v102
	ds_load_2addr_b64 v[226:229], v7 offset0:87 offset1:88
	v_fmac_f32_e32 v11, v101, v104
	ds_load_2addr_b64 v[130:133], v7 offset0:63 offset1:64
	ds_load_2addr_b64 v[138:141], v7 offset0:65 offset1:66
	v_add_f32_e32 v9, 0, v9
	ds_load_2addr_b64 v[146:149], v7 offset0:67 offset1:68
	ds_load_2addr_b64 v[154:157], v7 offset0:69 offset1:70
	;; [unrolled: 1-line block ×4, first 2 shown]
	v_add_f32_e32 v9, v9, v11
	s_wait_loadcnt_dscnt 0xf0b
	v_mul_f32_e32 v11, v106, v111
	ds_load_2addr_b64 v[178:181], v7 offset0:75 offset1:76
	ds_load_2addr_b64 v[186:189], v7 offset0:77 offset1:78
	;; [unrolled: 1-line block ×4, first 2 shown]
	s_wait_loadcnt_dscnt 0xd0d
	v_dual_mul_f32 v249, v220, v225 :: v_dual_fmac_f32 v11, v107, v110
	s_clause 0x3
	scratch_load_b128 v[234:237], off, off offset:328
	scratch_load_b128 v[238:241], off, off offset:344
	;; [unrolled: 1-line block ×3, first 2 shown]
	scratch_load_b64 v[252:253], off, off offset:376
	s_wait_loadcnt_dscnt 0xe0a
	v_mul_f32_e32 v251, v226, v231
	v_dual_add_f32 v9, v9, v11 :: v_dual_mul_f32 v11, v108, v113
	s_delay_alu instid0(VALU_DEP_2) | instskip(NEXT) | instid1(VALU_DEP_2)
	v_dual_fmac_f32 v249, v221, v224 :: v_dual_fmac_f32 v251, v227, v230
	v_fmac_f32_e32 v11, v109, v112
	s_delay_alu instid0(VALU_DEP_1) | instskip(SKIP_1) | instid1(VALU_DEP_1)
	v_add_f32_e32 v9, v9, v11
	v_mul_f32_e32 v11, v114, v119
	v_fmac_f32_e32 v11, v115, v118
	s_delay_alu instid0(VALU_DEP_1) | instskip(NEXT) | instid1(VALU_DEP_1)
	v_dual_add_f32 v9, v9, v11 :: v_dual_mul_f32 v11, v116, v121
	v_fmac_f32_e32 v11, v117, v120
	s_delay_alu instid0(VALU_DEP_1) | instskip(SKIP_1) | instid1(VALU_DEP_1)
	v_add_f32_e32 v9, v9, v11
	v_mul_f32_e32 v11, v122, v127
	v_fmac_f32_e32 v11, v123, v126
	s_delay_alu instid0(VALU_DEP_1) | instskip(NEXT) | instid1(VALU_DEP_1)
	v_dual_add_f32 v9, v9, v11 :: v_dual_mul_f32 v11, v124, v129
	v_fmac_f32_e32 v11, v125, v128
	s_delay_alu instid0(VALU_DEP_1) | instskip(SKIP_2) | instid1(VALU_DEP_1)
	v_add_f32_e32 v9, v9, v11
	s_wait_loadcnt_dscnt 0xd09
	v_mul_f32_e32 v11, v130, v135
	v_fmac_f32_e32 v11, v131, v134
	s_delay_alu instid0(VALU_DEP_1) | instskip(NEXT) | instid1(VALU_DEP_1)
	v_dual_add_f32 v9, v9, v11 :: v_dual_mul_f32 v11, v132, v137
	v_fmac_f32_e32 v11, v133, v136
	s_delay_alu instid0(VALU_DEP_1) | instskip(SKIP_2) | instid1(VALU_DEP_1)
	v_add_f32_e32 v9, v9, v11
	s_wait_loadcnt_dscnt 0xc08
	;; [unrolled: 8-line block ×10, first 2 shown]
	v_mul_f32_e32 v11, v202, v207
	v_fmac_f32_e32 v11, v203, v206
	s_delay_alu instid0(VALU_DEP_1) | instskip(NEXT) | instid1(VALU_DEP_1)
	v_dual_add_f32 v9, v9, v11 :: v_dual_mul_f32 v11, v204, v209
	v_fmac_f32_e32 v11, v205, v208
	s_delay_alu instid0(VALU_DEP_1) | instskip(SKIP_1) | instid1(VALU_DEP_1)
	v_add_f32_e32 v9, v9, v11
	v_mul_f32_e32 v11, v210, v215
	v_fmac_f32_e32 v11, v211, v214
	s_delay_alu instid0(VALU_DEP_1) | instskip(NEXT) | instid1(VALU_DEP_1)
	v_dual_add_f32 v9, v9, v11 :: v_dual_mul_f32 v11, v212, v217
	v_fmac_f32_e32 v11, v213, v216
	s_delay_alu instid0(VALU_DEP_1) | instskip(SKIP_1) | instid1(VALU_DEP_1)
	v_add_f32_e32 v9, v9, v11
	v_mul_f32_e32 v11, v218, v223
	v_fmac_f32_e32 v11, v219, v222
	s_delay_alu instid0(VALU_DEP_1) | instskip(SKIP_1) | instid1(VALU_DEP_1)
	v_add_f32_e32 v247, v9, v11
	v_dual_mul_f32 v9, v99, v103 :: v_dual_mul_f32 v11, v101, v105
	v_dual_fma_f32 v9, v98, v102, -v9 :: v_dual_fma_f32 v11, v100, v104, -v11
	s_delay_alu instid0(VALU_DEP_1) | instskip(NEXT) | instid1(VALU_DEP_1)
	v_add_f32_e32 v9, 0, v9
	v_add_f32_e32 v9, v9, v11
	v_mul_f32_e32 v11, v107, v111
	s_delay_alu instid0(VALU_DEP_1) | instskip(NEXT) | instid1(VALU_DEP_1)
	v_fma_f32 v11, v106, v110, -v11
	v_add_f32_e32 v9, v9, v11
	v_mul_f32_e32 v11, v109, v113
	s_delay_alu instid0(VALU_DEP_1)
	v_fma_f32 v11, v108, v112, -v11
	ds_load_2addr_b64 v[98:101], v7 offset0:89 offset1:90
	ds_load_2addr_b64 v[102:105], v7 offset0:91 offset1:92
	;; [unrolled: 1-line block ×3, first 2 shown]
	ds_load_b64 v[110:111], v7 offset:760
	v_add_f32_e32 v9, v9, v11
	v_dual_mul_f32 v11, v115, v119 :: v_dual_mov_b32 v115, v228
	s_delay_alu instid0(VALU_DEP_1) | instskip(NEXT) | instid1(VALU_DEP_1)
	v_dual_fma_f32 v11, v114, v118, -v11 :: v_dual_mov_b32 v114, v229
	v_add_f32_e32 v9, v9, v11
	v_mul_f32_e32 v11, v117, v121
	s_delay_alu instid0(VALU_DEP_1) | instskip(NEXT) | instid1(VALU_DEP_1)
	v_dual_fma_f32 v11, v116, v120, -v11 :: v_dual_mov_b32 v116, v233
	v_add_f32_e32 v9, v9, v11
	v_mul_f32_e32 v11, v123, v127
	s_delay_alu instid0(VALU_DEP_3) | instskip(NEXT) | instid1(VALU_DEP_2)
	v_pk_mul_f32 v[114:115], v[114:115], v[116:117] op_sel_hi:[1,0]
	v_fma_f32 v11, v122, v126, -v11
	s_delay_alu instid0(VALU_DEP_2) | instskip(SKIP_1) | instid1(VALU_DEP_3)
	v_pk_fma_f32 v[116:117], v[228:229], v[232:233], v[114:115] neg_lo:[0,0,1] neg_hi:[0,0,1]
	v_pk_fma_f32 v[114:115], v[228:229], v[232:233], v[114:115] op_sel_hi:[1,0,1]
	v_add_f32_e32 v9, v9, v11
	s_delay_alu instid0(VALU_DEP_2) | instskip(SKIP_2) | instid1(VALU_DEP_2)
	v_dual_mul_f32 v11, v125, v129 :: v_dual_mov_b32 v117, v115
	s_wait_loadcnt_dscnt 0x303
	v_pk_mul_f32 v[114:115], v[98:99], v[234:235] op_sel:[1,1] op_sel_hi:[0,1]
	v_fma_f32 v11, v124, v128, -v11
	s_delay_alu instid0(VALU_DEP_1) | instskip(SKIP_1) | instid1(VALU_DEP_1)
	v_add_f32_e32 v9, v9, v11
	v_mul_f32_e32 v11, v131, v135
	v_fma_f32 v11, v130, v134, -v11
	s_delay_alu instid0(VALU_DEP_1) | instskip(SKIP_1) | instid1(VALU_DEP_1)
	v_add_f32_e32 v9, v9, v11
	v_mul_f32_e32 v11, v133, v137
	;; [unrolled: 4-line block ×24, first 2 shown]
	v_dual_fma_f32 v248, v220, v224, -v9 :: v_dual_mul_f32 v9, v227, v231
	s_delay_alu instid0(VALU_DEP_1) | instskip(NEXT) | instid1(VALU_DEP_2)
	v_pk_add_f32 v[112:113], v[246:247], v[248:249]
	v_fma_f32 v250, v226, v230, -v9
	s_delay_alu instid0(VALU_DEP_1) | instskip(NEXT) | instid1(VALU_DEP_1)
	v_pk_add_f32 v[112:113], v[112:113], v[250:251]
	v_pk_add_f32 v[112:113], v[112:113], v[116:117]
	v_pk_fma_f32 v[116:117], v[98:99], v[234:235], v[114:115] neg_lo:[0,0,1] neg_hi:[0,0,1]
	v_pk_fma_f32 v[98:99], v[98:99], v[234:235], v[114:115] op_sel_hi:[1,0,1]
	s_delay_alu instid0(VALU_DEP_1) | instskip(NEXT) | instid1(VALU_DEP_1)
	v_dual_mov_b32 v114, v237 :: v_dual_mov_b32 v117, v99
	v_pk_add_f32 v[98:99], v[112:113], v[116:117]
	v_dual_mov_b32 v112, v101 :: v_dual_mov_b32 v113, v100
	s_delay_alu instid0(VALU_DEP_1) | instskip(NEXT) | instid1(VALU_DEP_1)
	v_pk_mul_f32 v[112:113], v[112:113], v[114:115] op_sel_hi:[1,0]
	v_pk_fma_f32 v[114:115], v[100:101], v[236:237], v[112:113] neg_lo:[0,0,1] neg_hi:[0,0,1]
	v_pk_fma_f32 v[100:101], v[100:101], v[236:237], v[112:113] op_sel_hi:[1,0,1]
	s_delay_alu instid0(VALU_DEP_1) | instskip(SKIP_2) | instid1(VALU_DEP_2)
	v_mov_b32_e32 v115, v101
	s_wait_loadcnt_dscnt 0x202
	v_pk_mul_f32 v[100:101], v[102:103], v[238:239] op_sel:[1,1] op_sel_hi:[0,1]
	v_pk_add_f32 v[98:99], v[98:99], v[114:115]
	s_delay_alu instid0(VALU_DEP_2) | instskip(SKIP_2) | instid1(VALU_DEP_2)
	v_pk_fma_f32 v[112:113], v[102:103], v[238:239], v[100:101] neg_lo:[0,0,1] neg_hi:[0,0,1]
	v_pk_fma_f32 v[100:101], v[102:103], v[238:239], v[100:101] op_sel_hi:[1,0,1]
	v_dual_mov_b32 v100, v105 :: v_dual_mov_b32 v102, v241
	v_dual_mov_b32 v113, v101 :: v_dual_mov_b32 v101, v104
	s_delay_alu instid0(VALU_DEP_1) | instskip(NEXT) | instid1(VALU_DEP_2)
	v_pk_add_f32 v[98:99], v[98:99], v[112:113]
	v_pk_mul_f32 v[100:101], v[100:101], v[102:103] op_sel_hi:[1,0]
	s_delay_alu instid0(VALU_DEP_1) | instskip(SKIP_1) | instid1(VALU_DEP_1)
	v_pk_fma_f32 v[102:103], v[104:105], v[240:241], v[100:101] neg_lo:[0,0,1] neg_hi:[0,0,1]
	v_pk_fma_f32 v[100:101], v[104:105], v[240:241], v[100:101] op_sel_hi:[1,0,1]
	v_mov_b32_e32 v103, v101
	s_wait_loadcnt_dscnt 0x101
	v_pk_mul_f32 v[100:101], v[106:107], v[242:243] op_sel:[1,1] op_sel_hi:[0,1]
	s_delay_alu instid0(VALU_DEP_2) | instskip(NEXT) | instid1(VALU_DEP_2)
	v_pk_add_f32 v[98:99], v[98:99], v[102:103]
	v_pk_fma_f32 v[102:103], v[106:107], v[242:243], v[100:101] neg_lo:[0,0,1] neg_hi:[0,0,1]
	v_pk_fma_f32 v[100:101], v[106:107], v[242:243], v[100:101] op_sel_hi:[1,0,1]
	s_delay_alu instid0(VALU_DEP_1) | instskip(SKIP_1) | instid1(VALU_DEP_2)
	v_dual_mov_b32 v100, v109 :: v_dual_mov_b32 v103, v101
	v_mov_b32_e32 v101, v108
	v_pk_add_f32 v[98:99], v[98:99], v[102:103]
	v_mov_b32_e32 v102, v245
	s_delay_alu instid0(VALU_DEP_1) | instskip(NEXT) | instid1(VALU_DEP_1)
	v_pk_mul_f32 v[100:101], v[100:101], v[102:103] op_sel_hi:[1,0]
	v_pk_fma_f32 v[102:103], v[108:109], v[244:245], v[100:101] neg_lo:[0,0,1] neg_hi:[0,0,1]
	v_pk_fma_f32 v[100:101], v[108:109], v[244:245], v[100:101] op_sel_hi:[1,0,1]
	s_delay_alu instid0(VALU_DEP_1) | instskip(SKIP_2) | instid1(VALU_DEP_2)
	v_mov_b32_e32 v103, v101
	s_wait_loadcnt_dscnt 0x0
	v_pk_mul_f32 v[100:101], v[110:111], v[252:253] op_sel:[1,1] op_sel_hi:[0,1]
	v_pk_add_f32 v[98:99], v[98:99], v[102:103]
	s_delay_alu instid0(VALU_DEP_2) | instskip(SKIP_1) | instid1(VALU_DEP_1)
	v_pk_fma_f32 v[102:103], v[110:111], v[252:253], v[100:101] neg_lo:[0,0,1] neg_hi:[0,0,1]
	v_pk_fma_f32 v[100:101], v[110:111], v[252:253], v[100:101] op_sel_hi:[1,0,1]
	v_mov_b32_e32 v103, v101
	scratch_load_b64 v[100:101], off, off offset:48
	v_pk_add_f32 v[98:99], v[98:99], v[102:103]
	s_wait_loadcnt 0x0
	s_delay_alu instid0(VALU_DEP_1)
	v_pk_add_f32 v[98:99], v[100:101], v[98:99] neg_lo:[0,1] neg_hi:[0,1]
	scratch_store_b64 off, v[98:99], off offset:48
	s_wait_xcnt 0x0
	v_cmpx_lt_u32_e32 5, v0
	s_cbranch_execz .LBB111_291
; %bb.290:
	scratch_load_b64 v[98:99], off, off offset:40
	v_mov_b64_e32 v[100:101], 0
	scratch_store_b64 off, v[100:101], off offset:40
	s_wait_loadcnt 0x0
	ds_store_b64 v1, v[98:99]
.LBB111_291:
	s_wait_xcnt 0x0
	s_or_b32 exec_lo, exec_lo, s0
	s_wait_storecnt_dscnt 0x0
	s_barrier_signal -1
	s_barrier_wait -1
	ds_load_b128 v[98:101], v7 offset:432
	ds_load_b128 v[102:105], v7 offset:448
	;; [unrolled: 1-line block ×4, first 2 shown]
	s_clause 0x10
	scratch_load_b128 v[114:117], off, off offset:48
	scratch_load_b128 v[118:121], off, off offset:64
	;; [unrolled: 1-line block ×17, first 2 shown]
	ds_load_b128 v[226:229], v7 offset:688
	ds_load_b128 v[130:133], v7 offset:496
	ds_load_b128 v[138:141], v7 offset:512
	ds_load_b128 v[146:149], v7 offset:528
	ds_load_b128 v[154:157], v7 offset:544
	ds_load_b128 v[162:165], v7 offset:560
	ds_load_b128 v[170:173], v7 offset:576
	ds_load_b128 v[178:181], v7 offset:592
	ds_load_b128 v[186:189], v7 offset:608
	ds_load_b128 v[194:197], v7 offset:624
	ds_load_b128 v[202:205], v7 offset:640
	ds_load_b128 v[210:213], v7 offset:656
	ds_load_b128 v[218:221], v7 offset:672
	s_clause 0x3
	scratch_load_b128 v[234:237], off, off offset:320
	scratch_load_b128 v[238:241], off, off offset:336
	scratch_load_b128 v[242:245], off, off offset:352
	scratch_load_b128 v[246:249], off, off offset:368
	s_mov_b32 s0, exec_lo
	s_wait_loadcnt_dscnt 0x1410
	v_dual_mul_f32 v9, v98, v115 :: v_dual_mul_f32 v11, v100, v117
	s_wait_loadcnt_dscnt 0x100c
	s_delay_alu instid0(VALU_DEP_1) | instskip(NEXT) | instid1(VALU_DEP_2)
	v_dual_mul_f32 v253, v226, v231 :: v_dual_fmac_f32 v9, v99, v114
	v_dual_fmac_f32 v11, v101, v116 :: v_dual_mul_f32 v255, v228, v233
	s_delay_alu instid0(VALU_DEP_2) | instskip(NEXT) | instid1(VALU_DEP_2)
	v_dual_fmac_f32 v253, v227, v230 :: v_dual_add_f32 v9, 0, v9
	v_fmac_f32_e32 v255, v229, v232
	s_delay_alu instid0(VALU_DEP_2) | instskip(SKIP_1) | instid1(VALU_DEP_1)
	v_add_f32_e32 v9, v9, v11
	v_mul_f32_e32 v11, v102, v119
	v_fmac_f32_e32 v11, v103, v118
	s_delay_alu instid0(VALU_DEP_1) | instskip(NEXT) | instid1(VALU_DEP_1)
	v_dual_add_f32 v9, v9, v11 :: v_dual_mul_f32 v11, v104, v121
	v_fmac_f32_e32 v11, v105, v120
	s_delay_alu instid0(VALU_DEP_1) | instskip(SKIP_1) | instid1(VALU_DEP_1)
	v_add_f32_e32 v9, v9, v11
	v_mul_f32_e32 v11, v106, v123
	v_fmac_f32_e32 v11, v107, v122
	s_delay_alu instid0(VALU_DEP_1) | instskip(NEXT) | instid1(VALU_DEP_1)
	v_dual_add_f32 v9, v9, v11 :: v_dual_mul_f32 v11, v108, v125
	v_fmac_f32_e32 v11, v109, v124
	s_delay_alu instid0(VALU_DEP_1) | instskip(SKIP_1) | instid1(VALU_DEP_1)
	v_add_f32_e32 v9, v9, v11
	v_mul_f32_e32 v11, v110, v127
	v_fmac_f32_e32 v11, v111, v126
	s_delay_alu instid0(VALU_DEP_1) | instskip(NEXT) | instid1(VALU_DEP_1)
	v_dual_add_f32 v9, v9, v11 :: v_dual_mul_f32 v11, v112, v129
	v_fmac_f32_e32 v11, v113, v128
	s_delay_alu instid0(VALU_DEP_1) | instskip(SKIP_2) | instid1(VALU_DEP_1)
	v_add_f32_e32 v9, v9, v11
	s_wait_loadcnt_dscnt 0xf0b
	v_mul_f32_e32 v11, v130, v135
	v_fmac_f32_e32 v11, v131, v134
	s_delay_alu instid0(VALU_DEP_1) | instskip(NEXT) | instid1(VALU_DEP_1)
	v_dual_add_f32 v9, v9, v11 :: v_dual_mul_f32 v11, v132, v137
	v_fmac_f32_e32 v11, v133, v136
	s_delay_alu instid0(VALU_DEP_1) | instskip(SKIP_2) | instid1(VALU_DEP_1)
	v_add_f32_e32 v9, v9, v11
	s_wait_loadcnt_dscnt 0xe0a
	;; [unrolled: 8-line block ×12, first 2 shown]
	v_mul_f32_e32 v11, v218, v223
	v_fmac_f32_e32 v11, v219, v222
	s_delay_alu instid0(VALU_DEP_1) | instskip(NEXT) | instid1(VALU_DEP_1)
	v_dual_add_f32 v9, v9, v11 :: v_dual_mul_f32 v11, v220, v225
	v_fmac_f32_e32 v11, v221, v224
	s_delay_alu instid0(VALU_DEP_1) | instskip(SKIP_1) | instid1(VALU_DEP_1)
	v_add_f32_e32 v251, v9, v11
	v_dual_mul_f32 v9, v99, v115 :: v_dual_mul_f32 v11, v101, v117
	v_dual_fma_f32 v9, v98, v114, -v9 :: v_dual_fma_f32 v11, v100, v116, -v11
	s_delay_alu instid0(VALU_DEP_1) | instskip(NEXT) | instid1(VALU_DEP_1)
	v_add_f32_e32 v9, 0, v9
	v_add_f32_e32 v9, v9, v11
	v_mul_f32_e32 v11, v103, v119
	s_delay_alu instid0(VALU_DEP_1) | instskip(NEXT) | instid1(VALU_DEP_1)
	v_fma_f32 v11, v102, v118, -v11
	v_add_f32_e32 v9, v9, v11
	v_mul_f32_e32 v11, v105, v121
	s_delay_alu instid0(VALU_DEP_1) | instskip(NEXT) | instid1(VALU_DEP_1)
	v_fma_f32 v11, v104, v120, -v11
	;; [unrolled: 4-line block ×5, first 2 shown]
	v_add_f32_e32 v9, v9, v11
	v_mul_f32_e32 v11, v113, v129
	s_delay_alu instid0(VALU_DEP_1)
	v_fma_f32 v11, v112, v128, -v11
	ds_load_b128 v[98:101], v7 offset:704
	ds_load_b128 v[102:105], v7 offset:720
	;; [unrolled: 1-line block ×4, first 2 shown]
	v_add_f32_e32 v9, v9, v11
	v_mul_f32_e32 v11, v131, v135
	s_delay_alu instid0(VALU_DEP_1) | instskip(NEXT) | instid1(VALU_DEP_1)
	v_fma_f32 v11, v130, v134, -v11
	v_add_f32_e32 v9, v9, v11
	v_mul_f32_e32 v11, v133, v137
	s_wait_loadcnt_dscnt 0x303
	v_pk_mul_f32 v[116:117], v[98:99], v[234:235] op_sel:[1,1] op_sel_hi:[0,1]
	s_delay_alu instid0(VALU_DEP_2) | instskip(NEXT) | instid1(VALU_DEP_2)
	v_fma_f32 v11, v132, v136, -v11
	v_pk_fma_f32 v[118:119], v[98:99], v[234:235], v[116:117] neg_lo:[0,0,1] neg_hi:[0,0,1]
	v_pk_fma_f32 v[98:99], v[98:99], v[234:235], v[116:117] op_sel_hi:[1,0,1]
	v_mov_b32_e32 v116, v237
	s_delay_alu instid0(VALU_DEP_4) | instskip(SKIP_1) | instid1(VALU_DEP_1)
	v_add_f32_e32 v9, v9, v11
	v_mul_f32_e32 v11, v139, v143
	v_dual_mov_b32 v119, v99 :: v_dual_fma_f32 v11, v138, v142, -v11
	s_delay_alu instid0(VALU_DEP_1) | instskip(SKIP_1) | instid1(VALU_DEP_1)
	v_add_f32_e32 v9, v9, v11
	v_mul_f32_e32 v11, v141, v145
	v_fma_f32 v11, v140, v144, -v11
	s_delay_alu instid0(VALU_DEP_1) | instskip(SKIP_1) | instid1(VALU_DEP_1)
	v_add_f32_e32 v9, v9, v11
	v_mul_f32_e32 v11, v147, v151
	v_fma_f32 v11, v146, v150, -v11
	;; [unrolled: 4-line block ×21, first 2 shown]
	s_delay_alu instid0(VALU_DEP_1) | instskip(SKIP_1) | instid1(VALU_DEP_1)
	v_add_f32_e32 v250, v9, v11
	v_mul_f32_e32 v9, v227, v231
	v_dual_fma_f32 v252, v226, v230, -v9 :: v_dual_mul_f32 v9, v229, v233
	s_delay_alu instid0(VALU_DEP_1) | instskip(NEXT) | instid1(VALU_DEP_2)
	v_pk_add_f32 v[114:115], v[250:251], v[252:253]
	v_fma_f32 v254, v228, v232, -v9
	s_delay_alu instid0(VALU_DEP_1) | instskip(NEXT) | instid1(VALU_DEP_1)
	v_pk_add_f32 v[114:115], v[114:115], v[254:255]
	v_pk_add_f32 v[98:99], v[114:115], v[118:119]
	v_dual_mov_b32 v114, v101 :: v_dual_mov_b32 v115, v100
	s_delay_alu instid0(VALU_DEP_1) | instskip(NEXT) | instid1(VALU_DEP_1)
	v_pk_mul_f32 v[114:115], v[114:115], v[116:117] op_sel_hi:[1,0]
	v_pk_fma_f32 v[116:117], v[100:101], v[236:237], v[114:115] neg_lo:[0,0,1] neg_hi:[0,0,1]
	v_pk_fma_f32 v[100:101], v[100:101], v[236:237], v[114:115] op_sel_hi:[1,0,1]
	s_delay_alu instid0(VALU_DEP_1) | instskip(SKIP_2) | instid1(VALU_DEP_2)
	v_mov_b32_e32 v117, v101
	s_wait_loadcnt_dscnt 0x202
	v_pk_mul_f32 v[100:101], v[102:103], v[238:239] op_sel:[1,1] op_sel_hi:[0,1]
	v_pk_add_f32 v[98:99], v[98:99], v[116:117]
	s_delay_alu instid0(VALU_DEP_2) | instskip(SKIP_2) | instid1(VALU_DEP_2)
	v_pk_fma_f32 v[114:115], v[102:103], v[238:239], v[100:101] neg_lo:[0,0,1] neg_hi:[0,0,1]
	v_pk_fma_f32 v[100:101], v[102:103], v[238:239], v[100:101] op_sel_hi:[1,0,1]
	v_dual_mov_b32 v100, v105 :: v_dual_mov_b32 v102, v241
	v_dual_mov_b32 v115, v101 :: v_dual_mov_b32 v101, v104
	s_delay_alu instid0(VALU_DEP_1) | instskip(NEXT) | instid1(VALU_DEP_2)
	v_pk_add_f32 v[98:99], v[98:99], v[114:115]
	v_pk_mul_f32 v[100:101], v[100:101], v[102:103] op_sel_hi:[1,0]
	s_delay_alu instid0(VALU_DEP_1) | instskip(SKIP_1) | instid1(VALU_DEP_1)
	v_pk_fma_f32 v[102:103], v[104:105], v[240:241], v[100:101] neg_lo:[0,0,1] neg_hi:[0,0,1]
	v_pk_fma_f32 v[100:101], v[104:105], v[240:241], v[100:101] op_sel_hi:[1,0,1]
	v_mov_b32_e32 v103, v101
	s_wait_loadcnt_dscnt 0x101
	v_pk_mul_f32 v[100:101], v[106:107], v[242:243] op_sel:[1,1] op_sel_hi:[0,1]
	s_delay_alu instid0(VALU_DEP_2) | instskip(NEXT) | instid1(VALU_DEP_2)
	v_pk_add_f32 v[98:99], v[98:99], v[102:103]
	v_pk_fma_f32 v[102:103], v[106:107], v[242:243], v[100:101] neg_lo:[0,0,1] neg_hi:[0,0,1]
	v_pk_fma_f32 v[100:101], v[106:107], v[242:243], v[100:101] op_sel_hi:[1,0,1]
	s_delay_alu instid0(VALU_DEP_1) | instskip(SKIP_1) | instid1(VALU_DEP_2)
	v_dual_mov_b32 v100, v109 :: v_dual_mov_b32 v103, v101
	v_mov_b32_e32 v101, v108
	v_pk_add_f32 v[98:99], v[98:99], v[102:103]
	v_mov_b32_e32 v102, v245
	s_delay_alu instid0(VALU_DEP_1) | instskip(NEXT) | instid1(VALU_DEP_1)
	v_pk_mul_f32 v[100:101], v[100:101], v[102:103] op_sel_hi:[1,0]
	v_pk_fma_f32 v[102:103], v[108:109], v[244:245], v[100:101] neg_lo:[0,0,1] neg_hi:[0,0,1]
	v_pk_fma_f32 v[100:101], v[108:109], v[244:245], v[100:101] op_sel_hi:[1,0,1]
	s_delay_alu instid0(VALU_DEP_1) | instskip(SKIP_2) | instid1(VALU_DEP_2)
	v_mov_b32_e32 v103, v101
	s_wait_loadcnt_dscnt 0x0
	v_pk_mul_f32 v[100:101], v[110:111], v[246:247] op_sel:[1,1] op_sel_hi:[0,1]
	v_pk_add_f32 v[98:99], v[98:99], v[102:103]
	s_delay_alu instid0(VALU_DEP_2) | instskip(SKIP_1) | instid1(VALU_DEP_1)
	v_pk_fma_f32 v[102:103], v[110:111], v[246:247], v[100:101] neg_lo:[0,0,1] neg_hi:[0,0,1]
	v_pk_fma_f32 v[100:101], v[110:111], v[246:247], v[100:101] op_sel_hi:[1,0,1]
	v_dual_mov_b32 v100, v113 :: v_dual_mov_b32 v103, v101
	v_mov_b32_e32 v101, v112
	s_delay_alu instid0(VALU_DEP_2) | instskip(SKIP_1) | instid1(VALU_DEP_1)
	v_pk_add_f32 v[98:99], v[98:99], v[102:103]
	v_mov_b32_e32 v102, v249
	v_pk_mul_f32 v[100:101], v[100:101], v[102:103] op_sel_hi:[1,0]
	s_delay_alu instid0(VALU_DEP_1) | instskip(SKIP_1) | instid1(VALU_DEP_1)
	v_pk_fma_f32 v[102:103], v[112:113], v[248:249], v[100:101] neg_lo:[0,0,1] neg_hi:[0,0,1]
	v_pk_fma_f32 v[100:101], v[112:113], v[248:249], v[100:101] op_sel_hi:[1,0,1]
	v_mov_b32_e32 v103, v101
	scratch_load_b64 v[100:101], off, off offset:40
	v_pk_add_f32 v[98:99], v[98:99], v[102:103]
	s_wait_loadcnt 0x0
	s_delay_alu instid0(VALU_DEP_1)
	v_pk_add_f32 v[98:99], v[100:101], v[98:99] neg_lo:[0,1] neg_hi:[0,1]
	scratch_store_b64 off, v[98:99], off offset:40
	s_wait_xcnt 0x0
	v_cmpx_lt_u32_e32 4, v0
	s_cbranch_execz .LBB111_293
; %bb.292:
	scratch_load_b64 v[98:99], off, off offset:32
	v_mov_b64_e32 v[100:101], 0
	scratch_store_b64 off, v[100:101], off offset:32
	s_wait_loadcnt 0x0
	ds_store_b64 v1, v[98:99]
.LBB111_293:
	s_wait_xcnt 0x0
	s_or_b32 exec_lo, exec_lo, s0
	s_wait_storecnt_dscnt 0x0
	s_barrier_signal -1
	s_barrier_wait -1
	s_clause 0xf
	scratch_load_b128 v[102:105], off, off offset:40
	scratch_load_b128 v[110:113], off, off offset:56
	;; [unrolled: 1-line block ×16, first 2 shown]
	v_mov_b32_e32 v7, 0
	s_clause 0x1
	scratch_load_b128 v[230:233], off, off offset:296
	scratch_load_b128 v[238:241], off, off offset:312
	s_mov_b32 s0, exec_lo
	ds_load_2addr_b64 v[98:101], v7 offset0:53 offset1:54
	ds_load_2addr_b64 v[106:109], v7 offset0:55 offset1:56
	s_wait_loadcnt_dscnt 0x1101
	v_dual_mul_f32 v9, v98, v103 :: v_dual_mul_f32 v11, v100, v105
	ds_load_2addr_b64 v[114:117], v7 offset0:57 offset1:58
	ds_load_2addr_b64 v[122:125], v7 offset0:59 offset1:60
	;; [unrolled: 1-line block ×4, first 2 shown]
	v_dual_fmac_f32 v9, v99, v102 :: v_dual_fmac_f32 v11, v101, v104
	ds_load_2addr_b64 v[130:133], v7 offset0:61 offset1:62
	ds_load_2addr_b64 v[138:141], v7 offset0:63 offset1:64
	;; [unrolled: 1-line block ×4, first 2 shown]
	v_add_f32_e32 v9, 0, v9
	ds_load_2addr_b64 v[162:165], v7 offset0:69 offset1:70
	ds_load_2addr_b64 v[170:173], v7 offset0:71 offset1:72
	ds_load_2addr_b64 v[178:181], v7 offset0:73 offset1:74
	ds_load_2addr_b64 v[186:189], v7 offset0:75 offset1:76
	v_add_f32_e32 v9, v9, v11
	s_wait_loadcnt_dscnt 0x100c
	v_mul_f32_e32 v11, v106, v111
	ds_load_2addr_b64 v[194:197], v7 offset0:77 offset1:78
	ds_load_2addr_b64 v[202:205], v7 offset0:79 offset1:80
	;; [unrolled: 1-line block ×4, first 2 shown]
	v_fmac_f32_e32 v11, v107, v110
	s_clause 0x4
	scratch_load_b128 v[242:245], off, off offset:328
	scratch_load_b128 v[246:249], off, off offset:344
	;; [unrolled: 1-line block ×3, first 2 shown]
	s_set_vgpr_msb 64                       ;  msbs: dst=1 src0=0 src1=0 src2=0
	scratch_load_b64 v[4:5] /*v[260:261]*/, off, off offset:376
	s_wait_loadcnt_dscnt 0x40c
	v_dual_mul_f32 v1 /*v257*/, v228, v233 :: v_dual_mul_f32 v3 /*v259*/, v234, v239
	s_set_vgpr_msb 0                        ;  msbs: dst=0 src0=0 src1=0 src2=0
	v_dual_add_f32 v9, v9, v11 :: v_dual_mul_f32 v11, v108, v113
	s_set_vgpr_msb 64                       ;  msbs: dst=1 src0=0 src1=0 src2=0
	s_delay_alu instid0(VALU_DEP_2) | instskip(SKIP_1) | instid1(VALU_DEP_2)
	v_dual_fmac_f32 v1 /*v257*/, v229, v232 :: v_dual_fmac_f32 v3 /*v259*/, v235, v238
	s_set_vgpr_msb 0                        ;  msbs: dst=0 src0=0 src1=0 src2=0
	v_fmac_f32_e32 v11, v109, v112
	s_delay_alu instid0(VALU_DEP_1) | instskip(SKIP_1) | instid1(VALU_DEP_1)
	v_add_f32_e32 v9, v9, v11
	v_mul_f32_e32 v11, v114, v119
	v_fmac_f32_e32 v11, v115, v118
	s_delay_alu instid0(VALU_DEP_1) | instskip(NEXT) | instid1(VALU_DEP_1)
	v_dual_add_f32 v9, v9, v11 :: v_dual_mul_f32 v11, v116, v121
	v_fmac_f32_e32 v11, v117, v120
	s_delay_alu instid0(VALU_DEP_1) | instskip(SKIP_1) | instid1(VALU_DEP_1)
	v_add_f32_e32 v9, v9, v11
	v_mul_f32_e32 v11, v122, v127
	v_fmac_f32_e32 v11, v123, v126
	s_delay_alu instid0(VALU_DEP_1) | instskip(NEXT) | instid1(VALU_DEP_1)
	v_dual_add_f32 v9, v9, v11 :: v_dual_mul_f32 v11, v124, v129
	v_fmac_f32_e32 v11, v125, v128
	s_delay_alu instid0(VALU_DEP_1) | instskip(SKIP_2) | instid1(VALU_DEP_1)
	v_add_f32_e32 v9, v9, v11
	s_wait_dscnt 0xb
	v_mul_f32_e32 v11, v130, v135
	v_fmac_f32_e32 v11, v131, v134
	s_delay_alu instid0(VALU_DEP_1) | instskip(NEXT) | instid1(VALU_DEP_1)
	v_dual_add_f32 v9, v9, v11 :: v_dual_mul_f32 v11, v132, v137
	v_fmac_f32_e32 v11, v133, v136
	s_delay_alu instid0(VALU_DEP_1) | instskip(SKIP_2) | instid1(VALU_DEP_1)
	v_add_f32_e32 v9, v9, v11
	s_wait_dscnt 0xa
	;; [unrolled: 8-line block ×12, first 2 shown]
	v_mul_f32_e32 v11, v218, v223
	v_fmac_f32_e32 v11, v219, v222
	s_delay_alu instid0(VALU_DEP_1) | instskip(NEXT) | instid1(VALU_DEP_1)
	v_dual_add_f32 v9, v9, v11 :: v_dual_mul_f32 v11, v220, v225
	v_fmac_f32_e32 v11, v221, v224
	s_delay_alu instid0(VALU_DEP_1) | instskip(SKIP_1) | instid1(VALU_DEP_1)
	v_add_f32_e32 v9, v9, v11
	v_mul_f32_e32 v11, v226, v231
	v_fmac_f32_e32 v11, v227, v230
	s_delay_alu instid0(VALU_DEP_1) | instskip(SKIP_1) | instid1(VALU_DEP_1)
	v_add_f32_e32 v255, v9, v11
	v_dual_mul_f32 v9, v99, v103 :: v_dual_mul_f32 v11, v101, v105
	v_dual_fma_f32 v9, v98, v102, -v9 :: v_dual_fma_f32 v11, v100, v104, -v11
	s_delay_alu instid0(VALU_DEP_1) | instskip(NEXT) | instid1(VALU_DEP_1)
	v_add_f32_e32 v9, 0, v9
	v_add_f32_e32 v9, v9, v11
	v_mul_f32_e32 v11, v107, v111
	s_delay_alu instid0(VALU_DEP_1) | instskip(NEXT) | instid1(VALU_DEP_1)
	v_fma_f32 v11, v106, v110, -v11
	v_add_f32_e32 v9, v9, v11
	v_mul_f32_e32 v11, v109, v113
	s_delay_alu instid0(VALU_DEP_1)
	v_fma_f32 v11, v108, v112, -v11
	ds_load_2addr_b64 v[98:101], v7 offset0:89 offset1:90
	ds_load_2addr_b64 v[102:105], v7 offset0:91 offset1:92
	;; [unrolled: 1-line block ×3, first 2 shown]
	ds_load_b64 v[110:111], v7 offset:760
	v_add_f32_e32 v9, v9, v11
	v_dual_mul_f32 v11, v115, v119 :: v_dual_mov_b32 v115, v236
	s_delay_alu instid0(VALU_DEP_1) | instskip(NEXT) | instid1(VALU_DEP_1)
	v_dual_fma_f32 v11, v114, v118, -v11 :: v_dual_mov_b32 v114, v237
	v_add_f32_e32 v9, v9, v11
	v_mul_f32_e32 v11, v117, v121
	s_delay_alu instid0(VALU_DEP_1) | instskip(NEXT) | instid1(VALU_DEP_1)
	v_dual_fma_f32 v11, v116, v120, -v11 :: v_dual_mov_b32 v116, v241
	v_add_f32_e32 v9, v9, v11
	v_mul_f32_e32 v11, v123, v127
	s_delay_alu instid0(VALU_DEP_3) | instskip(NEXT) | instid1(VALU_DEP_2)
	v_pk_mul_f32 v[114:115], v[114:115], v[116:117] op_sel_hi:[1,0]
	v_fma_f32 v11, v122, v126, -v11
	s_delay_alu instid0(VALU_DEP_2) | instskip(SKIP_1) | instid1(VALU_DEP_3)
	v_pk_fma_f32 v[116:117], v[236:237], v[240:241], v[114:115] neg_lo:[0,0,1] neg_hi:[0,0,1]
	v_pk_fma_f32 v[114:115], v[236:237], v[240:241], v[114:115] op_sel_hi:[1,0,1]
	v_add_f32_e32 v9, v9, v11
	s_delay_alu instid0(VALU_DEP_2) | instskip(SKIP_2) | instid1(VALU_DEP_2)
	v_dual_mul_f32 v11, v125, v129 :: v_dual_mov_b32 v117, v115
	s_wait_loadcnt_dscnt 0x303
	v_pk_mul_f32 v[114:115], v[98:99], v[242:243] op_sel:[1,1] op_sel_hi:[0,1]
	v_fma_f32 v11, v124, v128, -v11
	s_delay_alu instid0(VALU_DEP_1) | instskip(SKIP_1) | instid1(VALU_DEP_1)
	v_add_f32_e32 v9, v9, v11
	v_mul_f32_e32 v11, v131, v135
	v_fma_f32 v11, v130, v134, -v11
	s_delay_alu instid0(VALU_DEP_1) | instskip(SKIP_1) | instid1(VALU_DEP_1)
	v_add_f32_e32 v9, v9, v11
	v_mul_f32_e32 v11, v133, v137
	;; [unrolled: 4-line block ×25, first 2 shown]
	v_fma_f32 v11, v226, v230, -v11
	s_delay_alu instid0(VALU_DEP_1) | instskip(SKIP_2) | instid1(VALU_DEP_1)
	v_add_f32_e32 v254, v9, v11
	v_mul_f32_e32 v9, v229, v233
	s_set_vgpr_msb 64                       ;  msbs: dst=1 src0=0 src1=0 src2=0
	v_fma_f32 v0 /*v256*/, v228, v232, -v9
	s_set_vgpr_msb 0                        ;  msbs: dst=0 src0=0 src1=0 src2=0
	v_mul_f32_e32 v9, v235, v239
	s_set_vgpr_msb 64                       ;  msbs: dst=1 src0=0 src1=0 src2=0
	s_delay_alu instid0(VALU_DEP_1) | instskip(SKIP_2) | instid1(VALU_DEP_1)
	v_fma_f32 v2 /*v258*/, v234, v238, -v9
	s_set_vgpr_msb 4                        ;  msbs: dst=0 src0=0 src1=1 src2=0
	v_pk_add_f32 v[112:113], v[254:255], v[0:1] /*v[256:257]*/
	v_pk_add_f32 v[112:113], v[112:113], v[2:3] /*v[258:259]*/
	s_set_vgpr_msb 0                        ;  msbs: dst=0 src0=0 src1=0 src2=0
	s_delay_alu instid0(VALU_DEP_1) | instskip(SKIP_2) | instid1(VALU_DEP_1)
	v_pk_add_f32 v[112:113], v[112:113], v[116:117]
	v_pk_fma_f32 v[116:117], v[98:99], v[242:243], v[114:115] neg_lo:[0,0,1] neg_hi:[0,0,1]
	v_pk_fma_f32 v[98:99], v[98:99], v[242:243], v[114:115] op_sel_hi:[1,0,1]
	v_dual_mov_b32 v114, v245 :: v_dual_mov_b32 v117, v99
	s_delay_alu instid0(VALU_DEP_1) | instskip(SKIP_1) | instid1(VALU_DEP_1)
	v_pk_add_f32 v[98:99], v[112:113], v[116:117]
	v_dual_mov_b32 v112, v101 :: v_dual_mov_b32 v113, v100
	v_pk_mul_f32 v[112:113], v[112:113], v[114:115] op_sel_hi:[1,0]
	s_delay_alu instid0(VALU_DEP_1) | instskip(SKIP_1) | instid1(VALU_DEP_1)
	v_pk_fma_f32 v[114:115], v[100:101], v[244:245], v[112:113] neg_lo:[0,0,1] neg_hi:[0,0,1]
	v_pk_fma_f32 v[100:101], v[100:101], v[244:245], v[112:113] op_sel_hi:[1,0,1]
	v_mov_b32_e32 v115, v101
	s_wait_loadcnt_dscnt 0x202
	v_pk_mul_f32 v[100:101], v[102:103], v[246:247] op_sel:[1,1] op_sel_hi:[0,1]
	s_delay_alu instid0(VALU_DEP_2) | instskip(NEXT) | instid1(VALU_DEP_2)
	v_pk_add_f32 v[98:99], v[98:99], v[114:115]
	v_pk_fma_f32 v[112:113], v[102:103], v[246:247], v[100:101] neg_lo:[0,0,1] neg_hi:[0,0,1]
	v_pk_fma_f32 v[100:101], v[102:103], v[246:247], v[100:101] op_sel_hi:[1,0,1]
	v_dual_mov_b32 v100, v105 :: v_dual_mov_b32 v102, v249
	s_delay_alu instid0(VALU_DEP_2) | instskip(NEXT) | instid1(VALU_DEP_1)
	v_dual_mov_b32 v113, v101 :: v_dual_mov_b32 v101, v104
	v_pk_add_f32 v[98:99], v[98:99], v[112:113]
	s_delay_alu instid0(VALU_DEP_2) | instskip(NEXT) | instid1(VALU_DEP_1)
	v_pk_mul_f32 v[100:101], v[100:101], v[102:103] op_sel_hi:[1,0]
	v_pk_fma_f32 v[102:103], v[104:105], v[248:249], v[100:101] neg_lo:[0,0,1] neg_hi:[0,0,1]
	v_pk_fma_f32 v[100:101], v[104:105], v[248:249], v[100:101] op_sel_hi:[1,0,1]
	s_delay_alu instid0(VALU_DEP_1) | instskip(SKIP_2) | instid1(VALU_DEP_2)
	v_mov_b32_e32 v103, v101
	s_wait_loadcnt_dscnt 0x101
	v_pk_mul_f32 v[100:101], v[106:107], v[250:251] op_sel:[1,1] op_sel_hi:[0,1]
	v_pk_add_f32 v[98:99], v[98:99], v[102:103]
	s_delay_alu instid0(VALU_DEP_2) | instskip(SKIP_1) | instid1(VALU_DEP_1)
	v_pk_fma_f32 v[102:103], v[106:107], v[250:251], v[100:101] neg_lo:[0,0,1] neg_hi:[0,0,1]
	v_pk_fma_f32 v[100:101], v[106:107], v[250:251], v[100:101] op_sel_hi:[1,0,1]
	v_dual_mov_b32 v100, v109 :: v_dual_mov_b32 v103, v101
	v_mov_b32_e32 v101, v108
	s_delay_alu instid0(VALU_DEP_2) | instskip(SKIP_1) | instid1(VALU_DEP_1)
	v_pk_add_f32 v[98:99], v[98:99], v[102:103]
	v_mov_b32_e32 v102, v253
	v_pk_mul_f32 v[100:101], v[100:101], v[102:103] op_sel_hi:[1,0]
	s_delay_alu instid0(VALU_DEP_1) | instskip(SKIP_1) | instid1(VALU_DEP_1)
	v_pk_fma_f32 v[102:103], v[108:109], v[252:253], v[100:101] neg_lo:[0,0,1] neg_hi:[0,0,1]
	v_pk_fma_f32 v[100:101], v[108:109], v[252:253], v[100:101] op_sel_hi:[1,0,1]
	v_mov_b32_e32 v103, v101
	s_wait_loadcnt_dscnt 0x0
	s_set_vgpr_msb 4                        ;  msbs: dst=0 src0=0 src1=1 src2=0
	v_pk_mul_f32 v[100:101], v[110:111], v[4:5] /*v[260:261]*/ op_sel:[1,1] op_sel_hi:[0,1]
	s_set_vgpr_msb 0                        ;  msbs: dst=0 src0=0 src1=0 src2=0
	v_pk_add_f32 v[98:99], v[98:99], v[102:103]
	s_set_vgpr_msb 4                        ;  msbs: dst=0 src0=0 src1=1 src2=0
	s_delay_alu instid0(VALU_DEP_2) | instskip(SKIP_1) | instid1(VALU_DEP_1)
	v_pk_fma_f32 v[102:103], v[110:111], v[4:5] /*v[260:261]*/, v[100:101] neg_lo:[0,0,1] neg_hi:[0,0,1]
	v_pk_fma_f32 v[100:101], v[110:111], v[4:5] /*v[260:261]*/, v[100:101] op_sel_hi:[1,0,1]
	v_mov_b32_e32 v103, v101
	scratch_load_b64 v[100:101], off, off offset:32
	s_set_vgpr_msb 0                        ;  msbs: dst=0 src0=0 src1=0 src2=0
	v_pk_add_f32 v[98:99], v[98:99], v[102:103]
	s_wait_loadcnt 0x0
	s_delay_alu instid0(VALU_DEP_1)
	v_pk_add_f32 v[98:99], v[100:101], v[98:99] neg_lo:[0,1] neg_hi:[0,1]
	scratch_store_b64 off, v[98:99], off offset:32
	s_wait_xcnt 0x0
	v_cmpx_lt_u32_e32 3, v0
	s_cbranch_execz .LBB111_295
; %bb.294:
	scratch_load_b64 v[98:99], off, off offset:24
	v_mov_b64_e32 v[100:101], 0
	scratch_store_b64 off, v[100:101], off offset:24
	s_wait_loadcnt 0x0
	ds_store_b64 v1, v[98:99]
.LBB111_295:
	s_wait_xcnt 0x0
	s_or_b32 exec_lo, exec_lo, s0
	s_wait_storecnt_dscnt 0x0
	s_barrier_signal -1
	s_barrier_wait -1
	ds_load_b128 v[98:101], v7 offset:416
	ds_load_b128 v[102:105], v7 offset:432
	;; [unrolled: 1-line block ×4, first 2 shown]
	s_clause 0x11
	scratch_load_b128 v[114:117], off, off offset:32
	scratch_load_b128 v[118:121], off, off offset:48
	;; [unrolled: 1-line block ×18, first 2 shown]
	ds_load_b128 v[130:133], v7 offset:480
	ds_load_b128 v[138:141], v7 offset:496
	;; [unrolled: 1-line block ×14, first 2 shown]
	s_clause 0x3
	scratch_load_b128 v[242:245], off, off offset:320
	scratch_load_b128 v[246:249], off, off offset:336
	;; [unrolled: 1-line block ×4, first 2 shown]
	s_mov_b32 s0, exec_lo
	s_wait_loadcnt_dscnt 0x1511
	v_dual_mul_f32 v9, v98, v115 :: v_dual_mul_f32 v11, v100, v117
	s_delay_alu instid0(VALU_DEP_1) | instskip(NEXT) | instid1(VALU_DEP_1)
	v_dual_fmac_f32 v9, v99, v114 :: v_dual_fmac_f32 v11, v101, v116
	v_add_f32_e32 v9, 0, v9
	s_delay_alu instid0(VALU_DEP_1)
	v_add_f32_e32 v9, v9, v11
	s_wait_loadcnt_dscnt 0x1410
	v_mul_f32_e32 v11, v102, v119
	s_wait_loadcnt_dscnt 0x40a
	s_set_vgpr_msb 64                       ;  msbs: dst=1 src0=0 src1=0 src2=0
	v_dual_mul_f32 v5 /*v261*/, v234, v239 :: v_dual_mul_f32 v7 /*v263*/, v236, v241
	s_set_vgpr_msb 0                        ;  msbs: dst=0 src0=0 src1=0 src2=0
	v_fmac_f32_e32 v11, v103, v118
	s_set_vgpr_msb 64                       ;  msbs: dst=1 src0=0 src1=0 src2=0
	s_delay_alu instid0(VALU_DEP_2) | instskip(SKIP_1) | instid1(VALU_DEP_2)
	v_dual_fmac_f32 v5 /*v261*/, v235, v238 :: v_dual_fmac_f32 v7 /*v263*/, v237, v240
	s_set_vgpr_msb 0                        ;  msbs: dst=0 src0=0 src1=0 src2=0
	v_dual_add_f32 v9, v9, v11 :: v_dual_mul_f32 v11, v104, v121
	s_delay_alu instid0(VALU_DEP_1) | instskip(NEXT) | instid1(VALU_DEP_1)
	v_fmac_f32_e32 v11, v105, v120
	v_add_f32_e32 v9, v9, v11
	v_mul_f32_e32 v11, v106, v123
	s_delay_alu instid0(VALU_DEP_1) | instskip(NEXT) | instid1(VALU_DEP_1)
	v_fmac_f32_e32 v11, v107, v122
	v_dual_add_f32 v9, v9, v11 :: v_dual_mul_f32 v11, v108, v125
	s_delay_alu instid0(VALU_DEP_1) | instskip(NEXT) | instid1(VALU_DEP_1)
	v_fmac_f32_e32 v11, v109, v124
	v_add_f32_e32 v9, v9, v11
	v_mul_f32_e32 v11, v110, v127
	s_delay_alu instid0(VALU_DEP_1) | instskip(NEXT) | instid1(VALU_DEP_1)
	v_fmac_f32_e32 v11, v111, v126
	;; [unrolled: 7-line block ×4, first 2 shown]
	v_dual_add_f32 v9, v9, v11 :: v_dual_mul_f32 v11, v140, v145
	s_delay_alu instid0(VALU_DEP_1) | instskip(NEXT) | instid1(VALU_DEP_1)
	v_fmac_f32_e32 v11, v141, v144
	v_add_f32_e32 v9, v9, v11
	s_wait_dscnt 0x9
	v_mul_f32_e32 v11, v146, v151
	s_delay_alu instid0(VALU_DEP_1) | instskip(NEXT) | instid1(VALU_DEP_1)
	v_fmac_f32_e32 v11, v147, v150
	v_dual_add_f32 v9, v9, v11 :: v_dual_mul_f32 v11, v148, v153
	s_delay_alu instid0(VALU_DEP_1) | instskip(NEXT) | instid1(VALU_DEP_1)
	v_fmac_f32_e32 v11, v149, v152
	v_add_f32_e32 v9, v9, v11
	s_wait_dscnt 0x8
	v_mul_f32_e32 v11, v154, v159
	s_delay_alu instid0(VALU_DEP_1) | instskip(NEXT) | instid1(VALU_DEP_1)
	v_fmac_f32_e32 v11, v155, v158
	;; [unrolled: 8-line block ×10, first 2 shown]
	v_dual_add_f32 v9, v9, v11 :: v_dual_mul_f32 v11, v220, v225
	s_delay_alu instid0(VALU_DEP_1) | instskip(NEXT) | instid1(VALU_DEP_1)
	v_fmac_f32_e32 v11, v221, v224
	v_add_f32_e32 v9, v9, v11
	v_mul_f32_e32 v11, v226, v231
	s_delay_alu instid0(VALU_DEP_1) | instskip(NEXT) | instid1(VALU_DEP_1)
	v_fmac_f32_e32 v11, v227, v230
	v_dual_add_f32 v9, v9, v11 :: v_dual_mul_f32 v11, v228, v233
	s_delay_alu instid0(VALU_DEP_1) | instskip(SKIP_1) | instid1(VALU_DEP_1)
	v_fmac_f32_e32 v11, v229, v232
	s_set_vgpr_msb 64                       ;  msbs: dst=1 src0=0 src1=0 src2=0
	v_add_f32_e32 v3 /*v259*/, v9, v11
	s_set_vgpr_msb 0                        ;  msbs: dst=0 src0=0 src1=0 src2=0
	v_dual_mul_f32 v9, v99, v115 :: v_dual_mul_f32 v11, v101, v117
	s_delay_alu instid0(VALU_DEP_1) | instskip(NEXT) | instid1(VALU_DEP_1)
	v_dual_fma_f32 v9, v98, v114, -v9 :: v_dual_fma_f32 v11, v100, v116, -v11
	v_add_f32_e32 v9, 0, v9
	s_delay_alu instid0(VALU_DEP_1) | instskip(SKIP_1) | instid1(VALU_DEP_1)
	v_add_f32_e32 v9, v9, v11
	v_mul_f32_e32 v11, v103, v119
	v_fma_f32 v11, v102, v118, -v11
	s_delay_alu instid0(VALU_DEP_1) | instskip(SKIP_1) | instid1(VALU_DEP_1)
	v_add_f32_e32 v9, v9, v11
	v_mul_f32_e32 v11, v105, v121
	v_fma_f32 v11, v104, v120, -v11
	;; [unrolled: 4-line block ×6, first 2 shown]
	ds_load_b128 v[98:101], v7 offset:704
	ds_load_b128 v[102:105], v7 offset:720
	;; [unrolled: 1-line block ×4, first 2 shown]
	v_add_f32_e32 v9, v9, v11
	v_mul_f32_e32 v11, v131, v135
	s_delay_alu instid0(VALU_DEP_1) | instskip(NEXT) | instid1(VALU_DEP_1)
	v_fma_f32 v11, v130, v134, -v11
	v_add_f32_e32 v9, v9, v11
	v_mul_f32_e32 v11, v133, v137
	s_wait_loadcnt_dscnt 0x303
	v_pk_mul_f32 v[116:117], v[98:99], v[242:243] op_sel:[1,1] op_sel_hi:[0,1]
	s_delay_alu instid0(VALU_DEP_2) | instskip(NEXT) | instid1(VALU_DEP_2)
	v_fma_f32 v11, v132, v136, -v11
	v_pk_fma_f32 v[118:119], v[98:99], v[242:243], v[116:117] neg_lo:[0,0,1] neg_hi:[0,0,1]
	v_pk_fma_f32 v[98:99], v[98:99], v[242:243], v[116:117] op_sel_hi:[1,0,1]
	v_mov_b32_e32 v116, v245
	s_delay_alu instid0(VALU_DEP_4) | instskip(SKIP_1) | instid1(VALU_DEP_1)
	v_add_f32_e32 v9, v9, v11
	v_mul_f32_e32 v11, v139, v143
	v_dual_mov_b32 v119, v99 :: v_dual_fma_f32 v11, v138, v142, -v11
	s_delay_alu instid0(VALU_DEP_1) | instskip(SKIP_1) | instid1(VALU_DEP_1)
	v_add_f32_e32 v9, v9, v11
	v_mul_f32_e32 v11, v141, v145
	v_fma_f32 v11, v140, v144, -v11
	s_delay_alu instid0(VALU_DEP_1) | instskip(SKIP_1) | instid1(VALU_DEP_1)
	v_add_f32_e32 v9, v9, v11
	v_mul_f32_e32 v11, v147, v151
	v_fma_f32 v11, v146, v150, -v11
	;; [unrolled: 4-line block ×23, first 2 shown]
	s_set_vgpr_msb 64                       ;  msbs: dst=1 src0=0 src1=0 src2=0
	s_delay_alu instid0(VALU_DEP_1) | instskip(SKIP_3) | instid1(VALU_DEP_1)
	v_add_f32_e32 v2 /*v258*/, v9, v11
	s_set_vgpr_msb 0                        ;  msbs: dst=0 src0=0 src1=0 src2=0
	v_mul_f32_e32 v9, v235, v239
	s_set_vgpr_msb 64                       ;  msbs: dst=1 src0=0 src1=0 src2=0
	v_fma_f32 v4 /*v260*/, v234, v238, -v9
	s_set_vgpr_msb 0                        ;  msbs: dst=0 src0=0 src1=0 src2=0
	v_mul_f32_e32 v9, v237, v241
	s_set_vgpr_msb 5                        ;  msbs: dst=0 src0=1 src1=1 src2=0
	s_delay_alu instid0(VALU_DEP_2) | instskip(SKIP_1) | instid1(VALU_DEP_2)
	v_pk_add_f32 v[114:115], v[2:3] /*v[258:259]*/, v[4:5] /*v[260:261]*/
	s_set_vgpr_msb 64                       ;  msbs: dst=1 src0=0 src1=0 src2=0
	v_fma_f32 v6 /*v262*/, v236, v240, -v9
	s_set_vgpr_msb 4                        ;  msbs: dst=0 src0=0 src1=1 src2=0
	s_delay_alu instid0(VALU_DEP_1) | instskip(SKIP_1) | instid1(VALU_DEP_1)
	v_pk_add_f32 v[114:115], v[114:115], v[6:7] /*v[262:263]*/
	s_set_vgpr_msb 0                        ;  msbs: dst=0 src0=0 src1=0 src2=0
	v_pk_add_f32 v[98:99], v[114:115], v[118:119]
	v_dual_mov_b32 v114, v101 :: v_dual_mov_b32 v115, v100
	s_delay_alu instid0(VALU_DEP_1) | instskip(NEXT) | instid1(VALU_DEP_1)
	v_pk_mul_f32 v[114:115], v[114:115], v[116:117] op_sel_hi:[1,0]
	v_pk_fma_f32 v[116:117], v[100:101], v[244:245], v[114:115] neg_lo:[0,0,1] neg_hi:[0,0,1]
	v_pk_fma_f32 v[100:101], v[100:101], v[244:245], v[114:115] op_sel_hi:[1,0,1]
	s_delay_alu instid0(VALU_DEP_1) | instskip(SKIP_2) | instid1(VALU_DEP_2)
	v_mov_b32_e32 v117, v101
	s_wait_loadcnt_dscnt 0x202
	v_pk_mul_f32 v[100:101], v[102:103], v[246:247] op_sel:[1,1] op_sel_hi:[0,1]
	v_pk_add_f32 v[98:99], v[98:99], v[116:117]
	s_delay_alu instid0(VALU_DEP_2) | instskip(SKIP_2) | instid1(VALU_DEP_2)
	v_pk_fma_f32 v[114:115], v[102:103], v[246:247], v[100:101] neg_lo:[0,0,1] neg_hi:[0,0,1]
	v_pk_fma_f32 v[100:101], v[102:103], v[246:247], v[100:101] op_sel_hi:[1,0,1]
	v_dual_mov_b32 v100, v105 :: v_dual_mov_b32 v102, v249
	v_dual_mov_b32 v115, v101 :: v_dual_mov_b32 v101, v104
	s_delay_alu instid0(VALU_DEP_1) | instskip(NEXT) | instid1(VALU_DEP_2)
	v_pk_add_f32 v[98:99], v[98:99], v[114:115]
	v_pk_mul_f32 v[100:101], v[100:101], v[102:103] op_sel_hi:[1,0]
	s_delay_alu instid0(VALU_DEP_1) | instskip(SKIP_1) | instid1(VALU_DEP_1)
	v_pk_fma_f32 v[102:103], v[104:105], v[248:249], v[100:101] neg_lo:[0,0,1] neg_hi:[0,0,1]
	v_pk_fma_f32 v[100:101], v[104:105], v[248:249], v[100:101] op_sel_hi:[1,0,1]
	v_mov_b32_e32 v103, v101
	s_wait_loadcnt_dscnt 0x101
	v_pk_mul_f32 v[100:101], v[106:107], v[250:251] op_sel:[1,1] op_sel_hi:[0,1]
	s_delay_alu instid0(VALU_DEP_2) | instskip(NEXT) | instid1(VALU_DEP_2)
	v_pk_add_f32 v[98:99], v[98:99], v[102:103]
	v_pk_fma_f32 v[102:103], v[106:107], v[250:251], v[100:101] neg_lo:[0,0,1] neg_hi:[0,0,1]
	v_pk_fma_f32 v[100:101], v[106:107], v[250:251], v[100:101] op_sel_hi:[1,0,1]
	s_delay_alu instid0(VALU_DEP_1) | instskip(SKIP_1) | instid1(VALU_DEP_2)
	v_dual_mov_b32 v100, v109 :: v_dual_mov_b32 v103, v101
	v_mov_b32_e32 v101, v108
	v_pk_add_f32 v[98:99], v[98:99], v[102:103]
	v_mov_b32_e32 v102, v253
	s_delay_alu instid0(VALU_DEP_1) | instskip(NEXT) | instid1(VALU_DEP_1)
	v_pk_mul_f32 v[100:101], v[100:101], v[102:103] op_sel_hi:[1,0]
	v_pk_fma_f32 v[102:103], v[108:109], v[252:253], v[100:101] neg_lo:[0,0,1] neg_hi:[0,0,1]
	v_pk_fma_f32 v[100:101], v[108:109], v[252:253], v[100:101] op_sel_hi:[1,0,1]
	s_delay_alu instid0(VALU_DEP_1) | instskip(SKIP_2) | instid1(VALU_DEP_2)
	v_mov_b32_e32 v103, v101
	s_wait_loadcnt_dscnt 0x0
	v_pk_mul_f32 v[100:101], v[110:111], v[254:255] op_sel:[1,1] op_sel_hi:[0,1]
	v_pk_add_f32 v[98:99], v[98:99], v[102:103]
	s_delay_alu instid0(VALU_DEP_2) | instskip(SKIP_1) | instid1(VALU_DEP_1)
	v_pk_fma_f32 v[102:103], v[110:111], v[254:255], v[100:101] neg_lo:[0,0,1] neg_hi:[0,0,1]
	v_pk_fma_f32 v[100:101], v[110:111], v[254:255], v[100:101] op_sel_hi:[1,0,1]
	v_dual_mov_b32 v100, v113 :: v_dual_mov_b32 v103, v101
	v_mov_b32_e32 v101, v112
	s_delay_alu instid0(VALU_DEP_2) | instskip(SKIP_3) | instid1(VALU_DEP_1)
	v_pk_add_f32 v[98:99], v[98:99], v[102:103]
	s_set_vgpr_msb 1                        ;  msbs: dst=0 src0=1 src1=0 src2=0
	v_mov_b32_e32 v102, v1 /*v257*/
	s_set_vgpr_msb 0                        ;  msbs: dst=0 src0=0 src1=0 src2=0
	v_pk_mul_f32 v[100:101], v[100:101], v[102:103] op_sel_hi:[1,0]
	s_set_vgpr_msb 4                        ;  msbs: dst=0 src0=0 src1=1 src2=0
	s_delay_alu instid0(VALU_DEP_1) | instskip(SKIP_1) | instid1(VALU_DEP_1)
	v_pk_fma_f32 v[102:103], v[112:113], v[0:1] /*v[256:257]*/, v[100:101] neg_lo:[0,0,1] neg_hi:[0,0,1]
	v_pk_fma_f32 v[100:101], v[112:113], v[0:1] /*v[256:257]*/, v[100:101] op_sel_hi:[1,0,1]
	v_mov_b32_e32 v103, v101
	scratch_load_b64 v[100:101], off, off offset:24
	s_set_vgpr_msb 0                        ;  msbs: dst=0 src0=0 src1=0 src2=0
	v_pk_add_f32 v[98:99], v[98:99], v[102:103]
	s_wait_loadcnt 0x0
	s_delay_alu instid0(VALU_DEP_1)
	v_pk_add_f32 v[98:99], v[100:101], v[98:99] neg_lo:[0,1] neg_hi:[0,1]
	scratch_store_b64 off, v[98:99], off offset:24
	s_wait_xcnt 0x0
	v_cmpx_lt_u32_e32 2, v0
	s_cbranch_execz .LBB111_297
; %bb.296:
	scratch_load_b64 v[98:99], off, off offset:16
	v_mov_b64_e32 v[100:101], 0
	scratch_store_b64 off, v[100:101], off offset:16
	s_wait_loadcnt 0x0
	ds_store_b64 v1, v[98:99]
.LBB111_297:
	s_wait_xcnt 0x0
	s_or_b32 exec_lo, exec_lo, s0
	s_wait_storecnt_dscnt 0x0
	s_barrier_signal -1
	s_barrier_wait -1
	s_clause 0xf
	scratch_load_b128 v[102:105], off, off offset:24
	scratch_load_b128 v[110:113], off, off offset:40
	;; [unrolled: 1-line block ×16, first 2 shown]
	v_mov_b32_e32 v77, 0
	s_clause 0x2
	scratch_load_b128 v[230:233], off, off offset:280
	scratch_load_b128 v[238:241], off, off offset:296
	;; [unrolled: 1-line block ×3, first 2 shown]
	s_mov_b32 s0, exec_lo
	ds_load_2addr_b64 v[98:101], v77 offset0:51 offset1:52
	ds_load_2addr_b64 v[106:109], v77 offset0:53 offset1:54
	s_wait_loadcnt_dscnt 0x1201
	v_dual_mul_f32 v7, v98, v103 :: v_dual_mul_f32 v9, v100, v105
	ds_load_2addr_b64 v[114:117], v77 offset0:55 offset1:56
	ds_load_2addr_b64 v[122:125], v77 offset0:57 offset1:58
	;; [unrolled: 1-line block ×4, first 2 shown]
	v_dual_fmac_f32 v7, v99, v102 :: v_dual_fmac_f32 v9, v101, v104
	ds_load_2addr_b64 v[130:133], v77 offset0:59 offset1:60
	ds_load_2addr_b64 v[138:141], v77 offset0:61 offset1:62
	;; [unrolled: 1-line block ×3, first 2 shown]
	v_add_f32_e32 v7, 0, v7
	ds_load_2addr_b64 v[146:149], v77 offset0:63 offset1:64
	ds_load_2addr_b64 v[154:157], v77 offset0:65 offset1:66
	ds_load_2addr_b64 v[162:165], v77 offset0:67 offset1:68
	ds_load_2addr_b64 v[170:173], v77 offset0:69 offset1:70
	s_wait_loadcnt_dscnt 0x110b
	v_dual_add_f32 v7, v7, v9 :: v_dual_mul_f32 v9, v106, v111
	ds_load_2addr_b64 v[178:181], v77 offset0:71 offset1:72
	ds_load_2addr_b64 v[186:189], v77 offset0:73 offset1:74
	ds_load_2addr_b64 v[194:197], v77 offset0:75 offset1:76
	ds_load_2addr_b64 v[202:205], v77 offset0:77 offset1:78
	v_fmac_f32_e32 v9, v107, v110
	ds_load_2addr_b64 v[210:213], v77 offset0:79 offset1:80
	ds_load_2addr_b64 v[218:221], v77 offset0:81 offset1:82
	s_clause 0x4
	scratch_load_b128 v[250:253], off, off offset:328
	scratch_load_b128 v[254:257], off, off offset:344
	s_set_vgpr_msb 64                       ;  msbs: dst=1 src0=0 src1=0 src2=0
	scratch_load_b128 v[2:5] /*v[258:261]*/, off, off offset:360
	scratch_load_b64 v[12:13] /*v[268:269]*/, off, off offset:376
	s_wait_loadcnt_dscnt 0x50d
	v_mul_f32_e32 v9 /*v265*/, v236, v241
	s_set_vgpr_msb 0                        ;  msbs: dst=0 src0=0 src1=0 src2=0
	v_add_f32_e32 v7, v7, v9
	v_mul_f32_e32 v9, v108, v113
	s_wait_loadcnt_dscnt 0x40a
	s_set_vgpr_msb 64                       ;  msbs: dst=1 src0=0 src1=0 src2=0
	v_dual_mul_f32 v11 /*v267*/, v242, v247 :: v_dual_fmac_f32 v9 /*v265*/, v237, v240
	s_set_vgpr_msb 0                        ;  msbs: dst=0 src0=0 src1=0 src2=0
	v_fmac_f32_e32 v9, v109, v112
	s_set_vgpr_msb 64                       ;  msbs: dst=1 src0=0 src1=0 src2=0
	s_delay_alu instid0(VALU_DEP_2) | instskip(SKIP_1) | instid1(VALU_DEP_2)
	v_fmac_f32_e32 v11 /*v267*/, v243, v246
	s_set_vgpr_msb 0                        ;  msbs: dst=0 src0=0 src1=0 src2=0
	v_dual_add_f32 v7, v7, v9 :: v_dual_mul_f32 v9, v114, v119
	s_delay_alu instid0(VALU_DEP_1) | instskip(NEXT) | instid1(VALU_DEP_1)
	v_fmac_f32_e32 v9, v115, v118
	v_add_f32_e32 v7, v7, v9
	v_mul_f32_e32 v9, v116, v121
	s_delay_alu instid0(VALU_DEP_1) | instskip(NEXT) | instid1(VALU_DEP_1)
	v_fmac_f32_e32 v9, v117, v120
	v_dual_add_f32 v7, v7, v9 :: v_dual_mul_f32 v9, v122, v127
	s_delay_alu instid0(VALU_DEP_1) | instskip(NEXT) | instid1(VALU_DEP_1)
	v_fmac_f32_e32 v9, v123, v126
	v_add_f32_e32 v7, v7, v9
	v_mul_f32_e32 v9, v124, v129
	s_delay_alu instid0(VALU_DEP_1) | instskip(NEXT) | instid1(VALU_DEP_1)
	v_fmac_f32_e32 v9, v125, v128
	;; [unrolled: 7-line block ×3, first 2 shown]
	v_dual_add_f32 v7, v7, v9 :: v_dual_mul_f32 v9, v138, v143
	s_delay_alu instid0(VALU_DEP_1) | instskip(NEXT) | instid1(VALU_DEP_1)
	v_fmac_f32_e32 v9, v139, v142
	v_add_f32_e32 v7, v7, v9
	v_mul_f32_e32 v9, v140, v145
	s_delay_alu instid0(VALU_DEP_1) | instskip(SKIP_1) | instid1(VALU_DEP_1)
	v_fmac_f32_e32 v9, v141, v144
	s_wait_dscnt 0x9
	v_dual_add_f32 v7, v7, v9 :: v_dual_mul_f32 v9, v146, v151
	s_delay_alu instid0(VALU_DEP_1) | instskip(NEXT) | instid1(VALU_DEP_1)
	v_fmac_f32_e32 v9, v147, v150
	v_add_f32_e32 v7, v7, v9
	v_mul_f32_e32 v9, v148, v153
	s_delay_alu instid0(VALU_DEP_1) | instskip(SKIP_1) | instid1(VALU_DEP_1)
	v_fmac_f32_e32 v9, v149, v152
	s_wait_dscnt 0x8
	;; [unrolled: 8-line block ×10, first 2 shown]
	v_dual_add_f32 v7, v7, v9 :: v_dual_mul_f32 v9, v218, v223
	s_delay_alu instid0(VALU_DEP_1) | instskip(NEXT) | instid1(VALU_DEP_1)
	v_fmac_f32_e32 v9, v219, v222
	v_add_f32_e32 v7, v7, v9
	v_mul_f32_e32 v9, v220, v225
	s_delay_alu instid0(VALU_DEP_1) | instskip(NEXT) | instid1(VALU_DEP_1)
	v_fmac_f32_e32 v9, v221, v224
	v_dual_add_f32 v7, v7, v9 :: v_dual_mul_f32 v9, v226, v231
	s_delay_alu instid0(VALU_DEP_1) | instskip(NEXT) | instid1(VALU_DEP_1)
	v_fmac_f32_e32 v9, v227, v230
	v_add_f32_e32 v7, v7, v9
	v_mul_f32_e32 v9, v228, v233
	s_delay_alu instid0(VALU_DEP_1) | instskip(NEXT) | instid1(VALU_DEP_1)
	v_fmac_f32_e32 v9, v229, v232
	v_dual_add_f32 v7, v7, v9 :: v_dual_mul_f32 v9, v234, v239
	s_delay_alu instid0(VALU_DEP_1) | instskip(SKIP_1) | instid1(VALU_DEP_1)
	v_fmac_f32_e32 v9, v235, v238
	s_set_vgpr_msb 64                       ;  msbs: dst=1 src0=0 src1=0 src2=0
	v_add_f32_e32 v7 /*v263*/, v7, v9
	s_set_vgpr_msb 0                        ;  msbs: dst=0 src0=0 src1=0 src2=0
	v_dual_mul_f32 v7, v99, v103 :: v_dual_mul_f32 v9, v101, v105
	s_delay_alu instid0(VALU_DEP_1) | instskip(NEXT) | instid1(VALU_DEP_1)
	v_dual_fma_f32 v7, v98, v102, -v7 :: v_dual_fma_f32 v9, v100, v104, -v9
	v_add_f32_e32 v7, 0, v7
	s_delay_alu instid0(VALU_DEP_1) | instskip(SKIP_1) | instid1(VALU_DEP_1)
	v_add_f32_e32 v7, v7, v9
	v_mul_f32_e32 v9, v107, v111
	v_fma_f32 v9, v106, v110, -v9
	s_delay_alu instid0(VALU_DEP_1) | instskip(SKIP_1) | instid1(VALU_DEP_1)
	v_add_f32_e32 v7, v7, v9
	v_mul_f32_e32 v9, v109, v113
	v_fma_f32 v9, v108, v112, -v9
	ds_load_2addr_b64 v[98:101], v77 offset0:89 offset1:90
	ds_load_2addr_b64 v[102:105], v77 offset0:91 offset1:92
	;; [unrolled: 1-line block ×3, first 2 shown]
	ds_load_b64 v[110:111], v77 offset:760
	v_add_f32_e32 v7, v7, v9
	v_dual_mul_f32 v9, v115, v119 :: v_dual_mov_b32 v115, v244
	s_delay_alu instid0(VALU_DEP_1) | instskip(NEXT) | instid1(VALU_DEP_1)
	v_dual_fma_f32 v9, v114, v118, -v9 :: v_dual_mov_b32 v114, v245
	v_add_f32_e32 v7, v7, v9
	v_mul_f32_e32 v9, v117, v121
	s_delay_alu instid0(VALU_DEP_1) | instskip(NEXT) | instid1(VALU_DEP_1)
	v_dual_fma_f32 v9, v116, v120, -v9 :: v_dual_mov_b32 v116, v249
	v_add_f32_e32 v7, v7, v9
	v_mul_f32_e32 v9, v123, v127
	s_delay_alu instid0(VALU_DEP_3) | instskip(NEXT) | instid1(VALU_DEP_2)
	v_pk_mul_f32 v[114:115], v[114:115], v[116:117] op_sel_hi:[1,0]
	v_fma_f32 v9, v122, v126, -v9
	s_delay_alu instid0(VALU_DEP_2) | instskip(SKIP_1) | instid1(VALU_DEP_3)
	v_pk_fma_f32 v[116:117], v[244:245], v[248:249], v[114:115] neg_lo:[0,0,1] neg_hi:[0,0,1]
	v_pk_fma_f32 v[114:115], v[244:245], v[248:249], v[114:115] op_sel_hi:[1,0,1]
	v_add_f32_e32 v7, v7, v9
	s_delay_alu instid0(VALU_DEP_2) | instskip(SKIP_2) | instid1(VALU_DEP_2)
	v_dual_mul_f32 v9, v125, v129 :: v_dual_mov_b32 v117, v115
	s_wait_loadcnt_dscnt 0x303
	v_pk_mul_f32 v[114:115], v[98:99], v[250:251] op_sel:[1,1] op_sel_hi:[0,1]
	v_fma_f32 v9, v124, v128, -v9
	s_delay_alu instid0(VALU_DEP_1) | instskip(SKIP_1) | instid1(VALU_DEP_1)
	v_add_f32_e32 v7, v7, v9
	v_mul_f32_e32 v9, v131, v135
	v_fma_f32 v9, v130, v134, -v9
	s_delay_alu instid0(VALU_DEP_1) | instskip(SKIP_1) | instid1(VALU_DEP_1)
	v_add_f32_e32 v7, v7, v9
	v_mul_f32_e32 v9, v133, v137
	;; [unrolled: 4-line block ×27, first 2 shown]
	v_fma_f32 v9, v234, v238, -v9
	s_set_vgpr_msb 64                       ;  msbs: dst=1 src0=0 src1=0 src2=0
	s_delay_alu instid0(VALU_DEP_1) | instskip(SKIP_3) | instid1(VALU_DEP_1)
	v_add_f32_e32 v6 /*v262*/, v7, v9
	s_set_vgpr_msb 0                        ;  msbs: dst=0 src0=0 src1=0 src2=0
	v_mul_f32_e32 v7, v237, v241
	s_set_vgpr_msb 64                       ;  msbs: dst=1 src0=0 src1=0 src2=0
	v_fma_f32 v8 /*v264*/, v236, v240, -v7
	s_set_vgpr_msb 0                        ;  msbs: dst=0 src0=0 src1=0 src2=0
	v_mul_f32_e32 v7, v243, v247
	s_set_vgpr_msb 5                        ;  msbs: dst=0 src0=1 src1=1 src2=0
	s_delay_alu instid0(VALU_DEP_2) | instskip(SKIP_1) | instid1(VALU_DEP_2)
	v_pk_add_f32 v[112:113], v[6:7] /*v[262:263]*/, v[8:9] /*v[264:265]*/
	s_set_vgpr_msb 64                       ;  msbs: dst=1 src0=0 src1=0 src2=0
	v_fma_f32 v10 /*v266*/, v242, v246, -v7
	s_set_vgpr_msb 4                        ;  msbs: dst=0 src0=0 src1=1 src2=0
	s_delay_alu instid0(VALU_DEP_1) | instskip(SKIP_1) | instid1(VALU_DEP_1)
	v_pk_add_f32 v[112:113], v[112:113], v[10:11] /*v[266:267]*/
	s_set_vgpr_msb 0                        ;  msbs: dst=0 src0=0 src1=0 src2=0
	v_pk_add_f32 v[112:113], v[112:113], v[116:117]
	v_pk_fma_f32 v[116:117], v[98:99], v[250:251], v[114:115] neg_lo:[0,0,1] neg_hi:[0,0,1]
	v_pk_fma_f32 v[98:99], v[98:99], v[250:251], v[114:115] op_sel_hi:[1,0,1]
	s_delay_alu instid0(VALU_DEP_1) | instskip(NEXT) | instid1(VALU_DEP_1)
	v_dual_mov_b32 v114, v253 :: v_dual_mov_b32 v117, v99
	v_pk_add_f32 v[98:99], v[112:113], v[116:117]
	v_dual_mov_b32 v112, v101 :: v_dual_mov_b32 v113, v100
	s_delay_alu instid0(VALU_DEP_1) | instskip(NEXT) | instid1(VALU_DEP_1)
	v_pk_mul_f32 v[112:113], v[112:113], v[114:115] op_sel_hi:[1,0]
	v_pk_fma_f32 v[114:115], v[100:101], v[252:253], v[112:113] neg_lo:[0,0,1] neg_hi:[0,0,1]
	v_pk_fma_f32 v[100:101], v[100:101], v[252:253], v[112:113] op_sel_hi:[1,0,1]
	s_delay_alu instid0(VALU_DEP_1) | instskip(SKIP_2) | instid1(VALU_DEP_2)
	v_mov_b32_e32 v115, v101
	s_wait_loadcnt_dscnt 0x202
	v_pk_mul_f32 v[100:101], v[102:103], v[254:255] op_sel:[1,1] op_sel_hi:[0,1]
	v_pk_add_f32 v[98:99], v[98:99], v[114:115]
	s_delay_alu instid0(VALU_DEP_2)
	v_pk_fma_f32 v[112:113], v[102:103], v[254:255], v[100:101] neg_lo:[0,0,1] neg_hi:[0,0,1]
	v_pk_fma_f32 v[100:101], v[102:103], v[254:255], v[100:101] op_sel_hi:[1,0,1]
	v_mov_b32_e32 v100, v105
	s_set_vgpr_msb 1                        ;  msbs: dst=0 src0=1 src1=0 src2=0
	v_mov_b32_e32 v102, v1 /*v257*/
	s_set_vgpr_msb 0                        ;  msbs: dst=0 src0=0 src1=0 src2=0
	v_dual_mov_b32 v113, v101 :: v_dual_mov_b32 v101, v104
	s_delay_alu instid0(VALU_DEP_1) | instskip(NEXT) | instid1(VALU_DEP_2)
	v_pk_add_f32 v[98:99], v[98:99], v[112:113]
	v_pk_mul_f32 v[100:101], v[100:101], v[102:103] op_sel_hi:[1,0]
	s_set_vgpr_msb 4                        ;  msbs: dst=0 src0=0 src1=1 src2=0
	s_delay_alu instid0(VALU_DEP_1) | instskip(SKIP_1) | instid1(VALU_DEP_1)
	v_pk_fma_f32 v[102:103], v[104:105], v[0:1] /*v[256:257]*/, v[100:101] neg_lo:[0,0,1] neg_hi:[0,0,1]
	v_pk_fma_f32 v[100:101], v[104:105], v[0:1] /*v[256:257]*/, v[100:101] op_sel_hi:[1,0,1]
	v_mov_b32_e32 v103, v101
	s_wait_loadcnt_dscnt 0x101
	v_pk_mul_f32 v[100:101], v[106:107], v[2:3] /*v[258:259]*/ op_sel:[1,1] op_sel_hi:[0,1]
	s_set_vgpr_msb 0                        ;  msbs: dst=0 src0=0 src1=0 src2=0
	s_delay_alu instid0(VALU_DEP_2) | instskip(SKIP_1) | instid1(VALU_DEP_2)
	v_pk_add_f32 v[98:99], v[98:99], v[102:103]
	s_set_vgpr_msb 4                        ;  msbs: dst=0 src0=0 src1=1 src2=0
	v_pk_fma_f32 v[102:103], v[106:107], v[2:3] /*v[258:259]*/, v[100:101] neg_lo:[0,0,1] neg_hi:[0,0,1]
	v_pk_fma_f32 v[100:101], v[106:107], v[2:3] /*v[258:259]*/, v[100:101] op_sel_hi:[1,0,1]
	s_delay_alu instid0(VALU_DEP_1) | instskip(SKIP_2) | instid1(VALU_DEP_2)
	v_dual_mov_b32 v100, v109 :: v_dual_mov_b32 v103, v101
	v_mov_b32_e32 v101, v108
	s_set_vgpr_msb 0                        ;  msbs: dst=0 src0=0 src1=0 src2=0
	v_pk_add_f32 v[98:99], v[98:99], v[102:103]
	s_set_vgpr_msb 1                        ;  msbs: dst=0 src0=1 src1=0 src2=0
	v_mov_b32_e32 v102, v5 /*v261*/
	s_set_vgpr_msb 0                        ;  msbs: dst=0 src0=0 src1=0 src2=0
	s_delay_alu instid0(VALU_DEP_1) | instskip(SKIP_1) | instid1(VALU_DEP_1)
	v_pk_mul_f32 v[100:101], v[100:101], v[102:103] op_sel_hi:[1,0]
	s_set_vgpr_msb 4                        ;  msbs: dst=0 src0=0 src1=1 src2=0
	v_pk_fma_f32 v[102:103], v[108:109], v[4:5] /*v[260:261]*/, v[100:101] neg_lo:[0,0,1] neg_hi:[0,0,1]
	v_pk_fma_f32 v[100:101], v[108:109], v[4:5] /*v[260:261]*/, v[100:101] op_sel_hi:[1,0,1]
	s_delay_alu instid0(VALU_DEP_1) | instskip(SKIP_3) | instid1(VALU_DEP_2)
	v_mov_b32_e32 v103, v101
	s_wait_loadcnt_dscnt 0x0
	v_pk_mul_f32 v[100:101], v[110:111], v[12:13] /*v[268:269]*/ op_sel:[1,1] op_sel_hi:[0,1]
	s_set_vgpr_msb 0                        ;  msbs: dst=0 src0=0 src1=0 src2=0
	v_pk_add_f32 v[98:99], v[98:99], v[102:103]
	s_set_vgpr_msb 4                        ;  msbs: dst=0 src0=0 src1=1 src2=0
	s_delay_alu instid0(VALU_DEP_2) | instskip(SKIP_1) | instid1(VALU_DEP_1)
	v_pk_fma_f32 v[102:103], v[110:111], v[12:13] /*v[268:269]*/, v[100:101] neg_lo:[0,0,1] neg_hi:[0,0,1]
	v_pk_fma_f32 v[100:101], v[110:111], v[12:13] /*v[268:269]*/, v[100:101] op_sel_hi:[1,0,1]
	v_mov_b32_e32 v103, v101
	scratch_load_b64 v[100:101], off, off offset:16
	s_set_vgpr_msb 0                        ;  msbs: dst=0 src0=0 src1=0 src2=0
	v_pk_add_f32 v[98:99], v[98:99], v[102:103]
	s_wait_loadcnt 0x0
	s_delay_alu instid0(VALU_DEP_1)
	v_pk_add_f32 v[98:99], v[100:101], v[98:99] neg_lo:[0,1] neg_hi:[0,1]
	scratch_store_b64 off, v[98:99], off offset:16
	s_wait_xcnt 0x0
	v_cmpx_lt_u32_e32 1, v0
	s_cbranch_execz .LBB111_299
; %bb.298:
	scratch_load_b64 v[98:99], off, off offset:8
	v_mov_b64_e32 v[100:101], 0
	scratch_store_b64 off, v[100:101], off offset:8
	s_wait_loadcnt 0x0
	ds_store_b64 v1, v[98:99]
.LBB111_299:
	s_wait_xcnt 0x0
	s_or_b32 exec_lo, exec_lo, s0
	s_wait_storecnt_dscnt 0x0
	s_barrier_signal -1
	s_barrier_wait -1
	s_clause 0x18
	scratch_load_b128 v[98:101], off, off offset:16
	scratch_load_b128 v[102:105], off, off offset:32
	scratch_load_b128 v[106:109], off, off offset:48
	scratch_load_b128 v[110:113], off, off offset:64
	scratch_load_b128 v[114:117], off, off offset:80
	scratch_load_b128 v[118:121], off, off offset:96
	scratch_load_b128 v[122:125], off, off offset:112
	scratch_load_b128 v[126:129], off, off offset:128
	scratch_load_b128 v[130:133], off, off offset:144
	scratch_load_b128 v[134:137], off, off offset:160
	scratch_load_b128 v[138:141], off, off offset:176
	scratch_load_b128 v[142:145], off, off offset:192
	scratch_load_b128 v[146:149], off, off offset:208
	scratch_load_b128 v[150:153], off, off offset:224
	scratch_load_b128 v[154:157], off, off offset:240
	scratch_load_b128 v[158:161], off, off offset:256
	scratch_load_b128 v[162:165], off, off offset:272
	scratch_load_b128 v[166:169], off, off offset:288
	scratch_load_b128 v[170:173], off, off offset:304
	scratch_load_b128 v[174:177], off, off offset:320
	scratch_load_b128 v[178:181], off, off offset:336
	scratch_load_b128 v[182:185], off, off offset:352
	scratch_load_b128 v[186:189], off, off offset:368
	s_set_vgpr_msb 64                       ;  msbs: dst=1 src0=0 src1=0 src2=0
	scratch_load_b64 v[26:27] /*v[282:283]*/, off, off offset:8
	s_set_vgpr_msb 0                        ;  msbs: dst=0 src0=0 src1=0 src2=0
	ds_load_b128 v[190:193], v77 offset:400
	ds_load_b128 v[194:197], v77 offset:416
	;; [unrolled: 1-line block ×17, first 2 shown]
	s_set_vgpr_msb 64                       ;  msbs: dst=1 src0=0 src1=0 src2=0
	ds_load_b128 v[2:5] /*v[258:261]*/, v77 offset:592
	ds_load_b128 v[6:9] /*v[262:265]*/, v77 offset:608
	;; [unrolled: 1-line block ×6, first 2 shown]
	s_set_vgpr_msb 0                        ;  msbs: dst=0 src0=0 src1=0 src2=0
	v_ashrrev_i32_e32 v75, 31, v74
	s_wait_dscnt 0x13
	s_set_vgpr_msb 64                       ;  msbs: dst=1 src0=0 src1=0 src2=0
	v_dual_mov_b32 v28 /*v284*/, v205 :: v_dual_mov_b32 v29 /*v285*/, v204
	s_wait_dscnt 0x12
	v_dual_mov_b32 v30 /*v286*/, v209 :: v_dual_mov_b32 v31 /*v287*/, v208
	s_wait_dscnt 0xf
	;; [unrolled: 2-line block ×3, first 2 shown]
	v_dual_mov_b32 v34 /*v290*/, v225 :: v_dual_mov_b32 v35 /*v291*/, v224
	s_set_vgpr_msb 0                        ;  msbs: dst=0 src0=0 src1=0 src2=0
	v_dual_ashrrev_i32 v7, 31, v6 :: v_dual_ashrrev_i32 v9, 31, v8
	v_dual_ashrrev_i32 v11, 31, v10 :: v_dual_ashrrev_i32 v13, 31, v12
	;; [unrolled: 1-line block ×17, first 2 shown]
	s_mov_b32 s0, exec_lo
	s_wait_loadcnt 0x17
	v_dual_mul_f32 v77, v190, v99 :: v_dual_mul_f32 v79, v192, v101
	s_wait_loadcnt 0x16
	v_dual_mul_f32 v81, v194, v103 :: v_dual_mul_f32 v83, v196, v105
	s_delay_alu instid0(VALU_DEP_2) | instskip(NEXT) | instid1(VALU_DEP_3)
	v_dual_mul_f32 v85, v191, v99 :: v_dual_fmac_f32 v77, v191, v98
	v_dual_fmac_f32 v79, v193, v100 :: v_dual_mul_f32 v87, v193, v101
	s_delay_alu instid0(VALU_DEP_2) | instskip(NEXT) | instid1(VALU_DEP_3)
	v_dual_mul_f32 v89, v195, v103 :: v_dual_fma_f32 v85, v190, v98, -v85
	v_add_f32_e32 v77, 0, v77
	s_wait_loadcnt 0x15
	v_dual_mul_f32 v91, v197, v105 :: v_dual_mul_f32 v93, v210, v107
	v_fma_f32 v87, v192, v100, -v87
	s_wait_loadcnt_dscnt 0x903
	s_set_vgpr_msb 1                        ;  msbs: dst=0 src0=1 src1=0 src2=0
	v_dual_mul_f32 v98, v10 /*v266*/, v155 :: v_dual_add_f32 v85, 0, v85
	s_set_vgpr_msb 0                        ;  msbs: dst=0 src0=0 src1=0 src2=0
	v_fmac_f32_e32 v81, v195, v102
	v_dual_fma_f32 v89, v194, v102, -v89 :: v_dual_add_f32 v77, v77, v79
	v_dual_mul_f32 v99, v216, v113 :: v_dual_mul_f32 v101, v211, v107
	v_dual_add_f32 v79, v85, v87 :: v_dual_fma_f32 v87, v196, v104, -v91
	v_fmac_f32_e32 v83, v197, v104
	s_delay_alu instid0(VALU_DEP_4) | instskip(SKIP_3) | instid1(VALU_DEP_4)
	v_dual_add_f32 v77, v77, v81 :: v_dual_fmac_f32 v93, v211, v106
	v_dual_mul_f32 v95, v212, v109 :: v_dual_mul_f32 v97, v214, v111
	v_dual_mul_f32 v103, v213, v109 :: v_dual_mul_f32 v105, v215, v111
	v_dual_add_f32 v79, v79, v89 :: v_dual_fma_f32 v89, v210, v106, -v101
	v_add_f32_e32 v77, v77, v83
	s_delay_alu instid0(VALU_DEP_4) | instskip(SKIP_1) | instid1(VALU_DEP_4)
	v_fmac_f32_e32 v95, v213, v108
	v_dual_mul_f32 v107, v217, v113 :: v_dual_mul_f32 v109, v226, v115
	v_dual_add_f32 v79, v79, v87 :: v_dual_fma_f32 v87, v212, v108, -v103
	s_delay_alu instid0(VALU_DEP_4) | instskip(NEXT) | instid1(VALU_DEP_2)
	v_dual_add_f32 v77, v77, v93 :: v_dual_fmac_f32 v97, v215, v110
	v_dual_fma_f32 v91, v214, v110, -v105 :: v_dual_add_f32 v79, v79, v89
	v_fmac_f32_e32 v99, v217, v112
	s_delay_alu instid0(VALU_DEP_3) | instskip(SKIP_1) | instid1(VALU_DEP_2)
	v_dual_add_f32 v77, v77, v95 :: v_dual_fma_f32 v93, v216, v112, -v107
	v_dual_mul_f32 v111, v228, v117 :: v_dual_mul_f32 v113, v230, v119
	v_dual_add_f32 v79, v79, v87 :: v_dual_add_f32 v77, v77, v97
	v_dual_mul_f32 v115, v227, v115 :: v_dual_mul_f32 v117, v229, v117
	v_fmac_f32_e32 v109, v227, v114
	s_delay_alu instid0(VALU_DEP_3) | instskip(NEXT) | instid1(VALU_DEP_4)
	v_add_f32_e32 v79, v79, v91
	v_add_f32_e32 v77, v77, v99
	s_delay_alu instid0(VALU_DEP_4) | instskip(NEXT) | instid1(VALU_DEP_3)
	v_dual_mul_f32 v119, v231, v119 :: v_dual_fma_f32 v95, v226, v114, -v115
	v_dual_fmac_f32 v111, v229, v116 :: v_dual_add_f32 v79, v79, v93
	s_delay_alu instid0(VALU_DEP_3)
	v_add_f32_e32 v77, v77, v109
	s_set_vgpr_msb 64                       ;  msbs: dst=1 src0=0 src1=0 src2=0
	v_dual_mul_f32 v36 /*v292*/, v232, v121 :: v_dual_mul_f32 v37 /*v293*/, v234, v123
	s_set_vgpr_msb 0                        ;  msbs: dst=0 src0=0 src1=0 src2=0
	v_dual_mul_f32 v121, v233, v121 :: v_dual_mul_f32 v93, v243, v131
	v_dual_fma_f32 v97, v228, v116, -v117 :: v_dual_add_f32 v79, v79, v95
	v_dual_mul_f32 v95, v245, v133 :: v_dual_fmac_f32 v113, v231, v118
	v_dual_fma_f32 v101, v230, v118, -v119 :: v_dual_add_f32 v77, v77, v111
	s_wait_loadcnt 0x5
	s_delay_alu instid0(VALU_DEP_3)
	v_dual_add_f32 v79, v79, v97 :: v_dual_mul_f32 v99, v198, v171
	s_set_vgpr_msb 64                       ;  msbs: dst=1 src0=0 src1=0 src2=0
	v_dual_fmac_f32 v36 /*v292*/, v233, v120 :: v_dual_fmac_f32 v37 /*v293*/, v235, v122
	s_set_vgpr_msb 0                        ;  msbs: dst=0 src0=0 src1=0 src2=0
	v_dual_fma_f32 v97, v232, v120, -v121 :: v_dual_add_f32 v77, v77, v113
	s_set_vgpr_msb 64                       ;  msbs: dst=1 src0=0 src1=0 src2=0
	v_dual_mul_f32 v38 /*v294*/, v236, v125 :: v_dual_mul_f32 v39 /*v295*/, v238, v127
	v_dual_mul_f32 v40 /*v296*/, v240, v129 :: v_dual_mul_f32 v41 /*v297*/, v242, v131
	s_set_vgpr_msb 4                        ;  msbs: dst=0 src0=0 src1=1 src2=0
	v_add_f32_e32 v77, v77, v36 /*v292*/
	s_set_vgpr_msb 64                       ;  msbs: dst=1 src0=0 src1=0 src2=0
	v_dual_fmac_f32 v38 /*v294*/, v237, v124 :: v_dual_fmac_f32 v39 /*v295*/, v239, v126
	v_dual_fmac_f32 v40 /*v296*/, v241, v128 :: v_dual_fmac_f32 v41 /*v297*/, v243, v130
	s_set_vgpr_msb 4                        ;  msbs: dst=0 src0=0 src1=1 src2=0
	v_add_f32_e32 v77, v77, v37 /*v293*/
	s_set_vgpr_msb 64                       ;  msbs: dst=1 src0=0 src1=0 src2=0
	v_dual_mul_f32 v42 /*v298*/, v244, v133 :: v_dual_mul_f32 v43 /*v299*/, v246, v135
	s_set_vgpr_msb 0                        ;  msbs: dst=0 src0=0 src1=0 src2=0
	v_dual_mul_f32 v123, v235, v123 :: v_dual_mul_f32 v125, v237, v125
	s_set_vgpr_msb 4                        ;  msbs: dst=0 src0=0 src1=1 src2=0
	v_add_f32_e32 v77, v77, v38 /*v294*/
	s_set_vgpr_msb 64                       ;  msbs: dst=1 src0=0 src1=0 src2=0
	v_dual_fmac_f32 v42 /*v298*/, v245, v132 :: v_dual_fmac_f32 v43 /*v299*/, v247, v134
	v_dual_mul_f32 v44 /*v300*/, v248, v137 :: v_dual_mul_f32 v45 /*v301*/, v250, v139
	s_set_vgpr_msb 4                        ;  msbs: dst=0 src0=0 src1=1 src2=0
	v_add_f32_e32 v77, v77, v39 /*v295*/
	s_set_vgpr_msb 0                        ;  msbs: dst=0 src0=0 src1=0 src2=0
	v_dual_add_f32 v79, v79, v101 :: v_dual_fma_f32 v102, v234, v122, -v123
	s_set_vgpr_msb 64                       ;  msbs: dst=1 src0=0 src1=0 src2=0
	v_dual_fmac_f32 v44 /*v300*/, v249, v136 :: v_dual_fmac_f32 v45 /*v301*/, v251, v138
	s_set_vgpr_msb 4                        ;  msbs: dst=0 src0=0 src1=1 src2=0
	v_add_f32_e32 v77, v77, v40 /*v296*/
	s_set_vgpr_msb 0                        ;  msbs: dst=0 src0=0 src1=0 src2=0
	v_dual_add_f32 v79, v79, v97 :: v_dual_fma_f32 v103, v236, v124, -v125
	v_dual_mul_f32 v127, v239, v127 :: v_dual_mul_f32 v129, v241, v129
	s_set_vgpr_msb 4                        ;  msbs: dst=0 src0=0 src1=1 src2=0
	v_add_f32_e32 v77, v77, v41 /*v297*/
	s_set_vgpr_msb 64                       ;  msbs: dst=1 src0=0 src1=0 src2=0
	v_dual_mul_f32 v46 /*v302*/, v252, v141 :: v_dual_mul_f32 v47 /*v303*/, v254, v143
	s_set_vgpr_msb 0                        ;  msbs: dst=0 src0=0 src1=0 src2=0
	v_dual_add_f32 v79, v79, v102 :: v_dual_mul_f32 v102, v249, v137
	s_set_vgpr_msb 4                        ;  msbs: dst=0 src0=0 src1=1 src2=0
	v_add_f32_e32 v77, v77, v42 /*v298*/
	s_set_vgpr_msb 0                        ;  msbs: dst=0 src0=0 src1=0 src2=0
	v_fma_f32 v104, v238, v126, -v127
	s_set_vgpr_msb 64                       ;  msbs: dst=1 src0=0 src1=0 src2=0
	v_dual_fmac_f32 v46 /*v302*/, v253, v140 :: v_dual_fmac_f32 v47 /*v303*/, v255, v142
	s_set_vgpr_msb 0                        ;  msbs: dst=0 src0=0 src1=0 src2=0
	v_add_f32_e32 v79, v79, v103
	s_set_vgpr_msb 4                        ;  msbs: dst=0 src0=0 src1=1 src2=0
	v_add_f32_e32 v77, v77, v43 /*v299*/
	s_set_vgpr_msb 0x41                     ;  msbs: dst=1 src0=1 src1=0 src2=0
	v_dual_mul_f32 v48 /*v304*/, v0 /*v256*/, v145 :: v_dual_mul_f32 v49 /*v305*/, v2 /*v258*/, v147
	s_set_vgpr_msb 0                        ;  msbs: dst=0 src0=0 src1=0 src2=0
	v_dual_mul_f32 v103, v251, v139 :: v_dual_fma_f32 v105, v240, v128, -v129
	s_set_vgpr_msb 4                        ;  msbs: dst=0 src0=0 src1=1 src2=0
	v_add_f32_e32 v77, v77, v44 /*v300*/
	s_set_vgpr_msb 0                        ;  msbs: dst=0 src0=0 src1=0 src2=0
	v_dual_add_f32 v79, v79, v104 :: v_dual_mul_f32 v104, v253, v141
	s_set_vgpr_msb 0x41                     ;  msbs: dst=1 src0=1 src1=0 src2=0
	v_dual_mul_f32 v52 /*v308*/, v8 /*v264*/, v153 :: v_dual_fmac_f32 v48 /*v304*/, v1 /*v257*/, v144
	s_set_vgpr_msb 4                        ;  msbs: dst=0 src0=0 src1=1 src2=0
	v_add_f32_e32 v77, v77, v45 /*v301*/
	s_set_vgpr_msb 0                        ;  msbs: dst=0 src0=0 src1=0 src2=0
	v_dual_fma_f32 v93, v242, v130, -v93 :: v_dual_add_f32 v79, v79, v105
	s_set_vgpr_msb 0x41                     ;  msbs: dst=1 src0=1 src1=0 src2=0
	v_dual_mul_f32 v50 /*v306*/, v4 /*v260*/, v149 :: v_dual_mul_f32 v51 /*v307*/, v6 /*v262*/, v151
	s_set_vgpr_msb 4                        ;  msbs: dst=0 src0=0 src1=1 src2=0
	v_add_f32_e32 v77, v77, v46 /*v302*/
	s_set_vgpr_msb 0                        ;  msbs: dst=0 src0=0 src1=0 src2=0
	v_dual_mul_f32 v101, v200, v173 :: v_dual_mul_f32 v97, v247, v135
	v_dual_mul_f32 v105, v255, v143 :: v_dual_fma_f32 v95, v244, v132, -v95
	s_set_vgpr_msb 4                        ;  msbs: dst=0 src0=0 src1=1 src2=0
	v_add_f32_e32 v77, v77, v47 /*v303*/
	s_set_vgpr_msb 0                        ;  msbs: dst=0 src0=0 src1=0 src2=0
	v_dual_add_f32 v79, v79, v93 :: v_dual_fma_f32 v97, v246, v134, -v97
	s_set_vgpr_msb 0x41                     ;  msbs: dst=1 src0=1 src1=0 src2=0
	v_dual_fmac_f32 v49 /*v305*/, v3 /*v259*/, v146 :: v_dual_fmac_f32 v50 /*v306*/, v5 /*v261*/, v148
	s_set_vgpr_msb 4                        ;  msbs: dst=0 src0=0 src1=1 src2=0
	v_add_f32_e32 v77, v77, v48 /*v304*/
	s_set_vgpr_msb 0                        ;  msbs: dst=0 src0=0 src1=0 src2=0
	v_dual_add_f32 v79, v79, v95 :: v_dual_fma_f32 v102, v248, v136, -v102
	s_set_vgpr_msb 0x41                     ;  msbs: dst=1 src0=1 src1=0 src2=0
	v_dual_fmac_f32 v51 /*v307*/, v7 /*v263*/, v150 :: v_dual_fmac_f32 v52 /*v308*/, v9 /*v265*/, v152
	s_set_vgpr_msb 4                        ;  msbs: dst=0 src0=0 src1=1 src2=0
	v_add_f32_e32 v77, v77, v49 /*v305*/
	s_set_vgpr_msb 0                        ;  msbs: dst=0 src0=0 src1=0 src2=0
	v_dual_add_f32 v79, v79, v97 :: v_dual_fma_f32 v103, v250, v138, -v103
	s_wait_dscnt 0x2
	s_set_vgpr_msb 1                        ;  msbs: dst=0 src0=1 src1=0 src2=0
	v_dual_mul_f32 v100, v12 /*v268*/, v157 :: v_dual_mul_f32 v85, v14 /*v270*/, v159
	s_set_vgpr_msb 4                        ;  msbs: dst=0 src0=0 src1=1 src2=0
	v_add_f32_e32 v77, v77, v50 /*v306*/
	s_set_vgpr_msb 0                        ;  msbs: dst=0 src0=0 src1=0 src2=0
	v_dual_add_f32 v79, v79, v102 :: v_dual_fma_f32 v104, v252, v140, -v104
	s_wait_dscnt 0x1
	s_set_vgpr_msb 1                        ;  msbs: dst=0 src0=1 src1=0 src2=0
	v_dual_mul_f32 v106, v21 /*v277*/, v165 :: v_dual_fmac_f32 v98, v11 /*v267*/, v154
	s_set_vgpr_msb 4                        ;  msbs: dst=0 src0=0 src1=1 src2=0
	v_add_f32_e32 v77, v77, v51 /*v307*/
	s_set_vgpr_msb 0                        ;  msbs: dst=0 src0=0 src1=0 src2=0
	v_dual_add_f32 v79, v79, v103 :: v_dual_fma_f32 v105, v254, v142, -v105
	s_set_vgpr_msb 1                        ;  msbs: dst=0 src0=1 src1=0 src2=0
	v_dual_fmac_f32 v100, v13 /*v269*/, v156 :: v_dual_mul_f32 v81, v16 /*v272*/, v161
	v_mul_f32_e32 v83, v18 /*v274*/, v163
	s_set_vgpr_msb 4                        ;  msbs: dst=0 src0=0 src1=1 src2=0
	v_add_f32_e32 v77, v77, v52 /*v308*/
	s_set_vgpr_msb 0                        ;  msbs: dst=0 src0=0 src1=0 src2=0
	v_add_f32_e32 v79, v79, v104
	s_set_vgpr_msb 1                        ;  msbs: dst=0 src0=1 src1=0 src2=0
	v_dual_mul_f32 v93, v1 /*v257*/, v145 :: v_dual_mul_f32 v102, v7 /*v263*/, v151
	v_fmac_f32_e32 v85, v15 /*v271*/, v158
	s_set_vgpr_msb 0                        ;  msbs: dst=0 src0=0 src1=0 src2=0
	v_dual_add_f32 v77, v77, v98 :: v_dual_add_f32 v79, v79, v105
	s_wait_dscnt 0x0
	s_set_vgpr_msb 1                        ;  msbs: dst=0 src0=1 src1=0 src2=0
	v_dual_mul_f32 v98, v25 /*v281*/, v169 :: v_dual_mul_f32 v91, v24 /*v280*/, v169
	v_mul_f32_e32 v95, v3 /*v259*/, v147
	s_set_vgpr_msb 0                        ;  msbs: dst=0 src0=0 src1=0 src2=0
	v_add_f32_e32 v77, v77, v100
	s_set_vgpr_msb 1                        ;  msbs: dst=0 src0=1 src1=0 src2=0
	v_dual_mul_f32 v103, v9 /*v265*/, v153 :: v_dual_fma_f32 v93, v0 /*v256*/, v144, -v93
	s_set_vgpr_msb 0                        ;  msbs: dst=0 src0=0 src1=0 src2=0
	v_mul_f32_e32 v100, v199, v171
	s_set_vgpr_msb 1                        ;  msbs: dst=0 src0=1 src1=0 src2=0
	v_dual_fmac_f32 v81, v17 /*v273*/, v160 :: v_dual_fmac_f32 v83, v19 /*v275*/, v162
	s_set_vgpr_msb 0                        ;  msbs: dst=0 src0=0 src1=0 src2=0
	v_add_f32_e32 v77, v77, v85
	s_set_vgpr_msb 1                        ;  msbs: dst=0 src0=1 src1=0 src2=0
	v_dual_mul_f32 v97, v5 /*v261*/, v149 :: v_dual_mul_f32 v104, v11 /*v267*/, v155
	v_dual_mul_f32 v105, v13 /*v269*/, v157 :: v_dual_fma_f32 v95, v2 /*v258*/, v146, -v95
	s_set_vgpr_msb 0                        ;  msbs: dst=0 src0=0 src1=0 src2=0
	v_add_f32_e32 v77, v77, v81
	v_add_f32_e32 v79, v79, v93
	s_set_vgpr_msb 1                        ;  msbs: dst=0 src0=1 src1=0 src2=0
	v_dual_mul_f32 v93, v15 /*v271*/, v159 :: v_dual_fma_f32 v97, v4 /*v260*/, v148, -v97
	v_dual_mul_f32 v89, v20 /*v276*/, v165 :: v_dual_mul_f32 v87, v22 /*v278*/, v167
	s_set_vgpr_msb 0                        ;  msbs: dst=0 src0=0 src1=0 src2=0
	v_add_f32_e32 v77, v77, v83
	v_dual_add_f32 v79, v79, v95 :: v_dual_mul_f32 v85, v201, v173
	s_set_vgpr_msb 1                        ;  msbs: dst=0 src0=1 src1=0 src2=0
	v_dual_mul_f32 v95, v17 /*v273*/, v161 :: v_dual_fma_f32 v102, v6 /*v262*/, v150, -v102
	v_fma_f32 v103, v8 /*v264*/, v152, -v103
	s_set_vgpr_msb 0                        ;  msbs: dst=0 src0=0 src1=0 src2=0
	v_add_f32_e32 v79, v79, v97
	s_set_vgpr_msb 1                        ;  msbs: dst=0 src0=1 src1=0 src2=0
	v_dual_mul_f32 v97, v19 /*v275*/, v163 :: v_dual_fmac_f32 v89, v21 /*v277*/, v164
	v_dual_fmac_f32 v87, v23 /*v279*/, v166 :: v_dual_mul_f32 v107, v23 /*v279*/, v167
	s_set_vgpr_msb 0                        ;  msbs: dst=0 src0=0 src1=0 src2=0
	v_add_f32_e32 v79, v79, v102
	s_set_vgpr_msb 1                        ;  msbs: dst=0 src0=1 src1=0 src2=0
	v_fma_f32 v102, v10 /*v266*/, v154, -v104
	s_set_vgpr_msb 0                        ;  msbs: dst=0 src0=0 src1=0 src2=0
	v_add_f32_e32 v77, v77, v89
	s_wait_loadcnt 0x3
	v_mov_b32_e32 v108, v181
	s_set_vgpr_msb 1                        ;  msbs: dst=0 src0=1 src1=0 src2=0
	v_dual_fma_f32 v93, v14 /*v270*/, v158, -v93 :: v_dual_fma_f32 v95, v16 /*v272*/, v160, -v95
	s_set_vgpr_msb 0                        ;  msbs: dst=0 src0=0 src1=0 src2=0
	v_add_f32_e32 v79, v79, v103
	s_set_vgpr_msb 1                        ;  msbs: dst=0 src0=1 src1=0 src2=0
	v_fma_f32 v103, v12 /*v268*/, v156, -v105
	s_set_vgpr_msb 0                        ;  msbs: dst=0 src0=0 src1=0 src2=0
	v_add_f32_e32 v77, v77, v87
	s_set_vgpr_msb 1                        ;  msbs: dst=0 src0=1 src1=0 src2=0
	v_fmac_f32_e32 v91, v25 /*v281*/, v168
	v_fma_f32 v81, v20 /*v276*/, v164, -v106
	s_set_vgpr_msb 0                        ;  msbs: dst=0 src0=0 src1=0 src2=0
	v_dual_add_f32 v79, v79, v102 :: v_dual_mov_b32 v104, v177
	s_set_vgpr_msb 1                        ;  msbs: dst=0 src0=1 src1=0 src2=0
	v_fma_f32 v83, v22 /*v278*/, v166, -v107
	s_set_vgpr_msb 0                        ;  msbs: dst=0 src0=0 src1=0 src2=0
	v_add_f32_e32 v111, v77, v91
	v_dual_fmac_f32 v101, v201, v172 :: v_dual_add_f32 v79, v79, v103
	v_pk_mul_f32 v[102:103], v[202:203], v[174:175] op_sel:[1,1] op_sel_hi:[0,1]
	s_set_vgpr_msb 1                        ;  msbs: dst=0 src0=1 src1=0 src2=0
	v_pk_mul_f32 v[104:105], v[28:29] /*v[284:285]*/, v[104:105] op_sel_hi:[1,0]
	s_set_vgpr_msb 0                        ;  msbs: dst=0 src0=0 src1=0 src2=0
	v_pk_mul_f32 v[106:107], v[206:207], v[178:179] op_sel:[1,1] op_sel_hi:[0,1]
	s_set_vgpr_msb 1                        ;  msbs: dst=0 src0=1 src1=0 src2=0
	v_pk_mul_f32 v[108:109], v[30:31] /*v[286:287]*/, v[108:109] op_sel_hi:[1,0]
	s_set_vgpr_msb 0                        ;  msbs: dst=0 src0=0 src1=0 src2=0
	v_add_f32_e32 v79, v79, v93
	s_set_vgpr_msb 1                        ;  msbs: dst=0 src0=1 src1=0 src2=0
	v_fma_f32 v93, v18 /*v274*/, v162, -v97
	s_set_vgpr_msb 0                        ;  msbs: dst=0 src0=0 src1=0 src2=0
	v_pk_fma_f32 v[112:113], v[202:203], v[174:175], v[102:103] op_sel_hi:[1,0,1]
	v_pk_fma_f32 v[102:103], v[202:203], v[174:175], v[102:103] neg_lo:[0,0,1] neg_hi:[0,0,1]
	v_dual_ashrrev_i32 v87, 31, v86 :: v_dual_ashrrev_i32 v89, 31, v88
	s_delay_alu instid0(VALU_DEP_3) | instskip(SKIP_3) | instid1(VALU_DEP_4)
	v_dual_add_f32 v79, v79, v95 :: v_dual_mov_b32 v103, v113
	v_pk_fma_f32 v[112:113], v[204:205], v[176:177], v[104:105] op_sel_hi:[1,0,1]
	v_fmac_f32_e32 v99, v199, v170
	v_pk_fma_f32 v[104:105], v[204:205], v[176:177], v[104:105] neg_lo:[0,0,1] neg_hi:[0,0,1]
	v_dual_add_f32 v79, v79, v93 :: v_dual_ashrrev_i32 v91, 31, v90
	s_delay_alu instid0(VALU_DEP_4) | instskip(SKIP_1) | instid1(VALU_DEP_3)
	v_dual_ashrrev_i32 v93, 31, v92 :: v_dual_mov_b32 v105, v113
	v_dual_ashrrev_i32 v95, 31, v94 :: v_dual_ashrrev_i32 v97, 31, v96
	v_add_f32_e32 v79, v79, v81
	s_set_vgpr_msb 1                        ;  msbs: dst=0 src0=1 src1=0 src2=0
	v_fma_f32 v81, v24 /*v280*/, v168, -v98
	s_set_vgpr_msb 0                        ;  msbs: dst=0 src0=0 src1=0 src2=0
	v_dual_fma_f32 v98, v198, v170, -v100 :: v_dual_fma_f32 v100, v200, v172, -v85
	v_dual_ashrrev_i32 v85, 31, v84 :: v_dual_add_f32 v79, v79, v83
	s_delay_alu instid0(VALU_DEP_1) | instskip(SKIP_1) | instid1(VALU_DEP_2)
	v_dual_add_f32 v110, v79, v81 :: v_dual_ashrrev_i32 v83, 31, v82
	v_ashrrev_i32_e32 v79, 31, v78
	v_pk_add_f32 v[98:99], v[110:111], v[98:99]
	s_wait_loadcnt 0x2
	v_pk_mul_f32 v[110:111], v[218:219], v[182:183] op_sel:[1,1] op_sel_hi:[0,1]
	s_delay_alu instid0(VALU_DEP_2) | instskip(SKIP_2) | instid1(VALU_DEP_3)
	v_pk_add_f32 v[98:99], v[98:99], v[100:101]
	v_pk_fma_f32 v[100:101], v[206:207], v[178:179], v[106:107] op_sel_hi:[1,0,1]
	v_mov_b32_e32 v100, v185
	v_pk_add_f32 v[98:99], v[98:99], v[102:103]
	v_pk_fma_f32 v[102:103], v[206:207], v[178:179], v[106:107] neg_lo:[0,0,1] neg_hi:[0,0,1]
	v_pk_fma_f32 v[106:107], v[208:209], v[180:181], v[108:109] op_sel_hi:[1,0,1]
	v_pk_fma_f32 v[108:109], v[208:209], v[180:181], v[108:109] neg_lo:[0,0,1] neg_hi:[0,0,1]
	s_delay_alu instid0(VALU_DEP_4)
	v_pk_add_f32 v[98:99], v[98:99], v[104:105]
	v_pk_fma_f32 v[104:105], v[218:219], v[182:183], v[110:111] op_sel_hi:[1,0,1]
	v_mov_b32_e32 v103, v101
	s_set_vgpr_msb 1                        ;  msbs: dst=0 src0=1 src1=0 src2=0
	v_pk_mul_f32 v[100:101], v[32:33] /*v[288:289]*/, v[100:101] op_sel_hi:[1,0]
	s_set_vgpr_msb 0                        ;  msbs: dst=0 src0=0 src1=0 src2=0
	v_mov_b32_e32 v109, v107
	v_pk_fma_f32 v[106:107], v[218:219], v[182:183], v[110:111] neg_lo:[0,0,1] neg_hi:[0,0,1]
	v_mov_b32_e32 v107, v105
	v_pk_add_f32 v[98:99], v[98:99], v[102:103]
	v_pk_fma_f32 v[104:105], v[220:221], v[184:185], v[100:101] op_sel_hi:[1,0,1]
	s_wait_loadcnt 0x1
	v_pk_mul_f32 v[102:103], v[222:223], v[186:187] op_sel:[1,1] op_sel_hi:[0,1]
	v_mov_b32_e32 v104, v189
	v_pk_fma_f32 v[100:101], v[220:221], v[184:185], v[100:101] neg_lo:[0,0,1] neg_hi:[0,0,1]
	v_pk_add_f32 v[98:99], v[98:99], v[108:109]
	v_mov_b32_e32 v101, v105
	v_pk_fma_f32 v[108:109], v[222:223], v[186:187], v[102:103] op_sel_hi:[1,0,1]
	s_set_vgpr_msb 1                        ;  msbs: dst=0 src0=1 src1=0 src2=0
	v_pk_mul_f32 v[104:105], v[34:35] /*v[290:291]*/, v[104:105] op_sel_hi:[1,0]
	s_set_vgpr_msb 0                        ;  msbs: dst=0 src0=0 src1=0 src2=0
	v_pk_fma_f32 v[102:103], v[222:223], v[186:187], v[102:103] neg_lo:[0,0,1] neg_hi:[0,0,1]
	v_pk_add_f32 v[98:99], v[98:99], v[106:107]
	v_dual_ashrrev_i32 v77, 31, v76 :: v_dual_mov_b32 v103, v109
	s_delay_alu instid0(VALU_DEP_2) | instskip(SKIP_3) | instid1(VALU_DEP_4)
	v_pk_add_f32 v[98:99], v[98:99], v[100:101]
	v_pk_fma_f32 v[100:101], v[224:225], v[188:189], v[104:105] op_sel_hi:[1,0,1]
	v_pk_fma_f32 v[104:105], v[224:225], v[188:189], v[104:105] neg_lo:[0,0,1] neg_hi:[0,0,1]
	v_ashrrev_i32_e32 v81, 31, v80
	v_pk_add_f32 v[98:99], v[98:99], v[102:103]
	s_delay_alu instid0(VALU_DEP_4) | instskip(NEXT) | instid1(VALU_DEP_1)
	v_mov_b32_e32 v105, v101
	v_pk_add_f32 v[98:99], v[98:99], v[104:105]
	s_wait_loadcnt 0x0
	s_set_vgpr_msb 1                        ;  msbs: dst=0 src0=1 src1=0 src2=0
	s_delay_alu instid0(VALU_DEP_1)
	v_pk_add_f32 v[98:99], v[26:27] /*v[282:283]*/, v[98:99] neg_lo:[0,1] neg_hi:[0,1]
	scratch_store_b64 off, v[98:99], off offset:8
	s_wait_xcnt 0x0
	v_cmpx_ne_u32_e32 0, v0
	s_set_vgpr_msb 0                        ;  msbs: dst=0 src0=0 src1=0 src2=0
	s_cbranch_execz .LBB111_301
; %bb.300:
	scratch_load_b64 v[98:99], off, off
	v_mov_b64_e32 v[100:101], 0
	scratch_store_b64 off, v[100:101], off
	s_wait_loadcnt 0x0
	ds_store_b64 v1, v[98:99]
.LBB111_301:
	s_wait_xcnt 0x0
	s_or_b32 exec_lo, exec_lo, s0
	s_wait_storecnt_dscnt 0x0
	s_barrier_signal -1
	s_barrier_wait -1
	s_clause 0x18
	scratch_load_b128 v[98:101], off, off offset:8
	scratch_load_b128 v[102:105], off, off offset:24
	;; [unrolled: 1-line block ×23, first 2 shown]
	s_set_vgpr_msb 64                       ;  msbs: dst=1 src0=0 src1=0 src2=0
	scratch_load_b64 v[26:27] /*v[282:283]*/, off, off offset:376
	s_set_vgpr_msb 0                        ;  msbs: dst=0 src0=0 src1=0 src2=0
	v_mov_b32_e32 v0, 0
	s_set_vgpr_msb 64                       ;  msbs: dst=1 src0=0 src1=0 src2=0
	scratch_load_b64 v[28:29] /*v[284:285]*/, off, off
	s_set_vgpr_msb 0                        ;  msbs: dst=0 src0=0 src1=0 src2=0
	ds_load_2addr_b64 v[190:193], v0 offset0:49 offset1:50
	ds_load_2addr_b64 v[194:197], v0 offset0:51 offset1:52
	;; [unrolled: 1-line block ×17, first 2 shown]
	s_set_vgpr_msb 64                       ;  msbs: dst=1 src0=0 src1=0 src2=0
	ds_load_2addr_b64 v[2:5] /*v[258:261]*/, v0 offset0:73 offset1:74
	ds_load_2addr_b64 v[6:9] /*v[262:265]*/, v0 offset0:75 offset1:76
	;; [unrolled: 1-line block ×6, first 2 shown]
	ds_load_b64 v[30:31] /*v[286:287]*/, v0 offset:760
	s_wait_dscnt 0x14
	v_dual_mov_b32 v32 /*v288*/, v205 :: v_dual_mov_b32 v33 /*v289*/, v204
	s_wait_dscnt 0x11
	v_dual_mov_b32 v34 /*v290*/, v217 :: v_dual_mov_b32 v35 /*v291*/, v216
	;; [unrolled: 2-line block ×4, first 2 shown]
	s_and_b32 vcc_lo, exec_lo, s12
	s_wait_loadcnt 0x18
	s_set_vgpr_msb 0                        ;  msbs: dst=0 src0=0 src1=0 src2=0
	v_dual_mul_f32 v1, v190, v99 :: v_dual_mul_f32 v99, v191, v99
	s_wait_loadcnt 0x17
	s_set_vgpr_msb 64                       ;  msbs: dst=1 src0=0 src1=0 src2=0
	v_dual_mul_f32 v40 /*v296*/, v192, v101 :: v_dual_mul_f32 v42 /*v298*/, v194, v103
	s_wait_loadcnt 0x15
	v_dual_mul_f32 v46 /*v302*/, v208, v109 :: v_dual_mul_f32 v47 /*v303*/, v210, v111
	s_set_vgpr_msb 0                        ;  msbs: dst=0 src0=0 src1=0 src2=0
	v_dual_mul_f32 v101, v193, v101 :: v_dual_mul_f32 v111, v211, v111
	v_dual_fmac_f32 v1, v191, v98 :: v_dual_fma_f32 v98, v190, v98, -v99
	v_dual_mul_f32 v103, v195, v103 :: v_dual_mul_f32 v99, v213, v113
	s_set_vgpr_msb 64                       ;  msbs: dst=1 src0=0 src1=0 src2=0
	v_dual_mul_f32 v44 /*v300*/, v196, v105 :: v_dual_mul_f32 v45 /*v301*/, v206, v107
	s_set_vgpr_msb 0                        ;  msbs: dst=0 src0=0 src1=0 src2=0
	v_add_f32_e32 v98, 0, v98
	s_set_vgpr_msb 64                       ;  msbs: dst=1 src0=0 src1=0 src2=0
	v_fmac_f32_e32 v40 /*v296*/, v193, v100
	s_set_vgpr_msb 0                        ;  msbs: dst=0 src0=0 src1=0 src2=0
	v_dual_fma_f32 v100, v192, v100, -v101 :: v_dual_add_f32 v1, 0, v1
	v_mul_f32_e32 v105, v197, v105
	s_wait_loadcnt 0x5
	s_set_vgpr_msb 64                       ;  msbs: dst=1 src0=0 src1=0 src2=0
	v_mul_f32_e32 v43 /*v299*/, v202, v175
	s_set_vgpr_msb 0                        ;  msbs: dst=0 src0=0 src1=0 src2=0
	v_mul_f32_e32 v101, v223, v115
	s_set_vgpr_msb 64                       ;  msbs: dst=1 src0=0 src1=0 src2=0
	v_dual_fmac_f32 v42 /*v298*/, v195, v102 :: v_dual_fmac_f32 v44 /*v300*/, v197, v104
	s_set_vgpr_msb 0                        ;  msbs: dst=0 src0=0 src1=0 src2=0
	v_fma_f32 v102, v194, v102, -v103
	v_dual_add_f32 v98, v98, v100 :: v_dual_mul_f32 v107, v207, v107
	v_mul_f32_e32 v109, v209, v109
	v_dual_mul_f32 v100, v225, v117 :: v_dual_fma_f32 v103, v196, v104, -v105
	s_delay_alu instid0(VALU_DEP_3) | instskip(NEXT) | instid1(VALU_DEP_3)
	v_add_f32_e32 v98, v98, v102
	v_dual_fma_f32 v104, v206, v106, -v107 :: v_dual_fma_f32 v105, v208, v108, -v109
	s_set_vgpr_msb 64                       ;  msbs: dst=1 src0=0 src1=0 src2=0
	v_dual_fmac_f32 v45 /*v301*/, v207, v106 :: v_dual_fmac_f32 v46 /*v302*/, v209, v108
	s_set_vgpr_msb 0                        ;  msbs: dst=0 src0=0 src1=0 src2=0
	v_dual_add_f32 v98, v98, v103 :: v_dual_mul_f32 v103, v229, v121
	v_fma_f32 v106, v210, v110, -v111
	v_dual_fma_f32 v101, v222, v114, -v101 :: v_dual_mul_f32 v102, v227, v119
	s_wait_dscnt 0xc
	s_delay_alu instid0(VALU_DEP_3)
	v_dual_add_f32 v98, v98, v104 :: v_dual_mul_f32 v104, v235, v123
	v_fma_f32 v99, v212, v112, -v99
	s_set_vgpr_msb 64                       ;  msbs: dst=1 src0=0 src1=0 src2=0
	v_dual_mul_f32 v48 /*v304*/, v212, v113 :: v_dual_mul_f32 v49 /*v305*/, v222, v115
	s_set_vgpr_msb 0                        ;  msbs: dst=0 src0=0 src1=0 src2=0
	v_add_f32_e32 v98, v98, v105
	v_dual_mul_f32 v105, v237, v125 :: v_dual_fma_f32 v102, v226, v118, -v102
	v_fma_f32 v104, v234, v122, -v104
	s_set_vgpr_msb 64                       ;  msbs: dst=1 src0=0 src1=0 src2=0
	v_dual_fmac_f32 v47 /*v303*/, v211, v110 :: v_dual_fmac_f32 v48 /*v304*/, v213, v112
	s_wait_dscnt 0xb
	s_set_vgpr_msb 0                        ;  msbs: dst=0 src0=0 src1=0 src2=0
	v_dual_add_f32 v98, v98, v106 :: v_dual_mul_f32 v106, v239, v127
	v_fma_f32 v100, v224, v116, -v100
	s_set_vgpr_msb 64                       ;  msbs: dst=1 src0=0 src1=0 src2=0
	v_dual_mul_f32 v50 /*v306*/, v224, v117 :: v_dual_mul_f32 v51 /*v307*/, v226, v119
	s_set_vgpr_msb 0                        ;  msbs: dst=0 src0=0 src1=0 src2=0
	v_dual_add_f32 v98, v98, v99 :: v_dual_mul_f32 v99, v241, v129
	v_fma_f32 v106, v238, v126, -v106
	s_set_vgpr_msb 64                       ;  msbs: dst=1 src0=0 src1=0 src2=0
	v_dual_fmac_f32 v49 /*v305*/, v223, v114 :: v_dual_fmac_f32 v50 /*v306*/, v225, v116
	s_wait_dscnt 0xa
	s_set_vgpr_msb 0                        ;  msbs: dst=0 src0=0 src1=0 src2=0
	v_dual_add_f32 v98, v98, v101 :: v_dual_mul_f32 v101, v243, v131
	s_set_vgpr_msb 64                       ;  msbs: dst=1 src0=0 src1=0 src2=0
	v_dual_mul_f32 v52 /*v308*/, v228, v121 :: v_dual_mul_f32 v53 /*v309*/, v234, v123
	v_fmac_f32_e32 v51 /*v307*/, v227, v118
	s_set_vgpr_msb 0                        ;  msbs: dst=0 src0=0 src1=0 src2=0
	v_dual_add_f32 v98, v98, v100 :: v_dual_mul_f32 v100, v245, v133
	v_dual_fma_f32 v103, v228, v120, -v103 :: v_dual_fma_f32 v101, v242, v130, -v101
	s_set_vgpr_msb 64                       ;  msbs: dst=1 src0=0 src1=0 src2=0
	v_fmac_f32_e32 v52 /*v308*/, v229, v120
	s_set_vgpr_msb 0                        ;  msbs: dst=0 src0=0 src1=0 src2=0
	v_dual_add_f32 v98, v98, v102 :: v_dual_fma_f32 v105, v236, v124, -v105
	s_wait_dscnt 0x9
	v_dual_mul_f32 v102, v247, v135 :: v_dual_fma_f32 v100, v244, v132, -v100
	v_mul_f32_e32 v107, v199, v171
	s_delay_alu instid0(VALU_DEP_3) | instskip(NEXT) | instid1(VALU_DEP_3)
	v_dual_add_f32 v98, v98, v103 :: v_dual_mul_f32 v103, v249, v137
	v_fma_f32 v102, v246, v134, -v102
	s_set_vgpr_msb 64                       ;  msbs: dst=1 src0=0 src1=0 src2=0
	v_dual_mul_f32 v54 /*v310*/, v236, v125 :: v_dual_mul_f32 v55 /*v311*/, v238, v127
	s_wait_dscnt 0x8
	s_set_vgpr_msb 0                        ;  msbs: dst=0 src0=0 src1=0 src2=0
	v_dual_add_f32 v98, v98, v104 :: v_dual_mul_f32 v104, v251, v139
	v_fma_f32 v99, v240, v128, -v99
	v_fma_f32 v108, v198, v170, -v107
	s_set_vgpr_msb 64                       ;  msbs: dst=1 src0=0 src1=0 src2=0
	v_dual_fmac_f32 v53 /*v309*/, v235, v122 :: v_dual_fmac_f32 v54 /*v310*/, v237, v124
	s_set_vgpr_msb 0                        ;  msbs: dst=0 src0=0 src1=0 src2=0
	v_add_f32_e32 v98, v98, v105
	v_dual_mul_f32 v105, v253, v141 :: v_dual_fma_f32 v104, v250, v138, -v104
	s_set_vgpr_msb 64                       ;  msbs: dst=1 src0=0 src1=0 src2=0
	v_dual_mul_f32 v56 /*v312*/, v240, v129 :: v_dual_mul_f32 v57 /*v313*/, v242, v131
	s_wait_dscnt 0x7
	s_set_vgpr_msb 0                        ;  msbs: dst=0 src0=0 src1=0 src2=0
	v_dual_add_f32 v98, v98, v106 :: v_dual_mul_f32 v106, v255, v143
	v_fma_f32 v103, v248, v136, -v103
	s_set_vgpr_msb 64                       ;  msbs: dst=1 src0=0 src1=0 src2=0
	v_dual_fmac_f32 v55 /*v311*/, v239, v126 :: v_dual_fmac_f32 v56 /*v312*/, v241, v128
	s_set_vgpr_msb 0                        ;  msbs: dst=0 src0=0 src1=0 src2=0
	v_dual_add_f32 v98, v98, v99 :: v_dual_fma_f32 v105, v252, v140, -v105
	s_set_vgpr_msb 1                        ;  msbs: dst=0 src0=1 src1=0 src2=0
	v_mul_f32_e32 v99, v1 /*v257*/, v145
	s_set_vgpr_msb 0                        ;  msbs: dst=0 src0=0 src1=0 src2=0
	v_fma_f32 v106, v254, v142, -v106
	s_set_vgpr_msb 64                       ;  msbs: dst=1 src0=0 src1=0 src2=0
	v_dual_mul_f32 v58 /*v314*/, v244, v133 :: v_dual_mul_f32 v59 /*v315*/, v246, v135
	s_set_vgpr_msb 0                        ;  msbs: dst=0 src0=0 src1=0 src2=0
	v_add_f32_e32 v98, v98, v101
	s_wait_dscnt 0x6
	s_set_vgpr_msb 1                        ;  msbs: dst=0 src0=1 src1=0 src2=0
	v_mul_f32_e32 v101, v3 /*v259*/, v147
	s_set_vgpr_msb 64                       ;  msbs: dst=1 src0=0 src1=0 src2=0
	v_dual_fmac_f32 v57 /*v313*/, v243, v130 :: v_dual_fmac_f32 v58 /*v314*/, v245, v132
	s_set_vgpr_msb 0                        ;  msbs: dst=0 src0=0 src1=0 src2=0
	v_dual_mul_f32 v109, v203, v175 :: v_dual_add_f32 v98, v98, v100
	s_set_vgpr_msb 1                        ;  msbs: dst=0 src0=1 src1=0 src2=0
	v_mul_f32_e32 v100, v5 /*v261*/, v149
	s_set_vgpr_msb 64                       ;  msbs: dst=1 src0=0 src1=0 src2=0
	v_dual_mul_f32 v60 /*v316*/, v248, v137 :: v_dual_mul_f32 v61 /*v317*/, v250, v139
	v_fmac_f32_e32 v59 /*v315*/, v247, v134
	s_set_vgpr_msb 0                        ;  msbs: dst=0 src0=0 src1=0 src2=0
	v_add_f32_e32 v98, v98, v102
	s_wait_dscnt 0x5
	s_set_vgpr_msb 1                        ;  msbs: dst=0 src0=1 src1=0 src2=0
	v_mul_f32_e32 v102, v7 /*v263*/, v151
	s_set_vgpr_msb 64                       ;  msbs: dst=1 src0=0 src1=0 src2=0
	v_dual_fmac_f32 v60 /*v316*/, v249, v136 :: v_dual_mul_f32 v62 /*v318*/, v252, v141
	v_mul_f32_e32 v63 /*v319*/, v254, v143
	s_set_vgpr_msb 0                        ;  msbs: dst=0 src0=0 src1=0 src2=0
	v_add_f32_e32 v98, v98, v103
	s_set_vgpr_msb 1                        ;  msbs: dst=0 src0=1 src1=0 src2=0
	v_mul_f32_e32 v103, v9 /*v265*/, v153
	s_set_vgpr_msb 64                       ;  msbs: dst=1 src0=0 src1=0 src2=0
	v_dual_fmac_f32 v61 /*v317*/, v251, v138 :: v_dual_fmac_f32 v62 /*v318*/, v253, v140
	s_set_vgpr_msb 1                        ;  msbs: dst=0 src0=1 src1=0 src2=0
	v_fma_f32 v99, v0 /*v256*/, v144, -v99
	s_set_vgpr_msb 0                        ;  msbs: dst=0 src0=0 src1=0 src2=0
	v_add_f32_e32 v98, v98, v104
	s_wait_dscnt 0x4
	s_set_vgpr_msb 1                        ;  msbs: dst=0 src0=1 src1=0 src2=0
	v_mul_f32_e32 v104, v11 /*v267*/, v155
	s_set_vgpr_msb 0x41                     ;  msbs: dst=1 src0=1 src1=0 src2=0
	v_dual_mul_f32 v64 /*v320*/, v0 /*v256*/, v145 :: v_dual_mul_f32 v65 /*v321*/, v2 /*v258*/, v147
	s_set_vgpr_msb 1                        ;  msbs: dst=0 src0=1 src1=0 src2=0
	v_fma_f32 v101, v2 /*v258*/, v146, -v101
	s_set_vgpr_msb 0                        ;  msbs: dst=0 src0=0 src1=0 src2=0
	v_add_f32_e32 v98, v98, v105
	s_set_vgpr_msb 1                        ;  msbs: dst=0 src0=1 src1=0 src2=0
	v_mul_f32_e32 v105, v13 /*v269*/, v157
	s_set_vgpr_msb 64                       ;  msbs: dst=1 src0=0 src1=0 src2=0
	v_dual_mul_f32 v77 /*v333*/, v198, v171 :: v_dual_mul_f32 v41 /*v297*/, v200, v173
	s_set_vgpr_msb 1                        ;  msbs: dst=0 src0=1 src1=0 src2=0
	v_fma_f32 v100, v4 /*v260*/, v148, -v100
	s_set_vgpr_msb 0                        ;  msbs: dst=0 src0=0 src1=0 src2=0
	v_add_f32_e32 v98, v98, v106
	s_wait_dscnt 0x3
	s_set_vgpr_msb 1                        ;  msbs: dst=0 src0=1 src1=0 src2=0
	v_mul_f32_e32 v106, v15 /*v271*/, v159
	s_set_vgpr_msb 64                       ;  msbs: dst=1 src0=0 src1=0 src2=0
	v_dual_fmac_f32 v63 /*v319*/, v255, v142 :: v_dual_fmac_f32 v41 /*v297*/, v201, v172
	s_set_vgpr_msb 1                        ;  msbs: dst=0 src0=1 src1=0 src2=0
	v_fma_f32 v102, v6 /*v262*/, v150, -v102
	s_set_vgpr_msb 0                        ;  msbs: dst=0 src0=0 src1=0 src2=0
	v_add_f32_e32 v98, v98, v99
	s_set_vgpr_msb 1                        ;  msbs: dst=0 src0=1 src1=0 src2=0
	v_mul_f32_e32 v99, v17 /*v273*/, v161
	s_wait_dscnt 0x1
	s_set_vgpr_msb 0x41                     ;  msbs: dst=1 src0=1 src1=0 src2=0
	v_dual_mul_f32 v76 /*v332*/, v24 /*v280*/, v169 :: v_dual_fmac_f32 v64 /*v320*/, v1 /*v257*/, v144
	s_set_vgpr_msb 1                        ;  msbs: dst=0 src0=1 src1=0 src2=0
	v_fma_f32 v103, v8 /*v264*/, v152, -v103
	s_set_vgpr_msb 0                        ;  msbs: dst=0 src0=0 src1=0 src2=0
	v_add_f32_e32 v98, v98, v101
	s_set_vgpr_msb 1                        ;  msbs: dst=0 src0=1 src1=0 src2=0
	v_mul_f32_e32 v101, v19 /*v275*/, v163
	s_set_vgpr_msb 0x41                     ;  msbs: dst=1 src0=1 src1=0 src2=0
	v_dual_mul_f32 v66 /*v322*/, v4 /*v260*/, v149 :: v_dual_mul_f32 v67 /*v323*/, v6 /*v262*/, v151
	s_set_vgpr_msb 1                        ;  msbs: dst=0 src0=1 src1=0 src2=0
	v_fma_f32 v104, v10 /*v266*/, v154, -v104
	s_set_vgpr_msb 0                        ;  msbs: dst=0 src0=0 src1=0 src2=0
	v_add_f32_e32 v98, v98, v100
	s_set_vgpr_msb 1                        ;  msbs: dst=0 src0=1 src1=0 src2=0
	v_dual_mul_f32 v100, v21 /*v277*/, v165 :: v_dual_fma_f32 v101, v18 /*v274*/, v162, -v101
	v_fma_f32 v105, v12 /*v268*/, v156, -v105
	s_set_vgpr_msb 0x41                     ;  msbs: dst=1 src0=1 src1=0 src2=0
	v_dual_fmac_f32 v65 /*v321*/, v3 /*v259*/, v146 :: v_dual_fmac_f32 v66 /*v322*/, v5 /*v261*/, v148
	s_set_vgpr_msb 0                        ;  msbs: dst=0 src0=0 src1=0 src2=0
	v_add_f32_e32 v98, v98, v102
	s_set_vgpr_msb 1                        ;  msbs: dst=0 src0=1 src1=0 src2=0
	v_dual_mul_f32 v102, v23 /*v279*/, v167 :: v_dual_fma_f32 v99, v16 /*v272*/, v160, -v99
	s_set_vgpr_msb 0x41                     ;  msbs: dst=1 src0=1 src1=0 src2=0
	v_dual_mul_f32 v68 /*v324*/, v8 /*v264*/, v153 :: v_dual_mul_f32 v69 /*v325*/, v10 /*v266*/, v155
	s_set_vgpr_msb 0                        ;  msbs: dst=0 src0=0 src1=0 src2=0
	v_add_f32_e32 v98, v98, v103
	s_set_vgpr_msb 1                        ;  msbs: dst=0 src0=1 src1=0 src2=0
	v_mul_f32_e32 v103, v25 /*v281*/, v169
	s_set_vgpr_msb 0x41                     ;  msbs: dst=1 src0=1 src1=0 src2=0
	v_dual_fmac_f32 v67 /*v323*/, v7 /*v263*/, v150 :: v_dual_fmac_f32 v68 /*v324*/, v9 /*v265*/, v152
	v_dual_mul_f32 v70 /*v326*/, v12 /*v268*/, v157 :: v_dual_mul_f32 v71 /*v327*/, v14 /*v270*/, v159
	s_set_vgpr_msb 0                        ;  msbs: dst=0 src0=0 src1=0 src2=0
	v_add_f32_e32 v98, v98, v104
	s_set_vgpr_msb 1                        ;  msbs: dst=0 src0=1 src1=0 src2=0
	v_dual_fma_f32 v104, v14 /*v270*/, v158, -v106 :: v_dual_fma_f32 v103, v24 /*v280*/, v168, -v103
	s_set_vgpr_msb 0x41                     ;  msbs: dst=1 src0=1 src1=0 src2=0
	v_dual_fmac_f32 v69 /*v325*/, v11 /*v267*/, v154 :: v_dual_fmac_f32 v70 /*v326*/, v13 /*v269*/, v156
	s_set_vgpr_msb 0                        ;  msbs: dst=0 src0=0 src1=0 src2=0
	v_add_f32_e32 v98, v98, v105
	s_set_vgpr_msb 1                        ;  msbs: dst=0 src0=1 src1=0 src2=0
	v_fma_f32 v105, v22 /*v278*/, v166, -v102
	s_set_vgpr_msb 0x41                     ;  msbs: dst=1 src0=1 src1=0 src2=0
	v_dual_mul_f32 v72 /*v328*/, v16 /*v272*/, v161 :: v_dual_mul_f32 v73 /*v329*/, v18 /*v274*/, v163
	v_fmac_f32_e32 v71 /*v327*/, v15 /*v271*/, v158
	s_set_vgpr_msb 0                        ;  msbs: dst=0 src0=0 src1=0 src2=0
	v_add_f32_e32 v98, v98, v104
	s_set_vgpr_msb 1                        ;  msbs: dst=0 src0=1 src1=0 src2=0
	v_fma_f32 v104, v20 /*v276*/, v164, -v100
	s_set_vgpr_msb 0x41                     ;  msbs: dst=1 src0=1 src1=0 src2=0
	v_dual_fmac_f32 v72 /*v328*/, v17 /*v273*/, v160 :: v_dual_mul_f32 v74 /*v330*/, v20 /*v276*/, v165
	v_mul_f32_e32 v75 /*v331*/, v22 /*v278*/, v167
	s_set_vgpr_msb 0                        ;  msbs: dst=0 src0=0 src1=0 src2=0
	v_dual_add_f32 v99, v98, v99 :: v_dual_mov_b32 v98, v177
	s_set_vgpr_msb 0x41                     ;  msbs: dst=1 src0=1 src1=0 src2=0
	v_dual_fmac_f32 v73 /*v329*/, v19 /*v275*/, v162 :: v_dual_fmac_f32 v74 /*v330*/, v21 /*v277*/, v164
	v_dual_fmac_f32 v75 /*v331*/, v23 /*v279*/, v166 :: v_dual_fmac_f32 v76 /*v332*/, v25 /*v281*/, v168
	s_set_vgpr_msb 0                        ;  msbs: dst=0 src0=0 src1=0 src2=0
	v_add_f32_e32 v99, v99, v101
	v_mul_f32_e32 v106, v201, v173
	s_set_vgpr_msb 64                       ;  msbs: dst=1 src0=0 src1=0 src2=0
	v_fmac_f32_e32 v77 /*v333*/, v199, v170
	s_wait_loadcnt 0x4
	s_set_vgpr_msb 0                        ;  msbs: dst=0 src0=0 src1=0 src2=0
	v_pk_mul_f32 v[100:101], v[214:215], v[178:179] op_sel:[1,1] op_sel_hi:[0,1]
	v_dual_mov_b32 v102, v181 :: v_dual_add_f32 v99, v99, v104
	s_set_vgpr_msb 64                       ;  msbs: dst=1 src0=0 src1=0 src2=0
	v_fmac_f32_e32 v43 /*v299*/, v203, v174
	s_set_vgpr_msb 0                        ;  msbs: dst=0 src0=0 src1=0 src2=0
	v_pk_fma_f32 v[112:113], v[214:215], v[178:179], v[100:101] op_sel_hi:[1,0,1]
	v_pk_fma_f32 v[100:101], v[214:215], v[178:179], v[100:101] neg_lo:[0,0,1] neg_hi:[0,0,1]
	v_add_f32_e32 v99, v99, v105
	s_wait_loadcnt 0x3
	v_pk_mul_f32 v[104:105], v[218:219], v[182:183] op_sel:[1,1] op_sel_hi:[0,1]
	s_delay_alu instid0(VALU_DEP_2) | instskip(SKIP_3) | instid1(VALU_DEP_1)
	v_dual_mov_b32 v101, v113 :: v_dual_add_f32 v103, v99, v103
	s_set_vgpr_msb 1                        ;  msbs: dst=0 src0=1 src1=0 src2=0
	v_pk_mul_f32 v[98:99], v[32:33] /*v[288:289]*/, v[98:99] op_sel_hi:[1,0]
	s_set_vgpr_msb 0                        ;  msbs: dst=0 src0=0 src1=0 src2=0
	v_pk_fma_f32 v[110:111], v[204:205], v[176:177], v[98:99] op_sel_hi:[1,0,1]
	s_set_vgpr_msb 4                        ;  msbs: dst=0 src0=0 src1=1 src2=0
	v_add_f32_e32 v1, v1, v40 /*v296*/
	s_set_vgpr_msb 0                        ;  msbs: dst=0 src0=0 src1=0 src2=0
	v_pk_fma_f32 v[98:99], v[204:205], v[176:177], v[98:99] neg_lo:[0,0,1] neg_hi:[0,0,1]
	s_set_vgpr_msb 64                       ;  msbs: dst=1 src0=0 src1=0 src2=0
	v_fma_f32 v40 /*v296*/, v200, v172, -v106
	s_set_vgpr_msb 0                        ;  msbs: dst=0 src0=0 src1=0 src2=0
	v_add_f32_e32 v106, v103, v108
	s_set_vgpr_msb 4                        ;  msbs: dst=0 src0=0 src1=1 src2=0
	v_dual_mov_b32 v99, v111 :: v_dual_add_f32 v1, v1, v42 /*v298*/
	s_set_vgpr_msb 64                       ;  msbs: dst=1 src0=0 src1=0 src2=0
	v_fma_f32 v42 /*v298*/, v202, v174, -v109
	s_set_vgpr_msb 1                        ;  msbs: dst=0 src0=1 src1=0 src2=0
	v_pk_mul_f32 v[102:103], v[34:35] /*v[290:291]*/, v[102:103] op_sel_hi:[1,0]
	s_set_vgpr_msb 0                        ;  msbs: dst=0 src0=0 src1=0 src2=0
	v_mov_b32_e32 v108, v185
	s_wait_loadcnt 0x2
	v_pk_mul_f32 v[110:111], v[230:231], v[186:187] op_sel:[1,1] op_sel_hi:[0,1]
	s_set_vgpr_msb 4                        ;  msbs: dst=0 src0=0 src1=1 src2=0
	v_add_f32_e32 v1, v1, v44 /*v300*/
	s_set_vgpr_msb 0                        ;  msbs: dst=0 src0=0 src1=0 src2=0
	v_pk_fma_f32 v[112:113], v[216:217], v[180:181], v[102:103] op_sel_hi:[1,0,1]
	v_pk_fma_f32 v[102:103], v[216:217], v[180:181], v[102:103] neg_lo:[0,0,1] neg_hi:[0,0,1]
	s_set_vgpr_msb 1                        ;  msbs: dst=0 src0=1 src1=0 src2=0
	v_pk_mul_f32 v[108:109], v[36:37] /*v[292:293]*/, v[108:109] op_sel_hi:[1,0]
	s_set_vgpr_msb 4                        ;  msbs: dst=0 src0=0 src1=1 src2=0
	v_add_f32_e32 v1, v1, v45 /*v301*/
	v_mov_b32_e32 v103, v113
	s_delay_alu instid0(VALU_DEP_2) | instskip(NEXT) | instid1(VALU_DEP_1)
	v_add_f32_e32 v1, v1, v46 /*v302*/
	v_add_f32_e32 v1, v1, v47 /*v303*/
	s_delay_alu instid0(VALU_DEP_1) | instskip(NEXT) | instid1(VALU_DEP_1)
	v_add_f32_e32 v1, v1, v48 /*v304*/
	v_add_f32_e32 v1, v1, v49 /*v305*/
	s_delay_alu instid0(VALU_DEP_1) | instskip(NEXT) | instid1(VALU_DEP_1)
	;; [unrolled: 3-line block ×16, first 2 shown]
	v_pk_add_f32 v[106:107], v[106:107], v[40:41] /*v[296:297]*/
	v_pk_add_f32 v[106:107], v[106:107], v[42:43] /*v[298:299]*/
	s_set_vgpr_msb 0                        ;  msbs: dst=0 src0=0 src1=0 src2=0
	s_delay_alu instid0(VALU_DEP_1) | instskip(SKIP_2) | instid1(VALU_DEP_3)
	v_pk_add_f32 v[98:99], v[106:107], v[98:99]
	v_pk_fma_f32 v[106:107], v[218:219], v[182:183], v[104:105] op_sel_hi:[1,0,1]
	v_pk_fma_f32 v[104:105], v[218:219], v[182:183], v[104:105] neg_lo:[0,0,1] neg_hi:[0,0,1]
	v_pk_add_f32 v[98:99], v[98:99], v[100:101]
	s_delay_alu instid0(VALU_DEP_3) | instskip(SKIP_2) | instid1(VALU_DEP_4)
	v_dual_mov_b32 v100, v189 :: v_dual_mov_b32 v105, v107
	v_pk_fma_f32 v[106:107], v[220:221], v[184:185], v[108:109] op_sel_hi:[1,0,1]
	v_pk_fma_f32 v[108:109], v[220:221], v[184:185], v[108:109] neg_lo:[0,0,1] neg_hi:[0,0,1]
	v_pk_add_f32 v[98:99], v[98:99], v[102:103]
	v_pk_fma_f32 v[102:103], v[230:231], v[186:187], v[110:111] op_sel_hi:[1,0,1]
	s_set_vgpr_msb 1                        ;  msbs: dst=0 src0=1 src1=0 src2=0
	v_pk_mul_f32 v[100:101], v[38:39] /*v[294:295]*/, v[100:101] op_sel_hi:[1,0]
	s_set_vgpr_msb 0                        ;  msbs: dst=0 src0=0 src1=0 src2=0
	v_mov_b32_e32 v109, v107
	v_pk_fma_f32 v[106:107], v[230:231], v[186:187], v[110:111] neg_lo:[0,0,1] neg_hi:[0,0,1]
	v_pk_add_f32 v[98:99], v[98:99], v[104:105]
	s_wait_loadcnt_dscnt 0x100
	s_set_vgpr_msb 5                        ;  msbs: dst=0 src0=1 src1=1 src2=0
	v_pk_mul_f32 v[104:105], v[30:31] /*v[286:287]*/, v[26:27] /*v[282:283]*/ op_sel:[1,1] op_sel_hi:[0,1]
	s_set_vgpr_msb 0                        ;  msbs: dst=0 src0=0 src1=0 src2=0
	v_mov_b32_e32 v107, v103
	v_pk_fma_f32 v[102:103], v[232:233], v[188:189], v[100:101] op_sel_hi:[1,0,1]
	v_pk_fma_f32 v[100:101], v[232:233], v[188:189], v[100:101] neg_lo:[0,0,1] neg_hi:[0,0,1]
	v_pk_add_f32 v[98:99], v[98:99], v[108:109]
	s_set_vgpr_msb 5                        ;  msbs: dst=0 src0=1 src1=1 src2=0
	v_pk_fma_f32 v[108:109], v[30:31] /*v[286:287]*/, v[26:27] /*v[282:283]*/, v[104:105] op_sel_hi:[1,0,1]
	s_set_vgpr_msb 0                        ;  msbs: dst=0 src0=0 src1=0 src2=0
	v_mov_b32_e32 v101, v103
	s_set_vgpr_msb 5                        ;  msbs: dst=0 src0=1 src1=1 src2=0
	v_pk_fma_f32 v[102:103], v[30:31] /*v[286:287]*/, v[26:27] /*v[282:283]*/, v[104:105] neg_lo:[0,0,1] neg_hi:[0,0,1]
	s_set_vgpr_msb 0                        ;  msbs: dst=0 src0=0 src1=0 src2=0
	v_pk_add_f32 v[98:99], v[98:99], v[106:107]
	v_mov_b32_e32 v103, v109
	s_delay_alu instid0(VALU_DEP_2) | instskip(NEXT) | instid1(VALU_DEP_1)
	v_pk_add_f32 v[98:99], v[98:99], v[100:101]
	v_pk_add_f32 v[98:99], v[98:99], v[102:103]
	s_wait_loadcnt 0x0
	s_set_vgpr_msb 1                        ;  msbs: dst=0 src0=1 src1=0 src2=0
	s_delay_alu instid0(VALU_DEP_1)
	v_pk_add_f32 v[98:99], v[28:29] /*v[284:285]*/, v[98:99] neg_lo:[0,1] neg_hi:[0,1]
	scratch_store_b64 off, v[98:99], off
	s_set_vgpr_msb 0                        ;  msbs: dst=0 src0=0 src1=0 src2=0
	s_cbranch_vccz .LBB111_396
; %bb.302:
	global_load_b32 v0, v0, s[8:9] offset:184
	s_wait_loadcnt 0x0
	v_cmp_ne_u32_e32 vcc_lo, 47, v0
	s_cbranch_vccz .LBB111_304
; %bb.303:
	s_wait_xcnt 0x0
	v_lshlrev_b32_e32 v0, 3, v0
	s_delay_alu instid0(VALU_DEP_1)
	v_mov_b32_e32 v100, v0
	scratch_load_b64 v[0:1], v100, off offset:-8
	scratch_load_b64 v[98:99], off, off offset:368
	s_wait_loadcnt 0x1
	scratch_store_b64 off, v[0:1], off offset:368
	s_wait_loadcnt 0x0
	scratch_store_b64 v100, v[98:99], off offset:-8
.LBB111_304:
	s_wait_xcnt 0x0
	v_mov_b32_e32 v0, 0
	global_load_b32 v1, v0, s[8:9] offset:180
	s_wait_loadcnt 0x0
	v_cmp_eq_u32_e32 vcc_lo, 46, v1
	s_cbranch_vccnz .LBB111_306
; %bb.305:
	v_lshlrev_b32_e32 v1, 3, v1
	scratch_load_b64 v[98:99], v1, off offset:-8
	scratch_load_b64 v[100:101], off, off offset:360
	s_wait_loadcnt 0x1
	scratch_store_b64 off, v[98:99], off offset:360
	s_wait_loadcnt 0x0
	scratch_store_b64 v1, v[100:101], off offset:-8
.LBB111_306:
	global_load_b32 v0, v0, s[8:9] offset:176
	s_wait_loadcnt 0x0
	v_cmp_eq_u32_e32 vcc_lo, 45, v0
	s_cbranch_vccnz .LBB111_308
; %bb.307:
	s_wait_xcnt 0x0
	v_lshlrev_b32_e32 v0, 3, v0
	s_delay_alu instid0(VALU_DEP_1)
	v_mov_b32_e32 v100, v0
	scratch_load_b64 v[0:1], v100, off offset:-8
	scratch_load_b64 v[98:99], off, off offset:352
	s_wait_loadcnt 0x1
	scratch_store_b64 off, v[0:1], off offset:352
	s_wait_loadcnt 0x0
	scratch_store_b64 v100, v[98:99], off offset:-8
.LBB111_308:
	s_wait_xcnt 0x0
	v_mov_b32_e32 v0, 0
	global_load_b32 v1, v0, s[8:9] offset:172
	s_wait_loadcnt 0x0
	v_cmp_eq_u32_e32 vcc_lo, 44, v1
	s_cbranch_vccnz .LBB111_310
; %bb.309:
	v_lshlrev_b32_e32 v1, 3, v1
	scratch_load_b64 v[98:99], v1, off offset:-8
	scratch_load_b64 v[100:101], off, off offset:344
	s_wait_loadcnt 0x1
	scratch_store_b64 off, v[98:99], off offset:344
	s_wait_loadcnt 0x0
	scratch_store_b64 v1, v[100:101], off offset:-8
.LBB111_310:
	global_load_b32 v0, v0, s[8:9] offset:168
	s_wait_loadcnt 0x0
	v_cmp_eq_u32_e32 vcc_lo, 43, v0
	s_cbranch_vccnz .LBB111_312
; %bb.311:
	s_wait_xcnt 0x0
	v_lshlrev_b32_e32 v0, 3, v0
	s_delay_alu instid0(VALU_DEP_1)
	v_mov_b32_e32 v100, v0
	scratch_load_b64 v[0:1], v100, off offset:-8
	scratch_load_b64 v[98:99], off, off offset:336
	s_wait_loadcnt 0x1
	scratch_store_b64 off, v[0:1], off offset:336
	s_wait_loadcnt 0x0
	scratch_store_b64 v100, v[98:99], off offset:-8
.LBB111_312:
	;; [unrolled: 31-line block ×22, first 2 shown]
	s_wait_xcnt 0x0
	v_mov_b32_e32 v0, 0
	global_load_b32 v1, v0, s[8:9] offset:4
	s_wait_loadcnt 0x0
	v_cmp_eq_u32_e32 vcc_lo, 2, v1
	s_cbranch_vccnz .LBB111_394
; %bb.393:
	v_lshlrev_b32_e32 v1, 3, v1
	scratch_load_b64 v[98:99], v1, off offset:-8
	scratch_load_b64 v[100:101], off, off offset:8
	s_wait_loadcnt 0x1
	scratch_store_b64 off, v[98:99], off offset:8
	s_wait_loadcnt 0x0
	scratch_store_b64 v1, v[100:101], off offset:-8
.LBB111_394:
	global_load_b32 v0, v0, s[8:9]
	scratch_load_b64 v[98:99], off, off
	s_wait_loadcnt 0x1
	v_cmp_eq_u32_e32 vcc_lo, 1, v0
	s_cbranch_vccnz .LBB111_396
; %bb.395:
	s_wait_xcnt 0x1
	v_lshlrev_b32_e32 v0, 3, v0
	s_delay_alu instid0(VALU_DEP_1)
	v_mov_b32_e32 v100, v0
	scratch_load_b64 v[0:1], v100, off offset:-8
	s_wait_loadcnt 0x0
	scratch_store_b64 off, v[0:1], off
	scratch_store_b64 v100, v[98:99], off offset:-8
	scratch_load_b64 v[98:99], off, off
.LBB111_396:
	s_wait_loadcnt 0x0
	flat_store_b64 v[2:3], v[98:99]
	scratch_load_b64 v[2:3], off, off offset:8
	v_lshl_add_u64 v[142:143], v[6:7], 3, s[2:3]
	v_lshl_add_u64 v[140:141], v[8:9], 3, s[2:3]
	;; [unrolled: 1-line block ×46, first 2 shown]
	s_wait_loadcnt 0x0
	flat_store_b64 v[4:5], v[2:3]
	scratch_load_b64 v[2:3], off, off offset:16
	s_wait_loadcnt 0x0
	flat_store_b64 v[142:143], v[2:3]
	scratch_load_b64 v[2:3], off, off offset:24
	;; [unrolled: 3-line block ×46, first 2 shown]
	s_wait_loadcnt 0x0
	flat_store_b64 v[0:1], v[2:3]
	s_sendmsg sendmsg(MSG_DEALLOC_VGPRS)
	s_endpgm
	.section	.rodata,"a",@progbits
	.p2align	6, 0x0
	.amdhsa_kernel _ZN9rocsolver6v33100L18getri_kernel_smallILi48E19rocblas_complex_numIfEPKPS3_EEvT1_iilPiilS8_bb
		.amdhsa_group_segment_fixed_size 772
		.amdhsa_private_segment_fixed_size 400
		.amdhsa_kernarg_size 60
		.amdhsa_user_sgpr_count 2
		.amdhsa_user_sgpr_dispatch_ptr 0
		.amdhsa_user_sgpr_queue_ptr 0
		.amdhsa_user_sgpr_kernarg_segment_ptr 1
		.amdhsa_user_sgpr_dispatch_id 0
		.amdhsa_user_sgpr_kernarg_preload_length 0
		.amdhsa_user_sgpr_kernarg_preload_offset 0
		.amdhsa_user_sgpr_private_segment_size 0
		.amdhsa_wavefront_size32 1
		.amdhsa_uses_dynamic_stack 0
		.amdhsa_enable_private_segment 1
		.amdhsa_system_sgpr_workgroup_id_x 1
		.amdhsa_system_sgpr_workgroup_id_y 0
		.amdhsa_system_sgpr_workgroup_id_z 0
		.amdhsa_system_sgpr_workgroup_info 0
		.amdhsa_system_vgpr_workitem_id 0
		.amdhsa_next_free_vgpr 334
		.amdhsa_next_free_sgpr 19
		.amdhsa_named_barrier_count 0
		.amdhsa_reserve_vcc 1
		.amdhsa_float_round_mode_32 0
		.amdhsa_float_round_mode_16_64 0
		.amdhsa_float_denorm_mode_32 3
		.amdhsa_float_denorm_mode_16_64 3
		.amdhsa_fp16_overflow 0
		.amdhsa_memory_ordered 1
		.amdhsa_forward_progress 1
		.amdhsa_inst_pref_size 255
		.amdhsa_round_robin_scheduling 0
		.amdhsa_exception_fp_ieee_invalid_op 0
		.amdhsa_exception_fp_denorm_src 0
		.amdhsa_exception_fp_ieee_div_zero 0
		.amdhsa_exception_fp_ieee_overflow 0
		.amdhsa_exception_fp_ieee_underflow 0
		.amdhsa_exception_fp_ieee_inexact 0
		.amdhsa_exception_int_div_zero 0
	.end_amdhsa_kernel
	.section	.text._ZN9rocsolver6v33100L18getri_kernel_smallILi48E19rocblas_complex_numIfEPKPS3_EEvT1_iilPiilS8_bb,"axG",@progbits,_ZN9rocsolver6v33100L18getri_kernel_smallILi48E19rocblas_complex_numIfEPKPS3_EEvT1_iilPiilS8_bb,comdat
.Lfunc_end111:
	.size	_ZN9rocsolver6v33100L18getri_kernel_smallILi48E19rocblas_complex_numIfEPKPS3_EEvT1_iilPiilS8_bb, .Lfunc_end111-_ZN9rocsolver6v33100L18getri_kernel_smallILi48E19rocblas_complex_numIfEPKPS3_EEvT1_iilPiilS8_bb
                                        ; -- End function
	.set _ZN9rocsolver6v33100L18getri_kernel_smallILi48E19rocblas_complex_numIfEPKPS3_EEvT1_iilPiilS8_bb.num_vgpr, 334
	.set _ZN9rocsolver6v33100L18getri_kernel_smallILi48E19rocblas_complex_numIfEPKPS3_EEvT1_iilPiilS8_bb.num_agpr, 0
	.set _ZN9rocsolver6v33100L18getri_kernel_smallILi48E19rocblas_complex_numIfEPKPS3_EEvT1_iilPiilS8_bb.numbered_sgpr, 19
	.set _ZN9rocsolver6v33100L18getri_kernel_smallILi48E19rocblas_complex_numIfEPKPS3_EEvT1_iilPiilS8_bb.num_named_barrier, 0
	.set _ZN9rocsolver6v33100L18getri_kernel_smallILi48E19rocblas_complex_numIfEPKPS3_EEvT1_iilPiilS8_bb.private_seg_size, 400
	.set _ZN9rocsolver6v33100L18getri_kernel_smallILi48E19rocblas_complex_numIfEPKPS3_EEvT1_iilPiilS8_bb.uses_vcc, 1
	.set _ZN9rocsolver6v33100L18getri_kernel_smallILi48E19rocblas_complex_numIfEPKPS3_EEvT1_iilPiilS8_bb.uses_flat_scratch, 1
	.set _ZN9rocsolver6v33100L18getri_kernel_smallILi48E19rocblas_complex_numIfEPKPS3_EEvT1_iilPiilS8_bb.has_dyn_sized_stack, 0
	.set _ZN9rocsolver6v33100L18getri_kernel_smallILi48E19rocblas_complex_numIfEPKPS3_EEvT1_iilPiilS8_bb.has_recursion, 0
	.set _ZN9rocsolver6v33100L18getri_kernel_smallILi48E19rocblas_complex_numIfEPKPS3_EEvT1_iilPiilS8_bb.has_indirect_call, 0
	.section	.AMDGPU.csdata,"",@progbits
; Kernel info:
; codeLenInByte = 87632
; TotalNumSgprs: 21
; NumVgprs: 334
; ScratchSize: 400
; MemoryBound: 0
; FloatMode: 240
; IeeeMode: 1
; LDSByteSize: 772 bytes/workgroup (compile time only)
; SGPRBlocks: 0
; VGPRBlocks: 20
; NumSGPRsForWavesPerEU: 21
; NumVGPRsForWavesPerEU: 334
; NamedBarCnt: 0
; Occupancy: 3
; WaveLimiterHint : 1
; COMPUTE_PGM_RSRC2:SCRATCH_EN: 1
; COMPUTE_PGM_RSRC2:USER_SGPR: 2
; COMPUTE_PGM_RSRC2:TRAP_HANDLER: 0
; COMPUTE_PGM_RSRC2:TGID_X_EN: 1
; COMPUTE_PGM_RSRC2:TGID_Y_EN: 0
; COMPUTE_PGM_RSRC2:TGID_Z_EN: 0
; COMPUTE_PGM_RSRC2:TIDIG_COMP_CNT: 0
	.section	.text._ZN9rocsolver6v33100L18getri_kernel_smallILi49E19rocblas_complex_numIfEPKPS3_EEvT1_iilPiilS8_bb,"axG",@progbits,_ZN9rocsolver6v33100L18getri_kernel_smallILi49E19rocblas_complex_numIfEPKPS3_EEvT1_iilPiilS8_bb,comdat
	.globl	_ZN9rocsolver6v33100L18getri_kernel_smallILi49E19rocblas_complex_numIfEPKPS3_EEvT1_iilPiilS8_bb ; -- Begin function _ZN9rocsolver6v33100L18getri_kernel_smallILi49E19rocblas_complex_numIfEPKPS3_EEvT1_iilPiilS8_bb
	.p2align	8
	.type	_ZN9rocsolver6v33100L18getri_kernel_smallILi49E19rocblas_complex_numIfEPKPS3_EEvT1_iilPiilS8_bb,@function
_ZN9rocsolver6v33100L18getri_kernel_smallILi49E19rocblas_complex_numIfEPKPS3_EEvT1_iilPiilS8_bb: ; @_ZN9rocsolver6v33100L18getri_kernel_smallILi49E19rocblas_complex_numIfEPKPS3_EEvT1_iilPiilS8_bb
; %bb.0:
	s_mov_b32 s2, exec_lo
	v_cmpx_gt_u32_e32 49, v0
	s_cbranch_execz .LBB112_210
; %bb.1:
	s_clause 0x1
	s_load_b32 s13, s[0:1], 0x38
	s_load_b64 s[2:3], s[0:1], 0x0
	s_getreg_b32 s6, hwreg(HW_REG_IB_STS2, 6, 4)
	s_wait_kmcnt 0x0
	s_bitcmp1_b32 s13, 8
	s_cselect_b32 s12, -1, 0
	s_bfe_u32 s4, ttmp6, 0x4000c
	s_and_b32 s5, ttmp6, 15
	s_add_co_i32 s4, s4, 1
	s_delay_alu instid0(SALU_CYCLE_1) | instskip(NEXT) | instid1(SALU_CYCLE_1)
	s_mul_i32 s4, ttmp9, s4
	s_add_co_i32 s5, s5, s4
	s_cmp_eq_u32 s6, 0
	s_cselect_b32 s10, ttmp9, s5
	s_load_b128 s[4:7], s[0:1], 0x28
	s_ashr_i32 s11, s10, 31
	s_delay_alu instid0(SALU_CYCLE_1) | instskip(NEXT) | instid1(SALU_CYCLE_1)
	s_lshl_b64 s[8:9], s[10:11], 3
	s_add_nc_u64 s[2:3], s[2:3], s[8:9]
	s_bfe_u32 s8, s13, 0x10008
	s_load_b64 s[2:3], s[2:3], 0x0
	s_cmp_eq_u32 s8, 0
                                        ; implicit-def: $sgpr8_sgpr9
	s_cbranch_scc1 .LBB112_3
; %bb.2:
	s_load_b96 s[16:18], s[0:1], 0x18
	s_wait_kmcnt 0x0
	s_mul_u64 s[4:5], s[4:5], s[10:11]
	s_delay_alu instid0(SALU_CYCLE_1) | instskip(SKIP_4) | instid1(SALU_CYCLE_1)
	s_lshl_b64 s[4:5], s[4:5], 2
	s_ashr_i32 s9, s18, 31
	s_mov_b32 s8, s18
	s_add_nc_u64 s[4:5], s[16:17], s[4:5]
	s_lshl_b64 s[8:9], s[8:9], 2
	s_add_nc_u64 s[8:9], s[4:5], s[8:9]
.LBB112_3:
	s_wait_kmcnt 0x0
	s_clause 0x1
	s_load_b64 s[4:5], s[0:1], 0x8
	s_load_b32 s13, s[0:1], 0x38
	v_dual_mov_b32 v101, 0 :: v_dual_lshlrev_b32 v100, 3, v0
	s_wait_kmcnt 0x0
	s_ashr_i32 s1, s4, 31
	s_mov_b32 s0, s4
	s_delay_alu instid0(SALU_CYCLE_1) | instskip(NEXT) | instid1(SALU_CYCLE_1)
	s_lshl_b64 s[0:1], s[0:1], 3
	s_add_nc_u64 s[2:3], s[2:3], s[0:1]
	s_ashr_i32 s1, s5, 31
	flat_load_b64 v[6:7], v0, s[2:3] scale_offset
	v_add_nc_u64_e32 v[2:3], s[2:3], v[100:101]
	s_mov_b32 s0, s5
	s_bitcmp0_b32 s13, 0
	s_delay_alu instid0(VALU_DEP_1)
	v_lshl_add_u64 v[4:5], s[0:1], 3, v[2:3]
	s_mov_b32 s1, -1
	s_wait_loadcnt_dscnt 0x0
	scratch_store_b64 off, v[6:7], off
	flat_load_b64 v[8:9], v[4:5]
	s_wait_xcnt 0x1
	v_add3_u32 v6, s5, s5, v0
	s_wait_loadcnt_dscnt 0x0
	scratch_store_b64 off, v[8:9], off offset:8
	flat_load_b64 v[10:11], v6, s[2:3] scale_offset
	s_wait_xcnt 0x1
	v_add_nc_u32_e32 v8, s5, v6
	s_wait_loadcnt_dscnt 0x0
	scratch_store_b64 off, v[10:11], off offset:16
	flat_load_b64 v[12:13], v8, s[2:3] scale_offset
	s_wait_xcnt 0x1
	v_add_nc_u32_e32 v10, s5, v8
	;; [unrolled: 5-line block ×46, first 2 shown]
	s_wait_loadcnt_dscnt 0x0
	scratch_store_b64 off, v[102:103], off offset:376
	flat_load_b64 v[102:103], v98, s[2:3] scale_offset
	s_wait_loadcnt_dscnt 0x0
	scratch_store_b64 off, v[102:103], off offset:384
	s_cbranch_scc1 .LBB112_208
; %bb.4:
	v_cmp_eq_u32_e64 s0, 0, v0
	s_wait_xcnt 0x0
	s_and_saveexec_b32 s1, s0
; %bb.5:
	v_mov_b32_e32 v1, 0
	ds_store_b32 v1, v1 offset:392
; %bb.6:
	s_or_b32 exec_lo, exec_lo, s1
	s_wait_storecnt_dscnt 0x0
	s_barrier_signal -1
	s_barrier_wait -1
	scratch_load_b64 v[102:103], v0, off scale_offset
	s_wait_loadcnt 0x0
	v_cmp_eq_f32_e32 vcc_lo, 0, v102
	v_cmp_eq_f32_e64 s1, 0, v103
	s_and_b32 s1, vcc_lo, s1
	s_delay_alu instid0(SALU_CYCLE_1)
	s_and_saveexec_b32 s4, s1
	s_cbranch_execz .LBB112_10
; %bb.7:
	v_mov_b32_e32 v1, 0
	s_mov_b32 s5, 0
	ds_load_b32 v7, v1 offset:392
	s_wait_dscnt 0x0
	v_readfirstlane_b32 s1, v7
	v_add_nc_u32_e32 v7, 1, v0
	s_cmp_eq_u32 s1, 0
	s_delay_alu instid0(VALU_DEP_1) | instskip(SKIP_1) | instid1(SALU_CYCLE_1)
	v_cmp_gt_i32_e32 vcc_lo, s1, v7
	s_cselect_b32 s13, -1, 0
	s_or_b32 s13, s13, vcc_lo
	s_delay_alu instid0(SALU_CYCLE_1)
	s_and_b32 exec_lo, exec_lo, s13
	s_cbranch_execz .LBB112_10
; %bb.8:
	v_mov_b32_e32 v9, s1
.LBB112_9:                              ; =>This Inner Loop Header: Depth=1
	ds_cmpstore_rtn_b32 v9, v1, v7, v9 offset:392
	s_wait_dscnt 0x0
	v_cmp_ne_u32_e32 vcc_lo, 0, v9
	v_cmp_le_i32_e64 s1, v9, v7
	s_and_b32 s1, vcc_lo, s1
	s_delay_alu instid0(SALU_CYCLE_1) | instskip(NEXT) | instid1(SALU_CYCLE_1)
	s_and_b32 s1, exec_lo, s1
	s_or_b32 s5, s1, s5
	s_delay_alu instid0(SALU_CYCLE_1)
	s_and_not1_b32 exec_lo, exec_lo, s5
	s_cbranch_execnz .LBB112_9
.LBB112_10:
	s_or_b32 exec_lo, exec_lo, s4
	v_mov_b32_e32 v1, 0
	s_barrier_signal -1
	s_barrier_wait -1
	ds_load_b32 v7, v1 offset:392
	s_and_saveexec_b32 s1, s0
	s_cbranch_execz .LBB112_12
; %bb.11:
	s_lshl_b64 s[4:5], s[10:11], 2
	s_delay_alu instid0(SALU_CYCLE_1)
	s_add_nc_u64 s[4:5], s[6:7], s[4:5]
	s_wait_dscnt 0x0
	global_store_b32 v1, v7, s[4:5]
.LBB112_12:
	s_wait_xcnt 0x0
	s_or_b32 exec_lo, exec_lo, s1
	s_wait_dscnt 0x0
	v_cmp_ne_u32_e32 vcc_lo, 0, v7
	s_mov_b32 s1, 0
	s_cbranch_vccnz .LBB112_208
; %bb.13:
	v_lshl_add_u32 v7, v0, 3, 0
                                        ; implicit-def: $vgpr105
                                        ; implicit-def: $vgpr106
	scratch_load_b64 v[102:103], v7, off
	s_wait_loadcnt 0x0
	v_cmp_ngt_f32_e64 s1, |v102|, |v103|
	s_wait_xcnt 0x0
	s_and_saveexec_b32 s4, s1
	s_delay_alu instid0(SALU_CYCLE_1)
	s_xor_b32 s1, exec_lo, s4
	s_cbranch_execz .LBB112_15
; %bb.14:
	v_div_scale_f32 v1, null, v103, v103, v102
	v_div_scale_f32 v13, vcc_lo, v102, v103, v102
	s_delay_alu instid0(VALU_DEP_2) | instskip(SKIP_1) | instid1(TRANS32_DEP_1)
	v_rcp_f32_e32 v9, v1
	v_nop
	v_fma_f32 v11, -v1, v9, 1.0
	s_delay_alu instid0(VALU_DEP_1) | instskip(NEXT) | instid1(VALU_DEP_1)
	v_fmac_f32_e32 v9, v11, v9
	v_mul_f32_e32 v11, v13, v9
	s_delay_alu instid0(VALU_DEP_1) | instskip(NEXT) | instid1(VALU_DEP_1)
	v_fma_f32 v15, -v1, v11, v13
	v_fmac_f32_e32 v11, v15, v9
	s_delay_alu instid0(VALU_DEP_1) | instskip(NEXT) | instid1(VALU_DEP_1)
	v_fma_f32 v1, -v1, v11, v13
	v_div_fmas_f32 v1, v1, v9, v11
	s_delay_alu instid0(VALU_DEP_1) | instskip(NEXT) | instid1(VALU_DEP_1)
	v_div_fixup_f32 v1, v1, v103, v102
	v_fmac_f32_e32 v103, v102, v1
	s_delay_alu instid0(VALU_DEP_1) | instskip(NEXT) | instid1(VALU_DEP_1)
	v_div_scale_f32 v9, null, v103, v103, -1.0
	v_rcp_f32_e32 v11, v9
	v_nop
	s_delay_alu instid0(TRANS32_DEP_1) | instskip(NEXT) | instid1(VALU_DEP_1)
	v_fma_f32 v13, -v9, v11, 1.0
	v_fmac_f32_e32 v11, v13, v11
	v_div_scale_f32 v13, vcc_lo, -1.0, v103, -1.0
	s_delay_alu instid0(VALU_DEP_1) | instskip(NEXT) | instid1(VALU_DEP_1)
	v_mul_f32_e32 v15, v13, v11
	v_fma_f32 v17, -v9, v15, v13
	s_delay_alu instid0(VALU_DEP_1) | instskip(NEXT) | instid1(VALU_DEP_1)
	v_fmac_f32_e32 v15, v17, v11
	v_fma_f32 v9, -v9, v15, v13
	s_delay_alu instid0(VALU_DEP_1) | instskip(NEXT) | instid1(VALU_DEP_1)
	v_div_fmas_f32 v9, v9, v11, v15
	v_div_fixup_f32 v105, v9, v103, -1.0
                                        ; implicit-def: $vgpr102_vgpr103
	s_delay_alu instid0(VALU_DEP_1) | instskip(NEXT) | instid1(VALU_DEP_1)
	v_mul_f32_e32 v106, v1, v105
	v_xor_b32_e32 v104, 0x80000000, v106
.LBB112_15:
	s_and_not1_saveexec_b32 s1, s1
	s_cbranch_execz .LBB112_17
; %bb.16:
	v_div_scale_f32 v1, null, v102, v102, v103
	v_div_scale_f32 v13, vcc_lo, v103, v102, v103
	s_delay_alu instid0(VALU_DEP_2) | instskip(SKIP_1) | instid1(TRANS32_DEP_1)
	v_rcp_f32_e32 v9, v1
	v_nop
	v_fma_f32 v11, -v1, v9, 1.0
	s_delay_alu instid0(VALU_DEP_1) | instskip(NEXT) | instid1(VALU_DEP_1)
	v_fmac_f32_e32 v9, v11, v9
	v_mul_f32_e32 v11, v13, v9
	s_delay_alu instid0(VALU_DEP_1) | instskip(NEXT) | instid1(VALU_DEP_1)
	v_fma_f32 v15, -v1, v11, v13
	v_fmac_f32_e32 v11, v15, v9
	s_delay_alu instid0(VALU_DEP_1) | instskip(NEXT) | instid1(VALU_DEP_1)
	v_fma_f32 v1, -v1, v11, v13
	v_div_fmas_f32 v1, v1, v9, v11
	s_delay_alu instid0(VALU_DEP_1) | instskip(NEXT) | instid1(VALU_DEP_1)
	v_div_fixup_f32 v1, v1, v102, v103
	v_fmac_f32_e32 v102, v103, v1
	s_delay_alu instid0(VALU_DEP_1) | instskip(SKIP_1) | instid1(VALU_DEP_2)
	v_div_scale_f32 v9, null, v102, v102, 1.0
	v_div_scale_f32 v15, vcc_lo, 1.0, v102, 1.0
	v_rcp_f32_e32 v11, v9
	v_nop
	s_delay_alu instid0(TRANS32_DEP_1) | instskip(NEXT) | instid1(VALU_DEP_1)
	v_fma_f32 v13, -v9, v11, 1.0
	v_fmac_f32_e32 v11, v13, v11
	s_delay_alu instid0(VALU_DEP_1) | instskip(NEXT) | instid1(VALU_DEP_1)
	v_mul_f32_e32 v13, v15, v11
	v_fma_f32 v17, -v9, v13, v15
	s_delay_alu instid0(VALU_DEP_1) | instskip(NEXT) | instid1(VALU_DEP_1)
	v_fmac_f32_e32 v13, v17, v11
	v_fma_f32 v9, -v9, v13, v15
	s_delay_alu instid0(VALU_DEP_1) | instskip(NEXT) | instid1(VALU_DEP_1)
	v_div_fmas_f32 v9, v9, v11, v13
	v_div_fixup_f32 v104, v9, v102, 1.0
	s_delay_alu instid0(VALU_DEP_1)
	v_xor_b32_e32 v106, 0x80000000, v104
	v_mul_f32_e64 v105, v1, -v104
.LBB112_17:
	s_or_b32 exec_lo, exec_lo, s1
	scratch_store_b64 v7, v[104:105], off
	scratch_load_b64 v[102:103], off, off offset:8
	v_xor_b32_e32 v107, 0x80000000, v105
	v_add_nc_u32_e32 v1, 0x190, v100
	s_wait_loadcnt 0x0
	ds_store_2addr_b64 v100, v[106:107], v[102:103] offset1:50
	s_wait_storecnt_dscnt 0x0
	s_barrier_signal -1
	s_barrier_wait -1
	s_wait_xcnt 0x0
	s_and_saveexec_b32 s1, s0
	s_cbranch_execz .LBB112_19
; %bb.18:
	scratch_load_b64 v[102:103], v7, off
	ds_load_b64 v[104:105], v1
	s_wait_loadcnt_dscnt 0x0
	v_pk_mul_f32 v[108:109], v[104:105], v[102:103] op_sel:[1,1] op_sel_hi:[0,1]
	s_delay_alu instid0(VALU_DEP_1) | instskip(SKIP_2) | instid1(VALU_DEP_3)
	v_pk_fma_f32 v[110:111], v[104:105], v[102:103], v[108:109] op_sel_hi:[1,0,1]
	v_mov_b32_e32 v9, 0
	v_pk_fma_f32 v[102:103], v[104:105], v[102:103], v[108:109] neg_lo:[0,0,1] neg_hi:[0,0,1]
	v_mov_b32_e32 v103, v111
	ds_load_b64 v[106:107], v9 offset:8
	v_pk_add_f32 v[102:103], v[102:103], 0 op_sel_hi:[1,0]
	s_wait_dscnt 0x0
	s_delay_alu instid0(VALU_DEP_1) | instskip(NEXT) | instid1(VALU_DEP_1)
	v_pk_mul_f32 v[104:105], v[102:103], v[106:107] op_sel:[1,1] op_sel_hi:[0,1]
	v_pk_fma_f32 v[108:109], v[102:103], v[106:107], v[104:105] op_sel_hi:[1,0,1]
	v_pk_fma_f32 v[102:103], v[102:103], v[106:107], v[104:105] neg_lo:[0,0,1] neg_hi:[0,0,1]
	s_delay_alu instid0(VALU_DEP_2)
	v_mov_b32_e32 v103, v109
	scratch_store_b64 off, v[102:103], off offset:8
.LBB112_19:
	s_wait_xcnt 0x0
	s_or_b32 exec_lo, exec_lo, s1
	s_wait_storecnt 0x0
	s_barrier_signal -1
	s_barrier_wait -1
	scratch_load_b64 v[102:103], off, off offset:16
	s_mov_b32 s1, exec_lo
	s_wait_loadcnt 0x0
	ds_store_b64 v1, v[102:103]
	s_wait_dscnt 0x0
	s_barrier_signal -1
	s_barrier_wait -1
	v_cmpx_gt_u32_e32 2, v0
	s_cbranch_execz .LBB112_23
; %bb.20:
	scratch_load_b64 v[102:103], v7, off
	ds_load_b64 v[104:105], v1
	s_wait_loadcnt_dscnt 0x0
	v_pk_mul_f32 v[106:107], v[104:105], v[102:103] op_sel:[1,1] op_sel_hi:[0,1]
	s_delay_alu instid0(VALU_DEP_1) | instskip(SKIP_1) | instid1(VALU_DEP_2)
	v_pk_fma_f32 v[108:109], v[104:105], v[102:103], v[106:107] op_sel_hi:[1,0,1]
	v_pk_fma_f32 v[102:103], v[104:105], v[102:103], v[106:107] neg_lo:[0,0,1] neg_hi:[0,0,1]
	v_mov_b32_e32 v103, v109
	s_delay_alu instid0(VALU_DEP_1)
	v_pk_add_f32 v[102:103], v[102:103], 0 op_sel_hi:[1,0]
	s_and_saveexec_b32 s4, s0
	s_cbranch_execz .LBB112_22
; %bb.21:
	scratch_load_b64 v[104:105], off, off offset:8
	v_mov_b32_e32 v7, 0
	ds_load_b64 v[106:107], v7 offset:408
	s_wait_loadcnt_dscnt 0x0
	v_pk_mul_f32 v[108:109], v[106:107], v[104:105] op_sel:[1,1] op_sel_hi:[0,1]
	s_delay_alu instid0(VALU_DEP_1) | instskip(SKIP_1) | instid1(VALU_DEP_2)
	v_pk_fma_f32 v[110:111], v[106:107], v[104:105], v[108:109] op_sel_hi:[1,0,1]
	v_pk_fma_f32 v[104:105], v[106:107], v[104:105], v[108:109] neg_lo:[0,0,1] neg_hi:[0,0,1]
	v_mov_b32_e32 v105, v111
	s_delay_alu instid0(VALU_DEP_1)
	v_pk_add_f32 v[102:103], v[102:103], v[104:105]
.LBB112_22:
	s_or_b32 exec_lo, exec_lo, s4
	v_mov_b32_e32 v7, 0
	ds_load_b64 v[104:105], v7 offset:16
	s_wait_dscnt 0x0
	v_pk_mul_f32 v[106:107], v[102:103], v[104:105] op_sel:[1,1] op_sel_hi:[0,1]
	s_delay_alu instid0(VALU_DEP_1) | instskip(SKIP_1) | instid1(VALU_DEP_2)
	v_pk_fma_f32 v[108:109], v[102:103], v[104:105], v[106:107] op_sel_hi:[1,0,1]
	v_pk_fma_f32 v[102:103], v[102:103], v[104:105], v[106:107] neg_lo:[0,0,1] neg_hi:[0,0,1]
	v_mov_b32_e32 v103, v109
	scratch_store_b64 off, v[102:103], off offset:16
.LBB112_23:
	s_wait_xcnt 0x0
	s_or_b32 exec_lo, exec_lo, s1
	s_wait_storecnt 0x0
	s_barrier_signal -1
	s_barrier_wait -1
	scratch_load_b64 v[102:103], off, off offset:24
	v_add_nc_u32_e32 v7, -1, v0
	s_mov_b32 s0, exec_lo
	s_wait_loadcnt 0x0
	ds_store_b64 v1, v[102:103]
	s_wait_dscnt 0x0
	s_barrier_signal -1
	s_barrier_wait -1
	v_cmpx_gt_u32_e32 3, v0
	s_cbranch_execz .LBB112_27
; %bb.24:
	v_dual_mov_b32 v102, 0 :: v_dual_add_nc_u32 v9, -1, v0
	v_add_nc_u32_e32 v11, 0x190, v100
	v_mov_b32_e32 v13, v100
	s_mov_b32 s1, 0
	s_delay_alu instid0(VALU_DEP_3)
	v_mov_b32_e32 v103, v102
.LBB112_25:                             ; =>This Inner Loop Header: Depth=1
	scratch_load_b64 v[104:105], v13, off
	ds_load_b64 v[106:107], v11
	s_wait_xcnt 0x0
	v_dual_add_nc_u32 v11, 8, v11 :: v_dual_add_nc_u32 v13, 8, v13
	s_wait_loadcnt_dscnt 0x0
	v_pk_mul_f32 v[108:109], v[106:107], v[104:105] op_sel:[1,1] op_sel_hi:[0,1]
	s_delay_alu instid0(VALU_DEP_1) | instskip(SKIP_2) | instid1(VALU_DEP_3)
	v_pk_fma_f32 v[110:111], v[106:107], v[104:105], v[108:109] op_sel_hi:[1,0,1]
	v_add_nc_u32_e32 v9, 1, v9
	v_pk_fma_f32 v[104:105], v[106:107], v[104:105], v[108:109] neg_lo:[0,0,1] neg_hi:[0,0,1]
	v_mov_b32_e32 v105, v111
	s_delay_alu instid0(VALU_DEP_3) | instskip(NEXT) | instid1(VALU_DEP_2)
	v_cmp_lt_u32_e32 vcc_lo, 1, v9
	v_pk_add_f32 v[102:103], v[102:103], v[104:105]
	s_or_b32 s1, vcc_lo, s1
	s_delay_alu instid0(SALU_CYCLE_1)
	s_and_not1_b32 exec_lo, exec_lo, s1
	s_cbranch_execnz .LBB112_25
; %bb.26:
	s_or_b32 exec_lo, exec_lo, s1
	v_mov_b32_e32 v9, 0
	ds_load_b64 v[104:105], v9 offset:24
	s_wait_dscnt 0x0
	v_pk_mul_f32 v[106:107], v[102:103], v[104:105] op_sel:[1,1] op_sel_hi:[0,1]
	s_delay_alu instid0(VALU_DEP_1) | instskip(SKIP_1) | instid1(VALU_DEP_2)
	v_pk_fma_f32 v[108:109], v[102:103], v[104:105], v[106:107] op_sel_hi:[1,0,1]
	v_pk_fma_f32 v[102:103], v[102:103], v[104:105], v[106:107] neg_lo:[0,0,1] neg_hi:[0,0,1]
	v_mov_b32_e32 v103, v109
	scratch_store_b64 off, v[102:103], off offset:24
.LBB112_27:
	s_wait_xcnt 0x0
	s_or_b32 exec_lo, exec_lo, s0
	s_wait_storecnt 0x0
	s_barrier_signal -1
	s_barrier_wait -1
	scratch_load_b64 v[102:103], off, off offset:32
	s_mov_b32 s0, exec_lo
	s_wait_loadcnt 0x0
	ds_store_b64 v1, v[102:103]
	s_wait_dscnt 0x0
	s_barrier_signal -1
	s_barrier_wait -1
	v_cmpx_gt_u32_e32 4, v0
	s_cbranch_execz .LBB112_31
; %bb.28:
	v_dual_mov_b32 v102, 0 :: v_dual_add_nc_u32 v9, -1, v0
	v_add_nc_u32_e32 v11, 0x190, v100
	v_mov_b32_e32 v13, v100
	s_mov_b32 s1, 0
	s_delay_alu instid0(VALU_DEP_3)
	v_mov_b32_e32 v103, v102
.LBB112_29:                             ; =>This Inner Loop Header: Depth=1
	scratch_load_b64 v[104:105], v13, off
	ds_load_b64 v[106:107], v11
	s_wait_xcnt 0x0
	v_dual_add_nc_u32 v11, 8, v11 :: v_dual_add_nc_u32 v13, 8, v13
	s_wait_loadcnt_dscnt 0x0
	v_pk_mul_f32 v[108:109], v[106:107], v[104:105] op_sel:[1,1] op_sel_hi:[0,1]
	s_delay_alu instid0(VALU_DEP_1) | instskip(SKIP_2) | instid1(VALU_DEP_3)
	v_pk_fma_f32 v[110:111], v[106:107], v[104:105], v[108:109] op_sel_hi:[1,0,1]
	v_add_nc_u32_e32 v9, 1, v9
	v_pk_fma_f32 v[104:105], v[106:107], v[104:105], v[108:109] neg_lo:[0,0,1] neg_hi:[0,0,1]
	v_mov_b32_e32 v105, v111
	s_delay_alu instid0(VALU_DEP_3) | instskip(NEXT) | instid1(VALU_DEP_2)
	v_cmp_lt_u32_e32 vcc_lo, 2, v9
	v_pk_add_f32 v[102:103], v[102:103], v[104:105]
	s_or_b32 s1, vcc_lo, s1
	s_delay_alu instid0(SALU_CYCLE_1)
	s_and_not1_b32 exec_lo, exec_lo, s1
	s_cbranch_execnz .LBB112_29
; %bb.30:
	s_or_b32 exec_lo, exec_lo, s1
	v_mov_b32_e32 v9, 0
	ds_load_b64 v[104:105], v9 offset:32
	s_wait_dscnt 0x0
	v_pk_mul_f32 v[106:107], v[102:103], v[104:105] op_sel:[1,1] op_sel_hi:[0,1]
	s_delay_alu instid0(VALU_DEP_1) | instskip(SKIP_1) | instid1(VALU_DEP_2)
	v_pk_fma_f32 v[108:109], v[102:103], v[104:105], v[106:107] op_sel_hi:[1,0,1]
	v_pk_fma_f32 v[102:103], v[102:103], v[104:105], v[106:107] neg_lo:[0,0,1] neg_hi:[0,0,1]
	v_mov_b32_e32 v103, v109
	scratch_store_b64 off, v[102:103], off offset:32
.LBB112_31:
	s_wait_xcnt 0x0
	s_or_b32 exec_lo, exec_lo, s0
	s_wait_storecnt 0x0
	s_barrier_signal -1
	s_barrier_wait -1
	scratch_load_b64 v[102:103], off, off offset:40
	;; [unrolled: 52-line block ×19, first 2 shown]
	s_mov_b32 s0, exec_lo
	s_wait_loadcnt 0x0
	ds_store_b64 v1, v[102:103]
	s_wait_dscnt 0x0
	s_barrier_signal -1
	s_barrier_wait -1
	v_cmpx_gt_u32_e32 22, v0
	s_cbranch_execz .LBB112_103
; %bb.100:
	v_dual_mov_b32 v102, 0 :: v_dual_add_nc_u32 v9, -1, v0
	v_add_nc_u32_e32 v11, 0x190, v100
	v_mov_b32_e32 v13, v100
	s_mov_b32 s1, 0
	s_delay_alu instid0(VALU_DEP_3)
	v_mov_b32_e32 v103, v102
.LBB112_101:                            ; =>This Inner Loop Header: Depth=1
	scratch_load_b64 v[104:105], v13, off
	ds_load_b64 v[106:107], v11
	s_wait_xcnt 0x0
	v_dual_add_nc_u32 v11, 8, v11 :: v_dual_add_nc_u32 v13, 8, v13
	s_wait_loadcnt_dscnt 0x0
	v_pk_mul_f32 v[108:109], v[106:107], v[104:105] op_sel:[1,1] op_sel_hi:[0,1]
	s_delay_alu instid0(VALU_DEP_1) | instskip(SKIP_2) | instid1(VALU_DEP_3)
	v_pk_fma_f32 v[110:111], v[106:107], v[104:105], v[108:109] op_sel_hi:[1,0,1]
	v_add_nc_u32_e32 v9, 1, v9
	v_pk_fma_f32 v[104:105], v[106:107], v[104:105], v[108:109] neg_lo:[0,0,1] neg_hi:[0,0,1]
	v_mov_b32_e32 v105, v111
	s_delay_alu instid0(VALU_DEP_3) | instskip(NEXT) | instid1(VALU_DEP_2)
	v_cmp_lt_u32_e32 vcc_lo, 20, v9
	v_pk_add_f32 v[102:103], v[102:103], v[104:105]
	s_or_b32 s1, vcc_lo, s1
	s_delay_alu instid0(SALU_CYCLE_1)
	s_and_not1_b32 exec_lo, exec_lo, s1
	s_cbranch_execnz .LBB112_101
; %bb.102:
	s_or_b32 exec_lo, exec_lo, s1
	v_mov_b32_e32 v9, 0
	ds_load_b64 v[104:105], v9 offset:176
	s_wait_dscnt 0x0
	v_pk_mul_f32 v[106:107], v[102:103], v[104:105] op_sel:[1,1] op_sel_hi:[0,1]
	s_delay_alu instid0(VALU_DEP_1) | instskip(SKIP_1) | instid1(VALU_DEP_2)
	v_pk_fma_f32 v[108:109], v[102:103], v[104:105], v[106:107] op_sel_hi:[1,0,1]
	v_pk_fma_f32 v[102:103], v[102:103], v[104:105], v[106:107] neg_lo:[0,0,1] neg_hi:[0,0,1]
	v_mov_b32_e32 v103, v109
	scratch_store_b64 off, v[102:103], off offset:176
.LBB112_103:
	s_wait_xcnt 0x0
	s_or_b32 exec_lo, exec_lo, s0
	s_wait_storecnt 0x0
	s_barrier_signal -1
	s_barrier_wait -1
	scratch_load_b64 v[102:103], off, off offset:184
	s_mov_b32 s0, exec_lo
	s_wait_loadcnt 0x0
	ds_store_b64 v1, v[102:103]
	s_wait_dscnt 0x0
	s_barrier_signal -1
	s_barrier_wait -1
	v_cmpx_gt_u32_e32 23, v0
	s_cbranch_execz .LBB112_107
; %bb.104:
	v_dual_mov_b32 v102, 0 :: v_dual_add_nc_u32 v9, -1, v0
	v_add_nc_u32_e32 v11, 0x190, v100
	v_mov_b32_e32 v13, v100
	s_mov_b32 s1, 0
	s_delay_alu instid0(VALU_DEP_3)
	v_mov_b32_e32 v103, v102
.LBB112_105:                            ; =>This Inner Loop Header: Depth=1
	scratch_load_b64 v[104:105], v13, off
	ds_load_b64 v[106:107], v11
	s_wait_xcnt 0x0
	v_dual_add_nc_u32 v11, 8, v11 :: v_dual_add_nc_u32 v13, 8, v13
	s_wait_loadcnt_dscnt 0x0
	v_pk_mul_f32 v[108:109], v[106:107], v[104:105] op_sel:[1,1] op_sel_hi:[0,1]
	s_delay_alu instid0(VALU_DEP_1) | instskip(SKIP_2) | instid1(VALU_DEP_3)
	v_pk_fma_f32 v[110:111], v[106:107], v[104:105], v[108:109] op_sel_hi:[1,0,1]
	v_add_nc_u32_e32 v9, 1, v9
	v_pk_fma_f32 v[104:105], v[106:107], v[104:105], v[108:109] neg_lo:[0,0,1] neg_hi:[0,0,1]
	v_mov_b32_e32 v105, v111
	s_delay_alu instid0(VALU_DEP_3) | instskip(NEXT) | instid1(VALU_DEP_2)
	v_cmp_lt_u32_e32 vcc_lo, 21, v9
	v_pk_add_f32 v[102:103], v[102:103], v[104:105]
	s_or_b32 s1, vcc_lo, s1
	s_delay_alu instid0(SALU_CYCLE_1)
	s_and_not1_b32 exec_lo, exec_lo, s1
	s_cbranch_execnz .LBB112_105
; %bb.106:
	s_or_b32 exec_lo, exec_lo, s1
	v_mov_b32_e32 v9, 0
	ds_load_b64 v[104:105], v9 offset:184
	s_wait_dscnt 0x0
	v_pk_mul_f32 v[106:107], v[102:103], v[104:105] op_sel:[1,1] op_sel_hi:[0,1]
	s_delay_alu instid0(VALU_DEP_1) | instskip(SKIP_1) | instid1(VALU_DEP_2)
	v_pk_fma_f32 v[108:109], v[102:103], v[104:105], v[106:107] op_sel_hi:[1,0,1]
	v_pk_fma_f32 v[102:103], v[102:103], v[104:105], v[106:107] neg_lo:[0,0,1] neg_hi:[0,0,1]
	v_mov_b32_e32 v103, v109
	scratch_store_b64 off, v[102:103], off offset:184
.LBB112_107:
	s_wait_xcnt 0x0
	s_or_b32 exec_lo, exec_lo, s0
	s_wait_storecnt 0x0
	s_barrier_signal -1
	s_barrier_wait -1
	scratch_load_b64 v[102:103], off, off offset:192
	;; [unrolled: 52-line block ×26, first 2 shown]
	s_mov_b32 s0, exec_lo
	s_wait_loadcnt 0x0
	ds_store_b64 v1, v[102:103]
	s_wait_dscnt 0x0
	s_barrier_signal -1
	s_barrier_wait -1
	v_cmpx_ne_u32_e32 48, v0
	s_cbranch_execz .LBB112_207
; %bb.204:
	v_dual_mov_b32 v102, 0 :: v_dual_mov_b32 v9, v100
	s_mov_b32 s1, 0
	s_delay_alu instid0(VALU_DEP_1)
	v_mov_b32_e32 v103, v102
.LBB112_205:                            ; =>This Inner Loop Header: Depth=1
	scratch_load_b64 v[100:101], v9, off
	ds_load_b64 v[104:105], v1
	v_add_nc_u32_e32 v1, 8, v1
	s_wait_xcnt 0x0
	v_add_nc_u32_e32 v9, 8, v9
	s_wait_loadcnt_dscnt 0x0
	v_pk_mul_f32 v[106:107], v[104:105], v[100:101] op_sel:[1,1] op_sel_hi:[0,1]
	s_delay_alu instid0(VALU_DEP_1) | instskip(SKIP_2) | instid1(VALU_DEP_3)
	v_pk_fma_f32 v[108:109], v[104:105], v[100:101], v[106:107] op_sel_hi:[1,0,1]
	v_add_nc_u32_e32 v7, 1, v7
	v_pk_fma_f32 v[100:101], v[104:105], v[100:101], v[106:107] neg_lo:[0,0,1] neg_hi:[0,0,1]
	v_mov_b32_e32 v101, v109
	s_delay_alu instid0(VALU_DEP_3) | instskip(NEXT) | instid1(VALU_DEP_2)
	v_cmp_lt_u32_e32 vcc_lo, 46, v7
	v_pk_add_f32 v[102:103], v[102:103], v[100:101]
	s_or_b32 s1, vcc_lo, s1
	s_delay_alu instid0(SALU_CYCLE_1)
	s_and_not1_b32 exec_lo, exec_lo, s1
	s_cbranch_execnz .LBB112_205
; %bb.206:
	s_or_b32 exec_lo, exec_lo, s1
	v_mov_b32_e32 v1, 0
	ds_load_b64 v[100:101], v1 offset:384
	s_wait_dscnt 0x0
	v_pk_mul_f32 v[104:105], v[102:103], v[100:101] op_sel:[1,1] op_sel_hi:[0,1]
	s_delay_alu instid0(VALU_DEP_1) | instskip(SKIP_1) | instid1(VALU_DEP_2)
	v_pk_fma_f32 v[106:107], v[102:103], v[100:101], v[104:105] op_sel_hi:[1,0,1]
	v_pk_fma_f32 v[100:101], v[102:103], v[100:101], v[104:105] neg_lo:[0,0,1] neg_hi:[0,0,1]
	v_mov_b32_e32 v101, v107
	scratch_store_b64 off, v[100:101], off offset:384
.LBB112_207:
	s_wait_xcnt 0x0
	s_or_b32 exec_lo, exec_lo, s0
	s_mov_b32 s1, -1
	s_wait_storecnt 0x0
	s_barrier_signal -1
	s_barrier_wait -1
.LBB112_208:
	s_and_b32 vcc_lo, exec_lo, s1
	s_cbranch_vccz .LBB112_210
; %bb.209:
	v_mov_b32_e32 v1, 0
	s_lshl_b64 s[0:1], s[10:11], 2
	s_delay_alu instid0(SALU_CYCLE_1)
	s_add_nc_u64 s[0:1], s[6:7], s[0:1]
	global_load_b32 v1, v1, s[0:1]
	s_wait_loadcnt 0x0
	v_cmp_ne_u32_e32 vcc_lo, 0, v1
	s_cbranch_vccz .LBB112_211
.LBB112_210:
	s_sendmsg sendmsg(MSG_DEALLOC_VGPRS)
	s_endpgm
.LBB112_211:
	s_wait_xcnt 0x0
	v_lshl_add_u32 v1, v0, 3, 0x190
	s_mov_b32 s0, exec_lo
	v_cmpx_eq_u32_e32 48, v0
	s_cbranch_execz .LBB112_213
; %bb.212:
	scratch_load_b64 v[100:101], off, off offset:376
	v_mov_b64_e32 v[102:103], 0
	scratch_store_b64 off, v[102:103], off offset:376
	s_wait_loadcnt 0x0
	ds_store_b64 v1, v[100:101]
.LBB112_213:
	s_wait_xcnt 0x0
	s_or_b32 exec_lo, exec_lo, s0
	s_wait_storecnt_dscnt 0x0
	s_barrier_signal -1
	s_barrier_wait -1
	s_clause 0x1
	scratch_load_b64 v[100:101], off, off offset:384
	scratch_load_b64 v[102:103], off, off offset:376
	v_mov_b32_e32 v7, 0
	s_mov_b32 s0, exec_lo
	ds_load_b64 v[104:105], v7 offset:784
	s_wait_loadcnt_dscnt 0x100
	v_pk_mul_f32 v[106:107], v[104:105], v[100:101] op_sel:[1,1] op_sel_hi:[0,1]
	s_delay_alu instid0(VALU_DEP_1) | instskip(SKIP_1) | instid1(VALU_DEP_2)
	v_pk_fma_f32 v[108:109], v[104:105], v[100:101], v[106:107] op_sel_hi:[1,0,1]
	v_pk_fma_f32 v[100:101], v[104:105], v[100:101], v[106:107] neg_lo:[0,0,1] neg_hi:[0,0,1]
	v_mov_b32_e32 v101, v109
	s_delay_alu instid0(VALU_DEP_1) | instskip(SKIP_1) | instid1(VALU_DEP_1)
	v_pk_add_f32 v[100:101], v[100:101], 0 op_sel_hi:[1,0]
	s_wait_loadcnt 0x0
	v_pk_add_f32 v[100:101], v[102:103], v[100:101] neg_lo:[0,1] neg_hi:[0,1]
	scratch_store_b64 off, v[100:101], off offset:376
	s_wait_xcnt 0x0
	v_cmpx_lt_u32_e32 46, v0
	s_cbranch_execz .LBB112_215
; %bb.214:
	scratch_load_b64 v[100:101], off, off offset:368
	v_mov_b64_e32 v[102:103], 0
	scratch_store_b64 off, v[102:103], off offset:368
	s_wait_loadcnt 0x0
	ds_store_b64 v1, v[100:101]
.LBB112_215:
	s_wait_xcnt 0x0
	s_or_b32 exec_lo, exec_lo, s0
	s_wait_storecnt_dscnt 0x0
	s_barrier_signal -1
	s_barrier_wait -1
	s_clause 0x1
	scratch_load_b128 v[100:103], off, off offset:376
	scratch_load_b64 v[108:109], off, off offset:368
	ds_load_2addr_b64 v[104:107], v7 offset0:97 offset1:98
	s_mov_b32 s0, exec_lo
	s_wait_dscnt 0x0
	v_dual_mov_b32 v110, v107 :: v_dual_mov_b32 v111, v106
	s_wait_loadcnt 0x1
	v_pk_mul_f32 v[112:113], v[104:105], v[100:101] op_sel:[1,1] op_sel_hi:[0,1]
	s_delay_alu instid0(VALU_DEP_1) | instskip(SKIP_2) | instid1(VALU_DEP_3)
	v_pk_fma_f32 v[116:117], v[104:105], v[100:101], v[112:113] op_sel_hi:[1,0,1]
	v_mov_b32_e32 v114, v103
	v_pk_fma_f32 v[100:101], v[104:105], v[100:101], v[112:113] neg_lo:[0,0,1] neg_hi:[0,0,1]
	v_mov_b32_e32 v101, v117
	s_delay_alu instid0(VALU_DEP_3) | instskip(NEXT) | instid1(VALU_DEP_2)
	v_pk_mul_f32 v[110:111], v[110:111], v[114:115] op_sel_hi:[1,0]
	v_pk_add_f32 v[100:101], v[100:101], 0 op_sel_hi:[1,0]
	s_delay_alu instid0(VALU_DEP_2) | instskip(SKIP_1) | instid1(VALU_DEP_2)
	v_pk_fma_f32 v[104:105], v[106:107], v[102:103], v[110:111] op_sel_hi:[1,0,1]
	v_pk_fma_f32 v[102:103], v[106:107], v[102:103], v[110:111] neg_lo:[0,0,1] neg_hi:[0,0,1]
	v_mov_b32_e32 v103, v105
	s_delay_alu instid0(VALU_DEP_1) | instskip(SKIP_1) | instid1(VALU_DEP_1)
	v_pk_add_f32 v[100:101], v[100:101], v[102:103]
	s_wait_loadcnt 0x0
	v_pk_add_f32 v[100:101], v[108:109], v[100:101] neg_lo:[0,1] neg_hi:[0,1]
	scratch_store_b64 off, v[100:101], off offset:368
	s_wait_xcnt 0x0
	v_cmpx_lt_u32_e32 45, v0
	s_cbranch_execz .LBB112_217
; %bb.216:
	scratch_load_b64 v[100:101], off, off offset:360
	v_mov_b64_e32 v[102:103], 0
	scratch_store_b64 off, v[102:103], off offset:360
	s_wait_loadcnt 0x0
	ds_store_b64 v1, v[100:101]
.LBB112_217:
	s_wait_xcnt 0x0
	s_or_b32 exec_lo, exec_lo, s0
	s_wait_storecnt_dscnt 0x0
	s_barrier_signal -1
	s_barrier_wait -1
	s_clause 0x2
	scratch_load_b128 v[100:103], off, off offset:368
	scratch_load_b64 v[108:109], off, off offset:384
	scratch_load_b64 v[110:111], off, off offset:360
	v_mov_b32_e32 v7, 0
	ds_load_b128 v[104:107], v7 offset:768
	ds_load_b64 v[112:113], v7 offset:784
	s_mov_b32 s0, exec_lo
	s_wait_dscnt 0x1
	v_dual_mov_b32 v114, v107 :: v_dual_mov_b32 v115, v106
	s_wait_loadcnt 0x2
	v_mov_b32_e32 v118, v103
	v_pk_mul_f32 v[116:117], v[104:105], v[100:101] op_sel:[1,1] op_sel_hi:[0,1]
	s_delay_alu instid0(VALU_DEP_2) | instskip(NEXT) | instid1(VALU_DEP_2)
	v_pk_mul_f32 v[114:115], v[114:115], v[118:119] op_sel_hi:[1,0]
	v_pk_fma_f32 v[120:121], v[104:105], v[100:101], v[116:117] op_sel_hi:[1,0,1]
	v_pk_fma_f32 v[100:101], v[104:105], v[100:101], v[116:117] neg_lo:[0,0,1] neg_hi:[0,0,1]
	s_wait_loadcnt_dscnt 0x100
	v_pk_mul_f32 v[116:117], v[112:113], v[108:109] op_sel:[1,1] op_sel_hi:[0,1]
	v_pk_fma_f32 v[104:105], v[106:107], v[102:103], v[114:115] op_sel_hi:[1,0,1]
	v_mov_b32_e32 v101, v121
	v_pk_fma_f32 v[102:103], v[106:107], v[102:103], v[114:115] neg_lo:[0,0,1] neg_hi:[0,0,1]
	s_delay_alu instid0(VALU_DEP_4) | instskip(NEXT) | instid1(VALU_DEP_4)
	v_pk_fma_f32 v[106:107], v[112:113], v[108:109], v[116:117] neg_lo:[0,0,1] neg_hi:[0,0,1]
	v_mov_b32_e32 v103, v105
	s_delay_alu instid0(VALU_DEP_4) | instskip(SKIP_1) | instid1(VALU_DEP_2)
	v_pk_add_f32 v[100:101], v[100:101], 0 op_sel_hi:[1,0]
	v_pk_fma_f32 v[104:105], v[112:113], v[108:109], v[116:117] op_sel_hi:[1,0,1]
	v_pk_add_f32 v[100:101], v[100:101], v[102:103]
	s_delay_alu instid0(VALU_DEP_2) | instskip(NEXT) | instid1(VALU_DEP_1)
	v_mov_b32_e32 v107, v105
	v_pk_add_f32 v[100:101], v[100:101], v[106:107]
	s_wait_loadcnt 0x0
	s_delay_alu instid0(VALU_DEP_1)
	v_pk_add_f32 v[100:101], v[110:111], v[100:101] neg_lo:[0,1] neg_hi:[0,1]
	scratch_store_b64 off, v[100:101], off offset:360
	s_wait_xcnt 0x0
	v_cmpx_lt_u32_e32 44, v0
	s_cbranch_execz .LBB112_219
; %bb.218:
	scratch_load_b64 v[100:101], off, off offset:352
	v_mov_b64_e32 v[102:103], 0
	scratch_store_b64 off, v[102:103], off offset:352
	s_wait_loadcnt 0x0
	ds_store_b64 v1, v[100:101]
.LBB112_219:
	s_wait_xcnt 0x0
	s_or_b32 exec_lo, exec_lo, s0
	s_wait_storecnt_dscnt 0x0
	s_barrier_signal -1
	s_barrier_wait -1
	s_clause 0x2
	scratch_load_b128 v[100:103], off, off offset:360
	scratch_load_b128 v[104:107], off, off offset:376
	scratch_load_b64 v[116:117], off, off offset:352
	ds_load_2addr_b64 v[108:111], v7 offset0:95 offset1:96
	ds_load_2addr_b64 v[112:115], v7 offset0:97 offset1:98
	s_mov_b32 s0, exec_lo
	s_wait_dscnt 0x1
	v_dual_mov_b32 v118, v111 :: v_dual_mov_b32 v119, v110
	s_wait_loadcnt_dscnt 0x200
	v_dual_mov_b32 v124, v115 :: v_dual_mov_b32 v122, v103
	v_pk_mul_f32 v[120:121], v[108:109], v[100:101] op_sel:[1,1] op_sel_hi:[0,1]
	s_delay_alu instid0(VALU_DEP_2) | instskip(NEXT) | instid1(VALU_DEP_2)
	v_pk_mul_f32 v[118:119], v[118:119], v[122:123] op_sel_hi:[1,0]
	v_pk_fma_f32 v[126:127], v[108:109], v[100:101], v[120:121] op_sel_hi:[1,0,1]
	v_pk_fma_f32 v[100:101], v[108:109], v[100:101], v[120:121] neg_lo:[0,0,1] neg_hi:[0,0,1]
	v_mov_b32_e32 v125, v114
	s_wait_loadcnt 0x1
	v_pk_mul_f32 v[122:123], v[112:113], v[104:105] op_sel:[1,1] op_sel_hi:[0,1]
	v_pk_fma_f32 v[108:109], v[110:111], v[102:103], v[118:119] op_sel_hi:[1,0,1]
	v_dual_mov_b32 v101, v127 :: v_dual_mov_b32 v108, v107
	v_pk_fma_f32 v[102:103], v[110:111], v[102:103], v[118:119] neg_lo:[0,0,1] neg_hi:[0,0,1]
	s_delay_alu instid0(VALU_DEP_4) | instskip(NEXT) | instid1(VALU_DEP_4)
	v_pk_fma_f32 v[120:121], v[112:113], v[104:105], v[122:123] op_sel_hi:[1,0,1]
	v_mov_b32_e32 v103, v109
	s_delay_alu instid0(VALU_DEP_4) | instskip(SKIP_2) | instid1(VALU_DEP_3)
	v_pk_add_f32 v[100:101], v[100:101], 0 op_sel_hi:[1,0]
	v_pk_mul_f32 v[108:109], v[124:125], v[108:109] op_sel_hi:[1,0]
	v_pk_fma_f32 v[104:105], v[112:113], v[104:105], v[122:123] neg_lo:[0,0,1] neg_hi:[0,0,1]
	v_pk_add_f32 v[100:101], v[100:101], v[102:103]
	s_delay_alu instid0(VALU_DEP_3) | instskip(SKIP_2) | instid1(VALU_DEP_3)
	v_pk_fma_f32 v[102:103], v[114:115], v[106:107], v[108:109] op_sel_hi:[1,0,1]
	v_mov_b32_e32 v105, v121
	v_pk_fma_f32 v[106:107], v[114:115], v[106:107], v[108:109] neg_lo:[0,0,1] neg_hi:[0,0,1]
	v_mov_b32_e32 v107, v103
	s_delay_alu instid0(VALU_DEP_3) | instskip(NEXT) | instid1(VALU_DEP_1)
	v_pk_add_f32 v[100:101], v[100:101], v[104:105]
	v_pk_add_f32 v[100:101], v[100:101], v[106:107]
	s_wait_loadcnt 0x0
	s_delay_alu instid0(VALU_DEP_1)
	v_pk_add_f32 v[100:101], v[116:117], v[100:101] neg_lo:[0,1] neg_hi:[0,1]
	scratch_store_b64 off, v[100:101], off offset:352
	s_wait_xcnt 0x0
	v_cmpx_lt_u32_e32 43, v0
	s_cbranch_execz .LBB112_221
; %bb.220:
	scratch_load_b64 v[100:101], off, off offset:344
	v_mov_b64_e32 v[102:103], 0
	scratch_store_b64 off, v[102:103], off offset:344
	s_wait_loadcnt 0x0
	ds_store_b64 v1, v[100:101]
.LBB112_221:
	s_wait_xcnt 0x0
	s_or_b32 exec_lo, exec_lo, s0
	s_wait_storecnt_dscnt 0x0
	s_barrier_signal -1
	s_barrier_wait -1
	s_clause 0x3
	scratch_load_b128 v[100:103], off, off offset:352
	scratch_load_b128 v[104:107], off, off offset:368
	scratch_load_b64 v[116:117], off, off offset:384
	scratch_load_b64 v[118:119], off, off offset:344
	v_mov_b32_e32 v7, 0
	ds_load_b128 v[108:111], v7 offset:752
	ds_load_b128 v[112:115], v7 offset:768
	s_mov_b32 s0, exec_lo
	s_wait_dscnt 0x1
	v_dual_mov_b32 v120, v111 :: v_dual_mov_b32 v121, v110
	ds_load_b64 v[126:127], v7 offset:784
	s_wait_dscnt 0x1
	v_dual_mov_b32 v128, v115 :: v_dual_mov_b32 v129, v114
	s_wait_loadcnt 0x3
	v_pk_mul_f32 v[122:123], v[108:109], v[100:101] op_sel:[1,1] op_sel_hi:[0,1]
	v_mov_b32_e32 v124, v103
	s_delay_alu instid0(VALU_DEP_2) | instskip(NEXT) | instid1(VALU_DEP_2)
	v_pk_fma_f32 v[130:131], v[108:109], v[100:101], v[122:123] op_sel_hi:[1,0,1]
	v_pk_mul_f32 v[120:121], v[120:121], v[124:125] op_sel_hi:[1,0]
	v_pk_fma_f32 v[100:101], v[108:109], v[100:101], v[122:123] neg_lo:[0,0,1] neg_hi:[0,0,1]
	s_wait_loadcnt 0x2
	v_pk_mul_f32 v[124:125], v[112:113], v[104:105] op_sel:[1,1] op_sel_hi:[0,1]
	v_dual_mov_b32 v130, v107 :: v_dual_mov_b32 v101, v131
	v_pk_fma_f32 v[108:109], v[110:111], v[102:103], v[120:121] op_sel_hi:[1,0,1]
	v_pk_fma_f32 v[102:103], v[110:111], v[102:103], v[120:121] neg_lo:[0,0,1] neg_hi:[0,0,1]
	s_delay_alu instid0(VALU_DEP_4) | instskip(NEXT) | instid1(VALU_DEP_4)
	v_pk_fma_f32 v[122:123], v[112:113], v[104:105], v[124:125] op_sel_hi:[1,0,1]
	v_pk_mul_f32 v[128:129], v[128:129], v[130:131] op_sel_hi:[1,0]
	v_pk_add_f32 v[100:101], v[100:101], 0 op_sel_hi:[1,0]
	v_mov_b32_e32 v103, v109
	v_pk_fma_f32 v[104:105], v[112:113], v[104:105], v[124:125] neg_lo:[0,0,1] neg_hi:[0,0,1]
	v_mov_b32_e32 v105, v123
	v_pk_fma_f32 v[108:109], v[114:115], v[106:107], v[128:129] op_sel_hi:[1,0,1]
	v_pk_fma_f32 v[106:107], v[114:115], v[106:107], v[128:129] neg_lo:[0,0,1] neg_hi:[0,0,1]
	v_pk_add_f32 v[100:101], v[100:101], v[102:103]
	s_wait_loadcnt_dscnt 0x100
	v_pk_mul_f32 v[102:103], v[126:127], v[116:117] op_sel:[1,1] op_sel_hi:[0,1]
	s_delay_alu instid0(VALU_DEP_2) | instskip(NEXT) | instid1(VALU_DEP_2)
	v_pk_add_f32 v[100:101], v[100:101], v[104:105]
	v_pk_fma_f32 v[104:105], v[126:127], v[116:117], v[102:103] op_sel_hi:[1,0,1]
	v_mov_b32_e32 v107, v109
	v_pk_fma_f32 v[102:103], v[126:127], v[116:117], v[102:103] neg_lo:[0,0,1] neg_hi:[0,0,1]
	s_delay_alu instid0(VALU_DEP_3) | instskip(NEXT) | instid1(VALU_DEP_3)
	v_mov_b32_e32 v103, v105
	v_pk_add_f32 v[100:101], v[100:101], v[106:107]
	s_delay_alu instid0(VALU_DEP_1) | instskip(SKIP_1) | instid1(VALU_DEP_1)
	v_pk_add_f32 v[100:101], v[100:101], v[102:103]
	s_wait_loadcnt 0x0
	v_pk_add_f32 v[100:101], v[118:119], v[100:101] neg_lo:[0,1] neg_hi:[0,1]
	scratch_store_b64 off, v[100:101], off offset:344
	s_wait_xcnt 0x0
	v_cmpx_lt_u32_e32 42, v0
	s_cbranch_execz .LBB112_223
; %bb.222:
	scratch_load_b64 v[100:101], off, off offset:336
	v_mov_b64_e32 v[102:103], 0
	scratch_store_b64 off, v[102:103], off offset:336
	s_wait_loadcnt 0x0
	ds_store_b64 v1, v[100:101]
.LBB112_223:
	s_wait_xcnt 0x0
	s_or_b32 exec_lo, exec_lo, s0
	s_wait_storecnt_dscnt 0x0
	s_barrier_signal -1
	s_barrier_wait -1
	s_clause 0x3
	scratch_load_b128 v[100:103], off, off offset:344
	scratch_load_b128 v[104:107], off, off offset:360
	;; [unrolled: 1-line block ×3, first 2 shown]
	scratch_load_b64 v[124:125], off, off offset:336
	ds_load_2addr_b64 v[112:115], v7 offset0:93 offset1:94
	ds_load_2addr_b64 v[116:119], v7 offset0:95 offset1:96
	;; [unrolled: 1-line block ×3, first 2 shown]
	s_mov_b32 s0, exec_lo
	s_wait_dscnt 0x2
	v_dual_mov_b32 v126, v115 :: v_dual_mov_b32 v127, v114
	s_wait_dscnt 0x1
	v_dual_mov_b32 v128, v119 :: v_dual_mov_b32 v129, v118
	;; [unrolled: 2-line block ×3, first 2 shown]
	s_wait_loadcnt 0x3
	v_pk_mul_f32 v[130:131], v[112:113], v[100:101] op_sel:[1,1] op_sel_hi:[0,1]
	v_mov_b32_e32 v132, v103
	s_delay_alu instid0(VALU_DEP_2) | instskip(NEXT) | instid1(VALU_DEP_2)
	v_pk_fma_f32 v[136:137], v[112:113], v[100:101], v[130:131] op_sel_hi:[1,0,1]
	v_pk_mul_f32 v[126:127], v[126:127], v[132:133] op_sel_hi:[1,0]
	v_pk_fma_f32 v[100:101], v[112:113], v[100:101], v[130:131] neg_lo:[0,0,1] neg_hi:[0,0,1]
	s_wait_loadcnt 0x2
	v_pk_mul_f32 v[132:133], v[116:117], v[104:105] op_sel:[1,1] op_sel_hi:[0,1]
	v_mov_b32_e32 v136, v107
	v_pk_fma_f32 v[112:113], v[114:115], v[102:103], v[126:127] op_sel_hi:[1,0,1]
	v_mov_b32_e32 v101, v137
	v_pk_fma_f32 v[102:103], v[114:115], v[102:103], v[126:127] neg_lo:[0,0,1] neg_hi:[0,0,1]
	v_pk_fma_f32 v[130:131], v[116:117], v[104:105], v[132:133] op_sel_hi:[1,0,1]
	v_pk_mul_f32 v[128:129], v[128:129], v[136:137] op_sel_hi:[1,0]
	v_mov_b32_e32 v103, v113
	v_pk_add_f32 v[100:101], v[100:101], 0 op_sel_hi:[1,0]
	v_pk_fma_f32 v[104:105], v[116:117], v[104:105], v[132:133] neg_lo:[0,0,1] neg_hi:[0,0,1]
	s_wait_loadcnt 0x1
	v_pk_mul_f32 v[112:113], v[120:121], v[108:109] op_sel:[1,1] op_sel_hi:[0,1]
	v_mov_b32_e32 v105, v131
	v_pk_fma_f32 v[114:115], v[118:119], v[106:107], v[128:129] op_sel_hi:[1,0,1]
	v_pk_add_f32 v[100:101], v[100:101], v[102:103]
	v_mov_b32_e32 v102, v111
	v_pk_fma_f32 v[106:107], v[118:119], v[106:107], v[128:129] neg_lo:[0,0,1] neg_hi:[0,0,1]
	v_pk_fma_f32 v[116:117], v[120:121], v[108:109], v[112:113] op_sel_hi:[1,0,1]
	v_mov_b32_e32 v107, v115
	v_pk_add_f32 v[100:101], v[100:101], v[104:105]
	v_pk_mul_f32 v[102:103], v[134:135], v[102:103] op_sel_hi:[1,0]
	v_pk_fma_f32 v[104:105], v[120:121], v[108:109], v[112:113] neg_lo:[0,0,1] neg_hi:[0,0,1]
	v_mov_b32_e32 v105, v117
	s_delay_alu instid0(VALU_DEP_4) | instskip(NEXT) | instid1(VALU_DEP_4)
	v_pk_add_f32 v[100:101], v[100:101], v[106:107]
	v_pk_fma_f32 v[106:107], v[122:123], v[110:111], v[102:103] op_sel_hi:[1,0,1]
	v_pk_fma_f32 v[102:103], v[122:123], v[110:111], v[102:103] neg_lo:[0,0,1] neg_hi:[0,0,1]
	s_delay_alu instid0(VALU_DEP_3) | instskip(NEXT) | instid1(VALU_DEP_3)
	v_pk_add_f32 v[100:101], v[100:101], v[104:105]
	v_mov_b32_e32 v103, v107
	s_delay_alu instid0(VALU_DEP_1) | instskip(SKIP_1) | instid1(VALU_DEP_1)
	v_pk_add_f32 v[100:101], v[100:101], v[102:103]
	s_wait_loadcnt 0x0
	v_pk_add_f32 v[100:101], v[124:125], v[100:101] neg_lo:[0,1] neg_hi:[0,1]
	scratch_store_b64 off, v[100:101], off offset:336
	s_wait_xcnt 0x0
	v_cmpx_lt_u32_e32 41, v0
	s_cbranch_execz .LBB112_225
; %bb.224:
	scratch_load_b64 v[100:101], off, off offset:328
	v_mov_b64_e32 v[102:103], 0
	scratch_store_b64 off, v[102:103], off offset:328
	s_wait_loadcnt 0x0
	ds_store_b64 v1, v[100:101]
.LBB112_225:
	s_wait_xcnt 0x0
	s_or_b32 exec_lo, exec_lo, s0
	s_wait_storecnt_dscnt 0x0
	s_barrier_signal -1
	s_barrier_wait -1
	s_clause 0x4
	scratch_load_b128 v[100:103], off, off offset:336
	scratch_load_b128 v[104:107], off, off offset:352
	;; [unrolled: 1-line block ×3, first 2 shown]
	scratch_load_b64 v[124:125], off, off offset:384
	scratch_load_b64 v[126:127], off, off offset:328
	v_mov_b32_e32 v7, 0
	ds_load_b128 v[112:115], v7 offset:736
	ds_load_b128 v[116:119], v7 offset:752
	ds_load_b128 v[120:123], v7 offset:768
	ds_load_b64 v[128:129], v7 offset:784
	s_mov_b32 s0, exec_lo
	s_wait_dscnt 0x3
	v_dual_mov_b32 v130, v115 :: v_dual_mov_b32 v131, v114
	s_wait_dscnt 0x2
	v_dual_mov_b32 v132, v119 :: v_dual_mov_b32 v133, v118
	;; [unrolled: 2-line block ×3, first 2 shown]
	s_wait_loadcnt 0x4
	v_pk_mul_f32 v[134:135], v[112:113], v[100:101] op_sel:[1,1] op_sel_hi:[0,1]
	v_mov_b32_e32 v136, v103
	s_wait_loadcnt 0x3
	v_pk_mul_f32 v[140:141], v[116:117], v[104:105] op_sel:[1,1] op_sel_hi:[0,1]
	s_wait_loadcnt 0x2
	v_pk_mul_f32 v[144:145], v[120:121], v[108:109] op_sel:[1,1] op_sel_hi:[0,1]
	v_pk_fma_f32 v[142:143], v[112:113], v[100:101], v[134:135] op_sel_hi:[1,0,1]
	v_pk_mul_f32 v[130:131], v[130:131], v[136:137] op_sel_hi:[1,0]
	v_pk_fma_f32 v[100:101], v[112:113], v[100:101], v[134:135] neg_lo:[0,0,1] neg_hi:[0,0,1]
	v_mov_b32_e32 v136, v107
	v_pk_fma_f32 v[134:135], v[116:117], v[104:105], v[140:141] op_sel_hi:[1,0,1]
	v_mov_b32_e32 v101, v143
	v_pk_fma_f32 v[112:113], v[114:115], v[102:103], v[130:131] op_sel_hi:[1,0,1]
	v_pk_fma_f32 v[102:103], v[114:115], v[102:103], v[130:131] neg_lo:[0,0,1] neg_hi:[0,0,1]
	v_pk_mul_f32 v[132:133], v[132:133], v[136:137] op_sel_hi:[1,0]
	v_pk_fma_f32 v[104:105], v[116:117], v[104:105], v[140:141] neg_lo:[0,0,1] neg_hi:[0,0,1]
	v_pk_add_f32 v[100:101], v[100:101], 0 op_sel_hi:[1,0]
	v_dual_mov_b32 v103, v113 :: v_dual_mov_b32 v112, v111
	s_delay_alu instid0(VALU_DEP_4) | instskip(SKIP_2) | instid1(VALU_DEP_4)
	v_pk_fma_f32 v[114:115], v[118:119], v[106:107], v[132:133] op_sel_hi:[1,0,1]
	v_mov_b32_e32 v105, v135
	v_pk_fma_f32 v[106:107], v[118:119], v[106:107], v[132:133] neg_lo:[0,0,1] neg_hi:[0,0,1]
	v_pk_add_f32 v[100:101], v[100:101], v[102:103]
	v_pk_fma_f32 v[102:103], v[120:121], v[108:109], v[144:145] op_sel_hi:[1,0,1]
	v_pk_mul_f32 v[112:113], v[138:139], v[112:113] op_sel_hi:[1,0]
	v_mov_b32_e32 v107, v115
	s_delay_alu instid0(VALU_DEP_4)
	v_pk_add_f32 v[100:101], v[100:101], v[104:105]
	v_pk_fma_f32 v[104:105], v[120:121], v[108:109], v[144:145] neg_lo:[0,0,1] neg_hi:[0,0,1]
	v_mov_b32_e32 v105, v103
	v_pk_fma_f32 v[102:103], v[122:123], v[110:111], v[112:113] op_sel_hi:[1,0,1]
	v_pk_fma_f32 v[108:109], v[122:123], v[110:111], v[112:113] neg_lo:[0,0,1] neg_hi:[0,0,1]
	v_pk_add_f32 v[100:101], v[100:101], v[106:107]
	s_wait_loadcnt_dscnt 0x100
	v_pk_mul_f32 v[106:107], v[128:129], v[124:125] op_sel:[1,1] op_sel_hi:[0,1]
	v_mov_b32_e32 v109, v103
	s_delay_alu instid0(VALU_DEP_3) | instskip(NEXT) | instid1(VALU_DEP_3)
	v_pk_add_f32 v[100:101], v[100:101], v[104:105]
	v_pk_fma_f32 v[102:103], v[128:129], v[124:125], v[106:107] op_sel_hi:[1,0,1]
	v_pk_fma_f32 v[104:105], v[128:129], v[124:125], v[106:107] neg_lo:[0,0,1] neg_hi:[0,0,1]
	s_delay_alu instid0(VALU_DEP_3) | instskip(NEXT) | instid1(VALU_DEP_3)
	v_pk_add_f32 v[100:101], v[100:101], v[108:109]
	v_mov_b32_e32 v105, v103
	s_delay_alu instid0(VALU_DEP_1) | instskip(SKIP_1) | instid1(VALU_DEP_1)
	v_pk_add_f32 v[100:101], v[100:101], v[104:105]
	s_wait_loadcnt 0x0
	v_pk_add_f32 v[100:101], v[126:127], v[100:101] neg_lo:[0,1] neg_hi:[0,1]
	scratch_store_b64 off, v[100:101], off offset:328
	s_wait_xcnt 0x0
	v_cmpx_lt_u32_e32 40, v0
	s_cbranch_execz .LBB112_227
; %bb.226:
	scratch_load_b64 v[100:101], off, off offset:320
	v_mov_b64_e32 v[102:103], 0
	scratch_store_b64 off, v[102:103], off offset:320
	s_wait_loadcnt 0x0
	ds_store_b64 v1, v[100:101]
.LBB112_227:
	s_wait_xcnt 0x0
	s_or_b32 exec_lo, exec_lo, s0
	s_wait_storecnt_dscnt 0x0
	s_barrier_signal -1
	s_barrier_wait -1
	s_clause 0x4
	scratch_load_b128 v[100:103], off, off offset:328
	scratch_load_b128 v[104:107], off, off offset:344
	;; [unrolled: 1-line block ×4, first 2 shown]
	scratch_load_b64 v[132:133], off, off offset:320
	ds_load_2addr_b64 v[116:119], v7 offset0:91 offset1:92
	ds_load_2addr_b64 v[120:123], v7 offset0:93 offset1:94
	;; [unrolled: 1-line block ×4, first 2 shown]
	s_mov_b32 s0, exec_lo
	s_wait_dscnt 0x3
	v_dual_mov_b32 v134, v119 :: v_dual_mov_b32 v135, v118
	s_wait_dscnt 0x2
	v_dual_mov_b32 v136, v123 :: v_dual_mov_b32 v137, v122
	s_wait_dscnt 0x0
	v_dual_mov_b32 v145, v130 :: v_dual_mov_b32 v138, v127
	v_dual_mov_b32 v139, v126 :: v_dual_mov_b32 v144, v131
	s_wait_loadcnt 0x4
	v_mov_b32_e32 v142, v103
	v_pk_mul_f32 v[140:141], v[116:117], v[100:101] op_sel:[1,1] op_sel_hi:[0,1]
	s_wait_loadcnt 0x3
	v_pk_mul_f32 v[146:147], v[120:121], v[104:105] op_sel:[1,1] op_sel_hi:[0,1]
	s_wait_loadcnt 0x2
	v_pk_mul_f32 v[150:151], v[124:125], v[108:109] op_sel:[1,1] op_sel_hi:[0,1]
	v_pk_mul_f32 v[134:135], v[134:135], v[142:143] op_sel_hi:[1,0]
	v_pk_fma_f32 v[148:149], v[116:117], v[100:101], v[140:141] op_sel_hi:[1,0,1]
	v_pk_fma_f32 v[100:101], v[116:117], v[100:101], v[140:141] neg_lo:[0,0,1] neg_hi:[0,0,1]
	v_mov_b32_e32 v142, v107
	v_pk_fma_f32 v[140:141], v[120:121], v[104:105], v[146:147] op_sel_hi:[1,0,1]
	v_pk_fma_f32 v[116:117], v[118:119], v[102:103], v[134:135] op_sel_hi:[1,0,1]
	v_mov_b32_e32 v101, v149
	v_pk_fma_f32 v[102:103], v[118:119], v[102:103], v[134:135] neg_lo:[0,0,1] neg_hi:[0,0,1]
	v_pk_mul_f32 v[136:137], v[136:137], v[142:143] op_sel_hi:[1,0]
	s_delay_alu instid0(VALU_DEP_4) | instskip(NEXT) | instid1(VALU_DEP_4)
	v_dual_mov_b32 v116, v111 :: v_dual_mov_b32 v103, v117
	v_pk_add_f32 v[100:101], v[100:101], 0 op_sel_hi:[1,0]
	v_pk_fma_f32 v[104:105], v[120:121], v[104:105], v[146:147] neg_lo:[0,0,1] neg_hi:[0,0,1]
	v_mov_b32_e32 v105, v141
	v_pk_fma_f32 v[118:119], v[122:123], v[106:107], v[136:137] op_sel_hi:[1,0,1]
	v_pk_mul_f32 v[116:117], v[138:139], v[116:117] op_sel_hi:[1,0]
	v_pk_add_f32 v[100:101], v[100:101], v[102:103]
	v_pk_fma_f32 v[102:103], v[124:125], v[108:109], v[150:151] op_sel_hi:[1,0,1]
	v_pk_fma_f32 v[106:107], v[122:123], v[106:107], v[136:137] neg_lo:[0,0,1] neg_hi:[0,0,1]
	v_mov_b32_e32 v107, v119
	v_pk_fma_f32 v[108:109], v[124:125], v[108:109], v[150:151] neg_lo:[0,0,1] neg_hi:[0,0,1]
	v_pk_add_f32 v[100:101], v[100:101], v[104:105]
	v_mov_b32_e32 v109, v103
	v_pk_fma_f32 v[102:103], v[126:127], v[110:111], v[116:117] op_sel_hi:[1,0,1]
	s_wait_loadcnt 0x1
	v_pk_mul_f32 v[104:105], v[128:129], v[112:113] op_sel:[1,1] op_sel_hi:[0,1]
	v_mov_b32_e32 v102, v115
	v_pk_add_f32 v[100:101], v[100:101], v[106:107]
	v_pk_fma_f32 v[110:111], v[126:127], v[110:111], v[116:117] neg_lo:[0,0,1] neg_hi:[0,0,1]
	v_mov_b32_e32 v111, v103
	v_pk_fma_f32 v[106:107], v[128:129], v[112:113], v[104:105] op_sel_hi:[1,0,1]
	v_pk_mul_f32 v[102:103], v[144:145], v[102:103] op_sel_hi:[1,0]
	v_pk_add_f32 v[100:101], v[100:101], v[108:109]
	v_pk_fma_f32 v[104:105], v[128:129], v[112:113], v[104:105] neg_lo:[0,0,1] neg_hi:[0,0,1]
	s_delay_alu instid0(VALU_DEP_4) | instskip(NEXT) | instid1(VALU_DEP_4)
	v_mov_b32_e32 v105, v107
	v_pk_fma_f32 v[106:107], v[130:131], v[114:115], v[102:103] op_sel_hi:[1,0,1]
	s_delay_alu instid0(VALU_DEP_4) | instskip(SKIP_1) | instid1(VALU_DEP_3)
	v_pk_add_f32 v[100:101], v[100:101], v[110:111]
	v_pk_fma_f32 v[102:103], v[130:131], v[114:115], v[102:103] neg_lo:[0,0,1] neg_hi:[0,0,1]
	v_mov_b32_e32 v103, v107
	s_delay_alu instid0(VALU_DEP_3) | instskip(NEXT) | instid1(VALU_DEP_1)
	v_pk_add_f32 v[100:101], v[100:101], v[104:105]
	v_pk_add_f32 v[100:101], v[100:101], v[102:103]
	s_wait_loadcnt 0x0
	s_delay_alu instid0(VALU_DEP_1)
	v_pk_add_f32 v[100:101], v[132:133], v[100:101] neg_lo:[0,1] neg_hi:[0,1]
	scratch_store_b64 off, v[100:101], off offset:320
	s_wait_xcnt 0x0
	v_cmpx_lt_u32_e32 39, v0
	s_cbranch_execz .LBB112_229
; %bb.228:
	scratch_load_b64 v[100:101], off, off offset:312
	v_mov_b64_e32 v[102:103], 0
	scratch_store_b64 off, v[102:103], off offset:312
	s_wait_loadcnt 0x0
	ds_store_b64 v1, v[100:101]
.LBB112_229:
	s_wait_xcnt 0x0
	s_or_b32 exec_lo, exec_lo, s0
	s_wait_storecnt_dscnt 0x0
	s_barrier_signal -1
	s_barrier_wait -1
	s_clause 0x5
	scratch_load_b128 v[100:103], off, off offset:320
	scratch_load_b128 v[104:107], off, off offset:336
	;; [unrolled: 1-line block ×4, first 2 shown]
	scratch_load_b64 v[132:133], off, off offset:384
	scratch_load_b64 v[134:135], off, off offset:312
	v_mov_b32_e32 v7, 0
	ds_load_b128 v[116:119], v7 offset:720
	ds_load_b128 v[120:123], v7 offset:736
	ds_load_b128 v[124:127], v7 offset:752
	ds_load_b128 v[128:131], v7 offset:768
	ds_load_b64 v[136:137], v7 offset:784
	s_mov_b32 s0, exec_lo
	s_wait_dscnt 0x4
	v_dual_mov_b32 v138, v119 :: v_dual_mov_b32 v139, v118
	s_wait_dscnt 0x1
	v_dual_mov_b32 v140, v123 :: v_dual_mov_b32 v145, v130
	v_dual_mov_b32 v141, v122 :: v_dual_mov_b32 v142, v127
	;; [unrolled: 1-line block ×3, first 2 shown]
	s_wait_loadcnt 0x5
	v_dual_mov_b32 v146, v103 :: v_dual_mul_f32 v147, v116, v101
	v_mul_f32_e32 v9, v117, v101
	s_wait_loadcnt 0x4
	v_pk_mul_f32 v[148:149], v[120:121], v[104:105] op_sel:[1,1] op_sel_hi:[0,1]
	v_mov_b32_e32 v150, v107
	s_wait_loadcnt 0x3
	v_pk_mul_f32 v[152:153], v[124:125], v[108:109] op_sel:[1,1] op_sel_hi:[0,1]
	v_pk_mul_f32 v[138:139], v[138:139], v[146:147] op_sel_hi:[1,0]
	v_dual_fmac_f32 v147, v117, v100 :: v_dual_fma_f32 v146, v116, v100, -v9
	v_mov_b32_e32 v100, v111
	v_pk_fma_f32 v[154:155], v[120:121], v[104:105], v[148:149] op_sel_hi:[1,0,1]
	s_delay_alu instid0(VALU_DEP_4)
	v_pk_fma_f32 v[116:117], v[118:119], v[102:103], v[138:139] op_sel_hi:[1,0,1]
	v_pk_fma_f32 v[102:103], v[118:119], v[102:103], v[138:139] neg_lo:[0,0,1] neg_hi:[0,0,1]
	v_pk_mul_f32 v[140:141], v[140:141], v[150:151] op_sel_hi:[1,0]
	v_pk_add_f32 v[146:147], v[146:147], 0 op_sel_hi:[1,0]
	v_pk_fma_f32 v[104:105], v[120:121], v[104:105], v[148:149] neg_lo:[0,0,1] neg_hi:[0,0,1]
	v_dual_mov_b32 v103, v117 :: v_dual_mov_b32 v105, v155
	s_delay_alu instid0(VALU_DEP_4) | instskip(SKIP_2) | instid1(VALU_DEP_4)
	v_pk_fma_f32 v[118:119], v[122:123], v[106:107], v[140:141] op_sel_hi:[1,0,1]
	v_pk_fma_f32 v[106:107], v[122:123], v[106:107], v[140:141] neg_lo:[0,0,1] neg_hi:[0,0,1]
	v_pk_fma_f32 v[120:121], v[124:125], v[108:109], v[152:153] op_sel_hi:[1,0,1]
	v_pk_add_f32 v[102:103], v[146:147], v[102:103]
	v_pk_mul_f32 v[100:101], v[142:143], v[100:101] op_sel_hi:[1,0]
	v_mov_b32_e32 v107, v119
	v_pk_fma_f32 v[108:109], v[124:125], v[108:109], v[152:153] neg_lo:[0,0,1] neg_hi:[0,0,1]
	s_wait_loadcnt 0x2
	v_pk_mul_f32 v[116:117], v[128:129], v[112:113] op_sel:[1,1] op_sel_hi:[0,1]
	v_pk_add_f32 v[102:103], v[102:103], v[104:105]
	v_mov_b32_e32 v104, v115
	v_pk_fma_f32 v[118:119], v[126:127], v[110:111], v[100:101] op_sel_hi:[1,0,1]
	v_mov_b32_e32 v109, v121
	v_pk_fma_f32 v[100:101], v[126:127], v[110:111], v[100:101] neg_lo:[0,0,1] neg_hi:[0,0,1]
	v_pk_add_f32 v[102:103], v[102:103], v[106:107]
	v_pk_fma_f32 v[106:107], v[128:129], v[112:113], v[116:117] op_sel_hi:[1,0,1]
	v_pk_mul_f32 v[104:105], v[144:145], v[104:105] op_sel_hi:[1,0]
	v_mov_b32_e32 v101, v119
	s_delay_alu instid0(VALU_DEP_4)
	v_pk_add_f32 v[102:103], v[102:103], v[108:109]
	v_pk_fma_f32 v[108:109], v[128:129], v[112:113], v[116:117] neg_lo:[0,0,1] neg_hi:[0,0,1]
	v_mov_b32_e32 v109, v107
	v_pk_fma_f32 v[106:107], v[130:131], v[114:115], v[104:105] op_sel_hi:[1,0,1]
	v_pk_fma_f32 v[104:105], v[130:131], v[114:115], v[104:105] neg_lo:[0,0,1] neg_hi:[0,0,1]
	v_pk_add_f32 v[100:101], v[102:103], v[100:101]
	s_wait_loadcnt_dscnt 0x100
	v_pk_mul_f32 v[102:103], v[136:137], v[132:133] op_sel:[1,1] op_sel_hi:[0,1]
	v_mov_b32_e32 v105, v107
	s_delay_alu instid0(VALU_DEP_3) | instskip(NEXT) | instid1(VALU_DEP_3)
	v_pk_add_f32 v[100:101], v[100:101], v[108:109]
	v_pk_fma_f32 v[106:107], v[136:137], v[132:133], v[102:103] op_sel_hi:[1,0,1]
	v_pk_fma_f32 v[102:103], v[136:137], v[132:133], v[102:103] neg_lo:[0,0,1] neg_hi:[0,0,1]
	s_delay_alu instid0(VALU_DEP_3) | instskip(NEXT) | instid1(VALU_DEP_3)
	v_pk_add_f32 v[100:101], v[100:101], v[104:105]
	v_mov_b32_e32 v103, v107
	s_delay_alu instid0(VALU_DEP_1) | instskip(SKIP_1) | instid1(VALU_DEP_1)
	v_pk_add_f32 v[100:101], v[100:101], v[102:103]
	s_wait_loadcnt 0x0
	v_pk_add_f32 v[100:101], v[134:135], v[100:101] neg_lo:[0,1] neg_hi:[0,1]
	scratch_store_b64 off, v[100:101], off offset:312
	s_wait_xcnt 0x0
	v_cmpx_lt_u32_e32 38, v0
	s_cbranch_execz .LBB112_231
; %bb.230:
	scratch_load_b64 v[100:101], off, off offset:304
	v_mov_b64_e32 v[102:103], 0
	scratch_store_b64 off, v[102:103], off offset:304
	s_wait_loadcnt 0x0
	ds_store_b64 v1, v[100:101]
.LBB112_231:
	s_wait_xcnt 0x0
	s_or_b32 exec_lo, exec_lo, s0
	s_wait_storecnt_dscnt 0x0
	s_barrier_signal -1
	s_barrier_wait -1
	s_clause 0x5
	scratch_load_b128 v[100:103], off, off offset:312
	scratch_load_b128 v[104:107], off, off offset:328
	;; [unrolled: 1-line block ×5, first 2 shown]
	scratch_load_b64 v[140:141], off, off offset:304
	ds_load_2addr_b64 v[120:123], v7 offset0:91 offset1:92
	ds_load_2addr_b64 v[124:127], v7 offset0:93 offset1:94
	;; [unrolled: 1-line block ×5, first 2 shown]
	s_mov_b32 s0, exec_lo
	s_wait_dscnt 0x4
	v_dual_mov_b32 v142, v123 :: v_dual_mov_b32 v143, v122
	s_wait_dscnt 0x3
	v_dual_mov_b32 v144, v127 :: v_dual_mov_b32 v145, v126
	;; [unrolled: 2-line block ×4, first 2 shown]
	s_wait_loadcnt_dscnt 0x500
	v_dual_mul_f32 v151, v136, v101 :: v_dual_mul_f32 v153, v138, v103
	v_dual_mul_f32 v7, v137, v101 :: v_dual_mul_f32 v9, v139, v103
	s_wait_loadcnt 0x4
	v_pk_mul_f32 v[154:155], v[120:121], v[104:105] op_sel:[1,1] op_sel_hi:[0,1]
	s_wait_loadcnt 0x3
	v_dual_mov_b32 v156, v107 :: v_dual_mov_b32 v160, v111
	v_dual_fmac_f32 v151, v137, v100 :: v_dual_fmac_f32 v153, v139, v102
	v_dual_fma_f32 v150, v136, v100, -v7 :: v_dual_fma_f32 v152, v138, v102, -v9
	v_pk_fma_f32 v[100:101], v[120:121], v[104:105], v[154:155] op_sel_hi:[1,0,1]
	s_delay_alu instid0(VALU_DEP_4) | instskip(SKIP_1) | instid1(VALU_DEP_4)
	v_pk_mul_f32 v[102:103], v[142:143], v[156:157] op_sel_hi:[1,0]
	v_pk_fma_f32 v[104:105], v[120:121], v[104:105], v[154:155] neg_lo:[0,0,1] neg_hi:[0,0,1]
	v_pk_add_f32 v[136:137], v[150:151], 0 op_sel_hi:[1,0]
	v_pk_mul_f32 v[158:159], v[124:125], v[108:109] op_sel:[1,1] op_sel_hi:[0,1]
	v_mov_b32_e32 v105, v101
	v_pk_fma_f32 v[100:101], v[122:123], v[106:107], v[102:103] op_sel_hi:[1,0,1]
	v_pk_fma_f32 v[102:103], v[122:123], v[106:107], v[102:103] neg_lo:[0,0,1] neg_hi:[0,0,1]
	v_pk_add_f32 v[120:121], v[136:137], v[152:153]
	v_pk_fma_f32 v[136:137], v[124:125], v[108:109], v[158:159] op_sel_hi:[1,0,1]
	v_pk_mul_f32 v[142:143], v[144:145], v[160:161] op_sel_hi:[1,0]
	v_mov_b32_e32 v103, v101
	s_wait_loadcnt 0x2
	v_pk_mul_f32 v[138:139], v[128:129], v[112:113] op_sel:[1,1] op_sel_hi:[0,1]
	v_pk_add_f32 v[100:101], v[120:121], v[104:105]
	v_mov_b32_e32 v104, v115
	v_pk_fma_f32 v[106:107], v[124:125], v[108:109], v[158:159] neg_lo:[0,0,1] neg_hi:[0,0,1]
	v_mov_b32_e32 v107, v137
	v_pk_fma_f32 v[108:109], v[126:127], v[110:111], v[142:143] op_sel_hi:[1,0,1]
	v_pk_add_f32 v[100:101], v[100:101], v[102:103]
	v_pk_fma_f32 v[102:103], v[128:129], v[112:113], v[138:139] op_sel_hi:[1,0,1]
	v_pk_mul_f32 v[104:105], v[146:147], v[104:105] op_sel_hi:[1,0]
	v_pk_fma_f32 v[110:111], v[126:127], v[110:111], v[142:143] neg_lo:[0,0,1] neg_hi:[0,0,1]
	v_mov_b32_e32 v111, v109
	v_pk_add_f32 v[100:101], v[100:101], v[106:107]
	v_pk_fma_f32 v[108:109], v[128:129], v[112:113], v[138:139] neg_lo:[0,0,1] neg_hi:[0,0,1]
	v_mov_b32_e32 v109, v103
	v_pk_fma_f32 v[102:103], v[130:131], v[114:115], v[104:105] op_sel_hi:[1,0,1]
	s_wait_loadcnt 0x1
	v_pk_mul_f32 v[106:107], v[132:133], v[116:117] op_sel:[1,1] op_sel_hi:[0,1]
	v_pk_add_f32 v[100:101], v[100:101], v[110:111]
	v_mov_b32_e32 v102, v119
	v_pk_fma_f32 v[104:105], v[130:131], v[114:115], v[104:105] neg_lo:[0,0,1] neg_hi:[0,0,1]
	v_mov_b32_e32 v105, v103
	v_pk_fma_f32 v[110:111], v[132:133], v[116:117], v[106:107] op_sel_hi:[1,0,1]
	v_pk_add_f32 v[100:101], v[100:101], v[108:109]
	v_pk_mul_f32 v[102:103], v[148:149], v[102:103] op_sel_hi:[1,0]
	v_pk_fma_f32 v[106:107], v[132:133], v[116:117], v[106:107] neg_lo:[0,0,1] neg_hi:[0,0,1]
	s_delay_alu instid0(VALU_DEP_3) | instskip(NEXT) | instid1(VALU_DEP_3)
	v_pk_add_f32 v[100:101], v[100:101], v[104:105]
	v_pk_fma_f32 v[104:105], v[134:135], v[118:119], v[102:103] op_sel_hi:[1,0,1]
	v_mov_b32_e32 v107, v111
	v_pk_fma_f32 v[102:103], v[134:135], v[118:119], v[102:103] neg_lo:[0,0,1] neg_hi:[0,0,1]
	s_delay_alu instid0(VALU_DEP_3) | instskip(NEXT) | instid1(VALU_DEP_3)
	v_mov_b32_e32 v103, v105
	v_pk_add_f32 v[100:101], v[100:101], v[106:107]
	s_delay_alu instid0(VALU_DEP_1) | instskip(SKIP_1) | instid1(VALU_DEP_1)
	v_pk_add_f32 v[100:101], v[100:101], v[102:103]
	s_wait_loadcnt 0x0
	v_pk_add_f32 v[100:101], v[140:141], v[100:101] neg_lo:[0,1] neg_hi:[0,1]
	scratch_store_b64 off, v[100:101], off offset:304
	s_wait_xcnt 0x0
	v_cmpx_lt_u32_e32 37, v0
	s_cbranch_execz .LBB112_233
; %bb.232:
	scratch_load_b64 v[100:101], off, off offset:296
	v_mov_b64_e32 v[102:103], 0
	scratch_store_b64 off, v[102:103], off offset:296
	s_wait_loadcnt 0x0
	ds_store_b64 v1, v[100:101]
.LBB112_233:
	s_wait_xcnt 0x0
	s_or_b32 exec_lo, exec_lo, s0
	s_wait_storecnt_dscnt 0x0
	s_barrier_signal -1
	s_barrier_wait -1
	s_clause 0x6
	scratch_load_b128 v[100:103], off, off offset:304
	scratch_load_b128 v[104:107], off, off offset:320
	;; [unrolled: 1-line block ×5, first 2 shown]
	scratch_load_b64 v[140:141], off, off offset:384
	scratch_load_b64 v[142:143], off, off offset:296
	v_mov_b32_e32 v7, 0
	ds_load_b128 v[120:123], v7 offset:720
	ds_load_b128 v[124:127], v7 offset:736
	;; [unrolled: 1-line block ×5, first 2 shown]
	ds_load_b64 v[144:145], v7 offset:784
	s_mov_b32 s0, exec_lo
	s_wait_dscnt 0x5
	v_dual_mov_b32 v146, v123 :: v_dual_mov_b32 v147, v122
	s_wait_dscnt 0x2
	v_dual_mov_b32 v148, v127 :: v_dual_mov_b32 v153, v134
	v_dual_mov_b32 v149, v126 :: v_dual_mov_b32 v150, v131
	;; [unrolled: 1-line block ×3, first 2 shown]
	s_wait_loadcnt_dscnt 0x601
	v_dual_mul_f32 v9, v136, v101 :: v_dual_mul_f32 v11, v137, v101
	v_dual_mul_f32 v13, v139, v103 :: v_dual_mul_f32 v155, v138, v103
	s_wait_loadcnt 0x5
	v_dual_mul_f32 v157, v120, v105 :: v_dual_mul_f32 v15, v121, v105
	s_wait_loadcnt 0x4
	v_dual_mov_b32 v156, v107 :: v_dual_mov_b32 v160, v111
	v_dual_fmac_f32 v9, v137, v100 :: v_dual_fma_f32 v11, v136, v100, -v11
	v_dual_fma_f32 v154, v138, v102, -v13 :: v_dual_fmac_f32 v155, v139, v102
	s_delay_alu instid0(VALU_DEP_3) | instskip(NEXT) | instid1(VALU_DEP_3)
	v_pk_mul_f32 v[100:101], v[146:147], v[156:157] op_sel_hi:[1,0]
	v_dual_add_f32 v103, 0, v9 :: v_dual_add_f32 v102, 0, v11
	s_wait_loadcnt 0x3
	v_mov_b32_e32 v136, v115
	v_pk_mul_f32 v[158:159], v[124:125], v[108:109] op_sel:[1,1] op_sel_hi:[0,1]
	v_dual_fmac_f32 v157, v121, v104 :: v_dual_fma_f32 v156, v120, v104, -v15
	v_pk_fma_f32 v[104:105], v[122:123], v[106:107], v[100:101] op_sel_hi:[1,0,1]
	v_pk_add_f32 v[102:103], v[102:103], v[154:155]
	v_pk_fma_f32 v[100:101], v[122:123], v[106:107], v[100:101] neg_lo:[0,0,1] neg_hi:[0,0,1]
	v_pk_fma_f32 v[120:121], v[124:125], v[108:109], v[158:159] op_sel_hi:[1,0,1]
	v_pk_mul_f32 v[138:139], v[148:149], v[160:161] op_sel_hi:[1,0]
	v_mov_b32_e32 v101, v105
	v_pk_add_f32 v[102:103], v[102:103], v[156:157]
	v_pk_fma_f32 v[106:107], v[124:125], v[108:109], v[158:159] neg_lo:[0,0,1] neg_hi:[0,0,1]
	v_pk_mul_f32 v[162:163], v[128:129], v[112:113] op_sel:[1,1] op_sel_hi:[0,1]
	v_mov_b32_e32 v107, v121
	v_pk_fma_f32 v[108:109], v[126:127], v[110:111], v[138:139] op_sel_hi:[1,0,1]
	v_pk_add_f32 v[100:101], v[102:103], v[100:101]
	v_pk_fma_f32 v[110:111], v[126:127], v[110:111], v[138:139] neg_lo:[0,0,1] neg_hi:[0,0,1]
	v_pk_fma_f32 v[102:103], v[128:129], v[112:113], v[162:163] op_sel_hi:[1,0,1]
	v_pk_mul_f32 v[120:121], v[150:151], v[136:137] op_sel_hi:[1,0]
	s_wait_loadcnt 0x2
	v_dual_mov_b32 v111, v109 :: v_dual_mov_b32 v102, v119
	v_pk_add_f32 v[100:101], v[100:101], v[106:107]
	v_pk_fma_f32 v[106:107], v[128:129], v[112:113], v[162:163] neg_lo:[0,0,1] neg_hi:[0,0,1]
	v_pk_mul_f32 v[104:105], v[132:133], v[116:117] op_sel:[1,1] op_sel_hi:[0,1]
	v_pk_fma_f32 v[108:109], v[130:131], v[114:115], v[120:121] op_sel_hi:[1,0,1]
	v_mov_b32_e32 v107, v103
	v_pk_add_f32 v[100:101], v[100:101], v[110:111]
	v_pk_fma_f32 v[112:113], v[130:131], v[114:115], v[120:121] neg_lo:[0,0,1] neg_hi:[0,0,1]
	v_pk_fma_f32 v[110:111], v[132:133], v[116:117], v[104:105] op_sel_hi:[1,0,1]
	v_pk_mul_f32 v[102:103], v[152:153], v[102:103] op_sel_hi:[1,0]
	v_mov_b32_e32 v113, v109
	v_pk_add_f32 v[100:101], v[100:101], v[106:107]
	v_pk_fma_f32 v[104:105], v[132:133], v[116:117], v[104:105] neg_lo:[0,0,1] neg_hi:[0,0,1]
	s_wait_loadcnt_dscnt 0x100
	v_pk_mul_f32 v[108:109], v[144:145], v[140:141] op_sel:[1,1] op_sel_hi:[0,1]
	v_pk_fma_f32 v[106:107], v[134:135], v[118:119], v[102:103] op_sel_hi:[1,0,1]
	v_mov_b32_e32 v105, v111
	v_pk_add_f32 v[100:101], v[100:101], v[112:113]
	v_pk_fma_f32 v[102:103], v[134:135], v[118:119], v[102:103] neg_lo:[0,0,1] neg_hi:[0,0,1]
	s_delay_alu instid0(VALU_DEP_4) | instskip(SKIP_1) | instid1(VALU_DEP_4)
	v_mov_b32_e32 v103, v107
	v_pk_fma_f32 v[106:107], v[144:145], v[140:141], v[108:109] neg_lo:[0,0,1] neg_hi:[0,0,1]
	v_pk_add_f32 v[100:101], v[100:101], v[104:105]
	v_pk_fma_f32 v[104:105], v[144:145], v[140:141], v[108:109] op_sel_hi:[1,0,1]
	s_delay_alu instid0(VALU_DEP_2) | instskip(NEXT) | instid1(VALU_DEP_2)
	v_pk_add_f32 v[100:101], v[100:101], v[102:103]
	v_mov_b32_e32 v107, v105
	s_delay_alu instid0(VALU_DEP_1) | instskip(SKIP_1) | instid1(VALU_DEP_1)
	v_pk_add_f32 v[100:101], v[100:101], v[106:107]
	s_wait_loadcnt 0x0
	v_pk_add_f32 v[100:101], v[142:143], v[100:101] neg_lo:[0,1] neg_hi:[0,1]
	scratch_store_b64 off, v[100:101], off offset:296
	s_wait_xcnt 0x0
	v_cmpx_lt_u32_e32 36, v0
	s_cbranch_execz .LBB112_235
; %bb.234:
	scratch_load_b64 v[100:101], off, off offset:288
	v_mov_b64_e32 v[102:103], 0
	scratch_store_b64 off, v[102:103], off offset:288
	s_wait_loadcnt 0x0
	ds_store_b64 v1, v[100:101]
.LBB112_235:
	s_wait_xcnt 0x0
	s_or_b32 exec_lo, exec_lo, s0
	s_wait_storecnt_dscnt 0x0
	s_barrier_signal -1
	s_barrier_wait -1
	s_clause 0x6
	scratch_load_b128 v[100:103], off, off offset:296
	scratch_load_b128 v[104:107], off, off offset:312
	;; [unrolled: 1-line block ×6, first 2 shown]
	scratch_load_b64 v[148:149], off, off offset:288
	ds_load_2addr_b64 v[124:127], v7 offset0:91 offset1:92
	ds_load_2addr_b64 v[128:131], v7 offset0:93 offset1:94
	;; [unrolled: 1-line block ×6, first 2 shown]
	s_mov_b32 s0, exec_lo
	s_wait_dscnt 0x5
	v_dual_mov_b32 v150, v127 :: v_dual_mov_b32 v151, v126
	s_wait_dscnt 0x4
	v_dual_mov_b32 v152, v131 :: v_dual_mov_b32 v153, v130
	;; [unrolled: 2-line block ×4, first 2 shown]
	s_wait_loadcnt_dscnt 0x601
	v_dual_mul_f32 v7, v140, v101 :: v_dual_mul_f32 v9, v142, v103
	v_dual_mul_f32 v11, v141, v101 :: v_dual_mul_f32 v13, v143, v103
	s_wait_loadcnt 0x4
	s_delay_alu instid0(VALU_DEP_2)
	v_dual_mov_b32 v164, v111 :: v_dual_fmac_f32 v7, v141, v100
	s_wait_dscnt 0x0
	v_dual_mul_f32 v159, v144, v105 :: v_dual_mul_f32 v161, v146, v107
	v_dual_fma_f32 v11, v140, v100, -v11 :: v_dual_fmac_f32 v9, v143, v102
	v_dual_mul_f32 v15, v145, v105 :: v_dual_mul_f32 v17, v147, v107
	v_dual_fma_f32 v13, v142, v102, -v13 :: v_dual_add_f32 v7, 0, v7
	s_wait_loadcnt 0x3
	s_delay_alu instid0(VALU_DEP_3) | instskip(SKIP_3) | instid1(VALU_DEP_4)
	v_dual_add_f32 v11, 0, v11 :: v_dual_mov_b32 v102, v115
	v_pk_mul_f32 v[162:163], v[124:125], v[108:109] op_sel:[1,1] op_sel_hi:[0,1]
	v_pk_mul_f32 v[100:101], v[128:129], v[112:113] op_sel:[1,1] op_sel_hi:[0,1]
	v_dual_fmac_f32 v159, v145, v104 :: v_dual_add_f32 v105, v7, v9
	v_dual_fma_f32 v158, v144, v104, -v15 :: v_dual_add_f32 v104, v11, v13
	v_fmac_f32_e32 v161, v147, v106
	v_fma_f32 v160, v146, v106, -v17
	v_pk_fma_f32 v[106:107], v[124:125], v[108:109], v[162:163] op_sel_hi:[1,0,1]
	v_pk_mul_f32 v[140:141], v[150:151], v[164:165] op_sel_hi:[1,0]
	v_pk_add_f32 v[104:105], v[104:105], v[158:159]
	v_pk_fma_f32 v[108:109], v[124:125], v[108:109], v[162:163] neg_lo:[0,0,1] neg_hi:[0,0,1]
	v_pk_fma_f32 v[124:125], v[128:129], v[112:113], v[100:101] op_sel_hi:[1,0,1]
	v_pk_fma_f32 v[100:101], v[128:129], v[112:113], v[100:101] neg_lo:[0,0,1] neg_hi:[0,0,1]
	v_mov_b32_e32 v109, v107
	v_pk_fma_f32 v[106:107], v[126:127], v[110:111], v[140:141] op_sel_hi:[1,0,1]
	v_pk_fma_f32 v[110:111], v[126:127], v[110:111], v[140:141] neg_lo:[0,0,1] neg_hi:[0,0,1]
	v_mov_b32_e32 v101, v125
	v_pk_add_f32 v[104:105], v[104:105], v[160:161]
	v_pk_mul_f32 v[102:103], v[152:153], v[102:103] op_sel_hi:[1,0]
	s_wait_loadcnt 0x2
	v_dual_mov_b32 v111, v107 :: v_dual_mov_b32 v106, v119
	v_pk_mul_f32 v[142:143], v[132:133], v[116:117] op_sel:[1,1] op_sel_hi:[0,1]
	v_pk_add_f32 v[104:105], v[104:105], v[108:109]
	v_pk_fma_f32 v[108:109], v[130:131], v[114:115], v[102:103] op_sel_hi:[1,0,1]
	v_pk_fma_f32 v[102:103], v[130:131], v[114:115], v[102:103] neg_lo:[0,0,1] neg_hi:[0,0,1]
	v_pk_mul_f32 v[106:107], v[154:155], v[106:107] op_sel_hi:[1,0]
	s_delay_alu instid0(VALU_DEP_4) | instskip(SKIP_3) | instid1(VALU_DEP_4)
	v_pk_add_f32 v[104:105], v[104:105], v[110:111]
	v_pk_fma_f32 v[110:111], v[132:133], v[116:117], v[142:143] op_sel_hi:[1,0,1]
	v_mov_b32_e32 v103, v109
	v_pk_fma_f32 v[108:109], v[132:133], v[116:117], v[142:143] neg_lo:[0,0,1] neg_hi:[0,0,1]
	v_pk_add_f32 v[100:101], v[104:105], v[100:101]
	s_wait_loadcnt 0x1
	v_pk_mul_f32 v[104:105], v[136:137], v[120:121] op_sel:[1,1] op_sel_hi:[0,1]
	v_mov_b32_e32 v109, v111
	v_pk_fma_f32 v[110:111], v[134:135], v[118:119], v[106:107] op_sel_hi:[1,0,1]
	v_pk_fma_f32 v[106:107], v[134:135], v[118:119], v[106:107] neg_lo:[0,0,1] neg_hi:[0,0,1]
	v_pk_add_f32 v[100:101], v[100:101], v[102:103]
	v_mov_b32_e32 v102, v123
	v_pk_fma_f32 v[112:113], v[136:137], v[120:121], v[104:105] op_sel_hi:[1,0,1]
	v_mov_b32_e32 v107, v111
	v_pk_fma_f32 v[104:105], v[136:137], v[120:121], v[104:105] neg_lo:[0,0,1] neg_hi:[0,0,1]
	v_pk_add_f32 v[100:101], v[100:101], v[108:109]
	v_pk_mul_f32 v[102:103], v[156:157], v[102:103] op_sel_hi:[1,0]
	s_delay_alu instid0(VALU_DEP_2) | instskip(NEXT) | instid1(VALU_DEP_2)
	v_pk_add_f32 v[100:101], v[100:101], v[106:107]
	v_pk_fma_f32 v[106:107], v[138:139], v[122:123], v[102:103] op_sel_hi:[1,0,1]
	v_mov_b32_e32 v105, v113
	v_pk_fma_f32 v[102:103], v[138:139], v[122:123], v[102:103] neg_lo:[0,0,1] neg_hi:[0,0,1]
	s_delay_alu instid0(VALU_DEP_3) | instskip(NEXT) | instid1(VALU_DEP_3)
	v_mov_b32_e32 v103, v107
	v_pk_add_f32 v[100:101], v[100:101], v[104:105]
	s_delay_alu instid0(VALU_DEP_1) | instskip(SKIP_1) | instid1(VALU_DEP_1)
	v_pk_add_f32 v[100:101], v[100:101], v[102:103]
	s_wait_loadcnt 0x0
	v_pk_add_f32 v[100:101], v[148:149], v[100:101] neg_lo:[0,1] neg_hi:[0,1]
	scratch_store_b64 off, v[100:101], off offset:288
	s_wait_xcnt 0x0
	v_cmpx_lt_u32_e32 35, v0
	s_cbranch_execz .LBB112_237
; %bb.236:
	scratch_load_b64 v[100:101], off, off offset:280
	v_mov_b64_e32 v[102:103], 0
	scratch_store_b64 off, v[102:103], off offset:280
	s_wait_loadcnt 0x0
	ds_store_b64 v1, v[100:101]
.LBB112_237:
	s_wait_xcnt 0x0
	s_or_b32 exec_lo, exec_lo, s0
	s_wait_storecnt_dscnt 0x0
	s_barrier_signal -1
	s_barrier_wait -1
	s_clause 0x7
	scratch_load_b128 v[100:103], off, off offset:288
	scratch_load_b128 v[104:107], off, off offset:304
	;; [unrolled: 1-line block ×6, first 2 shown]
	scratch_load_b64 v[148:149], off, off offset:384
	scratch_load_b64 v[150:151], off, off offset:280
	v_mov_b32_e32 v7, 0
	ds_load_b128 v[124:127], v7 offset:720
	ds_load_b128 v[128:131], v7 offset:736
	;; [unrolled: 1-line block ×6, first 2 shown]
	ds_load_b64 v[152:153], v7 offset:784
	s_mov_b32 s0, exec_lo
	s_wait_dscnt 0x6
	v_dual_mov_b32 v154, v127 :: v_dual_mov_b32 v155, v126
	s_wait_dscnt 0x3
	v_dual_mov_b32 v156, v131 :: v_dual_mov_b32 v161, v138
	v_dual_mov_b32 v157, v130 :: v_dual_mov_b32 v158, v135
	;; [unrolled: 1-line block ×3, first 2 shown]
	s_wait_loadcnt_dscnt 0x702
	v_dual_mul_f32 v9, v140, v101 :: v_dual_mul_f32 v15, v141, v101
	v_dual_mul_f32 v17, v143, v103 :: v_dual_mul_f32 v11, v142, v103
	s_wait_loadcnt_dscnt 0x601
	s_delay_alu instid0(VALU_DEP_2) | instskip(NEXT) | instid1(VALU_DEP_3)
	v_dual_mul_f32 v13, v144, v105 :: v_dual_fmac_f32 v9, v141, v100
	v_dual_fma_f32 v15, v140, v100, -v15 :: v_dual_mul_f32 v19, v145, v105
	v_mul_f32_e32 v21, v147, v107
	s_wait_loadcnt 0x4
	v_dual_mov_b32 v100, v115 :: v_dual_fma_f32 v17, v142, v102, -v17
	v_dual_fmac_f32 v11, v143, v102 :: v_dual_add_f32 v9, 0, v9
	v_dual_add_f32 v15, 0, v15 :: v_dual_fmac_f32 v13, v145, v104
	v_dual_mul_f32 v163, v146, v107 :: v_dual_mul_f32 v165, v124, v109
	v_dual_mul_f32 v23, v125, v109 :: v_dual_mov_b32 v164, v111
	s_delay_alu instid0(VALU_DEP_4) | instskip(NEXT) | instid1(VALU_DEP_4)
	v_dual_fma_f32 v19, v144, v104, -v19 :: v_dual_add_f32 v9, v9, v11
	v_dual_add_f32 v11, v15, v17 :: v_dual_fma_f32 v162, v146, v106, -v21
	s_delay_alu instid0(VALU_DEP_4) | instskip(NEXT) | instid1(VALU_DEP_4)
	v_fmac_f32_e32 v163, v147, v106
	v_pk_mul_f32 v[104:105], v[154:155], v[164:165] op_sel_hi:[1,0]
	s_delay_alu instid0(VALU_DEP_3)
	v_dual_add_f32 v107, v9, v13 :: v_dual_add_f32 v106, v11, v19
	v_fmac_f32_e32 v165, v125, v108
	v_pk_mul_f32 v[166:167], v[128:129], v[112:113] op_sel:[1,1] op_sel_hi:[0,1]
	s_wait_loadcnt 0x3
	v_dual_mov_b32 v140, v119 :: v_dual_fma_f32 v164, v124, v108, -v23
	v_pk_fma_f32 v[108:109], v[126:127], v[110:111], v[104:105] op_sel_hi:[1,0,1]
	v_pk_add_f32 v[106:107], v[106:107], v[162:163]
	v_pk_fma_f32 v[104:105], v[126:127], v[110:111], v[104:105] neg_lo:[0,0,1] neg_hi:[0,0,1]
	v_pk_fma_f32 v[124:125], v[128:129], v[112:113], v[166:167] op_sel_hi:[1,0,1]
	v_pk_mul_f32 v[100:101], v[156:157], v[100:101] op_sel_hi:[1,0]
	v_mov_b32_e32 v105, v109
	v_pk_add_f32 v[106:107], v[106:107], v[164:165]
	v_pk_fma_f32 v[110:111], v[128:129], v[112:113], v[166:167] neg_lo:[0,0,1] neg_hi:[0,0,1]
	v_pk_mul_f32 v[102:103], v[132:133], v[116:117] op_sel:[1,1] op_sel_hi:[0,1]
	v_mov_b32_e32 v111, v125
	v_pk_fma_f32 v[112:113], v[130:131], v[114:115], v[100:101] op_sel_hi:[1,0,1]
	v_pk_add_f32 v[104:105], v[106:107], v[104:105]
	v_pk_fma_f32 v[100:101], v[130:131], v[114:115], v[100:101] neg_lo:[0,0,1] neg_hi:[0,0,1]
	v_pk_fma_f32 v[106:107], v[132:133], v[116:117], v[102:103] op_sel_hi:[1,0,1]
	v_pk_mul_f32 v[124:125], v[158:159], v[140:141] op_sel_hi:[1,0]
	s_wait_loadcnt 0x2
	v_dual_mov_b32 v101, v113 :: v_dual_mov_b32 v106, v123
	v_pk_add_f32 v[104:105], v[104:105], v[110:111]
	v_pk_fma_f32 v[102:103], v[132:133], v[116:117], v[102:103] neg_lo:[0,0,1] neg_hi:[0,0,1]
	v_pk_mul_f32 v[108:109], v[136:137], v[120:121] op_sel:[1,1] op_sel_hi:[0,1]
	v_pk_fma_f32 v[110:111], v[134:135], v[118:119], v[124:125] op_sel_hi:[1,0,1]
	v_mov_b32_e32 v103, v107
	v_pk_add_f32 v[100:101], v[104:105], v[100:101]
	v_pk_fma_f32 v[112:113], v[134:135], v[118:119], v[124:125] neg_lo:[0,0,1] neg_hi:[0,0,1]
	v_pk_fma_f32 v[104:105], v[136:137], v[120:121], v[108:109] op_sel_hi:[1,0,1]
	v_pk_mul_f32 v[106:107], v[160:161], v[106:107] op_sel_hi:[1,0]
	v_mov_b32_e32 v113, v111
	v_pk_add_f32 v[100:101], v[100:101], v[102:103]
	v_pk_fma_f32 v[102:103], v[136:137], v[120:121], v[108:109] neg_lo:[0,0,1] neg_hi:[0,0,1]
	v_mov_b32_e32 v103, v105
	v_pk_fma_f32 v[104:105], v[138:139], v[122:123], v[106:107] op_sel_hi:[1,0,1]
	s_wait_loadcnt_dscnt 0x100
	v_pk_mul_f32 v[108:109], v[152:153], v[148:149] op_sel:[1,1] op_sel_hi:[0,1]
	v_pk_add_f32 v[100:101], v[100:101], v[112:113]
	v_pk_fma_f32 v[106:107], v[138:139], v[122:123], v[106:107] neg_lo:[0,0,1] neg_hi:[0,0,1]
	v_mov_b32_e32 v107, v105
	s_delay_alu instid0(VALU_DEP_4) | instskip(NEXT) | instid1(VALU_DEP_4)
	v_pk_fma_f32 v[104:105], v[152:153], v[148:149], v[108:109] neg_lo:[0,0,1] neg_hi:[0,0,1]
	v_pk_add_f32 v[100:101], v[100:101], v[102:103]
	v_pk_fma_f32 v[102:103], v[152:153], v[148:149], v[108:109] op_sel_hi:[1,0,1]
	s_delay_alu instid0(VALU_DEP_2) | instskip(NEXT) | instid1(VALU_DEP_2)
	v_pk_add_f32 v[100:101], v[100:101], v[106:107]
	v_mov_b32_e32 v105, v103
	s_delay_alu instid0(VALU_DEP_1) | instskip(SKIP_1) | instid1(VALU_DEP_1)
	v_pk_add_f32 v[100:101], v[100:101], v[104:105]
	s_wait_loadcnt 0x0
	v_pk_add_f32 v[100:101], v[150:151], v[100:101] neg_lo:[0,1] neg_hi:[0,1]
	scratch_store_b64 off, v[100:101], off offset:280
	s_wait_xcnt 0x0
	v_cmpx_lt_u32_e32 34, v0
	s_cbranch_execz .LBB112_239
; %bb.238:
	scratch_load_b64 v[100:101], off, off offset:272
	v_mov_b64_e32 v[102:103], 0
	scratch_store_b64 off, v[102:103], off offset:272
	s_wait_loadcnt 0x0
	ds_store_b64 v1, v[100:101]
.LBB112_239:
	s_wait_xcnt 0x0
	s_or_b32 exec_lo, exec_lo, s0
	s_wait_storecnt_dscnt 0x0
	s_barrier_signal -1
	s_barrier_wait -1
	s_clause 0x7
	scratch_load_b128 v[100:103], off, off offset:280
	scratch_load_b128 v[104:107], off, off offset:296
	scratch_load_b128 v[108:111], off, off offset:312
	scratch_load_b128 v[112:115], off, off offset:328
	scratch_load_b128 v[116:119], off, off offset:344
	scratch_load_b128 v[120:123], off, off offset:360
	scratch_load_b128 v[124:127], off, off offset:376
	scratch_load_b64 v[156:157], off, off offset:272
	ds_load_2addr_b64 v[128:131], v7 offset0:91 offset1:92
	ds_load_2addr_b64 v[132:135], v7 offset0:93 offset1:94
	;; [unrolled: 1-line block ×7, first 2 shown]
	s_mov_b32 s0, exec_lo
	s_wait_dscnt 0x6
	v_dual_mov_b32 v158, v131 :: v_dual_mov_b32 v159, v130
	s_wait_dscnt 0x5
	v_dual_mov_b32 v160, v135 :: v_dual_mov_b32 v161, v134
	;; [unrolled: 2-line block ×4, first 2 shown]
	s_wait_loadcnt_dscnt 0x702
	v_dual_mul_f32 v7, v144, v101 :: v_dual_mul_f32 v9, v146, v103
	v_dual_mul_f32 v15, v145, v101 :: v_dual_mul_f32 v17, v147, v103
	s_wait_loadcnt_dscnt 0x601
	v_dual_mul_f32 v11, v148, v105 :: v_dual_mul_f32 v13, v150, v107
	s_delay_alu instid0(VALU_DEP_3) | instskip(NEXT) | instid1(VALU_DEP_3)
	v_dual_fmac_f32 v7, v145, v100 :: v_dual_fmac_f32 v9, v147, v102
	v_dual_fma_f32 v15, v144, v100, -v15 :: v_dual_fma_f32 v17, v146, v102, -v17
	v_dual_mul_f32 v19, v149, v105 :: v_dual_mul_f32 v21, v151, v107
	s_wait_loadcnt 0x4
	s_delay_alu instid0(VALU_DEP_3) | instskip(NEXT) | instid1(VALU_DEP_3)
	v_dual_add_f32 v7, 0, v7 :: v_dual_mov_b32 v102, v115
	v_dual_add_f32 v15, 0, v15 :: v_dual_fmac_f32 v11, v149, v104
	s_delay_alu instid0(VALU_DEP_2) | instskip(SKIP_2) | instid1(VALU_DEP_3)
	v_dual_fma_f32 v19, v148, v104, -v19 :: v_dual_add_f32 v7, v7, v9
	s_wait_dscnt 0x0
	v_dual_mul_f32 v167, v152, v109 :: v_dual_mul_f32 v169, v154, v111
	v_dual_add_f32 v9, v15, v17 :: v_dual_fma_f32 v15, v150, v106, -v21
	v_dual_mul_f32 v23, v153, v109 :: v_dual_mul_f32 v25, v155, v111
	s_delay_alu instid0(VALU_DEP_2) | instskip(NEXT) | instid1(VALU_DEP_4)
	v_dual_fmac_f32 v13, v151, v106 :: v_dual_add_f32 v9, v9, v19
	v_dual_add_f32 v7, v7, v11 :: v_dual_fmac_f32 v167, v153, v108
	v_pk_mul_f32 v[100:101], v[128:129], v[112:113] op_sel:[1,1] op_sel_hi:[0,1]
	s_wait_loadcnt 0x3
	v_pk_mul_f32 v[104:105], v[132:133], v[116:117] op_sel:[1,1] op_sel_hi:[0,1]
	v_dual_mov_b32 v106, v119 :: v_dual_fma_f32 v166, v152, v108, -v23
	v_dual_add_f32 v109, v7, v13 :: v_dual_add_f32 v108, v9, v15
	v_fmac_f32_e32 v169, v155, v110
	v_fma_f32 v168, v154, v110, -v25
	v_pk_fma_f32 v[110:111], v[128:129], v[112:113], v[100:101] op_sel_hi:[1,0,1]
	v_pk_mul_f32 v[102:103], v[158:159], v[102:103] op_sel_hi:[1,0]
	v_pk_add_f32 v[108:109], v[108:109], v[166:167]
	v_pk_fma_f32 v[100:101], v[128:129], v[112:113], v[100:101] neg_lo:[0,0,1] neg_hi:[0,0,1]
	v_pk_fma_f32 v[112:113], v[132:133], v[116:117], v[104:105] op_sel_hi:[1,0,1]
	v_pk_fma_f32 v[104:105], v[132:133], v[116:117], v[104:105] neg_lo:[0,0,1] neg_hi:[0,0,1]
	v_mov_b32_e32 v101, v111
	v_pk_fma_f32 v[110:111], v[130:131], v[114:115], v[102:103] op_sel_hi:[1,0,1]
	v_pk_fma_f32 v[102:103], v[130:131], v[114:115], v[102:103] neg_lo:[0,0,1] neg_hi:[0,0,1]
	v_mov_b32_e32 v105, v113
	v_pk_add_f32 v[108:109], v[108:109], v[168:169]
	v_pk_mul_f32 v[106:107], v[160:161], v[106:107] op_sel_hi:[1,0]
	v_mov_b32_e32 v103, v111
	s_wait_loadcnt 0x2
	v_pk_mul_f32 v[144:145], v[136:137], v[120:121] op_sel:[1,1] op_sel_hi:[0,1]
	v_pk_add_f32 v[100:101], v[108:109], v[100:101]
	v_mov_b32_e32 v108, v123
	v_pk_fma_f32 v[110:111], v[134:135], v[118:119], v[106:107] op_sel_hi:[1,0,1]
	v_pk_fma_f32 v[106:107], v[134:135], v[118:119], v[106:107] neg_lo:[0,0,1] neg_hi:[0,0,1]
	s_delay_alu instid0(VALU_DEP_4)
	v_pk_add_f32 v[100:101], v[100:101], v[102:103]
	v_pk_fma_f32 v[102:103], v[136:137], v[120:121], v[144:145] op_sel_hi:[1,0,1]
	v_pk_mul_f32 v[108:109], v[162:163], v[108:109] op_sel_hi:[1,0]
	v_mov_b32_e32 v107, v111
	v_pk_fma_f32 v[110:111], v[136:137], v[120:121], v[144:145] neg_lo:[0,0,1] neg_hi:[0,0,1]
	v_pk_add_f32 v[100:101], v[100:101], v[104:105]
	v_mov_b32_e32 v111, v103
	v_pk_fma_f32 v[102:103], v[138:139], v[122:123], v[108:109] op_sel_hi:[1,0,1]
	s_wait_loadcnt 0x1
	v_pk_mul_f32 v[104:105], v[140:141], v[124:125] op_sel:[1,1] op_sel_hi:[0,1]
	v_mov_b32_e32 v102, v127
	v_pk_add_f32 v[100:101], v[100:101], v[106:107]
	v_pk_fma_f32 v[108:109], v[138:139], v[122:123], v[108:109] neg_lo:[0,0,1] neg_hi:[0,0,1]
	v_mov_b32_e32 v109, v103
	v_pk_fma_f32 v[106:107], v[140:141], v[124:125], v[104:105] op_sel_hi:[1,0,1]
	v_pk_mul_f32 v[102:103], v[164:165], v[102:103] op_sel_hi:[1,0]
	v_pk_add_f32 v[100:101], v[100:101], v[110:111]
	v_pk_fma_f32 v[104:105], v[140:141], v[124:125], v[104:105] neg_lo:[0,0,1] neg_hi:[0,0,1]
	s_delay_alu instid0(VALU_DEP_4) | instskip(NEXT) | instid1(VALU_DEP_4)
	v_mov_b32_e32 v105, v107
	v_pk_fma_f32 v[106:107], v[142:143], v[126:127], v[102:103] op_sel_hi:[1,0,1]
	s_delay_alu instid0(VALU_DEP_4) | instskip(SKIP_1) | instid1(VALU_DEP_3)
	v_pk_add_f32 v[100:101], v[100:101], v[108:109]
	v_pk_fma_f32 v[102:103], v[142:143], v[126:127], v[102:103] neg_lo:[0,0,1] neg_hi:[0,0,1]
	v_mov_b32_e32 v103, v107
	s_delay_alu instid0(VALU_DEP_3) | instskip(NEXT) | instid1(VALU_DEP_1)
	v_pk_add_f32 v[100:101], v[100:101], v[104:105]
	v_pk_add_f32 v[100:101], v[100:101], v[102:103]
	s_wait_loadcnt 0x0
	s_delay_alu instid0(VALU_DEP_1)
	v_pk_add_f32 v[100:101], v[156:157], v[100:101] neg_lo:[0,1] neg_hi:[0,1]
	scratch_store_b64 off, v[100:101], off offset:272
	s_wait_xcnt 0x0
	v_cmpx_lt_u32_e32 33, v0
	s_cbranch_execz .LBB112_241
; %bb.240:
	scratch_load_b64 v[100:101], off, off offset:264
	v_mov_b64_e32 v[102:103], 0
	scratch_store_b64 off, v[102:103], off offset:264
	s_wait_loadcnt 0x0
	ds_store_b64 v1, v[100:101]
.LBB112_241:
	s_wait_xcnt 0x0
	s_or_b32 exec_lo, exec_lo, s0
	s_wait_storecnt_dscnt 0x0
	s_barrier_signal -1
	s_barrier_wait -1
	s_clause 0x8
	scratch_load_b128 v[100:103], off, off offset:272
	scratch_load_b128 v[104:107], off, off offset:288
	;; [unrolled: 1-line block ×7, first 2 shown]
	scratch_load_b64 v[156:157], off, off offset:384
	scratch_load_b64 v[158:159], off, off offset:264
	v_mov_b32_e32 v7, 0
	ds_load_b128 v[128:131], v7 offset:720
	ds_load_b128 v[132:135], v7 offset:736
	;; [unrolled: 1-line block ×7, first 2 shown]
	ds_load_b64 v[160:161], v7 offset:784
	s_mov_b32 s0, exec_lo
	s_wait_dscnt 0x7
	v_dual_mov_b32 v162, v131 :: v_dual_mov_b32 v163, v130
	s_wait_dscnt 0x4
	v_dual_mov_b32 v164, v135 :: v_dual_mov_b32 v169, v142
	v_dual_mov_b32 v165, v134 :: v_dual_mov_b32 v166, v139
	;; [unrolled: 1-line block ×3, first 2 shown]
	s_wait_loadcnt_dscnt 0x803
	v_dual_mul_f32 v9, v144, v101 :: v_dual_mul_f32 v19, v145, v101
	v_dual_mul_f32 v21, v147, v103 :: v_dual_mul_f32 v11, v146, v103
	s_wait_loadcnt_dscnt 0x702
	v_mul_f32_e32 v13, v148, v105
	s_wait_loadcnt 0x5
	v_dual_mul_f32 v31, v129, v113 :: v_dual_fma_f32 v19, v144, v100, -v19
	v_dual_fmac_f32 v9, v145, v100 :: v_dual_mov_b32 v100, v115
	v_dual_mul_f32 v23, v149, v105 :: v_dual_mul_f32 v25, v151, v107
	v_dual_fmac_f32 v11, v147, v102 :: v_dual_fma_f32 v21, v146, v102, -v21
	s_delay_alu instid0(VALU_DEP_3) | instskip(SKIP_3) | instid1(VALU_DEP_3)
	v_dual_add_f32 v9, 0, v9 :: v_dual_add_f32 v19, 0, v19
	s_wait_dscnt 0x1
	v_dual_mul_f32 v15, v150, v107 :: v_dual_mul_f32 v17, v152, v109
	v_dual_fmac_f32 v13, v149, v104 :: v_dual_fma_f32 v23, v148, v104, -v23
	v_dual_add_f32 v9, v9, v11 :: v_dual_add_f32 v11, v19, v21
	v_dual_mul_f32 v27, v153, v109 :: v_dual_mul_f32 v29, v155, v111
	s_wait_loadcnt 0x4
	v_dual_mov_b32 v104, v119 :: v_dual_fma_f32 v19, v150, v106, -v25
	s_delay_alu instid0(VALU_DEP_3) | instskip(SKIP_2) | instid1(VALU_DEP_3)
	v_dual_fmac_f32 v15, v151, v106 :: v_dual_add_f32 v9, v9, v13
	v_dual_add_f32 v11, v11, v23 :: v_dual_fmac_f32 v17, v153, v108
	v_dual_mul_f32 v171, v154, v111 :: v_dual_mul_f32 v173, v128, v113
	v_dual_fma_f32 v13, v152, v108, -v27 :: v_dual_add_f32 v9, v9, v15
	s_delay_alu instid0(VALU_DEP_3) | instskip(NEXT) | instid1(VALU_DEP_3)
	v_dual_add_f32 v11, v11, v19 :: v_dual_fma_f32 v170, v154, v110, -v29
	v_fmac_f32_e32 v171, v155, v110
	v_pk_mul_f32 v[100:101], v[162:163], v[100:101] op_sel_hi:[1,0]
	s_delay_alu instid0(VALU_DEP_4) | instskip(NEXT) | instid1(VALU_DEP_4)
	v_add_f32_e32 v109, v9, v17
	v_dual_add_f32 v108, v11, v13 :: v_dual_fmac_f32 v173, v129, v112
	v_pk_mul_f32 v[102:103], v[132:133], v[116:117] op_sel:[1,1] op_sel_hi:[0,1]
	s_wait_loadcnt 0x3
	v_dual_mov_b32 v110, v123 :: v_dual_fma_f32 v172, v128, v112, -v31
	v_pk_fma_f32 v[112:113], v[130:131], v[114:115], v[100:101] op_sel_hi:[1,0,1]
	v_pk_add_f32 v[108:109], v[108:109], v[170:171]
	v_pk_fma_f32 v[100:101], v[130:131], v[114:115], v[100:101] neg_lo:[0,0,1] neg_hi:[0,0,1]
	v_pk_fma_f32 v[128:129], v[132:133], v[116:117], v[102:103] op_sel_hi:[1,0,1]
	v_pk_mul_f32 v[104:105], v[164:165], v[104:105] op_sel_hi:[1,0]
	v_mov_b32_e32 v101, v113
	v_pk_add_f32 v[108:109], v[108:109], v[172:173]
	v_pk_fma_f32 v[102:103], v[132:133], v[116:117], v[102:103] neg_lo:[0,0,1] neg_hi:[0,0,1]
	v_pk_mul_f32 v[106:107], v[136:137], v[120:121] op_sel:[1,1] op_sel_hi:[0,1]
	v_mov_b32_e32 v103, v129
	v_pk_fma_f32 v[114:115], v[134:135], v[118:119], v[104:105] op_sel_hi:[1,0,1]
	v_pk_add_f32 v[100:101], v[108:109], v[100:101]
	v_pk_fma_f32 v[104:105], v[134:135], v[118:119], v[104:105] neg_lo:[0,0,1] neg_hi:[0,0,1]
	v_pk_fma_f32 v[108:109], v[136:137], v[120:121], v[106:107] op_sel_hi:[1,0,1]
	v_pk_mul_f32 v[110:111], v[166:167], v[110:111] op_sel_hi:[1,0]
	v_mov_b32_e32 v105, v115
	v_pk_add_f32 v[100:101], v[100:101], v[102:103]
	v_pk_fma_f32 v[106:107], v[136:137], v[120:121], v[106:107] neg_lo:[0,0,1] neg_hi:[0,0,1]
	s_wait_loadcnt 0x2
	v_pk_mul_f32 v[112:113], v[140:141], v[124:125] op_sel:[1,1] op_sel_hi:[0,1]
	v_dual_mov_b32 v102, v127 :: v_dual_mov_b32 v107, v109
	v_pk_fma_f32 v[108:109], v[138:139], v[122:123], v[110:111] op_sel_hi:[1,0,1]
	v_pk_add_f32 v[100:101], v[100:101], v[104:105]
	v_pk_fma_f32 v[110:111], v[138:139], v[122:123], v[110:111] neg_lo:[0,0,1] neg_hi:[0,0,1]
	v_pk_fma_f32 v[104:105], v[140:141], v[124:125], v[112:113] op_sel_hi:[1,0,1]
	v_pk_mul_f32 v[102:103], v[168:169], v[102:103] op_sel_hi:[1,0]
	v_mov_b32_e32 v111, v109
	v_pk_add_f32 v[100:101], v[100:101], v[106:107]
	v_pk_fma_f32 v[106:107], v[140:141], v[124:125], v[112:113] neg_lo:[0,0,1] neg_hi:[0,0,1]
	v_mov_b32_e32 v107, v105
	v_pk_fma_f32 v[104:105], v[142:143], v[126:127], v[102:103] op_sel_hi:[1,0,1]
	s_wait_loadcnt_dscnt 0x100
	v_pk_mul_f32 v[108:109], v[160:161], v[156:157] op_sel:[1,1] op_sel_hi:[0,1]
	v_pk_add_f32 v[100:101], v[100:101], v[110:111]
	v_pk_fma_f32 v[102:103], v[142:143], v[126:127], v[102:103] neg_lo:[0,0,1] neg_hi:[0,0,1]
	v_mov_b32_e32 v103, v105
	s_delay_alu instid0(VALU_DEP_4) | instskip(NEXT) | instid1(VALU_DEP_4)
	v_pk_fma_f32 v[104:105], v[160:161], v[156:157], v[108:109] op_sel_hi:[1,0,1]
	v_pk_add_f32 v[100:101], v[100:101], v[106:107]
	v_pk_fma_f32 v[106:107], v[160:161], v[156:157], v[108:109] neg_lo:[0,0,1] neg_hi:[0,0,1]
	s_delay_alu instid0(VALU_DEP_3) | instskip(NEXT) | instid1(VALU_DEP_3)
	v_mov_b32_e32 v107, v105
	v_pk_add_f32 v[100:101], v[100:101], v[102:103]
	s_delay_alu instid0(VALU_DEP_1) | instskip(SKIP_1) | instid1(VALU_DEP_1)
	v_pk_add_f32 v[100:101], v[100:101], v[106:107]
	s_wait_loadcnt 0x0
	v_pk_add_f32 v[100:101], v[158:159], v[100:101] neg_lo:[0,1] neg_hi:[0,1]
	scratch_store_b64 off, v[100:101], off offset:264
	s_wait_xcnt 0x0
	v_cmpx_lt_u32_e32 32, v0
	s_cbranch_execz .LBB112_243
; %bb.242:
	scratch_load_b64 v[100:101], off, off offset:256
	v_mov_b64_e32 v[102:103], 0
	scratch_store_b64 off, v[102:103], off offset:256
	s_wait_loadcnt 0x0
	ds_store_b64 v1, v[100:101]
.LBB112_243:
	s_wait_xcnt 0x0
	s_or_b32 exec_lo, exec_lo, s0
	s_wait_storecnt_dscnt 0x0
	s_barrier_signal -1
	s_barrier_wait -1
	s_clause 0x8
	scratch_load_b128 v[100:103], off, off offset:264
	scratch_load_b128 v[104:107], off, off offset:280
	scratch_load_b128 v[108:111], off, off offset:296
	scratch_load_b128 v[112:115], off, off offset:312
	scratch_load_b128 v[116:119], off, off offset:328
	scratch_load_b128 v[120:123], off, off offset:344
	scratch_load_b128 v[124:127], off, off offset:360
	scratch_load_b128 v[128:131], off, off offset:376
	scratch_load_b64 v[164:165], off, off offset:256
	ds_load_2addr_b64 v[132:135], v7 offset0:91 offset1:92
	ds_load_2addr_b64 v[136:139], v7 offset0:93 offset1:94
	;; [unrolled: 1-line block ×8, first 2 shown]
	s_mov_b32 s0, exec_lo
	s_wait_dscnt 0x7
	v_dual_mov_b32 v166, v135 :: v_dual_mov_b32 v167, v134
	s_wait_dscnt 0x6
	v_dual_mov_b32 v168, v139 :: v_dual_mov_b32 v169, v138
	;; [unrolled: 2-line block ×4, first 2 shown]
	s_wait_loadcnt_dscnt 0x803
	v_dual_mul_f32 v7, v148, v101 :: v_dual_mul_f32 v9, v150, v103
	v_dual_mul_f32 v19, v149, v101 :: v_dual_mul_f32 v21, v151, v103
	s_wait_loadcnt_dscnt 0x702
	v_dual_mul_f32 v11, v152, v105 :: v_dual_mul_f32 v13, v154, v107
	s_delay_alu instid0(VALU_DEP_3) | instskip(SKIP_3) | instid1(VALU_DEP_3)
	v_dual_fmac_f32 v7, v149, v100 :: v_dual_fmac_f32 v9, v151, v102
	s_wait_loadcnt_dscnt 0x500
	v_dual_fma_f32 v19, v148, v100, -v19 :: v_dual_mul_f32 v31, v161, v113
	v_dual_mul_f32 v23, v153, v105 :: v_dual_mul_f32 v25, v155, v107
	v_dual_fma_f32 v21, v150, v102, -v21 :: v_dual_add_f32 v7, 0, v7
	s_delay_alu instid0(VALU_DEP_3) | instskip(SKIP_1) | instid1(VALU_DEP_4)
	v_dual_add_f32 v19, 0, v19 :: v_dual_fmac_f32 v11, v153, v104
	v_dual_mul_f32 v15, v156, v109 :: v_dual_mul_f32 v17, v158, v111
	v_dual_mul_f32 v33, v163, v115 :: v_dual_fma_f32 v23, v152, v104, -v23
	s_delay_alu instid0(VALU_DEP_4) | instskip(NEXT) | instid1(VALU_DEP_3)
	v_add_f32_e32 v7, v7, v9
	v_dual_add_f32 v9, v19, v21 :: v_dual_fmac_f32 v15, v157, v108
	v_dual_mul_f32 v27, v157, v109 :: v_dual_mul_f32 v29, v159, v111
	s_delay_alu instid0(VALU_DEP_2) | instskip(NEXT) | instid1(VALU_DEP_4)
	v_dual_fmac_f32 v13, v155, v106 :: v_dual_add_f32 v9, v9, v23
	v_dual_fma_f32 v19, v154, v106, -v25 :: v_dual_add_f32 v7, v7, v11
	s_wait_loadcnt 0x4
	s_delay_alu instid0(VALU_DEP_3) | instskip(SKIP_1) | instid1(VALU_DEP_3)
	v_dual_fma_f32 v11, v156, v108, -v27 :: v_dual_mov_b32 v102, v119
	v_dual_mul_f32 v175, v160, v113 :: v_dual_mul_f32 v177, v162, v115
	v_dual_add_f32 v7, v7, v13 :: v_dual_fma_f32 v13, v158, v110, -v29
	v_dual_add_f32 v9, v9, v19 :: v_dual_fmac_f32 v17, v159, v110
	v_pk_mul_f32 v[100:101], v[132:133], v[116:117] op_sel:[1,1] op_sel_hi:[0,1]
	s_delay_alu instid0(VALU_DEP_3) | instskip(SKIP_1) | instid1(VALU_DEP_3)
	v_dual_add_f32 v7, v7, v15 :: v_dual_fmac_f32 v175, v161, v112
	s_wait_loadcnt 0x3
	v_dual_add_f32 v9, v9, v11 :: v_dual_mov_b32 v106, v123
	s_delay_alu instid0(VALU_DEP_2) | instskip(NEXT) | instid1(VALU_DEP_2)
	v_dual_fma_f32 v174, v160, v112, -v31 :: v_dual_add_f32 v109, v7, v17
	v_dual_fma_f32 v176, v162, v114, -v33 :: v_dual_add_f32 v108, v9, v13
	v_fmac_f32_e32 v177, v163, v114
	v_pk_fma_f32 v[110:111], v[132:133], v[116:117], v[100:101] op_sel_hi:[1,0,1]
	v_pk_mul_f32 v[102:103], v[166:167], v[102:103] op_sel_hi:[1,0]
	v_pk_fma_f32 v[100:101], v[132:133], v[116:117], v[100:101] neg_lo:[0,0,1] neg_hi:[0,0,1]
	v_pk_add_f32 v[108:109], v[108:109], v[174:175]
	v_pk_mul_f32 v[104:105], v[136:137], v[120:121] op_sel:[1,1] op_sel_hi:[0,1]
	v_mov_b32_e32 v101, v111
	v_pk_fma_f32 v[110:111], v[134:135], v[118:119], v[102:103] op_sel_hi:[1,0,1]
	v_pk_fma_f32 v[102:103], v[134:135], v[118:119], v[102:103] neg_lo:[0,0,1] neg_hi:[0,0,1]
	v_pk_add_f32 v[108:109], v[108:109], v[176:177]
	v_pk_fma_f32 v[114:115], v[136:137], v[120:121], v[104:105] op_sel_hi:[1,0,1]
	v_pk_mul_f32 v[106:107], v[168:169], v[106:107] op_sel_hi:[1,0]
	v_mov_b32_e32 v103, v111
	s_wait_loadcnt 0x2
	v_pk_mul_f32 v[112:113], v[140:141], v[124:125] op_sel:[1,1] op_sel_hi:[0,1]
	v_pk_add_f32 v[100:101], v[108:109], v[100:101]
	v_mov_b32_e32 v108, v127
	v_pk_fma_f32 v[104:105], v[136:137], v[120:121], v[104:105] neg_lo:[0,0,1] neg_hi:[0,0,1]
	v_mov_b32_e32 v105, v115
	v_pk_fma_f32 v[110:111], v[138:139], v[122:123], v[106:107] op_sel_hi:[1,0,1]
	v_pk_add_f32 v[100:101], v[100:101], v[102:103]
	v_pk_fma_f32 v[102:103], v[140:141], v[124:125], v[112:113] op_sel_hi:[1,0,1]
	v_pk_mul_f32 v[108:109], v[170:171], v[108:109] op_sel_hi:[1,0]
	v_pk_fma_f32 v[106:107], v[138:139], v[122:123], v[106:107] neg_lo:[0,0,1] neg_hi:[0,0,1]
	v_mov_b32_e32 v107, v111
	v_pk_add_f32 v[100:101], v[100:101], v[104:105]
	v_pk_fma_f32 v[110:111], v[140:141], v[124:125], v[112:113] neg_lo:[0,0,1] neg_hi:[0,0,1]
	v_mov_b32_e32 v111, v103
	v_pk_fma_f32 v[102:103], v[142:143], v[126:127], v[108:109] op_sel_hi:[1,0,1]
	s_wait_loadcnt 0x1
	v_pk_mul_f32 v[104:105], v[144:145], v[128:129] op_sel:[1,1] op_sel_hi:[0,1]
	v_pk_add_f32 v[100:101], v[100:101], v[106:107]
	v_mov_b32_e32 v102, v131
	v_pk_fma_f32 v[108:109], v[142:143], v[126:127], v[108:109] neg_lo:[0,0,1] neg_hi:[0,0,1]
	v_mov_b32_e32 v109, v103
	v_pk_fma_f32 v[106:107], v[144:145], v[128:129], v[104:105] op_sel_hi:[1,0,1]
	v_pk_add_f32 v[100:101], v[100:101], v[110:111]
	v_pk_mul_f32 v[102:103], v[172:173], v[102:103] op_sel_hi:[1,0]
	v_pk_fma_f32 v[104:105], v[144:145], v[128:129], v[104:105] neg_lo:[0,0,1] neg_hi:[0,0,1]
	s_delay_alu instid0(VALU_DEP_4) | instskip(NEXT) | instid1(VALU_DEP_4)
	v_mov_b32_e32 v105, v107
	v_pk_add_f32 v[100:101], v[100:101], v[108:109]
	s_delay_alu instid0(VALU_DEP_4) | instskip(SKIP_1) | instid1(VALU_DEP_2)
	v_pk_fma_f32 v[106:107], v[146:147], v[130:131], v[102:103] op_sel_hi:[1,0,1]
	v_pk_fma_f32 v[102:103], v[146:147], v[130:131], v[102:103] neg_lo:[0,0,1] neg_hi:[0,0,1]
	v_mov_b32_e32 v103, v107
	s_delay_alu instid0(VALU_DEP_4) | instskip(NEXT) | instid1(VALU_DEP_1)
	v_pk_add_f32 v[100:101], v[100:101], v[104:105]
	v_pk_add_f32 v[100:101], v[100:101], v[102:103]
	s_wait_loadcnt 0x0
	s_delay_alu instid0(VALU_DEP_1)
	v_pk_add_f32 v[100:101], v[164:165], v[100:101] neg_lo:[0,1] neg_hi:[0,1]
	scratch_store_b64 off, v[100:101], off offset:256
	s_wait_xcnt 0x0
	v_cmpx_lt_u32_e32 31, v0
	s_cbranch_execz .LBB112_245
; %bb.244:
	scratch_load_b64 v[100:101], off, off offset:248
	v_mov_b64_e32 v[102:103], 0
	scratch_store_b64 off, v[102:103], off offset:248
	s_wait_loadcnt 0x0
	ds_store_b64 v1, v[100:101]
.LBB112_245:
	s_wait_xcnt 0x0
	s_or_b32 exec_lo, exec_lo, s0
	s_wait_storecnt_dscnt 0x0
	s_barrier_signal -1
	s_barrier_wait -1
	s_clause 0x9
	scratch_load_b128 v[100:103], off, off offset:256
	scratch_load_b128 v[104:107], off, off offset:272
	;; [unrolled: 1-line block ×8, first 2 shown]
	scratch_load_b64 v[164:165], off, off offset:384
	scratch_load_b64 v[166:167], off, off offset:248
	v_mov_b32_e32 v7, 0
	ds_load_b128 v[132:135], v7 offset:720
	ds_load_b128 v[136:139], v7 offset:736
	;; [unrolled: 1-line block ×8, first 2 shown]
	ds_load_b64 v[168:169], v7 offset:784
	s_mov_b32 s0, exec_lo
	s_wait_dscnt 0x8
	v_dual_mov_b32 v170, v135 :: v_dual_mov_b32 v171, v134
	s_wait_dscnt 0x5
	v_dual_mov_b32 v172, v139 :: v_dual_mov_b32 v177, v146
	v_dual_mov_b32 v173, v138 :: v_dual_mov_b32 v174, v143
	;; [unrolled: 1-line block ×3, first 2 shown]
	s_wait_loadcnt_dscnt 0x904
	v_dual_mul_f32 v9, v148, v101 :: v_dual_mul_f32 v23, v149, v101
	v_dual_mul_f32 v25, v151, v103 :: v_dual_mul_f32 v11, v150, v103
	s_wait_loadcnt_dscnt 0x803
	v_mul_f32_e32 v13, v152, v105
	s_wait_loadcnt_dscnt 0x601
	v_dual_mul_f32 v35, v161, v113 :: v_dual_fma_f32 v23, v148, v100, -v23
	v_dual_fmac_f32 v9, v149, v100 :: v_dual_mul_f32 v37, v163, v115
	v_dual_mul_f32 v27, v153, v105 :: v_dual_mul_f32 v29, v155, v107
	v_dual_fmac_f32 v11, v151, v102 :: v_dual_fma_f32 v25, v150, v102, -v25
	s_delay_alu instid0(VALU_DEP_3)
	v_dual_add_f32 v9, 0, v9 :: v_dual_add_f32 v23, 0, v23
	v_dual_mul_f32 v15, v154, v107 :: v_dual_mul_f32 v17, v156, v109
	s_wait_loadcnt 0x5
	v_dual_mul_f32 v39, v133, v117 :: v_dual_fma_f32 v27, v152, v104, -v27
	v_fmac_f32_e32 v13, v153, v104
	v_dual_add_f32 v9, v9, v11 :: v_dual_mov_b32 v100, v119
	v_add_f32_e32 v11, v23, v25
	v_dual_mul_f32 v31, v157, v109 :: v_dual_mul_f32 v33, v159, v111
	v_dual_fmac_f32 v15, v155, v106 :: v_dual_fma_f32 v23, v154, v106, -v29
	s_delay_alu instid0(VALU_DEP_3) | instskip(SKIP_1) | instid1(VALU_DEP_4)
	v_dual_add_f32 v9, v9, v13 :: v_dual_add_f32 v11, v11, v27
	v_dual_mul_f32 v19, v158, v111 :: v_dual_mul_f32 v21, v160, v113
	v_dual_fmac_f32 v17, v157, v108 :: v_dual_fma_f32 v13, v156, v108, -v31
	s_wait_loadcnt 0x4
	s_delay_alu instid0(VALU_DEP_3) | instskip(SKIP_1) | instid1(VALU_DEP_2)
	v_dual_add_f32 v9, v9, v15 :: v_dual_mov_b32 v104, v123
	v_dual_add_f32 v11, v11, v23 :: v_dual_fma_f32 v15, v158, v110, -v33
	v_dual_fmac_f32 v19, v159, v110 :: v_dual_add_f32 v9, v9, v17
	v_dual_mul_f32 v179, v162, v115 :: v_dual_mul_f32 v181, v132, v117
	s_delay_alu instid0(VALU_DEP_3) | instskip(NEXT) | instid1(VALU_DEP_3)
	v_dual_add_f32 v11, v11, v13 :: v_dual_fmac_f32 v21, v161, v112
	v_dual_fma_f32 v13, v160, v112, -v35 :: v_dual_add_f32 v9, v9, v19
	s_delay_alu instid0(VALU_DEP_3) | instskip(NEXT) | instid1(VALU_DEP_3)
	v_fmac_f32_e32 v179, v163, v114
	v_dual_add_f32 v11, v11, v15 :: v_dual_fma_f32 v178, v162, v114, -v37
	v_pk_mul_f32 v[100:101], v[170:171], v[100:101] op_sel_hi:[1,0]
	s_delay_alu instid0(VALU_DEP_4) | instskip(SKIP_1) | instid1(VALU_DEP_4)
	v_add_f32_e32 v109, v9, v21
	v_pk_mul_f32 v[102:103], v[136:137], v[120:121] op_sel:[1,1] op_sel_hi:[0,1]
	v_dual_add_f32 v108, v11, v13 :: v_dual_fmac_f32 v181, v133, v116
	s_wait_loadcnt 0x3
	v_dual_mov_b32 v110, v127 :: v_dual_fma_f32 v180, v132, v116, -v39
	v_pk_fma_f32 v[112:113], v[134:135], v[118:119], v[100:101] op_sel_hi:[1,0,1]
	s_delay_alu instid0(VALU_DEP_3)
	v_pk_add_f32 v[108:109], v[108:109], v[178:179]
	v_pk_fma_f32 v[100:101], v[134:135], v[118:119], v[100:101] neg_lo:[0,0,1] neg_hi:[0,0,1]
	v_pk_fma_f32 v[114:115], v[136:137], v[120:121], v[102:103] op_sel_hi:[1,0,1]
	v_pk_mul_f32 v[104:105], v[172:173], v[104:105] op_sel_hi:[1,0]
	v_mov_b32_e32 v101, v113
	v_pk_add_f32 v[108:109], v[108:109], v[180:181]
	v_pk_fma_f32 v[102:103], v[136:137], v[120:121], v[102:103] neg_lo:[0,0,1] neg_hi:[0,0,1]
	v_pk_mul_f32 v[106:107], v[140:141], v[124:125] op_sel:[1,1] op_sel_hi:[0,1]
	v_mov_b32_e32 v103, v115
	v_pk_fma_f32 v[114:115], v[138:139], v[122:123], v[104:105] op_sel_hi:[1,0,1]
	v_pk_add_f32 v[100:101], v[108:109], v[100:101]
	v_pk_fma_f32 v[104:105], v[138:139], v[122:123], v[104:105] neg_lo:[0,0,1] neg_hi:[0,0,1]
	v_pk_fma_f32 v[108:109], v[140:141], v[124:125], v[106:107] op_sel_hi:[1,0,1]
	v_pk_mul_f32 v[110:111], v[174:175], v[110:111] op_sel_hi:[1,0]
	v_mov_b32_e32 v105, v115
	v_pk_add_f32 v[100:101], v[100:101], v[102:103]
	v_pk_fma_f32 v[106:107], v[140:141], v[124:125], v[106:107] neg_lo:[0,0,1] neg_hi:[0,0,1]
	s_wait_loadcnt 0x2
	v_pk_mul_f32 v[112:113], v[144:145], v[128:129] op_sel:[1,1] op_sel_hi:[0,1]
	v_dual_mov_b32 v102, v131 :: v_dual_mov_b32 v107, v109
	v_pk_fma_f32 v[108:109], v[142:143], v[126:127], v[110:111] op_sel_hi:[1,0,1]
	v_pk_add_f32 v[100:101], v[100:101], v[104:105]
	v_pk_fma_f32 v[110:111], v[142:143], v[126:127], v[110:111] neg_lo:[0,0,1] neg_hi:[0,0,1]
	v_pk_fma_f32 v[104:105], v[144:145], v[128:129], v[112:113] op_sel_hi:[1,0,1]
	v_pk_mul_f32 v[102:103], v[176:177], v[102:103] op_sel_hi:[1,0]
	v_mov_b32_e32 v111, v109
	v_pk_add_f32 v[100:101], v[100:101], v[106:107]
	v_pk_fma_f32 v[106:107], v[144:145], v[128:129], v[112:113] neg_lo:[0,0,1] neg_hi:[0,0,1]
	v_mov_b32_e32 v107, v105
	v_pk_fma_f32 v[104:105], v[146:147], v[130:131], v[102:103] op_sel_hi:[1,0,1]
	s_wait_loadcnt_dscnt 0x100
	v_pk_mul_f32 v[108:109], v[168:169], v[164:165] op_sel:[1,1] op_sel_hi:[0,1]
	v_pk_add_f32 v[100:101], v[100:101], v[110:111]
	v_pk_fma_f32 v[102:103], v[146:147], v[130:131], v[102:103] neg_lo:[0,0,1] neg_hi:[0,0,1]
	v_mov_b32_e32 v103, v105
	s_delay_alu instid0(VALU_DEP_4) | instskip(NEXT) | instid1(VALU_DEP_4)
	v_pk_fma_f32 v[104:105], v[168:169], v[164:165], v[108:109] op_sel_hi:[1,0,1]
	v_pk_add_f32 v[100:101], v[100:101], v[106:107]
	v_pk_fma_f32 v[106:107], v[168:169], v[164:165], v[108:109] neg_lo:[0,0,1] neg_hi:[0,0,1]
	s_delay_alu instid0(VALU_DEP_3) | instskip(NEXT) | instid1(VALU_DEP_3)
	v_mov_b32_e32 v107, v105
	v_pk_add_f32 v[100:101], v[100:101], v[102:103]
	s_delay_alu instid0(VALU_DEP_1) | instskip(SKIP_1) | instid1(VALU_DEP_1)
	v_pk_add_f32 v[100:101], v[100:101], v[106:107]
	s_wait_loadcnt 0x0
	v_pk_add_f32 v[100:101], v[166:167], v[100:101] neg_lo:[0,1] neg_hi:[0,1]
	scratch_store_b64 off, v[100:101], off offset:248
	s_wait_xcnt 0x0
	v_cmpx_lt_u32_e32 30, v0
	s_cbranch_execz .LBB112_247
; %bb.246:
	scratch_load_b64 v[100:101], off, off offset:240
	v_mov_b64_e32 v[102:103], 0
	scratch_store_b64 off, v[102:103], off offset:240
	s_wait_loadcnt 0x0
	ds_store_b64 v1, v[100:101]
.LBB112_247:
	s_wait_xcnt 0x0
	s_or_b32 exec_lo, exec_lo, s0
	s_wait_storecnt_dscnt 0x0
	s_barrier_signal -1
	s_barrier_wait -1
	s_clause 0x9
	scratch_load_b128 v[100:103], off, off offset:248
	scratch_load_b128 v[104:107], off, off offset:264
	scratch_load_b128 v[108:111], off, off offset:280
	scratch_load_b128 v[112:115], off, off offset:296
	scratch_load_b128 v[116:119], off, off offset:312
	scratch_load_b128 v[120:123], off, off offset:328
	scratch_load_b128 v[124:127], off, off offset:344
	scratch_load_b128 v[128:131], off, off offset:360
	scratch_load_b128 v[132:135], off, off offset:376
	scratch_load_b64 v[172:173], off, off offset:240
	ds_load_2addr_b64 v[136:139], v7 offset0:91 offset1:92
	ds_load_2addr_b64 v[140:143], v7 offset0:93 offset1:94
	;; [unrolled: 1-line block ×9, first 2 shown]
	s_mov_b32 s0, exec_lo
	s_wait_dscnt 0x8
	v_dual_mov_b32 v174, v139 :: v_dual_mov_b32 v175, v138
	s_wait_dscnt 0x7
	v_dual_mov_b32 v176, v143 :: v_dual_mov_b32 v177, v142
	;; [unrolled: 2-line block ×4, first 2 shown]
	s_wait_loadcnt_dscnt 0x904
	v_dual_mul_f32 v7, v152, v101 :: v_dual_mul_f32 v9, v154, v103
	v_dual_mul_f32 v23, v153, v101 :: v_dual_mul_f32 v25, v155, v103
	s_wait_loadcnt_dscnt 0x803
	v_dual_mul_f32 v11, v156, v105 :: v_dual_mul_f32 v13, v158, v107
	s_delay_alu instid0(VALU_DEP_3) | instskip(SKIP_3) | instid1(VALU_DEP_3)
	v_dual_fmac_f32 v7, v153, v100 :: v_dual_fmac_f32 v9, v155, v102
	s_wait_loadcnt_dscnt 0x601
	v_dual_fma_f32 v23, v152, v100, -v23 :: v_dual_mul_f32 v35, v165, v113
	v_dual_mul_f32 v27, v157, v105 :: v_dual_mul_f32 v29, v159, v107
	v_dual_fma_f32 v25, v154, v102, -v25 :: v_dual_add_f32 v7, 0, v7
	s_delay_alu instid0(VALU_DEP_3) | instskip(SKIP_1) | instid1(VALU_DEP_4)
	v_dual_add_f32 v23, 0, v23 :: v_dual_fmac_f32 v11, v157, v104
	v_dual_mul_f32 v15, v160, v109 :: v_dual_mul_f32 v17, v162, v111
	v_dual_mul_f32 v37, v167, v115 :: v_dual_fma_f32 v27, v156, v104, -v27
	s_delay_alu instid0(VALU_DEP_4) | instskip(NEXT) | instid1(VALU_DEP_3)
	v_add_f32_e32 v7, v7, v9
	v_dual_add_f32 v9, v23, v25 :: v_dual_fmac_f32 v15, v161, v108
	v_dual_mul_f32 v31, v161, v109 :: v_dual_mul_f32 v33, v163, v111
	s_wait_loadcnt_dscnt 0x500
	v_dual_mul_f32 v23, v169, v117 :: v_dual_fmac_f32 v13, v159, v106
	v_dual_fma_f32 v25, v158, v106, -v29 :: v_dual_add_f32 v7, v7, v11
	s_delay_alu instid0(VALU_DEP_3) | instskip(SKIP_1) | instid1(VALU_DEP_3)
	v_dual_add_f32 v9, v9, v27 :: v_dual_fma_f32 v27, v160, v108, -v31
	v_dual_mul_f32 v19, v164, v113 :: v_dual_mul_f32 v21, v166, v115
	v_add_f32_e32 v7, v7, v13
	s_delay_alu instid0(VALU_DEP_3) | instskip(SKIP_1) | instid1(VALU_DEP_3)
	v_dual_mul_f32 v11, v171, v119 :: v_dual_add_f32 v9, v9, v25
	v_fmac_f32_e32 v17, v163, v110
	v_dual_fma_f32 v13, v162, v110, -v33 :: v_dual_add_f32 v7, v7, v15
	s_wait_loadcnt 0x4
	v_dual_mov_b32 v102, v123 :: v_dual_fmac_f32 v19, v165, v112
	v_dual_add_f32 v9, v9, v27 :: v_dual_fma_f32 v15, v164, v112, -v35
	s_delay_alu instid0(VALU_DEP_3) | instskip(SKIP_1) | instid1(VALU_DEP_3)
	v_add_f32_e32 v7, v7, v17
	v_dual_mul_f32 v183, v168, v117 :: v_dual_mul_f32 v185, v170, v119
	v_dual_add_f32 v9, v9, v13 :: v_dual_fmac_f32 v21, v167, v114
	s_delay_alu instid0(VALU_DEP_3) | instskip(SKIP_2) | instid1(VALU_DEP_3)
	v_dual_fma_f32 v13, v166, v114, -v37 :: v_dual_add_f32 v7, v7, v19
	v_pk_mul_f32 v[100:101], v[136:137], v[120:121] op_sel:[1,1] op_sel_hi:[0,1]
	s_wait_loadcnt 0x3
	v_dual_add_f32 v9, v9, v15 :: v_dual_mov_b32 v106, v127
	s_delay_alu instid0(VALU_DEP_3) | instskip(NEXT) | instid1(VALU_DEP_2)
	v_dual_fmac_f32 v183, v169, v116 :: v_dual_add_f32 v109, v7, v21
	v_dual_fma_f32 v182, v168, v116, -v23 :: v_dual_add_f32 v108, v9, v13
	v_dual_fmac_f32 v185, v171, v118 :: v_dual_fma_f32 v184, v170, v118, -v11
	v_pk_fma_f32 v[110:111], v[136:137], v[120:121], v[100:101] op_sel_hi:[1,0,1]
	v_pk_mul_f32 v[102:103], v[174:175], v[102:103] op_sel_hi:[1,0]
	s_delay_alu instid0(VALU_DEP_4)
	v_pk_add_f32 v[108:109], v[108:109], v[182:183]
	v_pk_fma_f32 v[100:101], v[136:137], v[120:121], v[100:101] neg_lo:[0,0,1] neg_hi:[0,0,1]
	v_pk_mul_f32 v[104:105], v[140:141], v[124:125] op_sel:[1,1] op_sel_hi:[0,1]
	v_mov_b32_e32 v101, v111
	v_pk_fma_f32 v[110:111], v[138:139], v[122:123], v[102:103] op_sel_hi:[1,0,1]
	v_pk_add_f32 v[108:109], v[108:109], v[184:185]
	v_pk_fma_f32 v[102:103], v[138:139], v[122:123], v[102:103] neg_lo:[0,0,1] neg_hi:[0,0,1]
	v_pk_fma_f32 v[114:115], v[140:141], v[124:125], v[104:105] op_sel_hi:[1,0,1]
	v_pk_mul_f32 v[106:107], v[176:177], v[106:107] op_sel_hi:[1,0]
	v_mov_b32_e32 v103, v111
	v_pk_add_f32 v[100:101], v[108:109], v[100:101]
	s_wait_loadcnt 0x2
	v_pk_mul_f32 v[112:113], v[144:145], v[128:129] op_sel:[1,1] op_sel_hi:[0,1]
	v_mov_b32_e32 v108, v131
	v_pk_fma_f32 v[104:105], v[140:141], v[124:125], v[104:105] neg_lo:[0,0,1] neg_hi:[0,0,1]
	v_mov_b32_e32 v105, v115
	v_pk_fma_f32 v[110:111], v[142:143], v[126:127], v[106:107] op_sel_hi:[1,0,1]
	v_pk_add_f32 v[100:101], v[100:101], v[102:103]
	v_pk_fma_f32 v[102:103], v[144:145], v[128:129], v[112:113] op_sel_hi:[1,0,1]
	v_pk_mul_f32 v[108:109], v[178:179], v[108:109] op_sel_hi:[1,0]
	v_pk_fma_f32 v[106:107], v[142:143], v[126:127], v[106:107] neg_lo:[0,0,1] neg_hi:[0,0,1]
	v_mov_b32_e32 v107, v111
	v_pk_add_f32 v[100:101], v[100:101], v[104:105]
	v_pk_fma_f32 v[110:111], v[144:145], v[128:129], v[112:113] neg_lo:[0,0,1] neg_hi:[0,0,1]
	v_mov_b32_e32 v111, v103
	v_pk_fma_f32 v[102:103], v[146:147], v[130:131], v[108:109] op_sel_hi:[1,0,1]
	s_wait_loadcnt 0x1
	v_pk_mul_f32 v[104:105], v[148:149], v[132:133] op_sel:[1,1] op_sel_hi:[0,1]
	v_pk_add_f32 v[100:101], v[100:101], v[106:107]
	v_mov_b32_e32 v102, v135
	v_pk_fma_f32 v[108:109], v[146:147], v[130:131], v[108:109] neg_lo:[0,0,1] neg_hi:[0,0,1]
	v_mov_b32_e32 v109, v103
	v_pk_fma_f32 v[106:107], v[148:149], v[132:133], v[104:105] op_sel_hi:[1,0,1]
	v_pk_add_f32 v[100:101], v[100:101], v[110:111]
	v_pk_mul_f32 v[102:103], v[180:181], v[102:103] op_sel_hi:[1,0]
	v_pk_fma_f32 v[104:105], v[148:149], v[132:133], v[104:105] neg_lo:[0,0,1] neg_hi:[0,0,1]
	s_delay_alu instid0(VALU_DEP_4) | instskip(NEXT) | instid1(VALU_DEP_4)
	v_mov_b32_e32 v105, v107
	v_pk_add_f32 v[100:101], v[100:101], v[108:109]
	s_delay_alu instid0(VALU_DEP_4) | instskip(SKIP_1) | instid1(VALU_DEP_2)
	v_pk_fma_f32 v[106:107], v[150:151], v[134:135], v[102:103] op_sel_hi:[1,0,1]
	v_pk_fma_f32 v[102:103], v[150:151], v[134:135], v[102:103] neg_lo:[0,0,1] neg_hi:[0,0,1]
	v_mov_b32_e32 v103, v107
	s_delay_alu instid0(VALU_DEP_4) | instskip(NEXT) | instid1(VALU_DEP_1)
	v_pk_add_f32 v[100:101], v[100:101], v[104:105]
	v_pk_add_f32 v[100:101], v[100:101], v[102:103]
	s_wait_loadcnt 0x0
	s_delay_alu instid0(VALU_DEP_1)
	v_pk_add_f32 v[100:101], v[172:173], v[100:101] neg_lo:[0,1] neg_hi:[0,1]
	scratch_store_b64 off, v[100:101], off offset:240
	s_wait_xcnt 0x0
	v_cmpx_lt_u32_e32 29, v0
	s_cbranch_execz .LBB112_249
; %bb.248:
	scratch_load_b64 v[100:101], off, off offset:232
	v_mov_b64_e32 v[102:103], 0
	scratch_store_b64 off, v[102:103], off offset:232
	s_wait_loadcnt 0x0
	ds_store_b64 v1, v[100:101]
.LBB112_249:
	s_wait_xcnt 0x0
	s_or_b32 exec_lo, exec_lo, s0
	s_wait_storecnt_dscnt 0x0
	s_barrier_signal -1
	s_barrier_wait -1
	s_clause 0xa
	scratch_load_b128 v[100:103], off, off offset:240
	scratch_load_b128 v[104:107], off, off offset:256
	;; [unrolled: 1-line block ×9, first 2 shown]
	scratch_load_b64 v[172:173], off, off offset:384
	scratch_load_b64 v[174:175], off, off offset:232
	v_mov_b32_e32 v7, 0
	ds_load_b128 v[136:139], v7 offset:720
	ds_load_b128 v[140:143], v7 offset:736
	;; [unrolled: 1-line block ×9, first 2 shown]
	ds_load_b64 v[176:177], v7 offset:784
	s_mov_b32 s0, exec_lo
	s_wait_dscnt 0x9
	v_dual_mov_b32 v178, v139 :: v_dual_mov_b32 v179, v138
	s_wait_dscnt 0x6
	v_dual_mov_b32 v180, v143 :: v_dual_mov_b32 v185, v150
	v_dual_mov_b32 v181, v142 :: v_dual_mov_b32 v182, v147
	;; [unrolled: 1-line block ×3, first 2 shown]
	s_wait_loadcnt_dscnt 0xa05
	v_dual_mul_f32 v9, v152, v101 :: v_dual_mul_f32 v27, v153, v101
	v_dual_mul_f32 v29, v155, v103 :: v_dual_mul_f32 v11, v154, v103
	s_wait_loadcnt_dscnt 0x904
	v_mul_f32_e32 v13, v156, v105
	s_wait_loadcnt_dscnt 0x702
	v_dual_mul_f32 v39, v165, v113 :: v_dual_fma_f32 v27, v152, v100, -v27
	v_dual_fmac_f32 v9, v153, v100 :: v_dual_mul_f32 v41, v167, v115
	v_dual_mul_f32 v31, v157, v105 :: v_dual_mul_f32 v33, v159, v107
	v_dual_fmac_f32 v11, v155, v102 :: v_dual_fma_f32 v29, v154, v102, -v29
	s_delay_alu instid0(VALU_DEP_3) | instskip(SKIP_4) | instid1(VALU_DEP_3)
	v_dual_add_f32 v9, 0, v9 :: v_dual_add_f32 v27, 0, v27
	v_dual_mul_f32 v15, v158, v107 :: v_dual_mul_f32 v17, v160, v109
	s_wait_loadcnt_dscnt 0x601
	v_dual_mul_f32 v43, v169, v117 :: v_dual_fma_f32 v31, v156, v104, -v31
	v_fmac_f32_e32 v13, v157, v104
	v_dual_add_f32 v9, v9, v11 :: v_dual_fmac_f32 v15, v159, v106
	v_add_f32_e32 v11, v27, v29
	v_dual_mul_f32 v35, v161, v109 :: v_dual_mul_f32 v37, v163, v111
	v_dual_mul_f32 v27, v171, v119 :: v_dual_fma_f32 v29, v158, v106, -v33
	s_delay_alu instid0(VALU_DEP_3) | instskip(SKIP_3) | instid1(VALU_DEP_3)
	v_dual_add_f32 v9, v9, v13 :: v_dual_add_f32 v11, v11, v31
	v_dual_mul_f32 v19, v162, v111 :: v_dual_mul_f32 v21, v164, v113
	s_wait_loadcnt 0x5
	v_dual_mul_f32 v13, v137, v121 :: v_dual_fma_f32 v31, v160, v108, -v35
	v_dual_fmac_f32 v17, v161, v108 :: v_dual_add_f32 v11, v11, v29
	v_dual_add_f32 v9, v9, v15 :: v_dual_mov_b32 v100, v123
	v_dual_fmac_f32 v19, v163, v110 :: v_dual_fma_f32 v15, v162, v110, -v37
	s_delay_alu instid0(VALU_DEP_2) | instskip(SKIP_3) | instid1(VALU_DEP_3)
	v_dual_add_f32 v11, v11, v31 :: v_dual_add_f32 v9, v9, v17
	v_dual_mul_f32 v23, v166, v115 :: v_dual_mul_f32 v25, v168, v117
	v_dual_fmac_f32 v21, v165, v112 :: v_dual_fma_f32 v17, v164, v112, -v39
	s_wait_loadcnt 0x4
	v_dual_add_f32 v9, v9, v19 :: v_dual_mov_b32 v104, v127
	v_dual_add_f32 v11, v11, v15 :: v_dual_fma_f32 v15, v166, v114, -v41
	s_delay_alu instid0(VALU_DEP_2) | instskip(SKIP_1) | instid1(VALU_DEP_3)
	v_dual_fmac_f32 v23, v167, v114 :: v_dual_add_f32 v9, v9, v21
	v_dual_mul_f32 v187, v170, v119 :: v_dual_mul_f32 v189, v136, v121
	v_dual_add_f32 v11, v11, v17 :: v_dual_fmac_f32 v25, v169, v116
	s_delay_alu instid0(VALU_DEP_3) | instskip(NEXT) | instid1(VALU_DEP_3)
	v_dual_fma_f32 v17, v168, v116, -v43 :: v_dual_add_f32 v9, v9, v23
	v_fmac_f32_e32 v187, v171, v118
	s_delay_alu instid0(VALU_DEP_3) | instskip(SKIP_1) | instid1(VALU_DEP_4)
	v_dual_add_f32 v11, v11, v15 :: v_dual_fma_f32 v186, v170, v118, -v27
	v_pk_mul_f32 v[100:101], v[178:179], v[100:101] op_sel_hi:[1,0]
	v_add_f32_e32 v109, v9, v25
	v_pk_mul_f32 v[102:103], v[140:141], v[124:125] op_sel:[1,1] op_sel_hi:[0,1]
	s_delay_alu instid0(VALU_DEP_4) | instskip(SKIP_3) | instid1(VALU_DEP_3)
	v_dual_add_f32 v108, v11, v17 :: v_dual_fmac_f32 v189, v137, v120
	s_wait_loadcnt 0x3
	v_dual_mov_b32 v110, v131 :: v_dual_fma_f32 v188, v136, v120, -v13
	v_pk_fma_f32 v[112:113], v[138:139], v[122:123], v[100:101] op_sel_hi:[1,0,1]
	v_pk_add_f32 v[108:109], v[108:109], v[186:187]
	v_pk_fma_f32 v[100:101], v[138:139], v[122:123], v[100:101] neg_lo:[0,0,1] neg_hi:[0,0,1]
	v_pk_fma_f32 v[114:115], v[140:141], v[124:125], v[102:103] op_sel_hi:[1,0,1]
	v_pk_mul_f32 v[104:105], v[180:181], v[104:105] op_sel_hi:[1,0]
	v_mov_b32_e32 v101, v113
	v_pk_add_f32 v[108:109], v[108:109], v[188:189]
	v_pk_fma_f32 v[102:103], v[140:141], v[124:125], v[102:103] neg_lo:[0,0,1] neg_hi:[0,0,1]
	v_pk_mul_f32 v[106:107], v[144:145], v[128:129] op_sel:[1,1] op_sel_hi:[0,1]
	v_mov_b32_e32 v103, v115
	v_pk_fma_f32 v[114:115], v[142:143], v[126:127], v[104:105] op_sel_hi:[1,0,1]
	v_pk_add_f32 v[100:101], v[108:109], v[100:101]
	v_pk_fma_f32 v[104:105], v[142:143], v[126:127], v[104:105] neg_lo:[0,0,1] neg_hi:[0,0,1]
	v_pk_fma_f32 v[108:109], v[144:145], v[128:129], v[106:107] op_sel_hi:[1,0,1]
	v_pk_mul_f32 v[110:111], v[182:183], v[110:111] op_sel_hi:[1,0]
	v_mov_b32_e32 v105, v115
	v_pk_add_f32 v[100:101], v[100:101], v[102:103]
	v_pk_fma_f32 v[106:107], v[144:145], v[128:129], v[106:107] neg_lo:[0,0,1] neg_hi:[0,0,1]
	s_wait_loadcnt 0x2
	v_pk_mul_f32 v[112:113], v[148:149], v[132:133] op_sel:[1,1] op_sel_hi:[0,1]
	v_dual_mov_b32 v102, v135 :: v_dual_mov_b32 v107, v109
	v_pk_fma_f32 v[108:109], v[146:147], v[130:131], v[110:111] op_sel_hi:[1,0,1]
	v_pk_add_f32 v[100:101], v[100:101], v[104:105]
	v_pk_fma_f32 v[110:111], v[146:147], v[130:131], v[110:111] neg_lo:[0,0,1] neg_hi:[0,0,1]
	v_pk_fma_f32 v[104:105], v[148:149], v[132:133], v[112:113] op_sel_hi:[1,0,1]
	v_pk_mul_f32 v[102:103], v[184:185], v[102:103] op_sel_hi:[1,0]
	v_mov_b32_e32 v111, v109
	v_pk_add_f32 v[100:101], v[100:101], v[106:107]
	v_pk_fma_f32 v[106:107], v[148:149], v[132:133], v[112:113] neg_lo:[0,0,1] neg_hi:[0,0,1]
	v_mov_b32_e32 v107, v105
	v_pk_fma_f32 v[104:105], v[150:151], v[134:135], v[102:103] op_sel_hi:[1,0,1]
	s_wait_loadcnt_dscnt 0x100
	v_pk_mul_f32 v[108:109], v[176:177], v[172:173] op_sel:[1,1] op_sel_hi:[0,1]
	v_pk_add_f32 v[100:101], v[100:101], v[110:111]
	v_pk_fma_f32 v[102:103], v[150:151], v[134:135], v[102:103] neg_lo:[0,0,1] neg_hi:[0,0,1]
	v_mov_b32_e32 v103, v105
	s_delay_alu instid0(VALU_DEP_4) | instskip(NEXT) | instid1(VALU_DEP_4)
	v_pk_fma_f32 v[104:105], v[176:177], v[172:173], v[108:109] op_sel_hi:[1,0,1]
	v_pk_add_f32 v[100:101], v[100:101], v[106:107]
	v_pk_fma_f32 v[106:107], v[176:177], v[172:173], v[108:109] neg_lo:[0,0,1] neg_hi:[0,0,1]
	s_delay_alu instid0(VALU_DEP_3) | instskip(NEXT) | instid1(VALU_DEP_3)
	v_mov_b32_e32 v107, v105
	v_pk_add_f32 v[100:101], v[100:101], v[102:103]
	s_delay_alu instid0(VALU_DEP_1) | instskip(SKIP_1) | instid1(VALU_DEP_1)
	v_pk_add_f32 v[100:101], v[100:101], v[106:107]
	s_wait_loadcnt 0x0
	v_pk_add_f32 v[100:101], v[174:175], v[100:101] neg_lo:[0,1] neg_hi:[0,1]
	scratch_store_b64 off, v[100:101], off offset:232
	s_wait_xcnt 0x0
	v_cmpx_lt_u32_e32 28, v0
	s_cbranch_execz .LBB112_251
; %bb.250:
	scratch_load_b64 v[100:101], off, off offset:224
	v_mov_b64_e32 v[102:103], 0
	scratch_store_b64 off, v[102:103], off offset:224
	s_wait_loadcnt 0x0
	ds_store_b64 v1, v[100:101]
.LBB112_251:
	s_wait_xcnt 0x0
	s_or_b32 exec_lo, exec_lo, s0
	s_wait_storecnt_dscnt 0x0
	s_barrier_signal -1
	s_barrier_wait -1
	s_clause 0xa
	scratch_load_b128 v[100:103], off, off offset:232
	scratch_load_b128 v[104:107], off, off offset:248
	;; [unrolled: 1-line block ×10, first 2 shown]
	scratch_load_b64 v[180:181], off, off offset:224
	ds_load_2addr_b64 v[140:143], v7 offset0:91 offset1:92
	ds_load_2addr_b64 v[144:147], v7 offset0:93 offset1:94
	;; [unrolled: 1-line block ×10, first 2 shown]
	s_mov_b32 s0, exec_lo
	s_wait_dscnt 0x9
	v_dual_mov_b32 v182, v143 :: v_dual_mov_b32 v183, v142
	s_wait_dscnt 0x8
	v_dual_mov_b32 v184, v147 :: v_dual_mov_b32 v185, v146
	;; [unrolled: 2-line block ×4, first 2 shown]
	s_wait_loadcnt_dscnt 0xa05
	v_dual_mul_f32 v7, v156, v101 :: v_dual_mul_f32 v9, v158, v103
	v_dual_mul_f32 v27, v157, v101 :: v_dual_mul_f32 v29, v159, v103
	s_wait_loadcnt_dscnt 0x904
	v_dual_mul_f32 v11, v160, v105 :: v_dual_mul_f32 v13, v162, v107
	s_delay_alu instid0(VALU_DEP_3) | instskip(SKIP_3) | instid1(VALU_DEP_3)
	v_dual_fmac_f32 v7, v157, v100 :: v_dual_fmac_f32 v9, v159, v102
	s_wait_loadcnt_dscnt 0x702
	v_dual_fma_f32 v27, v156, v100, -v27 :: v_dual_mul_f32 v39, v169, v113
	v_dual_mul_f32 v31, v161, v105 :: v_dual_mul_f32 v33, v163, v107
	v_dual_fma_f32 v29, v158, v102, -v29 :: v_dual_add_f32 v7, 0, v7
	s_delay_alu instid0(VALU_DEP_3) | instskip(SKIP_1) | instid1(VALU_DEP_4)
	v_dual_add_f32 v27, 0, v27 :: v_dual_fmac_f32 v11, v161, v104
	v_dual_mul_f32 v15, v164, v109 :: v_dual_mul_f32 v17, v166, v111
	v_dual_mul_f32 v41, v171, v115 :: v_dual_fma_f32 v31, v160, v104, -v31
	s_delay_alu instid0(VALU_DEP_4) | instskip(NEXT) | instid1(VALU_DEP_3)
	v_add_f32_e32 v7, v7, v9
	v_dual_add_f32 v9, v27, v29 :: v_dual_fmac_f32 v15, v165, v108
	v_dual_mul_f32 v35, v165, v109 :: v_dual_mul_f32 v37, v167, v111
	s_wait_loadcnt_dscnt 0x601
	v_dual_mul_f32 v27, v173, v117 :: v_dual_fmac_f32 v13, v163, v106
	v_dual_fma_f32 v29, v162, v106, -v33 :: v_dual_add_f32 v7, v7, v11
	s_delay_alu instid0(VALU_DEP_3) | instskip(SKIP_1) | instid1(VALU_DEP_3)
	v_dual_add_f32 v9, v9, v31 :: v_dual_fma_f32 v31, v164, v108, -v35
	v_dual_mul_f32 v19, v168, v113 :: v_dual_mul_f32 v21, v170, v115
	v_add_f32_e32 v7, v7, v13
	s_delay_alu instid0(VALU_DEP_3) | instskip(SKIP_2) | instid1(VALU_DEP_3)
	v_dual_mul_f32 v11, v175, v119 :: v_dual_add_f32 v9, v9, v29
	s_wait_loadcnt_dscnt 0x500
	v_dual_mul_f32 v13, v177, v121 :: v_dual_fmac_f32 v17, v167, v110
	v_dual_fma_f32 v29, v166, v110, -v37 :: v_dual_add_f32 v7, v7, v15
	s_delay_alu instid0(VALU_DEP_3) | instskip(SKIP_1) | instid1(VALU_DEP_3)
	v_dual_add_f32 v9, v9, v31 :: v_dual_fma_f32 v31, v168, v112, -v39
	v_dual_mul_f32 v15, v179, v123 :: v_dual_fmac_f32 v19, v169, v112
	v_dual_add_f32 v7, v7, v17 :: v_dual_fma_f32 v17, v170, v114, -v41
	s_delay_alu instid0(VALU_DEP_3) | instskip(SKIP_1) | instid1(VALU_DEP_3)
	v_dual_add_f32 v9, v9, v29 :: v_dual_fmac_f32 v21, v171, v114
	v_dual_mul_f32 v23, v172, v117 :: v_dual_mul_f32 v25, v174, v119
	v_add_f32_e32 v7, v7, v19
	s_wait_loadcnt 0x4
	s_delay_alu instid0(VALU_DEP_3) | instskip(NEXT) | instid1(VALU_DEP_3)
	v_dual_add_f32 v9, v9, v31 :: v_dual_mov_b32 v102, v127
	v_fmac_f32_e32 v23, v173, v116
	s_delay_alu instid0(VALU_DEP_3) | instskip(NEXT) | instid1(VALU_DEP_3)
	v_dual_fma_f32 v19, v172, v116, -v27 :: v_dual_add_f32 v7, v7, v21
	v_dual_add_f32 v9, v9, v17 :: v_dual_fmac_f32 v25, v175, v118
	v_dual_mul_f32 v191, v176, v121 :: v_dual_mul_f32 v193, v178, v123
	s_delay_alu instid0(VALU_DEP_3) | instskip(SKIP_1) | instid1(VALU_DEP_3)
	v_dual_fma_f32 v11, v174, v118, -v11 :: v_dual_add_f32 v7, v7, v23
	s_wait_loadcnt 0x3
	v_dual_add_f32 v9, v9, v19 :: v_dual_mov_b32 v106, v131
	v_pk_mul_f32 v[100:101], v[140:141], v[124:125] op_sel:[1,1] op_sel_hi:[0,1]
	v_dual_fmac_f32 v191, v177, v120 :: v_dual_fma_f32 v190, v176, v120, -v13
	s_delay_alu instid0(VALU_DEP_3) | instskip(SKIP_1) | instid1(VALU_DEP_4)
	v_dual_add_f32 v109, v7, v25 :: v_dual_add_f32 v108, v9, v11
	v_dual_fmac_f32 v193, v179, v122 :: v_dual_fma_f32 v192, v178, v122, -v15
	v_pk_fma_f32 v[110:111], v[140:141], v[124:125], v[100:101] op_sel_hi:[1,0,1]
	v_pk_mul_f32 v[102:103], v[182:183], v[102:103] op_sel_hi:[1,0]
	s_delay_alu instid0(VALU_DEP_4)
	v_pk_add_f32 v[108:109], v[108:109], v[190:191]
	v_pk_fma_f32 v[100:101], v[140:141], v[124:125], v[100:101] neg_lo:[0,0,1] neg_hi:[0,0,1]
	v_pk_mul_f32 v[104:105], v[144:145], v[128:129] op_sel:[1,1] op_sel_hi:[0,1]
	v_mov_b32_e32 v101, v111
	v_pk_fma_f32 v[110:111], v[142:143], v[126:127], v[102:103] op_sel_hi:[1,0,1]
	v_pk_add_f32 v[108:109], v[108:109], v[192:193]
	v_pk_fma_f32 v[102:103], v[142:143], v[126:127], v[102:103] neg_lo:[0,0,1] neg_hi:[0,0,1]
	v_pk_fma_f32 v[114:115], v[144:145], v[128:129], v[104:105] op_sel_hi:[1,0,1]
	v_pk_mul_f32 v[106:107], v[184:185], v[106:107] op_sel_hi:[1,0]
	v_mov_b32_e32 v103, v111
	v_pk_add_f32 v[100:101], v[108:109], v[100:101]
	s_wait_loadcnt 0x2
	v_pk_mul_f32 v[112:113], v[148:149], v[132:133] op_sel:[1,1] op_sel_hi:[0,1]
	v_mov_b32_e32 v108, v135
	v_pk_fma_f32 v[104:105], v[144:145], v[128:129], v[104:105] neg_lo:[0,0,1] neg_hi:[0,0,1]
	v_mov_b32_e32 v105, v115
	v_pk_fma_f32 v[110:111], v[146:147], v[130:131], v[106:107] op_sel_hi:[1,0,1]
	v_pk_add_f32 v[100:101], v[100:101], v[102:103]
	v_pk_fma_f32 v[102:103], v[148:149], v[132:133], v[112:113] op_sel_hi:[1,0,1]
	v_pk_mul_f32 v[108:109], v[186:187], v[108:109] op_sel_hi:[1,0]
	v_pk_fma_f32 v[106:107], v[146:147], v[130:131], v[106:107] neg_lo:[0,0,1] neg_hi:[0,0,1]
	v_mov_b32_e32 v107, v111
	v_pk_add_f32 v[100:101], v[100:101], v[104:105]
	v_pk_fma_f32 v[110:111], v[148:149], v[132:133], v[112:113] neg_lo:[0,0,1] neg_hi:[0,0,1]
	v_mov_b32_e32 v111, v103
	v_pk_fma_f32 v[102:103], v[150:151], v[134:135], v[108:109] op_sel_hi:[1,0,1]
	s_wait_loadcnt 0x1
	v_pk_mul_f32 v[104:105], v[152:153], v[136:137] op_sel:[1,1] op_sel_hi:[0,1]
	v_pk_add_f32 v[100:101], v[100:101], v[106:107]
	v_mov_b32_e32 v102, v139
	v_pk_fma_f32 v[108:109], v[150:151], v[134:135], v[108:109] neg_lo:[0,0,1] neg_hi:[0,0,1]
	v_mov_b32_e32 v109, v103
	v_pk_fma_f32 v[106:107], v[152:153], v[136:137], v[104:105] op_sel_hi:[1,0,1]
	v_pk_add_f32 v[100:101], v[100:101], v[110:111]
	v_pk_mul_f32 v[102:103], v[188:189], v[102:103] op_sel_hi:[1,0]
	v_pk_fma_f32 v[104:105], v[152:153], v[136:137], v[104:105] neg_lo:[0,0,1] neg_hi:[0,0,1]
	s_delay_alu instid0(VALU_DEP_4) | instskip(NEXT) | instid1(VALU_DEP_4)
	v_mov_b32_e32 v105, v107
	v_pk_add_f32 v[100:101], v[100:101], v[108:109]
	s_delay_alu instid0(VALU_DEP_4) | instskip(SKIP_1) | instid1(VALU_DEP_2)
	v_pk_fma_f32 v[106:107], v[154:155], v[138:139], v[102:103] op_sel_hi:[1,0,1]
	v_pk_fma_f32 v[102:103], v[154:155], v[138:139], v[102:103] neg_lo:[0,0,1] neg_hi:[0,0,1]
	v_mov_b32_e32 v103, v107
	s_delay_alu instid0(VALU_DEP_4) | instskip(NEXT) | instid1(VALU_DEP_1)
	v_pk_add_f32 v[100:101], v[100:101], v[104:105]
	v_pk_add_f32 v[100:101], v[100:101], v[102:103]
	s_wait_loadcnt 0x0
	s_delay_alu instid0(VALU_DEP_1)
	v_pk_add_f32 v[100:101], v[180:181], v[100:101] neg_lo:[0,1] neg_hi:[0,1]
	scratch_store_b64 off, v[100:101], off offset:224
	s_wait_xcnt 0x0
	v_cmpx_lt_u32_e32 27, v0
	s_cbranch_execz .LBB112_253
; %bb.252:
	scratch_load_b64 v[100:101], off, off offset:216
	v_mov_b64_e32 v[102:103], 0
	scratch_store_b64 off, v[102:103], off offset:216
	s_wait_loadcnt 0x0
	ds_store_b64 v1, v[100:101]
.LBB112_253:
	s_wait_xcnt 0x0
	s_or_b32 exec_lo, exec_lo, s0
	s_wait_storecnt_dscnt 0x0
	s_barrier_signal -1
	s_barrier_wait -1
	s_clause 0xb
	scratch_load_b128 v[100:103], off, off offset:224
	scratch_load_b128 v[104:107], off, off offset:240
	;; [unrolled: 1-line block ×10, first 2 shown]
	scratch_load_b64 v[180:181], off, off offset:384
	scratch_load_b64 v[182:183], off, off offset:216
	v_mov_b32_e32 v7, 0
	ds_load_b128 v[140:143], v7 offset:720
	ds_load_b128 v[144:147], v7 offset:736
	;; [unrolled: 1-line block ×10, first 2 shown]
	ds_load_b64 v[184:185], v7 offset:784
	s_mov_b32 s0, exec_lo
	s_wait_dscnt 0xa
	v_dual_mov_b32 v186, v143 :: v_dual_mov_b32 v187, v142
	s_wait_dscnt 0x7
	v_dual_mov_b32 v188, v147 :: v_dual_mov_b32 v193, v154
	v_dual_mov_b32 v189, v146 :: v_dual_mov_b32 v190, v151
	;; [unrolled: 1-line block ×3, first 2 shown]
	s_wait_loadcnt_dscnt 0xb06
	v_dual_mul_f32 v9, v156, v101 :: v_dual_mul_f32 v31, v157, v101
	v_dual_mul_f32 v33, v159, v103 :: v_dual_mul_f32 v11, v158, v103
	s_wait_loadcnt_dscnt 0xa05
	v_mul_f32_e32 v13, v160, v105
	s_wait_loadcnt_dscnt 0x803
	v_dual_mul_f32 v43, v169, v113 :: v_dual_fma_f32 v31, v156, v100, -v31
	v_dual_fmac_f32 v9, v157, v100 :: v_dual_mul_f32 v45, v171, v115
	v_dual_mul_f32 v35, v161, v105 :: v_dual_mul_f32 v37, v163, v107
	v_dual_fmac_f32 v11, v159, v102 :: v_dual_fma_f32 v33, v158, v102, -v33
	s_delay_alu instid0(VALU_DEP_3) | instskip(SKIP_4) | instid1(VALU_DEP_3)
	v_dual_add_f32 v9, 0, v9 :: v_dual_add_f32 v31, 0, v31
	v_dual_mul_f32 v15, v162, v107 :: v_dual_mul_f32 v17, v164, v109
	s_wait_loadcnt_dscnt 0x702
	v_dual_mul_f32 v47, v173, v117 :: v_dual_fma_f32 v35, v160, v104, -v35
	v_fmac_f32_e32 v13, v161, v104
	v_dual_add_f32 v9, v9, v11 :: v_dual_fmac_f32 v15, v163, v106
	v_add_f32_e32 v11, v31, v33
	v_dual_mul_f32 v39, v165, v109 :: v_dual_mul_f32 v41, v167, v111
	v_dual_mul_f32 v31, v175, v119 :: v_dual_fma_f32 v33, v162, v106, -v37
	s_delay_alu instid0(VALU_DEP_3) | instskip(SKIP_3) | instid1(VALU_DEP_3)
	v_dual_add_f32 v9, v9, v13 :: v_dual_add_f32 v11, v11, v35
	v_dual_mul_f32 v19, v166, v111 :: v_dual_mul_f32 v21, v168, v113
	s_wait_loadcnt_dscnt 0x601
	v_dual_mul_f32 v13, v177, v121 :: v_dual_fma_f32 v35, v164, v108, -v39
	v_dual_fmac_f32 v17, v165, v108 :: v_dual_add_f32 v11, v11, v33
	s_delay_alu instid0(VALU_DEP_3) | instskip(SKIP_1) | instid1(VALU_DEP_2)
	v_dual_add_f32 v9, v9, v15 :: v_dual_fmac_f32 v19, v167, v110
	v_dual_mul_f32 v15, v179, v123 :: v_dual_fma_f32 v33, v166, v110, -v41
	v_dual_add_f32 v11, v11, v35 :: v_dual_add_f32 v9, v9, v17
	v_dual_mul_f32 v23, v170, v115 :: v_dual_mul_f32 v25, v172, v117
	s_wait_loadcnt 0x5
	v_dual_mul_f32 v17, v141, v125 :: v_dual_fma_f32 v35, v168, v112, -v43
	s_delay_alu instid0(VALU_DEP_3) | instskip(SKIP_2) | instid1(VALU_DEP_2)
	v_dual_fmac_f32 v21, v169, v112 :: v_dual_add_f32 v11, v11, v33
	v_dual_add_f32 v9, v9, v19 :: v_dual_mov_b32 v100, v127
	v_dual_fmac_f32 v23, v171, v114 :: v_dual_fma_f32 v19, v170, v114, -v45
	v_dual_add_f32 v11, v11, v35 :: v_dual_add_f32 v9, v9, v21
	v_dual_mul_f32 v27, v174, v119 :: v_dual_mul_f32 v29, v176, v121
	v_dual_fmac_f32 v25, v173, v116 :: v_dual_fma_f32 v21, v172, v116, -v47
	s_wait_loadcnt 0x4
	s_delay_alu instid0(VALU_DEP_3) | instskip(SKIP_1) | instid1(VALU_DEP_2)
	v_dual_add_f32 v9, v9, v23 :: v_dual_mov_b32 v104, v131
	v_dual_add_f32 v11, v11, v19 :: v_dual_fma_f32 v19, v174, v118, -v31
	v_dual_fmac_f32 v27, v175, v118 :: v_dual_add_f32 v9, v9, v25
	v_dual_mul_f32 v195, v178, v123 :: v_dual_mul_f32 v197, v140, v125
	s_delay_alu instid0(VALU_DEP_3) | instskip(NEXT) | instid1(VALU_DEP_3)
	v_dual_add_f32 v11, v11, v21 :: v_dual_fmac_f32 v29, v177, v120
	v_dual_fma_f32 v13, v176, v120, -v13 :: v_dual_add_f32 v9, v9, v27
	s_delay_alu instid0(VALU_DEP_3) | instskip(NEXT) | instid1(VALU_DEP_3)
	v_fmac_f32_e32 v195, v179, v122
	v_dual_add_f32 v11, v11, v19 :: v_dual_fma_f32 v194, v178, v122, -v15
	v_pk_mul_f32 v[100:101], v[186:187], v[100:101] op_sel_hi:[1,0]
	s_delay_alu instid0(VALU_DEP_4) | instskip(SKIP_1) | instid1(VALU_DEP_4)
	v_add_f32_e32 v109, v9, v29
	v_pk_mul_f32 v[102:103], v[144:145], v[128:129] op_sel:[1,1] op_sel_hi:[0,1]
	v_dual_add_f32 v108, v11, v13 :: v_dual_fmac_f32 v197, v141, v124
	s_wait_loadcnt 0x3
	v_dual_mov_b32 v110, v135 :: v_dual_fma_f32 v196, v140, v124, -v17
	v_pk_fma_f32 v[112:113], v[142:143], v[126:127], v[100:101] op_sel_hi:[1,0,1]
	s_delay_alu instid0(VALU_DEP_3)
	v_pk_add_f32 v[108:109], v[108:109], v[194:195]
	v_pk_fma_f32 v[100:101], v[142:143], v[126:127], v[100:101] neg_lo:[0,0,1] neg_hi:[0,0,1]
	v_pk_fma_f32 v[114:115], v[144:145], v[128:129], v[102:103] op_sel_hi:[1,0,1]
	v_pk_mul_f32 v[104:105], v[188:189], v[104:105] op_sel_hi:[1,0]
	v_mov_b32_e32 v101, v113
	v_pk_add_f32 v[108:109], v[108:109], v[196:197]
	v_pk_fma_f32 v[102:103], v[144:145], v[128:129], v[102:103] neg_lo:[0,0,1] neg_hi:[0,0,1]
	v_pk_mul_f32 v[106:107], v[148:149], v[132:133] op_sel:[1,1] op_sel_hi:[0,1]
	v_mov_b32_e32 v103, v115
	v_pk_fma_f32 v[114:115], v[146:147], v[130:131], v[104:105] op_sel_hi:[1,0,1]
	v_pk_add_f32 v[100:101], v[108:109], v[100:101]
	v_pk_fma_f32 v[104:105], v[146:147], v[130:131], v[104:105] neg_lo:[0,0,1] neg_hi:[0,0,1]
	v_pk_fma_f32 v[108:109], v[148:149], v[132:133], v[106:107] op_sel_hi:[1,0,1]
	v_pk_mul_f32 v[110:111], v[190:191], v[110:111] op_sel_hi:[1,0]
	v_mov_b32_e32 v105, v115
	v_pk_add_f32 v[100:101], v[100:101], v[102:103]
	v_pk_fma_f32 v[106:107], v[148:149], v[132:133], v[106:107] neg_lo:[0,0,1] neg_hi:[0,0,1]
	s_wait_loadcnt 0x2
	v_pk_mul_f32 v[112:113], v[152:153], v[136:137] op_sel:[1,1] op_sel_hi:[0,1]
	v_dual_mov_b32 v102, v139 :: v_dual_mov_b32 v107, v109
	v_pk_fma_f32 v[108:109], v[150:151], v[134:135], v[110:111] op_sel_hi:[1,0,1]
	v_pk_add_f32 v[100:101], v[100:101], v[104:105]
	v_pk_fma_f32 v[110:111], v[150:151], v[134:135], v[110:111] neg_lo:[0,0,1] neg_hi:[0,0,1]
	v_pk_fma_f32 v[104:105], v[152:153], v[136:137], v[112:113] op_sel_hi:[1,0,1]
	v_pk_mul_f32 v[102:103], v[192:193], v[102:103] op_sel_hi:[1,0]
	v_mov_b32_e32 v111, v109
	v_pk_add_f32 v[100:101], v[100:101], v[106:107]
	v_pk_fma_f32 v[106:107], v[152:153], v[136:137], v[112:113] neg_lo:[0,0,1] neg_hi:[0,0,1]
	v_mov_b32_e32 v107, v105
	v_pk_fma_f32 v[104:105], v[154:155], v[138:139], v[102:103] op_sel_hi:[1,0,1]
	s_wait_loadcnt_dscnt 0x100
	v_pk_mul_f32 v[108:109], v[184:185], v[180:181] op_sel:[1,1] op_sel_hi:[0,1]
	v_pk_add_f32 v[100:101], v[100:101], v[110:111]
	v_pk_fma_f32 v[102:103], v[154:155], v[138:139], v[102:103] neg_lo:[0,0,1] neg_hi:[0,0,1]
	v_mov_b32_e32 v103, v105
	s_delay_alu instid0(VALU_DEP_4) | instskip(NEXT) | instid1(VALU_DEP_4)
	v_pk_fma_f32 v[104:105], v[184:185], v[180:181], v[108:109] op_sel_hi:[1,0,1]
	v_pk_add_f32 v[100:101], v[100:101], v[106:107]
	v_pk_fma_f32 v[106:107], v[184:185], v[180:181], v[108:109] neg_lo:[0,0,1] neg_hi:[0,0,1]
	s_delay_alu instid0(VALU_DEP_3) | instskip(NEXT) | instid1(VALU_DEP_3)
	v_mov_b32_e32 v107, v105
	v_pk_add_f32 v[100:101], v[100:101], v[102:103]
	s_delay_alu instid0(VALU_DEP_1) | instskip(SKIP_1) | instid1(VALU_DEP_1)
	v_pk_add_f32 v[100:101], v[100:101], v[106:107]
	s_wait_loadcnt 0x0
	v_pk_add_f32 v[100:101], v[182:183], v[100:101] neg_lo:[0,1] neg_hi:[0,1]
	scratch_store_b64 off, v[100:101], off offset:216
	s_wait_xcnt 0x0
	v_cmpx_lt_u32_e32 26, v0
	s_cbranch_execz .LBB112_255
; %bb.254:
	scratch_load_b64 v[100:101], off, off offset:208
	v_mov_b64_e32 v[102:103], 0
	scratch_store_b64 off, v[102:103], off offset:208
	s_wait_loadcnt 0x0
	ds_store_b64 v1, v[100:101]
.LBB112_255:
	s_wait_xcnt 0x0
	s_or_b32 exec_lo, exec_lo, s0
	s_wait_storecnt_dscnt 0x0
	s_barrier_signal -1
	s_barrier_wait -1
	s_clause 0xb
	scratch_load_b128 v[100:103], off, off offset:216
	scratch_load_b128 v[104:107], off, off offset:232
	;; [unrolled: 1-line block ×11, first 2 shown]
	scratch_load_b64 v[188:189], off, off offset:208
	ds_load_2addr_b64 v[144:147], v7 offset0:91 offset1:92
	ds_load_2addr_b64 v[148:151], v7 offset0:93 offset1:94
	;; [unrolled: 1-line block ×11, first 2 shown]
	s_mov_b32 s0, exec_lo
	s_wait_dscnt 0xa
	v_dual_mov_b32 v190, v147 :: v_dual_mov_b32 v191, v146
	s_wait_dscnt 0x9
	v_dual_mov_b32 v192, v151 :: v_dual_mov_b32 v193, v150
	;; [unrolled: 2-line block ×4, first 2 shown]
	s_wait_loadcnt_dscnt 0xb06
	v_dual_mul_f32 v7, v160, v101 :: v_dual_mul_f32 v9, v162, v103
	v_dual_mul_f32 v31, v161, v101 :: v_dual_mul_f32 v33, v163, v103
	s_wait_loadcnt_dscnt 0xa05
	v_dual_mul_f32 v11, v164, v105 :: v_dual_mul_f32 v13, v166, v107
	s_delay_alu instid0(VALU_DEP_3) | instskip(SKIP_3) | instid1(VALU_DEP_3)
	v_dual_fmac_f32 v7, v161, v100 :: v_dual_fmac_f32 v9, v163, v102
	s_wait_loadcnt_dscnt 0x803
	v_dual_fma_f32 v31, v160, v100, -v31 :: v_dual_mul_f32 v43, v173, v113
	v_dual_mul_f32 v35, v165, v105 :: v_dual_mul_f32 v37, v167, v107
	v_dual_fma_f32 v33, v162, v102, -v33 :: v_dual_add_f32 v7, 0, v7
	s_delay_alu instid0(VALU_DEP_3) | instskip(SKIP_1) | instid1(VALU_DEP_4)
	v_dual_add_f32 v31, 0, v31 :: v_dual_fmac_f32 v11, v165, v104
	v_dual_mul_f32 v15, v168, v109 :: v_dual_mul_f32 v17, v170, v111
	v_dual_mul_f32 v45, v175, v115 :: v_dual_fma_f32 v35, v164, v104, -v35
	s_delay_alu instid0(VALU_DEP_4) | instskip(NEXT) | instid1(VALU_DEP_3)
	v_add_f32_e32 v7, v7, v9
	v_dual_add_f32 v9, v31, v33 :: v_dual_fmac_f32 v15, v169, v108
	v_dual_mul_f32 v39, v169, v109 :: v_dual_mul_f32 v41, v171, v111
	s_wait_loadcnt_dscnt 0x702
	v_dual_mul_f32 v31, v177, v117 :: v_dual_fmac_f32 v13, v167, v106
	v_dual_fma_f32 v33, v166, v106, -v37 :: v_dual_add_f32 v7, v7, v11
	s_delay_alu instid0(VALU_DEP_3) | instskip(SKIP_1) | instid1(VALU_DEP_3)
	v_dual_add_f32 v9, v9, v35 :: v_dual_fma_f32 v35, v168, v108, -v39
	v_dual_mul_f32 v19, v172, v113 :: v_dual_mul_f32 v21, v174, v115
	v_add_f32_e32 v7, v7, v13
	s_delay_alu instid0(VALU_DEP_3) | instskip(SKIP_2) | instid1(VALU_DEP_3)
	v_dual_mul_f32 v11, v179, v119 :: v_dual_add_f32 v9, v9, v33
	s_wait_loadcnt_dscnt 0x601
	v_dual_mul_f32 v13, v181, v121 :: v_dual_fmac_f32 v17, v171, v110
	v_dual_fma_f32 v33, v170, v110, -v41 :: v_dual_add_f32 v7, v7, v15
	s_delay_alu instid0(VALU_DEP_3) | instskip(SKIP_1) | instid1(VALU_DEP_3)
	v_dual_add_f32 v9, v9, v35 :: v_dual_fma_f32 v35, v172, v112, -v43
	v_dual_mul_f32 v15, v183, v123 :: v_dual_fmac_f32 v19, v173, v112
	v_add_f32_e32 v7, v7, v17
	s_delay_alu instid0(VALU_DEP_3)
	v_dual_add_f32 v9, v9, v33 :: v_dual_fmac_f32 v21, v175, v114
	v_dual_mul_f32 v23, v176, v117 :: v_dual_mul_f32 v25, v178, v119
	s_wait_loadcnt_dscnt 0x500
	v_dual_fma_f32 v33, v174, v114, -v45 :: v_dual_mul_f32 v17, v185, v125
	v_add_f32_e32 v7, v7, v19
	v_dual_add_f32 v9, v9, v35 :: v_dual_fma_f32 v31, v176, v116, -v31
	v_dual_mul_f32 v19, v187, v127 :: v_dual_fmac_f32 v23, v177, v116
	s_delay_alu instid0(VALU_DEP_3) | instskip(NEXT) | instid1(VALU_DEP_3)
	v_dual_add_f32 v7, v7, v21 :: v_dual_fma_f32 v11, v178, v118, -v11
	v_dual_add_f32 v9, v9, v33 :: v_dual_fmac_f32 v25, v179, v118
	v_dual_mul_f32 v27, v180, v121 :: v_dual_mul_f32 v29, v182, v123
	s_delay_alu instid0(VALU_DEP_3) | instskip(SKIP_1) | instid1(VALU_DEP_3)
	v_add_f32_e32 v7, v7, v23
	s_wait_loadcnt 0x4
	v_dual_add_f32 v9, v9, v31 :: v_dual_mov_b32 v102, v131
	s_delay_alu instid0(VALU_DEP_3) | instskip(NEXT) | instid1(VALU_DEP_2)
	v_dual_fmac_f32 v27, v181, v120 :: v_dual_fma_f32 v13, v180, v120, -v13
	v_dual_add_f32 v7, v7, v25 :: v_dual_add_f32 v9, v9, v11
	v_dual_fmac_f32 v29, v183, v122 :: v_dual_mul_f32 v199, v184, v125
	v_mul_f32_e32 v201, v186, v127
	s_delay_alu instid0(VALU_DEP_3) | instskip(SKIP_4) | instid1(VALU_DEP_3)
	v_dual_fma_f32 v11, v182, v122, -v15 :: v_dual_add_f32 v7, v7, v27
	s_wait_loadcnt 0x3
	v_dual_add_f32 v9, v9, v13 :: v_dual_mov_b32 v106, v135
	v_pk_mul_f32 v[100:101], v[144:145], v[128:129] op_sel:[1,1] op_sel_hi:[0,1]
	v_dual_fmac_f32 v199, v185, v124 :: v_dual_fma_f32 v198, v184, v124, -v17
	v_dual_add_f32 v109, v7, v29 :: v_dual_add_f32 v108, v9, v11
	v_dual_fmac_f32 v201, v187, v126 :: v_dual_fma_f32 v200, v186, v126, -v19
	s_delay_alu instid0(VALU_DEP_4) | instskip(SKIP_1) | instid1(VALU_DEP_4)
	v_pk_fma_f32 v[110:111], v[144:145], v[128:129], v[100:101] op_sel_hi:[1,0,1]
	v_pk_mul_f32 v[102:103], v[190:191], v[102:103] op_sel_hi:[1,0]
	v_pk_add_f32 v[108:109], v[108:109], v[198:199]
	v_pk_fma_f32 v[100:101], v[144:145], v[128:129], v[100:101] neg_lo:[0,0,1] neg_hi:[0,0,1]
	v_pk_mul_f32 v[104:105], v[148:149], v[132:133] op_sel:[1,1] op_sel_hi:[0,1]
	v_mov_b32_e32 v101, v111
	v_pk_fma_f32 v[110:111], v[146:147], v[130:131], v[102:103] op_sel_hi:[1,0,1]
	v_pk_add_f32 v[108:109], v[108:109], v[200:201]
	v_pk_fma_f32 v[102:103], v[146:147], v[130:131], v[102:103] neg_lo:[0,0,1] neg_hi:[0,0,1]
	v_pk_fma_f32 v[114:115], v[148:149], v[132:133], v[104:105] op_sel_hi:[1,0,1]
	v_pk_mul_f32 v[106:107], v[192:193], v[106:107] op_sel_hi:[1,0]
	v_mov_b32_e32 v103, v111
	v_pk_add_f32 v[100:101], v[108:109], v[100:101]
	s_wait_loadcnt 0x2
	v_pk_mul_f32 v[112:113], v[152:153], v[136:137] op_sel:[1,1] op_sel_hi:[0,1]
	v_mov_b32_e32 v108, v139
	v_pk_fma_f32 v[104:105], v[148:149], v[132:133], v[104:105] neg_lo:[0,0,1] neg_hi:[0,0,1]
	v_mov_b32_e32 v105, v115
	v_pk_fma_f32 v[110:111], v[150:151], v[134:135], v[106:107] op_sel_hi:[1,0,1]
	v_pk_add_f32 v[100:101], v[100:101], v[102:103]
	v_pk_fma_f32 v[102:103], v[152:153], v[136:137], v[112:113] op_sel_hi:[1,0,1]
	v_pk_mul_f32 v[108:109], v[194:195], v[108:109] op_sel_hi:[1,0]
	v_pk_fma_f32 v[106:107], v[150:151], v[134:135], v[106:107] neg_lo:[0,0,1] neg_hi:[0,0,1]
	v_mov_b32_e32 v107, v111
	v_pk_add_f32 v[100:101], v[100:101], v[104:105]
	v_pk_fma_f32 v[110:111], v[152:153], v[136:137], v[112:113] neg_lo:[0,0,1] neg_hi:[0,0,1]
	v_mov_b32_e32 v111, v103
	v_pk_fma_f32 v[102:103], v[154:155], v[138:139], v[108:109] op_sel_hi:[1,0,1]
	s_wait_loadcnt 0x1
	v_pk_mul_f32 v[104:105], v[156:157], v[140:141] op_sel:[1,1] op_sel_hi:[0,1]
	v_pk_add_f32 v[100:101], v[100:101], v[106:107]
	v_mov_b32_e32 v102, v143
	v_pk_fma_f32 v[108:109], v[154:155], v[138:139], v[108:109] neg_lo:[0,0,1] neg_hi:[0,0,1]
	v_mov_b32_e32 v109, v103
	v_pk_fma_f32 v[106:107], v[156:157], v[140:141], v[104:105] op_sel_hi:[1,0,1]
	v_pk_add_f32 v[100:101], v[100:101], v[110:111]
	v_pk_mul_f32 v[102:103], v[196:197], v[102:103] op_sel_hi:[1,0]
	v_pk_fma_f32 v[104:105], v[156:157], v[140:141], v[104:105] neg_lo:[0,0,1] neg_hi:[0,0,1]
	s_delay_alu instid0(VALU_DEP_4) | instskip(NEXT) | instid1(VALU_DEP_4)
	v_mov_b32_e32 v105, v107
	v_pk_add_f32 v[100:101], v[100:101], v[108:109]
	s_delay_alu instid0(VALU_DEP_4) | instskip(SKIP_1) | instid1(VALU_DEP_2)
	v_pk_fma_f32 v[106:107], v[158:159], v[142:143], v[102:103] op_sel_hi:[1,0,1]
	v_pk_fma_f32 v[102:103], v[158:159], v[142:143], v[102:103] neg_lo:[0,0,1] neg_hi:[0,0,1]
	v_mov_b32_e32 v103, v107
	s_delay_alu instid0(VALU_DEP_4) | instskip(NEXT) | instid1(VALU_DEP_1)
	v_pk_add_f32 v[100:101], v[100:101], v[104:105]
	v_pk_add_f32 v[100:101], v[100:101], v[102:103]
	s_wait_loadcnt 0x0
	s_delay_alu instid0(VALU_DEP_1)
	v_pk_add_f32 v[100:101], v[188:189], v[100:101] neg_lo:[0,1] neg_hi:[0,1]
	scratch_store_b64 off, v[100:101], off offset:208
	s_wait_xcnt 0x0
	v_cmpx_lt_u32_e32 25, v0
	s_cbranch_execz .LBB112_257
; %bb.256:
	scratch_load_b64 v[100:101], off, off offset:200
	v_mov_b64_e32 v[102:103], 0
	scratch_store_b64 off, v[102:103], off offset:200
	s_wait_loadcnt 0x0
	ds_store_b64 v1, v[100:101]
.LBB112_257:
	s_wait_xcnt 0x0
	s_or_b32 exec_lo, exec_lo, s0
	s_wait_storecnt_dscnt 0x0
	s_barrier_signal -1
	s_barrier_wait -1
	s_clause 0xc
	scratch_load_b128 v[100:103], off, off offset:208
	scratch_load_b128 v[104:107], off, off offset:224
	;; [unrolled: 1-line block ×11, first 2 shown]
	scratch_load_b64 v[188:189], off, off offset:384
	scratch_load_b64 v[190:191], off, off offset:200
	v_mov_b32_e32 v7, 0
	ds_load_b128 v[144:147], v7 offset:720
	ds_load_b128 v[148:151], v7 offset:736
	ds_load_b128 v[152:155], v7 offset:752
	ds_load_b128 v[156:159], v7 offset:768
	ds_load_b128 v[160:163], v7 offset:608
	ds_load_b128 v[164:167], v7 offset:624
	ds_load_b128 v[168:171], v7 offset:640
	ds_load_b128 v[172:175], v7 offset:656
	ds_load_b128 v[176:179], v7 offset:672
	ds_load_b128 v[180:183], v7 offset:704
	ds_load_b128 v[184:187], v7 offset:688
	ds_load_b64 v[192:193], v7 offset:784
	s_mov_b32 s0, exec_lo
	s_wait_dscnt 0xb
	v_dual_mov_b32 v194, v147 :: v_dual_mov_b32 v195, v146
	s_wait_dscnt 0x8
	v_dual_mov_b32 v196, v151 :: v_dual_mov_b32 v201, v158
	v_dual_mov_b32 v197, v150 :: v_dual_mov_b32 v198, v155
	v_dual_mov_b32 v199, v154 :: v_dual_mov_b32 v200, v159
	s_wait_loadcnt_dscnt 0xc07
	v_dual_mul_f32 v9, v160, v101 :: v_dual_mul_f32 v35, v161, v101
	v_dual_mul_f32 v37, v163, v103 :: v_dual_mul_f32 v11, v162, v103
	s_wait_loadcnt_dscnt 0xb06
	v_mul_f32_e32 v13, v164, v105
	s_wait_loadcnt_dscnt 0x904
	v_dual_mul_f32 v47, v173, v113 :: v_dual_fma_f32 v35, v160, v100, -v35
	v_dual_fmac_f32 v9, v161, v100 :: v_dual_mul_f32 v49, v175, v115
	v_dual_mul_f32 v39, v165, v105 :: v_dual_mul_f32 v41, v167, v107
	v_dual_fmac_f32 v11, v163, v102 :: v_dual_fma_f32 v37, v162, v102, -v37
	s_delay_alu instid0(VALU_DEP_3) | instskip(SKIP_4) | instid1(VALU_DEP_3)
	v_dual_add_f32 v9, 0, v9 :: v_dual_add_f32 v35, 0, v35
	v_dual_mul_f32 v15, v166, v107 :: v_dual_mul_f32 v17, v168, v109
	s_wait_loadcnt_dscnt 0x803
	v_dual_mul_f32 v51, v177, v117 :: v_dual_fma_f32 v39, v164, v104, -v39
	v_fmac_f32_e32 v13, v165, v104
	v_dual_add_f32 v9, v9, v11 :: v_dual_fmac_f32 v15, v167, v106
	v_add_f32_e32 v11, v35, v37
	v_dual_mul_f32 v43, v169, v109 :: v_dual_mul_f32 v45, v171, v111
	v_dual_mul_f32 v35, v179, v119 :: v_dual_fma_f32 v37, v166, v106, -v41
	s_delay_alu instid0(VALU_DEP_3) | instskip(SKIP_3) | instid1(VALU_DEP_3)
	v_dual_add_f32 v9, v9, v13 :: v_dual_add_f32 v11, v11, v39
	v_dual_mul_f32 v19, v170, v111 :: v_dual_mul_f32 v21, v172, v113
	s_wait_loadcnt_dscnt 0x701
	v_dual_mul_f32 v13, v185, v121 :: v_dual_fma_f32 v39, v168, v108, -v43
	v_dual_fmac_f32 v17, v169, v108 :: v_dual_add_f32 v11, v11, v37
	s_delay_alu instid0(VALU_DEP_3) | instskip(SKIP_1) | instid1(VALU_DEP_2)
	v_dual_add_f32 v9, v9, v15 :: v_dual_fmac_f32 v19, v171, v110
	v_dual_mul_f32 v15, v187, v123 :: v_dual_fma_f32 v37, v170, v110, -v45
	v_dual_add_f32 v11, v11, v39 :: v_dual_add_f32 v9, v9, v17
	v_dual_mul_f32 v23, v174, v115 :: v_dual_mul_f32 v25, v176, v117
	s_wait_loadcnt 0x6
	v_dual_mul_f32 v17, v181, v125 :: v_dual_fma_f32 v39, v172, v112, -v47
	s_delay_alu instid0(VALU_DEP_3) | instskip(NEXT) | instid1(VALU_DEP_3)
	v_dual_fmac_f32 v21, v173, v112 :: v_dual_add_f32 v11, v11, v37
	v_dual_add_f32 v9, v9, v19 :: v_dual_fmac_f32 v23, v175, v114
	v_dual_mul_f32 v19, v183, v127 :: v_dual_fma_f32 v37, v174, v114, -v49
	s_delay_alu instid0(VALU_DEP_2) | instskip(SKIP_3) | instid1(VALU_DEP_3)
	v_dual_add_f32 v11, v11, v39 :: v_dual_add_f32 v9, v9, v21
	v_dual_mul_f32 v27, v178, v119 :: v_dual_mul_f32 v29, v184, v121
	s_wait_loadcnt 0x5
	v_dual_mul_f32 v21, v145, v129 :: v_dual_fma_f32 v39, v176, v116, -v51
	v_dual_fmac_f32 v25, v177, v116 :: v_dual_add_f32 v11, v11, v37
	v_dual_add_f32 v9, v9, v23 :: v_dual_mov_b32 v100, v131
	v_fmac_f32_e32 v27, v179, v118
	s_delay_alu instid0(VALU_DEP_3) | instskip(NEXT) | instid1(VALU_DEP_3)
	v_dual_fma_f32 v23, v178, v118, -v35 :: v_dual_add_f32 v11, v11, v39
	v_dual_add_f32 v9, v9, v25 :: v_dual_mul_f32 v31, v186, v123
	v_dual_mul_f32 v33, v180, v125 :: v_dual_fmac_f32 v29, v185, v120
	s_delay_alu instid0(VALU_DEP_3) | instskip(SKIP_1) | instid1(VALU_DEP_3)
	v_dual_add_f32 v11, v11, v23 :: v_dual_fma_f32 v13, v184, v120, -v13
	s_wait_loadcnt 0x4
	v_dual_add_f32 v9, v9, v27 :: v_dual_mov_b32 v104, v135
	v_fma_f32 v15, v186, v122, -v15
	v_fmac_f32_e32 v31, v187, v122
	v_dual_add_f32 v11, v11, v13 :: v_dual_fmac_f32 v33, v181, v124
	s_delay_alu instid0(VALU_DEP_4) | instskip(SKIP_1) | instid1(VALU_DEP_3)
	v_dual_add_f32 v9, v9, v29 :: v_dual_mul_f32 v203, v182, v127
	v_mul_f32_e32 v205, v144, v129
	v_dual_fma_f32 v13, v180, v124, -v17 :: v_dual_add_f32 v11, v11, v15
	s_delay_alu instid0(VALU_DEP_3) | instskip(NEXT) | instid1(VALU_DEP_4)
	v_dual_fma_f32 v202, v182, v126, -v19 :: v_dual_add_f32 v9, v9, v31
	v_fmac_f32_e32 v203, v183, v126
	v_pk_mul_f32 v[100:101], v[194:195], v[100:101] op_sel_hi:[1,0]
	s_delay_alu instid0(VALU_DEP_4) | instskip(NEXT) | instid1(VALU_DEP_4)
	v_dual_add_f32 v108, v11, v13 :: v_dual_fmac_f32 v205, v145, v128
	v_add_f32_e32 v109, v9, v33
	v_pk_mul_f32 v[102:103], v[148:149], v[132:133] op_sel:[1,1] op_sel_hi:[0,1]
	s_wait_loadcnt 0x3
	v_dual_mov_b32 v110, v139 :: v_dual_fma_f32 v204, v144, v128, -v21
	v_pk_fma_f32 v[112:113], v[146:147], v[130:131], v[100:101] op_sel_hi:[1,0,1]
	v_pk_add_f32 v[108:109], v[108:109], v[202:203]
	v_pk_fma_f32 v[100:101], v[146:147], v[130:131], v[100:101] neg_lo:[0,0,1] neg_hi:[0,0,1]
	v_pk_fma_f32 v[114:115], v[148:149], v[132:133], v[102:103] op_sel_hi:[1,0,1]
	v_pk_mul_f32 v[104:105], v[196:197], v[104:105] op_sel_hi:[1,0]
	v_mov_b32_e32 v101, v113
	v_pk_add_f32 v[108:109], v[108:109], v[204:205]
	v_pk_fma_f32 v[102:103], v[148:149], v[132:133], v[102:103] neg_lo:[0,0,1] neg_hi:[0,0,1]
	v_pk_mul_f32 v[106:107], v[152:153], v[136:137] op_sel:[1,1] op_sel_hi:[0,1]
	v_mov_b32_e32 v103, v115
	v_pk_fma_f32 v[114:115], v[150:151], v[134:135], v[104:105] op_sel_hi:[1,0,1]
	v_pk_add_f32 v[100:101], v[108:109], v[100:101]
	v_pk_fma_f32 v[104:105], v[150:151], v[134:135], v[104:105] neg_lo:[0,0,1] neg_hi:[0,0,1]
	v_pk_fma_f32 v[108:109], v[152:153], v[136:137], v[106:107] op_sel_hi:[1,0,1]
	v_pk_mul_f32 v[110:111], v[198:199], v[110:111] op_sel_hi:[1,0]
	v_mov_b32_e32 v105, v115
	v_pk_add_f32 v[100:101], v[100:101], v[102:103]
	v_pk_fma_f32 v[106:107], v[152:153], v[136:137], v[106:107] neg_lo:[0,0,1] neg_hi:[0,0,1]
	s_wait_loadcnt 0x2
	v_pk_mul_f32 v[112:113], v[156:157], v[140:141] op_sel:[1,1] op_sel_hi:[0,1]
	v_dual_mov_b32 v102, v143 :: v_dual_mov_b32 v107, v109
	v_pk_fma_f32 v[108:109], v[154:155], v[138:139], v[110:111] op_sel_hi:[1,0,1]
	v_pk_add_f32 v[100:101], v[100:101], v[104:105]
	v_pk_fma_f32 v[110:111], v[154:155], v[138:139], v[110:111] neg_lo:[0,0,1] neg_hi:[0,0,1]
	v_pk_fma_f32 v[104:105], v[156:157], v[140:141], v[112:113] op_sel_hi:[1,0,1]
	v_pk_mul_f32 v[102:103], v[200:201], v[102:103] op_sel_hi:[1,0]
	v_mov_b32_e32 v111, v109
	v_pk_add_f32 v[100:101], v[100:101], v[106:107]
	v_pk_fma_f32 v[106:107], v[156:157], v[140:141], v[112:113] neg_lo:[0,0,1] neg_hi:[0,0,1]
	v_mov_b32_e32 v107, v105
	v_pk_fma_f32 v[104:105], v[158:159], v[142:143], v[102:103] op_sel_hi:[1,0,1]
	s_wait_loadcnt_dscnt 0x100
	v_pk_mul_f32 v[108:109], v[192:193], v[188:189] op_sel:[1,1] op_sel_hi:[0,1]
	v_pk_add_f32 v[100:101], v[100:101], v[110:111]
	v_pk_fma_f32 v[102:103], v[158:159], v[142:143], v[102:103] neg_lo:[0,0,1] neg_hi:[0,0,1]
	v_mov_b32_e32 v103, v105
	s_delay_alu instid0(VALU_DEP_4) | instskip(NEXT) | instid1(VALU_DEP_4)
	v_pk_fma_f32 v[104:105], v[192:193], v[188:189], v[108:109] op_sel_hi:[1,0,1]
	v_pk_add_f32 v[100:101], v[100:101], v[106:107]
	v_pk_fma_f32 v[106:107], v[192:193], v[188:189], v[108:109] neg_lo:[0,0,1] neg_hi:[0,0,1]
	s_delay_alu instid0(VALU_DEP_3) | instskip(NEXT) | instid1(VALU_DEP_3)
	v_mov_b32_e32 v107, v105
	v_pk_add_f32 v[100:101], v[100:101], v[102:103]
	s_delay_alu instid0(VALU_DEP_1) | instskip(SKIP_1) | instid1(VALU_DEP_1)
	v_pk_add_f32 v[100:101], v[100:101], v[106:107]
	s_wait_loadcnt 0x0
	v_pk_add_f32 v[100:101], v[190:191], v[100:101] neg_lo:[0,1] neg_hi:[0,1]
	scratch_store_b64 off, v[100:101], off offset:200
	s_wait_xcnt 0x0
	v_cmpx_lt_u32_e32 24, v0
	s_cbranch_execz .LBB112_259
; %bb.258:
	scratch_load_b64 v[100:101], off, off offset:192
	v_mov_b64_e32 v[102:103], 0
	scratch_store_b64 off, v[102:103], off offset:192
	s_wait_loadcnt 0x0
	ds_store_b64 v1, v[100:101]
.LBB112_259:
	s_wait_xcnt 0x0
	s_or_b32 exec_lo, exec_lo, s0
	s_wait_storecnt_dscnt 0x0
	s_barrier_signal -1
	s_barrier_wait -1
	s_clause 0xc
	scratch_load_b128 v[100:103], off, off offset:200
	scratch_load_b128 v[104:107], off, off offset:216
	;; [unrolled: 1-line block ×12, first 2 shown]
	scratch_load_b64 v[196:197], off, off offset:192
	ds_load_2addr_b64 v[148:151], v7 offset0:91 offset1:92
	ds_load_2addr_b64 v[152:155], v7 offset0:93 offset1:94
	;; [unrolled: 1-line block ×12, first 2 shown]
	s_mov_b32 s0, exec_lo
	s_wait_dscnt 0xb
	v_dual_mov_b32 v198, v151 :: v_dual_mov_b32 v199, v150
	s_wait_dscnt 0xa
	v_dual_mov_b32 v200, v155 :: v_dual_mov_b32 v201, v154
	;; [unrolled: 2-line block ×4, first 2 shown]
	s_wait_loadcnt_dscnt 0xc07
	v_dual_mul_f32 v7, v164, v101 :: v_dual_mul_f32 v9, v166, v103
	v_dual_mul_f32 v35, v165, v101 :: v_dual_mul_f32 v37, v167, v103
	s_wait_loadcnt_dscnt 0xb06
	v_dual_mul_f32 v11, v168, v105 :: v_dual_mul_f32 v13, v170, v107
	s_delay_alu instid0(VALU_DEP_3) | instskip(SKIP_3) | instid1(VALU_DEP_3)
	v_dual_fmac_f32 v7, v165, v100 :: v_dual_fmac_f32 v9, v167, v102
	s_wait_loadcnt_dscnt 0x904
	v_dual_fma_f32 v35, v164, v100, -v35 :: v_dual_mul_f32 v47, v177, v113
	v_dual_mul_f32 v39, v169, v105 :: v_dual_mul_f32 v41, v171, v107
	v_dual_fma_f32 v37, v166, v102, -v37 :: v_dual_add_f32 v7, 0, v7
	s_delay_alu instid0(VALU_DEP_3) | instskip(SKIP_1) | instid1(VALU_DEP_4)
	v_dual_add_f32 v35, 0, v35 :: v_dual_fmac_f32 v11, v169, v104
	v_dual_mul_f32 v15, v172, v109 :: v_dual_mul_f32 v17, v174, v111
	v_dual_mul_f32 v49, v179, v115 :: v_dual_fma_f32 v39, v168, v104, -v39
	s_delay_alu instid0(VALU_DEP_4) | instskip(NEXT) | instid1(VALU_DEP_3)
	v_add_f32_e32 v7, v7, v9
	v_dual_add_f32 v9, v35, v37 :: v_dual_fmac_f32 v15, v173, v108
	v_dual_mul_f32 v43, v173, v109 :: v_dual_mul_f32 v45, v175, v111
	s_wait_loadcnt_dscnt 0x803
	v_dual_mul_f32 v35, v181, v117 :: v_dual_fmac_f32 v13, v171, v106
	v_dual_fma_f32 v37, v170, v106, -v41 :: v_dual_add_f32 v7, v7, v11
	s_delay_alu instid0(VALU_DEP_3) | instskip(SKIP_1) | instid1(VALU_DEP_3)
	v_dual_add_f32 v9, v9, v39 :: v_dual_fma_f32 v39, v172, v108, -v43
	v_dual_mul_f32 v19, v176, v113 :: v_dual_mul_f32 v21, v178, v115
	v_add_f32_e32 v7, v7, v13
	s_delay_alu instid0(VALU_DEP_3) | instskip(SKIP_2) | instid1(VALU_DEP_3)
	v_dual_mul_f32 v11, v183, v119 :: v_dual_add_f32 v9, v9, v37
	s_wait_loadcnt_dscnt 0x702
	v_dual_mul_f32 v13, v185, v121 :: v_dual_fmac_f32 v17, v175, v110
	v_dual_fma_f32 v37, v174, v110, -v45 :: v_dual_add_f32 v7, v7, v15
	s_delay_alu instid0(VALU_DEP_3) | instskip(SKIP_1) | instid1(VALU_DEP_3)
	v_dual_add_f32 v9, v9, v39 :: v_dual_fma_f32 v39, v176, v112, -v47
	v_dual_mul_f32 v15, v187, v123 :: v_dual_fmac_f32 v19, v177, v112
	v_add_f32_e32 v7, v7, v17
	s_delay_alu instid0(VALU_DEP_3)
	v_dual_add_f32 v9, v9, v37 :: v_dual_fmac_f32 v21, v179, v114
	v_dual_mul_f32 v23, v180, v117 :: v_dual_mul_f32 v25, v182, v119
	s_wait_loadcnt_dscnt 0x601
	v_dual_fma_f32 v37, v178, v114, -v49 :: v_dual_mul_f32 v17, v189, v125
	v_add_f32_e32 v7, v7, v19
	v_dual_add_f32 v9, v9, v39 :: v_dual_fma_f32 v35, v180, v116, -v35
	v_dual_mul_f32 v19, v191, v127 :: v_dual_fmac_f32 v23, v181, v116
	s_delay_alu instid0(VALU_DEP_3) | instskip(NEXT) | instid1(VALU_DEP_3)
	v_dual_add_f32 v7, v7, v21 :: v_dual_fma_f32 v11, v182, v118, -v11
	v_dual_add_f32 v9, v9, v37 :: v_dual_fmac_f32 v25, v183, v118
	v_dual_mul_f32 v27, v184, v121 :: v_dual_mul_f32 v29, v186, v123
	s_wait_loadcnt_dscnt 0x500
	s_delay_alu instid0(VALU_DEP_3) | instskip(NEXT) | instid1(VALU_DEP_3)
	v_dual_mul_f32 v21, v193, v129 :: v_dual_add_f32 v7, v7, v23
	v_dual_add_f32 v9, v9, v35 :: v_dual_fma_f32 v13, v184, v120, -v13
	s_delay_alu instid0(VALU_DEP_3) | instskip(NEXT) | instid1(VALU_DEP_2)
	v_dual_mul_f32 v23, v195, v131 :: v_dual_fmac_f32 v27, v185, v120
	v_dual_add_f32 v7, v7, v25 :: v_dual_add_f32 v9, v9, v11
	v_dual_mul_f32 v31, v188, v125 :: v_dual_mul_f32 v33, v190, v127
	v_dual_fmac_f32 v29, v187, v122 :: v_dual_fma_f32 v11, v186, v122, -v15
	s_delay_alu instid0(VALU_DEP_3) | instskip(SKIP_1) | instid1(VALU_DEP_3)
	v_dual_add_f32 v7, v7, v27 :: v_dual_add_f32 v9, v9, v13
	s_wait_loadcnt 0x4
	v_dual_mov_b32 v102, v135 :: v_dual_fmac_f32 v31, v189, v124
	s_delay_alu instid0(VALU_DEP_2) | instskip(NEXT) | instid1(VALU_DEP_3)
	v_dual_fma_f32 v13, v188, v124, -v17 :: v_dual_add_f32 v7, v7, v29
	v_dual_add_f32 v9, v9, v11 :: v_dual_fmac_f32 v33, v191, v126
	v_dual_mul_f32 v207, v192, v129 :: v_dual_mul_f32 v209, v194, v131
	s_delay_alu instid0(VALU_DEP_3) | instskip(SKIP_1) | instid1(VALU_DEP_3)
	v_dual_fma_f32 v11, v190, v126, -v19 :: v_dual_add_f32 v7, v7, v31
	s_wait_loadcnt 0x3
	v_dual_add_f32 v9, v9, v13 :: v_dual_mov_b32 v106, v139
	v_pk_mul_f32 v[100:101], v[148:149], v[132:133] op_sel:[1,1] op_sel_hi:[0,1]
	v_dual_fmac_f32 v207, v193, v128 :: v_dual_fma_f32 v206, v192, v128, -v21
	s_delay_alu instid0(VALU_DEP_3) | instskip(SKIP_1) | instid1(VALU_DEP_4)
	v_dual_add_f32 v109, v7, v33 :: v_dual_add_f32 v108, v9, v11
	v_dual_fmac_f32 v209, v195, v130 :: v_dual_fma_f32 v208, v194, v130, -v23
	v_pk_fma_f32 v[110:111], v[148:149], v[132:133], v[100:101] op_sel_hi:[1,0,1]
	v_pk_mul_f32 v[102:103], v[198:199], v[102:103] op_sel_hi:[1,0]
	s_delay_alu instid0(VALU_DEP_4)
	v_pk_add_f32 v[108:109], v[108:109], v[206:207]
	v_pk_fma_f32 v[100:101], v[148:149], v[132:133], v[100:101] neg_lo:[0,0,1] neg_hi:[0,0,1]
	v_pk_mul_f32 v[104:105], v[152:153], v[136:137] op_sel:[1,1] op_sel_hi:[0,1]
	v_mov_b32_e32 v101, v111
	v_pk_fma_f32 v[110:111], v[150:151], v[134:135], v[102:103] op_sel_hi:[1,0,1]
	v_pk_add_f32 v[108:109], v[108:109], v[208:209]
	v_pk_fma_f32 v[102:103], v[150:151], v[134:135], v[102:103] neg_lo:[0,0,1] neg_hi:[0,0,1]
	v_pk_fma_f32 v[114:115], v[152:153], v[136:137], v[104:105] op_sel_hi:[1,0,1]
	v_pk_mul_f32 v[106:107], v[200:201], v[106:107] op_sel_hi:[1,0]
	v_mov_b32_e32 v103, v111
	v_pk_add_f32 v[100:101], v[108:109], v[100:101]
	s_wait_loadcnt 0x2
	v_pk_mul_f32 v[112:113], v[156:157], v[140:141] op_sel:[1,1] op_sel_hi:[0,1]
	v_mov_b32_e32 v108, v143
	v_pk_fma_f32 v[104:105], v[152:153], v[136:137], v[104:105] neg_lo:[0,0,1] neg_hi:[0,0,1]
	v_mov_b32_e32 v105, v115
	v_pk_fma_f32 v[110:111], v[154:155], v[138:139], v[106:107] op_sel_hi:[1,0,1]
	v_pk_add_f32 v[100:101], v[100:101], v[102:103]
	v_pk_fma_f32 v[102:103], v[156:157], v[140:141], v[112:113] op_sel_hi:[1,0,1]
	v_pk_mul_f32 v[108:109], v[202:203], v[108:109] op_sel_hi:[1,0]
	v_pk_fma_f32 v[106:107], v[154:155], v[138:139], v[106:107] neg_lo:[0,0,1] neg_hi:[0,0,1]
	v_mov_b32_e32 v107, v111
	v_pk_add_f32 v[100:101], v[100:101], v[104:105]
	v_pk_fma_f32 v[110:111], v[156:157], v[140:141], v[112:113] neg_lo:[0,0,1] neg_hi:[0,0,1]
	v_mov_b32_e32 v111, v103
	v_pk_fma_f32 v[102:103], v[158:159], v[142:143], v[108:109] op_sel_hi:[1,0,1]
	s_wait_loadcnt 0x1
	v_pk_mul_f32 v[104:105], v[160:161], v[144:145] op_sel:[1,1] op_sel_hi:[0,1]
	v_pk_add_f32 v[100:101], v[100:101], v[106:107]
	v_mov_b32_e32 v102, v147
	v_pk_fma_f32 v[108:109], v[158:159], v[142:143], v[108:109] neg_lo:[0,0,1] neg_hi:[0,0,1]
	v_mov_b32_e32 v109, v103
	v_pk_fma_f32 v[106:107], v[160:161], v[144:145], v[104:105] op_sel_hi:[1,0,1]
	v_pk_add_f32 v[100:101], v[100:101], v[110:111]
	v_pk_mul_f32 v[102:103], v[204:205], v[102:103] op_sel_hi:[1,0]
	v_pk_fma_f32 v[104:105], v[160:161], v[144:145], v[104:105] neg_lo:[0,0,1] neg_hi:[0,0,1]
	s_delay_alu instid0(VALU_DEP_4) | instskip(NEXT) | instid1(VALU_DEP_4)
	v_mov_b32_e32 v105, v107
	v_pk_add_f32 v[100:101], v[100:101], v[108:109]
	s_delay_alu instid0(VALU_DEP_4) | instskip(SKIP_1) | instid1(VALU_DEP_2)
	v_pk_fma_f32 v[106:107], v[162:163], v[146:147], v[102:103] op_sel_hi:[1,0,1]
	v_pk_fma_f32 v[102:103], v[162:163], v[146:147], v[102:103] neg_lo:[0,0,1] neg_hi:[0,0,1]
	v_mov_b32_e32 v103, v107
	s_delay_alu instid0(VALU_DEP_4) | instskip(NEXT) | instid1(VALU_DEP_1)
	v_pk_add_f32 v[100:101], v[100:101], v[104:105]
	v_pk_add_f32 v[100:101], v[100:101], v[102:103]
	s_wait_loadcnt 0x0
	s_delay_alu instid0(VALU_DEP_1)
	v_pk_add_f32 v[100:101], v[196:197], v[100:101] neg_lo:[0,1] neg_hi:[0,1]
	scratch_store_b64 off, v[100:101], off offset:192
	s_wait_xcnt 0x0
	v_cmpx_lt_u32_e32 23, v0
	s_cbranch_execz .LBB112_261
; %bb.260:
	scratch_load_b64 v[100:101], off, off offset:184
	v_mov_b64_e32 v[102:103], 0
	scratch_store_b64 off, v[102:103], off offset:184
	s_wait_loadcnt 0x0
	ds_store_b64 v1, v[100:101]
.LBB112_261:
	s_wait_xcnt 0x0
	s_or_b32 exec_lo, exec_lo, s0
	s_wait_storecnt_dscnt 0x0
	s_barrier_signal -1
	s_barrier_wait -1
	s_clause 0xd
	scratch_load_b128 v[100:103], off, off offset:192
	scratch_load_b128 v[104:107], off, off offset:208
	;; [unrolled: 1-line block ×12, first 2 shown]
	scratch_load_b64 v[196:197], off, off offset:384
	scratch_load_b64 v[198:199], off, off offset:184
	v_mov_b32_e32 v7, 0
	ds_load_b128 v[148:151], v7 offset:720
	ds_load_b128 v[152:155], v7 offset:736
	;; [unrolled: 1-line block ×12, first 2 shown]
	ds_load_b64 v[200:201], v7 offset:784
	s_mov_b32 s0, exec_lo
	s_wait_dscnt 0xc
	v_dual_mov_b32 v202, v151 :: v_dual_mov_b32 v203, v150
	s_wait_dscnt 0x9
	v_dual_mov_b32 v204, v155 :: v_dual_mov_b32 v209, v162
	v_dual_mov_b32 v205, v154 :: v_dual_mov_b32 v206, v159
	;; [unrolled: 1-line block ×3, first 2 shown]
	s_wait_loadcnt_dscnt 0xd08
	v_dual_mul_f32 v9, v164, v101 :: v_dual_mul_f32 v39, v165, v101
	v_dual_mul_f32 v41, v167, v103 :: v_dual_mul_f32 v11, v166, v103
	s_wait_loadcnt_dscnt 0xc07
	v_mul_f32_e32 v13, v168, v105
	s_wait_loadcnt_dscnt 0xa05
	v_dual_mul_f32 v51, v177, v113 :: v_dual_fma_f32 v39, v164, v100, -v39
	v_dual_fmac_f32 v9, v165, v100 :: v_dual_mul_f32 v53, v179, v115
	v_dual_mul_f32 v43, v169, v105 :: v_dual_mul_f32 v45, v171, v107
	v_dual_fmac_f32 v11, v167, v102 :: v_dual_fma_f32 v41, v166, v102, -v41
	s_delay_alu instid0(VALU_DEP_3) | instskip(SKIP_4) | instid1(VALU_DEP_3)
	v_dual_add_f32 v9, 0, v9 :: v_dual_add_f32 v39, 0, v39
	v_dual_mul_f32 v15, v170, v107 :: v_dual_mul_f32 v17, v172, v109
	s_wait_loadcnt_dscnt 0x904
	v_dual_mul_f32 v55, v181, v117 :: v_dual_fma_f32 v43, v168, v104, -v43
	v_fmac_f32_e32 v13, v169, v104
	v_dual_add_f32 v9, v9, v11 :: v_dual_fmac_f32 v15, v171, v106
	v_add_f32_e32 v11, v39, v41
	v_dual_mul_f32 v47, v173, v109 :: v_dual_mul_f32 v49, v175, v111
	v_dual_mul_f32 v39, v183, v119 :: v_dual_fma_f32 v41, v170, v106, -v45
	s_delay_alu instid0(VALU_DEP_3) | instskip(SKIP_3) | instid1(VALU_DEP_3)
	v_dual_add_f32 v9, v9, v13 :: v_dual_add_f32 v11, v11, v43
	v_dual_mul_f32 v19, v174, v111 :: v_dual_mul_f32 v21, v176, v113
	s_wait_loadcnt_dscnt 0x803
	v_dual_mul_f32 v13, v185, v121 :: v_dual_fma_f32 v43, v172, v108, -v47
	v_dual_fmac_f32 v17, v173, v108 :: v_dual_add_f32 v11, v11, v41
	s_delay_alu instid0(VALU_DEP_3) | instskip(SKIP_1) | instid1(VALU_DEP_2)
	v_dual_add_f32 v9, v9, v15 :: v_dual_fmac_f32 v19, v175, v110
	v_dual_mul_f32 v15, v187, v123 :: v_dual_fma_f32 v41, v174, v110, -v49
	v_dual_add_f32 v11, v11, v43 :: v_dual_add_f32 v9, v9, v17
	v_dual_mul_f32 v23, v178, v115 :: v_dual_mul_f32 v25, v180, v117
	s_wait_loadcnt_dscnt 0x702
	v_dual_mul_f32 v17, v189, v125 :: v_dual_fma_f32 v43, v176, v112, -v51
	s_delay_alu instid0(VALU_DEP_3) | instskip(NEXT) | instid1(VALU_DEP_3)
	v_dual_fmac_f32 v21, v177, v112 :: v_dual_add_f32 v11, v11, v41
	v_dual_add_f32 v9, v9, v19 :: v_dual_fmac_f32 v23, v179, v114
	v_dual_mul_f32 v19, v191, v127 :: v_dual_fma_f32 v41, v178, v114, -v53
	s_delay_alu instid0(VALU_DEP_2) | instskip(SKIP_3) | instid1(VALU_DEP_3)
	v_dual_add_f32 v11, v11, v43 :: v_dual_add_f32 v9, v9, v21
	v_dual_mul_f32 v27, v182, v119 :: v_dual_mul_f32 v29, v184, v121
	s_wait_loadcnt_dscnt 0x601
	v_dual_mul_f32 v21, v193, v129 :: v_dual_fma_f32 v43, v180, v116, -v55
	v_dual_fmac_f32 v25, v181, v116 :: v_dual_add_f32 v11, v11, v41
	s_delay_alu instid0(VALU_DEP_3) | instskip(SKIP_1) | instid1(VALU_DEP_2)
	v_dual_add_f32 v9, v9, v23 :: v_dual_fmac_f32 v27, v183, v118
	v_dual_mul_f32 v23, v195, v131 :: v_dual_fma_f32 v39, v182, v118, -v39
	v_dual_add_f32 v11, v11, v43 :: v_dual_add_f32 v9, v9, v25
	v_dual_mul_f32 v31, v186, v123 :: v_dual_mul_f32 v33, v188, v125
	s_wait_loadcnt 0x5
	v_dual_mul_f32 v25, v149, v133 :: v_dual_fma_f32 v13, v184, v120, -v13
	s_delay_alu instid0(VALU_DEP_3) | instskip(SKIP_2) | instid1(VALU_DEP_3)
	v_dual_fmac_f32 v29, v185, v120 :: v_dual_add_f32 v11, v11, v39
	v_dual_add_f32 v9, v9, v27 :: v_dual_mov_b32 v100, v135
	v_fmac_f32_e32 v31, v187, v122
	v_dual_fma_f32 v15, v186, v122, -v15 :: v_dual_add_f32 v11, v11, v13
	s_delay_alu instid0(VALU_DEP_3) | instskip(SKIP_1) | instid1(VALU_DEP_3)
	v_dual_add_f32 v9, v9, v29 :: v_dual_mul_f32 v35, v190, v127
	v_dual_mul_f32 v37, v192, v129 :: v_dual_fmac_f32 v33, v189, v124
	v_dual_add_f32 v11, v11, v15 :: v_dual_fma_f32 v13, v188, v124, -v17
	s_wait_loadcnt 0x4
	s_delay_alu instid0(VALU_DEP_3) | instskip(SKIP_3) | instid1(VALU_DEP_4)
	v_dual_add_f32 v9, v9, v31 :: v_dual_mov_b32 v104, v139
	v_fma_f32 v15, v190, v126, -v19
	v_fmac_f32_e32 v35, v191, v126
	v_dual_add_f32 v11, v11, v13 :: v_dual_fmac_f32 v37, v193, v128
	v_dual_add_f32 v9, v9, v33 :: v_dual_mul_f32 v211, v194, v131
	v_mul_f32_e32 v213, v148, v133
	s_delay_alu instid0(VALU_DEP_3) | instskip(NEXT) | instid1(VALU_DEP_3)
	v_dual_fma_f32 v13, v192, v128, -v21 :: v_dual_add_f32 v11, v11, v15
	v_dual_fma_f32 v210, v194, v130, -v23 :: v_dual_add_f32 v9, v9, v35
	s_delay_alu instid0(VALU_DEP_4) | instskip(SKIP_1) | instid1(VALU_DEP_4)
	v_fmac_f32_e32 v211, v195, v130
	v_pk_mul_f32 v[100:101], v[202:203], v[100:101] op_sel_hi:[1,0]
	v_dual_add_f32 v108, v11, v13 :: v_dual_fmac_f32 v213, v149, v132
	s_delay_alu instid0(VALU_DEP_4)
	v_add_f32_e32 v109, v9, v37
	v_pk_mul_f32 v[102:103], v[152:153], v[136:137] op_sel:[1,1] op_sel_hi:[0,1]
	s_wait_loadcnt 0x3
	v_dual_mov_b32 v110, v143 :: v_dual_fma_f32 v212, v148, v132, -v25
	v_pk_fma_f32 v[112:113], v[150:151], v[134:135], v[100:101] op_sel_hi:[1,0,1]
	v_pk_add_f32 v[108:109], v[108:109], v[210:211]
	v_pk_fma_f32 v[100:101], v[150:151], v[134:135], v[100:101] neg_lo:[0,0,1] neg_hi:[0,0,1]
	v_pk_fma_f32 v[114:115], v[152:153], v[136:137], v[102:103] op_sel_hi:[1,0,1]
	v_pk_mul_f32 v[104:105], v[204:205], v[104:105] op_sel_hi:[1,0]
	v_mov_b32_e32 v101, v113
	v_pk_add_f32 v[108:109], v[108:109], v[212:213]
	v_pk_fma_f32 v[102:103], v[152:153], v[136:137], v[102:103] neg_lo:[0,0,1] neg_hi:[0,0,1]
	v_pk_mul_f32 v[106:107], v[156:157], v[140:141] op_sel:[1,1] op_sel_hi:[0,1]
	v_mov_b32_e32 v103, v115
	v_pk_fma_f32 v[114:115], v[154:155], v[138:139], v[104:105] op_sel_hi:[1,0,1]
	v_pk_add_f32 v[100:101], v[108:109], v[100:101]
	v_pk_fma_f32 v[104:105], v[154:155], v[138:139], v[104:105] neg_lo:[0,0,1] neg_hi:[0,0,1]
	v_pk_fma_f32 v[108:109], v[156:157], v[140:141], v[106:107] op_sel_hi:[1,0,1]
	v_pk_mul_f32 v[110:111], v[206:207], v[110:111] op_sel_hi:[1,0]
	v_mov_b32_e32 v105, v115
	v_pk_add_f32 v[100:101], v[100:101], v[102:103]
	v_pk_fma_f32 v[106:107], v[156:157], v[140:141], v[106:107] neg_lo:[0,0,1] neg_hi:[0,0,1]
	s_wait_loadcnt 0x2
	v_pk_mul_f32 v[112:113], v[160:161], v[144:145] op_sel:[1,1] op_sel_hi:[0,1]
	v_dual_mov_b32 v102, v147 :: v_dual_mov_b32 v107, v109
	v_pk_fma_f32 v[108:109], v[158:159], v[142:143], v[110:111] op_sel_hi:[1,0,1]
	v_pk_add_f32 v[100:101], v[100:101], v[104:105]
	v_pk_fma_f32 v[110:111], v[158:159], v[142:143], v[110:111] neg_lo:[0,0,1] neg_hi:[0,0,1]
	v_pk_fma_f32 v[104:105], v[160:161], v[144:145], v[112:113] op_sel_hi:[1,0,1]
	v_pk_mul_f32 v[102:103], v[208:209], v[102:103] op_sel_hi:[1,0]
	v_mov_b32_e32 v111, v109
	v_pk_add_f32 v[100:101], v[100:101], v[106:107]
	v_pk_fma_f32 v[106:107], v[160:161], v[144:145], v[112:113] neg_lo:[0,0,1] neg_hi:[0,0,1]
	v_mov_b32_e32 v107, v105
	v_pk_fma_f32 v[104:105], v[162:163], v[146:147], v[102:103] op_sel_hi:[1,0,1]
	s_wait_loadcnt_dscnt 0x100
	v_pk_mul_f32 v[108:109], v[200:201], v[196:197] op_sel:[1,1] op_sel_hi:[0,1]
	v_pk_add_f32 v[100:101], v[100:101], v[110:111]
	v_pk_fma_f32 v[102:103], v[162:163], v[146:147], v[102:103] neg_lo:[0,0,1] neg_hi:[0,0,1]
	v_mov_b32_e32 v103, v105
	s_delay_alu instid0(VALU_DEP_4) | instskip(NEXT) | instid1(VALU_DEP_4)
	v_pk_fma_f32 v[104:105], v[200:201], v[196:197], v[108:109] op_sel_hi:[1,0,1]
	v_pk_add_f32 v[100:101], v[100:101], v[106:107]
	v_pk_fma_f32 v[106:107], v[200:201], v[196:197], v[108:109] neg_lo:[0,0,1] neg_hi:[0,0,1]
	s_delay_alu instid0(VALU_DEP_3) | instskip(NEXT) | instid1(VALU_DEP_3)
	v_mov_b32_e32 v107, v105
	v_pk_add_f32 v[100:101], v[100:101], v[102:103]
	s_delay_alu instid0(VALU_DEP_1) | instskip(SKIP_1) | instid1(VALU_DEP_1)
	v_pk_add_f32 v[100:101], v[100:101], v[106:107]
	s_wait_loadcnt 0x0
	v_pk_add_f32 v[100:101], v[198:199], v[100:101] neg_lo:[0,1] neg_hi:[0,1]
	scratch_store_b64 off, v[100:101], off offset:184
	s_wait_xcnt 0x0
	v_cmpx_lt_u32_e32 22, v0
	s_cbranch_execz .LBB112_263
; %bb.262:
	scratch_load_b64 v[100:101], off, off offset:176
	v_mov_b64_e32 v[102:103], 0
	scratch_store_b64 off, v[102:103], off offset:176
	s_wait_loadcnt 0x0
	ds_store_b64 v1, v[100:101]
.LBB112_263:
	s_wait_xcnt 0x0
	s_or_b32 exec_lo, exec_lo, s0
	s_wait_storecnt_dscnt 0x0
	s_barrier_signal -1
	s_barrier_wait -1
	s_clause 0xd
	scratch_load_b128 v[100:103], off, off offset:184
	scratch_load_b128 v[104:107], off, off offset:200
	;; [unrolled: 1-line block ×13, first 2 shown]
	scratch_load_b64 v[204:205], off, off offset:176
	ds_load_2addr_b64 v[152:155], v7 offset0:91 offset1:92
	ds_load_2addr_b64 v[156:159], v7 offset0:93 offset1:94
	;; [unrolled: 1-line block ×13, first 2 shown]
	s_mov_b32 s0, exec_lo
	s_wait_dscnt 0xc
	v_dual_mov_b32 v206, v155 :: v_dual_mov_b32 v207, v154
	s_wait_dscnt 0xb
	v_dual_mov_b32 v208, v159 :: v_dual_mov_b32 v209, v158
	s_wait_dscnt 0xa
	v_dual_mov_b32 v210, v163 :: v_dual_mov_b32 v211, v162
	s_wait_dscnt 0x9
	v_dual_mov_b32 v212, v167 :: v_dual_mov_b32 v213, v166
	s_wait_loadcnt_dscnt 0xd08
	v_dual_mul_f32 v7, v168, v101 :: v_dual_mul_f32 v9, v170, v103
	v_dual_mul_f32 v39, v169, v101 :: v_dual_mul_f32 v41, v171, v103
	s_wait_loadcnt_dscnt 0xc07
	v_dual_mul_f32 v11, v172, v105 :: v_dual_mul_f32 v13, v174, v107
	s_delay_alu instid0(VALU_DEP_3) | instskip(SKIP_3) | instid1(VALU_DEP_3)
	v_dual_fmac_f32 v7, v169, v100 :: v_dual_fmac_f32 v9, v171, v102
	s_wait_loadcnt_dscnt 0xa05
	v_dual_fma_f32 v39, v168, v100, -v39 :: v_dual_mul_f32 v51, v181, v113
	v_dual_mul_f32 v43, v173, v105 :: v_dual_mul_f32 v45, v175, v107
	v_dual_fma_f32 v41, v170, v102, -v41 :: v_dual_add_f32 v7, 0, v7
	s_delay_alu instid0(VALU_DEP_3) | instskip(SKIP_1) | instid1(VALU_DEP_4)
	v_dual_add_f32 v39, 0, v39 :: v_dual_fmac_f32 v11, v173, v104
	v_dual_mul_f32 v15, v176, v109 :: v_dual_mul_f32 v17, v178, v111
	v_dual_mul_f32 v53, v183, v115 :: v_dual_fma_f32 v43, v172, v104, -v43
	s_delay_alu instid0(VALU_DEP_4) | instskip(NEXT) | instid1(VALU_DEP_3)
	v_add_f32_e32 v7, v7, v9
	v_dual_add_f32 v9, v39, v41 :: v_dual_fmac_f32 v15, v177, v108
	v_dual_mul_f32 v47, v177, v109 :: v_dual_mul_f32 v49, v179, v111
	s_wait_loadcnt_dscnt 0x903
	v_dual_mul_f32 v39, v189, v117 :: v_dual_fmac_f32 v13, v175, v106
	v_dual_fma_f32 v41, v174, v106, -v45 :: v_dual_add_f32 v7, v7, v11
	s_delay_alu instid0(VALU_DEP_3) | instskip(SKIP_1) | instid1(VALU_DEP_3)
	v_dual_add_f32 v9, v9, v43 :: v_dual_fma_f32 v43, v176, v108, -v47
	v_dual_mul_f32 v19, v180, v113 :: v_dual_mul_f32 v21, v182, v115
	v_add_f32_e32 v7, v7, v13
	s_delay_alu instid0(VALU_DEP_3) | instskip(SKIP_2) | instid1(VALU_DEP_3)
	v_dual_mul_f32 v11, v191, v119 :: v_dual_add_f32 v9, v9, v41
	s_wait_loadcnt_dscnt 0x802
	v_dual_mul_f32 v13, v193, v121 :: v_dual_fmac_f32 v17, v179, v110
	v_dual_fma_f32 v41, v178, v110, -v49 :: v_dual_add_f32 v7, v7, v15
	s_delay_alu instid0(VALU_DEP_3) | instskip(SKIP_1) | instid1(VALU_DEP_3)
	v_dual_add_f32 v9, v9, v43 :: v_dual_fma_f32 v43, v180, v112, -v51
	v_dual_mul_f32 v15, v195, v123 :: v_dual_fmac_f32 v19, v181, v112
	v_add_f32_e32 v7, v7, v17
	s_delay_alu instid0(VALU_DEP_3)
	v_dual_add_f32 v9, v9, v41 :: v_dual_fmac_f32 v21, v183, v114
	v_dual_mul_f32 v23, v188, v117 :: v_dual_mul_f32 v25, v190, v119
	s_wait_loadcnt_dscnt 0x701
	v_dual_fma_f32 v41, v182, v114, -v53 :: v_dual_mul_f32 v17, v197, v125
	v_add_f32_e32 v7, v7, v19
	v_dual_add_f32 v9, v9, v43 :: v_dual_fma_f32 v39, v188, v116, -v39
	v_dual_mul_f32 v19, v199, v127 :: v_dual_fmac_f32 v23, v189, v116
	s_delay_alu instid0(VALU_DEP_3) | instskip(NEXT) | instid1(VALU_DEP_3)
	v_dual_add_f32 v7, v7, v21 :: v_dual_fma_f32 v11, v190, v118, -v11
	v_dual_add_f32 v9, v9, v41 :: v_dual_fmac_f32 v25, v191, v118
	v_dual_mul_f32 v27, v192, v121 :: v_dual_mul_f32 v29, v194, v123
	s_wait_loadcnt_dscnt 0x600
	s_delay_alu instid0(VALU_DEP_3) | instskip(NEXT) | instid1(VALU_DEP_3)
	v_dual_mul_f32 v21, v201, v129 :: v_dual_add_f32 v7, v7, v23
	v_dual_add_f32 v9, v9, v39 :: v_dual_fma_f32 v13, v192, v120, -v13
	s_delay_alu instid0(VALU_DEP_3) | instskip(NEXT) | instid1(VALU_DEP_2)
	v_dual_mul_f32 v23, v203, v131 :: v_dual_fmac_f32 v27, v193, v120
	v_dual_add_f32 v7, v7, v25 :: v_dual_add_f32 v9, v9, v11
	v_dual_mul_f32 v31, v196, v125 :: v_dual_mul_f32 v33, v198, v127
	s_wait_loadcnt 0x5
	v_dual_mul_f32 v11, v185, v133 :: v_dual_fmac_f32 v29, v195, v122
	s_delay_alu instid0(VALU_DEP_3) | instskip(SKIP_2) | instid1(VALU_DEP_2)
	v_dual_fma_f32 v15, v194, v122, -v15 :: v_dual_add_f32 v7, v7, v27
	v_dual_add_f32 v9, v9, v13 :: v_dual_mul_f32 v13, v187, v135
	v_dual_fmac_f32 v31, v197, v124 :: v_dual_fma_f32 v17, v196, v124, -v17
	v_dual_add_f32 v7, v7, v29 :: v_dual_add_f32 v9, v9, v15
	v_dual_mul_f32 v35, v200, v129 :: v_dual_mul_f32 v37, v202, v131
	v_dual_fmac_f32 v33, v199, v126 :: v_dual_fma_f32 v15, v198, v126, -v19
	s_delay_alu instid0(VALU_DEP_3) | instskip(SKIP_1) | instid1(VALU_DEP_3)
	v_dual_add_f32 v7, v7, v31 :: v_dual_add_f32 v9, v9, v17
	s_wait_loadcnt 0x4
	v_dual_mov_b32 v102, v139 :: v_dual_fmac_f32 v35, v201, v128
	s_delay_alu instid0(VALU_DEP_2) | instskip(NEXT) | instid1(VALU_DEP_3)
	v_dual_fma_f32 v17, v200, v128, -v21 :: v_dual_add_f32 v7, v7, v33
	v_dual_add_f32 v9, v9, v15 :: v_dual_fmac_f32 v37, v203, v130
	v_dual_mul_f32 v215, v184, v133 :: v_dual_mul_f32 v217, v186, v135
	s_delay_alu instid0(VALU_DEP_3) | instskip(SKIP_1) | instid1(VALU_DEP_3)
	v_dual_fma_f32 v15, v202, v130, -v23 :: v_dual_add_f32 v7, v7, v35
	s_wait_loadcnt 0x3
	v_dual_add_f32 v9, v9, v17 :: v_dual_mov_b32 v106, v143
	v_pk_mul_f32 v[100:101], v[152:153], v[136:137] op_sel:[1,1] op_sel_hi:[0,1]
	s_delay_alu instid0(VALU_DEP_3) | instskip(NEXT) | instid1(VALU_DEP_3)
	v_dual_fmac_f32 v215, v185, v132 :: v_dual_add_f32 v109, v7, v37
	v_dual_fma_f32 v214, v184, v132, -v11 :: v_dual_add_f32 v108, v9, v15
	v_fmac_f32_e32 v217, v187, v134
	s_delay_alu instid0(VALU_DEP_4)
	v_pk_fma_f32 v[110:111], v[152:153], v[136:137], v[100:101] op_sel_hi:[1,0,1]
	v_fma_f32 v216, v186, v134, -v13
	v_pk_mul_f32 v[102:103], v[206:207], v[102:103] op_sel_hi:[1,0]
	v_pk_add_f32 v[108:109], v[108:109], v[214:215]
	v_pk_fma_f32 v[100:101], v[152:153], v[136:137], v[100:101] neg_lo:[0,0,1] neg_hi:[0,0,1]
	v_pk_mul_f32 v[104:105], v[156:157], v[140:141] op_sel:[1,1] op_sel_hi:[0,1]
	v_mov_b32_e32 v101, v111
	v_pk_fma_f32 v[110:111], v[154:155], v[138:139], v[102:103] op_sel_hi:[1,0,1]
	v_pk_add_f32 v[108:109], v[108:109], v[216:217]
	v_pk_fma_f32 v[102:103], v[154:155], v[138:139], v[102:103] neg_lo:[0,0,1] neg_hi:[0,0,1]
	v_pk_fma_f32 v[114:115], v[156:157], v[140:141], v[104:105] op_sel_hi:[1,0,1]
	v_pk_mul_f32 v[106:107], v[208:209], v[106:107] op_sel_hi:[1,0]
	v_mov_b32_e32 v103, v111
	v_pk_add_f32 v[100:101], v[108:109], v[100:101]
	s_wait_loadcnt 0x2
	v_pk_mul_f32 v[112:113], v[160:161], v[144:145] op_sel:[1,1] op_sel_hi:[0,1]
	v_mov_b32_e32 v108, v147
	v_pk_fma_f32 v[104:105], v[156:157], v[140:141], v[104:105] neg_lo:[0,0,1] neg_hi:[0,0,1]
	v_pk_fma_f32 v[110:111], v[158:159], v[142:143], v[106:107] op_sel_hi:[1,0,1]
	v_mov_b32_e32 v105, v115
	v_pk_add_f32 v[100:101], v[100:101], v[102:103]
	v_pk_fma_f32 v[102:103], v[160:161], v[144:145], v[112:113] op_sel_hi:[1,0,1]
	v_pk_mul_f32 v[108:109], v[210:211], v[108:109] op_sel_hi:[1,0]
	v_pk_fma_f32 v[106:107], v[158:159], v[142:143], v[106:107] neg_lo:[0,0,1] neg_hi:[0,0,1]
	v_mov_b32_e32 v107, v111
	v_pk_add_f32 v[100:101], v[100:101], v[104:105]
	v_pk_fma_f32 v[110:111], v[160:161], v[144:145], v[112:113] neg_lo:[0,0,1] neg_hi:[0,0,1]
	v_mov_b32_e32 v111, v103
	v_pk_fma_f32 v[102:103], v[162:163], v[146:147], v[108:109] op_sel_hi:[1,0,1]
	s_wait_loadcnt 0x1
	v_pk_mul_f32 v[104:105], v[164:165], v[148:149] op_sel:[1,1] op_sel_hi:[0,1]
	v_pk_add_f32 v[100:101], v[100:101], v[106:107]
	v_mov_b32_e32 v102, v151
	v_pk_fma_f32 v[108:109], v[162:163], v[146:147], v[108:109] neg_lo:[0,0,1] neg_hi:[0,0,1]
	s_delay_alu instid0(VALU_DEP_4)
	v_pk_fma_f32 v[106:107], v[164:165], v[148:149], v[104:105] op_sel_hi:[1,0,1]
	v_mov_b32_e32 v109, v103
	v_pk_add_f32 v[100:101], v[100:101], v[110:111]
	v_pk_mul_f32 v[102:103], v[212:213], v[102:103] op_sel_hi:[1,0]
	v_pk_fma_f32 v[104:105], v[164:165], v[148:149], v[104:105] neg_lo:[0,0,1] neg_hi:[0,0,1]
	v_mov_b32_e32 v105, v107
	s_delay_alu instid0(VALU_DEP_4) | instskip(NEXT) | instid1(VALU_DEP_4)
	v_pk_add_f32 v[100:101], v[100:101], v[108:109]
	v_pk_fma_f32 v[106:107], v[166:167], v[150:151], v[102:103] op_sel_hi:[1,0,1]
	v_pk_fma_f32 v[102:103], v[166:167], v[150:151], v[102:103] neg_lo:[0,0,1] neg_hi:[0,0,1]
	s_delay_alu instid0(VALU_DEP_3) | instskip(NEXT) | instid1(VALU_DEP_3)
	v_pk_add_f32 v[100:101], v[100:101], v[104:105]
	v_mov_b32_e32 v103, v107
	s_delay_alu instid0(VALU_DEP_1) | instskip(SKIP_1) | instid1(VALU_DEP_1)
	v_pk_add_f32 v[100:101], v[100:101], v[102:103]
	s_wait_loadcnt 0x0
	v_pk_add_f32 v[100:101], v[204:205], v[100:101] neg_lo:[0,1] neg_hi:[0,1]
	scratch_store_b64 off, v[100:101], off offset:176
	s_wait_xcnt 0x0
	v_cmpx_lt_u32_e32 21, v0
	s_cbranch_execz .LBB112_265
; %bb.264:
	scratch_load_b64 v[100:101], off, off offset:168
	v_mov_b64_e32 v[102:103], 0
	scratch_store_b64 off, v[102:103], off offset:168
	s_wait_loadcnt 0x0
	ds_store_b64 v1, v[100:101]
.LBB112_265:
	s_wait_xcnt 0x0
	s_or_b32 exec_lo, exec_lo, s0
	s_wait_storecnt_dscnt 0x0
	s_barrier_signal -1
	s_barrier_wait -1
	s_clause 0xe
	scratch_load_b128 v[100:103], off, off offset:176
	scratch_load_b128 v[104:107], off, off offset:192
	;; [unrolled: 1-line block ×13, first 2 shown]
	scratch_load_b64 v[204:205], off, off offset:384
	scratch_load_b64 v[206:207], off, off offset:168
	v_mov_b32_e32 v7, 0
	ds_load_b128 v[152:155], v7 offset:720
	ds_load_b128 v[156:159], v7 offset:736
	;; [unrolled: 1-line block ×13, first 2 shown]
	ds_load_b64 v[208:209], v7 offset:784
	s_mov_b32 s0, exec_lo
	s_wait_dscnt 0xd
	v_dual_mov_b32 v210, v155 :: v_dual_mov_b32 v211, v154
	s_wait_dscnt 0xa
	v_dual_mov_b32 v212, v159 :: v_dual_mov_b32 v217, v166
	v_dual_mov_b32 v213, v158 :: v_dual_mov_b32 v214, v163
	;; [unrolled: 1-line block ×3, first 2 shown]
	s_wait_loadcnt_dscnt 0xe09
	v_dual_mul_f32 v9, v168, v101 :: v_dual_mul_f32 v43, v169, v101
	v_dual_mul_f32 v45, v171, v103 :: v_dual_mul_f32 v11, v170, v103
	s_wait_loadcnt_dscnt 0xd08
	v_mul_f32_e32 v13, v172, v105
	s_wait_loadcnt_dscnt 0xb05
	v_dual_mul_f32 v55, v185, v113 :: v_dual_fma_f32 v43, v168, v100, -v43
	v_dual_fmac_f32 v9, v169, v100 :: v_dual_mul_f32 v57, v187, v115
	v_dual_mul_f32 v47, v173, v105 :: v_dual_mul_f32 v49, v175, v107
	v_dual_fmac_f32 v11, v171, v102 :: v_dual_fma_f32 v45, v170, v102, -v45
	s_delay_alu instid0(VALU_DEP_3) | instskip(SKIP_4) | instid1(VALU_DEP_3)
	v_dual_add_f32 v9, 0, v9 :: v_dual_add_f32 v43, 0, v43
	v_dual_mul_f32 v15, v174, v107 :: v_dual_mul_f32 v17, v176, v109
	s_wait_loadcnt_dscnt 0xa04
	v_dual_mul_f32 v59, v189, v117 :: v_dual_fma_f32 v47, v172, v104, -v47
	v_fmac_f32_e32 v13, v173, v104
	v_dual_add_f32 v9, v9, v11 :: v_dual_fmac_f32 v15, v175, v106
	v_add_f32_e32 v11, v43, v45
	v_dual_mul_f32 v51, v177, v109 :: v_dual_mul_f32 v53, v179, v111
	v_dual_mul_f32 v43, v191, v119 :: v_dual_fma_f32 v45, v174, v106, -v49
	s_delay_alu instid0(VALU_DEP_3) | instskip(SKIP_3) | instid1(VALU_DEP_3)
	v_dual_add_f32 v9, v9, v13 :: v_dual_add_f32 v11, v11, v47
	v_dual_mul_f32 v19, v178, v111 :: v_dual_mul_f32 v21, v184, v113
	s_wait_loadcnt_dscnt 0x903
	v_dual_mul_f32 v13, v193, v121 :: v_dual_fma_f32 v47, v176, v108, -v51
	v_dual_fmac_f32 v17, v177, v108 :: v_dual_add_f32 v11, v11, v45
	s_delay_alu instid0(VALU_DEP_3) | instskip(SKIP_1) | instid1(VALU_DEP_2)
	v_dual_add_f32 v9, v9, v15 :: v_dual_fmac_f32 v19, v179, v110
	v_dual_mul_f32 v15, v195, v123 :: v_dual_fma_f32 v45, v178, v110, -v53
	v_dual_add_f32 v11, v11, v47 :: v_dual_add_f32 v9, v9, v17
	v_dual_mul_f32 v23, v186, v115 :: v_dual_mul_f32 v25, v188, v117
	s_wait_loadcnt_dscnt 0x802
	v_dual_mul_f32 v17, v197, v125 :: v_dual_fma_f32 v47, v184, v112, -v55
	s_delay_alu instid0(VALU_DEP_3) | instskip(NEXT) | instid1(VALU_DEP_3)
	v_dual_fmac_f32 v21, v185, v112 :: v_dual_add_f32 v11, v11, v45
	v_dual_add_f32 v9, v9, v19 :: v_dual_fmac_f32 v23, v187, v114
	v_dual_mul_f32 v19, v199, v127 :: v_dual_fma_f32 v45, v186, v114, -v57
	s_delay_alu instid0(VALU_DEP_2) | instskip(SKIP_3) | instid1(VALU_DEP_3)
	v_dual_add_f32 v11, v11, v47 :: v_dual_add_f32 v9, v9, v21
	v_dual_mul_f32 v27, v190, v119 :: v_dual_mul_f32 v29, v192, v121
	s_wait_loadcnt_dscnt 0x701
	v_dual_mul_f32 v21, v201, v129 :: v_dual_fma_f32 v47, v188, v116, -v59
	v_dual_fmac_f32 v25, v189, v116 :: v_dual_add_f32 v11, v11, v45
	s_delay_alu instid0(VALU_DEP_3) | instskip(SKIP_1) | instid1(VALU_DEP_2)
	v_dual_add_f32 v9, v9, v23 :: v_dual_fmac_f32 v27, v191, v118
	v_dual_mul_f32 v23, v203, v131 :: v_dual_fma_f32 v43, v190, v118, -v43
	v_dual_add_f32 v11, v11, v47 :: v_dual_add_f32 v9, v9, v25
	v_dual_mul_f32 v31, v194, v123 :: v_dual_mul_f32 v33, v196, v125
	s_wait_loadcnt 0x6
	v_dual_mul_f32 v25, v181, v133 :: v_dual_fma_f32 v13, v192, v120, -v13
	s_delay_alu instid0(VALU_DEP_3) | instskip(NEXT) | instid1(VALU_DEP_3)
	v_dual_fmac_f32 v29, v193, v120 :: v_dual_add_f32 v11, v11, v43
	v_dual_add_f32 v9, v9, v27 :: v_dual_fmac_f32 v31, v195, v122
	v_dual_mul_f32 v27, v183, v135 :: v_dual_fma_f32 v15, v194, v122, -v15
	s_delay_alu instid0(VALU_DEP_3) | instskip(NEXT) | instid1(VALU_DEP_3)
	v_dual_add_f32 v11, v11, v13 :: v_dual_fmac_f32 v33, v197, v124
	v_dual_add_f32 v9, v9, v29 :: v_dual_fma_f32 v17, v196, v124, -v17
	v_dual_mul_f32 v35, v198, v127 :: v_dual_mul_f32 v37, v200, v129
	s_wait_loadcnt 0x5
	s_delay_alu instid0(VALU_DEP_3) | instskip(NEXT) | instid1(VALU_DEP_3)
	v_dual_mul_f32 v13, v153, v137 :: v_dual_add_f32 v11, v11, v15
	v_dual_add_f32 v9, v9, v31 :: v_dual_mov_b32 v100, v139
	s_delay_alu instid0(VALU_DEP_3) | instskip(NEXT) | instid1(VALU_DEP_3)
	v_fmac_f32_e32 v35, v199, v126
	v_dual_fma_f32 v15, v198, v126, -v19 :: v_dual_add_f32 v11, v11, v17
	s_delay_alu instid0(VALU_DEP_3) | instskip(SKIP_1) | instid1(VALU_DEP_3)
	v_dual_add_f32 v9, v9, v33 :: v_dual_mul_f32 v39, v202, v131
	v_dual_mul_f32 v41, v180, v133 :: v_dual_fmac_f32 v37, v201, v128
	v_dual_add_f32 v11, v11, v15 :: v_dual_fma_f32 v17, v200, v128, -v21
	s_wait_loadcnt 0x4
	s_delay_alu instid0(VALU_DEP_3) | instskip(SKIP_3) | instid1(VALU_DEP_4)
	v_dual_add_f32 v9, v9, v35 :: v_dual_mov_b32 v104, v143
	v_fma_f32 v15, v202, v130, -v23
	v_fmac_f32_e32 v39, v203, v130
	v_dual_add_f32 v11, v11, v17 :: v_dual_fmac_f32 v41, v181, v132
	v_dual_add_f32 v9, v9, v37 :: v_dual_mul_f32 v219, v182, v135
	v_mul_f32_e32 v221, v152, v137
	s_delay_alu instid0(VALU_DEP_3) | instskip(NEXT) | instid1(VALU_DEP_3)
	v_dual_fma_f32 v17, v180, v132, -v25 :: v_dual_add_f32 v11, v11, v15
	v_dual_fma_f32 v218, v182, v134, -v27 :: v_dual_add_f32 v9, v9, v39
	s_delay_alu instid0(VALU_DEP_4) | instskip(SKIP_1) | instid1(VALU_DEP_4)
	v_fmac_f32_e32 v219, v183, v134
	v_pk_mul_f32 v[100:101], v[210:211], v[100:101] op_sel_hi:[1,0]
	v_dual_add_f32 v108, v11, v17 :: v_dual_fmac_f32 v221, v153, v136
	s_delay_alu instid0(VALU_DEP_4)
	v_add_f32_e32 v109, v9, v41
	v_pk_mul_f32 v[102:103], v[156:157], v[140:141] op_sel:[1,1] op_sel_hi:[0,1]
	s_wait_loadcnt 0x3
	v_dual_mov_b32 v110, v147 :: v_dual_fma_f32 v220, v152, v136, -v13
	v_pk_fma_f32 v[112:113], v[154:155], v[138:139], v[100:101] op_sel_hi:[1,0,1]
	v_pk_add_f32 v[108:109], v[108:109], v[218:219]
	v_pk_fma_f32 v[100:101], v[154:155], v[138:139], v[100:101] neg_lo:[0,0,1] neg_hi:[0,0,1]
	v_pk_fma_f32 v[114:115], v[156:157], v[140:141], v[102:103] op_sel_hi:[1,0,1]
	v_pk_mul_f32 v[104:105], v[212:213], v[104:105] op_sel_hi:[1,0]
	v_mov_b32_e32 v101, v113
	v_pk_add_f32 v[108:109], v[108:109], v[220:221]
	v_pk_fma_f32 v[102:103], v[156:157], v[140:141], v[102:103] neg_lo:[0,0,1] neg_hi:[0,0,1]
	v_pk_mul_f32 v[106:107], v[160:161], v[144:145] op_sel:[1,1] op_sel_hi:[0,1]
	v_mov_b32_e32 v103, v115
	v_pk_fma_f32 v[114:115], v[158:159], v[142:143], v[104:105] op_sel_hi:[1,0,1]
	v_pk_add_f32 v[100:101], v[108:109], v[100:101]
	v_pk_fma_f32 v[104:105], v[158:159], v[142:143], v[104:105] neg_lo:[0,0,1] neg_hi:[0,0,1]
	v_pk_fma_f32 v[108:109], v[160:161], v[144:145], v[106:107] op_sel_hi:[1,0,1]
	v_pk_mul_f32 v[110:111], v[214:215], v[110:111] op_sel_hi:[1,0]
	v_mov_b32_e32 v105, v115
	v_pk_add_f32 v[100:101], v[100:101], v[102:103]
	v_pk_fma_f32 v[106:107], v[160:161], v[144:145], v[106:107] neg_lo:[0,0,1] neg_hi:[0,0,1]
	s_wait_loadcnt 0x2
	v_pk_mul_f32 v[112:113], v[164:165], v[148:149] op_sel:[1,1] op_sel_hi:[0,1]
	v_dual_mov_b32 v102, v151 :: v_dual_mov_b32 v107, v109
	v_pk_fma_f32 v[108:109], v[162:163], v[146:147], v[110:111] op_sel_hi:[1,0,1]
	v_pk_add_f32 v[100:101], v[100:101], v[104:105]
	v_pk_fma_f32 v[110:111], v[162:163], v[146:147], v[110:111] neg_lo:[0,0,1] neg_hi:[0,0,1]
	v_pk_fma_f32 v[104:105], v[164:165], v[148:149], v[112:113] op_sel_hi:[1,0,1]
	v_pk_mul_f32 v[102:103], v[216:217], v[102:103] op_sel_hi:[1,0]
	v_mov_b32_e32 v111, v109
	v_pk_add_f32 v[100:101], v[100:101], v[106:107]
	v_pk_fma_f32 v[106:107], v[164:165], v[148:149], v[112:113] neg_lo:[0,0,1] neg_hi:[0,0,1]
	v_mov_b32_e32 v107, v105
	v_pk_fma_f32 v[104:105], v[166:167], v[150:151], v[102:103] op_sel_hi:[1,0,1]
	s_wait_loadcnt_dscnt 0x100
	v_pk_mul_f32 v[108:109], v[208:209], v[204:205] op_sel:[1,1] op_sel_hi:[0,1]
	v_pk_add_f32 v[100:101], v[100:101], v[110:111]
	v_pk_fma_f32 v[102:103], v[166:167], v[150:151], v[102:103] neg_lo:[0,0,1] neg_hi:[0,0,1]
	v_mov_b32_e32 v103, v105
	s_delay_alu instid0(VALU_DEP_4) | instskip(NEXT) | instid1(VALU_DEP_4)
	v_pk_fma_f32 v[104:105], v[208:209], v[204:205], v[108:109] op_sel_hi:[1,0,1]
	v_pk_add_f32 v[100:101], v[100:101], v[106:107]
	v_pk_fma_f32 v[106:107], v[208:209], v[204:205], v[108:109] neg_lo:[0,0,1] neg_hi:[0,0,1]
	s_delay_alu instid0(VALU_DEP_3) | instskip(NEXT) | instid1(VALU_DEP_3)
	v_mov_b32_e32 v107, v105
	v_pk_add_f32 v[100:101], v[100:101], v[102:103]
	s_delay_alu instid0(VALU_DEP_1) | instskip(SKIP_1) | instid1(VALU_DEP_1)
	v_pk_add_f32 v[100:101], v[100:101], v[106:107]
	s_wait_loadcnt 0x0
	v_pk_add_f32 v[100:101], v[206:207], v[100:101] neg_lo:[0,1] neg_hi:[0,1]
	scratch_store_b64 off, v[100:101], off offset:168
	s_wait_xcnt 0x0
	v_cmpx_lt_u32_e32 20, v0
	s_cbranch_execz .LBB112_267
; %bb.266:
	scratch_load_b64 v[100:101], off, off offset:160
	v_mov_b64_e32 v[102:103], 0
	scratch_store_b64 off, v[102:103], off offset:160
	s_wait_loadcnt 0x0
	ds_store_b64 v1, v[100:101]
.LBB112_267:
	s_wait_xcnt 0x0
	s_or_b32 exec_lo, exec_lo, s0
	s_wait_storecnt_dscnt 0x0
	s_barrier_signal -1
	s_barrier_wait -1
	s_clause 0xe
	scratch_load_b128 v[100:103], off, off offset:168
	scratch_load_b128 v[104:107], off, off offset:184
	;; [unrolled: 1-line block ×14, first 2 shown]
	scratch_load_b64 v[212:213], off, off offset:160
	ds_load_2addr_b64 v[156:159], v7 offset0:91 offset1:92
	ds_load_2addr_b64 v[160:163], v7 offset0:93 offset1:94
	ds_load_2addr_b64 v[164:167], v7 offset0:95 offset1:96
	ds_load_2addr_b64 v[168:171], v7 offset0:97 offset1:98
	ds_load_2addr_b64 v[172:175], v7 offset0:71 offset1:72
	ds_load_2addr_b64 v[176:179], v7 offset0:73 offset1:74
	ds_load_2addr_b64 v[180:183], v7 offset0:75 offset1:76
	ds_load_2addr_b64 v[184:187], v7 offset0:77 offset1:78
	ds_load_2addr_b64 v[188:191], v7 offset0:79 offset1:80
	ds_load_2addr_b64 v[192:195], v7 offset0:81 offset1:82
	ds_load_2addr_b64 v[196:199], v7 offset0:83 offset1:84
	ds_load_2addr_b64 v[200:203], v7 offset0:85 offset1:86
	ds_load_2addr_b64 v[204:207], v7 offset0:87 offset1:88
	ds_load_2addr_b64 v[208:211], v7 offset0:89 offset1:90
	s_mov_b32 s0, exec_lo
	s_wait_dscnt 0xd
	v_dual_mov_b32 v214, v159 :: v_dual_mov_b32 v215, v158
	s_wait_dscnt 0xc
	v_dual_mov_b32 v216, v163 :: v_dual_mov_b32 v217, v162
	;; [unrolled: 2-line block ×4, first 2 shown]
	s_wait_loadcnt_dscnt 0xe09
	v_dual_mul_f32 v7, v172, v101 :: v_dual_mul_f32 v9, v174, v103
	v_dual_mul_f32 v43, v173, v101 :: v_dual_mul_f32 v45, v175, v103
	s_wait_loadcnt_dscnt 0xd08
	v_dual_mul_f32 v11, v176, v105 :: v_dual_mul_f32 v13, v178, v107
	s_delay_alu instid0(VALU_DEP_3) | instskip(SKIP_3) | instid1(VALU_DEP_3)
	v_dual_fmac_f32 v7, v173, v100 :: v_dual_fmac_f32 v9, v175, v102
	s_wait_loadcnt_dscnt 0xb06
	v_dual_fma_f32 v43, v172, v100, -v43 :: v_dual_mul_f32 v55, v185, v113
	v_dual_mul_f32 v47, v177, v105 :: v_dual_mul_f32 v49, v179, v107
	v_dual_fma_f32 v45, v174, v102, -v45 :: v_dual_add_f32 v7, 0, v7
	s_delay_alu instid0(VALU_DEP_3) | instskip(SKIP_1) | instid1(VALU_DEP_4)
	v_dual_add_f32 v43, 0, v43 :: v_dual_fmac_f32 v11, v177, v104
	v_dual_mul_f32 v15, v180, v109 :: v_dual_mul_f32 v17, v182, v111
	v_dual_mul_f32 v57, v187, v115 :: v_dual_fma_f32 v47, v176, v104, -v47
	s_delay_alu instid0(VALU_DEP_4) | instskip(NEXT) | instid1(VALU_DEP_3)
	v_add_f32_e32 v7, v7, v9
	v_dual_add_f32 v9, v43, v45 :: v_dual_fmac_f32 v15, v181, v108
	v_dual_mul_f32 v51, v181, v109 :: v_dual_mul_f32 v53, v183, v111
	s_wait_loadcnt_dscnt 0xa05
	v_dual_mul_f32 v43, v189, v117 :: v_dual_fmac_f32 v13, v179, v106
	v_dual_fma_f32 v45, v178, v106, -v49 :: v_dual_add_f32 v7, v7, v11
	s_delay_alu instid0(VALU_DEP_3) | instskip(SKIP_1) | instid1(VALU_DEP_3)
	v_dual_add_f32 v9, v9, v47 :: v_dual_fma_f32 v47, v180, v108, -v51
	v_dual_mul_f32 v19, v184, v113 :: v_dual_mul_f32 v21, v186, v115
	v_add_f32_e32 v7, v7, v13
	s_delay_alu instid0(VALU_DEP_3) | instskip(SKIP_2) | instid1(VALU_DEP_3)
	v_dual_mul_f32 v11, v191, v119 :: v_dual_add_f32 v9, v9, v45
	s_wait_loadcnt_dscnt 0x904
	v_dual_mul_f32 v13, v193, v121 :: v_dual_fmac_f32 v17, v183, v110
	v_dual_fma_f32 v45, v182, v110, -v53 :: v_dual_add_f32 v7, v7, v15
	s_delay_alu instid0(VALU_DEP_3) | instskip(SKIP_1) | instid1(VALU_DEP_3)
	v_dual_add_f32 v9, v9, v47 :: v_dual_fma_f32 v47, v184, v112, -v55
	v_dual_mul_f32 v15, v195, v123 :: v_dual_fmac_f32 v19, v185, v112
	v_add_f32_e32 v7, v7, v17
	s_delay_alu instid0(VALU_DEP_3)
	v_dual_add_f32 v9, v9, v45 :: v_dual_fmac_f32 v21, v187, v114
	v_dual_mul_f32 v23, v188, v117 :: v_dual_mul_f32 v25, v190, v119
	s_wait_loadcnt_dscnt 0x803
	v_dual_fma_f32 v45, v186, v114, -v57 :: v_dual_mul_f32 v17, v197, v125
	v_add_f32_e32 v7, v7, v19
	v_dual_add_f32 v9, v9, v47 :: v_dual_fma_f32 v43, v188, v116, -v43
	v_dual_mul_f32 v19, v199, v127 :: v_dual_fmac_f32 v23, v189, v116
	s_delay_alu instid0(VALU_DEP_3) | instskip(NEXT) | instid1(VALU_DEP_3)
	v_dual_add_f32 v7, v7, v21 :: v_dual_fma_f32 v11, v190, v118, -v11
	v_dual_add_f32 v9, v9, v45 :: v_dual_fmac_f32 v25, v191, v118
	v_dual_mul_f32 v27, v192, v121 :: v_dual_mul_f32 v29, v194, v123
	s_wait_loadcnt_dscnt 0x702
	s_delay_alu instid0(VALU_DEP_3) | instskip(NEXT) | instid1(VALU_DEP_3)
	v_dual_mul_f32 v21, v201, v129 :: v_dual_add_f32 v7, v7, v23
	v_dual_add_f32 v9, v9, v43 :: v_dual_fma_f32 v13, v192, v120, -v13
	s_delay_alu instid0(VALU_DEP_3) | instskip(NEXT) | instid1(VALU_DEP_2)
	v_dual_mul_f32 v23, v203, v131 :: v_dual_fmac_f32 v27, v193, v120
	v_dual_add_f32 v7, v7, v25 :: v_dual_add_f32 v9, v9, v11
	v_dual_mul_f32 v31, v196, v125 :: v_dual_mul_f32 v33, v198, v127
	s_wait_loadcnt_dscnt 0x601
	v_dual_mul_f32 v11, v205, v133 :: v_dual_fmac_f32 v29, v195, v122
	s_delay_alu instid0(VALU_DEP_3) | instskip(SKIP_2) | instid1(VALU_DEP_2)
	v_dual_fma_f32 v15, v194, v122, -v15 :: v_dual_add_f32 v7, v7, v27
	v_dual_add_f32 v9, v9, v13 :: v_dual_mul_f32 v13, v207, v135
	v_dual_fmac_f32 v31, v197, v124 :: v_dual_fma_f32 v17, v196, v124, -v17
	v_dual_add_f32 v7, v7, v29 :: v_dual_add_f32 v9, v9, v15
	v_dual_mul_f32 v35, v200, v129 :: v_dual_mul_f32 v37, v202, v131
	s_wait_loadcnt_dscnt 0x500
	v_dual_mul_f32 v15, v209, v137 :: v_dual_fmac_f32 v33, v199, v126
	s_delay_alu instid0(VALU_DEP_3) | instskip(SKIP_2) | instid1(VALU_DEP_2)
	v_dual_fma_f32 v19, v198, v126, -v19 :: v_dual_add_f32 v7, v7, v31
	v_dual_add_f32 v9, v9, v17 :: v_dual_mul_f32 v17, v211, v139
	v_dual_fmac_f32 v35, v201, v128 :: v_dual_fma_f32 v21, v200, v128, -v21
	v_dual_add_f32 v7, v7, v33 :: v_dual_add_f32 v9, v9, v19
	v_dual_mul_f32 v39, v204, v133 :: v_dual_mul_f32 v41, v206, v135
	v_dual_fmac_f32 v37, v203, v130 :: v_dual_fma_f32 v19, v202, v130, -v23
	s_delay_alu instid0(VALU_DEP_3) | instskip(SKIP_1) | instid1(VALU_DEP_3)
	v_dual_add_f32 v7, v7, v35 :: v_dual_add_f32 v9, v9, v21
	s_wait_loadcnt 0x4
	v_dual_mov_b32 v102, v143 :: v_dual_fmac_f32 v39, v205, v132
	s_delay_alu instid0(VALU_DEP_2) | instskip(NEXT) | instid1(VALU_DEP_3)
	v_dual_fma_f32 v11, v204, v132, -v11 :: v_dual_add_f32 v7, v7, v37
	v_dual_add_f32 v9, v9, v19 :: v_dual_fmac_f32 v41, v207, v134
	v_dual_mul_f32 v223, v208, v137 :: v_dual_mul_f32 v225, v210, v139
	s_delay_alu instid0(VALU_DEP_3) | instskip(SKIP_1) | instid1(VALU_DEP_3)
	v_dual_fma_f32 v13, v206, v134, -v13 :: v_dual_add_f32 v7, v7, v39
	s_wait_loadcnt 0x3
	v_dual_add_f32 v9, v9, v11 :: v_dual_mov_b32 v106, v147
	v_pk_mul_f32 v[100:101], v[156:157], v[140:141] op_sel:[1,1] op_sel_hi:[0,1]
	s_delay_alu instid0(VALU_DEP_3) | instskip(NEXT) | instid1(VALU_DEP_3)
	v_dual_fmac_f32 v223, v209, v136 :: v_dual_add_f32 v109, v7, v41
	v_dual_fma_f32 v222, v208, v136, -v15 :: v_dual_add_f32 v108, v9, v13
	v_fmac_f32_e32 v225, v211, v138
	s_delay_alu instid0(VALU_DEP_4)
	v_pk_fma_f32 v[110:111], v[156:157], v[140:141], v[100:101] op_sel_hi:[1,0,1]
	v_fma_f32 v224, v210, v138, -v17
	v_pk_mul_f32 v[102:103], v[214:215], v[102:103] op_sel_hi:[1,0]
	v_pk_add_f32 v[108:109], v[108:109], v[222:223]
	v_pk_fma_f32 v[100:101], v[156:157], v[140:141], v[100:101] neg_lo:[0,0,1] neg_hi:[0,0,1]
	v_pk_mul_f32 v[104:105], v[160:161], v[144:145] op_sel:[1,1] op_sel_hi:[0,1]
	v_mov_b32_e32 v101, v111
	v_pk_fma_f32 v[110:111], v[158:159], v[142:143], v[102:103] op_sel_hi:[1,0,1]
	v_pk_add_f32 v[108:109], v[108:109], v[224:225]
	v_pk_fma_f32 v[102:103], v[158:159], v[142:143], v[102:103] neg_lo:[0,0,1] neg_hi:[0,0,1]
	v_pk_fma_f32 v[114:115], v[160:161], v[144:145], v[104:105] op_sel_hi:[1,0,1]
	v_pk_mul_f32 v[106:107], v[216:217], v[106:107] op_sel_hi:[1,0]
	v_mov_b32_e32 v103, v111
	v_pk_add_f32 v[100:101], v[108:109], v[100:101]
	s_wait_loadcnt 0x2
	v_pk_mul_f32 v[112:113], v[164:165], v[148:149] op_sel:[1,1] op_sel_hi:[0,1]
	v_mov_b32_e32 v108, v151
	v_pk_fma_f32 v[104:105], v[160:161], v[144:145], v[104:105] neg_lo:[0,0,1] neg_hi:[0,0,1]
	v_pk_fma_f32 v[110:111], v[162:163], v[146:147], v[106:107] op_sel_hi:[1,0,1]
	v_mov_b32_e32 v105, v115
	v_pk_add_f32 v[100:101], v[100:101], v[102:103]
	v_pk_fma_f32 v[102:103], v[164:165], v[148:149], v[112:113] op_sel_hi:[1,0,1]
	v_pk_mul_f32 v[108:109], v[218:219], v[108:109] op_sel_hi:[1,0]
	v_pk_fma_f32 v[106:107], v[162:163], v[146:147], v[106:107] neg_lo:[0,0,1] neg_hi:[0,0,1]
	v_mov_b32_e32 v107, v111
	v_pk_add_f32 v[100:101], v[100:101], v[104:105]
	v_pk_fma_f32 v[110:111], v[164:165], v[148:149], v[112:113] neg_lo:[0,0,1] neg_hi:[0,0,1]
	v_mov_b32_e32 v111, v103
	v_pk_fma_f32 v[102:103], v[166:167], v[150:151], v[108:109] op_sel_hi:[1,0,1]
	s_wait_loadcnt 0x1
	v_pk_mul_f32 v[104:105], v[168:169], v[152:153] op_sel:[1,1] op_sel_hi:[0,1]
	v_pk_add_f32 v[100:101], v[100:101], v[106:107]
	v_mov_b32_e32 v102, v155
	v_pk_fma_f32 v[108:109], v[166:167], v[150:151], v[108:109] neg_lo:[0,0,1] neg_hi:[0,0,1]
	s_delay_alu instid0(VALU_DEP_4)
	v_pk_fma_f32 v[106:107], v[168:169], v[152:153], v[104:105] op_sel_hi:[1,0,1]
	v_mov_b32_e32 v109, v103
	v_pk_add_f32 v[100:101], v[100:101], v[110:111]
	v_pk_mul_f32 v[102:103], v[220:221], v[102:103] op_sel_hi:[1,0]
	v_pk_fma_f32 v[104:105], v[168:169], v[152:153], v[104:105] neg_lo:[0,0,1] neg_hi:[0,0,1]
	v_mov_b32_e32 v105, v107
	s_delay_alu instid0(VALU_DEP_4) | instskip(NEXT) | instid1(VALU_DEP_4)
	v_pk_add_f32 v[100:101], v[100:101], v[108:109]
	v_pk_fma_f32 v[106:107], v[170:171], v[154:155], v[102:103] op_sel_hi:[1,0,1]
	v_pk_fma_f32 v[102:103], v[170:171], v[154:155], v[102:103] neg_lo:[0,0,1] neg_hi:[0,0,1]
	s_delay_alu instid0(VALU_DEP_3) | instskip(NEXT) | instid1(VALU_DEP_3)
	v_pk_add_f32 v[100:101], v[100:101], v[104:105]
	v_mov_b32_e32 v103, v107
	s_delay_alu instid0(VALU_DEP_1) | instskip(SKIP_1) | instid1(VALU_DEP_1)
	v_pk_add_f32 v[100:101], v[100:101], v[102:103]
	s_wait_loadcnt 0x0
	v_pk_add_f32 v[100:101], v[212:213], v[100:101] neg_lo:[0,1] neg_hi:[0,1]
	scratch_store_b64 off, v[100:101], off offset:160
	s_wait_xcnt 0x0
	v_cmpx_lt_u32_e32 19, v0
	s_cbranch_execz .LBB112_269
; %bb.268:
	scratch_load_b64 v[100:101], off, off offset:152
	v_mov_b64_e32 v[102:103], 0
	scratch_store_b64 off, v[102:103], off offset:152
	s_wait_loadcnt 0x0
	ds_store_b64 v1, v[100:101]
.LBB112_269:
	s_wait_xcnt 0x0
	s_or_b32 exec_lo, exec_lo, s0
	s_wait_storecnt_dscnt 0x0
	s_barrier_signal -1
	s_barrier_wait -1
	s_clause 0xf
	scratch_load_b128 v[100:103], off, off offset:160
	scratch_load_b128 v[104:107], off, off offset:176
	;; [unrolled: 1-line block ×14, first 2 shown]
	scratch_load_b64 v[212:213], off, off offset:384
	scratch_load_b64 v[214:215], off, off offset:152
	v_mov_b32_e32 v7, 0
	ds_load_b128 v[156:159], v7 offset:720
	ds_load_b128 v[160:163], v7 offset:736
	;; [unrolled: 1-line block ×14, first 2 shown]
	ds_load_b64 v[216:217], v7 offset:784
	s_mov_b32 s0, exec_lo
	s_wait_dscnt 0xe
	v_dual_mov_b32 v218, v159 :: v_dual_mov_b32 v219, v158
	s_wait_dscnt 0xb
	v_dual_mov_b32 v220, v163 :: v_dual_mov_b32 v225, v170
	v_dual_mov_b32 v221, v162 :: v_dual_mov_b32 v222, v167
	;; [unrolled: 1-line block ×3, first 2 shown]
	s_wait_loadcnt_dscnt 0xf0a
	v_dual_mul_f32 v9, v172, v101 :: v_dual_mul_f32 v47, v173, v101
	v_dual_mul_f32 v49, v175, v103 :: v_dual_mul_f32 v11, v174, v103
	s_wait_loadcnt_dscnt 0xe09
	v_mul_f32_e32 v13, v176, v105
	s_wait_loadcnt_dscnt 0xc07
	v_dual_mul_f32 v59, v185, v113 :: v_dual_fma_f32 v47, v172, v100, -v47
	v_dual_fmac_f32 v9, v173, v100 :: v_dual_mul_f32 v61, v187, v115
	v_dual_mul_f32 v51, v177, v105 :: v_dual_mul_f32 v53, v179, v107
	v_dual_fmac_f32 v11, v175, v102 :: v_dual_fma_f32 v49, v174, v102, -v49
	s_delay_alu instid0(VALU_DEP_3) | instskip(SKIP_4) | instid1(VALU_DEP_3)
	v_dual_add_f32 v9, 0, v9 :: v_dual_add_f32 v47, 0, v47
	v_dual_mul_f32 v15, v178, v107 :: v_dual_mul_f32 v17, v180, v109
	s_wait_loadcnt_dscnt 0xb06
	v_dual_mul_f32 v63, v189, v117 :: v_dual_fma_f32 v51, v176, v104, -v51
	v_fmac_f32_e32 v13, v177, v104
	v_dual_add_f32 v9, v9, v11 :: v_dual_fmac_f32 v15, v179, v106
	v_add_f32_e32 v11, v47, v49
	v_dual_mul_f32 v55, v181, v109 :: v_dual_mul_f32 v57, v183, v111
	v_dual_mul_f32 v47, v191, v119 :: v_dual_fma_f32 v49, v178, v106, -v53
	s_delay_alu instid0(VALU_DEP_3) | instskip(SKIP_3) | instid1(VALU_DEP_3)
	v_dual_add_f32 v9, v9, v13 :: v_dual_add_f32 v11, v11, v51
	v_dual_mul_f32 v19, v182, v111 :: v_dual_mul_f32 v21, v184, v113
	s_wait_loadcnt_dscnt 0xa05
	v_dual_mul_f32 v13, v193, v121 :: v_dual_fma_f32 v51, v180, v108, -v55
	v_dual_fmac_f32 v17, v181, v108 :: v_dual_add_f32 v11, v11, v49
	s_delay_alu instid0(VALU_DEP_3) | instskip(SKIP_1) | instid1(VALU_DEP_2)
	v_dual_add_f32 v9, v9, v15 :: v_dual_fmac_f32 v19, v183, v110
	v_dual_mul_f32 v15, v195, v123 :: v_dual_fma_f32 v49, v182, v110, -v57
	v_dual_add_f32 v11, v11, v51 :: v_dual_add_f32 v9, v9, v17
	v_dual_mul_f32 v23, v186, v115 :: v_dual_mul_f32 v25, v188, v117
	s_wait_loadcnt_dscnt 0x904
	v_dual_mul_f32 v17, v197, v125 :: v_dual_fma_f32 v51, v184, v112, -v59
	s_delay_alu instid0(VALU_DEP_3) | instskip(NEXT) | instid1(VALU_DEP_3)
	v_dual_fmac_f32 v21, v185, v112 :: v_dual_add_f32 v11, v11, v49
	v_dual_add_f32 v9, v9, v19 :: v_dual_fmac_f32 v23, v187, v114
	v_dual_mul_f32 v19, v199, v127 :: v_dual_fma_f32 v49, v186, v114, -v61
	s_delay_alu instid0(VALU_DEP_2) | instskip(SKIP_3) | instid1(VALU_DEP_3)
	v_dual_add_f32 v11, v11, v51 :: v_dual_add_f32 v9, v9, v21
	v_dual_mul_f32 v27, v190, v119 :: v_dual_mul_f32 v29, v192, v121
	s_wait_loadcnt_dscnt 0x803
	v_dual_mul_f32 v21, v201, v129 :: v_dual_fma_f32 v51, v188, v116, -v63
	v_dual_fmac_f32 v25, v189, v116 :: v_dual_add_f32 v11, v11, v49
	s_delay_alu instid0(VALU_DEP_3) | instskip(SKIP_1) | instid1(VALU_DEP_2)
	v_dual_add_f32 v9, v9, v23 :: v_dual_fmac_f32 v27, v191, v118
	v_dual_mul_f32 v23, v203, v131 :: v_dual_fma_f32 v47, v190, v118, -v47
	v_dual_add_f32 v11, v11, v51 :: v_dual_add_f32 v9, v9, v25
	v_dual_mul_f32 v31, v194, v123 :: v_dual_mul_f32 v33, v196, v125
	s_wait_loadcnt_dscnt 0x702
	v_dual_mul_f32 v25, v205, v133 :: v_dual_fma_f32 v13, v192, v120, -v13
	s_delay_alu instid0(VALU_DEP_3) | instskip(NEXT) | instid1(VALU_DEP_3)
	v_dual_fmac_f32 v29, v193, v120 :: v_dual_add_f32 v11, v11, v47
	v_dual_add_f32 v9, v9, v27 :: v_dual_fmac_f32 v31, v195, v122
	v_dual_mul_f32 v27, v207, v135 :: v_dual_fma_f32 v15, v194, v122, -v15
	s_delay_alu instid0(VALU_DEP_3) | instskip(NEXT) | instid1(VALU_DEP_3)
	v_dual_add_f32 v11, v11, v13 :: v_dual_fmac_f32 v33, v197, v124
	v_dual_add_f32 v9, v9, v29 :: v_dual_fma_f32 v17, v196, v124, -v17
	v_dual_mul_f32 v35, v198, v127 :: v_dual_mul_f32 v37, v200, v129
	s_wait_loadcnt_dscnt 0x601
	s_delay_alu instid0(VALU_DEP_3) | instskip(NEXT) | instid1(VALU_DEP_2)
	v_dual_mul_f32 v13, v209, v137 :: v_dual_add_f32 v11, v11, v15
	v_dual_add_f32 v9, v9, v31 :: v_dual_fmac_f32 v35, v199, v126
	v_dual_mul_f32 v15, v211, v139 :: v_dual_fma_f32 v19, v198, v126, -v19
	s_delay_alu instid0(VALU_DEP_3) | instskip(NEXT) | instid1(VALU_DEP_3)
	v_dual_add_f32 v11, v11, v17 :: v_dual_fmac_f32 v37, v201, v128
	v_dual_add_f32 v9, v9, v33 :: v_dual_fma_f32 v21, v200, v128, -v21
	v_dual_mul_f32 v39, v202, v131 :: v_dual_mul_f32 v41, v204, v133
	s_wait_loadcnt 0x5
	s_delay_alu instid0(VALU_DEP_3) | instskip(NEXT) | instid1(VALU_DEP_3)
	v_dual_mul_f32 v17, v157, v141 :: v_dual_add_f32 v11, v11, v19
	v_dual_add_f32 v9, v9, v35 :: v_dual_mov_b32 v100, v143
	s_delay_alu instid0(VALU_DEP_3) | instskip(NEXT) | instid1(VALU_DEP_3)
	v_fmac_f32_e32 v39, v203, v130
	v_dual_fma_f32 v19, v202, v130, -v23 :: v_dual_add_f32 v11, v11, v21
	s_delay_alu instid0(VALU_DEP_3) | instskip(SKIP_1) | instid1(VALU_DEP_3)
	v_dual_add_f32 v9, v9, v37 :: v_dual_mul_f32 v43, v206, v135
	v_dual_mul_f32 v45, v208, v137 :: v_dual_fmac_f32 v41, v205, v132
	v_dual_add_f32 v11, v11, v19 :: v_dual_fma_f32 v21, v204, v132, -v25
	s_wait_loadcnt 0x4
	s_delay_alu instid0(VALU_DEP_3) | instskip(SKIP_3) | instid1(VALU_DEP_4)
	v_dual_add_f32 v9, v9, v39 :: v_dual_mov_b32 v104, v147
	v_fma_f32 v19, v206, v134, -v27
	v_fmac_f32_e32 v43, v207, v134
	v_dual_add_f32 v11, v11, v21 :: v_dual_fmac_f32 v45, v209, v136
	v_dual_add_f32 v9, v9, v41 :: v_dual_mul_f32 v227, v210, v139
	v_mul_f32_e32 v229, v156, v141
	s_delay_alu instid0(VALU_DEP_3) | instskip(NEXT) | instid1(VALU_DEP_3)
	v_dual_fma_f32 v13, v208, v136, -v13 :: v_dual_add_f32 v11, v11, v19
	v_dual_fma_f32 v226, v210, v138, -v15 :: v_dual_add_f32 v9, v9, v43
	s_delay_alu instid0(VALU_DEP_4) | instskip(SKIP_1) | instid1(VALU_DEP_4)
	v_fmac_f32_e32 v227, v211, v138
	v_pk_mul_f32 v[100:101], v[218:219], v[100:101] op_sel_hi:[1,0]
	v_dual_add_f32 v108, v11, v13 :: v_dual_fmac_f32 v229, v157, v140
	s_delay_alu instid0(VALU_DEP_4)
	v_add_f32_e32 v109, v9, v45
	v_pk_mul_f32 v[102:103], v[160:161], v[144:145] op_sel:[1,1] op_sel_hi:[0,1]
	s_wait_loadcnt 0x3
	v_dual_mov_b32 v110, v151 :: v_dual_fma_f32 v228, v156, v140, -v17
	v_pk_fma_f32 v[112:113], v[158:159], v[142:143], v[100:101] op_sel_hi:[1,0,1]
	v_pk_add_f32 v[108:109], v[108:109], v[226:227]
	v_pk_fma_f32 v[100:101], v[158:159], v[142:143], v[100:101] neg_lo:[0,0,1] neg_hi:[0,0,1]
	v_pk_fma_f32 v[114:115], v[160:161], v[144:145], v[102:103] op_sel_hi:[1,0,1]
	v_pk_mul_f32 v[104:105], v[220:221], v[104:105] op_sel_hi:[1,0]
	v_mov_b32_e32 v101, v113
	v_pk_add_f32 v[108:109], v[108:109], v[228:229]
	v_pk_fma_f32 v[102:103], v[160:161], v[144:145], v[102:103] neg_lo:[0,0,1] neg_hi:[0,0,1]
	v_pk_mul_f32 v[106:107], v[164:165], v[148:149] op_sel:[1,1] op_sel_hi:[0,1]
	v_mov_b32_e32 v103, v115
	v_pk_fma_f32 v[114:115], v[162:163], v[146:147], v[104:105] op_sel_hi:[1,0,1]
	v_pk_add_f32 v[100:101], v[108:109], v[100:101]
	v_pk_fma_f32 v[104:105], v[162:163], v[146:147], v[104:105] neg_lo:[0,0,1] neg_hi:[0,0,1]
	v_pk_fma_f32 v[108:109], v[164:165], v[148:149], v[106:107] op_sel_hi:[1,0,1]
	v_pk_mul_f32 v[110:111], v[222:223], v[110:111] op_sel_hi:[1,0]
	v_mov_b32_e32 v105, v115
	v_pk_add_f32 v[100:101], v[100:101], v[102:103]
	v_pk_fma_f32 v[106:107], v[164:165], v[148:149], v[106:107] neg_lo:[0,0,1] neg_hi:[0,0,1]
	s_wait_loadcnt 0x2
	v_pk_mul_f32 v[112:113], v[168:169], v[152:153] op_sel:[1,1] op_sel_hi:[0,1]
	v_dual_mov_b32 v102, v155 :: v_dual_mov_b32 v107, v109
	v_pk_fma_f32 v[108:109], v[166:167], v[150:151], v[110:111] op_sel_hi:[1,0,1]
	v_pk_add_f32 v[100:101], v[100:101], v[104:105]
	v_pk_fma_f32 v[110:111], v[166:167], v[150:151], v[110:111] neg_lo:[0,0,1] neg_hi:[0,0,1]
	v_pk_fma_f32 v[104:105], v[168:169], v[152:153], v[112:113] op_sel_hi:[1,0,1]
	v_pk_mul_f32 v[102:103], v[224:225], v[102:103] op_sel_hi:[1,0]
	v_mov_b32_e32 v111, v109
	v_pk_add_f32 v[100:101], v[100:101], v[106:107]
	v_pk_fma_f32 v[106:107], v[168:169], v[152:153], v[112:113] neg_lo:[0,0,1] neg_hi:[0,0,1]
	v_mov_b32_e32 v107, v105
	v_pk_fma_f32 v[104:105], v[170:171], v[154:155], v[102:103] op_sel_hi:[1,0,1]
	s_wait_loadcnt_dscnt 0x100
	v_pk_mul_f32 v[108:109], v[216:217], v[212:213] op_sel:[1,1] op_sel_hi:[0,1]
	v_pk_add_f32 v[100:101], v[100:101], v[110:111]
	v_pk_fma_f32 v[102:103], v[170:171], v[154:155], v[102:103] neg_lo:[0,0,1] neg_hi:[0,0,1]
	v_mov_b32_e32 v103, v105
	s_delay_alu instid0(VALU_DEP_4) | instskip(NEXT) | instid1(VALU_DEP_4)
	v_pk_fma_f32 v[104:105], v[216:217], v[212:213], v[108:109] op_sel_hi:[1,0,1]
	v_pk_add_f32 v[100:101], v[100:101], v[106:107]
	v_pk_fma_f32 v[106:107], v[216:217], v[212:213], v[108:109] neg_lo:[0,0,1] neg_hi:[0,0,1]
	s_delay_alu instid0(VALU_DEP_3) | instskip(NEXT) | instid1(VALU_DEP_3)
	v_mov_b32_e32 v107, v105
	v_pk_add_f32 v[100:101], v[100:101], v[102:103]
	s_delay_alu instid0(VALU_DEP_1) | instskip(SKIP_1) | instid1(VALU_DEP_1)
	v_pk_add_f32 v[100:101], v[100:101], v[106:107]
	s_wait_loadcnt 0x0
	v_pk_add_f32 v[100:101], v[214:215], v[100:101] neg_lo:[0,1] neg_hi:[0,1]
	scratch_store_b64 off, v[100:101], off offset:152
	s_wait_xcnt 0x0
	v_cmpx_lt_u32_e32 18, v0
	s_cbranch_execz .LBB112_271
; %bb.270:
	scratch_load_b64 v[100:101], off, off offset:144
	v_mov_b64_e32 v[102:103], 0
	scratch_store_b64 off, v[102:103], off offset:144
	s_wait_loadcnt 0x0
	ds_store_b64 v1, v[100:101]
.LBB112_271:
	s_wait_xcnt 0x0
	s_or_b32 exec_lo, exec_lo, s0
	s_wait_storecnt_dscnt 0x0
	s_barrier_signal -1
	s_barrier_wait -1
	s_clause 0xf
	scratch_load_b128 v[100:103], off, off offset:152
	scratch_load_b128 v[104:107], off, off offset:168
	;; [unrolled: 1-line block ×15, first 2 shown]
	scratch_load_b64 v[220:221], off, off offset:144
	ds_load_2addr_b64 v[160:163], v7 offset0:91 offset1:92
	ds_load_2addr_b64 v[164:167], v7 offset0:93 offset1:94
	;; [unrolled: 1-line block ×15, first 2 shown]
	s_mov_b32 s0, exec_lo
	s_wait_dscnt 0xe
	v_dual_mov_b32 v222, v163 :: v_dual_mov_b32 v223, v162
	s_wait_dscnt 0xd
	v_dual_mov_b32 v224, v167 :: v_dual_mov_b32 v225, v166
	;; [unrolled: 2-line block ×4, first 2 shown]
	s_wait_loadcnt_dscnt 0xf0a
	v_dual_mul_f32 v7, v176, v101 :: v_dual_mul_f32 v9, v178, v103
	v_dual_mul_f32 v47, v177, v101 :: v_dual_mul_f32 v49, v179, v103
	s_wait_loadcnt_dscnt 0xe09
	v_dual_mul_f32 v11, v180, v105 :: v_dual_mul_f32 v13, v182, v107
	s_delay_alu instid0(VALU_DEP_3) | instskip(SKIP_3) | instid1(VALU_DEP_3)
	v_dual_fmac_f32 v7, v177, v100 :: v_dual_fmac_f32 v9, v179, v102
	s_wait_loadcnt_dscnt 0xc06
	v_dual_fma_f32 v47, v176, v100, -v47 :: v_dual_mul_f32 v59, v193, v113
	v_dual_mul_f32 v51, v181, v105 :: v_dual_mul_f32 v53, v183, v107
	v_dual_fma_f32 v49, v178, v102, -v49 :: v_dual_add_f32 v7, 0, v7
	s_delay_alu instid0(VALU_DEP_3) | instskip(SKIP_1) | instid1(VALU_DEP_4)
	v_dual_add_f32 v47, 0, v47 :: v_dual_fmac_f32 v11, v181, v104
	v_dual_mul_f32 v15, v188, v109 :: v_dual_mul_f32 v17, v190, v111
	v_dual_mul_f32 v61, v195, v115 :: v_dual_fma_f32 v51, v180, v104, -v51
	s_delay_alu instid0(VALU_DEP_4) | instskip(NEXT) | instid1(VALU_DEP_3)
	v_add_f32_e32 v7, v7, v9
	v_dual_add_f32 v9, v47, v49 :: v_dual_fmac_f32 v15, v189, v108
	v_dual_mul_f32 v55, v189, v109 :: v_dual_mul_f32 v57, v191, v111
	s_wait_loadcnt_dscnt 0xb05
	v_dual_mul_f32 v47, v197, v117 :: v_dual_fmac_f32 v13, v183, v106
	v_dual_fma_f32 v49, v182, v106, -v53 :: v_dual_add_f32 v7, v7, v11
	s_delay_alu instid0(VALU_DEP_3) | instskip(SKIP_1) | instid1(VALU_DEP_3)
	v_dual_add_f32 v9, v9, v51 :: v_dual_fma_f32 v51, v188, v108, -v55
	v_dual_mul_f32 v19, v192, v113 :: v_dual_mul_f32 v21, v194, v115
	v_add_f32_e32 v7, v7, v13
	s_delay_alu instid0(VALU_DEP_3) | instskip(SKIP_2) | instid1(VALU_DEP_3)
	v_dual_mul_f32 v11, v199, v119 :: v_dual_add_f32 v9, v9, v49
	s_wait_loadcnt_dscnt 0xa04
	v_dual_mul_f32 v13, v201, v121 :: v_dual_fmac_f32 v17, v191, v110
	v_dual_fma_f32 v49, v190, v110, -v57 :: v_dual_add_f32 v7, v7, v15
	s_delay_alu instid0(VALU_DEP_3) | instskip(SKIP_1) | instid1(VALU_DEP_3)
	v_dual_add_f32 v9, v9, v51 :: v_dual_fma_f32 v51, v192, v112, -v59
	v_dual_mul_f32 v15, v203, v123 :: v_dual_fmac_f32 v19, v193, v112
	v_add_f32_e32 v7, v7, v17
	s_delay_alu instid0(VALU_DEP_3)
	v_dual_add_f32 v9, v9, v49 :: v_dual_fmac_f32 v21, v195, v114
	v_dual_mul_f32 v23, v196, v117 :: v_dual_mul_f32 v25, v198, v119
	s_wait_loadcnt_dscnt 0x903
	v_dual_fma_f32 v49, v194, v114, -v61 :: v_dual_mul_f32 v17, v205, v125
	v_add_f32_e32 v7, v7, v19
	v_dual_add_f32 v9, v9, v51 :: v_dual_fma_f32 v47, v196, v116, -v47
	v_dual_mul_f32 v19, v207, v127 :: v_dual_fmac_f32 v23, v197, v116
	s_delay_alu instid0(VALU_DEP_3) | instskip(NEXT) | instid1(VALU_DEP_3)
	v_dual_add_f32 v7, v7, v21 :: v_dual_fma_f32 v11, v198, v118, -v11
	v_dual_add_f32 v9, v9, v49 :: v_dual_fmac_f32 v25, v199, v118
	v_dual_mul_f32 v27, v200, v121 :: v_dual_mul_f32 v29, v202, v123
	s_wait_loadcnt_dscnt 0x802
	s_delay_alu instid0(VALU_DEP_3) | instskip(NEXT) | instid1(VALU_DEP_3)
	v_dual_mul_f32 v21, v209, v129 :: v_dual_add_f32 v7, v7, v23
	v_dual_add_f32 v9, v9, v47 :: v_dual_fma_f32 v13, v200, v120, -v13
	s_delay_alu instid0(VALU_DEP_3) | instskip(NEXT) | instid1(VALU_DEP_2)
	v_dual_mul_f32 v23, v211, v131 :: v_dual_fmac_f32 v27, v201, v120
	v_dual_add_f32 v7, v7, v25 :: v_dual_add_f32 v9, v9, v11
	v_dual_mul_f32 v31, v204, v125 :: v_dual_mul_f32 v33, v206, v127
	s_wait_loadcnt_dscnt 0x701
	v_dual_mul_f32 v11, v213, v133 :: v_dual_fmac_f32 v29, v203, v122
	s_delay_alu instid0(VALU_DEP_3) | instskip(SKIP_2) | instid1(VALU_DEP_2)
	v_dual_fma_f32 v15, v202, v122, -v15 :: v_dual_add_f32 v7, v7, v27
	v_dual_add_f32 v9, v9, v13 :: v_dual_mul_f32 v13, v215, v135
	v_dual_fmac_f32 v31, v205, v124 :: v_dual_fma_f32 v17, v204, v124, -v17
	v_dual_add_f32 v7, v7, v29 :: v_dual_add_f32 v9, v9, v15
	v_dual_mul_f32 v35, v208, v129 :: v_dual_mul_f32 v37, v210, v131
	s_wait_loadcnt_dscnt 0x600
	v_dual_mul_f32 v15, v217, v137 :: v_dual_fmac_f32 v33, v207, v126
	s_delay_alu instid0(VALU_DEP_3) | instskip(SKIP_2) | instid1(VALU_DEP_2)
	v_dual_fma_f32 v19, v206, v126, -v19 :: v_dual_add_f32 v7, v7, v31
	v_dual_add_f32 v9, v9, v17 :: v_dual_mul_f32 v17, v219, v139
	v_dual_fmac_f32 v35, v209, v128 :: v_dual_fma_f32 v21, v208, v128, -v21
	v_dual_add_f32 v7, v7, v33 :: v_dual_add_f32 v9, v9, v19
	v_dual_mul_f32 v39, v212, v133 :: v_dual_mul_f32 v41, v214, v135
	s_wait_loadcnt 0x5
	v_dual_mul_f32 v19, v185, v141 :: v_dual_fmac_f32 v37, v211, v130
	s_delay_alu instid0(VALU_DEP_3) | instskip(SKIP_2) | instid1(VALU_DEP_3)
	v_dual_fma_f32 v23, v210, v130, -v23 :: v_dual_add_f32 v7, v7, v35
	v_dual_add_f32 v9, v9, v21 :: v_dual_mul_f32 v21, v187, v143
	v_fmac_f32_e32 v39, v213, v132
	v_dual_fma_f32 v11, v212, v132, -v11 :: v_dual_add_f32 v7, v7, v37
	s_delay_alu instid0(VALU_DEP_3) | instskip(SKIP_1) | instid1(VALU_DEP_3)
	v_dual_add_f32 v9, v9, v23 :: v_dual_mul_f32 v43, v216, v137
	v_dual_mul_f32 v45, v218, v139 :: v_dual_fmac_f32 v41, v215, v134
	v_dual_fma_f32 v13, v214, v134, -v13 :: v_dual_add_f32 v7, v7, v39
	s_wait_loadcnt 0x4
	s_delay_alu instid0(VALU_DEP_3) | instskip(SKIP_1) | instid1(VALU_DEP_3)
	v_dual_add_f32 v9, v9, v11 :: v_dual_mov_b32 v102, v147
	v_fmac_f32_e32 v43, v217, v136
	v_dual_fma_f32 v11, v216, v136, -v15 :: v_dual_add_f32 v7, v7, v41
	s_delay_alu instid0(VALU_DEP_3) | instskip(SKIP_1) | instid1(VALU_DEP_3)
	v_dual_add_f32 v9, v9, v13 :: v_dual_fmac_f32 v45, v219, v138
	v_dual_mul_f32 v231, v184, v141 :: v_dual_mul_f32 v233, v186, v143
	v_dual_fma_f32 v13, v218, v138, -v17 :: v_dual_add_f32 v7, v7, v43
	s_wait_loadcnt 0x3
	s_delay_alu instid0(VALU_DEP_3) | instskip(SKIP_1) | instid1(VALU_DEP_3)
	v_dual_add_f32 v9, v9, v11 :: v_dual_mov_b32 v106, v151
	v_pk_mul_f32 v[100:101], v[160:161], v[144:145] op_sel:[1,1] op_sel_hi:[0,1]
	v_dual_fmac_f32 v231, v185, v140 :: v_dual_add_f32 v109, v7, v45
	s_delay_alu instid0(VALU_DEP_3) | instskip(SKIP_1) | instid1(VALU_DEP_4)
	v_dual_fma_f32 v230, v184, v140, -v19 :: v_dual_add_f32 v108, v9, v13
	v_fmac_f32_e32 v233, v187, v142
	v_pk_fma_f32 v[110:111], v[160:161], v[144:145], v[100:101] op_sel_hi:[1,0,1]
	v_fma_f32 v232, v186, v142, -v21
	v_pk_mul_f32 v[102:103], v[222:223], v[102:103] op_sel_hi:[1,0]
	v_pk_add_f32 v[108:109], v[108:109], v[230:231]
	v_pk_fma_f32 v[100:101], v[160:161], v[144:145], v[100:101] neg_lo:[0,0,1] neg_hi:[0,0,1]
	v_pk_mul_f32 v[104:105], v[164:165], v[148:149] op_sel:[1,1] op_sel_hi:[0,1]
	v_mov_b32_e32 v101, v111
	v_pk_fma_f32 v[110:111], v[162:163], v[146:147], v[102:103] op_sel_hi:[1,0,1]
	v_pk_add_f32 v[108:109], v[108:109], v[232:233]
	v_pk_fma_f32 v[102:103], v[162:163], v[146:147], v[102:103] neg_lo:[0,0,1] neg_hi:[0,0,1]
	v_pk_fma_f32 v[114:115], v[164:165], v[148:149], v[104:105] op_sel_hi:[1,0,1]
	v_pk_mul_f32 v[106:107], v[224:225], v[106:107] op_sel_hi:[1,0]
	v_mov_b32_e32 v103, v111
	v_pk_add_f32 v[100:101], v[108:109], v[100:101]
	s_wait_loadcnt 0x2
	v_pk_mul_f32 v[112:113], v[168:169], v[152:153] op_sel:[1,1] op_sel_hi:[0,1]
	v_mov_b32_e32 v108, v155
	v_pk_fma_f32 v[104:105], v[164:165], v[148:149], v[104:105] neg_lo:[0,0,1] neg_hi:[0,0,1]
	v_pk_fma_f32 v[110:111], v[166:167], v[150:151], v[106:107] op_sel_hi:[1,0,1]
	v_mov_b32_e32 v105, v115
	v_pk_add_f32 v[100:101], v[100:101], v[102:103]
	v_pk_fma_f32 v[102:103], v[168:169], v[152:153], v[112:113] op_sel_hi:[1,0,1]
	v_pk_mul_f32 v[108:109], v[226:227], v[108:109] op_sel_hi:[1,0]
	v_pk_fma_f32 v[106:107], v[166:167], v[150:151], v[106:107] neg_lo:[0,0,1] neg_hi:[0,0,1]
	v_mov_b32_e32 v107, v111
	v_pk_add_f32 v[100:101], v[100:101], v[104:105]
	v_pk_fma_f32 v[110:111], v[168:169], v[152:153], v[112:113] neg_lo:[0,0,1] neg_hi:[0,0,1]
	v_mov_b32_e32 v111, v103
	v_pk_fma_f32 v[102:103], v[170:171], v[154:155], v[108:109] op_sel_hi:[1,0,1]
	s_wait_loadcnt 0x1
	v_pk_mul_f32 v[104:105], v[172:173], v[156:157] op_sel:[1,1] op_sel_hi:[0,1]
	v_pk_add_f32 v[100:101], v[100:101], v[106:107]
	v_mov_b32_e32 v102, v159
	v_pk_fma_f32 v[108:109], v[170:171], v[154:155], v[108:109] neg_lo:[0,0,1] neg_hi:[0,0,1]
	s_delay_alu instid0(VALU_DEP_4)
	v_pk_fma_f32 v[106:107], v[172:173], v[156:157], v[104:105] op_sel_hi:[1,0,1]
	v_mov_b32_e32 v109, v103
	v_pk_add_f32 v[100:101], v[100:101], v[110:111]
	v_pk_mul_f32 v[102:103], v[228:229], v[102:103] op_sel_hi:[1,0]
	v_pk_fma_f32 v[104:105], v[172:173], v[156:157], v[104:105] neg_lo:[0,0,1] neg_hi:[0,0,1]
	v_mov_b32_e32 v105, v107
	s_delay_alu instid0(VALU_DEP_4) | instskip(NEXT) | instid1(VALU_DEP_4)
	v_pk_add_f32 v[100:101], v[100:101], v[108:109]
	v_pk_fma_f32 v[106:107], v[174:175], v[158:159], v[102:103] op_sel_hi:[1,0,1]
	v_pk_fma_f32 v[102:103], v[174:175], v[158:159], v[102:103] neg_lo:[0,0,1] neg_hi:[0,0,1]
	s_delay_alu instid0(VALU_DEP_3) | instskip(NEXT) | instid1(VALU_DEP_3)
	v_pk_add_f32 v[100:101], v[100:101], v[104:105]
	v_mov_b32_e32 v103, v107
	s_delay_alu instid0(VALU_DEP_1) | instskip(SKIP_1) | instid1(VALU_DEP_1)
	v_pk_add_f32 v[100:101], v[100:101], v[102:103]
	s_wait_loadcnt 0x0
	v_pk_add_f32 v[100:101], v[220:221], v[100:101] neg_lo:[0,1] neg_hi:[0,1]
	scratch_store_b64 off, v[100:101], off offset:144
	s_wait_xcnt 0x0
	v_cmpx_lt_u32_e32 17, v0
	s_cbranch_execz .LBB112_273
; %bb.272:
	scratch_load_b64 v[100:101], off, off offset:136
	v_mov_b64_e32 v[102:103], 0
	scratch_store_b64 off, v[102:103], off offset:136
	s_wait_loadcnt 0x0
	ds_store_b64 v1, v[100:101]
.LBB112_273:
	s_wait_xcnt 0x0
	s_or_b32 exec_lo, exec_lo, s0
	s_wait_storecnt_dscnt 0x0
	s_barrier_signal -1
	s_barrier_wait -1
	s_clause 0x10
	scratch_load_b128 v[100:103], off, off offset:144
	scratch_load_b128 v[104:107], off, off offset:160
	;; [unrolled: 1-line block ×15, first 2 shown]
	scratch_load_b64 v[220:221], off, off offset:384
	scratch_load_b64 v[222:223], off, off offset:136
	v_mov_b32_e32 v7, 0
	ds_load_b128 v[160:163], v7 offset:720
	ds_load_b128 v[164:167], v7 offset:736
	;; [unrolled: 1-line block ×15, first 2 shown]
	ds_load_b64 v[224:225], v7 offset:784
	s_mov_b32 s0, exec_lo
	s_wait_dscnt 0xf
	v_dual_mov_b32 v226, v163 :: v_dual_mov_b32 v227, v162
	s_wait_dscnt 0xc
	v_dual_mov_b32 v228, v167 :: v_dual_mov_b32 v233, v174
	v_dual_mov_b32 v229, v166 :: v_dual_mov_b32 v230, v171
	;; [unrolled: 1-line block ×3, first 2 shown]
	s_wait_loadcnt_dscnt 0x100b
	v_dual_mul_f32 v9, v176, v101 :: v_dual_mul_f32 v51, v177, v101
	v_dual_mul_f32 v53, v179, v103 :: v_dual_mul_f32 v11, v178, v103
	s_wait_loadcnt_dscnt 0xf09
	v_mul_f32_e32 v13, v184, v105
	s_wait_loadcnt_dscnt 0xd07
	v_dual_mul_f32 v63, v193, v113 :: v_dual_fma_f32 v51, v176, v100, -v51
	v_dual_fmac_f32 v9, v177, v100 :: v_dual_mul_f32 v65, v195, v115
	v_dual_mul_f32 v55, v185, v105 :: v_dual_mul_f32 v57, v187, v107
	v_dual_fmac_f32 v11, v179, v102 :: v_dual_fma_f32 v53, v178, v102, -v53
	s_delay_alu instid0(VALU_DEP_3) | instskip(SKIP_4) | instid1(VALU_DEP_3)
	v_dual_add_f32 v9, 0, v9 :: v_dual_add_f32 v51, 0, v51
	v_dual_mul_f32 v15, v186, v107 :: v_dual_mul_f32 v17, v188, v109
	s_wait_loadcnt_dscnt 0xc06
	v_dual_mul_f32 v67, v197, v117 :: v_dual_fma_f32 v55, v184, v104, -v55
	v_fmac_f32_e32 v13, v185, v104
	v_dual_add_f32 v9, v9, v11 :: v_dual_fmac_f32 v15, v187, v106
	v_add_f32_e32 v11, v51, v53
	v_dual_mul_f32 v59, v189, v109 :: v_dual_mul_f32 v61, v191, v111
	v_dual_mul_f32 v51, v199, v119 :: v_dual_fma_f32 v53, v186, v106, -v57
	s_delay_alu instid0(VALU_DEP_3) | instskip(SKIP_3) | instid1(VALU_DEP_3)
	v_dual_add_f32 v9, v9, v13 :: v_dual_add_f32 v11, v11, v55
	v_dual_mul_f32 v19, v190, v111 :: v_dual_mul_f32 v21, v192, v113
	s_wait_loadcnt_dscnt 0xb05
	v_dual_mul_f32 v13, v201, v121 :: v_dual_fma_f32 v55, v188, v108, -v59
	v_dual_fmac_f32 v17, v189, v108 :: v_dual_add_f32 v11, v11, v53
	s_delay_alu instid0(VALU_DEP_3) | instskip(SKIP_1) | instid1(VALU_DEP_2)
	v_dual_add_f32 v9, v9, v15 :: v_dual_fmac_f32 v19, v191, v110
	v_dual_mul_f32 v15, v203, v123 :: v_dual_fma_f32 v53, v190, v110, -v61
	v_dual_add_f32 v11, v11, v55 :: v_dual_add_f32 v9, v9, v17
	v_dual_mul_f32 v23, v194, v115 :: v_dual_mul_f32 v25, v196, v117
	s_wait_loadcnt_dscnt 0xa04
	v_dual_mul_f32 v17, v205, v125 :: v_dual_fma_f32 v55, v192, v112, -v63
	s_delay_alu instid0(VALU_DEP_3) | instskip(NEXT) | instid1(VALU_DEP_3)
	v_dual_fmac_f32 v21, v193, v112 :: v_dual_add_f32 v11, v11, v53
	v_dual_add_f32 v9, v9, v19 :: v_dual_fmac_f32 v23, v195, v114
	v_dual_mul_f32 v19, v207, v127 :: v_dual_fma_f32 v53, v194, v114, -v65
	s_delay_alu instid0(VALU_DEP_2) | instskip(SKIP_3) | instid1(VALU_DEP_3)
	v_dual_add_f32 v11, v11, v55 :: v_dual_add_f32 v9, v9, v21
	v_dual_mul_f32 v27, v198, v119 :: v_dual_mul_f32 v29, v200, v121
	s_wait_loadcnt_dscnt 0x903
	v_dual_mul_f32 v21, v209, v129 :: v_dual_fma_f32 v55, v196, v116, -v67
	v_dual_fmac_f32 v25, v197, v116 :: v_dual_add_f32 v11, v11, v53
	s_delay_alu instid0(VALU_DEP_3) | instskip(SKIP_1) | instid1(VALU_DEP_2)
	v_dual_add_f32 v9, v9, v23 :: v_dual_fmac_f32 v27, v199, v118
	v_dual_mul_f32 v23, v211, v131 :: v_dual_fma_f32 v51, v198, v118, -v51
	v_dual_add_f32 v11, v11, v55 :: v_dual_add_f32 v9, v9, v25
	v_dual_mul_f32 v31, v202, v123 :: v_dual_mul_f32 v33, v204, v125
	s_wait_loadcnt_dscnt 0x802
	v_dual_mul_f32 v25, v213, v133 :: v_dual_fma_f32 v13, v200, v120, -v13
	s_delay_alu instid0(VALU_DEP_3) | instskip(NEXT) | instid1(VALU_DEP_3)
	v_dual_fmac_f32 v29, v201, v120 :: v_dual_add_f32 v11, v11, v51
	v_dual_add_f32 v9, v9, v27 :: v_dual_fmac_f32 v31, v203, v122
	v_dual_mul_f32 v27, v215, v135 :: v_dual_fma_f32 v15, v202, v122, -v15
	s_delay_alu instid0(VALU_DEP_3) | instskip(NEXT) | instid1(VALU_DEP_3)
	v_dual_add_f32 v11, v11, v13 :: v_dual_fmac_f32 v33, v205, v124
	v_dual_add_f32 v9, v9, v29 :: v_dual_fma_f32 v17, v204, v124, -v17
	v_dual_mul_f32 v35, v206, v127 :: v_dual_mul_f32 v37, v208, v129
	s_wait_loadcnt_dscnt 0x701
	s_delay_alu instid0(VALU_DEP_3) | instskip(NEXT) | instid1(VALU_DEP_2)
	v_dual_mul_f32 v13, v217, v137 :: v_dual_add_f32 v11, v11, v15
	v_dual_add_f32 v9, v9, v31 :: v_dual_fmac_f32 v35, v207, v126
	v_dual_mul_f32 v15, v219, v139 :: v_dual_fma_f32 v19, v206, v126, -v19
	s_delay_alu instid0(VALU_DEP_3) | instskip(NEXT) | instid1(VALU_DEP_3)
	v_dual_add_f32 v11, v11, v17 :: v_dual_fmac_f32 v37, v209, v128
	v_dual_add_f32 v9, v9, v33 :: v_dual_fma_f32 v21, v208, v128, -v21
	v_dual_mul_f32 v39, v210, v131 :: v_dual_mul_f32 v41, v212, v133
	s_wait_loadcnt 0x6
	s_delay_alu instid0(VALU_DEP_3) | instskip(NEXT) | instid1(VALU_DEP_2)
	v_dual_mul_f32 v17, v181, v141 :: v_dual_add_f32 v11, v11, v19
	v_dual_add_f32 v9, v9, v35 :: v_dual_fmac_f32 v39, v211, v130
	v_dual_mul_f32 v19, v183, v143 :: v_dual_fma_f32 v23, v210, v130, -v23
	s_delay_alu instid0(VALU_DEP_3) | instskip(NEXT) | instid1(VALU_DEP_3)
	v_dual_add_f32 v11, v11, v21 :: v_dual_fmac_f32 v41, v213, v132
	v_dual_add_f32 v9, v9, v37 :: v_dual_fma_f32 v25, v212, v132, -v25
	v_dual_mul_f32 v43, v214, v135 :: v_dual_mul_f32 v45, v216, v137
	s_wait_loadcnt 0x5
	s_delay_alu instid0(VALU_DEP_3) | instskip(NEXT) | instid1(VALU_DEP_3)
	v_dual_mul_f32 v21, v161, v145 :: v_dual_add_f32 v11, v11, v23
	v_dual_add_f32 v9, v9, v39 :: v_dual_mov_b32 v100, v147
	s_delay_alu instid0(VALU_DEP_3) | instskip(NEXT) | instid1(VALU_DEP_3)
	v_fmac_f32_e32 v43, v215, v134
	v_dual_fma_f32 v23, v214, v134, -v27 :: v_dual_add_f32 v11, v11, v25
	s_delay_alu instid0(VALU_DEP_3) | instskip(SKIP_1) | instid1(VALU_DEP_3)
	v_dual_add_f32 v9, v9, v41 :: v_dual_mul_f32 v47, v218, v139
	v_dual_mul_f32 v49, v180, v141 :: v_dual_fmac_f32 v45, v217, v136
	v_dual_add_f32 v11, v11, v23 :: v_dual_fma_f32 v13, v216, v136, -v13
	s_wait_loadcnt 0x4
	s_delay_alu instid0(VALU_DEP_3) | instskip(SKIP_3) | instid1(VALU_DEP_4)
	v_dual_add_f32 v9, v9, v43 :: v_dual_mov_b32 v104, v151
	v_fma_f32 v15, v218, v138, -v15
	v_fmac_f32_e32 v47, v219, v138
	v_dual_add_f32 v11, v11, v13 :: v_dual_fmac_f32 v49, v181, v140
	v_dual_add_f32 v9, v9, v45 :: v_dual_mul_f32 v235, v182, v143
	v_mul_f32_e32 v237, v160, v145
	s_delay_alu instid0(VALU_DEP_3) | instskip(NEXT) | instid1(VALU_DEP_3)
	v_dual_fma_f32 v13, v180, v140, -v17 :: v_dual_add_f32 v11, v11, v15
	v_dual_fma_f32 v234, v182, v142, -v19 :: v_dual_add_f32 v9, v9, v47
	s_delay_alu instid0(VALU_DEP_4) | instskip(SKIP_1) | instid1(VALU_DEP_4)
	v_fmac_f32_e32 v235, v183, v142
	v_pk_mul_f32 v[100:101], v[226:227], v[100:101] op_sel_hi:[1,0]
	v_dual_add_f32 v108, v11, v13 :: v_dual_fmac_f32 v237, v161, v144
	s_delay_alu instid0(VALU_DEP_4)
	v_add_f32_e32 v109, v9, v49
	v_pk_mul_f32 v[102:103], v[164:165], v[148:149] op_sel:[1,1] op_sel_hi:[0,1]
	s_wait_loadcnt 0x3
	v_dual_mov_b32 v110, v155 :: v_dual_fma_f32 v236, v160, v144, -v21
	v_pk_fma_f32 v[112:113], v[162:163], v[146:147], v[100:101] op_sel_hi:[1,0,1]
	v_pk_add_f32 v[108:109], v[108:109], v[234:235]
	v_pk_fma_f32 v[100:101], v[162:163], v[146:147], v[100:101] neg_lo:[0,0,1] neg_hi:[0,0,1]
	v_pk_fma_f32 v[114:115], v[164:165], v[148:149], v[102:103] op_sel_hi:[1,0,1]
	v_pk_mul_f32 v[104:105], v[228:229], v[104:105] op_sel_hi:[1,0]
	v_mov_b32_e32 v101, v113
	v_pk_add_f32 v[108:109], v[108:109], v[236:237]
	v_pk_fma_f32 v[102:103], v[164:165], v[148:149], v[102:103] neg_lo:[0,0,1] neg_hi:[0,0,1]
	v_pk_mul_f32 v[106:107], v[168:169], v[152:153] op_sel:[1,1] op_sel_hi:[0,1]
	v_mov_b32_e32 v103, v115
	v_pk_fma_f32 v[114:115], v[166:167], v[150:151], v[104:105] op_sel_hi:[1,0,1]
	v_pk_add_f32 v[100:101], v[108:109], v[100:101]
	v_pk_fma_f32 v[104:105], v[166:167], v[150:151], v[104:105] neg_lo:[0,0,1] neg_hi:[0,0,1]
	v_pk_fma_f32 v[108:109], v[168:169], v[152:153], v[106:107] op_sel_hi:[1,0,1]
	v_pk_mul_f32 v[110:111], v[230:231], v[110:111] op_sel_hi:[1,0]
	v_mov_b32_e32 v105, v115
	v_pk_add_f32 v[100:101], v[100:101], v[102:103]
	v_pk_fma_f32 v[106:107], v[168:169], v[152:153], v[106:107] neg_lo:[0,0,1] neg_hi:[0,0,1]
	s_wait_loadcnt 0x2
	v_pk_mul_f32 v[112:113], v[172:173], v[156:157] op_sel:[1,1] op_sel_hi:[0,1]
	v_dual_mov_b32 v102, v159 :: v_dual_mov_b32 v107, v109
	v_pk_fma_f32 v[108:109], v[170:171], v[154:155], v[110:111] op_sel_hi:[1,0,1]
	v_pk_add_f32 v[100:101], v[100:101], v[104:105]
	v_pk_fma_f32 v[110:111], v[170:171], v[154:155], v[110:111] neg_lo:[0,0,1] neg_hi:[0,0,1]
	v_pk_fma_f32 v[104:105], v[172:173], v[156:157], v[112:113] op_sel_hi:[1,0,1]
	v_pk_mul_f32 v[102:103], v[232:233], v[102:103] op_sel_hi:[1,0]
	v_mov_b32_e32 v111, v109
	v_pk_add_f32 v[100:101], v[100:101], v[106:107]
	v_pk_fma_f32 v[106:107], v[172:173], v[156:157], v[112:113] neg_lo:[0,0,1] neg_hi:[0,0,1]
	v_mov_b32_e32 v107, v105
	v_pk_fma_f32 v[104:105], v[174:175], v[158:159], v[102:103] op_sel_hi:[1,0,1]
	s_wait_loadcnt_dscnt 0x100
	v_pk_mul_f32 v[108:109], v[224:225], v[220:221] op_sel:[1,1] op_sel_hi:[0,1]
	v_pk_add_f32 v[100:101], v[100:101], v[110:111]
	v_pk_fma_f32 v[102:103], v[174:175], v[158:159], v[102:103] neg_lo:[0,0,1] neg_hi:[0,0,1]
	v_mov_b32_e32 v103, v105
	s_delay_alu instid0(VALU_DEP_4) | instskip(NEXT) | instid1(VALU_DEP_4)
	v_pk_fma_f32 v[104:105], v[224:225], v[220:221], v[108:109] op_sel_hi:[1,0,1]
	v_pk_add_f32 v[100:101], v[100:101], v[106:107]
	v_pk_fma_f32 v[106:107], v[224:225], v[220:221], v[108:109] neg_lo:[0,0,1] neg_hi:[0,0,1]
	s_delay_alu instid0(VALU_DEP_3) | instskip(NEXT) | instid1(VALU_DEP_3)
	v_mov_b32_e32 v107, v105
	v_pk_add_f32 v[100:101], v[100:101], v[102:103]
	s_delay_alu instid0(VALU_DEP_1) | instskip(SKIP_1) | instid1(VALU_DEP_1)
	v_pk_add_f32 v[100:101], v[100:101], v[106:107]
	s_wait_loadcnt 0x0
	v_pk_add_f32 v[100:101], v[222:223], v[100:101] neg_lo:[0,1] neg_hi:[0,1]
	scratch_store_b64 off, v[100:101], off offset:136
	s_wait_xcnt 0x0
	v_cmpx_lt_u32_e32 16, v0
	s_cbranch_execz .LBB112_275
; %bb.274:
	scratch_load_b64 v[100:101], off, off offset:128
	v_mov_b64_e32 v[102:103], 0
	scratch_store_b64 off, v[102:103], off offset:128
	s_wait_loadcnt 0x0
	ds_store_b64 v1, v[100:101]
.LBB112_275:
	s_wait_xcnt 0x0
	s_or_b32 exec_lo, exec_lo, s0
	s_wait_storecnt_dscnt 0x0
	s_barrier_signal -1
	s_barrier_wait -1
	s_clause 0x10
	scratch_load_b128 v[100:103], off, off offset:136
	scratch_load_b128 v[104:107], off, off offset:152
	;; [unrolled: 1-line block ×16, first 2 shown]
	scratch_load_b64 v[228:229], off, off offset:128
	ds_load_2addr_b64 v[164:167], v7 offset0:91 offset1:92
	ds_load_2addr_b64 v[168:171], v7 offset0:93 offset1:94
	;; [unrolled: 1-line block ×16, first 2 shown]
	s_mov_b32 s0, exec_lo
	s_wait_dscnt 0xf
	v_dual_mov_b32 v230, v167 :: v_dual_mov_b32 v231, v166
	s_wait_dscnt 0xe
	v_dual_mov_b32 v232, v171 :: v_dual_mov_b32 v233, v170
	;; [unrolled: 2-line block ×4, first 2 shown]
	s_wait_loadcnt_dscnt 0x100b
	v_dual_mul_f32 v7, v180, v101 :: v_dual_mul_f32 v9, v182, v103
	v_dual_mul_f32 v51, v181, v101 :: v_dual_mul_f32 v53, v183, v103
	s_wait_loadcnt_dscnt 0xf0a
	v_dual_mul_f32 v11, v184, v105 :: v_dual_mul_f32 v13, v186, v107
	s_delay_alu instid0(VALU_DEP_3) | instskip(SKIP_3) | instid1(VALU_DEP_3)
	v_dual_fmac_f32 v7, v181, v100 :: v_dual_fmac_f32 v9, v183, v102
	s_wait_loadcnt_dscnt 0xd08
	v_dual_fma_f32 v51, v180, v100, -v51 :: v_dual_mul_f32 v63, v193, v113
	v_dual_mul_f32 v55, v185, v105 :: v_dual_mul_f32 v57, v187, v107
	v_dual_fma_f32 v53, v182, v102, -v53 :: v_dual_add_f32 v7, 0, v7
	s_delay_alu instid0(VALU_DEP_3) | instskip(SKIP_1) | instid1(VALU_DEP_4)
	v_dual_add_f32 v51, 0, v51 :: v_dual_fmac_f32 v11, v185, v104
	v_dual_mul_f32 v15, v188, v109 :: v_dual_mul_f32 v17, v190, v111
	v_dual_mul_f32 v65, v195, v115 :: v_dual_fma_f32 v55, v184, v104, -v55
	s_delay_alu instid0(VALU_DEP_4) | instskip(NEXT) | instid1(VALU_DEP_3)
	v_add_f32_e32 v7, v7, v9
	v_dual_add_f32 v9, v51, v53 :: v_dual_fmac_f32 v15, v189, v108
	v_dual_mul_f32 v59, v189, v109 :: v_dual_mul_f32 v61, v191, v111
	s_wait_loadcnt_dscnt 0xc07
	v_dual_mul_f32 v51, v197, v117 :: v_dual_fmac_f32 v13, v187, v106
	v_dual_fma_f32 v53, v186, v106, -v57 :: v_dual_add_f32 v7, v7, v11
	s_delay_alu instid0(VALU_DEP_3) | instskip(SKIP_1) | instid1(VALU_DEP_3)
	v_dual_add_f32 v9, v9, v55 :: v_dual_fma_f32 v55, v188, v108, -v59
	v_dual_mul_f32 v19, v192, v113 :: v_dual_mul_f32 v21, v194, v115
	v_add_f32_e32 v7, v7, v13
	s_delay_alu instid0(VALU_DEP_3) | instskip(SKIP_2) | instid1(VALU_DEP_3)
	v_dual_mul_f32 v11, v199, v119 :: v_dual_add_f32 v9, v9, v53
	s_wait_loadcnt_dscnt 0xb06
	v_dual_mul_f32 v13, v201, v121 :: v_dual_fmac_f32 v17, v191, v110
	v_dual_fma_f32 v53, v190, v110, -v61 :: v_dual_add_f32 v7, v7, v15
	s_delay_alu instid0(VALU_DEP_3) | instskip(SKIP_1) | instid1(VALU_DEP_3)
	v_dual_add_f32 v9, v9, v55 :: v_dual_fma_f32 v55, v192, v112, -v63
	v_dual_mul_f32 v15, v203, v123 :: v_dual_fmac_f32 v19, v193, v112
	v_add_f32_e32 v7, v7, v17
	s_delay_alu instid0(VALU_DEP_3)
	v_dual_add_f32 v9, v9, v53 :: v_dual_fmac_f32 v21, v195, v114
	v_dual_mul_f32 v23, v196, v117 :: v_dual_mul_f32 v25, v198, v119
	s_wait_loadcnt_dscnt 0xa05
	v_dual_fma_f32 v53, v194, v114, -v65 :: v_dual_mul_f32 v17, v205, v125
	v_add_f32_e32 v7, v7, v19
	v_dual_add_f32 v9, v9, v55 :: v_dual_fma_f32 v51, v196, v116, -v51
	v_dual_mul_f32 v19, v207, v127 :: v_dual_fmac_f32 v23, v197, v116
	s_delay_alu instid0(VALU_DEP_3) | instskip(NEXT) | instid1(VALU_DEP_3)
	v_dual_add_f32 v7, v7, v21 :: v_dual_fma_f32 v11, v198, v118, -v11
	v_dual_add_f32 v9, v9, v53 :: v_dual_fmac_f32 v25, v199, v118
	v_dual_mul_f32 v27, v200, v121 :: v_dual_mul_f32 v29, v202, v123
	s_wait_loadcnt_dscnt 0x904
	s_delay_alu instid0(VALU_DEP_3) | instskip(NEXT) | instid1(VALU_DEP_3)
	v_dual_mul_f32 v21, v209, v129 :: v_dual_add_f32 v7, v7, v23
	v_dual_add_f32 v9, v9, v51 :: v_dual_fma_f32 v13, v200, v120, -v13
	s_delay_alu instid0(VALU_DEP_3) | instskip(NEXT) | instid1(VALU_DEP_2)
	v_dual_mul_f32 v23, v211, v131 :: v_dual_fmac_f32 v27, v201, v120
	v_dual_add_f32 v7, v7, v25 :: v_dual_add_f32 v9, v9, v11
	v_dual_mul_f32 v31, v204, v125 :: v_dual_mul_f32 v33, v206, v127
	s_wait_loadcnt_dscnt 0x803
	v_dual_mul_f32 v11, v213, v133 :: v_dual_fmac_f32 v29, v203, v122
	s_delay_alu instid0(VALU_DEP_3) | instskip(SKIP_2) | instid1(VALU_DEP_2)
	v_dual_fma_f32 v15, v202, v122, -v15 :: v_dual_add_f32 v7, v7, v27
	v_dual_add_f32 v9, v9, v13 :: v_dual_mul_f32 v13, v215, v135
	v_dual_fmac_f32 v31, v205, v124 :: v_dual_fma_f32 v17, v204, v124, -v17
	v_dual_add_f32 v7, v7, v29 :: v_dual_add_f32 v9, v9, v15
	v_dual_mul_f32 v35, v208, v129 :: v_dual_mul_f32 v37, v210, v131
	s_wait_loadcnt_dscnt 0x702
	v_dual_mul_f32 v15, v217, v137 :: v_dual_fmac_f32 v33, v207, v126
	s_delay_alu instid0(VALU_DEP_3) | instskip(SKIP_2) | instid1(VALU_DEP_2)
	v_dual_fma_f32 v19, v206, v126, -v19 :: v_dual_add_f32 v7, v7, v31
	v_dual_add_f32 v9, v9, v17 :: v_dual_mul_f32 v17, v219, v139
	v_dual_fmac_f32 v35, v209, v128 :: v_dual_fma_f32 v21, v208, v128, -v21
	v_dual_add_f32 v7, v7, v33 :: v_dual_add_f32 v9, v9, v19
	v_dual_mul_f32 v39, v212, v133 :: v_dual_mul_f32 v41, v214, v135
	s_wait_loadcnt_dscnt 0x601
	v_dual_mul_f32 v19, v221, v141 :: v_dual_fmac_f32 v37, v211, v130
	s_delay_alu instid0(VALU_DEP_3) | instskip(SKIP_2) | instid1(VALU_DEP_3)
	v_dual_fma_f32 v23, v210, v130, -v23 :: v_dual_add_f32 v7, v7, v35
	v_dual_add_f32 v9, v9, v21 :: v_dual_mul_f32 v21, v223, v143
	v_fmac_f32_e32 v39, v213, v132
	v_dual_fma_f32 v11, v212, v132, -v11 :: v_dual_add_f32 v7, v7, v37
	s_delay_alu instid0(VALU_DEP_3)
	v_dual_add_f32 v9, v9, v23 :: v_dual_mul_f32 v43, v216, v137
	s_wait_loadcnt_dscnt 0x500
	v_dual_mul_f32 v45, v218, v139 :: v_dual_mul_f32 v23, v225, v145
	v_fmac_f32_e32 v41, v215, v134
	v_dual_fma_f32 v13, v214, v134, -v13 :: v_dual_add_f32 v7, v7, v39
	v_dual_add_f32 v9, v9, v11 :: v_dual_fma_f32 v15, v216, v136, -v15
	v_dual_mul_f32 v11, v227, v147 :: v_dual_fmac_f32 v43, v217, v136
	s_delay_alu instid0(VALU_DEP_3) | instskip(NEXT) | instid1(VALU_DEP_3)
	v_add_f32_e32 v7, v7, v41
	v_dual_add_f32 v9, v9, v13 :: v_dual_fmac_f32 v45, v219, v138
	v_dual_mul_f32 v47, v220, v141 :: v_dual_mul_f32 v49, v222, v143
	s_delay_alu instid0(VALU_DEP_3) | instskip(SKIP_1) | instid1(VALU_DEP_3)
	v_dual_fma_f32 v13, v218, v138, -v17 :: v_dual_add_f32 v7, v7, v43
	s_wait_loadcnt 0x4
	v_dual_add_f32 v9, v9, v15 :: v_dual_mov_b32 v102, v151
	s_delay_alu instid0(VALU_DEP_3) | instskip(NEXT) | instid1(VALU_DEP_3)
	v_fmac_f32_e32 v47, v221, v140
	v_dual_fma_f32 v15, v220, v140, -v19 :: v_dual_add_f32 v7, v7, v45
	s_delay_alu instid0(VALU_DEP_3) | instskip(SKIP_1) | instid1(VALU_DEP_3)
	v_dual_add_f32 v9, v9, v13 :: v_dual_fmac_f32 v49, v223, v142
	v_dual_mul_f32 v239, v224, v145 :: v_dual_mul_f32 v241, v226, v147
	v_dual_fma_f32 v13, v222, v142, -v21 :: v_dual_add_f32 v7, v7, v47
	s_wait_loadcnt 0x3
	s_delay_alu instid0(VALU_DEP_3) | instskip(SKIP_1) | instid1(VALU_DEP_3)
	v_dual_add_f32 v9, v9, v15 :: v_dual_mov_b32 v106, v155
	v_pk_mul_f32 v[100:101], v[164:165], v[148:149] op_sel:[1,1] op_sel_hi:[0,1]
	v_dual_fmac_f32 v239, v225, v144 :: v_dual_add_f32 v109, v7, v49
	s_delay_alu instid0(VALU_DEP_3) | instskip(SKIP_1) | instid1(VALU_DEP_4)
	v_dual_fma_f32 v238, v224, v144, -v23 :: v_dual_add_f32 v108, v9, v13
	v_dual_fmac_f32 v241, v227, v146 :: v_dual_fma_f32 v240, v226, v146, -v11
	v_pk_fma_f32 v[110:111], v[164:165], v[148:149], v[100:101] op_sel_hi:[1,0,1]
	v_pk_mul_f32 v[102:103], v[230:231], v[102:103] op_sel_hi:[1,0]
	s_delay_alu instid0(VALU_DEP_4)
	v_pk_add_f32 v[108:109], v[108:109], v[238:239]
	v_pk_fma_f32 v[100:101], v[164:165], v[148:149], v[100:101] neg_lo:[0,0,1] neg_hi:[0,0,1]
	v_pk_mul_f32 v[104:105], v[168:169], v[152:153] op_sel:[1,1] op_sel_hi:[0,1]
	v_mov_b32_e32 v101, v111
	v_pk_fma_f32 v[110:111], v[166:167], v[150:151], v[102:103] op_sel_hi:[1,0,1]
	v_pk_add_f32 v[108:109], v[108:109], v[240:241]
	v_pk_fma_f32 v[102:103], v[166:167], v[150:151], v[102:103] neg_lo:[0,0,1] neg_hi:[0,0,1]
	v_pk_fma_f32 v[114:115], v[168:169], v[152:153], v[104:105] op_sel_hi:[1,0,1]
	v_pk_mul_f32 v[106:107], v[232:233], v[106:107] op_sel_hi:[1,0]
	v_mov_b32_e32 v103, v111
	v_pk_add_f32 v[100:101], v[108:109], v[100:101]
	s_wait_loadcnt 0x2
	v_pk_mul_f32 v[112:113], v[172:173], v[156:157] op_sel:[1,1] op_sel_hi:[0,1]
	v_mov_b32_e32 v108, v159
	v_pk_fma_f32 v[104:105], v[168:169], v[152:153], v[104:105] neg_lo:[0,0,1] neg_hi:[0,0,1]
	v_mov_b32_e32 v105, v115
	v_pk_fma_f32 v[110:111], v[170:171], v[154:155], v[106:107] op_sel_hi:[1,0,1]
	v_pk_add_f32 v[100:101], v[100:101], v[102:103]
	v_pk_fma_f32 v[102:103], v[172:173], v[156:157], v[112:113] op_sel_hi:[1,0,1]
	v_pk_mul_f32 v[108:109], v[234:235], v[108:109] op_sel_hi:[1,0]
	v_pk_fma_f32 v[106:107], v[170:171], v[154:155], v[106:107] neg_lo:[0,0,1] neg_hi:[0,0,1]
	v_mov_b32_e32 v107, v111
	v_pk_add_f32 v[100:101], v[100:101], v[104:105]
	v_pk_fma_f32 v[110:111], v[172:173], v[156:157], v[112:113] neg_lo:[0,0,1] neg_hi:[0,0,1]
	v_mov_b32_e32 v111, v103
	v_pk_fma_f32 v[102:103], v[174:175], v[158:159], v[108:109] op_sel_hi:[1,0,1]
	s_wait_loadcnt 0x1
	v_pk_mul_f32 v[104:105], v[176:177], v[160:161] op_sel:[1,1] op_sel_hi:[0,1]
	v_pk_add_f32 v[100:101], v[100:101], v[106:107]
	v_mov_b32_e32 v102, v163
	v_pk_fma_f32 v[108:109], v[174:175], v[158:159], v[108:109] neg_lo:[0,0,1] neg_hi:[0,0,1]
	v_mov_b32_e32 v109, v103
	v_pk_fma_f32 v[106:107], v[176:177], v[160:161], v[104:105] op_sel_hi:[1,0,1]
	v_pk_add_f32 v[100:101], v[100:101], v[110:111]
	v_pk_mul_f32 v[102:103], v[236:237], v[102:103] op_sel_hi:[1,0]
	v_pk_fma_f32 v[104:105], v[176:177], v[160:161], v[104:105] neg_lo:[0,0,1] neg_hi:[0,0,1]
	s_delay_alu instid0(VALU_DEP_4) | instskip(NEXT) | instid1(VALU_DEP_4)
	v_mov_b32_e32 v105, v107
	v_pk_add_f32 v[100:101], v[100:101], v[108:109]
	s_delay_alu instid0(VALU_DEP_4) | instskip(SKIP_1) | instid1(VALU_DEP_2)
	v_pk_fma_f32 v[106:107], v[178:179], v[162:163], v[102:103] op_sel_hi:[1,0,1]
	v_pk_fma_f32 v[102:103], v[178:179], v[162:163], v[102:103] neg_lo:[0,0,1] neg_hi:[0,0,1]
	v_mov_b32_e32 v103, v107
	s_delay_alu instid0(VALU_DEP_4) | instskip(NEXT) | instid1(VALU_DEP_1)
	v_pk_add_f32 v[100:101], v[100:101], v[104:105]
	v_pk_add_f32 v[100:101], v[100:101], v[102:103]
	s_wait_loadcnt 0x0
	s_delay_alu instid0(VALU_DEP_1)
	v_pk_add_f32 v[100:101], v[228:229], v[100:101] neg_lo:[0,1] neg_hi:[0,1]
	scratch_store_b64 off, v[100:101], off offset:128
	s_wait_xcnt 0x0
	v_cmpx_lt_u32_e32 15, v0
	s_cbranch_execz .LBB112_277
; %bb.276:
	scratch_load_b64 v[100:101], off, off offset:120
	v_mov_b64_e32 v[102:103], 0
	scratch_store_b64 off, v[102:103], off offset:120
	s_wait_loadcnt 0x0
	ds_store_b64 v1, v[100:101]
.LBB112_277:
	s_wait_xcnt 0x0
	s_or_b32 exec_lo, exec_lo, s0
	s_wait_storecnt_dscnt 0x0
	s_barrier_signal -1
	s_barrier_wait -1
	s_clause 0x11
	scratch_load_b128 v[100:103], off, off offset:128
	scratch_load_b128 v[104:107], off, off offset:144
	;; [unrolled: 1-line block ×16, first 2 shown]
	scratch_load_b64 v[228:229], off, off offset:384
	scratch_load_b64 v[230:231], off, off offset:120
	v_mov_b32_e32 v7, 0
	ds_load_b128 v[164:167], v7 offset:720
	ds_load_b128 v[168:171], v7 offset:736
	;; [unrolled: 1-line block ×16, first 2 shown]
	ds_load_b64 v[232:233], v7 offset:784
	s_mov_b32 s0, exec_lo
	s_wait_dscnt 0x10
	v_dual_mov_b32 v234, v167 :: v_dual_mov_b32 v235, v166
	s_wait_dscnt 0xd
	v_dual_mov_b32 v236, v171 :: v_dual_mov_b32 v241, v178
	v_dual_mov_b32 v237, v170 :: v_dual_mov_b32 v238, v175
	;; [unrolled: 1-line block ×3, first 2 shown]
	s_wait_loadcnt_dscnt 0x110c
	v_dual_mul_f32 v9, v180, v101 :: v_dual_mul_f32 v55, v181, v101
	v_dual_mul_f32 v57, v183, v103 :: v_dual_mul_f32 v11, v182, v103
	s_wait_loadcnt_dscnt 0x100b
	v_mul_f32_e32 v13, v184, v105
	s_wait_loadcnt_dscnt 0xe09
	v_dual_mul_f32 v67, v193, v113 :: v_dual_fma_f32 v55, v180, v100, -v55
	v_dual_fmac_f32 v9, v181, v100 :: v_dual_mul_f32 v69, v195, v115
	v_dual_mul_f32 v59, v185, v105 :: v_dual_mul_f32 v61, v187, v107
	v_dual_fmac_f32 v11, v183, v102 :: v_dual_fma_f32 v57, v182, v102, -v57
	s_delay_alu instid0(VALU_DEP_3) | instskip(SKIP_4) | instid1(VALU_DEP_3)
	v_dual_add_f32 v9, 0, v9 :: v_dual_add_f32 v55, 0, v55
	v_dual_mul_f32 v15, v186, v107 :: v_dual_mul_f32 v17, v188, v109
	s_wait_loadcnt_dscnt 0xd08
	v_dual_mul_f32 v71, v197, v117 :: v_dual_fma_f32 v59, v184, v104, -v59
	v_fmac_f32_e32 v13, v185, v104
	v_dual_add_f32 v9, v9, v11 :: v_dual_fmac_f32 v15, v187, v106
	v_add_f32_e32 v11, v55, v57
	v_dual_mul_f32 v63, v189, v109 :: v_dual_mul_f32 v65, v191, v111
	v_dual_mul_f32 v55, v199, v119 :: v_dual_fma_f32 v57, v186, v106, -v61
	s_delay_alu instid0(VALU_DEP_3) | instskip(SKIP_3) | instid1(VALU_DEP_3)
	v_dual_add_f32 v9, v9, v13 :: v_dual_add_f32 v11, v11, v59
	v_dual_mul_f32 v19, v190, v111 :: v_dual_mul_f32 v21, v192, v113
	s_wait_loadcnt_dscnt 0xc07
	v_dual_mul_f32 v13, v201, v121 :: v_dual_fma_f32 v59, v188, v108, -v63
	v_dual_fmac_f32 v17, v189, v108 :: v_dual_add_f32 v11, v11, v57
	s_delay_alu instid0(VALU_DEP_3) | instskip(SKIP_1) | instid1(VALU_DEP_2)
	v_dual_add_f32 v9, v9, v15 :: v_dual_fmac_f32 v19, v191, v110
	v_dual_mul_f32 v15, v203, v123 :: v_dual_fma_f32 v57, v190, v110, -v65
	v_dual_add_f32 v11, v11, v59 :: v_dual_add_f32 v9, v9, v17
	v_dual_mul_f32 v23, v194, v115 :: v_dual_mul_f32 v25, v196, v117
	s_wait_loadcnt_dscnt 0xb06
	v_dual_mul_f32 v17, v205, v125 :: v_dual_fma_f32 v59, v192, v112, -v67
	s_delay_alu instid0(VALU_DEP_3) | instskip(NEXT) | instid1(VALU_DEP_3)
	v_dual_fmac_f32 v21, v193, v112 :: v_dual_add_f32 v11, v11, v57
	v_dual_add_f32 v9, v9, v19 :: v_dual_fmac_f32 v23, v195, v114
	v_dual_mul_f32 v19, v207, v127 :: v_dual_fma_f32 v57, v194, v114, -v69
	s_delay_alu instid0(VALU_DEP_2) | instskip(SKIP_3) | instid1(VALU_DEP_3)
	v_dual_add_f32 v11, v11, v59 :: v_dual_add_f32 v9, v9, v21
	v_dual_mul_f32 v27, v198, v119 :: v_dual_mul_f32 v29, v200, v121
	s_wait_loadcnt_dscnt 0xa05
	v_dual_mul_f32 v21, v209, v129 :: v_dual_fma_f32 v59, v196, v116, -v71
	v_dual_fmac_f32 v25, v197, v116 :: v_dual_add_f32 v11, v11, v57
	s_delay_alu instid0(VALU_DEP_3) | instskip(SKIP_1) | instid1(VALU_DEP_2)
	v_dual_add_f32 v9, v9, v23 :: v_dual_fmac_f32 v27, v199, v118
	v_dual_mul_f32 v23, v211, v131 :: v_dual_fma_f32 v55, v198, v118, -v55
	v_dual_add_f32 v11, v11, v59 :: v_dual_add_f32 v9, v9, v25
	v_dual_mul_f32 v31, v202, v123 :: v_dual_mul_f32 v33, v204, v125
	s_wait_loadcnt_dscnt 0x904
	v_dual_mul_f32 v25, v213, v133 :: v_dual_fma_f32 v13, v200, v120, -v13
	s_delay_alu instid0(VALU_DEP_3) | instskip(NEXT) | instid1(VALU_DEP_3)
	v_dual_fmac_f32 v29, v201, v120 :: v_dual_add_f32 v11, v11, v55
	v_dual_add_f32 v9, v9, v27 :: v_dual_fmac_f32 v31, v203, v122
	v_dual_mul_f32 v27, v215, v135 :: v_dual_fma_f32 v15, v202, v122, -v15
	s_delay_alu instid0(VALU_DEP_3) | instskip(NEXT) | instid1(VALU_DEP_3)
	v_dual_add_f32 v11, v11, v13 :: v_dual_fmac_f32 v33, v205, v124
	v_dual_add_f32 v9, v9, v29 :: v_dual_fma_f32 v17, v204, v124, -v17
	v_dual_mul_f32 v35, v206, v127 :: v_dual_mul_f32 v37, v208, v129
	s_wait_loadcnt_dscnt 0x803
	s_delay_alu instid0(VALU_DEP_3) | instskip(NEXT) | instid1(VALU_DEP_2)
	v_dual_mul_f32 v13, v217, v137 :: v_dual_add_f32 v11, v11, v15
	v_dual_add_f32 v9, v9, v31 :: v_dual_fmac_f32 v35, v207, v126
	v_dual_mul_f32 v15, v219, v139 :: v_dual_fma_f32 v19, v206, v126, -v19
	s_delay_alu instid0(VALU_DEP_3) | instskip(NEXT) | instid1(VALU_DEP_3)
	v_dual_add_f32 v11, v11, v17 :: v_dual_fmac_f32 v37, v209, v128
	v_dual_add_f32 v9, v9, v33 :: v_dual_fma_f32 v21, v208, v128, -v21
	v_dual_mul_f32 v39, v210, v131 :: v_dual_mul_f32 v41, v212, v133
	s_wait_loadcnt_dscnt 0x702
	s_delay_alu instid0(VALU_DEP_3) | instskip(NEXT) | instid1(VALU_DEP_2)
	v_dual_mul_f32 v17, v221, v141 :: v_dual_add_f32 v11, v11, v19
	;; [unrolled: 9-line block ×3, first 2 shown]
	v_dual_add_f32 v9, v9, v39 :: v_dual_fmac_f32 v43, v215, v134
	v_dual_mul_f32 v23, v227, v147 :: v_dual_fma_f32 v27, v214, v134, -v27
	s_delay_alu instid0(VALU_DEP_3) | instskip(NEXT) | instid1(VALU_DEP_3)
	v_dual_add_f32 v11, v11, v25 :: v_dual_fmac_f32 v45, v217, v136
	v_dual_add_f32 v9, v9, v41 :: v_dual_fma_f32 v13, v216, v136, -v13
	v_dual_mul_f32 v47, v218, v139 :: v_dual_mul_f32 v49, v220, v141
	s_wait_loadcnt 0x5
	s_delay_alu instid0(VALU_DEP_3) | instskip(NEXT) | instid1(VALU_DEP_3)
	v_dual_mul_f32 v25, v165, v149 :: v_dual_add_f32 v11, v11, v27
	v_dual_add_f32 v9, v9, v43 :: v_dual_mov_b32 v100, v151
	s_delay_alu instid0(VALU_DEP_3) | instskip(NEXT) | instid1(VALU_DEP_3)
	v_fmac_f32_e32 v47, v219, v138
	v_dual_fma_f32 v15, v218, v138, -v15 :: v_dual_add_f32 v11, v11, v13
	s_delay_alu instid0(VALU_DEP_3) | instskip(SKIP_1) | instid1(VALU_DEP_3)
	v_dual_add_f32 v9, v9, v45 :: v_dual_mul_f32 v51, v222, v143
	v_dual_mul_f32 v53, v224, v145 :: v_dual_fmac_f32 v49, v221, v140
	v_dual_add_f32 v11, v11, v15 :: v_dual_fma_f32 v13, v220, v140, -v17
	s_wait_loadcnt 0x4
	s_delay_alu instid0(VALU_DEP_3) | instskip(SKIP_3) | instid1(VALU_DEP_4)
	v_dual_add_f32 v9, v9, v47 :: v_dual_mov_b32 v104, v155
	v_fma_f32 v15, v222, v142, -v19
	v_fmac_f32_e32 v51, v223, v142
	v_dual_add_f32 v11, v11, v13 :: v_dual_fmac_f32 v53, v225, v144
	v_dual_add_f32 v9, v9, v49 :: v_dual_mul_f32 v243, v226, v147
	v_mul_f32_e32 v245, v164, v149
	s_delay_alu instid0(VALU_DEP_3) | instskip(NEXT) | instid1(VALU_DEP_3)
	v_dual_fma_f32 v13, v224, v144, -v21 :: v_dual_add_f32 v11, v11, v15
	v_dual_fma_f32 v242, v226, v146, -v23 :: v_dual_add_f32 v9, v9, v51
	s_delay_alu instid0(VALU_DEP_4) | instskip(SKIP_1) | instid1(VALU_DEP_4)
	v_fmac_f32_e32 v243, v227, v146
	v_pk_mul_f32 v[100:101], v[234:235], v[100:101] op_sel_hi:[1,0]
	v_dual_add_f32 v108, v11, v13 :: v_dual_fmac_f32 v245, v165, v148
	s_delay_alu instid0(VALU_DEP_4)
	v_add_f32_e32 v109, v9, v53
	v_pk_mul_f32 v[102:103], v[168:169], v[152:153] op_sel:[1,1] op_sel_hi:[0,1]
	s_wait_loadcnt 0x3
	v_dual_mov_b32 v110, v159 :: v_dual_fma_f32 v244, v164, v148, -v25
	v_pk_fma_f32 v[112:113], v[166:167], v[150:151], v[100:101] op_sel_hi:[1,0,1]
	v_pk_add_f32 v[108:109], v[108:109], v[242:243]
	v_pk_fma_f32 v[100:101], v[166:167], v[150:151], v[100:101] neg_lo:[0,0,1] neg_hi:[0,0,1]
	v_pk_fma_f32 v[114:115], v[168:169], v[152:153], v[102:103] op_sel_hi:[1,0,1]
	v_pk_mul_f32 v[104:105], v[236:237], v[104:105] op_sel_hi:[1,0]
	v_mov_b32_e32 v101, v113
	v_pk_add_f32 v[108:109], v[108:109], v[244:245]
	v_pk_fma_f32 v[102:103], v[168:169], v[152:153], v[102:103] neg_lo:[0,0,1] neg_hi:[0,0,1]
	v_pk_mul_f32 v[106:107], v[172:173], v[156:157] op_sel:[1,1] op_sel_hi:[0,1]
	v_mov_b32_e32 v103, v115
	v_pk_fma_f32 v[114:115], v[170:171], v[154:155], v[104:105] op_sel_hi:[1,0,1]
	v_pk_add_f32 v[100:101], v[108:109], v[100:101]
	v_pk_fma_f32 v[104:105], v[170:171], v[154:155], v[104:105] neg_lo:[0,0,1] neg_hi:[0,0,1]
	v_pk_fma_f32 v[108:109], v[172:173], v[156:157], v[106:107] op_sel_hi:[1,0,1]
	v_pk_mul_f32 v[110:111], v[238:239], v[110:111] op_sel_hi:[1,0]
	v_mov_b32_e32 v105, v115
	v_pk_add_f32 v[100:101], v[100:101], v[102:103]
	v_pk_fma_f32 v[106:107], v[172:173], v[156:157], v[106:107] neg_lo:[0,0,1] neg_hi:[0,0,1]
	s_wait_loadcnt 0x2
	v_pk_mul_f32 v[112:113], v[176:177], v[160:161] op_sel:[1,1] op_sel_hi:[0,1]
	v_dual_mov_b32 v102, v163 :: v_dual_mov_b32 v107, v109
	v_pk_fma_f32 v[108:109], v[174:175], v[158:159], v[110:111] op_sel_hi:[1,0,1]
	v_pk_add_f32 v[100:101], v[100:101], v[104:105]
	v_pk_fma_f32 v[110:111], v[174:175], v[158:159], v[110:111] neg_lo:[0,0,1] neg_hi:[0,0,1]
	v_pk_fma_f32 v[104:105], v[176:177], v[160:161], v[112:113] op_sel_hi:[1,0,1]
	v_pk_mul_f32 v[102:103], v[240:241], v[102:103] op_sel_hi:[1,0]
	v_mov_b32_e32 v111, v109
	v_pk_add_f32 v[100:101], v[100:101], v[106:107]
	v_pk_fma_f32 v[106:107], v[176:177], v[160:161], v[112:113] neg_lo:[0,0,1] neg_hi:[0,0,1]
	v_mov_b32_e32 v107, v105
	v_pk_fma_f32 v[104:105], v[178:179], v[162:163], v[102:103] op_sel_hi:[1,0,1]
	s_wait_loadcnt_dscnt 0x100
	v_pk_mul_f32 v[108:109], v[232:233], v[228:229] op_sel:[1,1] op_sel_hi:[0,1]
	v_pk_add_f32 v[100:101], v[100:101], v[110:111]
	v_pk_fma_f32 v[102:103], v[178:179], v[162:163], v[102:103] neg_lo:[0,0,1] neg_hi:[0,0,1]
	v_mov_b32_e32 v103, v105
	s_delay_alu instid0(VALU_DEP_4) | instskip(NEXT) | instid1(VALU_DEP_4)
	v_pk_fma_f32 v[104:105], v[232:233], v[228:229], v[108:109] op_sel_hi:[1,0,1]
	v_pk_add_f32 v[100:101], v[100:101], v[106:107]
	v_pk_fma_f32 v[106:107], v[232:233], v[228:229], v[108:109] neg_lo:[0,0,1] neg_hi:[0,0,1]
	s_delay_alu instid0(VALU_DEP_3) | instskip(NEXT) | instid1(VALU_DEP_3)
	v_mov_b32_e32 v107, v105
	v_pk_add_f32 v[100:101], v[100:101], v[102:103]
	s_delay_alu instid0(VALU_DEP_1) | instskip(SKIP_1) | instid1(VALU_DEP_1)
	v_pk_add_f32 v[100:101], v[100:101], v[106:107]
	s_wait_loadcnt 0x0
	v_pk_add_f32 v[100:101], v[230:231], v[100:101] neg_lo:[0,1] neg_hi:[0,1]
	scratch_store_b64 off, v[100:101], off offset:120
	s_wait_xcnt 0x0
	v_cmpx_lt_u32_e32 14, v0
	s_cbranch_execz .LBB112_279
; %bb.278:
	scratch_load_b64 v[100:101], off, off offset:112
	v_mov_b64_e32 v[102:103], 0
	scratch_store_b64 off, v[102:103], off offset:112
	s_wait_loadcnt 0x0
	ds_store_b64 v1, v[100:101]
.LBB112_279:
	s_wait_xcnt 0x0
	s_or_b32 exec_lo, exec_lo, s0
	s_wait_storecnt_dscnt 0x0
	s_barrier_signal -1
	s_barrier_wait -1
	s_clause 0x11
	scratch_load_b128 v[100:103], off, off offset:120
	scratch_load_b128 v[104:107], off, off offset:136
	;; [unrolled: 1-line block ×17, first 2 shown]
	scratch_load_b64 v[236:237], off, off offset:112
	ds_load_2addr_b64 v[168:171], v7 offset0:91 offset1:92
	ds_load_2addr_b64 v[172:175], v7 offset0:93 offset1:94
	;; [unrolled: 1-line block ×17, first 2 shown]
	s_mov_b32 s0, exec_lo
	s_wait_dscnt 0x10
	v_dual_mov_b32 v238, v171 :: v_dual_mov_b32 v239, v170
	s_wait_dscnt 0xf
	v_dual_mov_b32 v240, v175 :: v_dual_mov_b32 v241, v174
	;; [unrolled: 2-line block ×4, first 2 shown]
	s_wait_loadcnt_dscnt 0x110b
	v_dual_mul_f32 v7, v188, v101 :: v_dual_mul_f32 v9, v190, v103
	v_dual_mul_f32 v55, v189, v101 :: v_dual_mul_f32 v57, v191, v103
	s_wait_loadcnt_dscnt 0x100a
	v_dual_mul_f32 v11, v192, v105 :: v_dual_mul_f32 v13, v194, v107
	s_delay_alu instid0(VALU_DEP_3) | instskip(SKIP_3) | instid1(VALU_DEP_3)
	v_dual_fmac_f32 v7, v189, v100 :: v_dual_fmac_f32 v9, v191, v102
	s_wait_loadcnt_dscnt 0xe08
	v_dual_fma_f32 v55, v188, v100, -v55 :: v_dual_mul_f32 v67, v201, v113
	v_dual_mul_f32 v59, v193, v105 :: v_dual_mul_f32 v61, v195, v107
	v_dual_fma_f32 v57, v190, v102, -v57 :: v_dual_add_f32 v7, 0, v7
	s_delay_alu instid0(VALU_DEP_3) | instskip(SKIP_1) | instid1(VALU_DEP_4)
	v_dual_add_f32 v55, 0, v55 :: v_dual_fmac_f32 v11, v193, v104
	v_dual_mul_f32 v15, v196, v109 :: v_dual_mul_f32 v17, v198, v111
	v_dual_mul_f32 v69, v203, v115 :: v_dual_fma_f32 v59, v192, v104, -v59
	s_delay_alu instid0(VALU_DEP_4) | instskip(NEXT) | instid1(VALU_DEP_3)
	v_add_f32_e32 v7, v7, v9
	v_dual_add_f32 v9, v55, v57 :: v_dual_fmac_f32 v15, v197, v108
	v_dual_mul_f32 v63, v197, v109 :: v_dual_mul_f32 v65, v199, v111
	s_wait_loadcnt_dscnt 0xd07
	v_dual_mul_f32 v55, v205, v117 :: v_dual_fmac_f32 v13, v195, v106
	v_dual_fma_f32 v57, v194, v106, -v61 :: v_dual_add_f32 v7, v7, v11
	s_delay_alu instid0(VALU_DEP_3) | instskip(SKIP_1) | instid1(VALU_DEP_3)
	v_dual_add_f32 v9, v9, v59 :: v_dual_fma_f32 v59, v196, v108, -v63
	v_dual_mul_f32 v19, v200, v113 :: v_dual_mul_f32 v21, v202, v115
	v_add_f32_e32 v7, v7, v13
	s_delay_alu instid0(VALU_DEP_3) | instskip(SKIP_2) | instid1(VALU_DEP_3)
	v_dual_mul_f32 v11, v207, v119 :: v_dual_add_f32 v9, v9, v57
	s_wait_loadcnt_dscnt 0xc06
	v_dual_mul_f32 v13, v209, v121 :: v_dual_fmac_f32 v17, v199, v110
	v_dual_fma_f32 v57, v198, v110, -v65 :: v_dual_add_f32 v7, v7, v15
	s_delay_alu instid0(VALU_DEP_3) | instskip(SKIP_1) | instid1(VALU_DEP_3)
	v_dual_add_f32 v9, v9, v59 :: v_dual_fma_f32 v59, v200, v112, -v67
	v_dual_mul_f32 v15, v211, v123 :: v_dual_fmac_f32 v19, v201, v112
	v_add_f32_e32 v7, v7, v17
	s_delay_alu instid0(VALU_DEP_3)
	v_dual_add_f32 v9, v9, v57 :: v_dual_fmac_f32 v21, v203, v114
	v_dual_mul_f32 v23, v204, v117 :: v_dual_mul_f32 v25, v206, v119
	s_wait_loadcnt_dscnt 0xb05
	v_dual_fma_f32 v57, v202, v114, -v69 :: v_dual_mul_f32 v17, v213, v125
	v_add_f32_e32 v7, v7, v19
	v_dual_add_f32 v9, v9, v59 :: v_dual_fma_f32 v55, v204, v116, -v55
	v_dual_mul_f32 v19, v215, v127 :: v_dual_fmac_f32 v23, v205, v116
	s_delay_alu instid0(VALU_DEP_3) | instskip(NEXT) | instid1(VALU_DEP_3)
	v_dual_add_f32 v7, v7, v21 :: v_dual_fma_f32 v11, v206, v118, -v11
	v_dual_add_f32 v9, v9, v57 :: v_dual_fmac_f32 v25, v207, v118
	v_dual_mul_f32 v27, v208, v121 :: v_dual_mul_f32 v29, v210, v123
	s_wait_loadcnt_dscnt 0xa04
	s_delay_alu instid0(VALU_DEP_3) | instskip(NEXT) | instid1(VALU_DEP_3)
	v_dual_mul_f32 v21, v217, v129 :: v_dual_add_f32 v7, v7, v23
	v_dual_add_f32 v9, v9, v55 :: v_dual_fma_f32 v13, v208, v120, -v13
	s_delay_alu instid0(VALU_DEP_3) | instskip(NEXT) | instid1(VALU_DEP_2)
	v_dual_mul_f32 v23, v219, v131 :: v_dual_fmac_f32 v27, v209, v120
	v_dual_add_f32 v7, v7, v25 :: v_dual_add_f32 v9, v9, v11
	v_dual_mul_f32 v31, v212, v125 :: v_dual_mul_f32 v33, v214, v127
	s_wait_loadcnt_dscnt 0x903
	v_dual_mul_f32 v11, v221, v133 :: v_dual_fmac_f32 v29, v211, v122
	s_delay_alu instid0(VALU_DEP_3) | instskip(SKIP_2) | instid1(VALU_DEP_2)
	v_dual_fma_f32 v15, v210, v122, -v15 :: v_dual_add_f32 v7, v7, v27
	v_dual_add_f32 v9, v9, v13 :: v_dual_mul_f32 v13, v223, v135
	v_dual_fmac_f32 v31, v213, v124 :: v_dual_fma_f32 v17, v212, v124, -v17
	v_dual_add_f32 v7, v7, v29 :: v_dual_add_f32 v9, v9, v15
	v_dual_mul_f32 v35, v216, v129 :: v_dual_mul_f32 v37, v218, v131
	s_wait_loadcnt_dscnt 0x802
	v_dual_mul_f32 v15, v225, v137 :: v_dual_fmac_f32 v33, v215, v126
	s_delay_alu instid0(VALU_DEP_3) | instskip(SKIP_2) | instid1(VALU_DEP_2)
	v_dual_fma_f32 v19, v214, v126, -v19 :: v_dual_add_f32 v7, v7, v31
	v_dual_add_f32 v9, v9, v17 :: v_dual_mul_f32 v17, v227, v139
	v_dual_fmac_f32 v35, v217, v128 :: v_dual_fma_f32 v21, v216, v128, -v21
	v_dual_add_f32 v7, v7, v33 :: v_dual_add_f32 v9, v9, v19
	v_dual_mul_f32 v39, v220, v133 :: v_dual_mul_f32 v41, v222, v135
	s_wait_loadcnt_dscnt 0x701
	v_dual_mul_f32 v19, v229, v141 :: v_dual_fmac_f32 v37, v219, v130
	s_delay_alu instid0(VALU_DEP_3) | instskip(SKIP_2) | instid1(VALU_DEP_3)
	v_dual_fma_f32 v23, v218, v130, -v23 :: v_dual_add_f32 v7, v7, v35
	v_dual_add_f32 v9, v9, v21 :: v_dual_mul_f32 v21, v231, v143
	v_fmac_f32_e32 v39, v221, v132
	v_dual_fma_f32 v11, v220, v132, -v11 :: v_dual_add_f32 v7, v7, v37
	s_delay_alu instid0(VALU_DEP_3)
	v_dual_add_f32 v9, v9, v23 :: v_dual_mul_f32 v43, v224, v137
	s_wait_loadcnt_dscnt 0x600
	v_dual_mul_f32 v45, v226, v139 :: v_dual_mul_f32 v23, v233, v145
	v_fmac_f32_e32 v41, v223, v134
	v_dual_fma_f32 v13, v222, v134, -v13 :: v_dual_add_f32 v7, v7, v39
	v_dual_add_f32 v9, v9, v11 :: v_dual_fma_f32 v15, v224, v136, -v15
	v_dual_mul_f32 v11, v235, v147 :: v_dual_fmac_f32 v43, v225, v136
	s_delay_alu instid0(VALU_DEP_3) | instskip(NEXT) | instid1(VALU_DEP_3)
	v_dual_add_f32 v7, v7, v41 :: v_dual_fma_f32 v17, v226, v138, -v17
	v_dual_add_f32 v9, v9, v13 :: v_dual_fmac_f32 v45, v227, v138
	v_dual_mul_f32 v47, v228, v141 :: v_dual_mul_f32 v49, v230, v143
	s_wait_loadcnt 0x5
	s_delay_alu instid0(VALU_DEP_3) | instskip(NEXT) | instid1(VALU_DEP_3)
	v_dual_mul_f32 v13, v185, v149 :: v_dual_add_f32 v7, v7, v43
	v_dual_add_f32 v9, v9, v15 :: v_dual_fma_f32 v19, v228, v140, -v19
	s_delay_alu instid0(VALU_DEP_3) | instskip(NEXT) | instid1(VALU_DEP_3)
	v_dual_mul_f32 v15, v187, v151 :: v_dual_fmac_f32 v47, v229, v140
	v_add_f32_e32 v7, v7, v45
	s_delay_alu instid0(VALU_DEP_3) | instskip(SKIP_1) | instid1(VALU_DEP_3)
	v_dual_add_f32 v9, v9, v17 :: v_dual_fmac_f32 v49, v231, v142
	v_dual_mul_f32 v51, v232, v145 :: v_dual_mul_f32 v53, v234, v147
	v_dual_fma_f32 v17, v230, v142, -v21 :: v_dual_add_f32 v7, v7, v47
	s_wait_loadcnt 0x4
	s_delay_alu instid0(VALU_DEP_3) | instskip(NEXT) | instid1(VALU_DEP_3)
	v_dual_add_f32 v9, v9, v19 :: v_dual_mov_b32 v102, v155
	v_fmac_f32_e32 v51, v233, v144
	s_delay_alu instid0(VALU_DEP_3) | instskip(NEXT) | instid1(VALU_DEP_3)
	v_dual_fma_f32 v19, v232, v144, -v23 :: v_dual_add_f32 v7, v7, v49
	v_dual_add_f32 v9, v9, v17 :: v_dual_fmac_f32 v53, v235, v146
	v_dual_mul_f32 v247, v184, v149 :: v_dual_mul_f32 v249, v186, v151
	s_delay_alu instid0(VALU_DEP_3) | instskip(SKIP_1) | instid1(VALU_DEP_3)
	v_dual_fma_f32 v11, v234, v146, -v11 :: v_dual_add_f32 v7, v7, v51
	s_wait_loadcnt 0x3
	v_dual_add_f32 v9, v9, v19 :: v_dual_mov_b32 v106, v159
	v_pk_mul_f32 v[100:101], v[168:169], v[152:153] op_sel:[1,1] op_sel_hi:[0,1]
	v_dual_fmac_f32 v247, v185, v148 :: v_dual_fma_f32 v246, v184, v148, -v13
	s_delay_alu instid0(VALU_DEP_3) | instskip(SKIP_1) | instid1(VALU_DEP_4)
	v_dual_add_f32 v109, v7, v53 :: v_dual_add_f32 v108, v9, v11
	v_dual_fmac_f32 v249, v187, v150 :: v_dual_fma_f32 v248, v186, v150, -v15
	v_pk_fma_f32 v[110:111], v[168:169], v[152:153], v[100:101] op_sel_hi:[1,0,1]
	v_pk_mul_f32 v[102:103], v[238:239], v[102:103] op_sel_hi:[1,0]
	s_delay_alu instid0(VALU_DEP_4)
	v_pk_add_f32 v[108:109], v[108:109], v[246:247]
	v_pk_fma_f32 v[100:101], v[168:169], v[152:153], v[100:101] neg_lo:[0,0,1] neg_hi:[0,0,1]
	v_pk_mul_f32 v[104:105], v[172:173], v[156:157] op_sel:[1,1] op_sel_hi:[0,1]
	v_mov_b32_e32 v101, v111
	v_pk_fma_f32 v[110:111], v[170:171], v[154:155], v[102:103] op_sel_hi:[1,0,1]
	v_pk_add_f32 v[108:109], v[108:109], v[248:249]
	v_pk_fma_f32 v[102:103], v[170:171], v[154:155], v[102:103] neg_lo:[0,0,1] neg_hi:[0,0,1]
	v_pk_fma_f32 v[114:115], v[172:173], v[156:157], v[104:105] op_sel_hi:[1,0,1]
	v_pk_mul_f32 v[106:107], v[240:241], v[106:107] op_sel_hi:[1,0]
	v_mov_b32_e32 v103, v111
	v_pk_add_f32 v[100:101], v[108:109], v[100:101]
	s_wait_loadcnt 0x2
	v_pk_mul_f32 v[112:113], v[176:177], v[160:161] op_sel:[1,1] op_sel_hi:[0,1]
	v_mov_b32_e32 v108, v163
	v_pk_fma_f32 v[104:105], v[172:173], v[156:157], v[104:105] neg_lo:[0,0,1] neg_hi:[0,0,1]
	v_mov_b32_e32 v105, v115
	v_pk_fma_f32 v[110:111], v[174:175], v[158:159], v[106:107] op_sel_hi:[1,0,1]
	v_pk_add_f32 v[100:101], v[100:101], v[102:103]
	v_pk_fma_f32 v[102:103], v[176:177], v[160:161], v[112:113] op_sel_hi:[1,0,1]
	v_pk_mul_f32 v[108:109], v[242:243], v[108:109] op_sel_hi:[1,0]
	v_pk_fma_f32 v[106:107], v[174:175], v[158:159], v[106:107] neg_lo:[0,0,1] neg_hi:[0,0,1]
	v_mov_b32_e32 v107, v111
	v_pk_add_f32 v[100:101], v[100:101], v[104:105]
	v_pk_fma_f32 v[110:111], v[176:177], v[160:161], v[112:113] neg_lo:[0,0,1] neg_hi:[0,0,1]
	v_mov_b32_e32 v111, v103
	v_pk_fma_f32 v[102:103], v[178:179], v[162:163], v[108:109] op_sel_hi:[1,0,1]
	s_wait_loadcnt 0x1
	v_pk_mul_f32 v[104:105], v[180:181], v[164:165] op_sel:[1,1] op_sel_hi:[0,1]
	v_pk_add_f32 v[100:101], v[100:101], v[106:107]
	v_mov_b32_e32 v102, v167
	v_pk_fma_f32 v[108:109], v[178:179], v[162:163], v[108:109] neg_lo:[0,0,1] neg_hi:[0,0,1]
	v_mov_b32_e32 v109, v103
	v_pk_fma_f32 v[106:107], v[180:181], v[164:165], v[104:105] op_sel_hi:[1,0,1]
	v_pk_add_f32 v[100:101], v[100:101], v[110:111]
	v_pk_mul_f32 v[102:103], v[244:245], v[102:103] op_sel_hi:[1,0]
	v_pk_fma_f32 v[104:105], v[180:181], v[164:165], v[104:105] neg_lo:[0,0,1] neg_hi:[0,0,1]
	s_delay_alu instid0(VALU_DEP_4) | instskip(NEXT) | instid1(VALU_DEP_4)
	v_mov_b32_e32 v105, v107
	v_pk_add_f32 v[100:101], v[100:101], v[108:109]
	s_delay_alu instid0(VALU_DEP_4) | instskip(SKIP_1) | instid1(VALU_DEP_2)
	v_pk_fma_f32 v[106:107], v[182:183], v[166:167], v[102:103] op_sel_hi:[1,0,1]
	v_pk_fma_f32 v[102:103], v[182:183], v[166:167], v[102:103] neg_lo:[0,0,1] neg_hi:[0,0,1]
	v_mov_b32_e32 v103, v107
	s_delay_alu instid0(VALU_DEP_4) | instskip(NEXT) | instid1(VALU_DEP_1)
	v_pk_add_f32 v[100:101], v[100:101], v[104:105]
	v_pk_add_f32 v[100:101], v[100:101], v[102:103]
	s_wait_loadcnt 0x0
	s_delay_alu instid0(VALU_DEP_1)
	v_pk_add_f32 v[100:101], v[236:237], v[100:101] neg_lo:[0,1] neg_hi:[0,1]
	scratch_store_b64 off, v[100:101], off offset:112
	s_wait_xcnt 0x0
	v_cmpx_lt_u32_e32 13, v0
	s_cbranch_execz .LBB112_281
; %bb.280:
	scratch_load_b64 v[100:101], off, off offset:104
	v_mov_b64_e32 v[102:103], 0
	scratch_store_b64 off, v[102:103], off offset:104
	s_wait_loadcnt 0x0
	ds_store_b64 v1, v[100:101]
.LBB112_281:
	s_wait_xcnt 0x0
	s_or_b32 exec_lo, exec_lo, s0
	s_wait_storecnt_dscnt 0x0
	s_barrier_signal -1
	s_barrier_wait -1
	s_clause 0x12
	scratch_load_b128 v[100:103], off, off offset:112
	scratch_load_b128 v[104:107], off, off offset:128
	;; [unrolled: 1-line block ×17, first 2 shown]
	scratch_load_b64 v[236:237], off, off offset:384
	scratch_load_b64 v[238:239], off, off offset:104
	v_mov_b32_e32 v7, 0
	ds_load_b128 v[168:171], v7 offset:720
	ds_load_b128 v[172:175], v7 offset:736
	;; [unrolled: 1-line block ×17, first 2 shown]
	ds_load_b64 v[240:241], v7 offset:784
	s_mov_b32 s0, exec_lo
	s_wait_dscnt 0x11
	v_dual_mov_b32 v242, v171 :: v_dual_mov_b32 v243, v170
	s_wait_dscnt 0x10
	v_dual_mov_b32 v244, v175 :: v_dual_mov_b32 v245, v174
	;; [unrolled: 2-line block ×3, first 2 shown]
	v_dual_mov_b32 v247, v178 :: v_dual_mov_b32 v248, v187
	s_wait_loadcnt_dscnt 0x120c
	v_dual_mul_f32 v9, v188, v101 :: v_dual_mul_f32 v59, v189, v101
	v_dual_mul_f32 v61, v191, v103 :: v_dual_mul_f32 v11, v190, v103
	s_wait_loadcnt_dscnt 0x110b
	v_mul_f32_e32 v13, v192, v105
	s_wait_loadcnt_dscnt 0xf09
	v_dual_mul_f32 v71, v201, v113 :: v_dual_fma_f32 v59, v188, v100, -v59
	v_dual_fmac_f32 v9, v189, v100 :: v_dual_mul_f32 v73, v203, v115
	v_dual_mul_f32 v63, v193, v105 :: v_dual_mul_f32 v65, v195, v107
	v_dual_fmac_f32 v11, v191, v102 :: v_dual_fma_f32 v61, v190, v102, -v61
	s_delay_alu instid0(VALU_DEP_3) | instskip(SKIP_4) | instid1(VALU_DEP_3)
	v_dual_add_f32 v9, 0, v9 :: v_dual_add_f32 v59, 0, v59
	v_dual_mul_f32 v15, v194, v107 :: v_dual_mul_f32 v17, v196, v109
	s_wait_loadcnt_dscnt 0xe08
	v_dual_mul_f32 v75, v205, v117 :: v_dual_fma_f32 v63, v192, v104, -v63
	v_fmac_f32_e32 v13, v193, v104
	v_dual_add_f32 v9, v9, v11 :: v_dual_fmac_f32 v15, v195, v106
	v_add_f32_e32 v11, v59, v61
	v_dual_mul_f32 v67, v197, v109 :: v_dual_mul_f32 v69, v199, v111
	v_dual_mul_f32 v59, v207, v119 :: v_dual_fma_f32 v61, v194, v106, -v65
	s_delay_alu instid0(VALU_DEP_3) | instskip(SKIP_3) | instid1(VALU_DEP_3)
	v_dual_add_f32 v9, v9, v13 :: v_dual_add_f32 v11, v11, v63
	v_dual_mul_f32 v19, v198, v111 :: v_dual_mul_f32 v21, v200, v113
	s_wait_loadcnt_dscnt 0xd07
	v_dual_mul_f32 v13, v209, v121 :: v_dual_fma_f32 v63, v196, v108, -v67
	v_dual_fmac_f32 v17, v197, v108 :: v_dual_add_f32 v11, v11, v61
	s_delay_alu instid0(VALU_DEP_3) | instskip(SKIP_1) | instid1(VALU_DEP_2)
	v_dual_add_f32 v9, v9, v15 :: v_dual_fmac_f32 v19, v199, v110
	v_dual_mul_f32 v15, v211, v123 :: v_dual_fma_f32 v61, v198, v110, -v69
	v_dual_add_f32 v11, v11, v63 :: v_dual_add_f32 v9, v9, v17
	v_dual_mul_f32 v23, v202, v115 :: v_dual_mul_f32 v25, v204, v117
	s_wait_loadcnt_dscnt 0xc06
	v_dual_mul_f32 v17, v213, v125 :: v_dual_fma_f32 v63, v200, v112, -v71
	s_delay_alu instid0(VALU_DEP_3) | instskip(NEXT) | instid1(VALU_DEP_3)
	v_dual_fmac_f32 v21, v201, v112 :: v_dual_add_f32 v11, v11, v61
	v_dual_add_f32 v9, v9, v19 :: v_dual_fmac_f32 v23, v203, v114
	v_dual_mul_f32 v19, v215, v127 :: v_dual_fma_f32 v61, v202, v114, -v73
	s_delay_alu instid0(VALU_DEP_2) | instskip(SKIP_3) | instid1(VALU_DEP_3)
	v_dual_add_f32 v11, v11, v63 :: v_dual_add_f32 v9, v9, v21
	v_dual_mul_f32 v27, v206, v119 :: v_dual_mul_f32 v29, v208, v121
	s_wait_loadcnt_dscnt 0xb05
	v_dual_mul_f32 v21, v217, v129 :: v_dual_fma_f32 v63, v204, v116, -v75
	v_dual_fmac_f32 v25, v205, v116 :: v_dual_add_f32 v11, v11, v61
	s_delay_alu instid0(VALU_DEP_3) | instskip(SKIP_1) | instid1(VALU_DEP_2)
	v_dual_add_f32 v9, v9, v23 :: v_dual_fmac_f32 v27, v207, v118
	v_dual_mul_f32 v23, v219, v131 :: v_dual_fma_f32 v59, v206, v118, -v59
	v_dual_add_f32 v11, v11, v63 :: v_dual_add_f32 v9, v9, v25
	v_dual_mul_f32 v31, v210, v123 :: v_dual_mul_f32 v33, v212, v125
	s_wait_loadcnt_dscnt 0xa04
	v_dual_mul_f32 v25, v221, v133 :: v_dual_fma_f32 v13, v208, v120, -v13
	s_delay_alu instid0(VALU_DEP_3) | instskip(NEXT) | instid1(VALU_DEP_3)
	v_dual_fmac_f32 v29, v209, v120 :: v_dual_add_f32 v11, v11, v59
	v_dual_add_f32 v9, v9, v27 :: v_dual_fmac_f32 v31, v211, v122
	v_dual_mul_f32 v27, v223, v135 :: v_dual_fma_f32 v15, v210, v122, -v15
	s_delay_alu instid0(VALU_DEP_3) | instskip(NEXT) | instid1(VALU_DEP_3)
	v_dual_add_f32 v11, v11, v13 :: v_dual_fmac_f32 v33, v213, v124
	v_dual_add_f32 v9, v9, v29 :: v_dual_fma_f32 v17, v212, v124, -v17
	v_dual_mul_f32 v35, v214, v127 :: v_dual_mul_f32 v37, v216, v129
	s_wait_loadcnt_dscnt 0x903
	s_delay_alu instid0(VALU_DEP_3) | instskip(NEXT) | instid1(VALU_DEP_2)
	v_dual_mul_f32 v13, v225, v137 :: v_dual_add_f32 v11, v11, v15
	v_dual_add_f32 v9, v9, v31 :: v_dual_fmac_f32 v35, v215, v126
	v_dual_mul_f32 v15, v227, v139 :: v_dual_fma_f32 v19, v214, v126, -v19
	s_delay_alu instid0(VALU_DEP_3) | instskip(NEXT) | instid1(VALU_DEP_3)
	v_dual_add_f32 v11, v11, v17 :: v_dual_fmac_f32 v37, v217, v128
	v_dual_add_f32 v9, v9, v33 :: v_dual_fma_f32 v21, v216, v128, -v21
	v_dual_mul_f32 v39, v218, v131 :: v_dual_mul_f32 v41, v220, v133
	s_wait_loadcnt_dscnt 0x802
	s_delay_alu instid0(VALU_DEP_3) | instskip(NEXT) | instid1(VALU_DEP_2)
	v_dual_mul_f32 v17, v229, v141 :: v_dual_add_f32 v11, v11, v19
	;; [unrolled: 9-line block ×3, first 2 shown]
	v_dual_add_f32 v9, v9, v39 :: v_dual_fmac_f32 v43, v223, v134
	v_dual_mul_f32 v23, v235, v147 :: v_dual_fma_f32 v27, v222, v134, -v27
	s_delay_alu instid0(VALU_DEP_3) | instskip(NEXT) | instid1(VALU_DEP_3)
	v_dual_add_f32 v11, v11, v25 :: v_dual_fmac_f32 v45, v225, v136
	v_dual_add_f32 v9, v9, v41 :: v_dual_fma_f32 v13, v224, v136, -v13
	v_dual_mul_f32 v47, v226, v139 :: v_dual_mul_f32 v49, v228, v141
	s_wait_loadcnt 0x6
	s_delay_alu instid0(VALU_DEP_3) | instskip(NEXT) | instid1(VALU_DEP_2)
	v_dual_mul_f32 v25, v181, v149 :: v_dual_add_f32 v11, v11, v27
	v_dual_add_f32 v9, v9, v43 :: v_dual_fmac_f32 v47, v227, v138
	v_dual_mul_f32 v27, v183, v151 :: v_dual_fma_f32 v15, v226, v138, -v15
	s_delay_alu instid0(VALU_DEP_3) | instskip(NEXT) | instid1(VALU_DEP_3)
	v_dual_add_f32 v11, v11, v13 :: v_dual_fmac_f32 v49, v229, v140
	v_dual_add_f32 v9, v9, v45 :: v_dual_fma_f32 v17, v228, v140, -v17
	v_dual_mul_f32 v51, v230, v143 :: v_dual_mul_f32 v53, v232, v145
	s_wait_loadcnt 0x5
	s_delay_alu instid0(VALU_DEP_3) | instskip(NEXT) | instid1(VALU_DEP_3)
	v_dual_mul_f32 v13, v169, v153 :: v_dual_add_f32 v11, v11, v15
	v_dual_add_f32 v9, v9, v47 :: v_dual_mov_b32 v100, v155
	s_delay_alu instid0(VALU_DEP_3) | instskip(NEXT) | instid1(VALU_DEP_3)
	v_fmac_f32_e32 v51, v231, v142
	v_dual_fma_f32 v15, v230, v142, -v19 :: v_dual_add_f32 v11, v11, v17
	s_delay_alu instid0(VALU_DEP_3) | instskip(SKIP_1) | instid1(VALU_DEP_3)
	v_dual_add_f32 v9, v9, v49 :: v_dual_mul_f32 v55, v234, v147
	v_dual_mul_f32 v57, v180, v149 :: v_dual_fmac_f32 v53, v233, v144
	v_dual_add_f32 v11, v11, v15 :: v_dual_fma_f32 v17, v232, v144, -v21
	s_wait_loadcnt 0x4
	s_delay_alu instid0(VALU_DEP_3) | instskip(SKIP_3) | instid1(VALU_DEP_4)
	v_dual_add_f32 v9, v9, v51 :: v_dual_mov_b32 v104, v159
	v_fma_f32 v15, v234, v146, -v23
	v_fmac_f32_e32 v55, v235, v146
	v_dual_add_f32 v11, v11, v17 :: v_dual_fmac_f32 v57, v181, v148
	v_dual_add_f32 v9, v9, v53 :: v_dual_mul_f32 v251, v182, v151
	v_mul_f32_e32 v253, v168, v153
	s_delay_alu instid0(VALU_DEP_3) | instskip(NEXT) | instid1(VALU_DEP_3)
	v_dual_fma_f32 v17, v180, v148, -v25 :: v_dual_add_f32 v11, v11, v15
	v_dual_fma_f32 v250, v182, v150, -v27 :: v_dual_add_f32 v9, v9, v55
	s_delay_alu instid0(VALU_DEP_4) | instskip(SKIP_1) | instid1(VALU_DEP_4)
	v_fmac_f32_e32 v251, v183, v150
	v_pk_mul_f32 v[100:101], v[242:243], v[100:101] op_sel_hi:[1,0]
	v_dual_add_f32 v108, v11, v17 :: v_dual_fmac_f32 v253, v169, v152
	s_delay_alu instid0(VALU_DEP_4)
	v_add_f32_e32 v109, v9, v57
	v_pk_mul_f32 v[102:103], v[172:173], v[156:157] op_sel:[1,1] op_sel_hi:[0,1]
	s_wait_loadcnt 0x3
	v_dual_mov_b32 v110, v163 :: v_dual_fma_f32 v252, v168, v152, -v13
	v_pk_fma_f32 v[112:113], v[170:171], v[154:155], v[100:101] op_sel_hi:[1,0,1]
	v_pk_add_f32 v[108:109], v[108:109], v[250:251]
	v_pk_fma_f32 v[100:101], v[170:171], v[154:155], v[100:101] neg_lo:[0,0,1] neg_hi:[0,0,1]
	v_pk_fma_f32 v[114:115], v[172:173], v[156:157], v[102:103] op_sel_hi:[1,0,1]
	v_pk_mul_f32 v[104:105], v[244:245], v[104:105] op_sel_hi:[1,0]
	v_mov_b32_e32 v101, v113
	v_pk_add_f32 v[108:109], v[108:109], v[252:253]
	v_pk_fma_f32 v[102:103], v[172:173], v[156:157], v[102:103] neg_lo:[0,0,1] neg_hi:[0,0,1]
	v_pk_mul_f32 v[106:107], v[176:177], v[160:161] op_sel:[1,1] op_sel_hi:[0,1]
	v_mov_b32_e32 v103, v115
	v_pk_fma_f32 v[114:115], v[174:175], v[158:159], v[104:105] op_sel_hi:[1,0,1]
	v_pk_add_f32 v[100:101], v[108:109], v[100:101]
	v_pk_fma_f32 v[104:105], v[174:175], v[158:159], v[104:105] neg_lo:[0,0,1] neg_hi:[0,0,1]
	v_pk_fma_f32 v[108:109], v[176:177], v[160:161], v[106:107] op_sel_hi:[1,0,1]
	v_pk_mul_f32 v[110:111], v[246:247], v[110:111] op_sel_hi:[1,0]
	v_mov_b32_e32 v105, v115
	v_pk_add_f32 v[100:101], v[100:101], v[102:103]
	v_pk_fma_f32 v[106:107], v[176:177], v[160:161], v[106:107] neg_lo:[0,0,1] neg_hi:[0,0,1]
	s_wait_loadcnt 0x2
	v_pk_mul_f32 v[112:113], v[184:185], v[164:165] op_sel:[1,1] op_sel_hi:[0,1]
	v_dual_mov_b32 v102, v167 :: v_dual_mov_b32 v107, v109
	v_pk_fma_f32 v[108:109], v[178:179], v[162:163], v[110:111] op_sel_hi:[1,0,1]
	v_pk_add_f32 v[100:101], v[100:101], v[104:105]
	v_pk_fma_f32 v[110:111], v[178:179], v[162:163], v[110:111] neg_lo:[0,0,1] neg_hi:[0,0,1]
	v_pk_fma_f32 v[104:105], v[184:185], v[164:165], v[112:113] op_sel_hi:[1,0,1]
	v_pk_mul_f32 v[102:103], v[248:249], v[102:103] op_sel_hi:[1,0]
	v_mov_b32_e32 v111, v109
	v_pk_add_f32 v[100:101], v[100:101], v[106:107]
	v_pk_fma_f32 v[106:107], v[184:185], v[164:165], v[112:113] neg_lo:[0,0,1] neg_hi:[0,0,1]
	v_mov_b32_e32 v107, v105
	v_pk_fma_f32 v[104:105], v[186:187], v[166:167], v[102:103] op_sel_hi:[1,0,1]
	s_wait_loadcnt_dscnt 0x100
	v_pk_mul_f32 v[108:109], v[240:241], v[236:237] op_sel:[1,1] op_sel_hi:[0,1]
	v_pk_add_f32 v[100:101], v[100:101], v[110:111]
	v_pk_fma_f32 v[102:103], v[186:187], v[166:167], v[102:103] neg_lo:[0,0,1] neg_hi:[0,0,1]
	v_mov_b32_e32 v103, v105
	s_delay_alu instid0(VALU_DEP_4) | instskip(NEXT) | instid1(VALU_DEP_4)
	v_pk_fma_f32 v[104:105], v[240:241], v[236:237], v[108:109] op_sel_hi:[1,0,1]
	v_pk_add_f32 v[100:101], v[100:101], v[106:107]
	v_pk_fma_f32 v[106:107], v[240:241], v[236:237], v[108:109] neg_lo:[0,0,1] neg_hi:[0,0,1]
	s_delay_alu instid0(VALU_DEP_3) | instskip(NEXT) | instid1(VALU_DEP_3)
	v_mov_b32_e32 v107, v105
	v_pk_add_f32 v[100:101], v[100:101], v[102:103]
	s_delay_alu instid0(VALU_DEP_1) | instskip(SKIP_1) | instid1(VALU_DEP_1)
	v_pk_add_f32 v[100:101], v[100:101], v[106:107]
	s_wait_loadcnt 0x0
	v_pk_add_f32 v[100:101], v[238:239], v[100:101] neg_lo:[0,1] neg_hi:[0,1]
	scratch_store_b64 off, v[100:101], off offset:104
	s_wait_xcnt 0x0
	v_cmpx_lt_u32_e32 12, v0
	s_cbranch_execz .LBB112_283
; %bb.282:
	scratch_load_b64 v[100:101], off, off offset:96
	v_mov_b64_e32 v[102:103], 0
	scratch_store_b64 off, v[102:103], off offset:96
	s_wait_loadcnt 0x0
	ds_store_b64 v1, v[100:101]
.LBB112_283:
	s_wait_xcnt 0x0
	s_or_b32 exec_lo, exec_lo, s0
	s_wait_storecnt_dscnt 0x0
	s_barrier_signal -1
	s_barrier_wait -1
	s_clause 0x12
	scratch_load_b128 v[100:103], off, off offset:104
	scratch_load_b128 v[104:107], off, off offset:120
	scratch_load_b128 v[108:111], off, off offset:136
	scratch_load_b128 v[112:115], off, off offset:152
	scratch_load_b128 v[116:119], off, off offset:168
	scratch_load_b128 v[120:123], off, off offset:184
	scratch_load_b128 v[124:127], off, off offset:200
	scratch_load_b128 v[128:131], off, off offset:216
	scratch_load_b128 v[132:135], off, off offset:232
	scratch_load_b128 v[136:139], off, off offset:248
	scratch_load_b128 v[140:143], off, off offset:264
	scratch_load_b128 v[144:147], off, off offset:280
	scratch_load_b128 v[148:151], off, off offset:296
	scratch_load_b128 v[152:155], off, off offset:312
	scratch_load_b128 v[156:159], off, off offset:328
	scratch_load_b128 v[160:163], off, off offset:344
	scratch_load_b128 v[164:167], off, off offset:360
	scratch_load_b128 v[168:171], off, off offset:376
	scratch_load_b64 v[244:245], off, off offset:96
	ds_load_2addr_b64 v[172:175], v7 offset0:91 offset1:92
	ds_load_2addr_b64 v[176:179], v7 offset0:93 offset1:94
	;; [unrolled: 1-line block ×18, first 2 shown]
	s_mov_b32 s0, exec_lo
	s_wait_dscnt 0x11
	v_dual_mov_b32 v246, v175 :: v_dual_mov_b32 v247, v174
	s_wait_dscnt 0x10
	v_dual_mov_b32 v248, v179 :: v_dual_mov_b32 v249, v178
	;; [unrolled: 2-line block ×4, first 2 shown]
	s_wait_loadcnt_dscnt 0x120d
	v_dual_mul_f32 v7, v188, v101 :: v_dual_mul_f32 v9, v190, v103
	s_wait_loadcnt_dscnt 0x110c
	v_dual_mul_f32 v59, v189, v101 :: v_dual_mul_f32 v65, v195, v107
	s_wait_loadcnt_dscnt 0x100b
	v_mul_f32_e32 v67, v197, v109
	v_dual_fmac_f32 v7, v189, v100 :: v_dual_fmac_f32 v9, v191, v102
	s_delay_alu instid0(VALU_DEP_3) | instskip(SKIP_4) | instid1(VALU_DEP_2)
	v_fma_f32 v59, v188, v100, -v59
	v_dual_mul_f32 v11, v192, v105 :: v_dual_mul_f32 v13, v194, v107
	v_dual_mul_f32 v61, v191, v103 :: v_dual_mul_f32 v63, v193, v105
	s_wait_loadcnt_dscnt 0x500
	v_dual_mul_f32 v69, v199, v111 :: v_dual_mul_f32 v255, v240, v153
	v_dual_mul_f32 v71, v201, v113 :: v_dual_fma_f32 v61, v190, v102, -v61
	v_dual_add_f32 v7, 0, v7 :: v_dual_fmac_f32 v11, v193, v104
	v_dual_add_f32 v59, 0, v59 :: v_dual_fma_f32 v63, v192, v104, -v63
	v_dual_mul_f32 v15, v196, v109 :: v_dual_mul_f32 v17, v198, v111
	s_delay_alu instid0(VALU_DEP_3) | instskip(NEXT) | instid1(VALU_DEP_3)
	v_add_f32_e32 v7, v7, v9
	v_dual_add_f32 v9, v59, v61 :: v_dual_fma_f32 v61, v194, v106, -v65
	s_delay_alu instid0(VALU_DEP_3) | instskip(NEXT) | instid1(VALU_DEP_3)
	v_dual_fmac_f32 v15, v197, v108 :: v_dual_fmac_f32 v13, v195, v106
	v_add_f32_e32 v7, v7, v11
	s_delay_alu instid0(VALU_DEP_3) | instskip(SKIP_2) | instid1(VALU_DEP_4)
	v_add_f32_e32 v9, v9, v63
	v_dual_mul_f32 v11, v207, v119 :: v_dual_fma_f32 v63, v196, v108, -v67
	v_dual_mul_f32 v19, v200, v113 :: v_dual_mul_f32 v21, v202, v115
	v_add_f32_e32 v7, v7, v13
	s_delay_alu instid0(VALU_DEP_4) | instskip(SKIP_1) | instid1(VALU_DEP_3)
	v_add_f32_e32 v9, v9, v61
	v_dual_mul_f32 v13, v209, v121 :: v_dual_fmac_f32 v17, v199, v110
	v_dual_fma_f32 v61, v198, v110, -v69 :: v_dual_add_f32 v7, v7, v15
	v_fmac_f32_e32 v19, v201, v112
	s_delay_alu instid0(VALU_DEP_4) | instskip(SKIP_1) | instid1(VALU_DEP_2)
	v_dual_add_f32 v9, v9, v63 :: v_dual_fma_f32 v63, v200, v112, -v71
	v_dual_mul_f32 v73, v203, v115 :: v_dual_mul_f32 v59, v205, v117
	v_dual_mul_f32 v15, v211, v123 :: v_dual_add_f32 v9, v9, v61
	s_delay_alu instid0(VALU_DEP_2) | instskip(SKIP_2) | instid1(VALU_DEP_2)
	v_dual_add_f32 v7, v7, v17 :: v_dual_fma_f32 v61, v202, v114, -v73
	v_dual_mul_f32 v23, v204, v117 :: v_dual_mul_f32 v25, v206, v119
	v_dual_mul_f32 v17, v213, v125 :: v_dual_fmac_f32 v21, v203, v114
	v_dual_add_f32 v7, v7, v19 :: v_dual_fmac_f32 v23, v205, v116
	v_dual_add_f32 v9, v9, v63 :: v_dual_fma_f32 v59, v204, v116, -v59
	v_mul_f32_e32 v19, v215, v127
	s_delay_alu instid0(VALU_DEP_3) | instskip(NEXT) | instid1(VALU_DEP_3)
	v_dual_add_f32 v7, v7, v21 :: v_dual_fma_f32 v11, v206, v118, -v11
	v_add_f32_e32 v9, v9, v61
	v_dual_mul_f32 v27, v208, v121 :: v_dual_mul_f32 v29, v210, v123
	v_dual_mul_f32 v21, v217, v129 :: v_dual_fmac_f32 v25, v207, v118
	s_delay_alu instid0(VALU_DEP_2) | instskip(NEXT) | instid1(VALU_DEP_4)
	v_dual_add_f32 v7, v7, v23 :: v_dual_fmac_f32 v27, v209, v120
	v_dual_add_f32 v9, v9, v59 :: v_dual_fma_f32 v13, v208, v120, -v13
	v_dual_mul_f32 v31, v212, v125 :: v_dual_mul_f32 v33, v214, v127
	s_delay_alu instid0(VALU_DEP_2) | instskip(SKIP_1) | instid1(VALU_DEP_2)
	v_dual_add_f32 v7, v7, v25 :: v_dual_add_f32 v9, v9, v11
	v_dual_fmac_f32 v29, v211, v122 :: v_dual_fma_f32 v15, v210, v122, -v15
	v_dual_fmac_f32 v31, v213, v124 :: v_dual_add_f32 v7, v7, v27
	s_delay_alu instid0(VALU_DEP_3) | instskip(SKIP_2) | instid1(VALU_DEP_3)
	v_dual_add_f32 v9, v9, v13 :: v_dual_mul_f32 v13, v223, v135
	v_fma_f32 v17, v212, v124, -v17
	v_dual_mul_f32 v35, v216, v129 :: v_dual_mul_f32 v37, v218, v131
	v_dual_add_f32 v7, v7, v29 :: v_dual_add_f32 v9, v9, v15
	v_dual_fmac_f32 v33, v215, v126 :: v_dual_mul_f32 v15, v225, v137
	s_delay_alu instid0(VALU_DEP_2) | instskip(NEXT) | instid1(VALU_DEP_3)
	v_dual_fma_f32 v19, v214, v126, -v19 :: v_dual_add_f32 v7, v7, v31
	v_dual_add_f32 v9, v9, v17 :: v_dual_mul_f32 v23, v219, v131
	v_dual_mul_f32 v11, v221, v133 :: v_dual_mul_f32 v17, v227, v139
	v_dual_fmac_f32 v35, v217, v128 :: v_dual_fma_f32 v21, v216, v128, -v21
	s_delay_alu instid0(VALU_DEP_3) | instskip(SKIP_2) | instid1(VALU_DEP_3)
	v_dual_add_f32 v7, v7, v33 :: v_dual_add_f32 v9, v9, v19
	v_dual_fmac_f32 v37, v219, v130 :: v_dual_mul_f32 v39, v220, v133
	v_dual_mul_f32 v41, v222, v135 :: v_dual_mul_f32 v19, v229, v141
	v_dual_fma_f32 v23, v218, v130, -v23 :: v_dual_add_f32 v7, v7, v35
	s_delay_alu instid0(VALU_DEP_4) | instskip(NEXT) | instid1(VALU_DEP_4)
	v_dual_add_f32 v9, v9, v21 :: v_dual_mul_f32 v21, v231, v143
	v_fmac_f32_e32 v39, v221, v132
	s_delay_alu instid0(VALU_DEP_3) | instskip(NEXT) | instid1(VALU_DEP_3)
	v_dual_fma_f32 v11, v220, v132, -v11 :: v_dual_add_f32 v7, v7, v37
	v_dual_add_f32 v9, v9, v23 :: v_dual_fmac_f32 v41, v223, v134
	v_dual_mul_f32 v43, v224, v137 :: v_dual_mul_f32 v45, v226, v139
	v_dual_mul_f32 v23, v233, v145 :: v_dual_fma_f32 v13, v222, v134, -v13
	s_delay_alu instid0(VALU_DEP_2) | instskip(NEXT) | instid1(VALU_DEP_4)
	v_dual_add_f32 v7, v7, v39 :: v_dual_fmac_f32 v43, v225, v136
	v_dual_add_f32 v9, v9, v11 :: v_dual_fma_f32 v15, v224, v136, -v15
	v_mul_f32_e32 v11, v235, v147
	s_delay_alu instid0(VALU_DEP_3) | instskip(NEXT) | instid1(VALU_DEP_3)
	v_dual_add_f32 v7, v7, v41 :: v_dual_fma_f32 v17, v226, v138, -v17
	v_add_f32_e32 v9, v9, v13
	v_dual_mul_f32 v47, v228, v141 :: v_dual_mul_f32 v49, v230, v143
	v_dual_mul_f32 v13, v237, v149 :: v_dual_fmac_f32 v45, v227, v138
	s_delay_alu instid0(VALU_DEP_2) | instskip(NEXT) | instid1(VALU_DEP_4)
	v_dual_add_f32 v7, v7, v43 :: v_dual_fmac_f32 v47, v229, v140
	v_dual_add_f32 v9, v9, v15 :: v_dual_fma_f32 v19, v228, v140, -v19
	v_mul_f32_e32 v15, v239, v151
	s_delay_alu instid0(VALU_DEP_3) | instskip(NEXT) | instid1(VALU_DEP_3)
	v_dual_add_f32 v7, v7, v45 :: v_dual_fma_f32 v21, v230, v142, -v21
	v_add_f32_e32 v9, v9, v17
	v_dual_mul_f32 v51, v232, v145 :: v_dual_mul_f32 v53, v234, v147
	v_dual_mul_f32 v17, v241, v153 :: v_dual_fmac_f32 v49, v231, v142
	s_delay_alu instid0(VALU_DEP_2) | instskip(NEXT) | instid1(VALU_DEP_4)
	v_dual_add_f32 v7, v7, v47 :: v_dual_fmac_f32 v51, v233, v144
	v_dual_add_f32 v9, v9, v19 :: v_dual_fma_f32 v23, v232, v144, -v23
	v_mul_f32_e32 v19, v243, v155
	s_delay_alu instid0(VALU_DEP_3) | instskip(NEXT) | instid1(VALU_DEP_3)
	v_dual_add_f32 v7, v7, v49 :: v_dual_fma_f32 v11, v234, v146, -v11
	v_add_f32_e32 v9, v9, v21
	v_dual_mul_f32 v55, v236, v149 :: v_dual_mul_f32 v57, v238, v151
	v_fmac_f32_e32 v53, v235, v146
	s_delay_alu instid0(VALU_DEP_4) | instskip(SKIP_3) | instid1(VALU_DEP_2)
	v_add_f32_e32 v7, v7, v51
	s_wait_loadcnt 0x4
	v_dual_add_f32 v9, v9, v23 :: v_dual_mov_b32 v102, v159
	v_dual_fma_f32 v13, v236, v148, -v13 :: v_dual_fmac_f32 v55, v237, v148
	v_dual_add_f32 v7, v7, v53 :: v_dual_add_f32 v9, v9, v11
	v_pk_mul_f32 v[100:101], v[172:173], v[156:157] op_sel:[1,1] op_sel_hi:[0,1]
	v_dual_fmac_f32 v57, v239, v150 :: v_dual_fma_f32 v11, v238, v150, -v15
	s_delay_alu instid0(VALU_DEP_3)
	v_dual_add_f32 v7, v7, v55 :: v_dual_add_f32 v9, v9, v13
	s_set_vgpr_msb 64                       ;  msbs: dst=1 src0=0 src1=0 src2=0
	v_dual_mul_f32 v1 /*v257*/, v242, v155 :: v_dual_fma_f32 v0 /*v256*/, v242, v154, -v19
	s_wait_loadcnt 0x3
	s_set_vgpr_msb 0                        ;  msbs: dst=0 src0=0 src1=0 src2=0
	v_dual_mov_b32 v106, v163 :: v_dual_fmac_f32 v255, v241, v152
	v_dual_fma_f32 v254, v240, v152, -v17 :: v_dual_add_f32 v109, v7, v57
	v_pk_fma_f32 v[110:111], v[172:173], v[156:157], v[100:101] op_sel_hi:[1,0,1]
	v_add_f32_e32 v108, v9, v11
	v_pk_fma_f32 v[100:101], v[172:173], v[156:157], v[100:101] neg_lo:[0,0,1] neg_hi:[0,0,1]
	s_set_vgpr_msb 64                       ;  msbs: dst=1 src0=0 src1=0 src2=0
	v_fmac_f32_e32 v1 /*v257*/, v243, v154
	s_set_vgpr_msb 0                        ;  msbs: dst=0 src0=0 src1=0 src2=0
	v_pk_mul_f32 v[102:103], v[246:247], v[102:103] op_sel_hi:[1,0]
	v_mov_b32_e32 v101, v111
	v_pk_add_f32 v[108:109], v[108:109], v[254:255]
	v_pk_mul_f32 v[104:105], v[176:177], v[160:161] op_sel:[1,1] op_sel_hi:[0,1]
	v_pk_mul_f32 v[106:107], v[248:249], v[106:107] op_sel_hi:[1,0]
	v_pk_fma_f32 v[110:111], v[174:175], v[158:159], v[102:103] op_sel_hi:[1,0,1]
	v_pk_fma_f32 v[102:103], v[174:175], v[158:159], v[102:103] neg_lo:[0,0,1] neg_hi:[0,0,1]
	s_set_vgpr_msb 4                        ;  msbs: dst=0 src0=0 src1=1 src2=0
	v_pk_add_f32 v[108:109], v[108:109], v[0:1] /*v[256:257]*/
	s_set_vgpr_msb 0                        ;  msbs: dst=0 src0=0 src1=0 src2=0
	v_pk_fma_f32 v[114:115], v[176:177], v[160:161], v[104:105] op_sel_hi:[1,0,1]
	s_wait_loadcnt 0x2
	v_pk_mul_f32 v[112:113], v[180:181], v[164:165] op_sel:[1,1] op_sel_hi:[0,1]
	v_mov_b32_e32 v103, v111
	v_pk_fma_f32 v[104:105], v[176:177], v[160:161], v[104:105] neg_lo:[0,0,1] neg_hi:[0,0,1]
	v_pk_add_f32 v[100:101], v[108:109], v[100:101]
	v_mov_b32_e32 v108, v167
	v_pk_fma_f32 v[110:111], v[178:179], v[162:163], v[106:107] op_sel_hi:[1,0,1]
	v_mov_b32_e32 v105, v115
	v_pk_fma_f32 v[106:107], v[178:179], v[162:163], v[106:107] neg_lo:[0,0,1] neg_hi:[0,0,1]
	v_pk_add_f32 v[100:101], v[100:101], v[102:103]
	v_pk_fma_f32 v[102:103], v[180:181], v[164:165], v[112:113] op_sel_hi:[1,0,1]
	v_pk_mul_f32 v[108:109], v[250:251], v[108:109] op_sel_hi:[1,0]
	v_mov_b32_e32 v107, v111
	v_pk_fma_f32 v[110:111], v[180:181], v[164:165], v[112:113] neg_lo:[0,0,1] neg_hi:[0,0,1]
	v_pk_add_f32 v[100:101], v[100:101], v[104:105]
	v_mov_b32_e32 v111, v103
	v_pk_fma_f32 v[102:103], v[182:183], v[166:167], v[108:109] op_sel_hi:[1,0,1]
	s_wait_loadcnt 0x1
	v_pk_mul_f32 v[104:105], v[184:185], v[168:169] op_sel:[1,1] op_sel_hi:[0,1]
	v_mov_b32_e32 v102, v171
	v_pk_add_f32 v[100:101], v[100:101], v[106:107]
	v_pk_fma_f32 v[108:109], v[182:183], v[166:167], v[108:109] neg_lo:[0,0,1] neg_hi:[0,0,1]
	s_delay_alu instid0(VALU_DEP_4) | instskip(SKIP_1) | instid1(VALU_DEP_4)
	v_pk_fma_f32 v[106:107], v[184:185], v[168:169], v[104:105] op_sel_hi:[1,0,1]
	v_mov_b32_e32 v109, v103
	v_pk_add_f32 v[100:101], v[100:101], v[110:111]
	v_pk_mul_f32 v[102:103], v[252:253], v[102:103] op_sel_hi:[1,0]
	v_pk_fma_f32 v[104:105], v[184:185], v[168:169], v[104:105] neg_lo:[0,0,1] neg_hi:[0,0,1]
	v_mov_b32_e32 v105, v107
	s_delay_alu instid0(VALU_DEP_4) | instskip(NEXT) | instid1(VALU_DEP_4)
	v_pk_add_f32 v[100:101], v[100:101], v[108:109]
	v_pk_fma_f32 v[106:107], v[186:187], v[170:171], v[102:103] op_sel_hi:[1,0,1]
	v_pk_fma_f32 v[102:103], v[186:187], v[170:171], v[102:103] neg_lo:[0,0,1] neg_hi:[0,0,1]
	s_delay_alu instid0(VALU_DEP_3) | instskip(NEXT) | instid1(VALU_DEP_3)
	v_pk_add_f32 v[100:101], v[100:101], v[104:105]
	v_mov_b32_e32 v103, v107
	s_delay_alu instid0(VALU_DEP_1) | instskip(SKIP_1) | instid1(VALU_DEP_1)
	v_pk_add_f32 v[100:101], v[100:101], v[102:103]
	s_wait_loadcnt 0x0
	v_pk_add_f32 v[100:101], v[244:245], v[100:101] neg_lo:[0,1] neg_hi:[0,1]
	scratch_store_b64 off, v[100:101], off offset:96
	s_wait_xcnt 0x0
	v_cmpx_lt_u32_e32 11, v0
	s_cbranch_execz .LBB112_285
; %bb.284:
	scratch_load_b64 v[100:101], off, off offset:88
	v_mov_b64_e32 v[102:103], 0
	scratch_store_b64 off, v[102:103], off offset:88
	s_wait_loadcnt 0x0
	ds_store_b64 v1, v[100:101]
.LBB112_285:
	s_wait_xcnt 0x0
	s_or_b32 exec_lo, exec_lo, s0
	s_wait_storecnt_dscnt 0x0
	s_barrier_signal -1
	s_barrier_wait -1
	s_clause 0x13
	scratch_load_b128 v[100:103], off, off offset:96
	scratch_load_b128 v[104:107], off, off offset:112
	;; [unrolled: 1-line block ×18, first 2 shown]
	scratch_load_b64 v[244:245], off, off offset:384
	scratch_load_b64 v[246:247], off, off offset:88
	v_mov_b32_e32 v7, 0
	ds_load_b128 v[172:175], v7 offset:720
	ds_load_b128 v[176:179], v7 offset:736
	;; [unrolled: 1-line block ×18, first 2 shown]
	ds_load_b64 v[248:249], v7 offset:784
	s_mov_b32 s0, exec_lo
	s_wait_dscnt 0x12
	v_dual_mov_b32 v250, v175 :: v_dual_mov_b32 v251, v174
	s_wait_dscnt 0x10
	v_dual_mov_b32 v252, v179 :: v_dual_mov_b32 v255, v182
	v_dual_mov_b32 v253, v178 :: v_dual_mov_b32 v254, v183
	s_wait_dscnt 0xd
	s_set_vgpr_msb 64                       ;  msbs: dst=1 src0=0 src1=0 src2=0
	v_dual_mov_b32 v0 /*v256*/, v195 :: v_dual_mov_b32 v1 /*v257*/, v194
	s_wait_loadcnt 0x13
	s_set_vgpr_msb 0                        ;  msbs: dst=0 src0=0 src1=0 src2=0
	v_dual_mul_f32 v9, v184, v101 :: v_dual_mul_f32 v63, v185, v101
	v_dual_mul_f32 v65, v187, v103 :: v_dual_mul_f32 v11, v186, v103
	s_wait_loadcnt 0x12
	v_mul_f32_e32 v13, v188, v105
	s_wait_loadcnt_dscnt 0x100b
	v_dual_mul_f32 v75, v201, v113 :: v_dual_fma_f32 v63, v184, v100, -v63
	v_dual_fmac_f32 v9, v185, v100 :: v_dual_mul_f32 v77, v203, v115
	v_dual_mul_f32 v67, v189, v105 :: v_dual_mul_f32 v69, v191, v107
	v_dual_fmac_f32 v11, v187, v102 :: v_dual_fma_f32 v65, v186, v102, -v65
	s_delay_alu instid0(VALU_DEP_3) | instskip(SKIP_4) | instid1(VALU_DEP_3)
	v_dual_add_f32 v9, 0, v9 :: v_dual_add_f32 v63, 0, v63
	v_dual_mul_f32 v15, v190, v107 :: v_dual_mul_f32 v17, v196, v109
	s_wait_loadcnt_dscnt 0xf0a
	v_dual_mul_f32 v79, v205, v117 :: v_dual_fma_f32 v67, v188, v104, -v67
	v_fmac_f32_e32 v13, v189, v104
	v_dual_add_f32 v9, v9, v11 :: v_dual_fmac_f32 v15, v191, v106
	v_add_f32_e32 v11, v63, v65
	v_dual_mul_f32 v71, v197, v109 :: v_dual_mul_f32 v73, v199, v111
	v_dual_mul_f32 v63, v207, v119 :: v_dual_fma_f32 v65, v190, v106, -v69
	s_delay_alu instid0(VALU_DEP_3) | instskip(SKIP_3) | instid1(VALU_DEP_3)
	v_dual_add_f32 v9, v9, v13 :: v_dual_add_f32 v11, v11, v67
	v_dual_mul_f32 v19, v198, v111 :: v_dual_mul_f32 v21, v200, v113
	s_wait_loadcnt_dscnt 0xe09
	v_dual_mul_f32 v13, v209, v121 :: v_dual_fma_f32 v67, v196, v108, -v71
	v_dual_fmac_f32 v17, v197, v108 :: v_dual_add_f32 v11, v11, v65
	s_delay_alu instid0(VALU_DEP_3) | instskip(SKIP_1) | instid1(VALU_DEP_2)
	v_dual_add_f32 v9, v9, v15 :: v_dual_fmac_f32 v19, v199, v110
	v_dual_mul_f32 v15, v211, v123 :: v_dual_fma_f32 v65, v198, v110, -v73
	v_dual_add_f32 v11, v11, v67 :: v_dual_add_f32 v9, v9, v17
	v_dual_mul_f32 v23, v202, v115 :: v_dual_mul_f32 v25, v204, v117
	s_wait_loadcnt_dscnt 0xd08
	v_dual_mul_f32 v17, v213, v125 :: v_dual_fma_f32 v67, v200, v112, -v75
	s_delay_alu instid0(VALU_DEP_3) | instskip(NEXT) | instid1(VALU_DEP_3)
	v_dual_fmac_f32 v21, v201, v112 :: v_dual_add_f32 v11, v11, v65
	v_dual_add_f32 v9, v9, v19 :: v_dual_fmac_f32 v23, v203, v114
	v_dual_mul_f32 v19, v215, v127 :: v_dual_fma_f32 v65, v202, v114, -v77
	s_delay_alu instid0(VALU_DEP_2) | instskip(SKIP_3) | instid1(VALU_DEP_3)
	v_dual_add_f32 v11, v11, v67 :: v_dual_add_f32 v9, v9, v21
	v_dual_mul_f32 v27, v206, v119 :: v_dual_mul_f32 v29, v208, v121
	s_wait_loadcnt_dscnt 0xc07
	v_dual_mul_f32 v21, v217, v129 :: v_dual_fma_f32 v67, v204, v116, -v79
	v_dual_fmac_f32 v25, v205, v116 :: v_dual_add_f32 v11, v11, v65
	s_delay_alu instid0(VALU_DEP_3) | instskip(SKIP_1) | instid1(VALU_DEP_2)
	v_dual_add_f32 v9, v9, v23 :: v_dual_fmac_f32 v27, v207, v118
	v_dual_mul_f32 v23, v219, v131 :: v_dual_fma_f32 v63, v206, v118, -v63
	v_dual_add_f32 v11, v11, v67 :: v_dual_add_f32 v9, v9, v25
	v_dual_mul_f32 v31, v210, v123 :: v_dual_mul_f32 v33, v212, v125
	s_wait_loadcnt_dscnt 0xb06
	v_dual_mul_f32 v25, v221, v133 :: v_dual_fma_f32 v13, v208, v120, -v13
	s_delay_alu instid0(VALU_DEP_3) | instskip(NEXT) | instid1(VALU_DEP_3)
	v_dual_fmac_f32 v29, v209, v120 :: v_dual_add_f32 v11, v11, v63
	v_dual_add_f32 v9, v9, v27 :: v_dual_fmac_f32 v31, v211, v122
	v_dual_mul_f32 v27, v223, v135 :: v_dual_fma_f32 v15, v210, v122, -v15
	s_delay_alu instid0(VALU_DEP_3) | instskip(NEXT) | instid1(VALU_DEP_3)
	v_dual_add_f32 v11, v11, v13 :: v_dual_fmac_f32 v33, v213, v124
	v_dual_add_f32 v9, v9, v29 :: v_dual_fma_f32 v17, v212, v124, -v17
	v_dual_mul_f32 v35, v214, v127 :: v_dual_mul_f32 v37, v216, v129
	s_wait_loadcnt_dscnt 0xa05
	s_delay_alu instid0(VALU_DEP_3) | instskip(NEXT) | instid1(VALU_DEP_2)
	v_dual_mul_f32 v13, v225, v137 :: v_dual_add_f32 v11, v11, v15
	v_dual_add_f32 v9, v9, v31 :: v_dual_fmac_f32 v35, v215, v126
	v_dual_mul_f32 v15, v227, v139 :: v_dual_fma_f32 v19, v214, v126, -v19
	s_delay_alu instid0(VALU_DEP_3) | instskip(NEXT) | instid1(VALU_DEP_3)
	v_dual_add_f32 v11, v11, v17 :: v_dual_fmac_f32 v37, v217, v128
	v_dual_add_f32 v9, v9, v33 :: v_dual_fma_f32 v21, v216, v128, -v21
	v_dual_mul_f32 v39, v218, v131 :: v_dual_mul_f32 v41, v220, v133
	s_wait_loadcnt_dscnt 0x904
	s_delay_alu instid0(VALU_DEP_3) | instskip(NEXT) | instid1(VALU_DEP_2)
	v_dual_mul_f32 v17, v229, v141 :: v_dual_add_f32 v11, v11, v19
	;; [unrolled: 9-line block ×5, first 2 shown]
	v_dual_add_f32 v9, v9, v47 :: v_dual_fmac_f32 v51, v231, v142
	v_dual_mul_f32 v15, v243, v155 :: v_dual_fma_f32 v19, v230, v142, -v19
	s_delay_alu instid0(VALU_DEP_3) | instskip(NEXT) | instid1(VALU_DEP_3)
	v_dual_add_f32 v11, v11, v17 :: v_dual_fmac_f32 v53, v233, v144
	v_dual_add_f32 v9, v9, v49 :: v_dual_fma_f32 v21, v232, v144, -v21
	v_dual_mul_f32 v55, v234, v147 :: v_dual_mul_f32 v57, v236, v149
	s_wait_loadcnt 0x5
	s_delay_alu instid0(VALU_DEP_3) | instskip(NEXT) | instid1(VALU_DEP_3)
	v_dual_mul_f32 v17, v173, v157 :: v_dual_add_f32 v11, v11, v19
	v_dual_add_f32 v9, v9, v51 :: v_dual_mov_b32 v100, v159
	s_delay_alu instid0(VALU_DEP_3) | instskip(NEXT) | instid1(VALU_DEP_3)
	v_fmac_f32_e32 v55, v235, v146
	v_dual_fma_f32 v19, v234, v146, -v23 :: v_dual_add_f32 v11, v11, v21
	s_delay_alu instid0(VALU_DEP_3) | instskip(SKIP_1) | instid1(VALU_DEP_3)
	v_dual_add_f32 v9, v9, v53 :: v_dual_mul_f32 v59, v238, v151
	v_dual_mul_f32 v61, v240, v153 :: v_dual_fmac_f32 v57, v237, v148
	v_dual_add_f32 v11, v11, v19 :: v_dual_fma_f32 v21, v236, v148, -v25
	s_wait_loadcnt 0x4
	s_delay_alu instid0(VALU_DEP_3) | instskip(SKIP_3) | instid1(VALU_DEP_4)
	v_dual_add_f32 v9, v9, v55 :: v_dual_mov_b32 v104, v163
	v_fma_f32 v19, v238, v150, -v27
	v_fmac_f32_e32 v59, v239, v150
	v_dual_add_f32 v11, v11, v21 :: v_dual_fmac_f32 v61, v241, v152
	v_add_f32_e32 v9, v9, v57
	s_set_vgpr_msb 64                       ;  msbs: dst=1 src0=0 src1=0 src2=0
	v_dual_mul_f32 v3 /*v259*/, v242, v155 :: v_dual_mul_f32 v5 /*v261*/, v172, v157
	s_set_vgpr_msb 0                        ;  msbs: dst=0 src0=0 src1=0 src2=0
	v_fma_f32 v13, v240, v152, -v13
	v_pk_mul_f32 v[100:101], v[250:251], v[100:101] op_sel_hi:[1,0]
	v_add_f32_e32 v9, v9, v59
	v_add_f32_e32 v11, v11, v19
	s_set_vgpr_msb 64                       ;  msbs: dst=1 src0=0 src1=0 src2=0
	v_dual_fmac_f32 v3 /*v259*/, v243, v154 :: v_dual_fmac_f32 v5 /*v261*/, v173, v156
	v_dual_fma_f32 v2 /*v258*/, v242, v154, -v15 :: v_dual_fma_f32 v4 /*v260*/, v172, v156, -v17
	s_set_vgpr_msb 0                        ;  msbs: dst=0 src0=0 src1=0 src2=0
	v_add_f32_e32 v109, v9, v61
	v_pk_fma_f32 v[112:113], v[174:175], v[158:159], v[100:101] op_sel_hi:[1,0,1]
	v_add_f32_e32 v108, v11, v13
	v_pk_fma_f32 v[100:101], v[174:175], v[158:159], v[100:101] neg_lo:[0,0,1] neg_hi:[0,0,1]
	v_pk_mul_f32 v[102:103], v[176:177], v[160:161] op_sel:[1,1] op_sel_hi:[0,1]
	v_pk_mul_f32 v[104:105], v[252:253], v[104:105] op_sel_hi:[1,0]
	v_mov_b32_e32 v101, v113
	s_set_vgpr_msb 4                        ;  msbs: dst=0 src0=0 src1=1 src2=0
	v_pk_add_f32 v[108:109], v[108:109], v[2:3] /*v[258:259]*/
	s_wait_loadcnt 0x3
	s_set_vgpr_msb 0                        ;  msbs: dst=0 src0=0 src1=0 src2=0
	v_pk_mul_f32 v[106:107], v[180:181], v[164:165] op_sel:[1,1] op_sel_hi:[0,1]
	v_pk_fma_f32 v[114:115], v[176:177], v[160:161], v[102:103] op_sel_hi:[1,0,1]
	v_pk_fma_f32 v[102:103], v[176:177], v[160:161], v[102:103] neg_lo:[0,0,1] neg_hi:[0,0,1]
	v_mov_b32_e32 v110, v167
	s_set_vgpr_msb 4                        ;  msbs: dst=0 src0=0 src1=1 src2=0
	v_pk_add_f32 v[108:109], v[108:109], v[4:5] /*v[260:261]*/
	s_wait_loadcnt 0x2
	s_set_vgpr_msb 0                        ;  msbs: dst=0 src0=0 src1=0 src2=0
	v_pk_mul_f32 v[112:113], v[192:193], v[168:169] op_sel:[1,1] op_sel_hi:[0,1]
	v_mov_b32_e32 v103, v115
	v_pk_fma_f32 v[114:115], v[178:179], v[162:163], v[104:105] op_sel_hi:[1,0,1]
	v_pk_fma_f32 v[104:105], v[178:179], v[162:163], v[104:105] neg_lo:[0,0,1] neg_hi:[0,0,1]
	v_pk_add_f32 v[100:101], v[108:109], v[100:101]
	v_pk_fma_f32 v[108:109], v[180:181], v[164:165], v[106:107] op_sel_hi:[1,0,1]
	v_pk_mul_f32 v[110:111], v[254:255], v[110:111] op_sel_hi:[1,0]
	v_mov_b32_e32 v105, v115
	v_pk_fma_f32 v[106:107], v[180:181], v[164:165], v[106:107] neg_lo:[0,0,1] neg_hi:[0,0,1]
	v_pk_add_f32 v[100:101], v[100:101], v[102:103]
	v_dual_mov_b32 v102, v171 :: v_dual_mov_b32 v107, v109
	v_pk_fma_f32 v[108:109], v[182:183], v[166:167], v[110:111] op_sel_hi:[1,0,1]
	v_pk_fma_f32 v[110:111], v[182:183], v[166:167], v[110:111] neg_lo:[0,0,1] neg_hi:[0,0,1]
	s_delay_alu instid0(VALU_DEP_4)
	v_pk_add_f32 v[100:101], v[100:101], v[104:105]
	v_pk_fma_f32 v[104:105], v[192:193], v[168:169], v[112:113] op_sel_hi:[1,0,1]
	s_set_vgpr_msb 1                        ;  msbs: dst=0 src0=1 src1=0 src2=0
	v_pk_mul_f32 v[102:103], v[0:1] /*v[256:257]*/, v[102:103] op_sel_hi:[1,0]
	s_set_vgpr_msb 0                        ;  msbs: dst=0 src0=0 src1=0 src2=0
	v_mov_b32_e32 v111, v109
	s_wait_loadcnt_dscnt 0x100
	v_pk_mul_f32 v[108:109], v[248:249], v[244:245] op_sel:[1,1] op_sel_hi:[0,1]
	v_pk_add_f32 v[100:101], v[100:101], v[106:107]
	v_pk_fma_f32 v[106:107], v[192:193], v[168:169], v[112:113] neg_lo:[0,0,1] neg_hi:[0,0,1]
	v_mov_b32_e32 v107, v105
	v_pk_fma_f32 v[104:105], v[194:195], v[170:171], v[102:103] op_sel_hi:[1,0,1]
	v_pk_fma_f32 v[102:103], v[194:195], v[170:171], v[102:103] neg_lo:[0,0,1] neg_hi:[0,0,1]
	v_pk_add_f32 v[100:101], v[100:101], v[110:111]
	s_delay_alu instid0(VALU_DEP_3) | instskip(SKIP_1) | instid1(VALU_DEP_3)
	v_mov_b32_e32 v103, v105
	v_pk_fma_f32 v[104:105], v[248:249], v[244:245], v[108:109] op_sel_hi:[1,0,1]
	v_pk_add_f32 v[100:101], v[100:101], v[106:107]
	v_pk_fma_f32 v[106:107], v[248:249], v[244:245], v[108:109] neg_lo:[0,0,1] neg_hi:[0,0,1]
	s_delay_alu instid0(VALU_DEP_3) | instskip(NEXT) | instid1(VALU_DEP_3)
	v_mov_b32_e32 v107, v105
	v_pk_add_f32 v[100:101], v[100:101], v[102:103]
	s_delay_alu instid0(VALU_DEP_1) | instskip(SKIP_1) | instid1(VALU_DEP_1)
	v_pk_add_f32 v[100:101], v[100:101], v[106:107]
	s_wait_loadcnt 0x0
	v_pk_add_f32 v[100:101], v[246:247], v[100:101] neg_lo:[0,1] neg_hi:[0,1]
	scratch_store_b64 off, v[100:101], off offset:88
	s_wait_xcnt 0x0
	v_cmpx_lt_u32_e32 10, v0
	s_cbranch_execz .LBB112_287
; %bb.286:
	scratch_load_b64 v[100:101], off, off offset:80
	v_mov_b64_e32 v[102:103], 0
	scratch_store_b64 off, v[102:103], off offset:80
	s_wait_loadcnt 0x0
	ds_store_b64 v1, v[100:101]
.LBB112_287:
	s_wait_xcnt 0x0
	s_or_b32 exec_lo, exec_lo, s0
	s_wait_storecnt_dscnt 0x0
	s_barrier_signal -1
	s_barrier_wait -1
	s_clause 0x13
	scratch_load_b128 v[100:103], off, off offset:88
	scratch_load_b128 v[104:107], off, off offset:104
	;; [unrolled: 1-line block ×19, first 2 shown]
	scratch_load_b64 v[252:253], off, off offset:80
	ds_load_2addr_b64 v[176:179], v7 offset0:91 offset1:92
	ds_load_2addr_b64 v[180:183], v7 offset0:93 offset1:94
	;; [unrolled: 1-line block ×19, first 2 shown]
	s_mov_b32 s0, exec_lo
	s_wait_dscnt 0x12
	v_dual_mov_b32 v254, v179 :: v_dual_mov_b32 v255, v178
	s_wait_dscnt 0x11
	s_set_vgpr_msb 64                       ;  msbs: dst=1 src0=0 src1=0 src2=0
	v_dual_mov_b32 v0 /*v256*/, v183 :: v_dual_mov_b32 v1 /*v257*/, v182
	s_wait_dscnt 0xf
	v_dual_mov_b32 v2 /*v258*/, v191 :: v_dual_mov_b32 v3 /*v259*/, v190
	s_wait_dscnt 0xe
	v_dual_mov_b32 v4 /*v260*/, v195 :: v_dual_mov_b32 v5 /*v261*/, v194
	s_wait_loadcnt_dscnt 0x130d
	s_set_vgpr_msb 0                        ;  msbs: dst=0 src0=0 src1=0 src2=0
	v_dual_mul_f32 v7, v196, v101 :: v_dual_mul_f32 v9, v198, v103
	v_dual_mul_f32 v63, v197, v101 :: v_dual_mul_f32 v65, v199, v103
	s_wait_loadcnt_dscnt 0x120c
	v_dual_mul_f32 v11, v200, v105 :: v_dual_mul_f32 v13, v202, v107
	s_delay_alu instid0(VALU_DEP_3) | instskip(SKIP_3) | instid1(VALU_DEP_3)
	v_dual_fmac_f32 v7, v197, v100 :: v_dual_fmac_f32 v9, v199, v102
	s_wait_loadcnt_dscnt 0x100a
	v_dual_fma_f32 v63, v196, v100, -v63 :: v_dual_mul_f32 v75, v209, v113
	v_dual_mul_f32 v67, v201, v105 :: v_dual_mul_f32 v69, v203, v107
	v_dual_fma_f32 v65, v198, v102, -v65 :: v_dual_add_f32 v7, 0, v7
	s_delay_alu instid0(VALU_DEP_3) | instskip(SKIP_1) | instid1(VALU_DEP_4)
	v_dual_add_f32 v63, 0, v63 :: v_dual_fmac_f32 v11, v201, v104
	v_dual_mul_f32 v15, v204, v109 :: v_dual_mul_f32 v17, v206, v111
	v_dual_mul_f32 v77, v211, v115 :: v_dual_fma_f32 v67, v200, v104, -v67
	s_delay_alu instid0(VALU_DEP_4) | instskip(NEXT) | instid1(VALU_DEP_3)
	v_add_f32_e32 v7, v7, v9
	v_dual_add_f32 v9, v63, v65 :: v_dual_fmac_f32 v15, v205, v108
	v_dual_mul_f32 v71, v205, v109 :: v_dual_mul_f32 v73, v207, v111
	s_wait_loadcnt_dscnt 0xf09
	v_dual_mul_f32 v63, v213, v117 :: v_dual_fmac_f32 v13, v203, v106
	v_dual_fma_f32 v65, v202, v106, -v69 :: v_dual_add_f32 v7, v7, v11
	s_delay_alu instid0(VALU_DEP_3) | instskip(SKIP_1) | instid1(VALU_DEP_3)
	v_dual_add_f32 v9, v9, v67 :: v_dual_fma_f32 v67, v204, v108, -v71
	v_dual_mul_f32 v19, v208, v113 :: v_dual_mul_f32 v21, v210, v115
	v_add_f32_e32 v7, v7, v13
	s_delay_alu instid0(VALU_DEP_3) | instskip(SKIP_2) | instid1(VALU_DEP_3)
	v_dual_mul_f32 v11, v215, v119 :: v_dual_add_f32 v9, v9, v65
	s_wait_loadcnt_dscnt 0xe08
	v_dual_mul_f32 v13, v217, v121 :: v_dual_fmac_f32 v17, v207, v110
	v_dual_fma_f32 v65, v206, v110, -v73 :: v_dual_add_f32 v7, v7, v15
	s_delay_alu instid0(VALU_DEP_3) | instskip(SKIP_1) | instid1(VALU_DEP_3)
	v_dual_add_f32 v9, v9, v67 :: v_dual_fma_f32 v67, v208, v112, -v75
	v_dual_mul_f32 v15, v219, v123 :: v_dual_fmac_f32 v19, v209, v112
	v_add_f32_e32 v7, v7, v17
	s_delay_alu instid0(VALU_DEP_3)
	v_dual_add_f32 v9, v9, v65 :: v_dual_fmac_f32 v21, v211, v114
	v_dual_mul_f32 v23, v212, v117 :: v_dual_mul_f32 v25, v214, v119
	s_wait_loadcnt_dscnt 0xd07
	v_dual_fma_f32 v65, v210, v114, -v77 :: v_dual_mul_f32 v17, v221, v125
	v_add_f32_e32 v7, v7, v19
	v_dual_add_f32 v9, v9, v67 :: v_dual_fma_f32 v63, v212, v116, -v63
	v_dual_mul_f32 v19, v223, v127 :: v_dual_fmac_f32 v23, v213, v116
	s_delay_alu instid0(VALU_DEP_3) | instskip(NEXT) | instid1(VALU_DEP_3)
	v_dual_add_f32 v7, v7, v21 :: v_dual_fma_f32 v11, v214, v118, -v11
	v_dual_add_f32 v9, v9, v65 :: v_dual_fmac_f32 v25, v215, v118
	v_dual_mul_f32 v27, v216, v121 :: v_dual_mul_f32 v29, v218, v123
	s_wait_loadcnt_dscnt 0xc06
	s_delay_alu instid0(VALU_DEP_3) | instskip(NEXT) | instid1(VALU_DEP_3)
	v_dual_mul_f32 v21, v225, v129 :: v_dual_add_f32 v7, v7, v23
	v_dual_add_f32 v9, v9, v63 :: v_dual_fma_f32 v13, v216, v120, -v13
	s_delay_alu instid0(VALU_DEP_3) | instskip(NEXT) | instid1(VALU_DEP_2)
	v_dual_mul_f32 v23, v227, v131 :: v_dual_fmac_f32 v27, v217, v120
	v_dual_add_f32 v7, v7, v25 :: v_dual_add_f32 v9, v9, v11
	v_dual_mul_f32 v31, v220, v125 :: v_dual_mul_f32 v33, v222, v127
	s_wait_loadcnt_dscnt 0xb05
	v_dual_mul_f32 v11, v229, v133 :: v_dual_fmac_f32 v29, v219, v122
	s_delay_alu instid0(VALU_DEP_3) | instskip(SKIP_2) | instid1(VALU_DEP_2)
	v_dual_fma_f32 v15, v218, v122, -v15 :: v_dual_add_f32 v7, v7, v27
	v_dual_add_f32 v9, v9, v13 :: v_dual_mul_f32 v13, v231, v135
	v_dual_fmac_f32 v31, v221, v124 :: v_dual_fma_f32 v17, v220, v124, -v17
	v_dual_add_f32 v7, v7, v29 :: v_dual_add_f32 v9, v9, v15
	v_dual_mul_f32 v35, v224, v129 :: v_dual_mul_f32 v37, v226, v131
	s_wait_loadcnt_dscnt 0xa04
	v_dual_mul_f32 v15, v233, v137 :: v_dual_fmac_f32 v33, v223, v126
	s_delay_alu instid0(VALU_DEP_3) | instskip(SKIP_2) | instid1(VALU_DEP_2)
	v_dual_fma_f32 v19, v222, v126, -v19 :: v_dual_add_f32 v7, v7, v31
	v_dual_add_f32 v9, v9, v17 :: v_dual_mul_f32 v17, v235, v139
	v_dual_fmac_f32 v35, v225, v128 :: v_dual_fma_f32 v21, v224, v128, -v21
	v_dual_add_f32 v7, v7, v33 :: v_dual_add_f32 v9, v9, v19
	v_dual_mul_f32 v39, v228, v133 :: v_dual_mul_f32 v41, v230, v135
	s_wait_loadcnt_dscnt 0x903
	v_dual_mul_f32 v19, v237, v141 :: v_dual_fmac_f32 v37, v227, v130
	s_delay_alu instid0(VALU_DEP_3) | instskip(SKIP_2) | instid1(VALU_DEP_3)
	v_dual_fma_f32 v23, v226, v130, -v23 :: v_dual_add_f32 v7, v7, v35
	v_dual_add_f32 v9, v9, v21 :: v_dual_mul_f32 v21, v239, v143
	v_fmac_f32_e32 v39, v229, v132
	v_dual_fma_f32 v11, v228, v132, -v11 :: v_dual_add_f32 v7, v7, v37
	s_delay_alu instid0(VALU_DEP_3)
	v_dual_add_f32 v9, v9, v23 :: v_dual_mul_f32 v43, v232, v137
	s_wait_loadcnt_dscnt 0x802
	v_dual_mul_f32 v45, v234, v139 :: v_dual_mul_f32 v23, v241, v145
	v_fmac_f32_e32 v41, v231, v134
	v_dual_fma_f32 v13, v230, v134, -v13 :: v_dual_add_f32 v7, v7, v39
	v_dual_add_f32 v9, v9, v11 :: v_dual_fma_f32 v15, v232, v136, -v15
	v_dual_mul_f32 v11, v243, v147 :: v_dual_fmac_f32 v43, v233, v136
	s_delay_alu instid0(VALU_DEP_3) | instskip(NEXT) | instid1(VALU_DEP_3)
	v_dual_add_f32 v7, v7, v41 :: v_dual_fma_f32 v17, v234, v138, -v17
	v_dual_add_f32 v9, v9, v13 :: v_dual_fmac_f32 v45, v235, v138
	v_dual_mul_f32 v47, v236, v141 :: v_dual_mul_f32 v49, v238, v143
	s_wait_loadcnt_dscnt 0x701
	s_delay_alu instid0(VALU_DEP_3) | instskip(NEXT) | instid1(VALU_DEP_3)
	v_dual_mul_f32 v13, v245, v149 :: v_dual_add_f32 v7, v7, v43
	v_dual_add_f32 v9, v9, v15 :: v_dual_fma_f32 v19, v236, v140, -v19
	s_delay_alu instid0(VALU_DEP_3) | instskip(NEXT) | instid1(VALU_DEP_3)
	v_dual_mul_f32 v15, v247, v151 :: v_dual_fmac_f32 v47, v237, v140
	v_dual_add_f32 v7, v7, v45 :: v_dual_fma_f32 v21, v238, v142, -v21
	s_delay_alu instid0(VALU_DEP_3) | instskip(SKIP_2) | instid1(VALU_DEP_3)
	v_dual_add_f32 v9, v9, v17 :: v_dual_fmac_f32 v49, v239, v142
	v_dual_mul_f32 v51, v240, v145 :: v_dual_mul_f32 v53, v242, v147
	s_wait_loadcnt_dscnt 0x600
	v_dual_mul_f32 v17, v249, v153 :: v_dual_add_f32 v7, v7, v47
	s_delay_alu instid0(VALU_DEP_3) | instskip(NEXT) | instid1(VALU_DEP_3)
	v_dual_add_f32 v9, v9, v19 :: v_dual_fma_f32 v23, v240, v144, -v23
	v_dual_mul_f32 v19, v251, v155 :: v_dual_fmac_f32 v51, v241, v144
	s_delay_alu instid0(VALU_DEP_3) | instskip(NEXT) | instid1(VALU_DEP_3)
	v_dual_add_f32 v7, v7, v49 :: v_dual_fma_f32 v11, v242, v146, -v11
	v_dual_add_f32 v9, v9, v21 :: v_dual_fmac_f32 v53, v243, v146
	v_dual_mul_f32 v55, v244, v149 :: v_dual_mul_f32 v57, v246, v151
	s_wait_loadcnt 0x5
	s_delay_alu instid0(VALU_DEP_3) | instskip(NEXT) | instid1(VALU_DEP_3)
	v_dual_mul_f32 v21, v185, v157 :: v_dual_add_f32 v7, v7, v51
	v_dual_add_f32 v9, v9, v23 :: v_dual_fma_f32 v13, v244, v148, -v13
	s_delay_alu instid0(VALU_DEP_3) | instskip(NEXT) | instid1(VALU_DEP_2)
	v_dual_mul_f32 v23, v187, v159 :: v_dual_fmac_f32 v55, v245, v148
	v_dual_add_f32 v7, v7, v53 :: v_dual_add_f32 v9, v9, v11
	v_dual_mul_f32 v59, v248, v153 :: v_dual_mul_f32 v61, v250, v155
	v_dual_fmac_f32 v57, v247, v150 :: v_dual_fma_f32 v11, v246, v150, -v15
	s_delay_alu instid0(VALU_DEP_3) | instskip(SKIP_1) | instid1(VALU_DEP_3)
	v_dual_add_f32 v7, v7, v55 :: v_dual_add_f32 v9, v9, v13
	s_wait_loadcnt 0x4
	v_dual_mov_b32 v102, v163 :: v_dual_fmac_f32 v59, v249, v152
	s_delay_alu instid0(VALU_DEP_2) | instskip(NEXT) | instid1(VALU_DEP_3)
	v_dual_fma_f32 v13, v248, v152, -v17 :: v_dual_add_f32 v7, v7, v57
	v_dual_add_f32 v9, v9, v11 :: v_dual_fmac_f32 v61, v251, v154
	s_set_vgpr_msb 64                       ;  msbs: dst=1 src0=0 src1=0 src2=0
	v_dual_mul_f32 v7 /*v263*/, v184, v157 :: v_dual_mul_f32 v9 /*v265*/, v186, v159
	s_set_vgpr_msb 0                        ;  msbs: dst=0 src0=0 src1=0 src2=0
	v_dual_fma_f32 v11, v250, v154, -v19 :: v_dual_add_f32 v7, v7, v59
	s_wait_loadcnt 0x3
	v_dual_add_f32 v9, v9, v13 :: v_dual_mov_b32 v106, v167
	v_pk_mul_f32 v[100:101], v[176:177], v[160:161] op_sel:[1,1] op_sel_hi:[0,1]
	s_set_vgpr_msb 64                       ;  msbs: dst=1 src0=0 src1=0 src2=0
	v_dual_fmac_f32 v7 /*v263*/, v185, v156 :: v_dual_fmac_f32 v9 /*v265*/, v187, v158
	v_dual_fma_f32 v6 /*v262*/, v184, v156, -v21 :: v_dual_fma_f32 v8 /*v264*/, v186, v158, -v23
	s_set_vgpr_msb 0                        ;  msbs: dst=0 src0=0 src1=0 src2=0
	v_dual_add_f32 v109, v7, v61 :: v_dual_add_f32 v108, v9, v11
	v_pk_fma_f32 v[110:111], v[176:177], v[160:161], v[100:101] op_sel_hi:[1,0,1]
	v_pk_mul_f32 v[102:103], v[254:255], v[102:103] op_sel_hi:[1,0]
	v_pk_fma_f32 v[100:101], v[176:177], v[160:161], v[100:101] neg_lo:[0,0,1] neg_hi:[0,0,1]
	v_pk_mul_f32 v[104:105], v[180:181], v[164:165] op_sel:[1,1] op_sel_hi:[0,1]
	s_set_vgpr_msb 4                        ;  msbs: dst=0 src0=0 src1=1 src2=0
	v_pk_add_f32 v[108:109], v[108:109], v[6:7] /*v[262:263]*/
	v_mov_b32_e32 v101, v111
	s_set_vgpr_msb 0                        ;  msbs: dst=0 src0=0 src1=0 src2=0
	v_pk_fma_f32 v[110:111], v[178:179], v[162:163], v[102:103] op_sel_hi:[1,0,1]
	v_pk_fma_f32 v[102:103], v[178:179], v[162:163], v[102:103] neg_lo:[0,0,1] neg_hi:[0,0,1]
	v_pk_fma_f32 v[114:115], v[180:181], v[164:165], v[104:105] op_sel_hi:[1,0,1]
	s_set_vgpr_msb 4                        ;  msbs: dst=0 src0=0 src1=1 src2=0
	v_pk_add_f32 v[108:109], v[108:109], v[8:9] /*v[264:265]*/
	s_set_vgpr_msb 1                        ;  msbs: dst=0 src0=1 src1=0 src2=0
	v_pk_mul_f32 v[106:107], v[0:1] /*v[256:257]*/, v[106:107] op_sel_hi:[1,0]
	s_set_vgpr_msb 0                        ;  msbs: dst=0 src0=0 src1=0 src2=0
	v_mov_b32_e32 v103, v111
	s_wait_loadcnt 0x2
	v_pk_mul_f32 v[112:113], v[188:189], v[168:169] op_sel:[1,1] op_sel_hi:[0,1]
	v_pk_fma_f32 v[104:105], v[180:181], v[164:165], v[104:105] neg_lo:[0,0,1] neg_hi:[0,0,1]
	v_pk_add_f32 v[100:101], v[108:109], v[100:101]
	v_dual_mov_b32 v108, v171 :: v_dual_mov_b32 v105, v115
	v_pk_fma_f32 v[110:111], v[182:183], v[166:167], v[106:107] op_sel_hi:[1,0,1]
	v_pk_fma_f32 v[106:107], v[182:183], v[166:167], v[106:107] neg_lo:[0,0,1] neg_hi:[0,0,1]
	s_delay_alu instid0(VALU_DEP_4)
	v_pk_add_f32 v[100:101], v[100:101], v[102:103]
	v_pk_fma_f32 v[102:103], v[188:189], v[168:169], v[112:113] op_sel_hi:[1,0,1]
	s_set_vgpr_msb 1                        ;  msbs: dst=0 src0=1 src1=0 src2=0
	v_pk_mul_f32 v[108:109], v[2:3] /*v[258:259]*/, v[108:109] op_sel_hi:[1,0]
	s_set_vgpr_msb 0                        ;  msbs: dst=0 src0=0 src1=0 src2=0
	v_mov_b32_e32 v107, v111
	v_pk_fma_f32 v[110:111], v[188:189], v[168:169], v[112:113] neg_lo:[0,0,1] neg_hi:[0,0,1]
	v_pk_add_f32 v[100:101], v[100:101], v[104:105]
	v_mov_b32_e32 v111, v103
	v_pk_fma_f32 v[102:103], v[190:191], v[170:171], v[108:109] op_sel_hi:[1,0,1]
	s_wait_loadcnt 0x1
	v_pk_mul_f32 v[104:105], v[192:193], v[172:173] op_sel:[1,1] op_sel_hi:[0,1]
	v_mov_b32_e32 v102, v175
	v_pk_add_f32 v[100:101], v[100:101], v[106:107]
	v_pk_fma_f32 v[108:109], v[190:191], v[170:171], v[108:109] neg_lo:[0,0,1] neg_hi:[0,0,1]
	v_mov_b32_e32 v109, v103
	v_pk_fma_f32 v[106:107], v[192:193], v[172:173], v[104:105] op_sel_hi:[1,0,1]
	s_set_vgpr_msb 1                        ;  msbs: dst=0 src0=1 src1=0 src2=0
	v_pk_mul_f32 v[102:103], v[4:5] /*v[260:261]*/, v[102:103] op_sel_hi:[1,0]
	s_set_vgpr_msb 0                        ;  msbs: dst=0 src0=0 src1=0 src2=0
	v_pk_add_f32 v[100:101], v[100:101], v[110:111]
	v_pk_fma_f32 v[104:105], v[192:193], v[172:173], v[104:105] neg_lo:[0,0,1] neg_hi:[0,0,1]
	v_mov_b32_e32 v105, v107
	v_pk_fma_f32 v[106:107], v[194:195], v[174:175], v[102:103] op_sel_hi:[1,0,1]
	s_delay_alu instid0(VALU_DEP_4) | instskip(SKIP_1) | instid1(VALU_DEP_3)
	v_pk_add_f32 v[100:101], v[100:101], v[108:109]
	v_pk_fma_f32 v[102:103], v[194:195], v[174:175], v[102:103] neg_lo:[0,0,1] neg_hi:[0,0,1]
	v_mov_b32_e32 v103, v107
	s_delay_alu instid0(VALU_DEP_3) | instskip(NEXT) | instid1(VALU_DEP_1)
	v_pk_add_f32 v[100:101], v[100:101], v[104:105]
	v_pk_add_f32 v[100:101], v[100:101], v[102:103]
	s_wait_loadcnt 0x0
	s_delay_alu instid0(VALU_DEP_1)
	v_pk_add_f32 v[100:101], v[252:253], v[100:101] neg_lo:[0,1] neg_hi:[0,1]
	scratch_store_b64 off, v[100:101], off offset:80
	s_wait_xcnt 0x0
	v_cmpx_lt_u32_e32 9, v0
	s_cbranch_execz .LBB112_289
; %bb.288:
	scratch_load_b64 v[100:101], off, off offset:72
	v_mov_b64_e32 v[102:103], 0
	scratch_store_b64 off, v[102:103], off offset:72
	s_wait_loadcnt 0x0
	ds_store_b64 v1, v[100:101]
.LBB112_289:
	s_wait_xcnt 0x0
	s_or_b32 exec_lo, exec_lo, s0
	s_wait_storecnt_dscnt 0x0
	s_barrier_signal -1
	s_barrier_wait -1
	s_clause 0x14
	scratch_load_b128 v[100:103], off, off offset:80
	scratch_load_b128 v[104:107], off, off offset:96
	;; [unrolled: 1-line block ×19, first 2 shown]
	scratch_load_b64 v[252:253], off, off offset:384
	scratch_load_b64 v[254:255], off, off offset:72
	v_mov_b32_e32 v7, 0
	ds_load_b128 v[176:179], v7 offset:720
	ds_load_b128 v[180:183], v7 offset:704
	ds_load_b128 v[184:187], v7 offset:736
	ds_load_b128 v[188:191], v7 offset:752
	ds_load_b128 v[192:195], v7 offset:480
	ds_load_b128 v[196:199], v7 offset:496
	ds_load_b128 v[200:203], v7 offset:768
	ds_load_b128 v[204:207], v7 offset:512
	ds_load_b128 v[208:211], v7 offset:528
	ds_load_b128 v[212:215], v7 offset:544
	ds_load_b128 v[216:219], v7 offset:560
	ds_load_b128 v[220:223], v7 offset:576
	ds_load_b128 v[224:227], v7 offset:592
	ds_load_b128 v[228:231], v7 offset:608
	ds_load_b128 v[232:235], v7 offset:624
	ds_load_b128 v[236:239], v7 offset:640
	ds_load_b128 v[240:243], v7 offset:656
	ds_load_b128 v[244:247], v7 offset:672
	ds_load_b128 v[248:251], v7 offset:688
	s_set_vgpr_msb 64                       ;  msbs: dst=1 src0=0 src1=0 src2=0
	ds_load_b64 v[0:1] /*v[256:257]*/, v7 offset:784
	s_wait_dscnt 0x13
	v_dual_mov_b32 v2 /*v258*/, v179 :: v_dual_mov_b32 v3 /*v259*/, v178
	s_wait_dscnt 0x11
	v_dual_mov_b32 v4 /*v260*/, v187 :: v_dual_mov_b32 v5 /*v261*/, v186
	;; [unrolled: 2-line block ×4, first 2 shown]
	s_mov_b32 s0, exec_lo
	s_wait_loadcnt 0x14
	s_set_vgpr_msb 0                        ;  msbs: dst=0 src0=0 src1=0 src2=0
	v_dual_mul_f32 v9, v192, v101 :: v_dual_mul_f32 v67, v193, v101
	v_dual_mul_f32 v69, v195, v103 :: v_dual_mul_f32 v11, v194, v103
	s_wait_loadcnt 0x13
	v_mul_f32_e32 v13, v196, v105
	s_wait_loadcnt_dscnt 0x110b
	v_dual_mul_f32 v79, v209, v113 :: v_dual_fma_f32 v67, v192, v100, -v67
	v_dual_fmac_f32 v9, v193, v100 :: v_dual_mul_f32 v81, v211, v115
	v_dual_mul_f32 v71, v197, v105 :: v_dual_mul_f32 v73, v199, v107
	v_dual_fmac_f32 v11, v195, v102 :: v_dual_fma_f32 v69, v194, v102, -v69
	s_delay_alu instid0(VALU_DEP_3) | instskip(SKIP_4) | instid1(VALU_DEP_3)
	v_dual_add_f32 v9, 0, v9 :: v_dual_add_f32 v67, 0, v67
	v_dual_mul_f32 v15, v198, v107 :: v_dual_mul_f32 v17, v204, v109
	s_wait_loadcnt_dscnt 0x100a
	v_dual_mul_f32 v83, v213, v117 :: v_dual_fma_f32 v71, v196, v104, -v71
	v_fmac_f32_e32 v13, v197, v104
	v_dual_add_f32 v9, v9, v11 :: v_dual_fmac_f32 v15, v199, v106
	v_add_f32_e32 v11, v67, v69
	v_dual_mul_f32 v75, v205, v109 :: v_dual_mul_f32 v77, v207, v111
	v_dual_mul_f32 v67, v215, v119 :: v_dual_fma_f32 v69, v198, v106, -v73
	s_delay_alu instid0(VALU_DEP_3) | instskip(SKIP_3) | instid1(VALU_DEP_3)
	v_dual_add_f32 v9, v9, v13 :: v_dual_add_f32 v11, v11, v71
	v_dual_mul_f32 v19, v206, v111 :: v_dual_mul_f32 v21, v208, v113
	s_wait_loadcnt_dscnt 0xf09
	v_dual_mul_f32 v13, v217, v121 :: v_dual_fma_f32 v71, v204, v108, -v75
	v_dual_fmac_f32 v17, v205, v108 :: v_dual_add_f32 v11, v11, v69
	s_delay_alu instid0(VALU_DEP_3) | instskip(SKIP_1) | instid1(VALU_DEP_2)
	v_dual_add_f32 v9, v9, v15 :: v_dual_fmac_f32 v19, v207, v110
	v_dual_mul_f32 v15, v219, v123 :: v_dual_fma_f32 v69, v206, v110, -v77
	v_dual_add_f32 v11, v11, v71 :: v_dual_add_f32 v9, v9, v17
	v_dual_mul_f32 v23, v210, v115 :: v_dual_mul_f32 v25, v212, v117
	s_wait_loadcnt_dscnt 0xe08
	v_dual_mul_f32 v17, v221, v125 :: v_dual_fma_f32 v71, v208, v112, -v79
	s_delay_alu instid0(VALU_DEP_3) | instskip(NEXT) | instid1(VALU_DEP_3)
	v_dual_fmac_f32 v21, v209, v112 :: v_dual_add_f32 v11, v11, v69
	v_dual_add_f32 v9, v9, v19 :: v_dual_fmac_f32 v23, v211, v114
	v_dual_mul_f32 v19, v223, v127 :: v_dual_fma_f32 v69, v210, v114, -v81
	s_delay_alu instid0(VALU_DEP_2) | instskip(SKIP_3) | instid1(VALU_DEP_3)
	v_dual_add_f32 v11, v11, v71 :: v_dual_add_f32 v9, v9, v21
	v_dual_mul_f32 v27, v214, v119 :: v_dual_mul_f32 v29, v216, v121
	s_wait_loadcnt_dscnt 0xd07
	v_dual_mul_f32 v21, v225, v129 :: v_dual_fma_f32 v71, v212, v116, -v83
	v_dual_fmac_f32 v25, v213, v116 :: v_dual_add_f32 v11, v11, v69
	s_delay_alu instid0(VALU_DEP_3) | instskip(SKIP_1) | instid1(VALU_DEP_2)
	v_dual_add_f32 v9, v9, v23 :: v_dual_fmac_f32 v27, v215, v118
	v_dual_mul_f32 v23, v227, v131 :: v_dual_fma_f32 v67, v214, v118, -v67
	v_dual_add_f32 v11, v11, v71 :: v_dual_add_f32 v9, v9, v25
	v_dual_mul_f32 v31, v218, v123 :: v_dual_mul_f32 v33, v220, v125
	s_wait_loadcnt_dscnt 0xc06
	v_dual_mul_f32 v25, v229, v133 :: v_dual_fma_f32 v13, v216, v120, -v13
	s_delay_alu instid0(VALU_DEP_3) | instskip(NEXT) | instid1(VALU_DEP_3)
	v_dual_fmac_f32 v29, v217, v120 :: v_dual_add_f32 v11, v11, v67
	v_dual_add_f32 v9, v9, v27 :: v_dual_fmac_f32 v31, v219, v122
	v_dual_mul_f32 v27, v231, v135 :: v_dual_fma_f32 v15, v218, v122, -v15
	s_delay_alu instid0(VALU_DEP_3) | instskip(NEXT) | instid1(VALU_DEP_3)
	v_dual_add_f32 v11, v11, v13 :: v_dual_fmac_f32 v33, v221, v124
	v_dual_add_f32 v9, v9, v29 :: v_dual_fma_f32 v17, v220, v124, -v17
	v_dual_mul_f32 v35, v222, v127 :: v_dual_mul_f32 v37, v224, v129
	s_wait_loadcnt_dscnt 0xb05
	s_delay_alu instid0(VALU_DEP_3) | instskip(NEXT) | instid1(VALU_DEP_2)
	v_dual_mul_f32 v13, v233, v137 :: v_dual_add_f32 v11, v11, v15
	v_dual_add_f32 v9, v9, v31 :: v_dual_fmac_f32 v35, v223, v126
	v_dual_mul_f32 v15, v235, v139 :: v_dual_fma_f32 v19, v222, v126, -v19
	s_delay_alu instid0(VALU_DEP_3) | instskip(NEXT) | instid1(VALU_DEP_3)
	v_dual_add_f32 v11, v11, v17 :: v_dual_fmac_f32 v37, v225, v128
	v_dual_add_f32 v9, v9, v33 :: v_dual_fma_f32 v21, v224, v128, -v21
	v_dual_mul_f32 v39, v226, v131 :: v_dual_mul_f32 v41, v228, v133
	s_wait_loadcnt_dscnt 0xa04
	s_delay_alu instid0(VALU_DEP_3) | instskip(NEXT) | instid1(VALU_DEP_2)
	v_dual_mul_f32 v17, v237, v141 :: v_dual_add_f32 v11, v11, v19
	v_dual_add_f32 v9, v9, v35 :: v_dual_fmac_f32 v39, v227, v130
	v_dual_mul_f32 v19, v239, v143 :: v_dual_fma_f32 v23, v226, v130, -v23
	s_delay_alu instid0(VALU_DEP_3) | instskip(NEXT) | instid1(VALU_DEP_3)
	v_dual_add_f32 v11, v11, v21 :: v_dual_fmac_f32 v41, v229, v132
	v_dual_add_f32 v9, v9, v37 :: v_dual_fma_f32 v25, v228, v132, -v25
	v_dual_mul_f32 v43, v230, v135 :: v_dual_mul_f32 v45, v232, v137
	s_wait_loadcnt_dscnt 0x903
	s_delay_alu instid0(VALU_DEP_3) | instskip(NEXT) | instid1(VALU_DEP_2)
	v_dual_mul_f32 v21, v241, v145 :: v_dual_add_f32 v11, v11, v23
	v_dual_add_f32 v9, v9, v39 :: v_dual_fmac_f32 v43, v231, v134
	v_dual_mul_f32 v23, v243, v147 :: v_dual_fma_f32 v27, v230, v134, -v27
	s_delay_alu instid0(VALU_DEP_3) | instskip(NEXT) | instid1(VALU_DEP_3)
	v_dual_add_f32 v11, v11, v25 :: v_dual_fmac_f32 v45, v233, v136
	v_dual_add_f32 v9, v9, v41 :: v_dual_fma_f32 v13, v232, v136, -v13
	v_dual_mul_f32 v47, v234, v139 :: v_dual_mul_f32 v49, v236, v141
	s_wait_loadcnt_dscnt 0x802
	s_delay_alu instid0(VALU_DEP_3) | instskip(NEXT) | instid1(VALU_DEP_2)
	v_dual_mul_f32 v25, v245, v149 :: v_dual_add_f32 v11, v11, v27
	v_dual_add_f32 v9, v9, v43 :: v_dual_fmac_f32 v47, v235, v138
	v_dual_mul_f32 v27, v247, v151 :: v_dual_fma_f32 v15, v234, v138, -v15
	s_delay_alu instid0(VALU_DEP_3) | instskip(NEXT) | instid1(VALU_DEP_3)
	v_dual_add_f32 v11, v11, v13 :: v_dual_fmac_f32 v49, v237, v140
	v_dual_add_f32 v9, v9, v45 :: v_dual_fma_f32 v17, v236, v140, -v17
	v_dual_mul_f32 v51, v238, v143 :: v_dual_mul_f32 v53, v240, v145
	s_wait_loadcnt_dscnt 0x701
	s_delay_alu instid0(VALU_DEP_3) | instskip(NEXT) | instid1(VALU_DEP_2)
	v_dual_mul_f32 v13, v249, v153 :: v_dual_add_f32 v11, v11, v15
	v_dual_add_f32 v9, v9, v47 :: v_dual_fmac_f32 v51, v239, v142
	v_dual_mul_f32 v15, v251, v155 :: v_dual_fma_f32 v19, v238, v142, -v19
	s_delay_alu instid0(VALU_DEP_3) | instskip(NEXT) | instid1(VALU_DEP_3)
	v_dual_add_f32 v11, v11, v17 :: v_dual_fmac_f32 v53, v241, v144
	v_dual_add_f32 v9, v9, v49 :: v_dual_fma_f32 v21, v240, v144, -v21
	v_dual_mul_f32 v55, v242, v147 :: v_dual_mul_f32 v57, v244, v149
	s_wait_loadcnt 0x6
	s_delay_alu instid0(VALU_DEP_3) | instskip(NEXT) | instid1(VALU_DEP_2)
	v_dual_mul_f32 v17, v181, v157 :: v_dual_add_f32 v11, v11, v19
	v_dual_add_f32 v9, v9, v51 :: v_dual_fmac_f32 v55, v243, v146
	v_dual_mul_f32 v19, v183, v159 :: v_dual_fma_f32 v23, v242, v146, -v23
	s_delay_alu instid0(VALU_DEP_3) | instskip(NEXT) | instid1(VALU_DEP_3)
	v_dual_add_f32 v11, v11, v21 :: v_dual_fmac_f32 v57, v245, v148
	v_dual_add_f32 v9, v9, v53 :: v_dual_fma_f32 v25, v244, v148, -v25
	v_dual_mul_f32 v59, v246, v151 :: v_dual_mul_f32 v61, v248, v153
	s_wait_loadcnt 0x5
	s_delay_alu instid0(VALU_DEP_3) | instskip(NEXT) | instid1(VALU_DEP_3)
	v_dual_mul_f32 v21, v177, v161 :: v_dual_add_f32 v11, v11, v23
	v_dual_add_f32 v9, v9, v55 :: v_dual_mov_b32 v100, v163
	s_delay_alu instid0(VALU_DEP_3) | instskip(NEXT) | instid1(VALU_DEP_3)
	v_fmac_f32_e32 v59, v247, v150
	v_dual_fma_f32 v23, v246, v150, -v27 :: v_dual_add_f32 v11, v11, v25
	s_delay_alu instid0(VALU_DEP_3) | instskip(SKIP_1) | instid1(VALU_DEP_3)
	v_dual_add_f32 v9, v9, v57 :: v_dual_mul_f32 v63, v250, v155
	v_dual_mul_f32 v65, v180, v157 :: v_dual_fmac_f32 v61, v249, v152
	v_dual_add_f32 v11, v11, v23 :: v_dual_fma_f32 v13, v248, v152, -v13
	s_wait_loadcnt 0x4
	s_delay_alu instid0(VALU_DEP_3) | instskip(SKIP_3) | instid1(VALU_DEP_4)
	v_dual_add_f32 v9, v9, v59 :: v_dual_mov_b32 v104, v167
	v_fma_f32 v15, v250, v154, -v15
	v_fmac_f32_e32 v63, v251, v154
	v_dual_add_f32 v11, v11, v13 :: v_dual_fmac_f32 v65, v181, v156
	v_add_f32_e32 v9, v9, v61
	s_set_vgpr_msb 64                       ;  msbs: dst=1 src0=0 src1=0 src2=0
	v_dual_mul_f32 v11 /*v267*/, v182, v159 :: v_dual_mul_f32 v13 /*v269*/, v176, v161
	s_set_vgpr_msb 0                        ;  msbs: dst=0 src0=0 src1=0 src2=0
	v_fma_f32 v13, v180, v156, -v17
	s_set_vgpr_msb 1                        ;  msbs: dst=0 src0=1 src1=0 src2=0
	v_pk_mul_f32 v[100:101], v[2:3] /*v[258:259]*/, v[100:101] op_sel_hi:[1,0]
	s_set_vgpr_msb 0                        ;  msbs: dst=0 src0=0 src1=0 src2=0
	v_add_f32_e32 v9, v9, v63
	v_add_f32_e32 v11, v11, v15
	s_set_vgpr_msb 64                       ;  msbs: dst=1 src0=0 src1=0 src2=0
	v_dual_fmac_f32 v11 /*v267*/, v183, v158 :: v_dual_fmac_f32 v13 /*v269*/, v177, v160
	v_dual_fma_f32 v10 /*v266*/, v182, v158, -v19 :: v_dual_fma_f32 v12 /*v268*/, v176, v160, -v21
	s_set_vgpr_msb 0                        ;  msbs: dst=0 src0=0 src1=0 src2=0
	v_add_f32_e32 v109, v9, v65
	v_pk_fma_f32 v[112:113], v[178:179], v[162:163], v[100:101] op_sel_hi:[1,0,1]
	v_add_f32_e32 v108, v11, v13
	v_pk_fma_f32 v[100:101], v[178:179], v[162:163], v[100:101] neg_lo:[0,0,1] neg_hi:[0,0,1]
	v_pk_mul_f32 v[102:103], v[184:185], v[164:165] op_sel:[1,1] op_sel_hi:[0,1]
	s_set_vgpr_msb 1                        ;  msbs: dst=0 src0=1 src1=0 src2=0
	v_pk_mul_f32 v[104:105], v[4:5] /*v[260:261]*/, v[104:105] op_sel_hi:[1,0]
	s_set_vgpr_msb 4                        ;  msbs: dst=0 src0=0 src1=1 src2=0
	v_mov_b32_e32 v101, v113
	v_pk_add_f32 v[108:109], v[108:109], v[10:11] /*v[266:267]*/
	s_wait_loadcnt 0x3
	s_set_vgpr_msb 0                        ;  msbs: dst=0 src0=0 src1=0 src2=0
	v_pk_mul_f32 v[106:107], v[188:189], v[168:169] op_sel:[1,1] op_sel_hi:[0,1]
	v_pk_fma_f32 v[114:115], v[184:185], v[164:165], v[102:103] op_sel_hi:[1,0,1]
	v_pk_fma_f32 v[102:103], v[184:185], v[164:165], v[102:103] neg_lo:[0,0,1] neg_hi:[0,0,1]
	v_mov_b32_e32 v110, v171
	s_set_vgpr_msb 4                        ;  msbs: dst=0 src0=0 src1=1 src2=0
	v_pk_add_f32 v[108:109], v[108:109], v[12:13] /*v[268:269]*/
	s_wait_loadcnt 0x2
	s_set_vgpr_msb 0                        ;  msbs: dst=0 src0=0 src1=0 src2=0
	v_pk_mul_f32 v[112:113], v[200:201], v[172:173] op_sel:[1,1] op_sel_hi:[0,1]
	v_mov_b32_e32 v103, v115
	v_pk_fma_f32 v[114:115], v[186:187], v[166:167], v[104:105] op_sel_hi:[1,0,1]
	v_pk_fma_f32 v[104:105], v[186:187], v[166:167], v[104:105] neg_lo:[0,0,1] neg_hi:[0,0,1]
	v_pk_add_f32 v[100:101], v[108:109], v[100:101]
	v_pk_fma_f32 v[108:109], v[188:189], v[168:169], v[106:107] op_sel_hi:[1,0,1]
	s_set_vgpr_msb 1                        ;  msbs: dst=0 src0=1 src1=0 src2=0
	v_pk_mul_f32 v[110:111], v[6:7] /*v[262:263]*/, v[110:111] op_sel_hi:[1,0]
	s_set_vgpr_msb 0                        ;  msbs: dst=0 src0=0 src1=0 src2=0
	v_mov_b32_e32 v105, v115
	v_pk_fma_f32 v[106:107], v[188:189], v[168:169], v[106:107] neg_lo:[0,0,1] neg_hi:[0,0,1]
	v_pk_add_f32 v[100:101], v[100:101], v[102:103]
	v_dual_mov_b32 v102, v175 :: v_dual_mov_b32 v107, v109
	v_pk_fma_f32 v[108:109], v[190:191], v[170:171], v[110:111] op_sel_hi:[1,0,1]
	v_pk_fma_f32 v[110:111], v[190:191], v[170:171], v[110:111] neg_lo:[0,0,1] neg_hi:[0,0,1]
	s_delay_alu instid0(VALU_DEP_4)
	v_pk_add_f32 v[100:101], v[100:101], v[104:105]
	v_pk_fma_f32 v[104:105], v[200:201], v[172:173], v[112:113] op_sel_hi:[1,0,1]
	s_set_vgpr_msb 1                        ;  msbs: dst=0 src0=1 src1=0 src2=0
	v_pk_mul_f32 v[102:103], v[8:9] /*v[264:265]*/, v[102:103] op_sel_hi:[1,0]
	s_set_vgpr_msb 0                        ;  msbs: dst=0 src0=0 src1=0 src2=0
	v_mov_b32_e32 v111, v109
	s_wait_loadcnt_dscnt 0x100
	s_set_vgpr_msb 1                        ;  msbs: dst=0 src0=1 src1=0 src2=0
	v_pk_mul_f32 v[108:109], v[0:1] /*v[256:257]*/, v[252:253] op_sel:[1,1] op_sel_hi:[0,1]
	s_set_vgpr_msb 0                        ;  msbs: dst=0 src0=0 src1=0 src2=0
	v_pk_add_f32 v[100:101], v[100:101], v[106:107]
	v_pk_fma_f32 v[106:107], v[200:201], v[172:173], v[112:113] neg_lo:[0,0,1] neg_hi:[0,0,1]
	v_mov_b32_e32 v107, v105
	v_pk_fma_f32 v[104:105], v[202:203], v[174:175], v[102:103] op_sel_hi:[1,0,1]
	v_pk_fma_f32 v[102:103], v[202:203], v[174:175], v[102:103] neg_lo:[0,0,1] neg_hi:[0,0,1]
	v_pk_add_f32 v[100:101], v[100:101], v[110:111]
	s_delay_alu instid0(VALU_DEP_3)
	v_mov_b32_e32 v103, v105
	s_set_vgpr_msb 1                        ;  msbs: dst=0 src0=1 src1=0 src2=0
	v_pk_fma_f32 v[104:105], v[0:1] /*v[256:257]*/, v[252:253], v[108:109] op_sel_hi:[1,0,1]
	s_set_vgpr_msb 0                        ;  msbs: dst=0 src0=0 src1=0 src2=0
	v_pk_add_f32 v[100:101], v[100:101], v[106:107]
	s_set_vgpr_msb 1                        ;  msbs: dst=0 src0=1 src1=0 src2=0
	v_pk_fma_f32 v[106:107], v[0:1] /*v[256:257]*/, v[252:253], v[108:109] neg_lo:[0,0,1] neg_hi:[0,0,1]
	s_set_vgpr_msb 0                        ;  msbs: dst=0 src0=0 src1=0 src2=0
	v_mov_b32_e32 v107, v105
	v_pk_add_f32 v[100:101], v[100:101], v[102:103]
	s_delay_alu instid0(VALU_DEP_1) | instskip(SKIP_1) | instid1(VALU_DEP_1)
	v_pk_add_f32 v[100:101], v[100:101], v[106:107]
	s_wait_loadcnt 0x0
	v_pk_add_f32 v[100:101], v[254:255], v[100:101] neg_lo:[0,1] neg_hi:[0,1]
	scratch_store_b64 off, v[100:101], off offset:72
	s_wait_xcnt 0x0
	v_cmpx_lt_u32_e32 8, v0
	s_cbranch_execz .LBB112_291
; %bb.290:
	scratch_load_b64 v[100:101], off, off offset:64
	v_mov_b64_e32 v[102:103], 0
	scratch_store_b64 off, v[102:103], off offset:64
	s_wait_loadcnt 0x0
	ds_store_b64 v1, v[100:101]
.LBB112_291:
	s_wait_xcnt 0x0
	s_or_b32 exec_lo, exec_lo, s0
	s_wait_storecnt_dscnt 0x0
	s_barrier_signal -1
	s_barrier_wait -1
	s_clause 0x15
	scratch_load_b128 v[100:103], off, off offset:72
	scratch_load_b128 v[104:107], off, off offset:88
	;; [unrolled: 1-line block ×20, first 2 shown]
	s_set_vgpr_msb 64                       ;  msbs: dst=1 src0=0 src1=0 src2=0
	scratch_load_b64 v[4:5] /*v[260:261]*/, off, off offset:64
	s_set_vgpr_msb 0                        ;  msbs: dst=0 src0=0 src1=0 src2=0
	ds_load_2addr_b64 v[180:183], v7 offset0:91 offset1:92
	ds_load_2addr_b64 v[184:187], v7 offset0:93 offset1:94
	;; [unrolled: 1-line block ×19, first 2 shown]
	s_set_vgpr_msb 64                       ;  msbs: dst=1 src0=0 src1=0 src2=0
	ds_load_2addr_b64 v[0:3] /*v[256:259]*/, v7 offset0:89 offset1:90
	s_wait_dscnt 0x13
	v_dual_mov_b32 v6 /*v262*/, v183 :: v_dual_mov_b32 v7 /*v263*/, v182
	s_wait_dscnt 0x12
	v_dual_mov_b32 v8 /*v264*/, v187 :: v_dual_mov_b32 v9 /*v265*/, v186
	;; [unrolled: 2-line block ×4, first 2 shown]
	s_mov_b32 s0, exec_lo
	s_wait_loadcnt 0x14
	s_set_vgpr_msb 0                        ;  msbs: dst=0 src0=0 src1=0 src2=0
	v_dual_mul_f32 v7, v188, v101 :: v_dual_mul_f32 v9, v190, v103
	v_dual_mul_f32 v67, v189, v101 :: v_dual_mul_f32 v69, v191, v103
	s_wait_loadcnt 0x13
	v_dual_mul_f32 v11, v192, v105 :: v_dual_mul_f32 v13, v194, v107
	s_delay_alu instid0(VALU_DEP_3) | instskip(SKIP_3) | instid1(VALU_DEP_3)
	v_dual_fmac_f32 v7, v189, v100 :: v_dual_fmac_f32 v9, v191, v102
	s_wait_loadcnt_dscnt 0x110c
	v_dual_fma_f32 v67, v188, v100, -v67 :: v_dual_mul_f32 v79, v209, v113
	v_dual_mul_f32 v71, v193, v105 :: v_dual_mul_f32 v73, v195, v107
	v_dual_fma_f32 v69, v190, v102, -v69 :: v_dual_add_f32 v7, 0, v7
	s_delay_alu instid0(VALU_DEP_3) | instskip(SKIP_1) | instid1(VALU_DEP_4)
	v_dual_add_f32 v67, 0, v67 :: v_dual_fmac_f32 v11, v193, v104
	v_dual_mul_f32 v15, v204, v109 :: v_dual_mul_f32 v17, v206, v111
	v_dual_mul_f32 v81, v211, v115 :: v_dual_fma_f32 v71, v192, v104, -v71
	s_delay_alu instid0(VALU_DEP_4) | instskip(NEXT) | instid1(VALU_DEP_3)
	v_add_f32_e32 v7, v7, v9
	v_dual_add_f32 v9, v67, v69 :: v_dual_fmac_f32 v15, v205, v108
	v_dual_mul_f32 v75, v205, v109 :: v_dual_mul_f32 v77, v207, v111
	s_wait_loadcnt_dscnt 0x100b
	v_dual_mul_f32 v67, v213, v117 :: v_dual_fmac_f32 v13, v195, v106
	v_dual_fma_f32 v69, v194, v106, -v73 :: v_dual_add_f32 v7, v7, v11
	s_delay_alu instid0(VALU_DEP_3) | instskip(SKIP_1) | instid1(VALU_DEP_3)
	v_dual_add_f32 v9, v9, v71 :: v_dual_fma_f32 v71, v204, v108, -v75
	v_dual_mul_f32 v19, v208, v113 :: v_dual_mul_f32 v21, v210, v115
	v_add_f32_e32 v7, v7, v13
	s_delay_alu instid0(VALU_DEP_3) | instskip(SKIP_2) | instid1(VALU_DEP_3)
	v_dual_mul_f32 v11, v215, v119 :: v_dual_add_f32 v9, v9, v69
	s_wait_loadcnt_dscnt 0xf0a
	v_dual_mul_f32 v13, v217, v121 :: v_dual_fmac_f32 v17, v207, v110
	v_dual_fma_f32 v69, v206, v110, -v77 :: v_dual_add_f32 v7, v7, v15
	s_delay_alu instid0(VALU_DEP_3) | instskip(SKIP_1) | instid1(VALU_DEP_3)
	v_dual_add_f32 v9, v9, v71 :: v_dual_fma_f32 v71, v208, v112, -v79
	v_dual_mul_f32 v15, v219, v123 :: v_dual_fmac_f32 v19, v209, v112
	v_add_f32_e32 v7, v7, v17
	s_delay_alu instid0(VALU_DEP_3)
	v_dual_add_f32 v9, v9, v69 :: v_dual_fmac_f32 v21, v211, v114
	v_dual_mul_f32 v23, v212, v117 :: v_dual_mul_f32 v25, v214, v119
	s_wait_loadcnt_dscnt 0xe09
	v_dual_fma_f32 v69, v210, v114, -v81 :: v_dual_mul_f32 v17, v221, v125
	v_add_f32_e32 v7, v7, v19
	v_dual_add_f32 v9, v9, v71 :: v_dual_fma_f32 v67, v212, v116, -v67
	v_dual_mul_f32 v19, v223, v127 :: v_dual_fmac_f32 v23, v213, v116
	s_delay_alu instid0(VALU_DEP_3) | instskip(NEXT) | instid1(VALU_DEP_3)
	v_dual_add_f32 v7, v7, v21 :: v_dual_fma_f32 v11, v214, v118, -v11
	v_dual_add_f32 v9, v9, v69 :: v_dual_fmac_f32 v25, v215, v118
	v_dual_mul_f32 v27, v216, v121 :: v_dual_mul_f32 v29, v218, v123
	s_wait_loadcnt_dscnt 0xd08
	s_delay_alu instid0(VALU_DEP_3) | instskip(NEXT) | instid1(VALU_DEP_3)
	v_dual_mul_f32 v21, v225, v129 :: v_dual_add_f32 v7, v7, v23
	v_dual_add_f32 v9, v9, v67 :: v_dual_fma_f32 v13, v216, v120, -v13
	s_delay_alu instid0(VALU_DEP_3) | instskip(NEXT) | instid1(VALU_DEP_2)
	v_dual_mul_f32 v23, v227, v131 :: v_dual_fmac_f32 v27, v217, v120
	v_dual_add_f32 v7, v7, v25 :: v_dual_add_f32 v9, v9, v11
	v_dual_mul_f32 v31, v220, v125 :: v_dual_mul_f32 v33, v222, v127
	s_wait_loadcnt_dscnt 0xc07
	v_dual_mul_f32 v11, v229, v133 :: v_dual_fmac_f32 v29, v219, v122
	s_delay_alu instid0(VALU_DEP_3) | instskip(SKIP_2) | instid1(VALU_DEP_2)
	v_dual_fma_f32 v15, v218, v122, -v15 :: v_dual_add_f32 v7, v7, v27
	v_dual_add_f32 v9, v9, v13 :: v_dual_mul_f32 v13, v231, v135
	v_dual_fmac_f32 v31, v221, v124 :: v_dual_fma_f32 v17, v220, v124, -v17
	v_dual_add_f32 v7, v7, v29 :: v_dual_add_f32 v9, v9, v15
	v_dual_mul_f32 v35, v224, v129 :: v_dual_mul_f32 v37, v226, v131
	s_wait_loadcnt_dscnt 0xb06
	v_dual_mul_f32 v15, v233, v137 :: v_dual_fmac_f32 v33, v223, v126
	s_delay_alu instid0(VALU_DEP_3) | instskip(SKIP_2) | instid1(VALU_DEP_2)
	v_dual_fma_f32 v19, v222, v126, -v19 :: v_dual_add_f32 v7, v7, v31
	v_dual_add_f32 v9, v9, v17 :: v_dual_mul_f32 v17, v235, v139
	v_dual_fmac_f32 v35, v225, v128 :: v_dual_fma_f32 v21, v224, v128, -v21
	v_dual_add_f32 v7, v7, v33 :: v_dual_add_f32 v9, v9, v19
	v_dual_mul_f32 v39, v228, v133 :: v_dual_mul_f32 v41, v230, v135
	s_wait_loadcnt_dscnt 0xa05
	v_dual_mul_f32 v19, v237, v141 :: v_dual_fmac_f32 v37, v227, v130
	s_delay_alu instid0(VALU_DEP_3) | instskip(SKIP_2) | instid1(VALU_DEP_3)
	v_dual_fma_f32 v23, v226, v130, -v23 :: v_dual_add_f32 v7, v7, v35
	v_dual_add_f32 v9, v9, v21 :: v_dual_mul_f32 v21, v239, v143
	v_fmac_f32_e32 v39, v229, v132
	v_dual_fma_f32 v11, v228, v132, -v11 :: v_dual_add_f32 v7, v7, v37
	s_delay_alu instid0(VALU_DEP_3)
	v_dual_add_f32 v9, v9, v23 :: v_dual_mul_f32 v43, v232, v137
	s_wait_loadcnt_dscnt 0x904
	v_dual_mul_f32 v45, v234, v139 :: v_dual_mul_f32 v23, v241, v145
	v_fmac_f32_e32 v41, v231, v134
	v_dual_fma_f32 v13, v230, v134, -v13 :: v_dual_add_f32 v7, v7, v39
	v_dual_add_f32 v9, v9, v11 :: v_dual_fma_f32 v15, v232, v136, -v15
	v_dual_mul_f32 v11, v243, v147 :: v_dual_fmac_f32 v43, v233, v136
	s_delay_alu instid0(VALU_DEP_3) | instskip(NEXT) | instid1(VALU_DEP_3)
	v_dual_add_f32 v7, v7, v41 :: v_dual_fma_f32 v17, v234, v138, -v17
	v_dual_add_f32 v9, v9, v13 :: v_dual_fmac_f32 v45, v235, v138
	v_dual_mul_f32 v47, v236, v141 :: v_dual_mul_f32 v49, v238, v143
	s_wait_loadcnt_dscnt 0x803
	s_delay_alu instid0(VALU_DEP_3) | instskip(NEXT) | instid1(VALU_DEP_3)
	v_dual_mul_f32 v13, v245, v149 :: v_dual_add_f32 v7, v7, v43
	v_dual_add_f32 v9, v9, v15 :: v_dual_fma_f32 v19, v236, v140, -v19
	s_delay_alu instid0(VALU_DEP_3) | instskip(NEXT) | instid1(VALU_DEP_3)
	v_dual_mul_f32 v15, v247, v151 :: v_dual_fmac_f32 v47, v237, v140
	v_dual_add_f32 v7, v7, v45 :: v_dual_fma_f32 v21, v238, v142, -v21
	s_delay_alu instid0(VALU_DEP_3) | instskip(SKIP_2) | instid1(VALU_DEP_3)
	v_dual_add_f32 v9, v9, v17 :: v_dual_fmac_f32 v49, v239, v142
	v_dual_mul_f32 v51, v240, v145 :: v_dual_mul_f32 v53, v242, v147
	s_wait_loadcnt_dscnt 0x702
	v_dual_mul_f32 v17, v249, v153 :: v_dual_add_f32 v7, v7, v47
	s_delay_alu instid0(VALU_DEP_3) | instskip(NEXT) | instid1(VALU_DEP_3)
	v_dual_add_f32 v9, v9, v19 :: v_dual_fma_f32 v23, v240, v144, -v23
	v_dual_mul_f32 v19, v251, v155 :: v_dual_fmac_f32 v51, v241, v144
	s_delay_alu instid0(VALU_DEP_3) | instskip(NEXT) | instid1(VALU_DEP_3)
	v_dual_add_f32 v7, v7, v49 :: v_dual_fma_f32 v11, v242, v146, -v11
	v_dual_add_f32 v9, v9, v21 :: v_dual_fmac_f32 v53, v243, v146
	v_dual_mul_f32 v55, v244, v149 :: v_dual_mul_f32 v57, v246, v151
	s_wait_loadcnt_dscnt 0x601
	s_delay_alu instid0(VALU_DEP_3) | instskip(NEXT) | instid1(VALU_DEP_3)
	v_dual_mul_f32 v21, v253, v157 :: v_dual_add_f32 v7, v7, v51
	v_dual_add_f32 v9, v9, v23 :: v_dual_fma_f32 v13, v244, v148, -v13
	s_delay_alu instid0(VALU_DEP_3) | instskip(NEXT) | instid1(VALU_DEP_2)
	v_dual_mul_f32 v23, v255, v159 :: v_dual_fmac_f32 v55, v245, v148
	v_dual_add_f32 v7, v7, v53 :: v_dual_add_f32 v9, v9, v11
	v_dual_mul_f32 v59, v248, v153 :: v_dual_mul_f32 v61, v250, v155
	v_dual_fmac_f32 v57, v247, v150 :: v_dual_fma_f32 v15, v246, v150, -v15
	s_delay_alu instid0(VALU_DEP_3) | instskip(NEXT) | instid1(VALU_DEP_3)
	v_dual_add_f32 v7, v7, v55 :: v_dual_add_f32 v9, v9, v13
	v_dual_fmac_f32 v59, v249, v152 :: v_dual_fma_f32 v17, v248, v152, -v17
	v_dual_mul_f32 v63, v252, v157 :: v_dual_mul_f32 v65, v254, v159
	s_delay_alu instid0(VALU_DEP_3) | instskip(SKIP_2) | instid1(VALU_DEP_3)
	v_dual_add_f32 v7, v7, v57 :: v_dual_add_f32 v9, v9, v15
	v_dual_fmac_f32 v61, v251, v154 :: v_dual_fma_f32 v15, v250, v154, -v19
	s_wait_loadcnt 0x4
	v_dual_mov_b32 v102, v167 :: v_dual_fmac_f32 v63, v253, v156
	s_delay_alu instid0(VALU_DEP_3)
	v_dual_add_f32 v7, v7, v59 :: v_dual_add_f32 v9, v9, v17
	v_fma_f32 v17, v252, v156, -v21
	s_wait_dscnt 0x0
	s_set_vgpr_msb 0x41                     ;  msbs: dst=1 src0=1 src1=0 src2=0
	v_dual_mul_f32 v15 /*v271*/, v0 /*v256*/, v161 :: v_dual_mul_f32 v17 /*v273*/, v2 /*v258*/, v163
	s_set_vgpr_msb 0                        ;  msbs: dst=0 src0=0 src1=0 src2=0
	v_dual_add_f32 v7, v7, v61 :: v_dual_add_f32 v9, v9, v15
	v_fmac_f32_e32 v65, v255, v158
	s_set_vgpr_msb 1                        ;  msbs: dst=0 src0=1 src1=0 src2=0
	v_dual_mul_f32 v11, v1 /*v257*/, v161 :: v_dual_mul_f32 v13, v3 /*v259*/, v163
	s_set_vgpr_msb 0                        ;  msbs: dst=0 src0=0 src1=0 src2=0
	v_dual_fma_f32 v15, v254, v158, -v23 :: v_dual_add_f32 v7, v7, v63
	s_wait_loadcnt 0x3
	v_dual_add_f32 v9, v9, v17 :: v_dual_mov_b32 v106, v171
	v_pk_mul_f32 v[100:101], v[180:181], v[164:165] op_sel:[1,1] op_sel_hi:[0,1]
	s_set_vgpr_msb 0x41                     ;  msbs: dst=1 src0=1 src1=0 src2=0
	v_dual_fmac_f32 v15 /*v271*/, v1 /*v257*/, v160 :: v_dual_fmac_f32 v17 /*v273*/, v3 /*v259*/, v162
	v_dual_fma_f32 v14 /*v270*/, v0 /*v256*/, v160, -v11 :: v_dual_fma_f32 v16 /*v272*/, v2 /*v258*/, v162, -v13
	s_set_vgpr_msb 0                        ;  msbs: dst=0 src0=0 src1=0 src2=0
	v_dual_add_f32 v109, v7, v65 :: v_dual_add_f32 v108, v9, v15
	v_pk_fma_f32 v[110:111], v[180:181], v[164:165], v[100:101] op_sel_hi:[1,0,1]
	s_set_vgpr_msb 1                        ;  msbs: dst=0 src0=1 src1=0 src2=0
	v_pk_mul_f32 v[102:103], v[6:7] /*v[262:263]*/, v[102:103] op_sel_hi:[1,0]
	s_set_vgpr_msb 0                        ;  msbs: dst=0 src0=0 src1=0 src2=0
	v_pk_fma_f32 v[100:101], v[180:181], v[164:165], v[100:101] neg_lo:[0,0,1] neg_hi:[0,0,1]
	v_pk_mul_f32 v[104:105], v[184:185], v[168:169] op_sel:[1,1] op_sel_hi:[0,1]
	s_set_vgpr_msb 4                        ;  msbs: dst=0 src0=0 src1=1 src2=0
	v_pk_add_f32 v[108:109], v[108:109], v[14:15] /*v[270:271]*/
	v_mov_b32_e32 v101, v111
	s_set_vgpr_msb 0                        ;  msbs: dst=0 src0=0 src1=0 src2=0
	v_pk_fma_f32 v[110:111], v[182:183], v[166:167], v[102:103] op_sel_hi:[1,0,1]
	v_pk_fma_f32 v[102:103], v[182:183], v[166:167], v[102:103] neg_lo:[0,0,1] neg_hi:[0,0,1]
	v_pk_fma_f32 v[114:115], v[184:185], v[168:169], v[104:105] op_sel_hi:[1,0,1]
	s_set_vgpr_msb 4                        ;  msbs: dst=0 src0=0 src1=1 src2=0
	v_pk_add_f32 v[108:109], v[108:109], v[16:17] /*v[272:273]*/
	s_set_vgpr_msb 1                        ;  msbs: dst=0 src0=1 src1=0 src2=0
	v_pk_mul_f32 v[106:107], v[8:9] /*v[264:265]*/, v[106:107] op_sel_hi:[1,0]
	s_set_vgpr_msb 0                        ;  msbs: dst=0 src0=0 src1=0 src2=0
	v_mov_b32_e32 v103, v111
	s_wait_loadcnt 0x2
	v_pk_mul_f32 v[112:113], v[196:197], v[172:173] op_sel:[1,1] op_sel_hi:[0,1]
	v_pk_fma_f32 v[104:105], v[184:185], v[168:169], v[104:105] neg_lo:[0,0,1] neg_hi:[0,0,1]
	v_pk_add_f32 v[100:101], v[108:109], v[100:101]
	v_dual_mov_b32 v108, v175 :: v_dual_mov_b32 v105, v115
	v_pk_fma_f32 v[110:111], v[186:187], v[170:171], v[106:107] op_sel_hi:[1,0,1]
	v_pk_fma_f32 v[106:107], v[186:187], v[170:171], v[106:107] neg_lo:[0,0,1] neg_hi:[0,0,1]
	s_delay_alu instid0(VALU_DEP_4)
	v_pk_add_f32 v[100:101], v[100:101], v[102:103]
	v_pk_fma_f32 v[102:103], v[196:197], v[172:173], v[112:113] op_sel_hi:[1,0,1]
	s_set_vgpr_msb 1                        ;  msbs: dst=0 src0=1 src1=0 src2=0
	v_pk_mul_f32 v[108:109], v[10:11] /*v[266:267]*/, v[108:109] op_sel_hi:[1,0]
	s_set_vgpr_msb 0                        ;  msbs: dst=0 src0=0 src1=0 src2=0
	v_mov_b32_e32 v107, v111
	v_pk_fma_f32 v[110:111], v[196:197], v[172:173], v[112:113] neg_lo:[0,0,1] neg_hi:[0,0,1]
	v_pk_add_f32 v[100:101], v[100:101], v[104:105]
	v_mov_b32_e32 v111, v103
	v_pk_fma_f32 v[102:103], v[198:199], v[174:175], v[108:109] op_sel_hi:[1,0,1]
	s_wait_loadcnt 0x1
	v_pk_mul_f32 v[104:105], v[200:201], v[176:177] op_sel:[1,1] op_sel_hi:[0,1]
	v_mov_b32_e32 v102, v179
	v_pk_add_f32 v[100:101], v[100:101], v[106:107]
	v_pk_fma_f32 v[108:109], v[198:199], v[174:175], v[108:109] neg_lo:[0,0,1] neg_hi:[0,0,1]
	v_mov_b32_e32 v109, v103
	v_pk_fma_f32 v[106:107], v[200:201], v[176:177], v[104:105] op_sel_hi:[1,0,1]
	s_set_vgpr_msb 1                        ;  msbs: dst=0 src0=1 src1=0 src2=0
	v_pk_mul_f32 v[102:103], v[12:13] /*v[268:269]*/, v[102:103] op_sel_hi:[1,0]
	s_set_vgpr_msb 0                        ;  msbs: dst=0 src0=0 src1=0 src2=0
	v_pk_add_f32 v[100:101], v[100:101], v[110:111]
	v_pk_fma_f32 v[104:105], v[200:201], v[176:177], v[104:105] neg_lo:[0,0,1] neg_hi:[0,0,1]
	v_mov_b32_e32 v105, v107
	v_pk_fma_f32 v[106:107], v[202:203], v[178:179], v[102:103] op_sel_hi:[1,0,1]
	s_delay_alu instid0(VALU_DEP_4) | instskip(SKIP_1) | instid1(VALU_DEP_3)
	v_pk_add_f32 v[100:101], v[100:101], v[108:109]
	v_pk_fma_f32 v[102:103], v[202:203], v[178:179], v[102:103] neg_lo:[0,0,1] neg_hi:[0,0,1]
	v_mov_b32_e32 v103, v107
	s_delay_alu instid0(VALU_DEP_3) | instskip(NEXT) | instid1(VALU_DEP_1)
	v_pk_add_f32 v[100:101], v[100:101], v[104:105]
	v_pk_add_f32 v[100:101], v[100:101], v[102:103]
	s_wait_loadcnt 0x0
	s_set_vgpr_msb 1                        ;  msbs: dst=0 src0=1 src1=0 src2=0
	s_delay_alu instid0(VALU_DEP_1)
	v_pk_add_f32 v[100:101], v[4:5] /*v[260:261]*/, v[100:101] neg_lo:[0,1] neg_hi:[0,1]
	scratch_store_b64 off, v[100:101], off offset:64
	s_wait_xcnt 0x0
	v_cmpx_lt_u32_e32 7, v0
	s_set_vgpr_msb 0                        ;  msbs: dst=0 src0=0 src1=0 src2=0
	s_cbranch_execz .LBB112_293
; %bb.292:
	scratch_load_b64 v[100:101], off, off offset:56
	v_mov_b64_e32 v[102:103], 0
	scratch_store_b64 off, v[102:103], off offset:56
	s_wait_loadcnt 0x0
	ds_store_b64 v1, v[100:101]
.LBB112_293:
	s_wait_xcnt 0x0
	s_or_b32 exec_lo, exec_lo, s0
	v_mov_b32_e32 v7, 0
	s_wait_storecnt_dscnt 0x0
	s_barrier_signal -1
	s_barrier_wait -1
	ds_load_b128 v[100:103], v7 offset:464
	ds_load_b128 v[104:107], v7 offset:480
	;; [unrolled: 1-line block ×4, first 2 shown]
	s_clause 0x10
	scratch_load_b128 v[116:119], off, off offset:64
	scratch_load_b128 v[120:123], off, off offset:80
	;; [unrolled: 1-line block ×17, first 2 shown]
	s_mov_b32 s0, exec_lo
	s_wait_loadcnt_dscnt 0x1003
	v_mul_f32_e32 v9, v100, v117
	ds_load_b128 v[212:215], v7 offset:688
	ds_load_b128 v[220:223], v7 offset:704
	;; [unrolled: 1-line block ×3, first 2 shown]
	v_dual_mul_f32 v11, v102, v119 :: v_dual_fmac_f32 v9, v101, v116
	ds_load_b128 v[132:135], v7 offset:528
	ds_load_b128 v[140:143], v7 offset:544
	;; [unrolled: 1-line block ×4, first 2 shown]
	v_dual_add_f32 v9, 0, v9 :: v_dual_fmac_f32 v11, v103, v118
	ds_load_b128 v[164:167], v7 offset:592
	ds_load_b128 v[172:175], v7 offset:608
	;; [unrolled: 1-line block ×4, first 2 shown]
	s_wait_loadcnt_dscnt 0xf0d
	v_dual_add_f32 v9, v9, v11 :: v_dual_mul_f32 v11, v104, v121
	ds_load_b128 v[196:199], v7 offset:656
	ds_load_b128 v[204:207], v7 offset:672
	s_clause 0x3
	scratch_load_b128 v[236:239], off, off offset:336
	scratch_load_b128 v[240:243], off, off offset:352
	;; [unrolled: 1-line block ×3, first 2 shown]
	scratch_load_b64 v[254:255], off, off offset:384
	s_wait_loadcnt_dscnt 0x110b
	v_dual_fmac_f32 v11, v105, v120 :: v_dual_mul_f32 v251, v222, v227
	s_wait_loadcnt_dscnt 0xe0a
	s_delay_alu instid0(VALU_DEP_1) | instskip(NEXT) | instid1(VALU_DEP_2)
	v_dual_mul_f32 v253, v228, v233 :: v_dual_add_f32 v9, v9, v11
	v_dual_mul_f32 v11, v106, v123 :: v_dual_fmac_f32 v251, v223, v226
	s_delay_alu instid0(VALU_DEP_1) | instskip(NEXT) | instid1(VALU_DEP_1)
	v_dual_fmac_f32 v253, v229, v232 :: v_dual_fmac_f32 v11, v107, v122
	v_dual_add_f32 v9, v9, v11 :: v_dual_mul_f32 v11, v108, v125
	s_delay_alu instid0(VALU_DEP_1) | instskip(NEXT) | instid1(VALU_DEP_1)
	v_fmac_f32_e32 v11, v109, v124
	v_add_f32_e32 v9, v9, v11
	v_mul_f32_e32 v11, v110, v127
	s_delay_alu instid0(VALU_DEP_1) | instskip(NEXT) | instid1(VALU_DEP_1)
	v_fmac_f32_e32 v11, v111, v126
	v_dual_add_f32 v9, v9, v11 :: v_dual_mul_f32 v11, v112, v129
	s_delay_alu instid0(VALU_DEP_1) | instskip(NEXT) | instid1(VALU_DEP_1)
	v_fmac_f32_e32 v11, v113, v128
	v_add_f32_e32 v9, v9, v11
	v_mul_f32_e32 v11, v114, v131
	s_delay_alu instid0(VALU_DEP_1) | instskip(SKIP_1) | instid1(VALU_DEP_1)
	v_fmac_f32_e32 v11, v115, v130
	s_wait_loadcnt_dscnt 0xd09
	v_dual_add_f32 v9, v9, v11 :: v_dual_mul_f32 v11, v132, v137
	s_delay_alu instid0(VALU_DEP_1) | instskip(NEXT) | instid1(VALU_DEP_1)
	v_fmac_f32_e32 v11, v133, v136
	v_add_f32_e32 v9, v9, v11
	v_mul_f32_e32 v11, v134, v139
	s_delay_alu instid0(VALU_DEP_1) | instskip(SKIP_1) | instid1(VALU_DEP_1)
	v_fmac_f32_e32 v11, v135, v138
	s_wait_loadcnt_dscnt 0xc08
	;; [unrolled: 8-line block ×10, first 2 shown]
	v_dual_add_f32 v9, v9, v11 :: v_dual_mul_f32 v11, v204, v209
	s_delay_alu instid0(VALU_DEP_1) | instskip(NEXT) | instid1(VALU_DEP_1)
	v_fmac_f32_e32 v11, v205, v208
	v_add_f32_e32 v9, v9, v11
	v_mul_f32_e32 v11, v206, v211
	s_delay_alu instid0(VALU_DEP_1) | instskip(NEXT) | instid1(VALU_DEP_1)
	v_fmac_f32_e32 v11, v207, v210
	v_dual_add_f32 v9, v9, v11 :: v_dual_mul_f32 v11, v212, v217
	s_delay_alu instid0(VALU_DEP_1) | instskip(NEXT) | instid1(VALU_DEP_1)
	v_fmac_f32_e32 v11, v213, v216
	v_add_f32_e32 v9, v9, v11
	v_mul_f32_e32 v11, v214, v219
	s_delay_alu instid0(VALU_DEP_1) | instskip(NEXT) | instid1(VALU_DEP_1)
	v_fmac_f32_e32 v11, v215, v218
	v_dual_add_f32 v9, v9, v11 :: v_dual_mul_f32 v11, v220, v225
	s_delay_alu instid0(VALU_DEP_1) | instskip(NEXT) | instid1(VALU_DEP_1)
	v_fmac_f32_e32 v11, v221, v224
	v_add_f32_e32 v249, v9, v11
	v_dual_mul_f32 v9, v101, v117 :: v_dual_mul_f32 v11, v103, v119
	s_delay_alu instid0(VALU_DEP_1) | instskip(NEXT) | instid1(VALU_DEP_2)
	v_dual_mov_b32 v117, v230 :: v_dual_fma_f32 v9, v100, v116, -v9
	v_dual_fma_f32 v11, v102, v118, -v11 :: v_dual_mov_b32 v116, v231
	s_delay_alu instid0(VALU_DEP_2) | instskip(NEXT) | instid1(VALU_DEP_1)
	v_dual_mov_b32 v118, v235 :: v_dual_add_f32 v9, 0, v9
	v_pk_mul_f32 v[116:117], v[116:117], v[118:119] op_sel_hi:[1,0]
	s_delay_alu instid0(VALU_DEP_2) | instskip(SKIP_1) | instid1(VALU_DEP_3)
	v_add_f32_e32 v9, v9, v11
	v_mul_f32_e32 v11, v105, v121
	v_pk_fma_f32 v[118:119], v[230:231], v[234:235], v[116:117] neg_lo:[0,0,1] neg_hi:[0,0,1]
	v_pk_fma_f32 v[116:117], v[230:231], v[234:235], v[116:117] op_sel_hi:[1,0,1]
	s_delay_alu instid0(VALU_DEP_1) | instskip(NEXT) | instid1(VALU_DEP_1)
	v_dual_fma_f32 v11, v104, v120, -v11 :: v_dual_mov_b32 v119, v117
	v_add_f32_e32 v9, v9, v11
	v_mul_f32_e32 v11, v107, v123
	s_delay_alu instid0(VALU_DEP_1) | instskip(NEXT) | instid1(VALU_DEP_1)
	v_fma_f32 v11, v106, v122, -v11
	v_add_f32_e32 v9, v9, v11
	v_mul_f32_e32 v11, v109, v125
	s_delay_alu instid0(VALU_DEP_1) | instskip(NEXT) | instid1(VALU_DEP_1)
	v_fma_f32 v11, v108, v124, -v11
	;; [unrolled: 4-line block ×3, first 2 shown]
	v_add_f32_e32 v9, v9, v11
	v_mul_f32_e32 v11, v113, v129
	s_delay_alu instid0(VALU_DEP_1)
	v_fma_f32 v11, v112, v128, -v11
	ds_load_b128 v[100:103], v7 offset:736
	ds_load_b128 v[104:107], v7 offset:752
	;; [unrolled: 1-line block ×3, first 2 shown]
	ds_load_b64 v[112:113], v7 offset:784
	v_add_f32_e32 v9, v9, v11
	v_mul_f32_e32 v11, v115, v131
	s_delay_alu instid0(VALU_DEP_1) | instskip(NEXT) | instid1(VALU_DEP_1)
	v_fma_f32 v11, v114, v130, -v11
	v_add_f32_e32 v9, v9, v11
	v_mul_f32_e32 v11, v133, v137
	s_wait_loadcnt_dscnt 0x303
	v_pk_mul_f32 v[116:117], v[100:101], v[236:237] op_sel:[1,1] op_sel_hi:[0,1]
	s_delay_alu instid0(VALU_DEP_2) | instskip(NEXT) | instid1(VALU_DEP_1)
	v_fma_f32 v11, v132, v136, -v11
	v_add_f32_e32 v9, v9, v11
	v_mul_f32_e32 v11, v135, v139
	s_delay_alu instid0(VALU_DEP_1) | instskip(NEXT) | instid1(VALU_DEP_1)
	v_fma_f32 v11, v134, v138, -v11
	v_add_f32_e32 v9, v9, v11
	v_mul_f32_e32 v11, v141, v145
	s_delay_alu instid0(VALU_DEP_1) | instskip(NEXT) | instid1(VALU_DEP_1)
	;; [unrolled: 4-line block ×23, first 2 shown]
	v_dual_fma_f32 v250, v222, v226, -v9 :: v_dual_mul_f32 v9, v229, v233
	v_pk_add_f32 v[114:115], v[248:249], v[250:251]
	s_delay_alu instid0(VALU_DEP_2) | instskip(NEXT) | instid1(VALU_DEP_1)
	v_fma_f32 v252, v228, v232, -v9
	v_pk_add_f32 v[114:115], v[114:115], v[252:253]
	s_delay_alu instid0(VALU_DEP_1) | instskip(SKIP_2) | instid1(VALU_DEP_1)
	v_pk_add_f32 v[114:115], v[114:115], v[118:119]
	v_pk_fma_f32 v[118:119], v[100:101], v[236:237], v[116:117] neg_lo:[0,0,1] neg_hi:[0,0,1]
	v_pk_fma_f32 v[100:101], v[100:101], v[236:237], v[116:117] op_sel_hi:[1,0,1]
	v_dual_mov_b32 v116, v239 :: v_dual_mov_b32 v119, v101
	s_delay_alu instid0(VALU_DEP_1) | instskip(SKIP_1) | instid1(VALU_DEP_1)
	v_pk_add_f32 v[100:101], v[114:115], v[118:119]
	v_dual_mov_b32 v114, v103 :: v_dual_mov_b32 v115, v102
	v_pk_mul_f32 v[114:115], v[114:115], v[116:117] op_sel_hi:[1,0]
	s_delay_alu instid0(VALU_DEP_1) | instskip(SKIP_1) | instid1(VALU_DEP_1)
	v_pk_fma_f32 v[116:117], v[102:103], v[238:239], v[114:115] neg_lo:[0,0,1] neg_hi:[0,0,1]
	v_pk_fma_f32 v[102:103], v[102:103], v[238:239], v[114:115] op_sel_hi:[1,0,1]
	v_mov_b32_e32 v117, v103
	s_wait_loadcnt_dscnt 0x202
	v_pk_mul_f32 v[102:103], v[104:105], v[240:241] op_sel:[1,1] op_sel_hi:[0,1]
	s_delay_alu instid0(VALU_DEP_2) | instskip(NEXT) | instid1(VALU_DEP_2)
	v_pk_add_f32 v[100:101], v[100:101], v[116:117]
	v_pk_fma_f32 v[114:115], v[104:105], v[240:241], v[102:103] neg_lo:[0,0,1] neg_hi:[0,0,1]
	v_pk_fma_f32 v[102:103], v[104:105], v[240:241], v[102:103] op_sel_hi:[1,0,1]
	v_dual_mov_b32 v102, v107 :: v_dual_mov_b32 v104, v243
	s_delay_alu instid0(VALU_DEP_2) | instskip(NEXT) | instid1(VALU_DEP_1)
	v_dual_mov_b32 v115, v103 :: v_dual_mov_b32 v103, v106
	v_pk_add_f32 v[100:101], v[100:101], v[114:115]
	s_delay_alu instid0(VALU_DEP_2) | instskip(NEXT) | instid1(VALU_DEP_1)
	v_pk_mul_f32 v[102:103], v[102:103], v[104:105] op_sel_hi:[1,0]
	v_pk_fma_f32 v[104:105], v[106:107], v[242:243], v[102:103] neg_lo:[0,0,1] neg_hi:[0,0,1]
	v_pk_fma_f32 v[102:103], v[106:107], v[242:243], v[102:103] op_sel_hi:[1,0,1]
	s_delay_alu instid0(VALU_DEP_1) | instskip(SKIP_2) | instid1(VALU_DEP_2)
	v_mov_b32_e32 v105, v103
	s_wait_loadcnt_dscnt 0x101
	v_pk_mul_f32 v[102:103], v[108:109], v[244:245] op_sel:[1,1] op_sel_hi:[0,1]
	v_pk_add_f32 v[100:101], v[100:101], v[104:105]
	s_delay_alu instid0(VALU_DEP_2) | instskip(SKIP_1) | instid1(VALU_DEP_1)
	v_pk_fma_f32 v[104:105], v[108:109], v[244:245], v[102:103] neg_lo:[0,0,1] neg_hi:[0,0,1]
	v_pk_fma_f32 v[102:103], v[108:109], v[244:245], v[102:103] op_sel_hi:[1,0,1]
	v_dual_mov_b32 v102, v111 :: v_dual_mov_b32 v105, v103
	v_mov_b32_e32 v103, v110
	s_delay_alu instid0(VALU_DEP_2) | instskip(SKIP_1) | instid1(VALU_DEP_1)
	v_pk_add_f32 v[100:101], v[100:101], v[104:105]
	v_mov_b32_e32 v104, v247
	v_pk_mul_f32 v[102:103], v[102:103], v[104:105] op_sel_hi:[1,0]
	s_delay_alu instid0(VALU_DEP_1) | instskip(SKIP_1) | instid1(VALU_DEP_1)
	v_pk_fma_f32 v[104:105], v[110:111], v[246:247], v[102:103] neg_lo:[0,0,1] neg_hi:[0,0,1]
	v_pk_fma_f32 v[102:103], v[110:111], v[246:247], v[102:103] op_sel_hi:[1,0,1]
	v_mov_b32_e32 v105, v103
	s_wait_loadcnt_dscnt 0x0
	v_pk_mul_f32 v[102:103], v[112:113], v[254:255] op_sel:[1,1] op_sel_hi:[0,1]
	s_delay_alu instid0(VALU_DEP_2) | instskip(NEXT) | instid1(VALU_DEP_2)
	v_pk_add_f32 v[100:101], v[100:101], v[104:105]
	v_pk_fma_f32 v[104:105], v[112:113], v[254:255], v[102:103] neg_lo:[0,0,1] neg_hi:[0,0,1]
	v_pk_fma_f32 v[102:103], v[112:113], v[254:255], v[102:103] op_sel_hi:[1,0,1]
	s_delay_alu instid0(VALU_DEP_1) | instskip(SKIP_3) | instid1(VALU_DEP_1)
	v_mov_b32_e32 v105, v103
	scratch_load_b64 v[102:103], off, off offset:56
	v_pk_add_f32 v[100:101], v[100:101], v[104:105]
	s_wait_loadcnt 0x0
	v_pk_add_f32 v[100:101], v[102:103], v[100:101] neg_lo:[0,1] neg_hi:[0,1]
	scratch_store_b64 off, v[100:101], off offset:56
	s_wait_xcnt 0x0
	v_cmpx_lt_u32_e32 6, v0
	s_cbranch_execz .LBB112_295
; %bb.294:
	scratch_load_b64 v[100:101], off, off offset:48
	v_mov_b64_e32 v[102:103], 0
	scratch_store_b64 off, v[102:103], off offset:48
	s_wait_loadcnt 0x0
	ds_store_b64 v1, v[100:101]
.LBB112_295:
	s_wait_xcnt 0x0
	s_or_b32 exec_lo, exec_lo, s0
	s_wait_storecnt_dscnt 0x0
	s_barrier_signal -1
	s_barrier_wait -1
	s_clause 0x10
	scratch_load_b128 v[104:107], off, off offset:56
	scratch_load_b128 v[112:115], off, off offset:72
	;; [unrolled: 1-line block ×17, first 2 shown]
	ds_load_2addr_b64 v[100:103], v7 offset0:57 offset1:58
	ds_load_2addr_b64 v[108:111], v7 offset0:59 offset1:60
	ds_load_2addr_b64 v[228:231], v7 offset0:89 offset1:90
	ds_load_2addr_b64 v[116:119], v7 offset0:61 offset1:62
	ds_load_2addr_b64 v[124:127], v7 offset0:63 offset1:64
	ds_load_2addr_b64 v[132:135], v7 offset0:65 offset1:66
	ds_load_2addr_b64 v[140:143], v7 offset0:67 offset1:68
	ds_load_2addr_b64 v[148:151], v7 offset0:69 offset1:70
	ds_load_2addr_b64 v[156:159], v7 offset0:71 offset1:72
	ds_load_2addr_b64 v[164:167], v7 offset0:73 offset1:74
	ds_load_2addr_b64 v[172:175], v7 offset0:75 offset1:76
	ds_load_2addr_b64 v[180:183], v7 offset0:77 offset1:78
	ds_load_2addr_b64 v[188:191], v7 offset0:79 offset1:80
	ds_load_2addr_b64 v[196:199], v7 offset0:81 offset1:82
	ds_load_2addr_b64 v[204:207], v7 offset0:83 offset1:84
	ds_load_2addr_b64 v[212:215], v7 offset0:85 offset1:86
	ds_load_2addr_b64 v[220:223], v7 offset0:87 offset1:88
	s_clause 0x3
	scratch_load_b128 v[236:239], off, off offset:328
	scratch_load_b128 v[240:243], off, off offset:344
	;; [unrolled: 1-line block ×4, first 2 shown]
	s_mov_b32 s0, exec_lo
	s_wait_loadcnt_dscnt 0x1410
	v_dual_mul_f32 v9, v100, v105 :: v_dual_mul_f32 v11, v102, v107
	s_wait_loadcnt_dscnt 0x120e
	s_delay_alu instid0(VALU_DEP_1) | instskip(NEXT) | instid1(VALU_DEP_2)
	v_dual_mul_f32 v255, v228, v233 :: v_dual_fmac_f32 v9, v101, v104
	v_fmac_f32_e32 v11, v103, v106
	s_delay_alu instid0(VALU_DEP_2) | instskip(NEXT) | instid1(VALU_DEP_1)
	v_dual_fmac_f32 v255, v229, v232 :: v_dual_add_f32 v9, 0, v9
	v_dual_add_f32 v9, v9, v11 :: v_dual_mul_f32 v11, v108, v113
	s_delay_alu instid0(VALU_DEP_1) | instskip(NEXT) | instid1(VALU_DEP_1)
	v_fmac_f32_e32 v11, v109, v112
	v_add_f32_e32 v9, v9, v11
	v_mul_f32_e32 v11, v110, v115
	s_delay_alu instid0(VALU_DEP_1) | instskip(SKIP_1) | instid1(VALU_DEP_1)
	v_fmac_f32_e32 v11, v111, v114
	s_wait_loadcnt_dscnt 0x110d
	v_dual_add_f32 v9, v9, v11 :: v_dual_mul_f32 v11, v116, v121
	s_delay_alu instid0(VALU_DEP_1) | instskip(NEXT) | instid1(VALU_DEP_1)
	v_fmac_f32_e32 v11, v117, v120
	v_add_f32_e32 v9, v9, v11
	v_mul_f32_e32 v11, v118, v123
	s_delay_alu instid0(VALU_DEP_1) | instskip(SKIP_1) | instid1(VALU_DEP_1)
	v_fmac_f32_e32 v11, v119, v122
	s_wait_loadcnt_dscnt 0x100c
	v_dual_add_f32 v9, v9, v11 :: v_dual_mul_f32 v11, v124, v129
	s_delay_alu instid0(VALU_DEP_1) | instskip(NEXT) | instid1(VALU_DEP_1)
	v_fmac_f32_e32 v11, v125, v128
	v_add_f32_e32 v9, v9, v11
	v_mul_f32_e32 v11, v126, v131
	s_delay_alu instid0(VALU_DEP_1) | instskip(SKIP_1) | instid1(VALU_DEP_1)
	v_fmac_f32_e32 v11, v127, v130
	s_wait_loadcnt_dscnt 0xf0b
	v_dual_add_f32 v9, v9, v11 :: v_dual_mul_f32 v11, v132, v137
	s_delay_alu instid0(VALU_DEP_1) | instskip(NEXT) | instid1(VALU_DEP_1)
	v_fmac_f32_e32 v11, v133, v136
	v_add_f32_e32 v9, v9, v11
	v_mul_f32_e32 v11, v134, v139
	s_delay_alu instid0(VALU_DEP_1) | instskip(SKIP_1) | instid1(VALU_DEP_1)
	v_fmac_f32_e32 v11, v135, v138
	s_wait_loadcnt_dscnt 0xe0a
	v_dual_add_f32 v9, v9, v11 :: v_dual_mul_f32 v11, v140, v145
	s_delay_alu instid0(VALU_DEP_1) | instskip(NEXT) | instid1(VALU_DEP_1)
	v_fmac_f32_e32 v11, v141, v144
	v_add_f32_e32 v9, v9, v11
	v_mul_f32_e32 v11, v142, v147
	s_delay_alu instid0(VALU_DEP_1) | instskip(SKIP_1) | instid1(VALU_DEP_1)
	v_fmac_f32_e32 v11, v143, v146
	s_wait_loadcnt_dscnt 0xd09
	v_dual_add_f32 v9, v9, v11 :: v_dual_mul_f32 v11, v148, v153
	s_delay_alu instid0(VALU_DEP_1) | instskip(NEXT) | instid1(VALU_DEP_1)
	v_fmac_f32_e32 v11, v149, v152
	v_add_f32_e32 v9, v9, v11
	v_mul_f32_e32 v11, v150, v155
	s_delay_alu instid0(VALU_DEP_1) | instskip(SKIP_1) | instid1(VALU_DEP_1)
	v_fmac_f32_e32 v11, v151, v154
	s_wait_loadcnt_dscnt 0xc08
	v_dual_add_f32 v9, v9, v11 :: v_dual_mul_f32 v11, v156, v161
	s_delay_alu instid0(VALU_DEP_1) | instskip(NEXT) | instid1(VALU_DEP_1)
	v_fmac_f32_e32 v11, v157, v160
	v_add_f32_e32 v9, v9, v11
	v_mul_f32_e32 v11, v158, v163
	s_delay_alu instid0(VALU_DEP_1) | instskip(SKIP_1) | instid1(VALU_DEP_1)
	v_fmac_f32_e32 v11, v159, v162
	s_wait_loadcnt_dscnt 0xb07
	v_dual_add_f32 v9, v9, v11 :: v_dual_mul_f32 v11, v164, v169
	s_delay_alu instid0(VALU_DEP_1) | instskip(NEXT) | instid1(VALU_DEP_1)
	v_fmac_f32_e32 v11, v165, v168
	v_add_f32_e32 v9, v9, v11
	v_mul_f32_e32 v11, v166, v171
	s_delay_alu instid0(VALU_DEP_1) | instskip(SKIP_1) | instid1(VALU_DEP_1)
	v_fmac_f32_e32 v11, v167, v170
	s_wait_loadcnt_dscnt 0xa06
	v_dual_add_f32 v9, v9, v11 :: v_dual_mul_f32 v11, v172, v177
	s_delay_alu instid0(VALU_DEP_1) | instskip(NEXT) | instid1(VALU_DEP_1)
	v_fmac_f32_e32 v11, v173, v176
	v_add_f32_e32 v9, v9, v11
	v_mul_f32_e32 v11, v174, v179
	s_delay_alu instid0(VALU_DEP_1) | instskip(SKIP_1) | instid1(VALU_DEP_1)
	v_fmac_f32_e32 v11, v175, v178
	s_wait_loadcnt_dscnt 0x905
	v_dual_add_f32 v9, v9, v11 :: v_dual_mul_f32 v11, v180, v185
	s_delay_alu instid0(VALU_DEP_1) | instskip(NEXT) | instid1(VALU_DEP_1)
	v_fmac_f32_e32 v11, v181, v184
	v_add_f32_e32 v9, v9, v11
	v_mul_f32_e32 v11, v182, v187
	s_delay_alu instid0(VALU_DEP_1) | instskip(SKIP_1) | instid1(VALU_DEP_1)
	v_fmac_f32_e32 v11, v183, v186
	s_wait_loadcnt_dscnt 0x804
	v_dual_add_f32 v9, v9, v11 :: v_dual_mul_f32 v11, v188, v193
	s_delay_alu instid0(VALU_DEP_1) | instskip(NEXT) | instid1(VALU_DEP_1)
	v_fmac_f32_e32 v11, v189, v192
	v_add_f32_e32 v9, v9, v11
	v_mul_f32_e32 v11, v190, v195
	s_delay_alu instid0(VALU_DEP_1) | instskip(SKIP_1) | instid1(VALU_DEP_1)
	v_fmac_f32_e32 v11, v191, v194
	s_wait_loadcnt_dscnt 0x703
	v_dual_add_f32 v9, v9, v11 :: v_dual_mul_f32 v11, v196, v201
	s_delay_alu instid0(VALU_DEP_1) | instskip(NEXT) | instid1(VALU_DEP_1)
	v_fmac_f32_e32 v11, v197, v200
	v_add_f32_e32 v9, v9, v11
	v_mul_f32_e32 v11, v198, v203
	s_delay_alu instid0(VALU_DEP_1) | instskip(SKIP_1) | instid1(VALU_DEP_1)
	v_fmac_f32_e32 v11, v199, v202
	s_wait_loadcnt_dscnt 0x602
	v_dual_add_f32 v9, v9, v11 :: v_dual_mul_f32 v11, v204, v209
	s_delay_alu instid0(VALU_DEP_1) | instskip(NEXT) | instid1(VALU_DEP_1)
	v_fmac_f32_e32 v11, v205, v208
	v_add_f32_e32 v9, v9, v11
	v_mul_f32_e32 v11, v206, v211
	s_delay_alu instid0(VALU_DEP_1) | instskip(SKIP_1) | instid1(VALU_DEP_1)
	v_fmac_f32_e32 v11, v207, v210
	s_wait_loadcnt_dscnt 0x501
	v_dual_add_f32 v9, v9, v11 :: v_dual_mul_f32 v11, v212, v217
	s_delay_alu instid0(VALU_DEP_1) | instskip(NEXT) | instid1(VALU_DEP_1)
	v_fmac_f32_e32 v11, v213, v216
	v_add_f32_e32 v9, v9, v11
	v_mul_f32_e32 v11, v214, v219
	s_delay_alu instid0(VALU_DEP_1) | instskip(SKIP_1) | instid1(VALU_DEP_1)
	v_fmac_f32_e32 v11, v215, v218
	s_wait_loadcnt_dscnt 0x400
	v_dual_add_f32 v9, v9, v11 :: v_dual_mul_f32 v11, v220, v225
	s_delay_alu instid0(VALU_DEP_1) | instskip(NEXT) | instid1(VALU_DEP_1)
	v_fmac_f32_e32 v11, v221, v224
	v_add_f32_e32 v9, v9, v11
	v_mul_f32_e32 v11, v222, v227
	s_delay_alu instid0(VALU_DEP_1) | instskip(NEXT) | instid1(VALU_DEP_1)
	v_fmac_f32_e32 v11, v223, v226
	v_add_f32_e32 v253, v9, v11
	v_dual_mul_f32 v9, v101, v105 :: v_dual_mul_f32 v11, v103, v107
	s_delay_alu instid0(VALU_DEP_1) | instskip(NEXT) | instid1(VALU_DEP_1)
	v_dual_fma_f32 v9, v100, v104, -v9 :: v_dual_fma_f32 v11, v102, v106, -v11
	v_add_f32_e32 v9, 0, v9
	s_delay_alu instid0(VALU_DEP_1) | instskip(SKIP_1) | instid1(VALU_DEP_1)
	v_add_f32_e32 v9, v9, v11
	v_mul_f32_e32 v11, v109, v113
	v_fma_f32 v11, v108, v112, -v11
	s_delay_alu instid0(VALU_DEP_1) | instskip(SKIP_1) | instid1(VALU_DEP_1)
	v_add_f32_e32 v9, v9, v11
	v_mul_f32_e32 v11, v111, v115
	v_fma_f32 v11, v110, v114, -v11
	ds_load_2addr_b64 v[100:103], v7 offset0:91 offset1:92
	ds_load_2addr_b64 v[104:107], v7 offset0:93 offset1:94
	ds_load_2addr_b64 v[108:111], v7 offset0:95 offset1:96
	ds_load_2addr_b64 v[112:115], v7 offset0:97 offset1:98
	v_add_f32_e32 v9, v9, v11
	v_mul_f32_e32 v11, v117, v121
	s_delay_alu instid0(VALU_DEP_1) | instskip(NEXT) | instid1(VALU_DEP_1)
	v_fma_f32 v11, v116, v120, -v11
	v_add_f32_e32 v9, v9, v11
	v_mul_f32_e32 v11, v119, v123
	s_delay_alu instid0(VALU_DEP_1) | instskip(SKIP_2) | instid1(VALU_DEP_2)
	v_fma_f32 v11, v118, v122, -v11
	s_wait_loadcnt_dscnt 0x303
	v_pk_mul_f32 v[118:119], v[100:101], v[236:237] op_sel:[1,1] op_sel_hi:[0,1]
	v_add_f32_e32 v9, v9, v11
	v_mul_f32_e32 v11, v125, v129
	s_delay_alu instid0(VALU_DEP_3) | instskip(SKIP_1) | instid1(VALU_DEP_3)
	v_pk_fma_f32 v[120:121], v[100:101], v[236:237], v[118:119] neg_lo:[0,0,1] neg_hi:[0,0,1]
	v_pk_fma_f32 v[100:101], v[100:101], v[236:237], v[118:119] op_sel_hi:[1,0,1]
	v_dual_mov_b32 v118, v239 :: v_dual_fma_f32 v11, v124, v128, -v11
	s_delay_alu instid0(VALU_DEP_2) | instskip(NEXT) | instid1(VALU_DEP_2)
	v_mov_b32_e32 v121, v101
	v_add_f32_e32 v9, v9, v11
	v_mul_f32_e32 v11, v127, v131
	s_delay_alu instid0(VALU_DEP_1) | instskip(NEXT) | instid1(VALU_DEP_1)
	v_fma_f32 v11, v126, v130, -v11
	v_add_f32_e32 v9, v9, v11
	v_mul_f32_e32 v11, v133, v137
	s_delay_alu instid0(VALU_DEP_1) | instskip(NEXT) | instid1(VALU_DEP_1)
	v_fma_f32 v11, v132, v136, -v11
	;; [unrolled: 4-line block ×25, first 2 shown]
	v_add_f32_e32 v252, v9, v11
	v_mul_f32_e32 v9, v229, v233
	s_delay_alu instid0(VALU_DEP_1) | instskip(SKIP_3) | instid1(VALU_DEP_2)
	v_dual_fma_f32 v254, v228, v232, -v9 :: v_dual_mul_f32 v9, v231, v235
	s_set_vgpr_msb 64                       ;  msbs: dst=1 src0=0 src1=0 src2=0
	v_mul_f32_e32 v1 /*v257*/, v230, v235
	s_set_vgpr_msb 0                        ;  msbs: dst=0 src0=0 src1=0 src2=0
	v_pk_add_f32 v[116:117], v[252:253], v[254:255]
	s_set_vgpr_msb 64                       ;  msbs: dst=1 src0=0 src1=0 src2=0
	v_fma_f32 v0 /*v256*/, v230, v234, -v9
	v_fmac_f32_e32 v1 /*v257*/, v231, v234
	s_set_vgpr_msb 4                        ;  msbs: dst=0 src0=0 src1=1 src2=0
	s_delay_alu instid0(VALU_DEP_1) | instskip(SKIP_1) | instid1(VALU_DEP_1)
	v_pk_add_f32 v[116:117], v[116:117], v[0:1] /*v[256:257]*/
	s_set_vgpr_msb 0                        ;  msbs: dst=0 src0=0 src1=0 src2=0
	v_pk_add_f32 v[100:101], v[116:117], v[120:121]
	v_dual_mov_b32 v116, v103 :: v_dual_mov_b32 v117, v102
	s_delay_alu instid0(VALU_DEP_1) | instskip(NEXT) | instid1(VALU_DEP_1)
	v_pk_mul_f32 v[116:117], v[116:117], v[118:119] op_sel_hi:[1,0]
	v_pk_fma_f32 v[118:119], v[102:103], v[238:239], v[116:117] neg_lo:[0,0,1] neg_hi:[0,0,1]
	v_pk_fma_f32 v[102:103], v[102:103], v[238:239], v[116:117] op_sel_hi:[1,0,1]
	s_delay_alu instid0(VALU_DEP_1) | instskip(SKIP_2) | instid1(VALU_DEP_2)
	v_mov_b32_e32 v119, v103
	s_wait_loadcnt_dscnt 0x202
	v_pk_mul_f32 v[102:103], v[104:105], v[240:241] op_sel:[1,1] op_sel_hi:[0,1]
	v_pk_add_f32 v[100:101], v[100:101], v[118:119]
	s_delay_alu instid0(VALU_DEP_2) | instskip(SKIP_2) | instid1(VALU_DEP_2)
	v_pk_fma_f32 v[116:117], v[104:105], v[240:241], v[102:103] neg_lo:[0,0,1] neg_hi:[0,0,1]
	v_pk_fma_f32 v[102:103], v[104:105], v[240:241], v[102:103] op_sel_hi:[1,0,1]
	v_dual_mov_b32 v102, v107 :: v_dual_mov_b32 v104, v243
	v_dual_mov_b32 v117, v103 :: v_dual_mov_b32 v103, v106
	s_delay_alu instid0(VALU_DEP_1) | instskip(NEXT) | instid1(VALU_DEP_2)
	v_pk_add_f32 v[100:101], v[100:101], v[116:117]
	v_pk_mul_f32 v[102:103], v[102:103], v[104:105] op_sel_hi:[1,0]
	s_delay_alu instid0(VALU_DEP_1) | instskip(SKIP_1) | instid1(VALU_DEP_1)
	v_pk_fma_f32 v[104:105], v[106:107], v[242:243], v[102:103] neg_lo:[0,0,1] neg_hi:[0,0,1]
	v_pk_fma_f32 v[102:103], v[106:107], v[242:243], v[102:103] op_sel_hi:[1,0,1]
	v_mov_b32_e32 v105, v103
	s_wait_loadcnt_dscnt 0x101
	v_pk_mul_f32 v[102:103], v[108:109], v[244:245] op_sel:[1,1] op_sel_hi:[0,1]
	s_delay_alu instid0(VALU_DEP_2) | instskip(NEXT) | instid1(VALU_DEP_2)
	v_pk_add_f32 v[100:101], v[100:101], v[104:105]
	v_pk_fma_f32 v[104:105], v[108:109], v[244:245], v[102:103] neg_lo:[0,0,1] neg_hi:[0,0,1]
	v_pk_fma_f32 v[102:103], v[108:109], v[244:245], v[102:103] op_sel_hi:[1,0,1]
	s_delay_alu instid0(VALU_DEP_1) | instskip(SKIP_1) | instid1(VALU_DEP_2)
	v_dual_mov_b32 v102, v111 :: v_dual_mov_b32 v105, v103
	v_mov_b32_e32 v103, v110
	v_pk_add_f32 v[100:101], v[100:101], v[104:105]
	v_mov_b32_e32 v104, v247
	s_delay_alu instid0(VALU_DEP_1) | instskip(NEXT) | instid1(VALU_DEP_1)
	v_pk_mul_f32 v[102:103], v[102:103], v[104:105] op_sel_hi:[1,0]
	v_pk_fma_f32 v[104:105], v[110:111], v[246:247], v[102:103] neg_lo:[0,0,1] neg_hi:[0,0,1]
	v_pk_fma_f32 v[102:103], v[110:111], v[246:247], v[102:103] op_sel_hi:[1,0,1]
	s_delay_alu instid0(VALU_DEP_1) | instskip(SKIP_2) | instid1(VALU_DEP_2)
	v_mov_b32_e32 v105, v103
	s_wait_loadcnt_dscnt 0x0
	v_pk_mul_f32 v[102:103], v[112:113], v[248:249] op_sel:[1,1] op_sel_hi:[0,1]
	v_pk_add_f32 v[100:101], v[100:101], v[104:105]
	s_delay_alu instid0(VALU_DEP_2) | instskip(SKIP_1) | instid1(VALU_DEP_1)
	v_pk_fma_f32 v[104:105], v[112:113], v[248:249], v[102:103] neg_lo:[0,0,1] neg_hi:[0,0,1]
	v_pk_fma_f32 v[102:103], v[112:113], v[248:249], v[102:103] op_sel_hi:[1,0,1]
	v_dual_mov_b32 v102, v115 :: v_dual_mov_b32 v105, v103
	v_mov_b32_e32 v103, v114
	s_delay_alu instid0(VALU_DEP_2) | instskip(SKIP_1) | instid1(VALU_DEP_1)
	v_pk_add_f32 v[100:101], v[100:101], v[104:105]
	v_mov_b32_e32 v104, v251
	v_pk_mul_f32 v[102:103], v[102:103], v[104:105] op_sel_hi:[1,0]
	s_delay_alu instid0(VALU_DEP_1) | instskip(SKIP_1) | instid1(VALU_DEP_1)
	v_pk_fma_f32 v[104:105], v[114:115], v[250:251], v[102:103] neg_lo:[0,0,1] neg_hi:[0,0,1]
	v_pk_fma_f32 v[102:103], v[114:115], v[250:251], v[102:103] op_sel_hi:[1,0,1]
	v_mov_b32_e32 v105, v103
	scratch_load_b64 v[102:103], off, off offset:48
	v_pk_add_f32 v[100:101], v[100:101], v[104:105]
	s_wait_loadcnt 0x0
	s_delay_alu instid0(VALU_DEP_1)
	v_pk_add_f32 v[100:101], v[102:103], v[100:101] neg_lo:[0,1] neg_hi:[0,1]
	scratch_store_b64 off, v[100:101], off offset:48
	s_wait_xcnt 0x0
	v_cmpx_lt_u32_e32 5, v0
	s_cbranch_execz .LBB112_297
; %bb.296:
	scratch_load_b64 v[100:101], off, off offset:40
	v_mov_b64_e32 v[102:103], 0
	scratch_store_b64 off, v[102:103], off offset:40
	s_wait_loadcnt 0x0
	ds_store_b64 v1, v[100:101]
.LBB112_297:
	s_wait_xcnt 0x0
	s_or_b32 exec_lo, exec_lo, s0
	v_mov_b32_e32 v7, 0
	s_wait_storecnt_dscnt 0x0
	s_barrier_signal -1
	s_barrier_wait -1
	ds_load_b128 v[100:103], v7 offset:448
	ds_load_b128 v[104:107], v7 offset:464
	;; [unrolled: 1-line block ×4, first 2 shown]
	s_clause 0x11
	scratch_load_b128 v[116:119], off, off offset:48
	scratch_load_b128 v[120:123], off, off offset:64
	;; [unrolled: 1-line block ×18, first 2 shown]
	s_mov_b32 s0, exec_lo
	s_wait_loadcnt_dscnt 0x1103
	v_mul_f32_e32 v9, v100, v117
	ds_load_b128 v[228:231], v7 offset:704
	ds_load_b128 v[236:239], v7 offset:720
	;; [unrolled: 1-line block ×4, first 2 shown]
	v_dual_fmac_f32 v9, v101, v116 :: v_dual_mul_f32 v11, v102, v119
	ds_load_b128 v[148:151], v7 offset:544
	ds_load_b128 v[156:159], v7 offset:560
	;; [unrolled: 1-line block ×4, first 2 shown]
	v_dual_add_f32 v9, 0, v9 :: v_dual_fmac_f32 v11, v103, v118
	ds_load_b128 v[180:183], v7 offset:608
	ds_load_b128 v[188:191], v7 offset:624
	;; [unrolled: 1-line block ×4, first 2 shown]
	s_wait_loadcnt_dscnt 0x100e
	v_dual_add_f32 v9, v9, v11 :: v_dual_mul_f32 v11, v104, v121
	ds_load_b128 v[212:215], v7 offset:672
	ds_load_b128 v[220:223], v7 offset:688
	s_clause 0x4
	scratch_load_b128 v[244:247], off, off offset:336
	scratch_load_b128 v[248:251], off, off offset:352
	;; [unrolled: 1-line block ×3, first 2 shown]
	s_set_vgpr_msb 64                       ;  msbs: dst=1 src0=0 src1=0 src2=0
	scratch_load_b64 v[6:7] /*v[262:263]*/, off, off offset:384
	s_wait_loadcnt_dscnt 0x40c
	v_dual_mul_f32 v3 /*v259*/, v230, v235 :: v_dual_mul_f32 v5 /*v261*/, v236, v241
	s_set_vgpr_msb 0                        ;  msbs: dst=0 src0=0 src1=0 src2=0
	v_fmac_f32_e32 v11, v105, v120
	s_set_vgpr_msb 64                       ;  msbs: dst=1 src0=0 src1=0 src2=0
	s_delay_alu instid0(VALU_DEP_2) | instskip(SKIP_1) | instid1(VALU_DEP_2)
	v_dual_fmac_f32 v3 /*v259*/, v231, v234 :: v_dual_fmac_f32 v5 /*v261*/, v237, v240
	s_set_vgpr_msb 0                        ;  msbs: dst=0 src0=0 src1=0 src2=0
	v_add_f32_e32 v9, v9, v11
	v_mul_f32_e32 v11, v106, v123
	s_delay_alu instid0(VALU_DEP_1) | instskip(NEXT) | instid1(VALU_DEP_1)
	v_fmac_f32_e32 v11, v107, v122
	v_dual_add_f32 v9, v9, v11 :: v_dual_mul_f32 v11, v108, v125
	s_delay_alu instid0(VALU_DEP_1) | instskip(NEXT) | instid1(VALU_DEP_1)
	v_fmac_f32_e32 v11, v109, v124
	v_add_f32_e32 v9, v9, v11
	v_mul_f32_e32 v11, v110, v127
	s_delay_alu instid0(VALU_DEP_1) | instskip(NEXT) | instid1(VALU_DEP_1)
	v_fmac_f32_e32 v11, v111, v126
	v_dual_add_f32 v9, v9, v11 :: v_dual_mul_f32 v11, v112, v129
	s_delay_alu instid0(VALU_DEP_1) | instskip(NEXT) | instid1(VALU_DEP_1)
	v_fmac_f32_e32 v11, v113, v128
	v_add_f32_e32 v9, v9, v11
	v_mul_f32_e32 v11, v114, v131
	s_delay_alu instid0(VALU_DEP_1) | instskip(SKIP_1) | instid1(VALU_DEP_1)
	v_fmac_f32_e32 v11, v115, v130
	s_wait_dscnt 0xb
	v_dual_add_f32 v9, v9, v11 :: v_dual_mul_f32 v11, v132, v137
	s_delay_alu instid0(VALU_DEP_1) | instskip(NEXT) | instid1(VALU_DEP_1)
	v_fmac_f32_e32 v11, v133, v136
	v_add_f32_e32 v9, v9, v11
	v_mul_f32_e32 v11, v134, v139
	s_delay_alu instid0(VALU_DEP_1) | instskip(SKIP_1) | instid1(VALU_DEP_1)
	v_fmac_f32_e32 v11, v135, v138
	s_wait_dscnt 0xa
	;; [unrolled: 8-line block ×12, first 2 shown]
	v_dual_add_f32 v9, v9, v11 :: v_dual_mul_f32 v11, v220, v225
	s_delay_alu instid0(VALU_DEP_1) | instskip(NEXT) | instid1(VALU_DEP_1)
	v_fmac_f32_e32 v11, v221, v224
	v_add_f32_e32 v9, v9, v11
	v_mul_f32_e32 v11, v222, v227
	s_delay_alu instid0(VALU_DEP_1) | instskip(NEXT) | instid1(VALU_DEP_1)
	v_fmac_f32_e32 v11, v223, v226
	v_dual_add_f32 v9, v9, v11 :: v_dual_mul_f32 v11, v228, v233
	s_delay_alu instid0(VALU_DEP_1) | instskip(SKIP_1) | instid1(VALU_DEP_1)
	v_fmac_f32_e32 v11, v229, v232
	s_set_vgpr_msb 64                       ;  msbs: dst=1 src0=0 src1=0 src2=0
	v_add_f32_e32 v1 /*v257*/, v9, v11
	s_set_vgpr_msb 0                        ;  msbs: dst=0 src0=0 src1=0 src2=0
	v_dual_mul_f32 v9, v101, v117 :: v_dual_mul_f32 v11, v103, v119
	s_delay_alu instid0(VALU_DEP_1) | instskip(NEXT) | instid1(VALU_DEP_2)
	v_dual_mov_b32 v117, v238 :: v_dual_fma_f32 v9, v100, v116, -v9
	v_dual_fma_f32 v11, v102, v118, -v11 :: v_dual_mov_b32 v116, v239
	s_delay_alu instid0(VALU_DEP_2) | instskip(NEXT) | instid1(VALU_DEP_1)
	v_dual_mov_b32 v118, v243 :: v_dual_add_f32 v9, 0, v9
	v_pk_mul_f32 v[116:117], v[116:117], v[118:119] op_sel_hi:[1,0]
	s_delay_alu instid0(VALU_DEP_2) | instskip(SKIP_1) | instid1(VALU_DEP_3)
	v_add_f32_e32 v9, v9, v11
	v_mul_f32_e32 v11, v105, v121
	v_pk_fma_f32 v[118:119], v[238:239], v[242:243], v[116:117] neg_lo:[0,0,1] neg_hi:[0,0,1]
	v_pk_fma_f32 v[116:117], v[238:239], v[242:243], v[116:117] op_sel_hi:[1,0,1]
	s_delay_alu instid0(VALU_DEP_1) | instskip(NEXT) | instid1(VALU_DEP_1)
	v_dual_fma_f32 v11, v104, v120, -v11 :: v_dual_mov_b32 v119, v117
	v_add_f32_e32 v9, v9, v11
	v_mul_f32_e32 v11, v107, v123
	s_delay_alu instid0(VALU_DEP_1) | instskip(NEXT) | instid1(VALU_DEP_1)
	v_fma_f32 v11, v106, v122, -v11
	v_add_f32_e32 v9, v9, v11
	v_mul_f32_e32 v11, v109, v125
	s_delay_alu instid0(VALU_DEP_1) | instskip(NEXT) | instid1(VALU_DEP_1)
	v_fma_f32 v11, v108, v124, -v11
	;; [unrolled: 4-line block ×3, first 2 shown]
	v_add_f32_e32 v9, v9, v11
	v_mul_f32_e32 v11, v113, v129
	s_delay_alu instid0(VALU_DEP_1)
	v_fma_f32 v11, v112, v128, -v11
	ds_load_b128 v[100:103], v7 offset:736
	ds_load_b128 v[104:107], v7 offset:752
	;; [unrolled: 1-line block ×3, first 2 shown]
	ds_load_b64 v[112:113], v7 offset:784
	v_add_f32_e32 v9, v9, v11
	v_mul_f32_e32 v11, v115, v131
	s_delay_alu instid0(VALU_DEP_1) | instskip(NEXT) | instid1(VALU_DEP_1)
	v_fma_f32 v11, v114, v130, -v11
	v_add_f32_e32 v9, v9, v11
	v_mul_f32_e32 v11, v133, v137
	s_wait_loadcnt_dscnt 0x303
	v_pk_mul_f32 v[116:117], v[100:101], v[244:245] op_sel:[1,1] op_sel_hi:[0,1]
	s_delay_alu instid0(VALU_DEP_2) | instskip(NEXT) | instid1(VALU_DEP_1)
	v_fma_f32 v11, v132, v136, -v11
	v_add_f32_e32 v9, v9, v11
	v_mul_f32_e32 v11, v135, v139
	s_delay_alu instid0(VALU_DEP_1) | instskip(NEXT) | instid1(VALU_DEP_1)
	v_fma_f32 v11, v134, v138, -v11
	v_add_f32_e32 v9, v9, v11
	v_mul_f32_e32 v11, v141, v145
	s_delay_alu instid0(VALU_DEP_1) | instskip(NEXT) | instid1(VALU_DEP_1)
	;; [unrolled: 4-line block ×23, first 2 shown]
	v_fma_f32 v11, v222, v226, -v11
	v_add_f32_e32 v9, v9, v11
	v_mul_f32_e32 v11, v229, v233
	s_delay_alu instid0(VALU_DEP_1) | instskip(SKIP_1) | instid1(VALU_DEP_1)
	v_fma_f32 v11, v228, v232, -v11
	s_set_vgpr_msb 64                       ;  msbs: dst=1 src0=0 src1=0 src2=0
	v_add_f32_e32 v0 /*v256*/, v9, v11
	s_set_vgpr_msb 0                        ;  msbs: dst=0 src0=0 src1=0 src2=0
	v_mul_f32_e32 v9, v231, v235
	s_set_vgpr_msb 64                       ;  msbs: dst=1 src0=0 src1=0 src2=0
	s_delay_alu instid0(VALU_DEP_1) | instskip(SKIP_3) | instid1(VALU_DEP_2)
	v_fma_f32 v2 /*v258*/, v230, v234, -v9
	s_set_vgpr_msb 0                        ;  msbs: dst=0 src0=0 src1=0 src2=0
	v_mul_f32_e32 v9, v237, v241
	s_set_vgpr_msb 5                        ;  msbs: dst=0 src0=1 src1=1 src2=0
	v_pk_add_f32 v[114:115], v[0:1] /*v[256:257]*/, v[2:3] /*v[258:259]*/
	s_set_vgpr_msb 64                       ;  msbs: dst=1 src0=0 src1=0 src2=0
	s_delay_alu instid0(VALU_DEP_2) | instskip(SKIP_1) | instid1(VALU_DEP_1)
	v_fma_f32 v4 /*v260*/, v236, v240, -v9
	s_set_vgpr_msb 4                        ;  msbs: dst=0 src0=0 src1=1 src2=0
	v_pk_add_f32 v[114:115], v[114:115], v[4:5] /*v[260:261]*/
	s_set_vgpr_msb 0                        ;  msbs: dst=0 src0=0 src1=0 src2=0
	s_delay_alu instid0(VALU_DEP_1) | instskip(SKIP_2) | instid1(VALU_DEP_1)
	v_pk_add_f32 v[114:115], v[114:115], v[118:119]
	v_pk_fma_f32 v[118:119], v[100:101], v[244:245], v[116:117] neg_lo:[0,0,1] neg_hi:[0,0,1]
	v_pk_fma_f32 v[100:101], v[100:101], v[244:245], v[116:117] op_sel_hi:[1,0,1]
	v_dual_mov_b32 v116, v247 :: v_dual_mov_b32 v119, v101
	s_delay_alu instid0(VALU_DEP_1) | instskip(SKIP_1) | instid1(VALU_DEP_1)
	v_pk_add_f32 v[100:101], v[114:115], v[118:119]
	v_dual_mov_b32 v114, v103 :: v_dual_mov_b32 v115, v102
	v_pk_mul_f32 v[114:115], v[114:115], v[116:117] op_sel_hi:[1,0]
	s_delay_alu instid0(VALU_DEP_1) | instskip(SKIP_1) | instid1(VALU_DEP_1)
	v_pk_fma_f32 v[116:117], v[102:103], v[246:247], v[114:115] neg_lo:[0,0,1] neg_hi:[0,0,1]
	v_pk_fma_f32 v[102:103], v[102:103], v[246:247], v[114:115] op_sel_hi:[1,0,1]
	v_mov_b32_e32 v117, v103
	s_wait_loadcnt_dscnt 0x202
	v_pk_mul_f32 v[102:103], v[104:105], v[248:249] op_sel:[1,1] op_sel_hi:[0,1]
	s_delay_alu instid0(VALU_DEP_2) | instskip(NEXT) | instid1(VALU_DEP_2)
	v_pk_add_f32 v[100:101], v[100:101], v[116:117]
	v_pk_fma_f32 v[114:115], v[104:105], v[248:249], v[102:103] neg_lo:[0,0,1] neg_hi:[0,0,1]
	v_pk_fma_f32 v[102:103], v[104:105], v[248:249], v[102:103] op_sel_hi:[1,0,1]
	v_dual_mov_b32 v102, v107 :: v_dual_mov_b32 v104, v251
	s_delay_alu instid0(VALU_DEP_2) | instskip(NEXT) | instid1(VALU_DEP_1)
	v_dual_mov_b32 v115, v103 :: v_dual_mov_b32 v103, v106
	v_pk_add_f32 v[100:101], v[100:101], v[114:115]
	s_delay_alu instid0(VALU_DEP_2) | instskip(NEXT) | instid1(VALU_DEP_1)
	v_pk_mul_f32 v[102:103], v[102:103], v[104:105] op_sel_hi:[1,0]
	v_pk_fma_f32 v[104:105], v[106:107], v[250:251], v[102:103] neg_lo:[0,0,1] neg_hi:[0,0,1]
	v_pk_fma_f32 v[102:103], v[106:107], v[250:251], v[102:103] op_sel_hi:[1,0,1]
	s_delay_alu instid0(VALU_DEP_1) | instskip(SKIP_2) | instid1(VALU_DEP_2)
	v_mov_b32_e32 v105, v103
	s_wait_loadcnt_dscnt 0x101
	v_pk_mul_f32 v[102:103], v[108:109], v[252:253] op_sel:[1,1] op_sel_hi:[0,1]
	v_pk_add_f32 v[100:101], v[100:101], v[104:105]
	s_delay_alu instid0(VALU_DEP_2) | instskip(SKIP_1) | instid1(VALU_DEP_1)
	v_pk_fma_f32 v[104:105], v[108:109], v[252:253], v[102:103] neg_lo:[0,0,1] neg_hi:[0,0,1]
	v_pk_fma_f32 v[102:103], v[108:109], v[252:253], v[102:103] op_sel_hi:[1,0,1]
	v_dual_mov_b32 v102, v111 :: v_dual_mov_b32 v105, v103
	v_mov_b32_e32 v103, v110
	s_delay_alu instid0(VALU_DEP_2) | instskip(SKIP_1) | instid1(VALU_DEP_1)
	v_pk_add_f32 v[100:101], v[100:101], v[104:105]
	v_mov_b32_e32 v104, v255
	v_pk_mul_f32 v[102:103], v[102:103], v[104:105] op_sel_hi:[1,0]
	s_delay_alu instid0(VALU_DEP_1) | instskip(SKIP_1) | instid1(VALU_DEP_1)
	v_pk_fma_f32 v[104:105], v[110:111], v[254:255], v[102:103] neg_lo:[0,0,1] neg_hi:[0,0,1]
	v_pk_fma_f32 v[102:103], v[110:111], v[254:255], v[102:103] op_sel_hi:[1,0,1]
	v_mov_b32_e32 v105, v103
	s_wait_loadcnt_dscnt 0x0
	s_set_vgpr_msb 4                        ;  msbs: dst=0 src0=0 src1=1 src2=0
	v_pk_mul_f32 v[102:103], v[112:113], v[6:7] /*v[262:263]*/ op_sel:[1,1] op_sel_hi:[0,1]
	s_set_vgpr_msb 0                        ;  msbs: dst=0 src0=0 src1=0 src2=0
	v_pk_add_f32 v[100:101], v[100:101], v[104:105]
	s_set_vgpr_msb 4                        ;  msbs: dst=0 src0=0 src1=1 src2=0
	s_delay_alu instid0(VALU_DEP_2) | instskip(SKIP_1) | instid1(VALU_DEP_1)
	v_pk_fma_f32 v[104:105], v[112:113], v[6:7] /*v[262:263]*/, v[102:103] neg_lo:[0,0,1] neg_hi:[0,0,1]
	v_pk_fma_f32 v[102:103], v[112:113], v[6:7] /*v[262:263]*/, v[102:103] op_sel_hi:[1,0,1]
	v_mov_b32_e32 v105, v103
	scratch_load_b64 v[102:103], off, off offset:40
	s_set_vgpr_msb 0                        ;  msbs: dst=0 src0=0 src1=0 src2=0
	v_pk_add_f32 v[100:101], v[100:101], v[104:105]
	s_wait_loadcnt 0x0
	s_delay_alu instid0(VALU_DEP_1)
	v_pk_add_f32 v[100:101], v[102:103], v[100:101] neg_lo:[0,1] neg_hi:[0,1]
	scratch_store_b64 off, v[100:101], off offset:40
	s_wait_xcnt 0x0
	v_cmpx_lt_u32_e32 4, v0
	s_cbranch_execz .LBB112_299
; %bb.298:
	scratch_load_b64 v[100:101], off, off offset:32
	v_mov_b64_e32 v[102:103], 0
	scratch_store_b64 off, v[102:103], off offset:32
	s_wait_loadcnt 0x0
	ds_store_b64 v1, v[100:101]
.LBB112_299:
	s_wait_xcnt 0x0
	s_or_b32 exec_lo, exec_lo, s0
	s_wait_storecnt_dscnt 0x0
	s_barrier_signal -1
	s_barrier_wait -1
	s_clause 0xf
	scratch_load_b128 v[104:107], off, off offset:40
	scratch_load_b128 v[112:115], off, off offset:56
	;; [unrolled: 1-line block ×16, first 2 shown]
	ds_load_2addr_b64 v[100:103], v7 offset0:55 offset1:56
	ds_load_2addr_b64 v[108:111], v7 offset0:57 offset1:58
	s_clause 0x1
	scratch_load_b128 v[232:235], off, off offset:296
	scratch_load_b128 v[240:243], off, off offset:312
	ds_load_2addr_b64 v[116:119], v7 offset0:59 offset1:60
	ds_load_2addr_b64 v[124:127], v7 offset0:61 offset1:62
	;; [unrolled: 1-line block ×16, first 2 shown]
	s_clause 0x4
	scratch_load_b128 v[244:247], off, off offset:328
	scratch_load_b128 v[248:251], off, off offset:344
	;; [unrolled: 1-line block ×3, first 2 shown]
	s_set_vgpr_msb 64                       ;  msbs: dst=1 src0=0 src1=0 src2=0
	scratch_load_b128 v[0:3] /*v[256:259]*/, off, off offset:376
	s_mov_b32 s0, exec_lo
	s_wait_loadcnt_dscnt 0x1511
	s_set_vgpr_msb 0                        ;  msbs: dst=0 src0=0 src1=0 src2=0
	v_dual_mul_f32 v9, v100, v105 :: v_dual_mul_f32 v11, v102, v107
	s_delay_alu instid0(VALU_DEP_1) | instskip(NEXT) | instid1(VALU_DEP_1)
	v_dual_fmac_f32 v9, v101, v104 :: v_dual_fmac_f32 v11, v103, v106
	v_add_f32_e32 v9, 0, v9
	s_wait_loadcnt_dscnt 0x1410
	s_delay_alu instid0(VALU_DEP_1)
	v_dual_add_f32 v9, v9, v11 :: v_dual_mul_f32 v11, v108, v113
	s_wait_loadcnt_dscnt 0x40a
	s_set_vgpr_msb 64                       ;  msbs: dst=1 src0=0 src1=0 src2=0
	v_dual_mul_f32 v7 /*v263*/, v236, v241 :: v_dual_mul_f32 v9 /*v265*/, v238, v243
	s_set_vgpr_msb 0                        ;  msbs: dst=0 src0=0 src1=0 src2=0
	v_fmac_f32_e32 v11, v109, v112
	s_set_vgpr_msb 64                       ;  msbs: dst=1 src0=0 src1=0 src2=0
	s_delay_alu instid0(VALU_DEP_2) | instskip(SKIP_1) | instid1(VALU_DEP_2)
	v_fmac_f32_e32 v7 /*v263*/, v237, v240
	s_set_vgpr_msb 0                        ;  msbs: dst=0 src0=0 src1=0 src2=0
	v_add_f32_e32 v9, v9, v11
	v_mul_f32_e32 v11, v110, v115
	s_delay_alu instid0(VALU_DEP_1) | instskip(NEXT) | instid1(VALU_DEP_1)
	v_fmac_f32_e32 v11, v111, v114
	v_dual_add_f32 v9, v9, v11 :: v_dual_mul_f32 v11, v116, v121
	s_delay_alu instid0(VALU_DEP_1) | instskip(NEXT) | instid1(VALU_DEP_1)
	v_fmac_f32_e32 v11, v117, v120
	v_add_f32_e32 v9, v9, v11
	v_mul_f32_e32 v11, v118, v123
	s_delay_alu instid0(VALU_DEP_1) | instskip(NEXT) | instid1(VALU_DEP_1)
	v_fmac_f32_e32 v11, v119, v122
	v_dual_add_f32 v9, v9, v11 :: v_dual_mul_f32 v11, v124, v129
	s_delay_alu instid0(VALU_DEP_1) | instskip(NEXT) | instid1(VALU_DEP_1)
	v_fmac_f32_e32 v11, v125, v128
	;; [unrolled: 7-line block ×4, first 2 shown]
	v_add_f32_e32 v9, v9, v11
	v_mul_f32_e32 v11, v142, v147
	s_delay_alu instid0(VALU_DEP_1) | instskip(SKIP_1) | instid1(VALU_DEP_1)
	v_fmac_f32_e32 v11, v143, v146
	s_wait_dscnt 0x9
	v_dual_add_f32 v9, v9, v11 :: v_dual_mul_f32 v11, v148, v153
	s_delay_alu instid0(VALU_DEP_1) | instskip(NEXT) | instid1(VALU_DEP_1)
	v_fmac_f32_e32 v11, v149, v152
	v_add_f32_e32 v9, v9, v11
	v_mul_f32_e32 v11, v150, v155
	s_delay_alu instid0(VALU_DEP_1) | instskip(SKIP_1) | instid1(VALU_DEP_1)
	v_fmac_f32_e32 v11, v151, v154
	s_wait_dscnt 0x8
	v_dual_add_f32 v9, v9, v11 :: v_dual_mul_f32 v11, v156, v161
	s_delay_alu instid0(VALU_DEP_1) | instskip(NEXT) | instid1(VALU_DEP_1)
	v_fmac_f32_e32 v11, v157, v160
	;; [unrolled: 8-line block ×10, first 2 shown]
	v_add_f32_e32 v9, v9, v11
	v_mul_f32_e32 v11, v222, v227
	s_delay_alu instid0(VALU_DEP_1) | instskip(NEXT) | instid1(VALU_DEP_1)
	v_fmac_f32_e32 v11, v223, v226
	v_dual_add_f32 v9, v9, v11 :: v_dual_mul_f32 v11, v228, v233
	s_delay_alu instid0(VALU_DEP_1) | instskip(NEXT) | instid1(VALU_DEP_1)
	v_fmac_f32_e32 v11, v229, v232
	v_add_f32_e32 v9, v9, v11
	v_mul_f32_e32 v11, v230, v235
	s_delay_alu instid0(VALU_DEP_1) | instskip(SKIP_1) | instid1(VALU_DEP_1)
	v_fmac_f32_e32 v11, v231, v234
	s_set_vgpr_msb 64                       ;  msbs: dst=1 src0=0 src1=0 src2=0
	v_add_f32_e32 v5 /*v261*/, v9, v11
	s_set_vgpr_msb 0                        ;  msbs: dst=0 src0=0 src1=0 src2=0
	v_dual_mul_f32 v9, v101, v105 :: v_dual_mul_f32 v11, v103, v107
	s_delay_alu instid0(VALU_DEP_1) | instskip(NEXT) | instid1(VALU_DEP_1)
	v_dual_fma_f32 v9, v100, v104, -v9 :: v_dual_fma_f32 v11, v102, v106, -v11
	v_add_f32_e32 v9, 0, v9
	s_delay_alu instid0(VALU_DEP_1) | instskip(SKIP_1) | instid1(VALU_DEP_1)
	v_add_f32_e32 v9, v9, v11
	v_mul_f32_e32 v11, v109, v113
	v_fma_f32 v11, v108, v112, -v11
	s_delay_alu instid0(VALU_DEP_1) | instskip(SKIP_1) | instid1(VALU_DEP_1)
	v_add_f32_e32 v9, v9, v11
	v_mul_f32_e32 v11, v111, v115
	v_fma_f32 v11, v110, v114, -v11
	ds_load_2addr_b64 v[100:103], v7 offset0:91 offset1:92
	ds_load_2addr_b64 v[104:107], v7 offset0:93 offset1:94
	;; [unrolled: 1-line block ×4, first 2 shown]
	v_add_f32_e32 v9, v9, v11
	v_mul_f32_e32 v11, v117, v121
	s_delay_alu instid0(VALU_DEP_1) | instskip(NEXT) | instid1(VALU_DEP_1)
	v_fma_f32 v11, v116, v120, -v11
	v_add_f32_e32 v9, v9, v11
	v_mul_f32_e32 v11, v119, v123
	s_delay_alu instid0(VALU_DEP_1) | instskip(SKIP_2) | instid1(VALU_DEP_2)
	v_fma_f32 v11, v118, v122, -v11
	s_wait_loadcnt_dscnt 0x303
	v_pk_mul_f32 v[118:119], v[100:101], v[244:245] op_sel:[1,1] op_sel_hi:[0,1]
	v_add_f32_e32 v9, v9, v11
	v_mul_f32_e32 v11, v125, v129
	s_delay_alu instid0(VALU_DEP_3) | instskip(SKIP_1) | instid1(VALU_DEP_3)
	v_pk_fma_f32 v[120:121], v[100:101], v[244:245], v[118:119] neg_lo:[0,0,1] neg_hi:[0,0,1]
	v_pk_fma_f32 v[100:101], v[100:101], v[244:245], v[118:119] op_sel_hi:[1,0,1]
	v_dual_mov_b32 v118, v247 :: v_dual_fma_f32 v11, v124, v128, -v11
	s_delay_alu instid0(VALU_DEP_2) | instskip(NEXT) | instid1(VALU_DEP_2)
	v_mov_b32_e32 v121, v101
	v_add_f32_e32 v9, v9, v11
	v_mul_f32_e32 v11, v127, v131
	s_delay_alu instid0(VALU_DEP_1) | instskip(NEXT) | instid1(VALU_DEP_1)
	v_fma_f32 v11, v126, v130, -v11
	v_add_f32_e32 v9, v9, v11
	v_mul_f32_e32 v11, v133, v137
	s_delay_alu instid0(VALU_DEP_1) | instskip(NEXT) | instid1(VALU_DEP_1)
	v_fma_f32 v11, v132, v136, -v11
	;; [unrolled: 4-line block ×26, first 2 shown]
	v_add_f32_e32 v9, v9, v11
	v_mul_f32_e32 v11, v231, v235
	s_delay_alu instid0(VALU_DEP_1) | instskip(SKIP_1) | instid1(VALU_DEP_1)
	v_fma_f32 v11, v230, v234, -v11
	s_set_vgpr_msb 64                       ;  msbs: dst=1 src0=0 src1=0 src2=0
	v_dual_fmac_f32 v9 /*v265*/, v239, v242 :: v_dual_add_f32 v4 /*v260*/, v9, v11
	s_set_vgpr_msb 0                        ;  msbs: dst=0 src0=0 src1=0 src2=0
	v_mul_f32_e32 v9, v237, v241
	s_set_vgpr_msb 64                       ;  msbs: dst=1 src0=0 src1=0 src2=0
	s_delay_alu instid0(VALU_DEP_1) | instskip(SKIP_3) | instid1(VALU_DEP_1)
	v_fma_f32 v6 /*v262*/, v236, v240, -v9
	s_set_vgpr_msb 0                        ;  msbs: dst=0 src0=0 src1=0 src2=0
	v_mul_f32_e32 v9, v239, v243
	s_set_vgpr_msb 64                       ;  msbs: dst=1 src0=0 src1=0 src2=0
	v_fma_f32 v8 /*v264*/, v238, v242, -v9
	s_set_vgpr_msb 5                        ;  msbs: dst=0 src0=1 src1=1 src2=0
	v_pk_add_f32 v[116:117], v[4:5] /*v[260:261]*/, v[6:7] /*v[262:263]*/
	s_set_vgpr_msb 4                        ;  msbs: dst=0 src0=0 src1=1 src2=0
	s_delay_alu instid0(VALU_DEP_1) | instskip(SKIP_1) | instid1(VALU_DEP_1)
	v_pk_add_f32 v[116:117], v[116:117], v[8:9] /*v[264:265]*/
	s_set_vgpr_msb 0                        ;  msbs: dst=0 src0=0 src1=0 src2=0
	v_pk_add_f32 v[100:101], v[116:117], v[120:121]
	v_dual_mov_b32 v116, v103 :: v_dual_mov_b32 v117, v102
	s_delay_alu instid0(VALU_DEP_1) | instskip(NEXT) | instid1(VALU_DEP_1)
	v_pk_mul_f32 v[116:117], v[116:117], v[118:119] op_sel_hi:[1,0]
	v_pk_fma_f32 v[118:119], v[102:103], v[246:247], v[116:117] neg_lo:[0,0,1] neg_hi:[0,0,1]
	v_pk_fma_f32 v[102:103], v[102:103], v[246:247], v[116:117] op_sel_hi:[1,0,1]
	s_delay_alu instid0(VALU_DEP_1) | instskip(SKIP_2) | instid1(VALU_DEP_2)
	v_mov_b32_e32 v119, v103
	s_wait_loadcnt_dscnt 0x202
	v_pk_mul_f32 v[102:103], v[104:105], v[248:249] op_sel:[1,1] op_sel_hi:[0,1]
	v_pk_add_f32 v[100:101], v[100:101], v[118:119]
	s_delay_alu instid0(VALU_DEP_2) | instskip(SKIP_2) | instid1(VALU_DEP_2)
	v_pk_fma_f32 v[116:117], v[104:105], v[248:249], v[102:103] neg_lo:[0,0,1] neg_hi:[0,0,1]
	v_pk_fma_f32 v[102:103], v[104:105], v[248:249], v[102:103] op_sel_hi:[1,0,1]
	v_dual_mov_b32 v102, v107 :: v_dual_mov_b32 v104, v251
	v_dual_mov_b32 v117, v103 :: v_dual_mov_b32 v103, v106
	s_delay_alu instid0(VALU_DEP_1) | instskip(NEXT) | instid1(VALU_DEP_2)
	v_pk_add_f32 v[100:101], v[100:101], v[116:117]
	v_pk_mul_f32 v[102:103], v[102:103], v[104:105] op_sel_hi:[1,0]
	s_delay_alu instid0(VALU_DEP_1) | instskip(SKIP_1) | instid1(VALU_DEP_1)
	v_pk_fma_f32 v[104:105], v[106:107], v[250:251], v[102:103] neg_lo:[0,0,1] neg_hi:[0,0,1]
	v_pk_fma_f32 v[102:103], v[106:107], v[250:251], v[102:103] op_sel_hi:[1,0,1]
	v_mov_b32_e32 v105, v103
	s_wait_loadcnt_dscnt 0x101
	v_pk_mul_f32 v[102:103], v[108:109], v[252:253] op_sel:[1,1] op_sel_hi:[0,1]
	s_delay_alu instid0(VALU_DEP_2) | instskip(NEXT) | instid1(VALU_DEP_2)
	v_pk_add_f32 v[100:101], v[100:101], v[104:105]
	v_pk_fma_f32 v[104:105], v[108:109], v[252:253], v[102:103] neg_lo:[0,0,1] neg_hi:[0,0,1]
	v_pk_fma_f32 v[102:103], v[108:109], v[252:253], v[102:103] op_sel_hi:[1,0,1]
	s_delay_alu instid0(VALU_DEP_1) | instskip(SKIP_1) | instid1(VALU_DEP_2)
	v_dual_mov_b32 v102, v111 :: v_dual_mov_b32 v105, v103
	v_mov_b32_e32 v103, v110
	v_pk_add_f32 v[100:101], v[100:101], v[104:105]
	v_mov_b32_e32 v104, v255
	s_delay_alu instid0(VALU_DEP_1) | instskip(NEXT) | instid1(VALU_DEP_1)
	v_pk_mul_f32 v[102:103], v[102:103], v[104:105] op_sel_hi:[1,0]
	v_pk_fma_f32 v[104:105], v[110:111], v[254:255], v[102:103] neg_lo:[0,0,1] neg_hi:[0,0,1]
	v_pk_fma_f32 v[102:103], v[110:111], v[254:255], v[102:103] op_sel_hi:[1,0,1]
	s_delay_alu instid0(VALU_DEP_1)
	v_mov_b32_e32 v105, v103
	s_wait_loadcnt_dscnt 0x0
	s_set_vgpr_msb 4                        ;  msbs: dst=0 src0=0 src1=1 src2=0
	v_pk_mul_f32 v[102:103], v[112:113], v[0:1] /*v[256:257]*/ op_sel:[1,1] op_sel_hi:[0,1]
	s_set_vgpr_msb 0                        ;  msbs: dst=0 src0=0 src1=0 src2=0
	v_pk_add_f32 v[100:101], v[100:101], v[104:105]
	s_set_vgpr_msb 4                        ;  msbs: dst=0 src0=0 src1=1 src2=0
	s_delay_alu instid0(VALU_DEP_2) | instskip(SKIP_1) | instid1(VALU_DEP_1)
	v_pk_fma_f32 v[104:105], v[112:113], v[0:1] /*v[256:257]*/, v[102:103] neg_lo:[0,0,1] neg_hi:[0,0,1]
	v_pk_fma_f32 v[102:103], v[112:113], v[0:1] /*v[256:257]*/, v[102:103] op_sel_hi:[1,0,1]
	v_dual_mov_b32 v102, v115 :: v_dual_mov_b32 v105, v103
	v_mov_b32_e32 v103, v114
	s_set_vgpr_msb 0                        ;  msbs: dst=0 src0=0 src1=0 src2=0
	s_delay_alu instid0(VALU_DEP_2) | instskip(SKIP_3) | instid1(VALU_DEP_1)
	v_pk_add_f32 v[100:101], v[100:101], v[104:105]
	s_set_vgpr_msb 1                        ;  msbs: dst=0 src0=1 src1=0 src2=0
	v_mov_b32_e32 v104, v3 /*v259*/
	s_set_vgpr_msb 0                        ;  msbs: dst=0 src0=0 src1=0 src2=0
	v_pk_mul_f32 v[102:103], v[102:103], v[104:105] op_sel_hi:[1,0]
	s_set_vgpr_msb 4                        ;  msbs: dst=0 src0=0 src1=1 src2=0
	s_delay_alu instid0(VALU_DEP_1) | instskip(SKIP_1) | instid1(VALU_DEP_1)
	v_pk_fma_f32 v[104:105], v[114:115], v[2:3] /*v[258:259]*/, v[102:103] neg_lo:[0,0,1] neg_hi:[0,0,1]
	v_pk_fma_f32 v[102:103], v[114:115], v[2:3] /*v[258:259]*/, v[102:103] op_sel_hi:[1,0,1]
	v_mov_b32_e32 v105, v103
	scratch_load_b64 v[102:103], off, off offset:32
	s_set_vgpr_msb 0                        ;  msbs: dst=0 src0=0 src1=0 src2=0
	v_pk_add_f32 v[100:101], v[100:101], v[104:105]
	s_wait_loadcnt 0x0
	s_delay_alu instid0(VALU_DEP_1)
	v_pk_add_f32 v[100:101], v[102:103], v[100:101] neg_lo:[0,1] neg_hi:[0,1]
	scratch_store_b64 off, v[100:101], off offset:32
	s_wait_xcnt 0x0
	v_cmpx_lt_u32_e32 3, v0
	s_cbranch_execz .LBB112_301
; %bb.300:
	scratch_load_b64 v[100:101], off, off offset:24
	v_mov_b64_e32 v[102:103], 0
	scratch_store_b64 off, v[102:103], off offset:24
	s_wait_loadcnt 0x0
	ds_store_b64 v1, v[100:101]
.LBB112_301:
	s_wait_xcnt 0x0
	s_or_b32 exec_lo, exec_lo, s0
	v_mov_b32_e32 v7, 0
	s_wait_storecnt_dscnt 0x0
	s_barrier_signal -1
	s_barrier_wait -1
	ds_load_b128 v[100:103], v7 offset:432
	ds_load_b128 v[104:107], v7 offset:448
	;; [unrolled: 1-line block ×4, first 2 shown]
	s_clause 0x12
	scratch_load_b128 v[116:119], off, off offset:32
	scratch_load_b128 v[120:123], off, off offset:48
	;; [unrolled: 1-line block ×19, first 2 shown]
	s_mov_b32 s0, exec_lo
	s_wait_loadcnt_dscnt 0x1203
	v_mul_f32_e32 v9, v100, v117
	ds_load_b128 v[228:231], v7 offset:688
	ds_load_b128 v[236:239], v7 offset:704
	;; [unrolled: 1-line block ×4, first 2 shown]
	v_dual_fmac_f32 v9, v101, v116 :: v_dual_mul_f32 v11, v102, v119
	ds_load_b128 v[244:247], v7 offset:720
	ds_load_b128 v[148:151], v7 offset:528
	;; [unrolled: 1-line block ×3, first 2 shown]
	v_dual_add_f32 v9, 0, v9 :: v_dual_fmac_f32 v11, v103, v118
	ds_load_b128 v[164:167], v7 offset:560
	ds_load_b128 v[172:175], v7 offset:576
	;; [unrolled: 1-line block ×4, first 2 shown]
	s_wait_loadcnt_dscnt 0x110d
	v_dual_add_f32 v9, v9, v11 :: v_dual_mul_f32 v11, v104, v121
	ds_load_b128 v[196:199], v7 offset:624
	ds_load_b128 v[204:207], v7 offset:640
	;; [unrolled: 1-line block ×4, first 2 shown]
	v_fmac_f32_e32 v11, v105, v120
	s_clause 0x4
	scratch_load_b128 v[252:255], off, off offset:336
	s_set_vgpr_msb 64                       ;  msbs: dst=1 src0=0 src1=0 src2=0
	scratch_load_b128 v[0:3] /*v[256:259]*/, off, off offset:352
	scratch_load_b128 v[4:7] /*v[260:263]*/, off, off offset:368
	scratch_load_b64 v[14:15] /*v[270:271]*/, off, off offset:384
	s_wait_loadcnt_dscnt 0x40a
	v_dual_mul_f32 v11 /*v267*/, v238, v243 :: v_dual_mul_f32 v13 /*v269*/, v244, v249
	s_set_vgpr_msb 0                        ;  msbs: dst=0 src0=0 src1=0 src2=0
	v_add_f32_e32 v9, v9, v11
	v_mul_f32_e32 v11, v106, v123
	s_set_vgpr_msb 64                       ;  msbs: dst=1 src0=0 src1=0 src2=0
	v_dual_fmac_f32 v11 /*v267*/, v239, v242 :: v_dual_fmac_f32 v13 /*v269*/, v245, v248
	s_set_vgpr_msb 0                        ;  msbs: dst=0 src0=0 src1=0 src2=0
	s_delay_alu instid0(VALU_DEP_2) | instskip(NEXT) | instid1(VALU_DEP_1)
	v_fmac_f32_e32 v11, v107, v122
	v_dual_add_f32 v9, v9, v11 :: v_dual_mul_f32 v11, v108, v125
	s_delay_alu instid0(VALU_DEP_1) | instskip(NEXT) | instid1(VALU_DEP_1)
	v_fmac_f32_e32 v11, v109, v124
	v_add_f32_e32 v9, v9, v11
	v_mul_f32_e32 v11, v110, v127
	s_delay_alu instid0(VALU_DEP_1) | instskip(NEXT) | instid1(VALU_DEP_1)
	v_fmac_f32_e32 v11, v111, v126
	v_dual_add_f32 v9, v9, v11 :: v_dual_mul_f32 v11, v112, v129
	s_delay_alu instid0(VALU_DEP_1) | instskip(NEXT) | instid1(VALU_DEP_1)
	v_fmac_f32_e32 v11, v113, v128
	v_add_f32_e32 v9, v9, v11
	v_mul_f32_e32 v11, v114, v131
	s_delay_alu instid0(VALU_DEP_1) | instskip(NEXT) | instid1(VALU_DEP_1)
	;; [unrolled: 7-line block ×3, first 2 shown]
	v_fmac_f32_e32 v11, v135, v138
	v_dual_add_f32 v9, v9, v11 :: v_dual_mul_f32 v11, v140, v145
	s_delay_alu instid0(VALU_DEP_1) | instskip(NEXT) | instid1(VALU_DEP_1)
	v_fmac_f32_e32 v11, v141, v144
	v_add_f32_e32 v9, v9, v11
	v_mul_f32_e32 v11, v142, v147
	s_delay_alu instid0(VALU_DEP_1) | instskip(SKIP_1) | instid1(VALU_DEP_1)
	v_fmac_f32_e32 v11, v143, v146
	s_wait_dscnt 0x9
	v_dual_add_f32 v9, v9, v11 :: v_dual_mul_f32 v11, v148, v153
	s_delay_alu instid0(VALU_DEP_1) | instskip(NEXT) | instid1(VALU_DEP_1)
	v_fmac_f32_e32 v11, v149, v152
	v_add_f32_e32 v9, v9, v11
	v_mul_f32_e32 v11, v150, v155
	s_delay_alu instid0(VALU_DEP_1) | instskip(SKIP_1) | instid1(VALU_DEP_1)
	v_fmac_f32_e32 v11, v151, v154
	s_wait_dscnt 0x8
	;; [unrolled: 8-line block ×10, first 2 shown]
	v_dual_add_f32 v9, v9, v11 :: v_dual_mul_f32 v11, v220, v225
	s_delay_alu instid0(VALU_DEP_1) | instskip(NEXT) | instid1(VALU_DEP_1)
	v_fmac_f32_e32 v11, v221, v224
	v_add_f32_e32 v9, v9, v11
	v_mul_f32_e32 v11, v222, v227
	s_delay_alu instid0(VALU_DEP_1) | instskip(NEXT) | instid1(VALU_DEP_1)
	v_fmac_f32_e32 v11, v223, v226
	v_dual_add_f32 v9, v9, v11 :: v_dual_mul_f32 v11, v228, v233
	s_delay_alu instid0(VALU_DEP_1) | instskip(NEXT) | instid1(VALU_DEP_1)
	v_fmac_f32_e32 v11, v229, v232
	v_add_f32_e32 v9, v9, v11
	v_mul_f32_e32 v11, v230, v235
	s_delay_alu instid0(VALU_DEP_1) | instskip(NEXT) | instid1(VALU_DEP_1)
	v_fmac_f32_e32 v11, v231, v234
	v_dual_add_f32 v9, v9, v11 :: v_dual_mul_f32 v11, v236, v241
	s_delay_alu instid0(VALU_DEP_1) | instskip(SKIP_1) | instid1(VALU_DEP_1)
	v_fmac_f32_e32 v11, v237, v240
	s_set_vgpr_msb 64                       ;  msbs: dst=1 src0=0 src1=0 src2=0
	v_add_f32_e32 v9 /*v265*/, v9, v11
	s_set_vgpr_msb 0                        ;  msbs: dst=0 src0=0 src1=0 src2=0
	v_dual_mul_f32 v9, v101, v117 :: v_dual_mul_f32 v11, v103, v119
	s_delay_alu instid0(VALU_DEP_1) | instskip(NEXT) | instid1(VALU_DEP_2)
	v_dual_mov_b32 v117, v246 :: v_dual_fma_f32 v9, v100, v116, -v9
	v_dual_fma_f32 v11, v102, v118, -v11 :: v_dual_mov_b32 v116, v247
	s_delay_alu instid0(VALU_DEP_2) | instskip(NEXT) | instid1(VALU_DEP_1)
	v_dual_mov_b32 v118, v251 :: v_dual_add_f32 v9, 0, v9
	v_pk_mul_f32 v[116:117], v[116:117], v[118:119] op_sel_hi:[1,0]
	s_delay_alu instid0(VALU_DEP_2) | instskip(SKIP_1) | instid1(VALU_DEP_3)
	v_add_f32_e32 v9, v9, v11
	v_mul_f32_e32 v11, v105, v121
	v_pk_fma_f32 v[118:119], v[246:247], v[250:251], v[116:117] neg_lo:[0,0,1] neg_hi:[0,0,1]
	v_pk_fma_f32 v[116:117], v[246:247], v[250:251], v[116:117] op_sel_hi:[1,0,1]
	s_delay_alu instid0(VALU_DEP_1) | instskip(NEXT) | instid1(VALU_DEP_1)
	v_dual_fma_f32 v11, v104, v120, -v11 :: v_dual_mov_b32 v119, v117
	v_add_f32_e32 v9, v9, v11
	v_mul_f32_e32 v11, v107, v123
	s_delay_alu instid0(VALU_DEP_1) | instskip(NEXT) | instid1(VALU_DEP_1)
	v_fma_f32 v11, v106, v122, -v11
	v_add_f32_e32 v9, v9, v11
	v_mul_f32_e32 v11, v109, v125
	s_delay_alu instid0(VALU_DEP_1) | instskip(NEXT) | instid1(VALU_DEP_1)
	v_fma_f32 v11, v108, v124, -v11
	;; [unrolled: 4-line block ×3, first 2 shown]
	v_add_f32_e32 v9, v9, v11
	v_mul_f32_e32 v11, v113, v129
	s_delay_alu instid0(VALU_DEP_1)
	v_fma_f32 v11, v112, v128, -v11
	ds_load_b128 v[100:103], v7 offset:736
	ds_load_b128 v[104:107], v7 offset:752
	;; [unrolled: 1-line block ×3, first 2 shown]
	ds_load_b64 v[112:113], v7 offset:784
	v_add_f32_e32 v9, v9, v11
	v_mul_f32_e32 v11, v115, v131
	s_delay_alu instid0(VALU_DEP_1) | instskip(NEXT) | instid1(VALU_DEP_1)
	v_fma_f32 v11, v114, v130, -v11
	v_add_f32_e32 v9, v9, v11
	v_mul_f32_e32 v11, v133, v137
	s_wait_loadcnt_dscnt 0x303
	v_pk_mul_f32 v[116:117], v[100:101], v[252:253] op_sel:[1,1] op_sel_hi:[0,1]
	s_delay_alu instid0(VALU_DEP_2) | instskip(NEXT) | instid1(VALU_DEP_1)
	v_fma_f32 v11, v132, v136, -v11
	v_add_f32_e32 v9, v9, v11
	v_mul_f32_e32 v11, v135, v139
	s_delay_alu instid0(VALU_DEP_1) | instskip(NEXT) | instid1(VALU_DEP_1)
	v_fma_f32 v11, v134, v138, -v11
	v_add_f32_e32 v9, v9, v11
	v_mul_f32_e32 v11, v141, v145
	s_delay_alu instid0(VALU_DEP_1) | instskip(NEXT) | instid1(VALU_DEP_1)
	;; [unrolled: 4-line block ×25, first 2 shown]
	v_fma_f32 v11, v230, v234, -v11
	v_add_f32_e32 v9, v9, v11
	v_mul_f32_e32 v11, v237, v241
	s_delay_alu instid0(VALU_DEP_1) | instskip(SKIP_1) | instid1(VALU_DEP_1)
	v_fma_f32 v11, v236, v240, -v11
	s_set_vgpr_msb 64                       ;  msbs: dst=1 src0=0 src1=0 src2=0
	v_add_f32_e32 v8 /*v264*/, v9, v11
	s_set_vgpr_msb 0                        ;  msbs: dst=0 src0=0 src1=0 src2=0
	v_mul_f32_e32 v9, v239, v243
	s_set_vgpr_msb 64                       ;  msbs: dst=1 src0=0 src1=0 src2=0
	s_delay_alu instid0(VALU_DEP_1) | instskip(SKIP_3) | instid1(VALU_DEP_2)
	v_fma_f32 v10 /*v266*/, v238, v242, -v9
	s_set_vgpr_msb 0                        ;  msbs: dst=0 src0=0 src1=0 src2=0
	v_mul_f32_e32 v9, v245, v249
	s_set_vgpr_msb 5                        ;  msbs: dst=0 src0=1 src1=1 src2=0
	v_pk_add_f32 v[114:115], v[8:9] /*v[264:265]*/, v[10:11] /*v[266:267]*/
	s_set_vgpr_msb 64                       ;  msbs: dst=1 src0=0 src1=0 src2=0
	s_delay_alu instid0(VALU_DEP_2) | instskip(SKIP_1) | instid1(VALU_DEP_1)
	v_fma_f32 v12 /*v268*/, v244, v248, -v9
	s_set_vgpr_msb 4                        ;  msbs: dst=0 src0=0 src1=1 src2=0
	v_pk_add_f32 v[114:115], v[114:115], v[12:13] /*v[268:269]*/
	s_set_vgpr_msb 0                        ;  msbs: dst=0 src0=0 src1=0 src2=0
	s_delay_alu instid0(VALU_DEP_1) | instskip(SKIP_2) | instid1(VALU_DEP_1)
	v_pk_add_f32 v[114:115], v[114:115], v[118:119]
	v_pk_fma_f32 v[118:119], v[100:101], v[252:253], v[116:117] neg_lo:[0,0,1] neg_hi:[0,0,1]
	v_pk_fma_f32 v[100:101], v[100:101], v[252:253], v[116:117] op_sel_hi:[1,0,1]
	v_dual_mov_b32 v116, v255 :: v_dual_mov_b32 v119, v101
	s_delay_alu instid0(VALU_DEP_1) | instskip(SKIP_1) | instid1(VALU_DEP_1)
	v_pk_add_f32 v[100:101], v[114:115], v[118:119]
	v_dual_mov_b32 v114, v103 :: v_dual_mov_b32 v115, v102
	v_pk_mul_f32 v[114:115], v[114:115], v[116:117] op_sel_hi:[1,0]
	s_delay_alu instid0(VALU_DEP_1) | instskip(SKIP_1) | instid1(VALU_DEP_1)
	v_pk_fma_f32 v[116:117], v[102:103], v[254:255], v[114:115] neg_lo:[0,0,1] neg_hi:[0,0,1]
	v_pk_fma_f32 v[102:103], v[102:103], v[254:255], v[114:115] op_sel_hi:[1,0,1]
	v_mov_b32_e32 v117, v103
	s_wait_loadcnt_dscnt 0x202
	s_set_vgpr_msb 4                        ;  msbs: dst=0 src0=0 src1=1 src2=0
	v_pk_mul_f32 v[102:103], v[104:105], v[0:1] /*v[256:257]*/ op_sel:[1,1] op_sel_hi:[0,1]
	s_set_vgpr_msb 0                        ;  msbs: dst=0 src0=0 src1=0 src2=0
	v_pk_add_f32 v[100:101], v[100:101], v[116:117]
	s_set_vgpr_msb 4                        ;  msbs: dst=0 src0=0 src1=1 src2=0
	s_delay_alu instid0(VALU_DEP_2)
	v_pk_fma_f32 v[114:115], v[104:105], v[0:1] /*v[256:257]*/, v[102:103] neg_lo:[0,0,1] neg_hi:[0,0,1]
	v_pk_fma_f32 v[102:103], v[104:105], v[0:1] /*v[256:257]*/, v[102:103] op_sel_hi:[1,0,1]
	v_mov_b32_e32 v102, v107
	s_set_vgpr_msb 1                        ;  msbs: dst=0 src0=1 src1=0 src2=0
	v_mov_b32_e32 v104, v3 /*v259*/
	s_set_vgpr_msb 0                        ;  msbs: dst=0 src0=0 src1=0 src2=0
	v_dual_mov_b32 v115, v103 :: v_dual_mov_b32 v103, v106
	s_delay_alu instid0(VALU_DEP_1) | instskip(NEXT) | instid1(VALU_DEP_2)
	v_pk_add_f32 v[100:101], v[100:101], v[114:115]
	v_pk_mul_f32 v[102:103], v[102:103], v[104:105] op_sel_hi:[1,0]
	s_set_vgpr_msb 4                        ;  msbs: dst=0 src0=0 src1=1 src2=0
	s_delay_alu instid0(VALU_DEP_1) | instskip(SKIP_1) | instid1(VALU_DEP_1)
	v_pk_fma_f32 v[104:105], v[106:107], v[2:3] /*v[258:259]*/, v[102:103] neg_lo:[0,0,1] neg_hi:[0,0,1]
	v_pk_fma_f32 v[102:103], v[106:107], v[2:3] /*v[258:259]*/, v[102:103] op_sel_hi:[1,0,1]
	v_mov_b32_e32 v105, v103
	s_wait_loadcnt_dscnt 0x101
	v_pk_mul_f32 v[102:103], v[108:109], v[4:5] /*v[260:261]*/ op_sel:[1,1] op_sel_hi:[0,1]
	s_set_vgpr_msb 0                        ;  msbs: dst=0 src0=0 src1=0 src2=0
	s_delay_alu instid0(VALU_DEP_2) | instskip(SKIP_1) | instid1(VALU_DEP_2)
	v_pk_add_f32 v[100:101], v[100:101], v[104:105]
	s_set_vgpr_msb 4                        ;  msbs: dst=0 src0=0 src1=1 src2=0
	v_pk_fma_f32 v[104:105], v[108:109], v[4:5] /*v[260:261]*/, v[102:103] neg_lo:[0,0,1] neg_hi:[0,0,1]
	v_pk_fma_f32 v[102:103], v[108:109], v[4:5] /*v[260:261]*/, v[102:103] op_sel_hi:[1,0,1]
	s_delay_alu instid0(VALU_DEP_1) | instskip(SKIP_2) | instid1(VALU_DEP_2)
	v_dual_mov_b32 v102, v111 :: v_dual_mov_b32 v105, v103
	v_mov_b32_e32 v103, v110
	s_set_vgpr_msb 0                        ;  msbs: dst=0 src0=0 src1=0 src2=0
	v_pk_add_f32 v[100:101], v[100:101], v[104:105]
	s_set_vgpr_msb 1                        ;  msbs: dst=0 src0=1 src1=0 src2=0
	v_mov_b32_e32 v104, v7 /*v263*/
	s_set_vgpr_msb 0                        ;  msbs: dst=0 src0=0 src1=0 src2=0
	s_delay_alu instid0(VALU_DEP_1) | instskip(SKIP_1) | instid1(VALU_DEP_1)
	v_pk_mul_f32 v[102:103], v[102:103], v[104:105] op_sel_hi:[1,0]
	s_set_vgpr_msb 4                        ;  msbs: dst=0 src0=0 src1=1 src2=0
	v_pk_fma_f32 v[104:105], v[110:111], v[6:7] /*v[262:263]*/, v[102:103] neg_lo:[0,0,1] neg_hi:[0,0,1]
	v_pk_fma_f32 v[102:103], v[110:111], v[6:7] /*v[262:263]*/, v[102:103] op_sel_hi:[1,0,1]
	s_delay_alu instid0(VALU_DEP_1) | instskip(SKIP_3) | instid1(VALU_DEP_2)
	v_mov_b32_e32 v105, v103
	s_wait_loadcnt_dscnt 0x0
	v_pk_mul_f32 v[102:103], v[112:113], v[14:15] /*v[270:271]*/ op_sel:[1,1] op_sel_hi:[0,1]
	s_set_vgpr_msb 0                        ;  msbs: dst=0 src0=0 src1=0 src2=0
	v_pk_add_f32 v[100:101], v[100:101], v[104:105]
	s_set_vgpr_msb 4                        ;  msbs: dst=0 src0=0 src1=1 src2=0
	s_delay_alu instid0(VALU_DEP_2) | instskip(SKIP_1) | instid1(VALU_DEP_1)
	v_pk_fma_f32 v[104:105], v[112:113], v[14:15] /*v[270:271]*/, v[102:103] neg_lo:[0,0,1] neg_hi:[0,0,1]
	v_pk_fma_f32 v[102:103], v[112:113], v[14:15] /*v[270:271]*/, v[102:103] op_sel_hi:[1,0,1]
	v_mov_b32_e32 v105, v103
	scratch_load_b64 v[102:103], off, off offset:24
	s_set_vgpr_msb 0                        ;  msbs: dst=0 src0=0 src1=0 src2=0
	v_pk_add_f32 v[100:101], v[100:101], v[104:105]
	s_wait_loadcnt 0x0
	s_delay_alu instid0(VALU_DEP_1)
	v_pk_add_f32 v[100:101], v[102:103], v[100:101] neg_lo:[0,1] neg_hi:[0,1]
	scratch_store_b64 off, v[100:101], off offset:24
	s_wait_xcnt 0x0
	v_cmpx_lt_u32_e32 2, v0
	s_cbranch_execz .LBB112_303
; %bb.302:
	scratch_load_b64 v[100:101], off, off offset:16
	v_mov_b64_e32 v[102:103], 0
	scratch_store_b64 off, v[102:103], off offset:16
	s_wait_loadcnt 0x0
	ds_store_b64 v1, v[100:101]
.LBB112_303:
	s_wait_xcnt 0x0
	s_or_b32 exec_lo, exec_lo, s0
	s_wait_storecnt_dscnt 0x0
	s_barrier_signal -1
	s_barrier_wait -1
	s_clause 0xf
	scratch_load_b128 v[104:107], off, off offset:24
	scratch_load_b128 v[112:115], off, off offset:40
	;; [unrolled: 1-line block ×16, first 2 shown]
	ds_load_2addr_b64 v[100:103], v7 offset0:53 offset1:54
	ds_load_2addr_b64 v[108:111], v7 offset0:55 offset1:56
	s_clause 0x1
	scratch_load_b128 v[232:235], off, off offset:280
	scratch_load_b128 v[240:243], off, off offset:296
	ds_load_2addr_b64 v[116:119], v7 offset0:57 offset1:58
	ds_load_2addr_b64 v[124:127], v7 offset0:59 offset1:60
	ds_load_2addr_b64 v[132:135], v7 offset0:61 offset1:62
	ds_load_2addr_b64 v[140:143], v7 offset0:63 offset1:64
	ds_load_2addr_b64 v[244:247], v7 offset0:89 offset1:90
	scratch_load_b128 v[248:251], off, off offset:312
	ds_load_2addr_b64 v[148:151], v7 offset0:65 offset1:66
	ds_load_2addr_b64 v[156:159], v7 offset0:67 offset1:68
	;; [unrolled: 1-line block ×12, first 2 shown]
	s_clause 0x4
	scratch_load_b128 v[252:255], off, off offset:328
	s_set_vgpr_msb 64                       ;  msbs: dst=1 src0=0 src1=0 src2=0
	scratch_load_b128 v[0:3] /*v[256:259]*/, off, off offset:344
	scratch_load_b128 v[4:7] /*v[260:263]*/, off, off offset:360
	;; [unrolled: 1-line block ×3, first 2 shown]
	s_mov_b32 s0, exec_lo
	s_wait_loadcnt_dscnt 0x1612
	s_set_vgpr_msb 0                        ;  msbs: dst=0 src0=0 src1=0 src2=0
	v_dual_mul_f32 v9, v100, v105 :: v_dual_mul_f32 v11, v102, v107
	s_delay_alu instid0(VALU_DEP_1) | instskip(NEXT) | instid1(VALU_DEP_1)
	v_dual_fmac_f32 v9, v101, v104 :: v_dual_fmac_f32 v11, v103, v106
	v_add_f32_e32 v9, 0, v9
	s_wait_loadcnt_dscnt 0x1511
	s_delay_alu instid0(VALU_DEP_1) | instskip(NEXT) | instid1(VALU_DEP_1)
	v_dual_add_f32 v9, v9, v11 :: v_dual_mul_f32 v11, v108, v113
	v_fmac_f32_e32 v11, v109, v112
	s_wait_loadcnt_dscnt 0x40c
	s_set_vgpr_msb 64                       ;  msbs: dst=1 src0=0 src1=0 src2=0
	v_mul_f32_e32 v15 /*v271*/, v244, v249
	s_set_vgpr_msb 0                        ;  msbs: dst=0 src0=0 src1=0 src2=0
	v_add_f32_e32 v9, v9, v11
	v_mul_f32_e32 v11, v110, v115
	s_set_vgpr_msb 64                       ;  msbs: dst=1 src0=0 src1=0 src2=0
	v_dual_mul_f32 v17 /*v273*/, v246, v251 :: v_dual_fmac_f32 v15 /*v271*/, v245, v248
	s_set_vgpr_msb 0                        ;  msbs: dst=0 src0=0 src1=0 src2=0
	s_delay_alu instid0(VALU_DEP_2) | instskip(NEXT) | instid1(VALU_DEP_1)
	v_fmac_f32_e32 v11, v111, v114
	v_dual_add_f32 v9, v9, v11 :: v_dual_mul_f32 v11, v116, v121
	s_delay_alu instid0(VALU_DEP_1) | instskip(NEXT) | instid1(VALU_DEP_1)
	v_fmac_f32_e32 v11, v117, v120
	v_add_f32_e32 v9, v9, v11
	v_mul_f32_e32 v11, v118, v123
	s_delay_alu instid0(VALU_DEP_1) | instskip(NEXT) | instid1(VALU_DEP_1)
	v_fmac_f32_e32 v11, v119, v122
	v_dual_add_f32 v9, v9, v11 :: v_dual_mul_f32 v11, v124, v129
	s_delay_alu instid0(VALU_DEP_1) | instskip(NEXT) | instid1(VALU_DEP_1)
	v_fmac_f32_e32 v11, v125, v128
	v_add_f32_e32 v9, v9, v11
	v_mul_f32_e32 v11, v126, v131
	s_delay_alu instid0(VALU_DEP_1) | instskip(NEXT) | instid1(VALU_DEP_1)
	;; [unrolled: 7-line block ×3, first 2 shown]
	v_fmac_f32_e32 v11, v135, v138
	v_dual_add_f32 v9, v9, v11 :: v_dual_mul_f32 v11, v140, v145
	s_delay_alu instid0(VALU_DEP_1) | instskip(NEXT) | instid1(VALU_DEP_1)
	v_fmac_f32_e32 v11, v141, v144
	v_add_f32_e32 v9, v9, v11
	v_mul_f32_e32 v11, v142, v147
	s_delay_alu instid0(VALU_DEP_1) | instskip(SKIP_1) | instid1(VALU_DEP_1)
	v_fmac_f32_e32 v11, v143, v146
	s_wait_dscnt 0xb
	v_dual_add_f32 v9, v9, v11 :: v_dual_mul_f32 v11, v148, v153
	s_delay_alu instid0(VALU_DEP_1) | instskip(NEXT) | instid1(VALU_DEP_1)
	v_fmac_f32_e32 v11, v149, v152
	v_add_f32_e32 v9, v9, v11
	v_mul_f32_e32 v11, v150, v155
	s_delay_alu instid0(VALU_DEP_1) | instskip(SKIP_1) | instid1(VALU_DEP_1)
	v_fmac_f32_e32 v11, v151, v154
	s_wait_dscnt 0xa
	;; [unrolled: 8-line block ×12, first 2 shown]
	v_dual_add_f32 v9, v9, v11 :: v_dual_mul_f32 v11, v236, v241
	s_delay_alu instid0(VALU_DEP_1) | instskip(NEXT) | instid1(VALU_DEP_1)
	v_fmac_f32_e32 v11, v237, v240
	v_add_f32_e32 v9, v9, v11
	v_mul_f32_e32 v11, v238, v243
	s_delay_alu instid0(VALU_DEP_1) | instskip(SKIP_1) | instid1(VALU_DEP_1)
	v_fmac_f32_e32 v11, v239, v242
	s_set_vgpr_msb 64                       ;  msbs: dst=1 src0=0 src1=0 src2=0
	v_add_f32_e32 v13 /*v269*/, v9, v11
	s_set_vgpr_msb 0                        ;  msbs: dst=0 src0=0 src1=0 src2=0
	v_dual_mul_f32 v9, v101, v105 :: v_dual_mul_f32 v11, v103, v107
	s_delay_alu instid0(VALU_DEP_1) | instskip(NEXT) | instid1(VALU_DEP_1)
	v_dual_fma_f32 v9, v100, v104, -v9 :: v_dual_fma_f32 v11, v102, v106, -v11
	v_add_f32_e32 v9, 0, v9
	s_delay_alu instid0(VALU_DEP_1) | instskip(SKIP_1) | instid1(VALU_DEP_1)
	v_add_f32_e32 v9, v9, v11
	v_mul_f32_e32 v11, v109, v113
	v_fma_f32 v11, v108, v112, -v11
	s_delay_alu instid0(VALU_DEP_1) | instskip(SKIP_1) | instid1(VALU_DEP_1)
	v_add_f32_e32 v9, v9, v11
	v_mul_f32_e32 v11, v111, v115
	v_fma_f32 v11, v110, v114, -v11
	ds_load_2addr_b64 v[100:103], v7 offset0:91 offset1:92
	ds_load_2addr_b64 v[104:107], v7 offset0:93 offset1:94
	;; [unrolled: 1-line block ×4, first 2 shown]
	v_add_f32_e32 v9, v9, v11
	v_mul_f32_e32 v11, v117, v121
	s_delay_alu instid0(VALU_DEP_1) | instskip(NEXT) | instid1(VALU_DEP_1)
	v_fma_f32 v11, v116, v120, -v11
	v_add_f32_e32 v9, v9, v11
	v_mul_f32_e32 v11, v119, v123
	s_delay_alu instid0(VALU_DEP_1) | instskip(SKIP_2) | instid1(VALU_DEP_2)
	v_fma_f32 v11, v118, v122, -v11
	s_wait_loadcnt_dscnt 0x303
	v_pk_mul_f32 v[118:119], v[100:101], v[252:253] op_sel:[1,1] op_sel_hi:[0,1]
	v_add_f32_e32 v9, v9, v11
	v_mul_f32_e32 v11, v125, v129
	s_delay_alu instid0(VALU_DEP_3) | instskip(SKIP_1) | instid1(VALU_DEP_3)
	v_pk_fma_f32 v[120:121], v[100:101], v[252:253], v[118:119] neg_lo:[0,0,1] neg_hi:[0,0,1]
	v_pk_fma_f32 v[100:101], v[100:101], v[252:253], v[118:119] op_sel_hi:[1,0,1]
	v_dual_mov_b32 v118, v255 :: v_dual_fma_f32 v11, v124, v128, -v11
	s_delay_alu instid0(VALU_DEP_2) | instskip(NEXT) | instid1(VALU_DEP_2)
	v_mov_b32_e32 v121, v101
	v_add_f32_e32 v9, v9, v11
	v_mul_f32_e32 v11, v127, v131
	s_delay_alu instid0(VALU_DEP_1) | instskip(NEXT) | instid1(VALU_DEP_1)
	v_fma_f32 v11, v126, v130, -v11
	v_add_f32_e32 v9, v9, v11
	v_mul_f32_e32 v11, v133, v137
	s_delay_alu instid0(VALU_DEP_1) | instskip(NEXT) | instid1(VALU_DEP_1)
	v_fma_f32 v11, v132, v136, -v11
	;; [unrolled: 4-line block ×28, first 2 shown]
	v_add_f32_e32 v9, v9, v11
	v_mul_f32_e32 v11, v239, v243
	s_delay_alu instid0(VALU_DEP_1) | instskip(SKIP_1) | instid1(VALU_DEP_1)
	v_fma_f32 v11, v238, v242, -v11
	s_set_vgpr_msb 64                       ;  msbs: dst=1 src0=0 src1=0 src2=0
	v_dual_fmac_f32 v17 /*v273*/, v247, v250 :: v_dual_add_f32 v12 /*v268*/, v9, v11
	s_set_vgpr_msb 0                        ;  msbs: dst=0 src0=0 src1=0 src2=0
	v_mul_f32_e32 v9, v245, v249
	s_set_vgpr_msb 64                       ;  msbs: dst=1 src0=0 src1=0 src2=0
	s_delay_alu instid0(VALU_DEP_1) | instskip(SKIP_3) | instid1(VALU_DEP_1)
	v_fma_f32 v14 /*v270*/, v244, v248, -v9
	s_set_vgpr_msb 0                        ;  msbs: dst=0 src0=0 src1=0 src2=0
	v_mul_f32_e32 v9, v247, v251
	s_set_vgpr_msb 64                       ;  msbs: dst=1 src0=0 src1=0 src2=0
	v_fma_f32 v16 /*v272*/, v246, v250, -v9
	s_set_vgpr_msb 5                        ;  msbs: dst=0 src0=1 src1=1 src2=0
	v_pk_add_f32 v[116:117], v[12:13] /*v[268:269]*/, v[14:15] /*v[270:271]*/
	s_set_vgpr_msb 4                        ;  msbs: dst=0 src0=0 src1=1 src2=0
	s_delay_alu instid0(VALU_DEP_1) | instskip(SKIP_1) | instid1(VALU_DEP_1)
	v_pk_add_f32 v[116:117], v[116:117], v[16:17] /*v[272:273]*/
	s_set_vgpr_msb 0                        ;  msbs: dst=0 src0=0 src1=0 src2=0
	v_pk_add_f32 v[100:101], v[116:117], v[120:121]
	v_dual_mov_b32 v116, v103 :: v_dual_mov_b32 v117, v102
	s_delay_alu instid0(VALU_DEP_1) | instskip(NEXT) | instid1(VALU_DEP_1)
	v_pk_mul_f32 v[116:117], v[116:117], v[118:119] op_sel_hi:[1,0]
	v_pk_fma_f32 v[118:119], v[102:103], v[254:255], v[116:117] neg_lo:[0,0,1] neg_hi:[0,0,1]
	v_pk_fma_f32 v[102:103], v[102:103], v[254:255], v[116:117] op_sel_hi:[1,0,1]
	s_delay_alu instid0(VALU_DEP_1)
	v_mov_b32_e32 v119, v103
	s_wait_loadcnt_dscnt 0x202
	s_set_vgpr_msb 4                        ;  msbs: dst=0 src0=0 src1=1 src2=0
	v_pk_mul_f32 v[102:103], v[104:105], v[0:1] /*v[256:257]*/ op_sel:[1,1] op_sel_hi:[0,1]
	s_set_vgpr_msb 0                        ;  msbs: dst=0 src0=0 src1=0 src2=0
	v_pk_add_f32 v[100:101], v[100:101], v[118:119]
	s_set_vgpr_msb 4                        ;  msbs: dst=0 src0=0 src1=1 src2=0
	s_delay_alu instid0(VALU_DEP_2)
	v_pk_fma_f32 v[116:117], v[104:105], v[0:1] /*v[256:257]*/, v[102:103] neg_lo:[0,0,1] neg_hi:[0,0,1]
	v_pk_fma_f32 v[102:103], v[104:105], v[0:1] /*v[256:257]*/, v[102:103] op_sel_hi:[1,0,1]
	v_mov_b32_e32 v102, v107
	s_set_vgpr_msb 1                        ;  msbs: dst=0 src0=1 src1=0 src2=0
	v_mov_b32_e32 v104, v3 /*v259*/
	s_set_vgpr_msb 0                        ;  msbs: dst=0 src0=0 src1=0 src2=0
	v_dual_mov_b32 v117, v103 :: v_dual_mov_b32 v103, v106
	s_delay_alu instid0(VALU_DEP_1) | instskip(NEXT) | instid1(VALU_DEP_2)
	v_pk_add_f32 v[100:101], v[100:101], v[116:117]
	v_pk_mul_f32 v[102:103], v[102:103], v[104:105] op_sel_hi:[1,0]
	s_set_vgpr_msb 4                        ;  msbs: dst=0 src0=0 src1=1 src2=0
	s_delay_alu instid0(VALU_DEP_1) | instskip(SKIP_1) | instid1(VALU_DEP_1)
	v_pk_fma_f32 v[104:105], v[106:107], v[2:3] /*v[258:259]*/, v[102:103] neg_lo:[0,0,1] neg_hi:[0,0,1]
	v_pk_fma_f32 v[102:103], v[106:107], v[2:3] /*v[258:259]*/, v[102:103] op_sel_hi:[1,0,1]
	v_mov_b32_e32 v105, v103
	s_wait_loadcnt_dscnt 0x101
	v_pk_mul_f32 v[102:103], v[108:109], v[4:5] /*v[260:261]*/ op_sel:[1,1] op_sel_hi:[0,1]
	s_set_vgpr_msb 0                        ;  msbs: dst=0 src0=0 src1=0 src2=0
	s_delay_alu instid0(VALU_DEP_2) | instskip(SKIP_1) | instid1(VALU_DEP_2)
	v_pk_add_f32 v[100:101], v[100:101], v[104:105]
	s_set_vgpr_msb 4                        ;  msbs: dst=0 src0=0 src1=1 src2=0
	v_pk_fma_f32 v[104:105], v[108:109], v[4:5] /*v[260:261]*/, v[102:103] neg_lo:[0,0,1] neg_hi:[0,0,1]
	v_pk_fma_f32 v[102:103], v[108:109], v[4:5] /*v[260:261]*/, v[102:103] op_sel_hi:[1,0,1]
	s_delay_alu instid0(VALU_DEP_1) | instskip(SKIP_2) | instid1(VALU_DEP_2)
	v_dual_mov_b32 v102, v111 :: v_dual_mov_b32 v105, v103
	v_mov_b32_e32 v103, v110
	s_set_vgpr_msb 0                        ;  msbs: dst=0 src0=0 src1=0 src2=0
	v_pk_add_f32 v[100:101], v[100:101], v[104:105]
	s_set_vgpr_msb 1                        ;  msbs: dst=0 src0=1 src1=0 src2=0
	v_mov_b32_e32 v104, v7 /*v263*/
	s_set_vgpr_msb 0                        ;  msbs: dst=0 src0=0 src1=0 src2=0
	s_delay_alu instid0(VALU_DEP_1) | instskip(SKIP_1) | instid1(VALU_DEP_1)
	v_pk_mul_f32 v[102:103], v[102:103], v[104:105] op_sel_hi:[1,0]
	s_set_vgpr_msb 4                        ;  msbs: dst=0 src0=0 src1=1 src2=0
	v_pk_fma_f32 v[104:105], v[110:111], v[6:7] /*v[262:263]*/, v[102:103] neg_lo:[0,0,1] neg_hi:[0,0,1]
	v_pk_fma_f32 v[102:103], v[110:111], v[6:7] /*v[262:263]*/, v[102:103] op_sel_hi:[1,0,1]
	s_delay_alu instid0(VALU_DEP_1) | instskip(SKIP_3) | instid1(VALU_DEP_2)
	v_mov_b32_e32 v105, v103
	s_wait_loadcnt_dscnt 0x0
	v_pk_mul_f32 v[102:103], v[112:113], v[8:9] /*v[264:265]*/ op_sel:[1,1] op_sel_hi:[0,1]
	s_set_vgpr_msb 0                        ;  msbs: dst=0 src0=0 src1=0 src2=0
	v_pk_add_f32 v[100:101], v[100:101], v[104:105]
	s_set_vgpr_msb 4                        ;  msbs: dst=0 src0=0 src1=1 src2=0
	s_delay_alu instid0(VALU_DEP_2) | instskip(SKIP_1) | instid1(VALU_DEP_1)
	v_pk_fma_f32 v[104:105], v[112:113], v[8:9] /*v[264:265]*/, v[102:103] neg_lo:[0,0,1] neg_hi:[0,0,1]
	v_pk_fma_f32 v[102:103], v[112:113], v[8:9] /*v[264:265]*/, v[102:103] op_sel_hi:[1,0,1]
	v_dual_mov_b32 v102, v115 :: v_dual_mov_b32 v105, v103
	v_mov_b32_e32 v103, v114
	s_set_vgpr_msb 0                        ;  msbs: dst=0 src0=0 src1=0 src2=0
	s_delay_alu instid0(VALU_DEP_2) | instskip(SKIP_3) | instid1(VALU_DEP_1)
	v_pk_add_f32 v[100:101], v[100:101], v[104:105]
	s_set_vgpr_msb 1                        ;  msbs: dst=0 src0=1 src1=0 src2=0
	v_mov_b32_e32 v104, v11 /*v267*/
	s_set_vgpr_msb 0                        ;  msbs: dst=0 src0=0 src1=0 src2=0
	v_pk_mul_f32 v[102:103], v[102:103], v[104:105] op_sel_hi:[1,0]
	s_set_vgpr_msb 4                        ;  msbs: dst=0 src0=0 src1=1 src2=0
	s_delay_alu instid0(VALU_DEP_1) | instskip(SKIP_1) | instid1(VALU_DEP_1)
	v_pk_fma_f32 v[104:105], v[114:115], v[10:11] /*v[266:267]*/, v[102:103] neg_lo:[0,0,1] neg_hi:[0,0,1]
	v_pk_fma_f32 v[102:103], v[114:115], v[10:11] /*v[266:267]*/, v[102:103] op_sel_hi:[1,0,1]
	v_mov_b32_e32 v105, v103
	scratch_load_b64 v[102:103], off, off offset:16
	s_set_vgpr_msb 0                        ;  msbs: dst=0 src0=0 src1=0 src2=0
	v_pk_add_f32 v[100:101], v[100:101], v[104:105]
	s_wait_loadcnt 0x0
	s_delay_alu instid0(VALU_DEP_1)
	v_pk_add_f32 v[100:101], v[102:103], v[100:101] neg_lo:[0,1] neg_hi:[0,1]
	scratch_store_b64 off, v[100:101], off offset:16
	s_wait_xcnt 0x0
	v_cmpx_lt_u32_e32 1, v0
	s_cbranch_execz .LBB112_305
; %bb.304:
	scratch_load_b64 v[100:101], off, off offset:8
	v_mov_b64_e32 v[102:103], 0
	scratch_store_b64 off, v[102:103], off offset:8
	s_wait_loadcnt 0x0
	ds_store_b64 v1, v[100:101]
.LBB112_305:
	s_wait_xcnt 0x0
	s_or_b32 exec_lo, exec_lo, s0
	s_wait_storecnt_dscnt 0x0
	s_barrier_signal -1
	s_barrier_wait -1
	s_clause 0x19
	scratch_load_b128 v[102:105], off, off offset:16
	scratch_load_b128 v[106:109], off, off offset:32
	;; [unrolled: 1-line block ×23, first 2 shown]
	s_set_vgpr_msb 64                       ;  msbs: dst=1 src0=0 src1=0 src2=0
	scratch_load_b64 v[30:31] /*v[286:287]*/, off, off offset:384
	scratch_load_b64 v[32:33] /*v[288:289]*/, off, off offset:8
	s_set_vgpr_msb 0                        ;  msbs: dst=0 src0=0 src1=0 src2=0
	v_dual_mov_b32 v100, 0 :: v_dual_ashrrev_i32 v55, 31, v54
	ds_load_b128 v[194:197], v100 offset:416
	ds_load_b128 v[198:201], v100 offset:432
	;; [unrolled: 1-line block ×16, first 2 shown]
	s_set_vgpr_msb 64                       ;  msbs: dst=1 src0=0 src1=0 src2=0
	ds_load_b128 v[2:5] /*v[258:261]*/, v100 offset:592
	ds_load_b128 v[6:9] /*v[262:265]*/, v100 offset:608
	;; [unrolled: 1-line block ×7, first 2 shown]
	ds_load_b64 v[34:35] /*v[290:291]*/, v100 offset:784
	s_wait_dscnt 0x14
	v_dual_mov_b32 v36 /*v292*/, v209 :: v_dual_mov_b32 v37 /*v293*/, v208
	s_wait_dscnt 0x11
	v_dual_mov_b32 v38 /*v294*/, v221 :: v_dual_mov_b32 v39 /*v295*/, v220
	;; [unrolled: 2-line block ×4, first 2 shown]
	s_set_vgpr_msb 0                        ;  msbs: dst=0 src0=0 src1=0 src2=0
	v_dual_ashrrev_i32 v7, 31, v6 :: v_dual_ashrrev_i32 v9, 31, v8
	v_dual_ashrrev_i32 v11, 31, v10 :: v_dual_ashrrev_i32 v13, 31, v12
	;; [unrolled: 1-line block ×17, first 2 shown]
	s_mov_b32 s0, exec_lo
	s_wait_loadcnt 0x18
	v_dual_mul_f32 v77, v194, v103 :: v_dual_mul_f32 v79, v196, v105
	v_dual_mul_f32 v81, v195, v103 :: v_dual_mul_f32 v83, v197, v105
	s_wait_loadcnt 0x17
	v_dual_mul_f32 v93, v199, v107 :: v_dual_mul_f32 v95, v201, v109
	s_delay_alu instid0(VALU_DEP_3)
	v_fmac_f32_e32 v77, v195, v102
	s_wait_loadcnt_dscnt 0x100a
	s_set_vgpr_msb 64                       ;  msbs: dst=1 src0=0 src1=0 src2=0
	v_dual_mul_f32 v46 /*v302*/, v244, v133 :: v_dual_mul_f32 v47 /*v303*/, v246, v135
	s_set_vgpr_msb 0                        ;  msbs: dst=0 src0=0 src1=0 src2=0
	v_mul_f32_e32 v133, v245, v133
	v_dual_fmac_f32 v79, v197, v104 :: v_dual_fma_f32 v81, v194, v102, -v81
	v_dual_fma_f32 v83, v196, v104, -v83 :: v_dual_mul_f32 v104, v247, v135
	s_wait_loadcnt_dscnt 0xc06
	s_set_vgpr_msb 1                        ;  msbs: dst=0 src0=1 src1=0 src2=0
	v_dual_mul_f32 v194, v6 /*v262*/, v151 :: v_dual_add_f32 v77, 0, v77
	s_set_vgpr_msb 0                        ;  msbs: dst=0 src0=0 src1=0 src2=0
	v_dual_add_f32 v81, 0, v81 :: v_dual_mul_f32 v85, v198, v107
	v_dual_mul_f32 v87, v200, v109 :: v_dual_fma_f32 v93, v198, v106, -v93
	s_delay_alu instid0(VALU_DEP_3) | instskip(NEXT) | instid1(VALU_DEP_3)
	v_add_f32_e32 v77, v77, v79
	v_add_f32_e32 v81, v81, v83
	v_dual_mul_f32 v97, v211, v111 :: v_dual_mul_f32 v99, v213, v113
	v_dual_mul_f32 v135, v249, v137 :: v_dual_fmac_f32 v85, v199, v106
	s_delay_alu instid0(VALU_DEP_3) | instskip(NEXT) | instid1(VALU_DEP_3)
	v_dual_fma_f32 v95, v200, v108, -v95 :: v_dual_add_f32 v81, v81, v93
	v_dual_fma_f32 v93, v210, v110, -v97 :: v_dual_mul_f32 v89, v210, v111
	v_dual_mul_f32 v91, v212, v113 :: v_dual_mul_f32 v101, v214, v115
	v_dual_mul_f32 v103, v216, v117 :: v_dual_fmac_f32 v87, v201, v108
	s_delay_alu instid0(VALU_DEP_3) | instskip(NEXT) | instid1(VALU_DEP_3)
	v_dual_fmac_f32 v89, v211, v110 :: v_dual_add_f32 v77, v77, v85
	v_dual_add_f32 v81, v81, v95 :: v_dual_fmac_f32 v101, v215, v114
	v_dual_mul_f32 v105, v226, v119 :: v_dual_mul_f32 v107, v228, v121
	v_dual_mul_f32 v109, v215, v115 :: v_dual_mul_f32 v111, v217, v117
	s_delay_alu instid0(VALU_DEP_4) | instskip(NEXT) | instid1(VALU_DEP_3)
	v_dual_add_f32 v77, v77, v87 :: v_dual_fma_f32 v95, v212, v112, -v99
	v_dual_add_f32 v81, v81, v93 :: v_dual_fmac_f32 v105, v227, v118
	v_dual_mul_f32 v113, v227, v119 :: v_dual_mul_f32 v115, v229, v121
	s_delay_alu instid0(VALU_DEP_4) | instskip(NEXT) | instid1(VALU_DEP_4)
	v_dual_fmac_f32 v91, v213, v112 :: v_dual_fma_f32 v93, v214, v114, -v109
	v_add_f32_e32 v77, v77, v89
	s_delay_alu instid0(VALU_DEP_3) | instskip(SKIP_2) | instid1(VALU_DEP_4)
	v_dual_add_f32 v81, v81, v95 :: v_dual_fma_f32 v99, v228, v120, -v115
	v_dual_mul_f32 v117, v230, v123 :: v_dual_mul_f32 v119, v232, v125
	v_dual_mul_f32 v121, v231, v123 :: v_dual_mul_f32 v123, v233, v125
	v_dual_fma_f32 v95, v216, v116, -v111 :: v_dual_add_f32 v77, v77, v91
	s_delay_alu instid0(VALU_DEP_4) | instskip(SKIP_1) | instid1(VALU_DEP_3)
	v_dual_fma_f32 v97, v226, v118, -v113 :: v_dual_add_f32 v81, v81, v93
	v_dual_fmac_f32 v103, v217, v116 :: v_dual_mul_f32 v125, v238, v127
	v_dual_mul_f32 v127, v239, v127 :: v_dual_add_f32 v77, v77, v101
	s_delay_alu instid0(VALU_DEP_3)
	v_dual_fmac_f32 v117, v231, v122 :: v_dual_add_f32 v81, v81, v95
	s_wait_loadcnt 0x6
	v_mul_f32_e32 v95, v202, v175
	s_set_vgpr_msb 64                       ;  msbs: dst=1 src0=0 src1=0 src2=0
	v_dual_mul_f32 v44 /*v300*/, v240, v129 :: v_dual_mul_f32 v45 /*v301*/, v242, v131
	s_set_vgpr_msb 0                        ;  msbs: dst=0 src0=0 src1=0 src2=0
	v_dual_add_f32 v77, v77, v103 :: v_dual_mul_f32 v103, v204, v177
	v_dual_add_f32 v81, v81, v97 :: v_dual_fmac_f32 v125, v239, v126
	v_dual_mul_f32 v129, v241, v129 :: v_dual_mul_f32 v131, v243, v131
	v_fmac_f32_e32 v107, v229, v120
	s_delay_alu instid0(VALU_DEP_4) | instskip(NEXT) | instid1(VALU_DEP_4)
	v_dual_add_f32 v77, v77, v105 :: v_dual_fma_f32 v97, v230, v122, -v121
	v_add_f32_e32 v81, v81, v99
	s_wait_loadcnt 0x5
	v_dual_mul_f32 v105, v206, v179 :: v_dual_fma_f32 v99, v232, v124, -v123
	v_fmac_f32_e32 v119, v233, v124
	s_delay_alu instid0(VALU_DEP_3) | instskip(SKIP_2) | instid1(VALU_DEP_3)
	v_dual_fma_f32 v101, v238, v126, -v127 :: v_dual_add_f32 v81, v81, v97
	v_dual_fma_f32 v109, v244, v132, -v133 :: v_dual_mul_f32 v97, v251, v139
	v_dual_add_f32 v77, v77, v107 :: v_dual_fma_f32 v108, v242, v130, -v131
	v_dual_add_f32 v81, v81, v99 :: v_dual_fma_f32 v110, v248, v136, -v135
	s_delay_alu instid0(VALU_DEP_3) | instskip(NEXT) | instid1(VALU_DEP_3)
	v_dual_mul_f32 v99, v253, v141 :: v_dual_fma_f32 v97, v250, v138, -v97
	v_add_f32_e32 v77, v77, v117
	s_delay_alu instid0(VALU_DEP_3)
	v_dual_add_f32 v81, v81, v101 :: v_dual_mul_f32 v101, v255, v143
	s_set_vgpr_msb 64                       ;  msbs: dst=1 src0=0 src1=0 src2=0
	v_dual_fmac_f32 v44 /*v300*/, v241, v128 :: v_dual_fmac_f32 v45 /*v301*/, v243, v130
	s_set_vgpr_msb 0                        ;  msbs: dst=0 src0=0 src1=0 src2=0
	v_dual_add_f32 v77, v77, v119 :: v_dual_fma_f32 v104, v246, v134, -v104
	v_fma_f32 v99, v252, v140, -v99
	s_set_vgpr_msb 64                       ;  msbs: dst=1 src0=0 src1=0 src2=0
	v_dual_fmac_f32 v46 /*v302*/, v245, v132 :: v_dual_fmac_f32 v47 /*v303*/, v247, v134
	s_set_vgpr_msb 0                        ;  msbs: dst=0 src0=0 src1=0 src2=0
	v_add_f32_e32 v77, v77, v125
	s_set_vgpr_msb 64                       ;  msbs: dst=1 src0=0 src1=0 src2=0
	v_dual_mul_f32 v48 /*v304*/, v248, v137 :: v_dual_mul_f32 v49 /*v305*/, v250, v139
	v_dual_mul_f32 v50 /*v306*/, v252, v141 :: v_dual_mul_f32 v51 /*v307*/, v254, v143
	s_set_vgpr_msb 4                        ;  msbs: dst=0 src0=0 src1=1 src2=0
	v_add_f32_e32 v77, v77, v44 /*v300*/
	s_set_vgpr_msb 64                       ;  msbs: dst=1 src0=0 src1=0 src2=0
	v_dual_fmac_f32 v48 /*v304*/, v249, v136 :: v_dual_fmac_f32 v49 /*v305*/, v251, v138
	v_dual_fmac_f32 v50 /*v306*/, v253, v140 :: v_dual_fmac_f32 v51 /*v307*/, v255, v142
	s_set_vgpr_msb 4                        ;  msbs: dst=0 src0=0 src1=1 src2=0
	v_add_f32_e32 v77, v77, v45 /*v301*/
	s_set_vgpr_msb 0x41                     ;  msbs: dst=1 src0=1 src1=0 src2=0
	v_mul_f32_e32 v52 /*v308*/, v0 /*v256*/, v145
	s_set_vgpr_msb 0                        ;  msbs: dst=0 src0=0 src1=0 src2=0
	v_fma_f32 v107, v240, v128, -v129
	s_set_vgpr_msb 1                        ;  msbs: dst=0 src0=1 src1=0 src2=0
	v_dual_mul_f32 v102, v2 /*v258*/, v147 :: v_dual_mul_f32 v137, v4 /*v260*/, v149
	s_set_vgpr_msb 4                        ;  msbs: dst=0 src0=0 src1=1 src2=0
	v_add_f32_e32 v77, v77, v46 /*v302*/
	s_set_vgpr_msb 0                        ;  msbs: dst=0 src0=0 src1=0 src2=0
	v_dual_fma_f32 v101, v254, v142, -v101 :: v_dual_add_f32 v81, v81, v107
	s_set_vgpr_msb 0x41                     ;  msbs: dst=1 src0=1 src1=0 src2=0
	v_fmac_f32_e32 v52 /*v308*/, v1 /*v257*/, v144
	s_wait_dscnt 0x1
	s_set_vgpr_msb 1                        ;  msbs: dst=0 src0=1 src1=0 src2=0
	v_mul_f32_e32 v93, v28 /*v284*/, v173
	s_set_vgpr_msb 4                        ;  msbs: dst=0 src0=0 src1=1 src2=0
	v_add_f32_e32 v77, v77, v47 /*v303*/
	s_set_vgpr_msb 1                        ;  msbs: dst=0 src0=1 src1=0 src2=0
	v_fmac_f32_e32 v137, v5 /*v261*/, v148
	s_set_vgpr_msb 0                        ;  msbs: dst=0 src0=0 src1=0 src2=0
	v_add_f32_e32 v81, v81, v108
	s_set_vgpr_msb 1                        ;  msbs: dst=0 src0=1 src1=0 src2=0
	v_dual_mul_f32 v108, v3 /*v259*/, v147 :: v_dual_fmac_f32 v102, v3 /*v259*/, v146
	s_set_vgpr_msb 4                        ;  msbs: dst=0 src0=0 src1=1 src2=0
	v_add_f32_e32 v77, v77, v48 /*v304*/
	s_set_vgpr_msb 1                        ;  msbs: dst=0 src0=1 src1=0 src2=0
	v_dual_mul_f32 v195, v8 /*v264*/, v153 :: v_dual_mul_f32 v196, v10 /*v266*/, v155
	s_set_vgpr_msb 0                        ;  msbs: dst=0 src0=0 src1=0 src2=0
	v_add_f32_e32 v81, v81, v109
	s_set_vgpr_msb 1                        ;  msbs: dst=0 src0=1 src1=0 src2=0
	v_fma_f32 v108, v2 /*v258*/, v146, -v108
	s_set_vgpr_msb 4                        ;  msbs: dst=0 src0=0 src1=1 src2=0
	v_add_f32_e32 v77, v77, v49 /*v305*/
	s_set_vgpr_msb 1                        ;  msbs: dst=0 src0=1 src1=0 src2=0
	v_mul_f32_e32 v107, v1 /*v257*/, v145
	v_fmac_f32_e32 v195, v9 /*v265*/, v152
	s_set_vgpr_msb 0                        ;  msbs: dst=0 src0=0 src1=0 src2=0
	v_add_f32_e32 v81, v81, v104
	s_set_vgpr_msb 1                        ;  msbs: dst=0 src0=1 src1=0 src2=0
	v_mul_f32_e32 v104, v7 /*v263*/, v151
	s_set_vgpr_msb 4                        ;  msbs: dst=0 src0=0 src1=1 src2=0
	v_add_f32_e32 v77, v77, v50 /*v306*/
	s_set_vgpr_msb 1                        ;  msbs: dst=0 src0=1 src1=0 src2=0
	v_dual_fmac_f32 v194, v7 /*v263*/, v150 :: v_dual_mul_f32 v197, v12 /*v268*/, v157
	v_mul_f32_e32 v79, v14 /*v270*/, v159
	s_set_vgpr_msb 0                        ;  msbs: dst=0 src0=0 src1=0 src2=0
	v_add_f32_e32 v81, v81, v110
	s_set_vgpr_msb 4                        ;  msbs: dst=0 src0=0 src1=1 src2=0
	v_add_f32_e32 v77, v77, v51 /*v307*/
	s_set_vgpr_msb 1                        ;  msbs: dst=0 src0=1 src1=0 src2=0
	v_dual_fma_f32 v104, v6 /*v262*/, v150, -v104 :: v_dual_mul_f32 v109, v5 /*v261*/, v149
	v_fmac_f32_e32 v197, v13 /*v269*/, v156
	s_set_vgpr_msb 0                        ;  msbs: dst=0 src0=0 src1=0 src2=0
	v_add_f32_e32 v81, v81, v97
	s_set_vgpr_msb 4                        ;  msbs: dst=0 src0=0 src1=1 src2=0
	v_add_f32_e32 v77, v77, v52 /*v308*/
	s_set_vgpr_msb 1                        ;  msbs: dst=0 src0=1 src1=0 src2=0
	v_dual_mul_f32 v97, v11 /*v267*/, v155 :: v_dual_fmac_f32 v196, v11 /*v267*/, v154
	v_dual_mul_f32 v83, v16 /*v272*/, v161 :: v_dual_mul_f32 v106, v18 /*v274*/, v163
	s_set_vgpr_msb 0                        ;  msbs: dst=0 src0=0 src1=0 src2=0
	v_add_f32_e32 v77, v77, v102
	s_set_vgpr_msb 1                        ;  msbs: dst=0 src0=1 src1=0 src2=0
	v_mul_f32_e32 v102, v19 /*v275*/, v163
	s_set_vgpr_msb 0                        ;  msbs: dst=0 src0=0 src1=0 src2=0
	v_dual_add_f32 v81, v81, v99 :: v_dual_fmac_f32 v95, v203, v174
	s_set_vgpr_msb 1                        ;  msbs: dst=0 src0=1 src1=0 src2=0
	v_fma_f32 v97, v10 /*v266*/, v154, -v97
	s_set_vgpr_msb 0                        ;  msbs: dst=0 src0=0 src1=0 src2=0
	v_add_f32_e32 v77, v77, v137
	s_set_vgpr_msb 1                        ;  msbs: dst=0 src0=1 src1=0 src2=0
	v_dual_mul_f32 v110, v9 /*v265*/, v153 :: v_dual_fma_f32 v107, v0 /*v256*/, v144, -v107
	v_mul_f32_e32 v99, v13 /*v269*/, v157
	s_set_vgpr_msb 0                        ;  msbs: dst=0 src0=0 src1=0 src2=0
	v_add_f32_e32 v81, v81, v101
	v_add_f32_e32 v77, v77, v194
	s_set_vgpr_msb 1                        ;  msbs: dst=0 src0=1 src1=0 src2=0
	v_dual_mul_f32 v101, v15 /*v271*/, v159 :: v_dual_fmac_f32 v79, v15 /*v271*/, v158
	v_dual_fmac_f32 v83, v17 /*v273*/, v160 :: v_dual_fmac_f32 v106, v19 /*v275*/, v162
	s_set_vgpr_msb 0                        ;  msbs: dst=0 src0=0 src1=0 src2=0
	v_add_f32_e32 v77, v77, v195
	v_add_f32_e32 v81, v81, v107
	s_set_vgpr_msb 1                        ;  msbs: dst=0 src0=1 src1=0 src2=0
	v_dual_fma_f32 v101, v14 /*v270*/, v158, -v101 :: v_dual_mul_f32 v85, v20 /*v276*/, v165
	v_mul_f32_e32 v87, v22 /*v278*/, v167
	s_set_vgpr_msb 0                        ;  msbs: dst=0 src0=0 src1=0 src2=0
	v_add_f32_e32 v77, v77, v196
	s_set_vgpr_msb 1                        ;  msbs: dst=0 src0=1 src1=0 src2=0
	v_dual_mul_f32 v107, v17 /*v273*/, v161 :: v_dual_fma_f32 v109, v4 /*v260*/, v148, -v109
	s_set_vgpr_msb 0                        ;  msbs: dst=0 src0=0 src1=0 src2=0
	v_add_f32_e32 v81, v81, v108
	s_set_vgpr_msb 1                        ;  msbs: dst=0 src0=1 src1=0 src2=0
	v_dual_fmac_f32 v85, v21 /*v277*/, v164 :: v_dual_fmac_f32 v87, v23 /*v279*/, v166
	s_set_vgpr_msb 0                        ;  msbs: dst=0 src0=0 src1=0 src2=0
	v_add_f32_e32 v77, v77, v197
	v_fmac_f32_e32 v103, v205, v176
	s_set_vgpr_msb 1                        ;  msbs: dst=0 src0=1 src1=0 src2=0
	v_dual_mul_f32 v89, v24 /*v280*/, v169 :: v_dual_mul_f32 v91, v26 /*v282*/, v171
	v_mul_f32_e32 v108, v21 /*v277*/, v165
	s_set_vgpr_msb 0                        ;  msbs: dst=0 src0=0 src1=0 src2=0
	v_add_f32_e32 v77, v77, v79
	s_set_vgpr_msb 1                        ;  msbs: dst=0 src0=1 src1=0 src2=0
	v_fma_f32 v99, v12 /*v268*/, v156, -v99
	v_dual_fmac_f32 v89, v25 /*v281*/, v168 :: v_dual_fmac_f32 v91, v27 /*v283*/, v170
	v_fmac_f32_e32 v93, v29 /*v285*/, v172
	s_set_vgpr_msb 0                        ;  msbs: dst=0 src0=0 src1=0 src2=0
	v_add_f32_e32 v77, v77, v83
	v_mul_f32_e32 v83, v205, v177
	v_add_f32_e32 v81, v81, v109
	s_set_vgpr_msb 1                        ;  msbs: dst=0 src0=1 src1=0 src2=0
	v_fma_f32 v109, v8 /*v264*/, v152, -v110
	s_wait_loadcnt 0x3
	s_set_vgpr_msb 0                        ;  msbs: dst=0 src0=0 src1=0 src2=0
	v_pk_mul_f32 v[110:111], v[222:223], v[186:187] op_sel:[1,1] op_sel_hi:[0,1]
	v_add_f32_e32 v77, v77, v106
	v_mov_b32_e32 v116, v189
	v_add_f32_e32 v81, v81, v104
	s_set_vgpr_msb 1                        ;  msbs: dst=0 src0=1 src1=0 src2=0
	v_dual_mul_f32 v104, v23 /*v279*/, v167 :: v_dual_fma_f32 v107, v16 /*v272*/, v160, -v107
	s_set_vgpr_msb 0                        ;  msbs: dst=0 src0=0 src1=0 src2=0
	v_add_f32_e32 v77, v77, v85
	v_add_f32_e32 v81, v81, v109
	s_set_vgpr_msb 1                        ;  msbs: dst=0 src0=1 src1=0 src2=0
	v_dual_mul_f32 v109, v25 /*v281*/, v169 :: v_dual_fma_f32 v106, v22 /*v278*/, v166, -v104
	s_set_vgpr_msb 0                        ;  msbs: dst=0 src0=0 src1=0 src2=0
	v_add_f32_e32 v77, v77, v87
	v_mov_b32_e32 v104, v181
	s_set_vgpr_msb 1                        ;  msbs: dst=0 src0=1 src1=0 src2=0
	v_fma_f32 v85, v24 /*v280*/, v168, -v109
	s_set_vgpr_msb 0                        ;  msbs: dst=0 src0=0 src1=0 src2=0
	v_dual_add_f32 v77, v77, v89 :: v_dual_ashrrev_i32 v89, 31, v88
	s_delay_alu instid0(VALU_DEP_1) | instskip(NEXT) | instid1(VALU_DEP_1)
	v_dual_add_f32 v77, v77, v91 :: v_dual_ashrrev_i32 v91, 31, v90
	v_dual_add_f32 v77, v77, v93 :: v_dual_ashrrev_i32 v93, 31, v92
	s_delay_alu instid0(VALU_DEP_1) | instskip(SKIP_4) | instid1(VALU_DEP_2)
	v_dual_add_f32 v115, v77, v95 :: v_dual_ashrrev_i32 v77, 31, v76
	v_add_f32_e32 v81, v81, v97
	s_set_vgpr_msb 1                        ;  msbs: dst=0 src0=1 src1=0 src2=0
	v_dual_mul_f32 v97, v27 /*v283*/, v171 :: v_dual_ashrrev_i32 v95, 31, v94
	s_set_vgpr_msb 0                        ;  msbs: dst=0 src0=0 src1=0 src2=0
	v_add_f32_e32 v81, v81, v99
	s_set_vgpr_msb 1                        ;  msbs: dst=0 src0=1 src1=0 src2=0
	s_delay_alu instid0(VALU_DEP_2) | instskip(SKIP_1) | instid1(VALU_DEP_2)
	v_dual_mul_f32 v99, v29 /*v285*/, v173 :: v_dual_fma_f32 v87, v26 /*v282*/, v170, -v97
	s_set_vgpr_msb 0                        ;  msbs: dst=0 src0=0 src1=0 src2=0
	v_dual_ashrrev_i32 v97, 31, v96 :: v_dual_add_f32 v79, v81, v101
	s_set_vgpr_msb 1                        ;  msbs: dst=0 src0=1 src1=0 src2=0
	v_dual_fma_f32 v101, v18 /*v274*/, v162, -v102 :: v_dual_fma_f32 v102, v20 /*v276*/, v164, -v108
	s_set_vgpr_msb 0                        ;  msbs: dst=0 src0=0 src1=0 src2=0
	v_dual_mul_f32 v81, v203, v175 :: v_dual_mov_b32 v108, v185
	v_add_f32_e32 v79, v79, v107
	s_set_vgpr_msb 1                        ;  msbs: dst=0 src0=1 src1=0 src2=0
	v_pk_mul_f32 v[112:113], v[36:37] /*v[292:293]*/, v[104:105] op_sel_hi:[1,0]
	s_set_vgpr_msb 0                        ;  msbs: dst=0 src0=0 src1=0 src2=0
	v_fmac_f32_e32 v105, v207, v178
	v_fma_f32 v81, v202, v174, -v81
	s_set_vgpr_msb 1                        ;  msbs: dst=0 src0=1 src1=0 src2=0
	v_pk_mul_f32 v[108:109], v[38:39] /*v[294:295]*/, v[108:109] op_sel_hi:[1,0]
	s_set_vgpr_msb 0                        ;  msbs: dst=0 src0=0 src1=0 src2=0
	v_add_f32_e32 v79, v79, v101
	v_mul_f32_e32 v101, v207, v179
	v_pk_fma_f32 v[118:119], v[208:209], v[180:181], v[112:113] op_sel_hi:[1,0,1]
	v_pk_fma_f32 v[112:113], v[208:209], v[180:181], v[112:113] neg_lo:[0,0,1] neg_hi:[0,0,1]
	s_delay_alu instid0(VALU_DEP_4) | instskip(NEXT) | instid1(VALU_DEP_3)
	v_dual_add_f32 v79, v79, v102 :: v_dual_fma_f32 v102, v204, v176, -v83
	v_dual_fma_f32 v104, v206, v178, -v101 :: v_dual_mov_b32 v113, v119
	v_ashrrev_i32_e32 v83, 31, v82
	s_delay_alu instid0(VALU_DEP_3) | instskip(SKIP_1) | instid1(VALU_DEP_2)
	v_add_f32_e32 v79, v79, v106
	v_pk_mul_f32 v[106:107], v[218:219], v[182:183] op_sel:[1,1] op_sel_hi:[0,1]
	v_add_f32_e32 v79, v79, v85
	s_set_vgpr_msb 1                        ;  msbs: dst=0 src0=1 src1=0 src2=0
	v_dual_fma_f32 v85, v28 /*v284*/, v172, -v99 :: v_dual_ashrrev_i32 v99, 31, v98
	s_set_vgpr_msb 0                        ;  msbs: dst=0 src0=0 src1=0 src2=0
	s_delay_alu instid0(VALU_DEP_2) | instskip(NEXT) | instid1(VALU_DEP_1)
	v_dual_add_f32 v79, v79, v87 :: v_dual_ashrrev_i32 v87, 31, v86
	v_dual_add_f32 v79, v79, v85 :: v_dual_ashrrev_i32 v85, 31, v84
	s_delay_alu instid0(VALU_DEP_1) | instskip(SKIP_1) | instid1(VALU_DEP_2)
	v_dual_add_f32 v114, v79, v81 :: v_dual_ashrrev_i32 v79, 31, v78
	v_ashrrev_i32_e32 v81, 31, v80
	v_pk_add_f32 v[102:103], v[114:115], v[102:103]
	v_pk_fma_f32 v[114:115], v[218:219], v[182:183], v[106:107] op_sel_hi:[1,0,1]
	v_pk_fma_f32 v[106:107], v[218:219], v[182:183], v[106:107] neg_lo:[0,0,1] neg_hi:[0,0,1]
	s_delay_alu instid0(VALU_DEP_3) | instskip(NEXT) | instid1(VALU_DEP_3)
	v_pk_add_f32 v[102:103], v[102:103], v[104:105]
	v_mov_b32_e32 v107, v115
	v_pk_fma_f32 v[114:115], v[220:221], v[184:185], v[108:109] op_sel_hi:[1,0,1]
	v_pk_fma_f32 v[108:109], v[220:221], v[184:185], v[108:109] neg_lo:[0,0,1] neg_hi:[0,0,1]
	s_wait_loadcnt 0x2
	v_pk_mul_f32 v[104:105], v[234:235], v[190:191] op_sel:[1,1] op_sel_hi:[0,1]
	v_pk_add_f32 v[102:103], v[102:103], v[112:113]
	v_pk_fma_f32 v[112:113], v[222:223], v[186:187], v[110:111] op_sel_hi:[1,0,1]
	v_mov_b32_e32 v109, v115
	v_pk_fma_f32 v[110:111], v[222:223], v[186:187], v[110:111] neg_lo:[0,0,1] neg_hi:[0,0,1]
	s_delay_alu instid0(VALU_DEP_4)
	v_pk_add_f32 v[102:103], v[102:103], v[106:107]
	v_mov_b32_e32 v106, v193
	s_set_vgpr_msb 1                        ;  msbs: dst=0 src0=1 src1=0 src2=0
	v_pk_mul_f32 v[116:117], v[40:41] /*v[296:297]*/, v[116:117] op_sel_hi:[1,0]
	s_set_vgpr_msb 0                        ;  msbs: dst=0 src0=0 src1=0 src2=0
	v_mov_b32_e32 v111, v113
	v_pk_add_f32 v[102:103], v[102:103], v[108:109]
	v_pk_fma_f32 v[108:109], v[234:235], v[190:191], v[104:105] op_sel_hi:[1,0,1]
	v_pk_fma_f32 v[112:113], v[224:225], v[188:189], v[116:117] op_sel_hi:[1,0,1]
	v_pk_fma_f32 v[114:115], v[224:225], v[188:189], v[116:117] neg_lo:[0,0,1] neg_hi:[0,0,1]
	s_set_vgpr_msb 1                        ;  msbs: dst=0 src0=1 src1=0 src2=0
	v_pk_mul_f32 v[106:107], v[42:43] /*v[298:299]*/, v[106:107] op_sel_hi:[1,0]
	s_set_vgpr_msb 0                        ;  msbs: dst=0 src0=0 src1=0 src2=0
	v_pk_fma_f32 v[104:105], v[234:235], v[190:191], v[104:105] neg_lo:[0,0,1] neg_hi:[0,0,1]
	v_dual_mov_b32 v105, v109 :: v_dual_mov_b32 v115, v113
	v_pk_add_f32 v[102:103], v[102:103], v[110:111]
	v_pk_fma_f32 v[108:109], v[236:237], v[192:193], v[106:107] op_sel_hi:[1,0,1]
	s_wait_loadcnt_dscnt 0x100
	s_set_vgpr_msb 5                        ;  msbs: dst=0 src0=1 src1=1 src2=0
	v_pk_mul_f32 v[110:111], v[34:35] /*v[290:291]*/, v[30:31] /*v[286:287]*/ op_sel:[1,1] op_sel_hi:[0,1]
	s_set_vgpr_msb 0                        ;  msbs: dst=0 src0=0 src1=0 src2=0
	v_pk_fma_f32 v[106:107], v[236:237], v[192:193], v[106:107] neg_lo:[0,0,1] neg_hi:[0,0,1]
	v_pk_add_f32 v[102:103], v[102:103], v[114:115]
	v_mov_b32_e32 v107, v109
	s_set_vgpr_msb 5                        ;  msbs: dst=0 src0=1 src1=1 src2=0
	v_pk_fma_f32 v[108:109], v[34:35] /*v[290:291]*/, v[30:31] /*v[286:287]*/, v[110:111] neg_lo:[0,0,1] neg_hi:[0,0,1]
	s_set_vgpr_msb 0                        ;  msbs: dst=0 src0=0 src1=0 src2=0
	v_pk_add_f32 v[102:103], v[102:103], v[104:105]
	s_set_vgpr_msb 5                        ;  msbs: dst=0 src0=1 src1=1 src2=0
	v_pk_fma_f32 v[104:105], v[34:35] /*v[290:291]*/, v[30:31] /*v[286:287]*/, v[110:111] op_sel_hi:[1,0,1]
	s_set_vgpr_msb 0                        ;  msbs: dst=0 src0=0 src1=0 src2=0
	s_delay_alu instid0(VALU_DEP_2) | instskip(NEXT) | instid1(VALU_DEP_2)
	v_pk_add_f32 v[102:103], v[102:103], v[106:107]
	v_mov_b32_e32 v109, v105
	s_delay_alu instid0(VALU_DEP_1) | instskip(SKIP_2) | instid1(VALU_DEP_1)
	v_pk_add_f32 v[102:103], v[102:103], v[108:109]
	s_wait_loadcnt 0x0
	s_set_vgpr_msb 1                        ;  msbs: dst=0 src0=1 src1=0 src2=0
	v_pk_add_f32 v[102:103], v[32:33] /*v[288:289]*/, v[102:103] neg_lo:[0,1] neg_hi:[0,1]
	scratch_store_b64 off, v[102:103], off offset:8
	s_wait_xcnt 0x0
	v_cmpx_ne_u32_e32 0, v0
	s_set_vgpr_msb 0                        ;  msbs: dst=0 src0=0 src1=0 src2=0
	s_cbranch_execz .LBB112_307
; %bb.306:
	scratch_load_b64 v[102:103], off, off
	v_mov_b64_e32 v[104:105], 0
	scratch_store_b64 off, v[104:105], off
	s_wait_loadcnt 0x0
	ds_store_b64 v1, v[102:103]
.LBB112_307:
	s_wait_xcnt 0x0
	s_or_b32 exec_lo, exec_lo, s0
	s_wait_storecnt_dscnt 0x0
	s_barrier_signal -1
	s_barrier_wait -1
	s_clause 0xf
	scratch_load_b128 v[106:109], off, off offset:8
	scratch_load_b128 v[114:117], off, off offset:24
	scratch_load_b128 v[122:125], off, off offset:40
	scratch_load_b128 v[130:133], off, off offset:56
	scratch_load_b128 v[138:141], off, off offset:72
	scratch_load_b128 v[146:149], off, off offset:88
	scratch_load_b128 v[154:157], off, off offset:104
	scratch_load_b128 v[162:165], off, off offset:120
	scratch_load_b128 v[170:173], off, off offset:136
	scratch_load_b128 v[178:181], off, off offset:152
	scratch_load_b128 v[186:189], off, off offset:168
	scratch_load_b128 v[194:197], off, off offset:184
	scratch_load_b128 v[202:205], off, off offset:200
	scratch_load_b128 v[210:213], off, off offset:216
	scratch_load_b128 v[218:221], off, off offset:232
	scratch_load_b128 v[226:229], off, off offset:248
	ds_load_2addr_b64 v[102:105], v100 offset0:51 offset1:52
	ds_load_2addr_b64 v[110:113], v100 offset0:53 offset1:54
	s_clause 0x1
	scratch_load_b128 v[234:237], off, off offset:264
	scratch_load_b128 v[242:245], off, off offset:280
	ds_load_2addr_b64 v[118:121], v100 offset0:55 offset1:56
	ds_load_2addr_b64 v[126:129], v100 offset0:57 offset1:58
	s_clause 0x2
	scratch_load_b128 v[250:253], off, off offset:296
	s_set_vgpr_msb 64                       ;  msbs: dst=1 src0=0 src1=0 src2=0
	scratch_load_b128 v[2:5] /*v[258:261]*/, off, off offset:312
	s_set_vgpr_msb 0                        ;  msbs: dst=0 src0=0 src1=0 src2=0
	ds_load_2addr_b64 v[134:137], v100 offset0:59 offset1:60
	ds_load_2addr_b64 v[142:145], v100 offset0:61 offset1:62
	;; [unrolled: 1-line block ×16, first 2 shown]
	s_set_vgpr_msb 64                       ;  msbs: dst=1 src0=0 src1=0 src2=0
	s_clause 0x3
	scratch_load_b128 v[6:9] /*v[262:265]*/, off, off offset:328
	scratch_load_b128 v[10:13] /*v[266:269]*/, off, off offset:344
	;; [unrolled: 1-line block ×4, first 2 shown]
	s_and_b32 vcc_lo, exec_lo, s12
	s_wait_loadcnt_dscnt 0x1713
	s_set_vgpr_msb 0                        ;  msbs: dst=0 src0=0 src1=0 src2=0
	v_dual_mul_f32 v0, v102, v107 :: v_dual_mul_f32 v1, v104, v109
	s_delay_alu instid0(VALU_DEP_1) | instskip(NEXT) | instid1(VALU_DEP_2)
	v_dual_mul_f32 v101, v105, v109 :: v_dual_fmac_f32 v0, v103, v106
	v_fmac_f32_e32 v1, v105, v108
	s_delay_alu instid0(VALU_DEP_2) | instskip(NEXT) | instid1(VALU_DEP_3)
	v_fma_f32 v101, v104, v108, -v101
	v_add_f32_e32 v0, 0, v0
	s_wait_loadcnt_dscnt 0x1612
	s_delay_alu instid0(VALU_DEP_1) | instskip(NEXT) | instid1(VALU_DEP_1)
	v_dual_add_f32 v0, v0, v1 :: v_dual_mul_f32 v1, v110, v115
	v_fmac_f32_e32 v1, v111, v114
	s_delay_alu instid0(VALU_DEP_1) | instskip(SKIP_1) | instid1(VALU_DEP_1)
	v_add_f32_e32 v0, v0, v1
	v_mul_f32_e32 v1, v112, v117
	v_fmac_f32_e32 v1, v113, v116
	s_wait_loadcnt_dscnt 0x1511
	s_delay_alu instid0(VALU_DEP_1) | instskip(NEXT) | instid1(VALU_DEP_1)
	v_dual_add_f32 v0, v0, v1 :: v_dual_mul_f32 v1, v118, v123
	v_fmac_f32_e32 v1, v119, v122
	s_delay_alu instid0(VALU_DEP_1) | instskip(SKIP_1) | instid1(VALU_DEP_1)
	v_add_f32_e32 v0, v0, v1
	v_mul_f32_e32 v1, v120, v125
	v_fmac_f32_e32 v1, v121, v124
	;; [unrolled: 8-line block ×18, first 2 shown]
	s_delay_alu instid0(VALU_DEP_1) | instskip(NEXT) | instid1(VALU_DEP_1)
	v_dual_add_f32 v1, v0, v1 :: v_dual_mul_f32 v0, v103, v107
	v_fma_f32 v0, v102, v106, -v0
	s_delay_alu instid0(VALU_DEP_1) | instskip(NEXT) | instid1(VALU_DEP_1)
	v_add_f32_e32 v0, 0, v0
	v_dual_add_f32 v0, v0, v101 :: v_dual_mul_f32 v101, v111, v115
	s_delay_alu instid0(VALU_DEP_1) | instskip(NEXT) | instid1(VALU_DEP_1)
	v_fma_f32 v101, v110, v114, -v101
	v_add_f32_e32 v0, v0, v101
	v_mul_f32_e32 v101, v113, v117
	s_delay_alu instid0(VALU_DEP_1)
	v_fma_f32 v101, v112, v116, -v101
	ds_load_2addr_b64 v[102:105], v100 offset0:91 offset1:92
	ds_load_2addr_b64 v[106:109], v100 offset0:93 offset1:94
	;; [unrolled: 1-line block ×4, first 2 shown]
	v_dual_add_f32 v0, v0, v101 :: v_dual_mul_f32 v101, v119, v123
	s_delay_alu instid0(VALU_DEP_1) | instskip(NEXT) | instid1(VALU_DEP_1)
	v_fma_f32 v101, v118, v122, -v101
	v_add_f32_e32 v0, v0, v101
	v_mul_f32_e32 v101, v121, v125
	s_delay_alu instid0(VALU_DEP_1) | instskip(NEXT) | instid1(VALU_DEP_1)
	v_fma_f32 v101, v120, v124, -v101
	v_dual_add_f32 v0, v0, v101 :: v_dual_mul_f32 v101, v127, v131
	s_delay_alu instid0(VALU_DEP_1) | instskip(NEXT) | instid1(VALU_DEP_1)
	v_fma_f32 v101, v126, v130, -v101
	v_add_f32_e32 v0, v0, v101
	v_mul_f32_e32 v101, v129, v133
	s_delay_alu instid0(VALU_DEP_1) | instskip(NEXT) | instid1(VALU_DEP_1)
	v_fma_f32 v101, v128, v132, -v101
	;; [unrolled: 7-line block ×17, first 2 shown]
	v_add_f32_e32 v0, v0, v101
	s_wait_loadcnt_dscnt 0x404
	s_set_vgpr_msb 4                        ;  msbs: dst=0 src0=0 src1=1 src2=0
	v_mul_f32_e32 v101, v255, v3 /*v259*/
	s_set_vgpr_msb 0x44                     ;  msbs: dst=1 src0=0 src1=1 src2=0
	s_delay_alu instid0(VALU_DEP_1)
	v_dual_mul_f32 v23 /*v279*/, v254, v3 /*v259*/ :: v_dual_fma_f32 v22 /*v278*/, v254, v2 /*v258*/, -v101
	s_set_vgpr_msb 5                        ;  msbs: dst=0 src0=1 src1=1 src2=0
	v_mul_f32_e32 v101, v1 /*v257*/, v5 /*v261*/
	s_set_vgpr_msb 0x45                     ;  msbs: dst=1 src0=1 src1=1 src2=0
	v_mul_f32_e32 v25 /*v281*/, v0 /*v256*/, v5 /*v261*/
	s_set_vgpr_msb 0x44                     ;  msbs: dst=1 src0=0 src1=1 src2=0
	v_fmac_f32_e32 v23 /*v279*/, v255, v2 /*v258*/
	s_set_vgpr_msb 0x45                     ;  msbs: dst=1 src0=1 src1=1 src2=0
	v_fma_f32 v24 /*v280*/, v0 /*v256*/, v4 /*v260*/, -v101
	s_wait_loadcnt_dscnt 0x303
	s_set_vgpr_msb 4                        ;  msbs: dst=0 src0=0 src1=1 src2=0
	v_pk_mul_f32 v[100:101], v[102:103], v[6:7] /*v[262:263]*/ op_sel:[1,1] op_sel_hi:[0,1]
	s_set_vgpr_msb 0x45                     ;  msbs: dst=1 src0=1 src1=1 src2=0
	v_fmac_f32_e32 v25 /*v281*/, v1 /*v257*/, v4 /*v260*/
	s_set_vgpr_msb 4                        ;  msbs: dst=0 src0=0 src1=1 src2=0
	v_pk_add_f32 v[0:1], v[0:1], v[22:23] /*v[278:279]*/
	v_pk_fma_f32 v[118:119], v[102:103], v[6:7] /*v[262:263]*/, v[100:101] neg_lo:[0,0,1] neg_hi:[0,0,1]
	v_pk_fma_f32 v[100:101], v[102:103], v[6:7] /*v[262:263]*/, v[100:101] op_sel_hi:[1,0,1]
	v_mov_b32_e32 v100, v105
	s_set_vgpr_msb 1                        ;  msbs: dst=0 src0=1 src1=0 src2=0
	v_mov_b32_e32 v102, v9 /*v265*/
	s_set_vgpr_msb 4                        ;  msbs: dst=0 src0=0 src1=1 src2=0
	v_pk_add_f32 v[0:1], v[0:1], v[24:25] /*v[280:281]*/
	v_dual_mov_b32 v119, v101 :: v_dual_mov_b32 v101, v104
	s_set_vgpr_msb 0                        ;  msbs: dst=0 src0=0 src1=0 src2=0
	s_delay_alu instid0(VALU_DEP_1) | instskip(NEXT) | instid1(VALU_DEP_2)
	v_pk_add_f32 v[0:1], v[0:1], v[118:119]
	v_pk_mul_f32 v[100:101], v[100:101], v[102:103] op_sel_hi:[1,0]
	s_set_vgpr_msb 4                        ;  msbs: dst=0 src0=0 src1=1 src2=0
	s_delay_alu instid0(VALU_DEP_1) | instskip(SKIP_1) | instid1(VALU_DEP_1)
	v_pk_fma_f32 v[102:103], v[104:105], v[8:9] /*v[264:265]*/, v[100:101] neg_lo:[0,0,1] neg_hi:[0,0,1]
	v_pk_fma_f32 v[100:101], v[104:105], v[8:9] /*v[264:265]*/, v[100:101] op_sel_hi:[1,0,1]
	v_mov_b32_e32 v103, v101
	s_wait_loadcnt_dscnt 0x202
	v_pk_mul_f32 v[100:101], v[106:107], v[10:11] /*v[266:267]*/ op_sel:[1,1] op_sel_hi:[0,1]
	s_set_vgpr_msb 0                        ;  msbs: dst=0 src0=0 src1=0 src2=0
	s_delay_alu instid0(VALU_DEP_2) | instskip(SKIP_1) | instid1(VALU_DEP_2)
	v_pk_add_f32 v[0:1], v[0:1], v[102:103]
	s_set_vgpr_msb 4                        ;  msbs: dst=0 src0=0 src1=1 src2=0
	v_pk_fma_f32 v[102:103], v[106:107], v[10:11] /*v[266:267]*/, v[100:101] neg_lo:[0,0,1] neg_hi:[0,0,1]
	v_pk_fma_f32 v[100:101], v[106:107], v[10:11] /*v[266:267]*/, v[100:101] op_sel_hi:[1,0,1]
	s_delay_alu instid0(VALU_DEP_1) | instskip(SKIP_2) | instid1(VALU_DEP_2)
	v_dual_mov_b32 v100, v109 :: v_dual_mov_b32 v103, v101
	v_mov_b32_e32 v101, v108
	s_set_vgpr_msb 0                        ;  msbs: dst=0 src0=0 src1=0 src2=0
	v_pk_add_f32 v[0:1], v[0:1], v[102:103]
	s_set_vgpr_msb 1                        ;  msbs: dst=0 src0=1 src1=0 src2=0
	v_mov_b32_e32 v102, v13 /*v269*/
	s_set_vgpr_msb 0                        ;  msbs: dst=0 src0=0 src1=0 src2=0
	s_delay_alu instid0(VALU_DEP_1) | instskip(SKIP_1) | instid1(VALU_DEP_1)
	v_pk_mul_f32 v[100:101], v[100:101], v[102:103] op_sel_hi:[1,0]
	s_set_vgpr_msb 4                        ;  msbs: dst=0 src0=0 src1=1 src2=0
	v_pk_fma_f32 v[102:103], v[108:109], v[12:13] /*v[268:269]*/, v[100:101] neg_lo:[0,0,1] neg_hi:[0,0,1]
	v_pk_fma_f32 v[100:101], v[108:109], v[12:13] /*v[268:269]*/, v[100:101] op_sel_hi:[1,0,1]
	s_delay_alu instid0(VALU_DEP_1) | instskip(SKIP_3) | instid1(VALU_DEP_2)
	v_mov_b32_e32 v103, v101
	s_wait_loadcnt_dscnt 0x101
	v_pk_mul_f32 v[100:101], v[110:111], v[14:15] /*v[270:271]*/ op_sel:[1,1] op_sel_hi:[0,1]
	s_set_vgpr_msb 0                        ;  msbs: dst=0 src0=0 src1=0 src2=0
	v_pk_add_f32 v[0:1], v[0:1], v[102:103]
	s_set_vgpr_msb 4                        ;  msbs: dst=0 src0=0 src1=1 src2=0
	s_delay_alu instid0(VALU_DEP_2) | instskip(SKIP_1) | instid1(VALU_DEP_1)
	v_pk_fma_f32 v[102:103], v[110:111], v[14:15] /*v[270:271]*/, v[100:101] neg_lo:[0,0,1] neg_hi:[0,0,1]
	v_pk_fma_f32 v[100:101], v[110:111], v[14:15] /*v[270:271]*/, v[100:101] op_sel_hi:[1,0,1]
	v_dual_mov_b32 v100, v113 :: v_dual_mov_b32 v103, v101
	v_mov_b32_e32 v101, v112
	s_set_vgpr_msb 0                        ;  msbs: dst=0 src0=0 src1=0 src2=0
	s_delay_alu instid0(VALU_DEP_2) | instskip(SKIP_3) | instid1(VALU_DEP_1)
	v_pk_add_f32 v[0:1], v[0:1], v[102:103]
	s_set_vgpr_msb 1                        ;  msbs: dst=0 src0=1 src1=0 src2=0
	v_mov_b32_e32 v102, v17 /*v273*/
	s_set_vgpr_msb 0                        ;  msbs: dst=0 src0=0 src1=0 src2=0
	v_pk_mul_f32 v[100:101], v[100:101], v[102:103] op_sel_hi:[1,0]
	s_set_vgpr_msb 4                        ;  msbs: dst=0 src0=0 src1=1 src2=0
	s_delay_alu instid0(VALU_DEP_1) | instskip(SKIP_1) | instid1(VALU_DEP_1)
	v_pk_fma_f32 v[102:103], v[112:113], v[16:17] /*v[272:273]*/, v[100:101] neg_lo:[0,0,1] neg_hi:[0,0,1]
	v_pk_fma_f32 v[100:101], v[112:113], v[16:17] /*v[272:273]*/, v[100:101] op_sel_hi:[1,0,1]
	v_mov_b32_e32 v103, v101
	s_wait_loadcnt_dscnt 0x0
	v_pk_mul_f32 v[100:101], v[114:115], v[18:19] /*v[274:275]*/ op_sel:[1,1] op_sel_hi:[0,1]
	s_set_vgpr_msb 0                        ;  msbs: dst=0 src0=0 src1=0 src2=0
	s_delay_alu instid0(VALU_DEP_2) | instskip(SKIP_1) | instid1(VALU_DEP_2)
	v_pk_add_f32 v[0:1], v[0:1], v[102:103]
	s_set_vgpr_msb 4                        ;  msbs: dst=0 src0=0 src1=1 src2=0
	v_pk_fma_f32 v[102:103], v[114:115], v[18:19] /*v[274:275]*/, v[100:101] neg_lo:[0,0,1] neg_hi:[0,0,1]
	v_pk_fma_f32 v[100:101], v[114:115], v[18:19] /*v[274:275]*/, v[100:101] op_sel_hi:[1,0,1]
	s_delay_alu instid0(VALU_DEP_1) | instskip(SKIP_2) | instid1(VALU_DEP_2)
	v_dual_mov_b32 v100, v117 :: v_dual_mov_b32 v103, v101
	v_mov_b32_e32 v101, v116
	s_set_vgpr_msb 0                        ;  msbs: dst=0 src0=0 src1=0 src2=0
	v_pk_add_f32 v[0:1], v[0:1], v[102:103]
	s_set_vgpr_msb 1                        ;  msbs: dst=0 src0=1 src1=0 src2=0
	v_mov_b32_e32 v102, v21 /*v277*/
	s_set_vgpr_msb 0                        ;  msbs: dst=0 src0=0 src1=0 src2=0
	s_delay_alu instid0(VALU_DEP_1) | instskip(SKIP_1) | instid1(VALU_DEP_1)
	v_pk_mul_f32 v[100:101], v[100:101], v[102:103] op_sel_hi:[1,0]
	s_set_vgpr_msb 4                        ;  msbs: dst=0 src0=0 src1=1 src2=0
	v_pk_fma_f32 v[102:103], v[116:117], v[20:21] /*v[276:277]*/, v[100:101] neg_lo:[0,0,1] neg_hi:[0,0,1]
	v_pk_fma_f32 v[100:101], v[116:117], v[20:21] /*v[276:277]*/, v[100:101] op_sel_hi:[1,0,1]
	s_delay_alu instid0(VALU_DEP_1) | instskip(SKIP_4) | instid1(VALU_DEP_1)
	v_mov_b32_e32 v103, v101
	scratch_load_b64 v[100:101], off, off
	s_set_vgpr_msb 0                        ;  msbs: dst=0 src0=0 src1=0 src2=0
	v_pk_add_f32 v[0:1], v[0:1], v[102:103]
	s_wait_loadcnt 0x0
	v_pk_add_f32 v[100:101], v[100:101], v[0:1] neg_lo:[0,1] neg_hi:[0,1]
	scratch_store_b64 off, v[100:101], off
	s_cbranch_vccz .LBB112_404
; %bb.308:
	v_mov_b32_e32 v0, 0
	global_load_b32 v1, v0, s[8:9] offset:188
	s_wait_loadcnt 0x0
	v_cmp_ne_u32_e32 vcc_lo, 48, v1
	s_cbranch_vccz .LBB112_310
; %bb.309:
	v_lshlrev_b32_e32 v1, 3, v1
	scratch_load_b64 v[100:101], v1, off offset:-8
	scratch_load_b64 v[102:103], off, off offset:376
	s_wait_loadcnt 0x1
	scratch_store_b64 off, v[100:101], off offset:376
	s_wait_loadcnt 0x0
	scratch_store_b64 v1, v[102:103], off offset:-8
.LBB112_310:
	global_load_b32 v0, v0, s[8:9] offset:184
	s_wait_loadcnt 0x0
	v_cmp_eq_u32_e32 vcc_lo, 47, v0
	s_cbranch_vccnz .LBB112_312
; %bb.311:
	s_wait_xcnt 0x0
	v_lshlrev_b32_e32 v0, 3, v0
	s_delay_alu instid0(VALU_DEP_1)
	v_mov_b32_e32 v102, v0
	scratch_load_b64 v[0:1], v102, off offset:-8
	scratch_load_b64 v[100:101], off, off offset:368
	s_wait_loadcnt 0x1
	scratch_store_b64 off, v[0:1], off offset:368
	s_wait_loadcnt 0x0
	scratch_store_b64 v102, v[100:101], off offset:-8
.LBB112_312:
	s_wait_xcnt 0x0
	v_mov_b32_e32 v0, 0
	global_load_b32 v1, v0, s[8:9] offset:180
	s_wait_loadcnt 0x0
	v_cmp_eq_u32_e32 vcc_lo, 46, v1
	s_cbranch_vccnz .LBB112_314
; %bb.313:
	v_lshlrev_b32_e32 v1, 3, v1
	scratch_load_b64 v[100:101], v1, off offset:-8
	scratch_load_b64 v[102:103], off, off offset:360
	s_wait_loadcnt 0x1
	scratch_store_b64 off, v[100:101], off offset:360
	s_wait_loadcnt 0x0
	scratch_store_b64 v1, v[102:103], off offset:-8
.LBB112_314:
	global_load_b32 v0, v0, s[8:9] offset:176
	s_wait_loadcnt 0x0
	v_cmp_eq_u32_e32 vcc_lo, 45, v0
	s_cbranch_vccnz .LBB112_316
; %bb.315:
	s_wait_xcnt 0x0
	v_lshlrev_b32_e32 v0, 3, v0
	s_delay_alu instid0(VALU_DEP_1)
	v_mov_b32_e32 v102, v0
	scratch_load_b64 v[0:1], v102, off offset:-8
	scratch_load_b64 v[100:101], off, off offset:352
	s_wait_loadcnt 0x1
	scratch_store_b64 off, v[0:1], off offset:352
	s_wait_loadcnt 0x0
	scratch_store_b64 v102, v[100:101], off offset:-8
.LBB112_316:
	s_wait_xcnt 0x0
	v_mov_b32_e32 v0, 0
	global_load_b32 v1, v0, s[8:9] offset:172
	s_wait_loadcnt 0x0
	v_cmp_eq_u32_e32 vcc_lo, 44, v1
	s_cbranch_vccnz .LBB112_318
; %bb.317:
	v_lshlrev_b32_e32 v1, 3, v1
	scratch_load_b64 v[100:101], v1, off offset:-8
	scratch_load_b64 v[102:103], off, off offset:344
	s_wait_loadcnt 0x1
	scratch_store_b64 off, v[100:101], off offset:344
	s_wait_loadcnt 0x0
	scratch_store_b64 v1, v[102:103], off offset:-8
.LBB112_318:
	;; [unrolled: 31-line block ×23, first 2 shown]
	global_load_b32 v0, v0, s[8:9]
	scratch_load_b64 v[100:101], off, off
	s_wait_loadcnt 0x1
	v_cmp_eq_u32_e32 vcc_lo, 1, v0
	s_cbranch_vccnz .LBB112_404
; %bb.403:
	s_wait_xcnt 0x1
	v_lshlrev_b32_e32 v0, 3, v0
	s_delay_alu instid0(VALU_DEP_1)
	v_mov_b32_e32 v102, v0
	scratch_load_b64 v[0:1], v102, off offset:-8
	s_wait_loadcnt 0x0
	scratch_store_b64 off, v[0:1], off
	scratch_store_b64 v102, v[100:101], off offset:-8
	scratch_load_b64 v[100:101], off, off
.LBB112_404:
	s_wait_loadcnt 0x0
	flat_store_b64 v[2:3], v[100:101]
	scratch_load_b64 v[2:3], off, off offset:8
	v_lshl_add_u64 v[146:147], v[6:7], 3, s[2:3]
	v_lshl_add_u64 v[144:145], v[8:9], 3, s[2:3]
	;; [unrolled: 1-line block ×47, first 2 shown]
	s_wait_loadcnt 0x0
	flat_store_b64 v[4:5], v[2:3]
	scratch_load_b64 v[2:3], off, off offset:16
	s_wait_loadcnt 0x0
	flat_store_b64 v[146:147], v[2:3]
	scratch_load_b64 v[2:3], off, off offset:24
	;; [unrolled: 3-line block ×47, first 2 shown]
	s_wait_loadcnt 0x0
	flat_store_b64 v[0:1], v[2:3]
	s_sendmsg sendmsg(MSG_DEALLOC_VGPRS)
	s_endpgm
	.section	.rodata,"a",@progbits
	.p2align	6, 0x0
	.amdhsa_kernel _ZN9rocsolver6v33100L18getri_kernel_smallILi49E19rocblas_complex_numIfEPKPS3_EEvT1_iilPiilS8_bb
		.amdhsa_group_segment_fixed_size 792
		.amdhsa_private_segment_fixed_size 400
		.amdhsa_kernarg_size 60
		.amdhsa_user_sgpr_count 2
		.amdhsa_user_sgpr_dispatch_ptr 0
		.amdhsa_user_sgpr_queue_ptr 0
		.amdhsa_user_sgpr_kernarg_segment_ptr 1
		.amdhsa_user_sgpr_dispatch_id 0
		.amdhsa_user_sgpr_kernarg_preload_length 0
		.amdhsa_user_sgpr_kernarg_preload_offset 0
		.amdhsa_user_sgpr_private_segment_size 0
		.amdhsa_wavefront_size32 1
		.amdhsa_uses_dynamic_stack 0
		.amdhsa_enable_private_segment 1
		.amdhsa_system_sgpr_workgroup_id_x 1
		.amdhsa_system_sgpr_workgroup_id_y 0
		.amdhsa_system_sgpr_workgroup_id_z 0
		.amdhsa_system_sgpr_workgroup_info 0
		.amdhsa_system_vgpr_workitem_id 0
		.amdhsa_next_free_vgpr 309
		.amdhsa_next_free_sgpr 19
		.amdhsa_named_barrier_count 0
		.amdhsa_reserve_vcc 1
		.amdhsa_float_round_mode_32 0
		.amdhsa_float_round_mode_16_64 0
		.amdhsa_float_denorm_mode_32 3
		.amdhsa_float_denorm_mode_16_64 3
		.amdhsa_fp16_overflow 0
		.amdhsa_memory_ordered 1
		.amdhsa_forward_progress 1
		.amdhsa_inst_pref_size 255
		.amdhsa_round_robin_scheduling 0
		.amdhsa_exception_fp_ieee_invalid_op 0
		.amdhsa_exception_fp_denorm_src 0
		.amdhsa_exception_fp_ieee_div_zero 0
		.amdhsa_exception_fp_ieee_overflow 0
		.amdhsa_exception_fp_ieee_underflow 0
		.amdhsa_exception_fp_ieee_inexact 0
		.amdhsa_exception_int_div_zero 0
	.end_amdhsa_kernel
	.section	.text._ZN9rocsolver6v33100L18getri_kernel_smallILi49E19rocblas_complex_numIfEPKPS3_EEvT1_iilPiilS8_bb,"axG",@progbits,_ZN9rocsolver6v33100L18getri_kernel_smallILi49E19rocblas_complex_numIfEPKPS3_EEvT1_iilPiilS8_bb,comdat
.Lfunc_end112:
	.size	_ZN9rocsolver6v33100L18getri_kernel_smallILi49E19rocblas_complex_numIfEPKPS3_EEvT1_iilPiilS8_bb, .Lfunc_end112-_ZN9rocsolver6v33100L18getri_kernel_smallILi49E19rocblas_complex_numIfEPKPS3_EEvT1_iilPiilS8_bb
                                        ; -- End function
	.set _ZN9rocsolver6v33100L18getri_kernel_smallILi49E19rocblas_complex_numIfEPKPS3_EEvT1_iilPiilS8_bb.num_vgpr, 309
	.set _ZN9rocsolver6v33100L18getri_kernel_smallILi49E19rocblas_complex_numIfEPKPS3_EEvT1_iilPiilS8_bb.num_agpr, 0
	.set _ZN9rocsolver6v33100L18getri_kernel_smallILi49E19rocblas_complex_numIfEPKPS3_EEvT1_iilPiilS8_bb.numbered_sgpr, 19
	.set _ZN9rocsolver6v33100L18getri_kernel_smallILi49E19rocblas_complex_numIfEPKPS3_EEvT1_iilPiilS8_bb.num_named_barrier, 0
	.set _ZN9rocsolver6v33100L18getri_kernel_smallILi49E19rocblas_complex_numIfEPKPS3_EEvT1_iilPiilS8_bb.private_seg_size, 400
	.set _ZN9rocsolver6v33100L18getri_kernel_smallILi49E19rocblas_complex_numIfEPKPS3_EEvT1_iilPiilS8_bb.uses_vcc, 1
	.set _ZN9rocsolver6v33100L18getri_kernel_smallILi49E19rocblas_complex_numIfEPKPS3_EEvT1_iilPiilS8_bb.uses_flat_scratch, 1
	.set _ZN9rocsolver6v33100L18getri_kernel_smallILi49E19rocblas_complex_numIfEPKPS3_EEvT1_iilPiilS8_bb.has_dyn_sized_stack, 0
	.set _ZN9rocsolver6v33100L18getri_kernel_smallILi49E19rocblas_complex_numIfEPKPS3_EEvT1_iilPiilS8_bb.has_recursion, 0
	.set _ZN9rocsolver6v33100L18getri_kernel_smallILi49E19rocblas_complex_numIfEPKPS3_EEvT1_iilPiilS8_bb.has_indirect_call, 0
	.section	.AMDGPU.csdata,"",@progbits
; Kernel info:
; codeLenInByte = 90744
; TotalNumSgprs: 21
; NumVgprs: 309
; ScratchSize: 400
; MemoryBound: 0
; FloatMode: 240
; IeeeMode: 1
; LDSByteSize: 792 bytes/workgroup (compile time only)
; SGPRBlocks: 0
; VGPRBlocks: 19
; NumSGPRsForWavesPerEU: 21
; NumVGPRsForWavesPerEU: 309
; NamedBarCnt: 0
; Occupancy: 3
; WaveLimiterHint : 1
; COMPUTE_PGM_RSRC2:SCRATCH_EN: 1
; COMPUTE_PGM_RSRC2:USER_SGPR: 2
; COMPUTE_PGM_RSRC2:TRAP_HANDLER: 0
; COMPUTE_PGM_RSRC2:TGID_X_EN: 1
; COMPUTE_PGM_RSRC2:TGID_Y_EN: 0
; COMPUTE_PGM_RSRC2:TGID_Z_EN: 0
; COMPUTE_PGM_RSRC2:TIDIG_COMP_CNT: 0
	.section	.text._ZN9rocsolver6v33100L18getri_kernel_smallILi50E19rocblas_complex_numIfEPKPS3_EEvT1_iilPiilS8_bb,"axG",@progbits,_ZN9rocsolver6v33100L18getri_kernel_smallILi50E19rocblas_complex_numIfEPKPS3_EEvT1_iilPiilS8_bb,comdat
	.globl	_ZN9rocsolver6v33100L18getri_kernel_smallILi50E19rocblas_complex_numIfEPKPS3_EEvT1_iilPiilS8_bb ; -- Begin function _ZN9rocsolver6v33100L18getri_kernel_smallILi50E19rocblas_complex_numIfEPKPS3_EEvT1_iilPiilS8_bb
	.p2align	8
	.type	_ZN9rocsolver6v33100L18getri_kernel_smallILi50E19rocblas_complex_numIfEPKPS3_EEvT1_iilPiilS8_bb,@function
_ZN9rocsolver6v33100L18getri_kernel_smallILi50E19rocblas_complex_numIfEPKPS3_EEvT1_iilPiilS8_bb: ; @_ZN9rocsolver6v33100L18getri_kernel_smallILi50E19rocblas_complex_numIfEPKPS3_EEvT1_iilPiilS8_bb
; %bb.0:
	s_mov_b32 s2, exec_lo
	v_cmpx_gt_u32_e32 50, v0
	s_cbranch_execz .LBB113_214
; %bb.1:
	s_clause 0x1
	s_load_b32 s13, s[0:1], 0x38
	s_load_b64 s[2:3], s[0:1], 0x0
	s_getreg_b32 s6, hwreg(HW_REG_IB_STS2, 6, 4)
	s_wait_kmcnt 0x0
	s_bitcmp1_b32 s13, 8
	s_cselect_b32 s12, -1, 0
	s_bfe_u32 s4, ttmp6, 0x4000c
	s_and_b32 s5, ttmp6, 15
	s_add_co_i32 s4, s4, 1
	s_delay_alu instid0(SALU_CYCLE_1) | instskip(NEXT) | instid1(SALU_CYCLE_1)
	s_mul_i32 s4, ttmp9, s4
	s_add_co_i32 s5, s5, s4
	s_cmp_eq_u32 s6, 0
	s_cselect_b32 s10, ttmp9, s5
	s_load_b128 s[4:7], s[0:1], 0x28
	s_ashr_i32 s11, s10, 31
	s_delay_alu instid0(SALU_CYCLE_1) | instskip(NEXT) | instid1(SALU_CYCLE_1)
	s_lshl_b64 s[8:9], s[10:11], 3
	s_add_nc_u64 s[2:3], s[2:3], s[8:9]
	s_bfe_u32 s8, s13, 0x10008
	s_load_b64 s[2:3], s[2:3], 0x0
	s_cmp_eq_u32 s8, 0
                                        ; implicit-def: $sgpr8_sgpr9
	s_cbranch_scc1 .LBB113_3
; %bb.2:
	s_load_b96 s[16:18], s[0:1], 0x18
	s_wait_kmcnt 0x0
	s_mul_u64 s[4:5], s[4:5], s[10:11]
	s_delay_alu instid0(SALU_CYCLE_1) | instskip(SKIP_4) | instid1(SALU_CYCLE_1)
	s_lshl_b64 s[4:5], s[4:5], 2
	s_ashr_i32 s9, s18, 31
	s_mov_b32 s8, s18
	s_add_nc_u64 s[4:5], s[16:17], s[4:5]
	s_lshl_b64 s[8:9], s[8:9], 2
	s_add_nc_u64 s[8:9], s[4:5], s[8:9]
.LBB113_3:
	s_wait_kmcnt 0x0
	s_clause 0x1
	s_load_b64 s[4:5], s[0:1], 0x8
	s_load_b32 s13, s[0:1], 0x38
	v_dual_mov_b32 v103, 0 :: v_dual_lshlrev_b32 v102, 3, v0
	s_wait_kmcnt 0x0
	s_ashr_i32 s1, s4, 31
	s_mov_b32 s0, s4
	s_delay_alu instid0(SALU_CYCLE_1) | instskip(NEXT) | instid1(SALU_CYCLE_1)
	s_lshl_b64 s[0:1], s[0:1], 3
	s_add_nc_u64 s[2:3], s[2:3], s[0:1]
	s_ashr_i32 s1, s5, 31
	flat_load_b64 v[6:7], v0, s[2:3] scale_offset
	v_add_nc_u64_e32 v[2:3], s[2:3], v[102:103]
	s_mov_b32 s0, s5
	s_bitcmp0_b32 s13, 0
	s_delay_alu instid0(VALU_DEP_1)
	v_lshl_add_u64 v[4:5], s[0:1], 3, v[2:3]
	s_mov_b32 s1, -1
	s_wait_loadcnt_dscnt 0x0
	scratch_store_b64 off, v[6:7], off
	flat_load_b64 v[8:9], v[4:5]
	s_wait_xcnt 0x1
	v_add3_u32 v6, s5, s5, v0
	s_wait_loadcnt_dscnt 0x0
	scratch_store_b64 off, v[8:9], off offset:8
	flat_load_b64 v[10:11], v6, s[2:3] scale_offset
	s_wait_xcnt 0x1
	v_add_nc_u32_e32 v8, s5, v6
	s_wait_loadcnt_dscnt 0x0
	scratch_store_b64 off, v[10:11], off offset:16
	flat_load_b64 v[12:13], v8, s[2:3] scale_offset
	s_wait_xcnt 0x1
	v_add_nc_u32_e32 v10, s5, v8
	;; [unrolled: 5-line block ×47, first 2 shown]
	s_wait_loadcnt_dscnt 0x0
	scratch_store_b64 off, v[104:105], off offset:384
	flat_load_b64 v[104:105], v100, s[2:3] scale_offset
	s_wait_loadcnt_dscnt 0x0
	scratch_store_b64 off, v[104:105], off offset:392
	s_cbranch_scc1 .LBB113_212
; %bb.4:
	v_cmp_eq_u32_e64 s0, 0, v0
	s_wait_xcnt 0x0
	s_and_saveexec_b32 s1, s0
; %bb.5:
	v_mov_b32_e32 v1, 0
	ds_store_b32 v1, v1 offset:800
; %bb.6:
	s_or_b32 exec_lo, exec_lo, s1
	s_wait_storecnt_dscnt 0x0
	s_barrier_signal -1
	s_barrier_wait -1
	scratch_load_b64 v[104:105], v0, off scale_offset
	s_wait_loadcnt 0x0
	v_cmp_eq_f32_e32 vcc_lo, 0, v104
	v_cmp_eq_f32_e64 s1, 0, v105
	s_and_b32 s1, vcc_lo, s1
	s_delay_alu instid0(SALU_CYCLE_1)
	s_and_saveexec_b32 s4, s1
	s_cbranch_execz .LBB113_10
; %bb.7:
	v_mov_b32_e32 v1, 0
	s_mov_b32 s5, 0
	ds_load_b32 v7, v1 offset:800
	s_wait_dscnt 0x0
	v_readfirstlane_b32 s1, v7
	v_add_nc_u32_e32 v7, 1, v0
	s_cmp_eq_u32 s1, 0
	s_delay_alu instid0(VALU_DEP_1) | instskip(SKIP_1) | instid1(SALU_CYCLE_1)
	v_cmp_gt_i32_e32 vcc_lo, s1, v7
	s_cselect_b32 s13, -1, 0
	s_or_b32 s13, s13, vcc_lo
	s_delay_alu instid0(SALU_CYCLE_1)
	s_and_b32 exec_lo, exec_lo, s13
	s_cbranch_execz .LBB113_10
; %bb.8:
	v_mov_b32_e32 v9, s1
.LBB113_9:                              ; =>This Inner Loop Header: Depth=1
	ds_cmpstore_rtn_b32 v9, v1, v7, v9 offset:800
	s_wait_dscnt 0x0
	v_cmp_ne_u32_e32 vcc_lo, 0, v9
	v_cmp_le_i32_e64 s1, v9, v7
	s_and_b32 s1, vcc_lo, s1
	s_delay_alu instid0(SALU_CYCLE_1) | instskip(NEXT) | instid1(SALU_CYCLE_1)
	s_and_b32 s1, exec_lo, s1
	s_or_b32 s5, s1, s5
	s_delay_alu instid0(SALU_CYCLE_1)
	s_and_not1_b32 exec_lo, exec_lo, s5
	s_cbranch_execnz .LBB113_9
.LBB113_10:
	s_or_b32 exec_lo, exec_lo, s4
	v_mov_b32_e32 v1, 0
	s_barrier_signal -1
	s_barrier_wait -1
	ds_load_b32 v7, v1 offset:800
	s_and_saveexec_b32 s1, s0
	s_cbranch_execz .LBB113_12
; %bb.11:
	s_lshl_b64 s[4:5], s[10:11], 2
	s_delay_alu instid0(SALU_CYCLE_1)
	s_add_nc_u64 s[4:5], s[6:7], s[4:5]
	s_wait_dscnt 0x0
	global_store_b32 v1, v7, s[4:5]
.LBB113_12:
	s_wait_xcnt 0x0
	s_or_b32 exec_lo, exec_lo, s1
	s_wait_dscnt 0x0
	v_cmp_ne_u32_e32 vcc_lo, 0, v7
	s_mov_b32 s1, 0
	s_cbranch_vccnz .LBB113_212
; %bb.13:
	v_lshl_add_u32 v7, v0, 3, 0
                                        ; implicit-def: $vgpr107
                                        ; implicit-def: $vgpr108
	scratch_load_b64 v[104:105], v7, off
	s_wait_loadcnt 0x0
	v_cmp_ngt_f32_e64 s1, |v104|, |v105|
	s_wait_xcnt 0x0
	s_and_saveexec_b32 s4, s1
	s_delay_alu instid0(SALU_CYCLE_1)
	s_xor_b32 s1, exec_lo, s4
	s_cbranch_execz .LBB113_15
; %bb.14:
	v_div_scale_f32 v1, null, v105, v105, v104
	v_div_scale_f32 v13, vcc_lo, v104, v105, v104
	s_delay_alu instid0(VALU_DEP_2) | instskip(SKIP_1) | instid1(TRANS32_DEP_1)
	v_rcp_f32_e32 v9, v1
	v_nop
	v_fma_f32 v11, -v1, v9, 1.0
	s_delay_alu instid0(VALU_DEP_1) | instskip(NEXT) | instid1(VALU_DEP_1)
	v_fmac_f32_e32 v9, v11, v9
	v_mul_f32_e32 v11, v13, v9
	s_delay_alu instid0(VALU_DEP_1) | instskip(NEXT) | instid1(VALU_DEP_1)
	v_fma_f32 v15, -v1, v11, v13
	v_fmac_f32_e32 v11, v15, v9
	s_delay_alu instid0(VALU_DEP_1) | instskip(NEXT) | instid1(VALU_DEP_1)
	v_fma_f32 v1, -v1, v11, v13
	v_div_fmas_f32 v1, v1, v9, v11
	s_delay_alu instid0(VALU_DEP_1) | instskip(NEXT) | instid1(VALU_DEP_1)
	v_div_fixup_f32 v1, v1, v105, v104
	v_fmac_f32_e32 v105, v104, v1
	s_delay_alu instid0(VALU_DEP_1) | instskip(NEXT) | instid1(VALU_DEP_1)
	v_div_scale_f32 v9, null, v105, v105, -1.0
	v_rcp_f32_e32 v11, v9
	v_nop
	s_delay_alu instid0(TRANS32_DEP_1) | instskip(NEXT) | instid1(VALU_DEP_1)
	v_fma_f32 v13, -v9, v11, 1.0
	v_fmac_f32_e32 v11, v13, v11
	v_div_scale_f32 v13, vcc_lo, -1.0, v105, -1.0
	s_delay_alu instid0(VALU_DEP_1) | instskip(NEXT) | instid1(VALU_DEP_1)
	v_mul_f32_e32 v15, v13, v11
	v_fma_f32 v17, -v9, v15, v13
	s_delay_alu instid0(VALU_DEP_1) | instskip(NEXT) | instid1(VALU_DEP_1)
	v_fmac_f32_e32 v15, v17, v11
	v_fma_f32 v9, -v9, v15, v13
	s_delay_alu instid0(VALU_DEP_1) | instskip(NEXT) | instid1(VALU_DEP_1)
	v_div_fmas_f32 v9, v9, v11, v15
	v_div_fixup_f32 v107, v9, v105, -1.0
                                        ; implicit-def: $vgpr104_vgpr105
	s_delay_alu instid0(VALU_DEP_1) | instskip(NEXT) | instid1(VALU_DEP_1)
	v_mul_f32_e32 v108, v1, v107
	v_xor_b32_e32 v106, 0x80000000, v108
.LBB113_15:
	s_and_not1_saveexec_b32 s1, s1
	s_cbranch_execz .LBB113_17
; %bb.16:
	v_div_scale_f32 v1, null, v104, v104, v105
	v_div_scale_f32 v13, vcc_lo, v105, v104, v105
	s_delay_alu instid0(VALU_DEP_2) | instskip(SKIP_1) | instid1(TRANS32_DEP_1)
	v_rcp_f32_e32 v9, v1
	v_nop
	v_fma_f32 v11, -v1, v9, 1.0
	s_delay_alu instid0(VALU_DEP_1) | instskip(NEXT) | instid1(VALU_DEP_1)
	v_fmac_f32_e32 v9, v11, v9
	v_mul_f32_e32 v11, v13, v9
	s_delay_alu instid0(VALU_DEP_1) | instskip(NEXT) | instid1(VALU_DEP_1)
	v_fma_f32 v15, -v1, v11, v13
	v_fmac_f32_e32 v11, v15, v9
	s_delay_alu instid0(VALU_DEP_1) | instskip(NEXT) | instid1(VALU_DEP_1)
	v_fma_f32 v1, -v1, v11, v13
	v_div_fmas_f32 v1, v1, v9, v11
	s_delay_alu instid0(VALU_DEP_1) | instskip(NEXT) | instid1(VALU_DEP_1)
	v_div_fixup_f32 v1, v1, v104, v105
	v_fmac_f32_e32 v104, v105, v1
	s_delay_alu instid0(VALU_DEP_1) | instskip(SKIP_1) | instid1(VALU_DEP_2)
	v_div_scale_f32 v9, null, v104, v104, 1.0
	v_div_scale_f32 v15, vcc_lo, 1.0, v104, 1.0
	v_rcp_f32_e32 v11, v9
	v_nop
	s_delay_alu instid0(TRANS32_DEP_1) | instskip(NEXT) | instid1(VALU_DEP_1)
	v_fma_f32 v13, -v9, v11, 1.0
	v_fmac_f32_e32 v11, v13, v11
	s_delay_alu instid0(VALU_DEP_1) | instskip(NEXT) | instid1(VALU_DEP_1)
	v_mul_f32_e32 v13, v15, v11
	v_fma_f32 v17, -v9, v13, v15
	s_delay_alu instid0(VALU_DEP_1) | instskip(NEXT) | instid1(VALU_DEP_1)
	v_fmac_f32_e32 v13, v17, v11
	v_fma_f32 v9, -v9, v13, v15
	s_delay_alu instid0(VALU_DEP_1) | instskip(NEXT) | instid1(VALU_DEP_1)
	v_div_fmas_f32 v9, v9, v11, v13
	v_div_fixup_f32 v106, v9, v104, 1.0
	s_delay_alu instid0(VALU_DEP_1)
	v_xor_b32_e32 v108, 0x80000000, v106
	v_mul_f32_e64 v107, v1, -v106
.LBB113_17:
	s_or_b32 exec_lo, exec_lo, s1
	scratch_store_b64 v7, v[106:107], off
	scratch_load_b64 v[104:105], off, off offset:8
	v_xor_b32_e32 v109, 0x80000000, v107
	v_add_nc_u32_e32 v1, 0x190, v102
	s_wait_loadcnt 0x0
	ds_store_2addr_b64 v102, v[108:109], v[104:105] offset1:50
	s_wait_storecnt_dscnt 0x0
	s_barrier_signal -1
	s_barrier_wait -1
	s_wait_xcnt 0x0
	s_and_saveexec_b32 s1, s0
	s_cbranch_execz .LBB113_19
; %bb.18:
	scratch_load_b64 v[104:105], v7, off
	ds_load_b64 v[106:107], v1
	s_wait_loadcnt_dscnt 0x0
	v_pk_mul_f32 v[110:111], v[106:107], v[104:105] op_sel:[1,1] op_sel_hi:[0,1]
	s_delay_alu instid0(VALU_DEP_1) | instskip(SKIP_2) | instid1(VALU_DEP_3)
	v_pk_fma_f32 v[112:113], v[106:107], v[104:105], v[110:111] op_sel_hi:[1,0,1]
	v_mov_b32_e32 v9, 0
	v_pk_fma_f32 v[104:105], v[106:107], v[104:105], v[110:111] neg_lo:[0,0,1] neg_hi:[0,0,1]
	v_mov_b32_e32 v105, v113
	ds_load_b64 v[108:109], v9 offset:8
	v_pk_add_f32 v[104:105], v[104:105], 0 op_sel_hi:[1,0]
	s_wait_dscnt 0x0
	s_delay_alu instid0(VALU_DEP_1) | instskip(NEXT) | instid1(VALU_DEP_1)
	v_pk_mul_f32 v[106:107], v[104:105], v[108:109] op_sel:[1,1] op_sel_hi:[0,1]
	v_pk_fma_f32 v[110:111], v[104:105], v[108:109], v[106:107] op_sel_hi:[1,0,1]
	v_pk_fma_f32 v[104:105], v[104:105], v[108:109], v[106:107] neg_lo:[0,0,1] neg_hi:[0,0,1]
	s_delay_alu instid0(VALU_DEP_2)
	v_mov_b32_e32 v105, v111
	scratch_store_b64 off, v[104:105], off offset:8
.LBB113_19:
	s_wait_xcnt 0x0
	s_or_b32 exec_lo, exec_lo, s1
	s_wait_storecnt 0x0
	s_barrier_signal -1
	s_barrier_wait -1
	scratch_load_b64 v[104:105], off, off offset:16
	s_mov_b32 s1, exec_lo
	s_wait_loadcnt 0x0
	ds_store_b64 v1, v[104:105]
	s_wait_dscnt 0x0
	s_barrier_signal -1
	s_barrier_wait -1
	v_cmpx_gt_u32_e32 2, v0
	s_cbranch_execz .LBB113_23
; %bb.20:
	scratch_load_b64 v[104:105], v7, off
	ds_load_b64 v[106:107], v1
	s_wait_loadcnt_dscnt 0x0
	v_pk_mul_f32 v[108:109], v[106:107], v[104:105] op_sel:[1,1] op_sel_hi:[0,1]
	s_delay_alu instid0(VALU_DEP_1) | instskip(SKIP_1) | instid1(VALU_DEP_2)
	v_pk_fma_f32 v[110:111], v[106:107], v[104:105], v[108:109] op_sel_hi:[1,0,1]
	v_pk_fma_f32 v[104:105], v[106:107], v[104:105], v[108:109] neg_lo:[0,0,1] neg_hi:[0,0,1]
	v_mov_b32_e32 v105, v111
	s_delay_alu instid0(VALU_DEP_1)
	v_pk_add_f32 v[104:105], v[104:105], 0 op_sel_hi:[1,0]
	s_and_saveexec_b32 s4, s0
	s_cbranch_execz .LBB113_22
; %bb.21:
	scratch_load_b64 v[106:107], off, off offset:8
	v_mov_b32_e32 v7, 0
	ds_load_b64 v[108:109], v7 offset:408
	s_wait_loadcnt_dscnt 0x0
	v_pk_mul_f32 v[110:111], v[108:109], v[106:107] op_sel:[1,1] op_sel_hi:[0,1]
	s_delay_alu instid0(VALU_DEP_1) | instskip(SKIP_1) | instid1(VALU_DEP_2)
	v_pk_fma_f32 v[112:113], v[108:109], v[106:107], v[110:111] op_sel_hi:[1,0,1]
	v_pk_fma_f32 v[106:107], v[108:109], v[106:107], v[110:111] neg_lo:[0,0,1] neg_hi:[0,0,1]
	v_mov_b32_e32 v107, v113
	s_delay_alu instid0(VALU_DEP_1)
	v_pk_add_f32 v[104:105], v[104:105], v[106:107]
.LBB113_22:
	s_or_b32 exec_lo, exec_lo, s4
	v_mov_b32_e32 v7, 0
	ds_load_b64 v[106:107], v7 offset:16
	s_wait_dscnt 0x0
	v_pk_mul_f32 v[108:109], v[104:105], v[106:107] op_sel:[1,1] op_sel_hi:[0,1]
	s_delay_alu instid0(VALU_DEP_1) | instskip(SKIP_1) | instid1(VALU_DEP_2)
	v_pk_fma_f32 v[110:111], v[104:105], v[106:107], v[108:109] op_sel_hi:[1,0,1]
	v_pk_fma_f32 v[104:105], v[104:105], v[106:107], v[108:109] neg_lo:[0,0,1] neg_hi:[0,0,1]
	v_mov_b32_e32 v105, v111
	scratch_store_b64 off, v[104:105], off offset:16
.LBB113_23:
	s_wait_xcnt 0x0
	s_or_b32 exec_lo, exec_lo, s1
	s_wait_storecnt 0x0
	s_barrier_signal -1
	s_barrier_wait -1
	scratch_load_b64 v[104:105], off, off offset:24
	v_add_nc_u32_e32 v7, -1, v0
	s_mov_b32 s0, exec_lo
	s_wait_loadcnt 0x0
	ds_store_b64 v1, v[104:105]
	s_wait_dscnt 0x0
	s_barrier_signal -1
	s_barrier_wait -1
	v_cmpx_gt_u32_e32 3, v0
	s_cbranch_execz .LBB113_27
; %bb.24:
	v_dual_mov_b32 v104, 0 :: v_dual_add_nc_u32 v9, -1, v0
	v_add_nc_u32_e32 v11, 0x190, v102
	v_mov_b32_e32 v13, v102
	s_mov_b32 s1, 0
	s_delay_alu instid0(VALU_DEP_3)
	v_mov_b32_e32 v105, v104
.LBB113_25:                             ; =>This Inner Loop Header: Depth=1
	scratch_load_b64 v[106:107], v13, off
	ds_load_b64 v[108:109], v11
	s_wait_xcnt 0x0
	v_dual_add_nc_u32 v11, 8, v11 :: v_dual_add_nc_u32 v13, 8, v13
	s_wait_loadcnt_dscnt 0x0
	v_pk_mul_f32 v[110:111], v[108:109], v[106:107] op_sel:[1,1] op_sel_hi:[0,1]
	s_delay_alu instid0(VALU_DEP_1) | instskip(SKIP_2) | instid1(VALU_DEP_3)
	v_pk_fma_f32 v[112:113], v[108:109], v[106:107], v[110:111] op_sel_hi:[1,0,1]
	v_add_nc_u32_e32 v9, 1, v9
	v_pk_fma_f32 v[106:107], v[108:109], v[106:107], v[110:111] neg_lo:[0,0,1] neg_hi:[0,0,1]
	v_mov_b32_e32 v107, v113
	s_delay_alu instid0(VALU_DEP_3) | instskip(NEXT) | instid1(VALU_DEP_2)
	v_cmp_lt_u32_e32 vcc_lo, 1, v9
	v_pk_add_f32 v[104:105], v[104:105], v[106:107]
	s_or_b32 s1, vcc_lo, s1
	s_delay_alu instid0(SALU_CYCLE_1)
	s_and_not1_b32 exec_lo, exec_lo, s1
	s_cbranch_execnz .LBB113_25
; %bb.26:
	s_or_b32 exec_lo, exec_lo, s1
	v_mov_b32_e32 v9, 0
	ds_load_b64 v[106:107], v9 offset:24
	s_wait_dscnt 0x0
	v_pk_mul_f32 v[108:109], v[104:105], v[106:107] op_sel:[1,1] op_sel_hi:[0,1]
	s_delay_alu instid0(VALU_DEP_1) | instskip(SKIP_1) | instid1(VALU_DEP_2)
	v_pk_fma_f32 v[110:111], v[104:105], v[106:107], v[108:109] op_sel_hi:[1,0,1]
	v_pk_fma_f32 v[104:105], v[104:105], v[106:107], v[108:109] neg_lo:[0,0,1] neg_hi:[0,0,1]
	v_mov_b32_e32 v105, v111
	scratch_store_b64 off, v[104:105], off offset:24
.LBB113_27:
	s_wait_xcnt 0x0
	s_or_b32 exec_lo, exec_lo, s0
	s_wait_storecnt 0x0
	s_barrier_signal -1
	s_barrier_wait -1
	scratch_load_b64 v[104:105], off, off offset:32
	s_mov_b32 s0, exec_lo
	s_wait_loadcnt 0x0
	ds_store_b64 v1, v[104:105]
	s_wait_dscnt 0x0
	s_barrier_signal -1
	s_barrier_wait -1
	v_cmpx_gt_u32_e32 4, v0
	s_cbranch_execz .LBB113_31
; %bb.28:
	v_dual_mov_b32 v104, 0 :: v_dual_add_nc_u32 v9, -1, v0
	v_add_nc_u32_e32 v11, 0x190, v102
	v_mov_b32_e32 v13, v102
	s_mov_b32 s1, 0
	s_delay_alu instid0(VALU_DEP_3)
	v_mov_b32_e32 v105, v104
.LBB113_29:                             ; =>This Inner Loop Header: Depth=1
	scratch_load_b64 v[106:107], v13, off
	ds_load_b64 v[108:109], v11
	s_wait_xcnt 0x0
	v_dual_add_nc_u32 v11, 8, v11 :: v_dual_add_nc_u32 v13, 8, v13
	s_wait_loadcnt_dscnt 0x0
	v_pk_mul_f32 v[110:111], v[108:109], v[106:107] op_sel:[1,1] op_sel_hi:[0,1]
	s_delay_alu instid0(VALU_DEP_1) | instskip(SKIP_2) | instid1(VALU_DEP_3)
	v_pk_fma_f32 v[112:113], v[108:109], v[106:107], v[110:111] op_sel_hi:[1,0,1]
	v_add_nc_u32_e32 v9, 1, v9
	v_pk_fma_f32 v[106:107], v[108:109], v[106:107], v[110:111] neg_lo:[0,0,1] neg_hi:[0,0,1]
	v_mov_b32_e32 v107, v113
	s_delay_alu instid0(VALU_DEP_3) | instskip(NEXT) | instid1(VALU_DEP_2)
	v_cmp_lt_u32_e32 vcc_lo, 2, v9
	v_pk_add_f32 v[104:105], v[104:105], v[106:107]
	s_or_b32 s1, vcc_lo, s1
	s_delay_alu instid0(SALU_CYCLE_1)
	s_and_not1_b32 exec_lo, exec_lo, s1
	s_cbranch_execnz .LBB113_29
; %bb.30:
	s_or_b32 exec_lo, exec_lo, s1
	v_mov_b32_e32 v9, 0
	ds_load_b64 v[106:107], v9 offset:32
	s_wait_dscnt 0x0
	v_pk_mul_f32 v[108:109], v[104:105], v[106:107] op_sel:[1,1] op_sel_hi:[0,1]
	s_delay_alu instid0(VALU_DEP_1) | instskip(SKIP_1) | instid1(VALU_DEP_2)
	v_pk_fma_f32 v[110:111], v[104:105], v[106:107], v[108:109] op_sel_hi:[1,0,1]
	v_pk_fma_f32 v[104:105], v[104:105], v[106:107], v[108:109] neg_lo:[0,0,1] neg_hi:[0,0,1]
	v_mov_b32_e32 v105, v111
	scratch_store_b64 off, v[104:105], off offset:32
.LBB113_31:
	s_wait_xcnt 0x0
	s_or_b32 exec_lo, exec_lo, s0
	s_wait_storecnt 0x0
	s_barrier_signal -1
	s_barrier_wait -1
	scratch_load_b64 v[104:105], off, off offset:40
	;; [unrolled: 52-line block ×19, first 2 shown]
	s_mov_b32 s0, exec_lo
	s_wait_loadcnt 0x0
	ds_store_b64 v1, v[104:105]
	s_wait_dscnt 0x0
	s_barrier_signal -1
	s_barrier_wait -1
	v_cmpx_gt_u32_e32 22, v0
	s_cbranch_execz .LBB113_103
; %bb.100:
	v_dual_mov_b32 v104, 0 :: v_dual_add_nc_u32 v9, -1, v0
	v_add_nc_u32_e32 v11, 0x190, v102
	v_mov_b32_e32 v13, v102
	s_mov_b32 s1, 0
	s_delay_alu instid0(VALU_DEP_3)
	v_mov_b32_e32 v105, v104
.LBB113_101:                            ; =>This Inner Loop Header: Depth=1
	scratch_load_b64 v[106:107], v13, off
	ds_load_b64 v[108:109], v11
	s_wait_xcnt 0x0
	v_dual_add_nc_u32 v11, 8, v11 :: v_dual_add_nc_u32 v13, 8, v13
	s_wait_loadcnt_dscnt 0x0
	v_pk_mul_f32 v[110:111], v[108:109], v[106:107] op_sel:[1,1] op_sel_hi:[0,1]
	s_delay_alu instid0(VALU_DEP_1) | instskip(SKIP_2) | instid1(VALU_DEP_3)
	v_pk_fma_f32 v[112:113], v[108:109], v[106:107], v[110:111] op_sel_hi:[1,0,1]
	v_add_nc_u32_e32 v9, 1, v9
	v_pk_fma_f32 v[106:107], v[108:109], v[106:107], v[110:111] neg_lo:[0,0,1] neg_hi:[0,0,1]
	v_mov_b32_e32 v107, v113
	s_delay_alu instid0(VALU_DEP_3) | instskip(NEXT) | instid1(VALU_DEP_2)
	v_cmp_lt_u32_e32 vcc_lo, 20, v9
	v_pk_add_f32 v[104:105], v[104:105], v[106:107]
	s_or_b32 s1, vcc_lo, s1
	s_delay_alu instid0(SALU_CYCLE_1)
	s_and_not1_b32 exec_lo, exec_lo, s1
	s_cbranch_execnz .LBB113_101
; %bb.102:
	s_or_b32 exec_lo, exec_lo, s1
	v_mov_b32_e32 v9, 0
	ds_load_b64 v[106:107], v9 offset:176
	s_wait_dscnt 0x0
	v_pk_mul_f32 v[108:109], v[104:105], v[106:107] op_sel:[1,1] op_sel_hi:[0,1]
	s_delay_alu instid0(VALU_DEP_1) | instskip(SKIP_1) | instid1(VALU_DEP_2)
	v_pk_fma_f32 v[110:111], v[104:105], v[106:107], v[108:109] op_sel_hi:[1,0,1]
	v_pk_fma_f32 v[104:105], v[104:105], v[106:107], v[108:109] neg_lo:[0,0,1] neg_hi:[0,0,1]
	v_mov_b32_e32 v105, v111
	scratch_store_b64 off, v[104:105], off offset:176
.LBB113_103:
	s_wait_xcnt 0x0
	s_or_b32 exec_lo, exec_lo, s0
	s_wait_storecnt 0x0
	s_barrier_signal -1
	s_barrier_wait -1
	scratch_load_b64 v[104:105], off, off offset:184
	s_mov_b32 s0, exec_lo
	s_wait_loadcnt 0x0
	ds_store_b64 v1, v[104:105]
	s_wait_dscnt 0x0
	s_barrier_signal -1
	s_barrier_wait -1
	v_cmpx_gt_u32_e32 23, v0
	s_cbranch_execz .LBB113_107
; %bb.104:
	v_dual_mov_b32 v104, 0 :: v_dual_add_nc_u32 v9, -1, v0
	v_add_nc_u32_e32 v11, 0x190, v102
	v_mov_b32_e32 v13, v102
	s_mov_b32 s1, 0
	s_delay_alu instid0(VALU_DEP_3)
	v_mov_b32_e32 v105, v104
.LBB113_105:                            ; =>This Inner Loop Header: Depth=1
	scratch_load_b64 v[106:107], v13, off
	ds_load_b64 v[108:109], v11
	s_wait_xcnt 0x0
	v_dual_add_nc_u32 v11, 8, v11 :: v_dual_add_nc_u32 v13, 8, v13
	s_wait_loadcnt_dscnt 0x0
	v_pk_mul_f32 v[110:111], v[108:109], v[106:107] op_sel:[1,1] op_sel_hi:[0,1]
	s_delay_alu instid0(VALU_DEP_1) | instskip(SKIP_2) | instid1(VALU_DEP_3)
	v_pk_fma_f32 v[112:113], v[108:109], v[106:107], v[110:111] op_sel_hi:[1,0,1]
	v_add_nc_u32_e32 v9, 1, v9
	v_pk_fma_f32 v[106:107], v[108:109], v[106:107], v[110:111] neg_lo:[0,0,1] neg_hi:[0,0,1]
	v_mov_b32_e32 v107, v113
	s_delay_alu instid0(VALU_DEP_3) | instskip(NEXT) | instid1(VALU_DEP_2)
	v_cmp_lt_u32_e32 vcc_lo, 21, v9
	v_pk_add_f32 v[104:105], v[104:105], v[106:107]
	s_or_b32 s1, vcc_lo, s1
	s_delay_alu instid0(SALU_CYCLE_1)
	s_and_not1_b32 exec_lo, exec_lo, s1
	s_cbranch_execnz .LBB113_105
; %bb.106:
	s_or_b32 exec_lo, exec_lo, s1
	v_mov_b32_e32 v9, 0
	ds_load_b64 v[106:107], v9 offset:184
	s_wait_dscnt 0x0
	v_pk_mul_f32 v[108:109], v[104:105], v[106:107] op_sel:[1,1] op_sel_hi:[0,1]
	s_delay_alu instid0(VALU_DEP_1) | instskip(SKIP_1) | instid1(VALU_DEP_2)
	v_pk_fma_f32 v[110:111], v[104:105], v[106:107], v[108:109] op_sel_hi:[1,0,1]
	v_pk_fma_f32 v[104:105], v[104:105], v[106:107], v[108:109] neg_lo:[0,0,1] neg_hi:[0,0,1]
	v_mov_b32_e32 v105, v111
	scratch_store_b64 off, v[104:105], off offset:184
.LBB113_107:
	s_wait_xcnt 0x0
	s_or_b32 exec_lo, exec_lo, s0
	s_wait_storecnt 0x0
	s_barrier_signal -1
	s_barrier_wait -1
	scratch_load_b64 v[104:105], off, off offset:192
	;; [unrolled: 52-line block ×27, first 2 shown]
	s_mov_b32 s0, exec_lo
	s_wait_loadcnt 0x0
	ds_store_b64 v1, v[104:105]
	s_wait_dscnt 0x0
	s_barrier_signal -1
	s_barrier_wait -1
	v_cmpx_ne_u32_e32 49, v0
	s_cbranch_execz .LBB113_211
; %bb.208:
	v_dual_mov_b32 v104, 0 :: v_dual_mov_b32 v9, v102
	s_mov_b32 s1, 0
	s_delay_alu instid0(VALU_DEP_1)
	v_mov_b32_e32 v105, v104
.LBB113_209:                            ; =>This Inner Loop Header: Depth=1
	scratch_load_b64 v[102:103], v9, off
	ds_load_b64 v[106:107], v1
	v_add_nc_u32_e32 v1, 8, v1
	s_wait_xcnt 0x0
	v_add_nc_u32_e32 v9, 8, v9
	s_wait_loadcnt_dscnt 0x0
	v_pk_mul_f32 v[108:109], v[106:107], v[102:103] op_sel:[1,1] op_sel_hi:[0,1]
	s_delay_alu instid0(VALU_DEP_1) | instskip(SKIP_2) | instid1(VALU_DEP_3)
	v_pk_fma_f32 v[110:111], v[106:107], v[102:103], v[108:109] op_sel_hi:[1,0,1]
	v_add_nc_u32_e32 v7, 1, v7
	v_pk_fma_f32 v[102:103], v[106:107], v[102:103], v[108:109] neg_lo:[0,0,1] neg_hi:[0,0,1]
	v_mov_b32_e32 v103, v111
	s_delay_alu instid0(VALU_DEP_3) | instskip(NEXT) | instid1(VALU_DEP_2)
	v_cmp_lt_u32_e32 vcc_lo, 47, v7
	v_pk_add_f32 v[104:105], v[104:105], v[102:103]
	s_or_b32 s1, vcc_lo, s1
	s_delay_alu instid0(SALU_CYCLE_1)
	s_and_not1_b32 exec_lo, exec_lo, s1
	s_cbranch_execnz .LBB113_209
; %bb.210:
	s_or_b32 exec_lo, exec_lo, s1
	v_mov_b32_e32 v1, 0
	ds_load_b64 v[102:103], v1 offset:392
	s_wait_dscnt 0x0
	v_pk_mul_f32 v[106:107], v[104:105], v[102:103] op_sel:[1,1] op_sel_hi:[0,1]
	s_delay_alu instid0(VALU_DEP_1) | instskip(SKIP_1) | instid1(VALU_DEP_2)
	v_pk_fma_f32 v[108:109], v[104:105], v[102:103], v[106:107] op_sel_hi:[1,0,1]
	v_pk_fma_f32 v[102:103], v[104:105], v[102:103], v[106:107] neg_lo:[0,0,1] neg_hi:[0,0,1]
	v_mov_b32_e32 v103, v109
	scratch_store_b64 off, v[102:103], off offset:392
.LBB113_211:
	s_wait_xcnt 0x0
	s_or_b32 exec_lo, exec_lo, s0
	s_mov_b32 s1, -1
	s_wait_storecnt 0x0
	s_barrier_signal -1
	s_barrier_wait -1
.LBB113_212:
	s_and_b32 vcc_lo, exec_lo, s1
	s_cbranch_vccz .LBB113_214
; %bb.213:
	v_mov_b32_e32 v1, 0
	s_lshl_b64 s[0:1], s[10:11], 2
	s_delay_alu instid0(SALU_CYCLE_1)
	s_add_nc_u64 s[0:1], s[6:7], s[0:1]
	global_load_b32 v1, v1, s[0:1]
	s_wait_loadcnt 0x0
	v_cmp_ne_u32_e32 vcc_lo, 0, v1
	s_cbranch_vccz .LBB113_215
.LBB113_214:
	s_sendmsg sendmsg(MSG_DEALLOC_VGPRS)
	s_endpgm
.LBB113_215:
	s_wait_xcnt 0x0
	v_lshl_add_u32 v1, v0, 3, 0x190
	s_mov_b32 s0, exec_lo
	v_cmpx_eq_u32_e32 49, v0
	s_cbranch_execz .LBB113_217
; %bb.216:
	scratch_load_b64 v[102:103], off, off offset:384
	v_mov_b64_e32 v[104:105], 0
	scratch_store_b64 off, v[104:105], off offset:384
	s_wait_loadcnt 0x0
	ds_store_b64 v1, v[102:103]
.LBB113_217:
	s_wait_xcnt 0x0
	s_or_b32 exec_lo, exec_lo, s0
	s_wait_storecnt_dscnt 0x0
	s_barrier_signal -1
	s_barrier_wait -1
	s_clause 0x1
	scratch_load_b64 v[102:103], off, off offset:392
	scratch_load_b64 v[104:105], off, off offset:384
	v_mov_b32_e32 v7, 0
	s_mov_b32 s0, exec_lo
	ds_load_b64 v[106:107], v7 offset:792
	s_wait_loadcnt_dscnt 0x100
	v_pk_mul_f32 v[108:109], v[106:107], v[102:103] op_sel:[1,1] op_sel_hi:[0,1]
	s_delay_alu instid0(VALU_DEP_1) | instskip(SKIP_1) | instid1(VALU_DEP_2)
	v_pk_fma_f32 v[110:111], v[106:107], v[102:103], v[108:109] op_sel_hi:[1,0,1]
	v_pk_fma_f32 v[102:103], v[106:107], v[102:103], v[108:109] neg_lo:[0,0,1] neg_hi:[0,0,1]
	v_mov_b32_e32 v103, v111
	s_delay_alu instid0(VALU_DEP_1) | instskip(SKIP_1) | instid1(VALU_DEP_1)
	v_pk_add_f32 v[102:103], v[102:103], 0 op_sel_hi:[1,0]
	s_wait_loadcnt 0x0
	v_pk_add_f32 v[102:103], v[104:105], v[102:103] neg_lo:[0,1] neg_hi:[0,1]
	scratch_store_b64 off, v[102:103], off offset:384
	s_wait_xcnt 0x0
	v_cmpx_lt_u32_e32 47, v0
	s_cbranch_execz .LBB113_219
; %bb.218:
	scratch_load_b64 v[102:103], off, off offset:376
	v_mov_b64_e32 v[104:105], 0
	scratch_store_b64 off, v[104:105], off offset:376
	s_wait_loadcnt 0x0
	ds_store_b64 v1, v[102:103]
.LBB113_219:
	s_wait_xcnt 0x0
	s_or_b32 exec_lo, exec_lo, s0
	s_wait_storecnt_dscnt 0x0
	s_barrier_signal -1
	s_barrier_wait -1
	s_clause 0x1
	scratch_load_b128 v[102:105], off, off offset:384
	scratch_load_b64 v[110:111], off, off offset:376
	ds_load_b128 v[106:109], v7 offset:784
	s_mov_b32 s0, exec_lo
	s_wait_dscnt 0x0
	v_dual_mov_b32 v112, v109 :: v_dual_mov_b32 v113, v108
	s_wait_loadcnt 0x1
	v_pk_mul_f32 v[114:115], v[106:107], v[102:103] op_sel:[1,1] op_sel_hi:[0,1]
	s_delay_alu instid0(VALU_DEP_1) | instskip(SKIP_2) | instid1(VALU_DEP_3)
	v_pk_fma_f32 v[118:119], v[106:107], v[102:103], v[114:115] op_sel_hi:[1,0,1]
	v_mov_b32_e32 v116, v105
	v_pk_fma_f32 v[102:103], v[106:107], v[102:103], v[114:115] neg_lo:[0,0,1] neg_hi:[0,0,1]
	v_mov_b32_e32 v103, v119
	s_delay_alu instid0(VALU_DEP_3) | instskip(NEXT) | instid1(VALU_DEP_2)
	v_pk_mul_f32 v[112:113], v[112:113], v[116:117] op_sel_hi:[1,0]
	v_pk_add_f32 v[102:103], v[102:103], 0 op_sel_hi:[1,0]
	s_delay_alu instid0(VALU_DEP_2) | instskip(SKIP_1) | instid1(VALU_DEP_2)
	v_pk_fma_f32 v[106:107], v[108:109], v[104:105], v[112:113] op_sel_hi:[1,0,1]
	v_pk_fma_f32 v[104:105], v[108:109], v[104:105], v[112:113] neg_lo:[0,0,1] neg_hi:[0,0,1]
	v_mov_b32_e32 v105, v107
	s_delay_alu instid0(VALU_DEP_1) | instskip(SKIP_1) | instid1(VALU_DEP_1)
	v_pk_add_f32 v[102:103], v[102:103], v[104:105]
	s_wait_loadcnt 0x0
	v_pk_add_f32 v[102:103], v[110:111], v[102:103] neg_lo:[0,1] neg_hi:[0,1]
	scratch_store_b64 off, v[102:103], off offset:376
	s_wait_xcnt 0x0
	v_cmpx_lt_u32_e32 46, v0
	s_cbranch_execz .LBB113_221
; %bb.220:
	scratch_load_b64 v[102:103], off, off offset:368
	v_mov_b64_e32 v[104:105], 0
	scratch_store_b64 off, v[104:105], off offset:368
	s_wait_loadcnt 0x0
	ds_store_b64 v1, v[102:103]
.LBB113_221:
	s_wait_xcnt 0x0
	s_or_b32 exec_lo, exec_lo, s0
	s_wait_storecnt_dscnt 0x0
	s_barrier_signal -1
	s_barrier_wait -1
	s_clause 0x2
	scratch_load_b128 v[102:105], off, off offset:376
	scratch_load_b64 v[110:111], off, off offset:392
	scratch_load_b64 v[112:113], off, off offset:368
	v_mov_b32_e32 v7, 0
	ds_load_2addr_b64 v[106:109], v7 offset0:97 offset1:98
	ds_load_b64 v[114:115], v7 offset:792
	s_mov_b32 s0, exec_lo
	s_wait_dscnt 0x1
	v_dual_mov_b32 v116, v109 :: v_dual_mov_b32 v117, v108
	s_wait_loadcnt 0x2
	v_mov_b32_e32 v120, v105
	v_pk_mul_f32 v[118:119], v[106:107], v[102:103] op_sel:[1,1] op_sel_hi:[0,1]
	s_delay_alu instid0(VALU_DEP_2) | instskip(NEXT) | instid1(VALU_DEP_2)
	v_pk_mul_f32 v[116:117], v[116:117], v[120:121] op_sel_hi:[1,0]
	v_pk_fma_f32 v[122:123], v[106:107], v[102:103], v[118:119] op_sel_hi:[1,0,1]
	v_pk_fma_f32 v[102:103], v[106:107], v[102:103], v[118:119] neg_lo:[0,0,1] neg_hi:[0,0,1]
	s_wait_loadcnt_dscnt 0x100
	v_pk_mul_f32 v[118:119], v[114:115], v[110:111] op_sel:[1,1] op_sel_hi:[0,1]
	v_pk_fma_f32 v[106:107], v[108:109], v[104:105], v[116:117] op_sel_hi:[1,0,1]
	v_mov_b32_e32 v103, v123
	v_pk_fma_f32 v[104:105], v[108:109], v[104:105], v[116:117] neg_lo:[0,0,1] neg_hi:[0,0,1]
	s_delay_alu instid0(VALU_DEP_4) | instskip(NEXT) | instid1(VALU_DEP_4)
	v_pk_fma_f32 v[108:109], v[114:115], v[110:111], v[118:119] neg_lo:[0,0,1] neg_hi:[0,0,1]
	v_mov_b32_e32 v105, v107
	s_delay_alu instid0(VALU_DEP_4) | instskip(SKIP_1) | instid1(VALU_DEP_2)
	v_pk_add_f32 v[102:103], v[102:103], 0 op_sel_hi:[1,0]
	v_pk_fma_f32 v[106:107], v[114:115], v[110:111], v[118:119] op_sel_hi:[1,0,1]
	v_pk_add_f32 v[102:103], v[102:103], v[104:105]
	s_delay_alu instid0(VALU_DEP_2) | instskip(NEXT) | instid1(VALU_DEP_1)
	v_mov_b32_e32 v109, v107
	v_pk_add_f32 v[102:103], v[102:103], v[108:109]
	s_wait_loadcnt 0x0
	s_delay_alu instid0(VALU_DEP_1)
	v_pk_add_f32 v[102:103], v[112:113], v[102:103] neg_lo:[0,1] neg_hi:[0,1]
	scratch_store_b64 off, v[102:103], off offset:368
	s_wait_xcnt 0x0
	v_cmpx_lt_u32_e32 45, v0
	s_cbranch_execz .LBB113_223
; %bb.222:
	scratch_load_b64 v[102:103], off, off offset:360
	v_mov_b64_e32 v[104:105], 0
	scratch_store_b64 off, v[104:105], off offset:360
	s_wait_loadcnt 0x0
	ds_store_b64 v1, v[102:103]
.LBB113_223:
	s_wait_xcnt 0x0
	s_or_b32 exec_lo, exec_lo, s0
	s_wait_storecnt_dscnt 0x0
	s_barrier_signal -1
	s_barrier_wait -1
	s_clause 0x2
	scratch_load_b128 v[102:105], off, off offset:368
	scratch_load_b128 v[106:109], off, off offset:384
	scratch_load_b64 v[118:119], off, off offset:360
	ds_load_b128 v[110:113], v7 offset:768
	ds_load_b128 v[114:117], v7 offset:784
	s_mov_b32 s0, exec_lo
	s_wait_dscnt 0x1
	v_dual_mov_b32 v120, v113 :: v_dual_mov_b32 v121, v112
	s_wait_loadcnt_dscnt 0x200
	v_dual_mov_b32 v126, v117 :: v_dual_mov_b32 v124, v105
	v_pk_mul_f32 v[122:123], v[110:111], v[102:103] op_sel:[1,1] op_sel_hi:[0,1]
	s_delay_alu instid0(VALU_DEP_2) | instskip(NEXT) | instid1(VALU_DEP_2)
	v_pk_mul_f32 v[120:121], v[120:121], v[124:125] op_sel_hi:[1,0]
	v_pk_fma_f32 v[128:129], v[110:111], v[102:103], v[122:123] op_sel_hi:[1,0,1]
	v_pk_fma_f32 v[102:103], v[110:111], v[102:103], v[122:123] neg_lo:[0,0,1] neg_hi:[0,0,1]
	v_mov_b32_e32 v127, v116
	s_wait_loadcnt 0x1
	v_pk_mul_f32 v[124:125], v[114:115], v[106:107] op_sel:[1,1] op_sel_hi:[0,1]
	v_pk_fma_f32 v[110:111], v[112:113], v[104:105], v[120:121] op_sel_hi:[1,0,1]
	v_dual_mov_b32 v103, v129 :: v_dual_mov_b32 v110, v109
	v_pk_fma_f32 v[104:105], v[112:113], v[104:105], v[120:121] neg_lo:[0,0,1] neg_hi:[0,0,1]
	s_delay_alu instid0(VALU_DEP_4) | instskip(NEXT) | instid1(VALU_DEP_4)
	v_pk_fma_f32 v[122:123], v[114:115], v[106:107], v[124:125] op_sel_hi:[1,0,1]
	v_mov_b32_e32 v105, v111
	s_delay_alu instid0(VALU_DEP_4) | instskip(SKIP_2) | instid1(VALU_DEP_3)
	v_pk_add_f32 v[102:103], v[102:103], 0 op_sel_hi:[1,0]
	v_pk_mul_f32 v[110:111], v[126:127], v[110:111] op_sel_hi:[1,0]
	v_pk_fma_f32 v[106:107], v[114:115], v[106:107], v[124:125] neg_lo:[0,0,1] neg_hi:[0,0,1]
	v_pk_add_f32 v[102:103], v[102:103], v[104:105]
	s_delay_alu instid0(VALU_DEP_3) | instskip(SKIP_2) | instid1(VALU_DEP_3)
	v_pk_fma_f32 v[104:105], v[116:117], v[108:109], v[110:111] op_sel_hi:[1,0,1]
	v_mov_b32_e32 v107, v123
	v_pk_fma_f32 v[108:109], v[116:117], v[108:109], v[110:111] neg_lo:[0,0,1] neg_hi:[0,0,1]
	v_mov_b32_e32 v109, v105
	s_delay_alu instid0(VALU_DEP_3) | instskip(NEXT) | instid1(VALU_DEP_1)
	v_pk_add_f32 v[102:103], v[102:103], v[106:107]
	v_pk_add_f32 v[102:103], v[102:103], v[108:109]
	s_wait_loadcnt 0x0
	s_delay_alu instid0(VALU_DEP_1)
	v_pk_add_f32 v[102:103], v[118:119], v[102:103] neg_lo:[0,1] neg_hi:[0,1]
	scratch_store_b64 off, v[102:103], off offset:360
	s_wait_xcnt 0x0
	v_cmpx_lt_u32_e32 44, v0
	s_cbranch_execz .LBB113_225
; %bb.224:
	scratch_load_b64 v[102:103], off, off offset:352
	v_mov_b64_e32 v[104:105], 0
	scratch_store_b64 off, v[104:105], off offset:352
	s_wait_loadcnt 0x0
	ds_store_b64 v1, v[102:103]
.LBB113_225:
	s_wait_xcnt 0x0
	s_or_b32 exec_lo, exec_lo, s0
	s_wait_storecnt_dscnt 0x0
	s_barrier_signal -1
	s_barrier_wait -1
	s_clause 0x3
	scratch_load_b128 v[102:105], off, off offset:360
	scratch_load_b128 v[106:109], off, off offset:376
	scratch_load_b64 v[118:119], off, off offset:392
	scratch_load_b64 v[120:121], off, off offset:352
	v_mov_b32_e32 v7, 0
	ds_load_2addr_b64 v[110:113], v7 offset0:95 offset1:96
	ds_load_2addr_b64 v[114:117], v7 offset0:97 offset1:98
	s_mov_b32 s0, exec_lo
	s_wait_dscnt 0x1
	v_dual_mov_b32 v122, v113 :: v_dual_mov_b32 v123, v112
	ds_load_b64 v[128:129], v7 offset:792
	s_wait_dscnt 0x1
	v_dual_mov_b32 v130, v117 :: v_dual_mov_b32 v131, v116
	s_wait_loadcnt 0x3
	v_pk_mul_f32 v[124:125], v[110:111], v[102:103] op_sel:[1,1] op_sel_hi:[0,1]
	v_mov_b32_e32 v126, v105
	s_delay_alu instid0(VALU_DEP_2) | instskip(NEXT) | instid1(VALU_DEP_2)
	v_pk_fma_f32 v[132:133], v[110:111], v[102:103], v[124:125] op_sel_hi:[1,0,1]
	v_pk_mul_f32 v[122:123], v[122:123], v[126:127] op_sel_hi:[1,0]
	v_pk_fma_f32 v[102:103], v[110:111], v[102:103], v[124:125] neg_lo:[0,0,1] neg_hi:[0,0,1]
	s_wait_loadcnt 0x2
	v_pk_mul_f32 v[126:127], v[114:115], v[106:107] op_sel:[1,1] op_sel_hi:[0,1]
	v_dual_mov_b32 v132, v109 :: v_dual_mov_b32 v103, v133
	v_pk_fma_f32 v[110:111], v[112:113], v[104:105], v[122:123] op_sel_hi:[1,0,1]
	v_pk_fma_f32 v[104:105], v[112:113], v[104:105], v[122:123] neg_lo:[0,0,1] neg_hi:[0,0,1]
	s_delay_alu instid0(VALU_DEP_4) | instskip(NEXT) | instid1(VALU_DEP_4)
	v_pk_fma_f32 v[124:125], v[114:115], v[106:107], v[126:127] op_sel_hi:[1,0,1]
	v_pk_mul_f32 v[130:131], v[130:131], v[132:133] op_sel_hi:[1,0]
	v_pk_add_f32 v[102:103], v[102:103], 0 op_sel_hi:[1,0]
	v_mov_b32_e32 v105, v111
	v_pk_fma_f32 v[106:107], v[114:115], v[106:107], v[126:127] neg_lo:[0,0,1] neg_hi:[0,0,1]
	v_mov_b32_e32 v107, v125
	v_pk_fma_f32 v[110:111], v[116:117], v[108:109], v[130:131] op_sel_hi:[1,0,1]
	v_pk_fma_f32 v[108:109], v[116:117], v[108:109], v[130:131] neg_lo:[0,0,1] neg_hi:[0,0,1]
	v_pk_add_f32 v[102:103], v[102:103], v[104:105]
	s_wait_loadcnt_dscnt 0x100
	v_pk_mul_f32 v[104:105], v[128:129], v[118:119] op_sel:[1,1] op_sel_hi:[0,1]
	s_delay_alu instid0(VALU_DEP_2) | instskip(NEXT) | instid1(VALU_DEP_2)
	v_pk_add_f32 v[102:103], v[102:103], v[106:107]
	v_pk_fma_f32 v[106:107], v[128:129], v[118:119], v[104:105] op_sel_hi:[1,0,1]
	v_mov_b32_e32 v109, v111
	v_pk_fma_f32 v[104:105], v[128:129], v[118:119], v[104:105] neg_lo:[0,0,1] neg_hi:[0,0,1]
	s_delay_alu instid0(VALU_DEP_3) | instskip(NEXT) | instid1(VALU_DEP_3)
	v_mov_b32_e32 v105, v107
	v_pk_add_f32 v[102:103], v[102:103], v[108:109]
	s_delay_alu instid0(VALU_DEP_1) | instskip(SKIP_1) | instid1(VALU_DEP_1)
	v_pk_add_f32 v[102:103], v[102:103], v[104:105]
	s_wait_loadcnt 0x0
	v_pk_add_f32 v[102:103], v[120:121], v[102:103] neg_lo:[0,1] neg_hi:[0,1]
	scratch_store_b64 off, v[102:103], off offset:352
	s_wait_xcnt 0x0
	v_cmpx_lt_u32_e32 43, v0
	s_cbranch_execz .LBB113_227
; %bb.226:
	scratch_load_b64 v[102:103], off, off offset:344
	v_mov_b64_e32 v[104:105], 0
	scratch_store_b64 off, v[104:105], off offset:344
	s_wait_loadcnt 0x0
	ds_store_b64 v1, v[102:103]
.LBB113_227:
	s_wait_xcnt 0x0
	s_or_b32 exec_lo, exec_lo, s0
	s_wait_storecnt_dscnt 0x0
	s_barrier_signal -1
	s_barrier_wait -1
	s_clause 0x3
	scratch_load_b128 v[102:105], off, off offset:352
	scratch_load_b128 v[106:109], off, off offset:368
	;; [unrolled: 1-line block ×3, first 2 shown]
	scratch_load_b64 v[126:127], off, off offset:344
	ds_load_b128 v[114:117], v7 offset:752
	ds_load_b128 v[118:121], v7 offset:768
	ds_load_b128 v[122:125], v7 offset:784
	s_mov_b32 s0, exec_lo
	s_wait_dscnt 0x2
	v_dual_mov_b32 v128, v117 :: v_dual_mov_b32 v129, v116
	s_wait_dscnt 0x1
	v_dual_mov_b32 v130, v121 :: v_dual_mov_b32 v131, v120
	;; [unrolled: 2-line block ×3, first 2 shown]
	s_wait_loadcnt 0x3
	v_pk_mul_f32 v[132:133], v[114:115], v[102:103] op_sel:[1,1] op_sel_hi:[0,1]
	v_mov_b32_e32 v134, v105
	s_delay_alu instid0(VALU_DEP_2) | instskip(NEXT) | instid1(VALU_DEP_2)
	v_pk_fma_f32 v[138:139], v[114:115], v[102:103], v[132:133] op_sel_hi:[1,0,1]
	v_pk_mul_f32 v[128:129], v[128:129], v[134:135] op_sel_hi:[1,0]
	v_pk_fma_f32 v[102:103], v[114:115], v[102:103], v[132:133] neg_lo:[0,0,1] neg_hi:[0,0,1]
	s_wait_loadcnt 0x2
	v_pk_mul_f32 v[134:135], v[118:119], v[106:107] op_sel:[1,1] op_sel_hi:[0,1]
	v_mov_b32_e32 v138, v109
	v_pk_fma_f32 v[114:115], v[116:117], v[104:105], v[128:129] op_sel_hi:[1,0,1]
	v_mov_b32_e32 v103, v139
	v_pk_fma_f32 v[104:105], v[116:117], v[104:105], v[128:129] neg_lo:[0,0,1] neg_hi:[0,0,1]
	v_pk_fma_f32 v[132:133], v[118:119], v[106:107], v[134:135] op_sel_hi:[1,0,1]
	v_pk_mul_f32 v[130:131], v[130:131], v[138:139] op_sel_hi:[1,0]
	v_mov_b32_e32 v105, v115
	v_pk_add_f32 v[102:103], v[102:103], 0 op_sel_hi:[1,0]
	v_pk_fma_f32 v[106:107], v[118:119], v[106:107], v[134:135] neg_lo:[0,0,1] neg_hi:[0,0,1]
	s_wait_loadcnt 0x1
	v_pk_mul_f32 v[114:115], v[122:123], v[110:111] op_sel:[1,1] op_sel_hi:[0,1]
	v_mov_b32_e32 v107, v133
	v_pk_fma_f32 v[116:117], v[120:121], v[108:109], v[130:131] op_sel_hi:[1,0,1]
	v_pk_add_f32 v[102:103], v[102:103], v[104:105]
	v_mov_b32_e32 v104, v113
	v_pk_fma_f32 v[108:109], v[120:121], v[108:109], v[130:131] neg_lo:[0,0,1] neg_hi:[0,0,1]
	v_pk_fma_f32 v[118:119], v[122:123], v[110:111], v[114:115] op_sel_hi:[1,0,1]
	v_mov_b32_e32 v109, v117
	v_pk_add_f32 v[102:103], v[102:103], v[106:107]
	v_pk_mul_f32 v[104:105], v[136:137], v[104:105] op_sel_hi:[1,0]
	v_pk_fma_f32 v[106:107], v[122:123], v[110:111], v[114:115] neg_lo:[0,0,1] neg_hi:[0,0,1]
	v_mov_b32_e32 v107, v119
	s_delay_alu instid0(VALU_DEP_4) | instskip(NEXT) | instid1(VALU_DEP_4)
	v_pk_add_f32 v[102:103], v[102:103], v[108:109]
	v_pk_fma_f32 v[108:109], v[124:125], v[112:113], v[104:105] op_sel_hi:[1,0,1]
	v_pk_fma_f32 v[104:105], v[124:125], v[112:113], v[104:105] neg_lo:[0,0,1] neg_hi:[0,0,1]
	s_delay_alu instid0(VALU_DEP_3) | instskip(NEXT) | instid1(VALU_DEP_3)
	v_pk_add_f32 v[102:103], v[102:103], v[106:107]
	v_mov_b32_e32 v105, v109
	s_delay_alu instid0(VALU_DEP_1) | instskip(SKIP_1) | instid1(VALU_DEP_1)
	v_pk_add_f32 v[102:103], v[102:103], v[104:105]
	s_wait_loadcnt 0x0
	v_pk_add_f32 v[102:103], v[126:127], v[102:103] neg_lo:[0,1] neg_hi:[0,1]
	scratch_store_b64 off, v[102:103], off offset:344
	s_wait_xcnt 0x0
	v_cmpx_lt_u32_e32 42, v0
	s_cbranch_execz .LBB113_229
; %bb.228:
	scratch_load_b64 v[102:103], off, off offset:336
	v_mov_b64_e32 v[104:105], 0
	scratch_store_b64 off, v[104:105], off offset:336
	s_wait_loadcnt 0x0
	ds_store_b64 v1, v[102:103]
.LBB113_229:
	s_wait_xcnt 0x0
	s_or_b32 exec_lo, exec_lo, s0
	s_wait_storecnt_dscnt 0x0
	s_barrier_signal -1
	s_barrier_wait -1
	s_clause 0x4
	scratch_load_b128 v[102:105], off, off offset:344
	scratch_load_b128 v[106:109], off, off offset:360
	;; [unrolled: 1-line block ×3, first 2 shown]
	scratch_load_b64 v[126:127], off, off offset:392
	scratch_load_b64 v[128:129], off, off offset:336
	v_mov_b32_e32 v7, 0
	ds_load_2addr_b64 v[114:117], v7 offset0:93 offset1:94
	ds_load_2addr_b64 v[118:121], v7 offset0:95 offset1:96
	;; [unrolled: 1-line block ×3, first 2 shown]
	ds_load_b64 v[130:131], v7 offset:792
	s_mov_b32 s0, exec_lo
	s_wait_dscnt 0x3
	v_dual_mov_b32 v132, v117 :: v_dual_mov_b32 v133, v116
	s_wait_dscnt 0x2
	v_dual_mov_b32 v134, v121 :: v_dual_mov_b32 v135, v120
	;; [unrolled: 2-line block ×3, first 2 shown]
	s_wait_loadcnt 0x4
	v_pk_mul_f32 v[136:137], v[114:115], v[102:103] op_sel:[1,1] op_sel_hi:[0,1]
	v_mov_b32_e32 v138, v105
	s_wait_loadcnt 0x3
	v_pk_mul_f32 v[142:143], v[118:119], v[106:107] op_sel:[1,1] op_sel_hi:[0,1]
	s_wait_loadcnt 0x2
	v_pk_mul_f32 v[146:147], v[122:123], v[110:111] op_sel:[1,1] op_sel_hi:[0,1]
	v_pk_fma_f32 v[144:145], v[114:115], v[102:103], v[136:137] op_sel_hi:[1,0,1]
	v_pk_mul_f32 v[132:133], v[132:133], v[138:139] op_sel_hi:[1,0]
	v_pk_fma_f32 v[102:103], v[114:115], v[102:103], v[136:137] neg_lo:[0,0,1] neg_hi:[0,0,1]
	v_mov_b32_e32 v138, v109
	v_pk_fma_f32 v[136:137], v[118:119], v[106:107], v[142:143] op_sel_hi:[1,0,1]
	v_mov_b32_e32 v103, v145
	v_pk_fma_f32 v[114:115], v[116:117], v[104:105], v[132:133] op_sel_hi:[1,0,1]
	v_pk_fma_f32 v[104:105], v[116:117], v[104:105], v[132:133] neg_lo:[0,0,1] neg_hi:[0,0,1]
	v_pk_mul_f32 v[134:135], v[134:135], v[138:139] op_sel_hi:[1,0]
	v_pk_fma_f32 v[106:107], v[118:119], v[106:107], v[142:143] neg_lo:[0,0,1] neg_hi:[0,0,1]
	v_pk_add_f32 v[102:103], v[102:103], 0 op_sel_hi:[1,0]
	v_dual_mov_b32 v105, v115 :: v_dual_mov_b32 v114, v113
	s_delay_alu instid0(VALU_DEP_4) | instskip(SKIP_2) | instid1(VALU_DEP_4)
	v_pk_fma_f32 v[116:117], v[120:121], v[108:109], v[134:135] op_sel_hi:[1,0,1]
	v_mov_b32_e32 v107, v137
	v_pk_fma_f32 v[108:109], v[120:121], v[108:109], v[134:135] neg_lo:[0,0,1] neg_hi:[0,0,1]
	v_pk_add_f32 v[102:103], v[102:103], v[104:105]
	v_pk_fma_f32 v[104:105], v[122:123], v[110:111], v[146:147] op_sel_hi:[1,0,1]
	v_pk_mul_f32 v[114:115], v[140:141], v[114:115] op_sel_hi:[1,0]
	v_mov_b32_e32 v109, v117
	s_delay_alu instid0(VALU_DEP_4)
	v_pk_add_f32 v[102:103], v[102:103], v[106:107]
	v_pk_fma_f32 v[106:107], v[122:123], v[110:111], v[146:147] neg_lo:[0,0,1] neg_hi:[0,0,1]
	v_mov_b32_e32 v107, v105
	v_pk_fma_f32 v[104:105], v[124:125], v[112:113], v[114:115] op_sel_hi:[1,0,1]
	v_pk_fma_f32 v[110:111], v[124:125], v[112:113], v[114:115] neg_lo:[0,0,1] neg_hi:[0,0,1]
	v_pk_add_f32 v[102:103], v[102:103], v[108:109]
	s_wait_loadcnt_dscnt 0x100
	v_pk_mul_f32 v[108:109], v[130:131], v[126:127] op_sel:[1,1] op_sel_hi:[0,1]
	v_mov_b32_e32 v111, v105
	s_delay_alu instid0(VALU_DEP_3) | instskip(NEXT) | instid1(VALU_DEP_3)
	v_pk_add_f32 v[102:103], v[102:103], v[106:107]
	v_pk_fma_f32 v[104:105], v[130:131], v[126:127], v[108:109] op_sel_hi:[1,0,1]
	v_pk_fma_f32 v[106:107], v[130:131], v[126:127], v[108:109] neg_lo:[0,0,1] neg_hi:[0,0,1]
	s_delay_alu instid0(VALU_DEP_3) | instskip(NEXT) | instid1(VALU_DEP_3)
	v_pk_add_f32 v[102:103], v[102:103], v[110:111]
	v_mov_b32_e32 v107, v105
	s_delay_alu instid0(VALU_DEP_1) | instskip(SKIP_1) | instid1(VALU_DEP_1)
	v_pk_add_f32 v[102:103], v[102:103], v[106:107]
	s_wait_loadcnt 0x0
	v_pk_add_f32 v[102:103], v[128:129], v[102:103] neg_lo:[0,1] neg_hi:[0,1]
	scratch_store_b64 off, v[102:103], off offset:336
	s_wait_xcnt 0x0
	v_cmpx_lt_u32_e32 41, v0
	s_cbranch_execz .LBB113_231
; %bb.230:
	scratch_load_b64 v[102:103], off, off offset:328
	v_mov_b64_e32 v[104:105], 0
	scratch_store_b64 off, v[104:105], off offset:328
	s_wait_loadcnt 0x0
	ds_store_b64 v1, v[102:103]
.LBB113_231:
	s_wait_xcnt 0x0
	s_or_b32 exec_lo, exec_lo, s0
	s_wait_storecnt_dscnt 0x0
	s_barrier_signal -1
	s_barrier_wait -1
	s_clause 0x4
	scratch_load_b128 v[102:105], off, off offset:336
	scratch_load_b128 v[106:109], off, off offset:352
	;; [unrolled: 1-line block ×4, first 2 shown]
	scratch_load_b64 v[134:135], off, off offset:328
	ds_load_b128 v[118:121], v7 offset:736
	ds_load_b128 v[122:125], v7 offset:752
	;; [unrolled: 1-line block ×4, first 2 shown]
	s_mov_b32 s0, exec_lo
	s_wait_dscnt 0x3
	v_dual_mov_b32 v136, v121 :: v_dual_mov_b32 v137, v120
	s_wait_dscnt 0x2
	v_dual_mov_b32 v138, v125 :: v_dual_mov_b32 v139, v124
	;; [unrolled: 2-line block ×3, first 2 shown]
	v_dual_mov_b32 v141, v128 :: v_dual_mov_b32 v146, v133
	s_wait_loadcnt 0x4
	v_mov_b32_e32 v144, v105
	v_pk_mul_f32 v[142:143], v[118:119], v[102:103] op_sel:[1,1] op_sel_hi:[0,1]
	s_wait_loadcnt 0x3
	v_pk_mul_f32 v[148:149], v[122:123], v[106:107] op_sel:[1,1] op_sel_hi:[0,1]
	s_wait_loadcnt 0x2
	v_pk_mul_f32 v[152:153], v[126:127], v[110:111] op_sel:[1,1] op_sel_hi:[0,1]
	v_pk_mul_f32 v[136:137], v[136:137], v[144:145] op_sel_hi:[1,0]
	v_pk_fma_f32 v[150:151], v[118:119], v[102:103], v[142:143] op_sel_hi:[1,0,1]
	v_pk_fma_f32 v[102:103], v[118:119], v[102:103], v[142:143] neg_lo:[0,0,1] neg_hi:[0,0,1]
	v_mov_b32_e32 v144, v109
	v_pk_fma_f32 v[142:143], v[122:123], v[106:107], v[148:149] op_sel_hi:[1,0,1]
	v_pk_fma_f32 v[118:119], v[120:121], v[104:105], v[136:137] op_sel_hi:[1,0,1]
	v_mov_b32_e32 v103, v151
	v_pk_fma_f32 v[104:105], v[120:121], v[104:105], v[136:137] neg_lo:[0,0,1] neg_hi:[0,0,1]
	v_pk_mul_f32 v[138:139], v[138:139], v[144:145] op_sel_hi:[1,0]
	s_delay_alu instid0(VALU_DEP_4) | instskip(NEXT) | instid1(VALU_DEP_4)
	v_dual_mov_b32 v118, v113 :: v_dual_mov_b32 v105, v119
	v_pk_add_f32 v[102:103], v[102:103], 0 op_sel_hi:[1,0]
	v_pk_fma_f32 v[106:107], v[122:123], v[106:107], v[148:149] neg_lo:[0,0,1] neg_hi:[0,0,1]
	v_mov_b32_e32 v107, v143
	v_pk_fma_f32 v[120:121], v[124:125], v[108:109], v[138:139] op_sel_hi:[1,0,1]
	v_pk_mul_f32 v[118:119], v[140:141], v[118:119] op_sel_hi:[1,0]
	v_pk_add_f32 v[102:103], v[102:103], v[104:105]
	v_pk_fma_f32 v[104:105], v[126:127], v[110:111], v[152:153] op_sel_hi:[1,0,1]
	v_pk_fma_f32 v[108:109], v[124:125], v[108:109], v[138:139] neg_lo:[0,0,1] neg_hi:[0,0,1]
	v_mov_b32_e32 v109, v121
	v_pk_fma_f32 v[110:111], v[126:127], v[110:111], v[152:153] neg_lo:[0,0,1] neg_hi:[0,0,1]
	v_pk_add_f32 v[102:103], v[102:103], v[106:107]
	v_mov_b32_e32 v111, v105
	v_pk_fma_f32 v[104:105], v[128:129], v[112:113], v[118:119] op_sel_hi:[1,0,1]
	s_wait_loadcnt 0x1
	v_pk_mul_f32 v[106:107], v[130:131], v[114:115] op_sel:[1,1] op_sel_hi:[0,1]
	v_mov_b32_e32 v104, v117
	v_pk_add_f32 v[102:103], v[102:103], v[108:109]
	v_pk_fma_f32 v[112:113], v[128:129], v[112:113], v[118:119] neg_lo:[0,0,1] neg_hi:[0,0,1]
	v_mov_b32_e32 v113, v105
	v_pk_fma_f32 v[108:109], v[130:131], v[114:115], v[106:107] op_sel_hi:[1,0,1]
	v_pk_mul_f32 v[104:105], v[146:147], v[104:105] op_sel_hi:[1,0]
	v_pk_add_f32 v[102:103], v[102:103], v[110:111]
	v_pk_fma_f32 v[106:107], v[130:131], v[114:115], v[106:107] neg_lo:[0,0,1] neg_hi:[0,0,1]
	s_delay_alu instid0(VALU_DEP_4) | instskip(NEXT) | instid1(VALU_DEP_4)
	v_mov_b32_e32 v107, v109
	v_pk_fma_f32 v[108:109], v[132:133], v[116:117], v[104:105] op_sel_hi:[1,0,1]
	s_delay_alu instid0(VALU_DEP_4) | instskip(SKIP_1) | instid1(VALU_DEP_3)
	v_pk_add_f32 v[102:103], v[102:103], v[112:113]
	v_pk_fma_f32 v[104:105], v[132:133], v[116:117], v[104:105] neg_lo:[0,0,1] neg_hi:[0,0,1]
	v_mov_b32_e32 v105, v109
	s_delay_alu instid0(VALU_DEP_3) | instskip(NEXT) | instid1(VALU_DEP_1)
	v_pk_add_f32 v[102:103], v[102:103], v[106:107]
	v_pk_add_f32 v[102:103], v[102:103], v[104:105]
	s_wait_loadcnt 0x0
	s_delay_alu instid0(VALU_DEP_1)
	v_pk_add_f32 v[102:103], v[134:135], v[102:103] neg_lo:[0,1] neg_hi:[0,1]
	scratch_store_b64 off, v[102:103], off offset:328
	s_wait_xcnt 0x0
	v_cmpx_lt_u32_e32 40, v0
	s_cbranch_execz .LBB113_233
; %bb.232:
	scratch_load_b64 v[102:103], off, off offset:320
	v_mov_b64_e32 v[104:105], 0
	scratch_store_b64 off, v[104:105], off offset:320
	s_wait_loadcnt 0x0
	ds_store_b64 v1, v[102:103]
.LBB113_233:
	s_wait_xcnt 0x0
	s_or_b32 exec_lo, exec_lo, s0
	s_wait_storecnt_dscnt 0x0
	s_barrier_signal -1
	s_barrier_wait -1
	s_clause 0x5
	scratch_load_b128 v[102:105], off, off offset:328
	scratch_load_b128 v[106:109], off, off offset:344
	;; [unrolled: 1-line block ×4, first 2 shown]
	scratch_load_b64 v[134:135], off, off offset:392
	scratch_load_b64 v[136:137], off, off offset:320
	v_mov_b32_e32 v7, 0
	ds_load_2addr_b64 v[118:121], v7 offset0:91 offset1:92
	ds_load_2addr_b64 v[122:125], v7 offset0:93 offset1:94
	;; [unrolled: 1-line block ×4, first 2 shown]
	ds_load_b64 v[138:139], v7 offset:792
	s_mov_b32 s0, exec_lo
	s_wait_dscnt 0x4
	v_dual_mov_b32 v140, v121 :: v_dual_mov_b32 v141, v120
	s_wait_dscnt 0x1
	v_dual_mov_b32 v142, v125 :: v_dual_mov_b32 v147, v132
	v_dual_mov_b32 v143, v124 :: v_dual_mov_b32 v144, v129
	;; [unrolled: 1-line block ×3, first 2 shown]
	s_wait_loadcnt 0x5
	v_dual_mov_b32 v148, v105 :: v_dual_mul_f32 v149, v118, v103
	v_mul_f32_e32 v9, v119, v103
	s_wait_loadcnt 0x4
	v_pk_mul_f32 v[150:151], v[122:123], v[106:107] op_sel:[1,1] op_sel_hi:[0,1]
	v_mov_b32_e32 v152, v109
	s_wait_loadcnt 0x3
	v_pk_mul_f32 v[154:155], v[126:127], v[110:111] op_sel:[1,1] op_sel_hi:[0,1]
	v_pk_mul_f32 v[140:141], v[140:141], v[148:149] op_sel_hi:[1,0]
	v_fmac_f32_e32 v149, v119, v102
	v_dual_fma_f32 v148, v118, v102, -v9 :: v_dual_mov_b32 v102, v113
	v_pk_fma_f32 v[156:157], v[122:123], v[106:107], v[150:151] op_sel_hi:[1,0,1]
	s_delay_alu instid0(VALU_DEP_4)
	v_pk_fma_f32 v[118:119], v[120:121], v[104:105], v[140:141] op_sel_hi:[1,0,1]
	v_pk_fma_f32 v[104:105], v[120:121], v[104:105], v[140:141] neg_lo:[0,0,1] neg_hi:[0,0,1]
	v_pk_mul_f32 v[142:143], v[142:143], v[152:153] op_sel_hi:[1,0]
	v_pk_add_f32 v[148:149], v[148:149], 0 op_sel_hi:[1,0]
	v_pk_fma_f32 v[106:107], v[122:123], v[106:107], v[150:151] neg_lo:[0,0,1] neg_hi:[0,0,1]
	v_dual_mov_b32 v105, v119 :: v_dual_mov_b32 v107, v157
	s_delay_alu instid0(VALU_DEP_4) | instskip(SKIP_2) | instid1(VALU_DEP_4)
	v_pk_fma_f32 v[120:121], v[124:125], v[108:109], v[142:143] op_sel_hi:[1,0,1]
	v_pk_fma_f32 v[108:109], v[124:125], v[108:109], v[142:143] neg_lo:[0,0,1] neg_hi:[0,0,1]
	v_pk_fma_f32 v[122:123], v[126:127], v[110:111], v[154:155] op_sel_hi:[1,0,1]
	v_pk_add_f32 v[104:105], v[148:149], v[104:105]
	v_pk_mul_f32 v[102:103], v[144:145], v[102:103] op_sel_hi:[1,0]
	v_mov_b32_e32 v109, v121
	v_pk_fma_f32 v[110:111], v[126:127], v[110:111], v[154:155] neg_lo:[0,0,1] neg_hi:[0,0,1]
	s_wait_loadcnt 0x2
	v_pk_mul_f32 v[118:119], v[130:131], v[114:115] op_sel:[1,1] op_sel_hi:[0,1]
	v_pk_add_f32 v[104:105], v[104:105], v[106:107]
	v_mov_b32_e32 v106, v117
	v_pk_fma_f32 v[120:121], v[128:129], v[112:113], v[102:103] op_sel_hi:[1,0,1]
	v_mov_b32_e32 v111, v123
	v_pk_fma_f32 v[102:103], v[128:129], v[112:113], v[102:103] neg_lo:[0,0,1] neg_hi:[0,0,1]
	v_pk_add_f32 v[104:105], v[104:105], v[108:109]
	v_pk_fma_f32 v[108:109], v[130:131], v[114:115], v[118:119] op_sel_hi:[1,0,1]
	v_pk_mul_f32 v[106:107], v[146:147], v[106:107] op_sel_hi:[1,0]
	v_mov_b32_e32 v103, v121
	s_delay_alu instid0(VALU_DEP_4)
	v_pk_add_f32 v[104:105], v[104:105], v[110:111]
	v_pk_fma_f32 v[110:111], v[130:131], v[114:115], v[118:119] neg_lo:[0,0,1] neg_hi:[0,0,1]
	v_mov_b32_e32 v111, v109
	v_pk_fma_f32 v[108:109], v[132:133], v[116:117], v[106:107] op_sel_hi:[1,0,1]
	v_pk_fma_f32 v[106:107], v[132:133], v[116:117], v[106:107] neg_lo:[0,0,1] neg_hi:[0,0,1]
	v_pk_add_f32 v[102:103], v[104:105], v[102:103]
	s_wait_loadcnt_dscnt 0x100
	v_pk_mul_f32 v[104:105], v[138:139], v[134:135] op_sel:[1,1] op_sel_hi:[0,1]
	v_mov_b32_e32 v107, v109
	s_delay_alu instid0(VALU_DEP_3) | instskip(NEXT) | instid1(VALU_DEP_3)
	v_pk_add_f32 v[102:103], v[102:103], v[110:111]
	v_pk_fma_f32 v[108:109], v[138:139], v[134:135], v[104:105] op_sel_hi:[1,0,1]
	v_pk_fma_f32 v[104:105], v[138:139], v[134:135], v[104:105] neg_lo:[0,0,1] neg_hi:[0,0,1]
	s_delay_alu instid0(VALU_DEP_3) | instskip(NEXT) | instid1(VALU_DEP_3)
	v_pk_add_f32 v[102:103], v[102:103], v[106:107]
	v_mov_b32_e32 v105, v109
	s_delay_alu instid0(VALU_DEP_1) | instskip(SKIP_1) | instid1(VALU_DEP_1)
	v_pk_add_f32 v[102:103], v[102:103], v[104:105]
	s_wait_loadcnt 0x0
	v_pk_add_f32 v[102:103], v[136:137], v[102:103] neg_lo:[0,1] neg_hi:[0,1]
	scratch_store_b64 off, v[102:103], off offset:320
	s_wait_xcnt 0x0
	v_cmpx_lt_u32_e32 39, v0
	s_cbranch_execz .LBB113_235
; %bb.234:
	scratch_load_b64 v[102:103], off, off offset:312
	v_mov_b64_e32 v[104:105], 0
	scratch_store_b64 off, v[104:105], off offset:312
	s_wait_loadcnt 0x0
	ds_store_b64 v1, v[102:103]
.LBB113_235:
	s_wait_xcnt 0x0
	s_or_b32 exec_lo, exec_lo, s0
	s_wait_storecnt_dscnt 0x0
	s_barrier_signal -1
	s_barrier_wait -1
	s_clause 0x5
	scratch_load_b128 v[102:105], off, off offset:320
	scratch_load_b128 v[106:109], off, off offset:336
	;; [unrolled: 1-line block ×5, first 2 shown]
	scratch_load_b64 v[142:143], off, off offset:312
	ds_load_b128 v[122:125], v7 offset:736
	ds_load_b128 v[126:129], v7 offset:752
	ds_load_b128 v[130:133], v7 offset:768
	ds_load_b128 v[134:137], v7 offset:784
	ds_load_b128 v[138:141], v7 offset:720
	s_mov_b32 s0, exec_lo
	s_wait_dscnt 0x4
	v_dual_mov_b32 v144, v125 :: v_dual_mov_b32 v145, v124
	s_wait_dscnt 0x3
	v_dual_mov_b32 v146, v129 :: v_dual_mov_b32 v147, v128
	;; [unrolled: 2-line block ×4, first 2 shown]
	s_wait_loadcnt_dscnt 0x500
	v_dual_mul_f32 v153, v138, v103 :: v_dual_mul_f32 v155, v140, v105
	v_dual_mul_f32 v7, v139, v103 :: v_dual_mul_f32 v9, v141, v105
	s_wait_loadcnt 0x4
	v_pk_mul_f32 v[156:157], v[122:123], v[106:107] op_sel:[1,1] op_sel_hi:[0,1]
	s_wait_loadcnt 0x3
	v_dual_mov_b32 v158, v109 :: v_dual_mov_b32 v162, v113
	v_dual_fmac_f32 v153, v139, v102 :: v_dual_fma_f32 v152, v138, v102, -v7
	v_dual_fmac_f32 v155, v141, v104 :: v_dual_fma_f32 v154, v140, v104, -v9
	v_pk_fma_f32 v[102:103], v[122:123], v[106:107], v[156:157] op_sel_hi:[1,0,1]
	s_delay_alu instid0(VALU_DEP_4) | instskip(NEXT) | instid1(VALU_DEP_4)
	v_pk_mul_f32 v[104:105], v[144:145], v[158:159] op_sel_hi:[1,0]
	v_pk_add_f32 v[138:139], v[152:153], 0 op_sel_hi:[1,0]
	v_pk_fma_f32 v[106:107], v[122:123], v[106:107], v[156:157] neg_lo:[0,0,1] neg_hi:[0,0,1]
	v_pk_mul_f32 v[160:161], v[126:127], v[110:111] op_sel:[1,1] op_sel_hi:[0,1]
	v_mov_b32_e32 v107, v103
	v_pk_fma_f32 v[102:103], v[124:125], v[108:109], v[104:105] op_sel_hi:[1,0,1]
	v_pk_add_f32 v[122:123], v[138:139], v[154:155]
	v_pk_fma_f32 v[104:105], v[124:125], v[108:109], v[104:105] neg_lo:[0,0,1] neg_hi:[0,0,1]
	v_pk_fma_f32 v[138:139], v[126:127], v[110:111], v[160:161] op_sel_hi:[1,0,1]
	v_pk_mul_f32 v[144:145], v[146:147], v[162:163] op_sel_hi:[1,0]
	v_mov_b32_e32 v105, v103
	v_pk_add_f32 v[102:103], v[122:123], v[106:107]
	s_wait_loadcnt 0x2
	v_pk_mul_f32 v[140:141], v[130:131], v[114:115] op_sel:[1,1] op_sel_hi:[0,1]
	v_mov_b32_e32 v106, v117
	v_pk_fma_f32 v[108:109], v[126:127], v[110:111], v[160:161] neg_lo:[0,0,1] neg_hi:[0,0,1]
	v_mov_b32_e32 v109, v139
	v_pk_fma_f32 v[110:111], v[128:129], v[112:113], v[144:145] op_sel_hi:[1,0,1]
	v_pk_add_f32 v[102:103], v[102:103], v[104:105]
	v_pk_fma_f32 v[104:105], v[130:131], v[114:115], v[140:141] op_sel_hi:[1,0,1]
	v_pk_mul_f32 v[106:107], v[148:149], v[106:107] op_sel_hi:[1,0]
	v_pk_fma_f32 v[112:113], v[128:129], v[112:113], v[144:145] neg_lo:[0,0,1] neg_hi:[0,0,1]
	v_mov_b32_e32 v113, v111
	v_pk_add_f32 v[102:103], v[102:103], v[108:109]
	v_pk_fma_f32 v[110:111], v[130:131], v[114:115], v[140:141] neg_lo:[0,0,1] neg_hi:[0,0,1]
	v_mov_b32_e32 v111, v105
	v_pk_fma_f32 v[104:105], v[132:133], v[116:117], v[106:107] op_sel_hi:[1,0,1]
	s_wait_loadcnt 0x1
	v_pk_mul_f32 v[108:109], v[134:135], v[118:119] op_sel:[1,1] op_sel_hi:[0,1]
	v_pk_add_f32 v[102:103], v[102:103], v[112:113]
	v_mov_b32_e32 v104, v121
	v_pk_fma_f32 v[106:107], v[132:133], v[116:117], v[106:107] neg_lo:[0,0,1] neg_hi:[0,0,1]
	v_mov_b32_e32 v107, v105
	v_pk_fma_f32 v[112:113], v[134:135], v[118:119], v[108:109] op_sel_hi:[1,0,1]
	v_pk_add_f32 v[102:103], v[102:103], v[110:111]
	v_pk_mul_f32 v[104:105], v[150:151], v[104:105] op_sel_hi:[1,0]
	v_pk_fma_f32 v[108:109], v[134:135], v[118:119], v[108:109] neg_lo:[0,0,1] neg_hi:[0,0,1]
	s_delay_alu instid0(VALU_DEP_3) | instskip(NEXT) | instid1(VALU_DEP_3)
	v_pk_add_f32 v[102:103], v[102:103], v[106:107]
	v_pk_fma_f32 v[106:107], v[136:137], v[120:121], v[104:105] op_sel_hi:[1,0,1]
	v_mov_b32_e32 v109, v113
	v_pk_fma_f32 v[104:105], v[136:137], v[120:121], v[104:105] neg_lo:[0,0,1] neg_hi:[0,0,1]
	s_delay_alu instid0(VALU_DEP_3) | instskip(NEXT) | instid1(VALU_DEP_3)
	v_mov_b32_e32 v105, v107
	v_pk_add_f32 v[102:103], v[102:103], v[108:109]
	s_delay_alu instid0(VALU_DEP_1) | instskip(SKIP_1) | instid1(VALU_DEP_1)
	v_pk_add_f32 v[102:103], v[102:103], v[104:105]
	s_wait_loadcnt 0x0
	v_pk_add_f32 v[102:103], v[142:143], v[102:103] neg_lo:[0,1] neg_hi:[0,1]
	scratch_store_b64 off, v[102:103], off offset:312
	s_wait_xcnt 0x0
	v_cmpx_lt_u32_e32 38, v0
	s_cbranch_execz .LBB113_237
; %bb.236:
	scratch_load_b64 v[102:103], off, off offset:304
	v_mov_b64_e32 v[104:105], 0
	scratch_store_b64 off, v[104:105], off offset:304
	s_wait_loadcnt 0x0
	ds_store_b64 v1, v[102:103]
.LBB113_237:
	s_wait_xcnt 0x0
	s_or_b32 exec_lo, exec_lo, s0
	s_wait_storecnt_dscnt 0x0
	s_barrier_signal -1
	s_barrier_wait -1
	s_clause 0x6
	scratch_load_b128 v[102:105], off, off offset:312
	scratch_load_b128 v[106:109], off, off offset:328
	scratch_load_b128 v[110:113], off, off offset:344
	scratch_load_b128 v[114:117], off, off offset:360
	scratch_load_b128 v[118:121], off, off offset:376
	scratch_load_b64 v[142:143], off, off offset:392
	scratch_load_b64 v[144:145], off, off offset:304
	v_mov_b32_e32 v7, 0
	ds_load_2addr_b64 v[122:125], v7 offset0:91 offset1:92
	ds_load_2addr_b64 v[126:129], v7 offset0:93 offset1:94
	;; [unrolled: 1-line block ×5, first 2 shown]
	ds_load_b64 v[146:147], v7 offset:792
	s_mov_b32 s0, exec_lo
	s_wait_dscnt 0x5
	v_dual_mov_b32 v148, v125 :: v_dual_mov_b32 v149, v124
	s_wait_dscnt 0x2
	v_dual_mov_b32 v150, v129 :: v_dual_mov_b32 v155, v136
	v_dual_mov_b32 v151, v128 :: v_dual_mov_b32 v152, v133
	;; [unrolled: 1-line block ×3, first 2 shown]
	s_wait_loadcnt_dscnt 0x601
	v_dual_mul_f32 v9, v138, v103 :: v_dual_mul_f32 v11, v139, v103
	v_dual_mul_f32 v13, v141, v105 :: v_dual_mul_f32 v157, v140, v105
	s_wait_loadcnt 0x5
	v_dual_mul_f32 v159, v122, v107 :: v_dual_mul_f32 v15, v123, v107
	s_wait_loadcnt 0x4
	v_dual_mov_b32 v158, v109 :: v_dual_mov_b32 v162, v113
	v_dual_fmac_f32 v9, v139, v102 :: v_dual_fma_f32 v11, v138, v102, -v11
	v_fmac_f32_e32 v157, v141, v104
	v_pk_mul_f32 v[160:161], v[126:127], v[110:111] op_sel:[1,1] op_sel_hi:[0,1]
	s_delay_alu instid0(VALU_DEP_3)
	v_dual_fma_f32 v156, v140, v104, -v13 :: v_dual_add_f32 v105, 0, v9
	v_pk_mul_f32 v[102:103], v[148:149], v[158:159] op_sel_hi:[1,0]
	s_wait_loadcnt 0x3
	v_dual_add_f32 v104, 0, v11 :: v_dual_mov_b32 v138, v117
	v_fmac_f32_e32 v159, v123, v106
	v_fma_f32 v158, v122, v106, -v15
	v_pk_fma_f32 v[106:107], v[124:125], v[108:109], v[102:103] op_sel_hi:[1,0,1]
	s_delay_alu instid0(VALU_DEP_4) | instskip(SKIP_4) | instid1(VALU_DEP_4)
	v_pk_add_f32 v[104:105], v[104:105], v[156:157]
	v_pk_fma_f32 v[122:123], v[126:127], v[110:111], v[160:161] op_sel_hi:[1,0,1]
	v_pk_fma_f32 v[102:103], v[124:125], v[108:109], v[102:103] neg_lo:[0,0,1] neg_hi:[0,0,1]
	v_pk_fma_f32 v[108:109], v[126:127], v[110:111], v[160:161] neg_lo:[0,0,1] neg_hi:[0,0,1]
	v_pk_mul_f32 v[140:141], v[150:151], v[162:163] op_sel_hi:[1,0]
	v_dual_mov_b32 v103, v107 :: v_dual_mov_b32 v109, v123
	v_pk_add_f32 v[104:105], v[104:105], v[158:159]
	v_pk_mul_f32 v[164:165], v[130:131], v[114:115] op_sel:[1,1] op_sel_hi:[0,1]
	s_delay_alu instid0(VALU_DEP_4)
	v_pk_fma_f32 v[110:111], v[128:129], v[112:113], v[140:141] op_sel_hi:[1,0,1]
	v_pk_fma_f32 v[112:113], v[128:129], v[112:113], v[140:141] neg_lo:[0,0,1] neg_hi:[0,0,1]
	v_pk_mul_f32 v[122:123], v[152:153], v[138:139] op_sel_hi:[1,0]
	v_pk_add_f32 v[102:103], v[104:105], v[102:103]
	v_pk_fma_f32 v[104:105], v[130:131], v[114:115], v[164:165] op_sel_hi:[1,0,1]
	s_wait_loadcnt 0x2
	v_dual_mov_b32 v113, v111 :: v_dual_mov_b32 v104, v121
	v_pk_mul_f32 v[106:107], v[134:135], v[118:119] op_sel:[1,1] op_sel_hi:[0,1]
	v_pk_add_f32 v[102:103], v[102:103], v[108:109]
	v_pk_fma_f32 v[108:109], v[130:131], v[114:115], v[164:165] neg_lo:[0,0,1] neg_hi:[0,0,1]
	v_pk_fma_f32 v[110:111], v[132:133], v[116:117], v[122:123] op_sel_hi:[1,0,1]
	v_mov_b32_e32 v109, v105
	v_pk_fma_f32 v[114:115], v[132:133], v[116:117], v[122:123] neg_lo:[0,0,1] neg_hi:[0,0,1]
	v_pk_add_f32 v[102:103], v[102:103], v[112:113]
	v_pk_fma_f32 v[112:113], v[134:135], v[118:119], v[106:107] op_sel_hi:[1,0,1]
	v_pk_mul_f32 v[104:105], v[154:155], v[104:105] op_sel_hi:[1,0]
	v_mov_b32_e32 v115, v111
	v_pk_fma_f32 v[106:107], v[134:135], v[118:119], v[106:107] neg_lo:[0,0,1] neg_hi:[0,0,1]
	v_pk_add_f32 v[102:103], v[102:103], v[108:109]
	s_wait_loadcnt_dscnt 0x100
	v_pk_mul_f32 v[110:111], v[146:147], v[142:143] op_sel:[1,1] op_sel_hi:[0,1]
	v_pk_fma_f32 v[108:109], v[136:137], v[120:121], v[104:105] op_sel_hi:[1,0,1]
	v_mov_b32_e32 v107, v113
	v_pk_fma_f32 v[104:105], v[136:137], v[120:121], v[104:105] neg_lo:[0,0,1] neg_hi:[0,0,1]
	v_pk_add_f32 v[102:103], v[102:103], v[114:115]
	s_delay_alu instid0(VALU_DEP_4) | instskip(SKIP_1) | instid1(VALU_DEP_3)
	v_mov_b32_e32 v105, v109
	v_pk_fma_f32 v[108:109], v[146:147], v[142:143], v[110:111] neg_lo:[0,0,1] neg_hi:[0,0,1]
	v_pk_add_f32 v[102:103], v[102:103], v[106:107]
	v_pk_fma_f32 v[106:107], v[146:147], v[142:143], v[110:111] op_sel_hi:[1,0,1]
	s_delay_alu instid0(VALU_DEP_2) | instskip(NEXT) | instid1(VALU_DEP_2)
	v_pk_add_f32 v[102:103], v[102:103], v[104:105]
	v_mov_b32_e32 v109, v107
	s_delay_alu instid0(VALU_DEP_1) | instskip(SKIP_1) | instid1(VALU_DEP_1)
	v_pk_add_f32 v[102:103], v[102:103], v[108:109]
	s_wait_loadcnt 0x0
	v_pk_add_f32 v[102:103], v[144:145], v[102:103] neg_lo:[0,1] neg_hi:[0,1]
	scratch_store_b64 off, v[102:103], off offset:304
	s_wait_xcnt 0x0
	v_cmpx_lt_u32_e32 37, v0
	s_cbranch_execz .LBB113_239
; %bb.238:
	scratch_load_b64 v[102:103], off, off offset:296
	v_mov_b64_e32 v[104:105], 0
	scratch_store_b64 off, v[104:105], off offset:296
	s_wait_loadcnt 0x0
	ds_store_b64 v1, v[102:103]
.LBB113_239:
	s_wait_xcnt 0x0
	s_or_b32 exec_lo, exec_lo, s0
	s_wait_storecnt_dscnt 0x0
	s_barrier_signal -1
	s_barrier_wait -1
	s_clause 0x6
	scratch_load_b128 v[102:105], off, off offset:304
	scratch_load_b128 v[106:109], off, off offset:320
	;; [unrolled: 1-line block ×6, first 2 shown]
	scratch_load_b64 v[150:151], off, off offset:296
	ds_load_b128 v[126:129], v7 offset:736
	ds_load_b128 v[130:133], v7 offset:752
	;; [unrolled: 1-line block ×6, first 2 shown]
	s_mov_b32 s0, exec_lo
	s_wait_dscnt 0x5
	v_dual_mov_b32 v152, v129 :: v_dual_mov_b32 v153, v128
	s_wait_dscnt 0x4
	v_dual_mov_b32 v154, v133 :: v_dual_mov_b32 v155, v132
	;; [unrolled: 2-line block ×4, first 2 shown]
	s_wait_loadcnt_dscnt 0x601
	v_dual_mul_f32 v7, v142, v103 :: v_dual_mul_f32 v9, v144, v105
	v_dual_mul_f32 v11, v143, v103 :: v_dual_mul_f32 v13, v145, v105
	s_wait_loadcnt 0x4
	s_delay_alu instid0(VALU_DEP_2)
	v_dual_mov_b32 v166, v113 :: v_dual_fmac_f32 v7, v143, v102
	s_wait_dscnt 0x0
	v_dual_mul_f32 v161, v146, v107 :: v_dual_mul_f32 v163, v148, v109
	v_dual_fma_f32 v11, v142, v102, -v11 :: v_dual_fmac_f32 v9, v145, v104
	v_dual_mul_f32 v15, v147, v107 :: v_dual_mul_f32 v17, v149, v109
	v_dual_fma_f32 v13, v144, v104, -v13 :: v_dual_add_f32 v7, 0, v7
	s_wait_loadcnt 0x3
	s_delay_alu instid0(VALU_DEP_3) | instskip(SKIP_3) | instid1(VALU_DEP_4)
	v_dual_add_f32 v11, 0, v11 :: v_dual_mov_b32 v104, v117
	v_pk_mul_f32 v[164:165], v[126:127], v[110:111] op_sel:[1,1] op_sel_hi:[0,1]
	v_dual_fmac_f32 v161, v147, v106 :: v_dual_fma_f32 v160, v146, v106, -v15
	v_dual_add_f32 v107, v7, v9 :: v_dual_fmac_f32 v163, v149, v108
	v_dual_add_f32 v106, v11, v13 :: v_dual_fma_f32 v162, v148, v108, -v17
	s_delay_alu instid0(VALU_DEP_4) | instskip(SKIP_2) | instid1(VALU_DEP_4)
	v_pk_fma_f32 v[108:109], v[126:127], v[110:111], v[164:165] op_sel_hi:[1,0,1]
	v_pk_mul_f32 v[142:143], v[152:153], v[166:167] op_sel_hi:[1,0]
	v_pk_fma_f32 v[110:111], v[126:127], v[110:111], v[164:165] neg_lo:[0,0,1] neg_hi:[0,0,1]
	v_pk_add_f32 v[106:107], v[106:107], v[160:161]
	v_pk_mul_f32 v[102:103], v[130:131], v[114:115] op_sel:[1,1] op_sel_hi:[0,1]
	v_mov_b32_e32 v111, v109
	v_pk_fma_f32 v[108:109], v[128:129], v[112:113], v[142:143] op_sel_hi:[1,0,1]
	v_pk_fma_f32 v[112:113], v[128:129], v[112:113], v[142:143] neg_lo:[0,0,1] neg_hi:[0,0,1]
	v_pk_add_f32 v[106:107], v[106:107], v[162:163]
	v_pk_fma_f32 v[126:127], v[130:131], v[114:115], v[102:103] op_sel_hi:[1,0,1]
	v_pk_mul_f32 v[104:105], v[154:155], v[104:105] op_sel_hi:[1,0]
	v_mov_b32_e32 v113, v109
	v_pk_fma_f32 v[102:103], v[130:131], v[114:115], v[102:103] neg_lo:[0,0,1] neg_hi:[0,0,1]
	v_pk_add_f32 v[106:107], v[106:107], v[110:111]
	s_wait_loadcnt 0x2
	v_pk_mul_f32 v[144:145], v[134:135], v[118:119] op_sel:[1,1] op_sel_hi:[0,1]
	v_dual_mov_b32 v108, v121 :: v_dual_mov_b32 v103, v127
	v_pk_fma_f32 v[110:111], v[132:133], v[116:117], v[104:105] op_sel_hi:[1,0,1]
	v_pk_add_f32 v[106:107], v[106:107], v[112:113]
	v_pk_fma_f32 v[104:105], v[132:133], v[116:117], v[104:105] neg_lo:[0,0,1] neg_hi:[0,0,1]
	v_pk_fma_f32 v[112:113], v[134:135], v[118:119], v[144:145] op_sel_hi:[1,0,1]
	v_pk_mul_f32 v[108:109], v[156:157], v[108:109] op_sel_hi:[1,0]
	v_mov_b32_e32 v105, v111
	v_pk_add_f32 v[102:103], v[106:107], v[102:103]
	v_pk_fma_f32 v[110:111], v[134:135], v[118:119], v[144:145] neg_lo:[0,0,1] neg_hi:[0,0,1]
	s_wait_loadcnt 0x1
	v_pk_mul_f32 v[106:107], v[138:139], v[122:123] op_sel:[1,1] op_sel_hi:[0,1]
	v_mov_b32_e32 v111, v113
	v_pk_fma_f32 v[112:113], v[136:137], v[120:121], v[108:109] op_sel_hi:[1,0,1]
	v_pk_add_f32 v[102:103], v[102:103], v[104:105]
	v_mov_b32_e32 v104, v125
	v_pk_fma_f32 v[108:109], v[136:137], v[120:121], v[108:109] neg_lo:[0,0,1] neg_hi:[0,0,1]
	v_pk_fma_f32 v[114:115], v[138:139], v[122:123], v[106:107] op_sel_hi:[1,0,1]
	v_mov_b32_e32 v109, v113
	v_pk_add_f32 v[102:103], v[102:103], v[110:111]
	v_pk_mul_f32 v[104:105], v[158:159], v[104:105] op_sel_hi:[1,0]
	v_pk_fma_f32 v[106:107], v[138:139], v[122:123], v[106:107] neg_lo:[0,0,1] neg_hi:[0,0,1]
	s_delay_alu instid0(VALU_DEP_3) | instskip(NEXT) | instid1(VALU_DEP_3)
	v_pk_add_f32 v[102:103], v[102:103], v[108:109]
	v_pk_fma_f32 v[108:109], v[140:141], v[124:125], v[104:105] op_sel_hi:[1,0,1]
	v_mov_b32_e32 v107, v115
	v_pk_fma_f32 v[104:105], v[140:141], v[124:125], v[104:105] neg_lo:[0,0,1] neg_hi:[0,0,1]
	s_delay_alu instid0(VALU_DEP_3) | instskip(NEXT) | instid1(VALU_DEP_3)
	v_mov_b32_e32 v105, v109
	v_pk_add_f32 v[102:103], v[102:103], v[106:107]
	s_delay_alu instid0(VALU_DEP_1) | instskip(SKIP_1) | instid1(VALU_DEP_1)
	v_pk_add_f32 v[102:103], v[102:103], v[104:105]
	s_wait_loadcnt 0x0
	v_pk_add_f32 v[102:103], v[150:151], v[102:103] neg_lo:[0,1] neg_hi:[0,1]
	scratch_store_b64 off, v[102:103], off offset:296
	s_wait_xcnt 0x0
	v_cmpx_lt_u32_e32 36, v0
	s_cbranch_execz .LBB113_241
; %bb.240:
	scratch_load_b64 v[102:103], off, off offset:288
	v_mov_b64_e32 v[104:105], 0
	scratch_store_b64 off, v[104:105], off offset:288
	s_wait_loadcnt 0x0
	ds_store_b64 v1, v[102:103]
.LBB113_241:
	s_wait_xcnt 0x0
	s_or_b32 exec_lo, exec_lo, s0
	s_wait_storecnt_dscnt 0x0
	s_barrier_signal -1
	s_barrier_wait -1
	s_clause 0x7
	scratch_load_b128 v[102:105], off, off offset:296
	scratch_load_b128 v[106:109], off, off offset:312
	;; [unrolled: 1-line block ×6, first 2 shown]
	scratch_load_b64 v[150:151], off, off offset:392
	scratch_load_b64 v[152:153], off, off offset:288
	v_mov_b32_e32 v7, 0
	ds_load_2addr_b64 v[126:129], v7 offset0:91 offset1:92
	ds_load_2addr_b64 v[130:133], v7 offset0:93 offset1:94
	ds_load_2addr_b64 v[134:137], v7 offset0:95 offset1:96
	ds_load_2addr_b64 v[138:141], v7 offset0:97 offset1:98
	ds_load_2addr_b64 v[142:145], v7 offset0:87 offset1:88
	ds_load_2addr_b64 v[146:149], v7 offset0:89 offset1:90
	ds_load_b64 v[154:155], v7 offset:792
	s_mov_b32 s0, exec_lo
	s_wait_dscnt 0x6
	v_dual_mov_b32 v156, v129 :: v_dual_mov_b32 v157, v128
	s_wait_dscnt 0x3
	v_dual_mov_b32 v158, v133 :: v_dual_mov_b32 v163, v140
	v_dual_mov_b32 v159, v132 :: v_dual_mov_b32 v160, v137
	;; [unrolled: 1-line block ×3, first 2 shown]
	s_wait_loadcnt_dscnt 0x702
	v_dual_mul_f32 v9, v142, v103 :: v_dual_mul_f32 v15, v143, v103
	v_dual_mul_f32 v17, v145, v105 :: v_dual_mul_f32 v11, v144, v105
	s_wait_loadcnt_dscnt 0x601
	s_delay_alu instid0(VALU_DEP_2) | instskip(NEXT) | instid1(VALU_DEP_3)
	v_dual_mul_f32 v13, v146, v107 :: v_dual_fmac_f32 v9, v143, v102
	v_dual_fma_f32 v15, v142, v102, -v15 :: v_dual_mul_f32 v19, v147, v107
	v_mul_f32_e32 v21, v149, v109
	s_wait_loadcnt 0x4
	v_dual_mov_b32 v102, v117 :: v_dual_fma_f32 v17, v144, v104, -v17
	v_dual_fmac_f32 v11, v145, v104 :: v_dual_add_f32 v9, 0, v9
	v_dual_add_f32 v15, 0, v15 :: v_dual_fmac_f32 v13, v147, v106
	v_dual_mul_f32 v165, v148, v109 :: v_dual_mul_f32 v167, v126, v111
	v_dual_mul_f32 v23, v127, v111 :: v_dual_mov_b32 v166, v113
	s_delay_alu instid0(VALU_DEP_4) | instskip(NEXT) | instid1(VALU_DEP_3)
	v_dual_fma_f32 v19, v146, v106, -v19 :: v_dual_add_f32 v9, v9, v11
	v_dual_add_f32 v11, v15, v17 :: v_dual_fmac_f32 v165, v149, v108
	v_pk_mul_f32 v[168:169], v[130:131], v[114:115] op_sel:[1,1] op_sel_hi:[0,1]
	s_delay_alu instid0(VALU_DEP_3)
	v_dual_fma_f32 v164, v148, v108, -v21 :: v_dual_add_f32 v109, v9, v13
	v_pk_mul_f32 v[106:107], v[156:157], v[166:167] op_sel_hi:[1,0]
	s_wait_loadcnt 0x3
	v_dual_add_f32 v108, v11, v19 :: v_dual_mov_b32 v142, v121
	v_fmac_f32_e32 v167, v127, v110
	v_fma_f32 v166, v126, v110, -v23
	v_pk_fma_f32 v[110:111], v[128:129], v[112:113], v[106:107] op_sel_hi:[1,0,1]
	s_delay_alu instid0(VALU_DEP_4) | instskip(SKIP_4) | instid1(VALU_DEP_4)
	v_pk_add_f32 v[108:109], v[108:109], v[164:165]
	v_pk_fma_f32 v[126:127], v[130:131], v[114:115], v[168:169] op_sel_hi:[1,0,1]
	v_pk_fma_f32 v[106:107], v[128:129], v[112:113], v[106:107] neg_lo:[0,0,1] neg_hi:[0,0,1]
	v_pk_fma_f32 v[112:113], v[130:131], v[114:115], v[168:169] neg_lo:[0,0,1] neg_hi:[0,0,1]
	v_pk_mul_f32 v[102:103], v[158:159], v[102:103] op_sel_hi:[1,0]
	v_dual_mov_b32 v107, v111 :: v_dual_mov_b32 v113, v127
	v_pk_add_f32 v[108:109], v[108:109], v[166:167]
	v_pk_mul_f32 v[104:105], v[134:135], v[118:119] op_sel:[1,1] op_sel_hi:[0,1]
	s_delay_alu instid0(VALU_DEP_4)
	v_pk_fma_f32 v[114:115], v[132:133], v[116:117], v[102:103] op_sel_hi:[1,0,1]
	v_pk_fma_f32 v[102:103], v[132:133], v[116:117], v[102:103] neg_lo:[0,0,1] neg_hi:[0,0,1]
	v_pk_mul_f32 v[126:127], v[160:161], v[142:143] op_sel_hi:[1,0]
	v_pk_add_f32 v[106:107], v[108:109], v[106:107]
	v_pk_fma_f32 v[108:109], v[134:135], v[118:119], v[104:105] op_sel_hi:[1,0,1]
	s_wait_loadcnt 0x2
	v_dual_mov_b32 v103, v115 :: v_dual_mov_b32 v108, v125
	v_pk_fma_f32 v[104:105], v[134:135], v[118:119], v[104:105] neg_lo:[0,0,1] neg_hi:[0,0,1]
	v_pk_add_f32 v[106:107], v[106:107], v[112:113]
	v_pk_mul_f32 v[110:111], v[138:139], v[122:123] op_sel:[1,1] op_sel_hi:[0,1]
	v_pk_fma_f32 v[112:113], v[136:137], v[120:121], v[126:127] op_sel_hi:[1,0,1]
	v_mov_b32_e32 v105, v109
	v_pk_fma_f32 v[114:115], v[136:137], v[120:121], v[126:127] neg_lo:[0,0,1] neg_hi:[0,0,1]
	v_pk_add_f32 v[102:103], v[106:107], v[102:103]
	v_pk_fma_f32 v[106:107], v[138:139], v[122:123], v[110:111] op_sel_hi:[1,0,1]
	v_pk_mul_f32 v[108:109], v[162:163], v[108:109] op_sel_hi:[1,0]
	v_mov_b32_e32 v115, v113
	s_delay_alu instid0(VALU_DEP_4)
	v_pk_add_f32 v[102:103], v[102:103], v[104:105]
	v_pk_fma_f32 v[104:105], v[138:139], v[122:123], v[110:111] neg_lo:[0,0,1] neg_hi:[0,0,1]
	v_mov_b32_e32 v105, v107
	v_pk_fma_f32 v[106:107], v[140:141], v[124:125], v[108:109] op_sel_hi:[1,0,1]
	s_wait_loadcnt_dscnt 0x100
	v_pk_mul_f32 v[110:111], v[154:155], v[150:151] op_sel:[1,1] op_sel_hi:[0,1]
	v_pk_add_f32 v[102:103], v[102:103], v[114:115]
	v_pk_fma_f32 v[108:109], v[140:141], v[124:125], v[108:109] neg_lo:[0,0,1] neg_hi:[0,0,1]
	v_mov_b32_e32 v109, v107
	s_delay_alu instid0(VALU_DEP_4) | instskip(NEXT) | instid1(VALU_DEP_4)
	v_pk_fma_f32 v[106:107], v[154:155], v[150:151], v[110:111] neg_lo:[0,0,1] neg_hi:[0,0,1]
	v_pk_add_f32 v[102:103], v[102:103], v[104:105]
	v_pk_fma_f32 v[104:105], v[154:155], v[150:151], v[110:111] op_sel_hi:[1,0,1]
	s_delay_alu instid0(VALU_DEP_2) | instskip(NEXT) | instid1(VALU_DEP_2)
	v_pk_add_f32 v[102:103], v[102:103], v[108:109]
	v_mov_b32_e32 v107, v105
	s_delay_alu instid0(VALU_DEP_1) | instskip(SKIP_1) | instid1(VALU_DEP_1)
	v_pk_add_f32 v[102:103], v[102:103], v[106:107]
	s_wait_loadcnt 0x0
	v_pk_add_f32 v[102:103], v[152:153], v[102:103] neg_lo:[0,1] neg_hi:[0,1]
	scratch_store_b64 off, v[102:103], off offset:288
	s_wait_xcnt 0x0
	v_cmpx_lt_u32_e32 35, v0
	s_cbranch_execz .LBB113_243
; %bb.242:
	scratch_load_b64 v[102:103], off, off offset:280
	v_mov_b64_e32 v[104:105], 0
	scratch_store_b64 off, v[104:105], off offset:280
	s_wait_loadcnt 0x0
	ds_store_b64 v1, v[102:103]
.LBB113_243:
	s_wait_xcnt 0x0
	s_or_b32 exec_lo, exec_lo, s0
	s_wait_storecnt_dscnt 0x0
	s_barrier_signal -1
	s_barrier_wait -1
	s_clause 0x7
	scratch_load_b128 v[102:105], off, off offset:288
	scratch_load_b128 v[106:109], off, off offset:304
	;; [unrolled: 1-line block ×7, first 2 shown]
	scratch_load_b64 v[158:159], off, off offset:280
	ds_load_b128 v[130:133], v7 offset:736
	ds_load_b128 v[134:137], v7 offset:752
	;; [unrolled: 1-line block ×7, first 2 shown]
	s_mov_b32 s0, exec_lo
	s_wait_dscnt 0x6
	v_dual_mov_b32 v160, v133 :: v_dual_mov_b32 v161, v132
	s_wait_dscnt 0x5
	v_dual_mov_b32 v162, v137 :: v_dual_mov_b32 v163, v136
	s_wait_dscnt 0x4
	v_dual_mov_b32 v164, v141 :: v_dual_mov_b32 v165, v140
	s_wait_dscnt 0x3
	v_dual_mov_b32 v166, v145 :: v_dual_mov_b32 v167, v144
	s_wait_loadcnt_dscnt 0x702
	v_dual_mul_f32 v7, v146, v103 :: v_dual_mul_f32 v9, v148, v105
	v_dual_mul_f32 v15, v147, v103 :: v_dual_mul_f32 v17, v149, v105
	s_wait_loadcnt_dscnt 0x601
	v_dual_mul_f32 v11, v150, v107 :: v_dual_mul_f32 v13, v152, v109
	s_delay_alu instid0(VALU_DEP_3) | instskip(NEXT) | instid1(VALU_DEP_3)
	v_dual_fmac_f32 v7, v147, v102 :: v_dual_fmac_f32 v9, v149, v104
	v_dual_fma_f32 v15, v146, v102, -v15 :: v_dual_fma_f32 v17, v148, v104, -v17
	v_dual_mul_f32 v19, v151, v107 :: v_dual_mul_f32 v21, v153, v109
	s_wait_loadcnt 0x4
	s_delay_alu instid0(VALU_DEP_3) | instskip(NEXT) | instid1(VALU_DEP_3)
	v_dual_add_f32 v7, 0, v7 :: v_dual_mov_b32 v104, v117
	v_dual_add_f32 v15, 0, v15 :: v_dual_fmac_f32 v11, v151, v106
	s_delay_alu instid0(VALU_DEP_2) | instskip(SKIP_2) | instid1(VALU_DEP_3)
	v_dual_fma_f32 v19, v150, v106, -v19 :: v_dual_add_f32 v7, v7, v9
	s_wait_dscnt 0x0
	v_dual_mul_f32 v169, v154, v111 :: v_dual_mul_f32 v171, v156, v113
	v_dual_add_f32 v9, v15, v17 :: v_dual_fmac_f32 v13, v153, v108
	v_dual_mul_f32 v23, v155, v111 :: v_dual_mul_f32 v25, v157, v113
	v_dual_fma_f32 v15, v152, v108, -v21 :: v_dual_add_f32 v7, v7, v11
	s_delay_alu instid0(VALU_DEP_3) | instskip(SKIP_3) | instid1(VALU_DEP_3)
	v_dual_add_f32 v9, v9, v19 :: v_dual_fmac_f32 v169, v155, v110
	v_pk_mul_f32 v[102:103], v[130:131], v[114:115] op_sel:[1,1] op_sel_hi:[0,1]
	s_wait_loadcnt 0x3
	v_dual_mov_b32 v108, v121 :: v_dual_fma_f32 v168, v154, v110, -v23
	v_dual_add_f32 v111, v7, v13 :: v_dual_add_f32 v110, v9, v15
	v_dual_fmac_f32 v171, v157, v112 :: v_dual_fma_f32 v170, v156, v112, -v25
	v_pk_fma_f32 v[112:113], v[130:131], v[114:115], v[102:103] op_sel_hi:[1,0,1]
	v_pk_mul_f32 v[104:105], v[160:161], v[104:105] op_sel_hi:[1,0]
	s_delay_alu instid0(VALU_DEP_4)
	v_pk_add_f32 v[110:111], v[110:111], v[168:169]
	v_pk_fma_f32 v[102:103], v[130:131], v[114:115], v[102:103] neg_lo:[0,0,1] neg_hi:[0,0,1]
	v_pk_mul_f32 v[106:107], v[134:135], v[118:119] op_sel:[1,1] op_sel_hi:[0,1]
	v_mov_b32_e32 v103, v113
	v_pk_fma_f32 v[112:113], v[132:133], v[116:117], v[104:105] op_sel_hi:[1,0,1]
	v_pk_add_f32 v[110:111], v[110:111], v[170:171]
	v_pk_fma_f32 v[104:105], v[132:133], v[116:117], v[104:105] neg_lo:[0,0,1] neg_hi:[0,0,1]
	v_pk_fma_f32 v[114:115], v[134:135], v[118:119], v[106:107] op_sel_hi:[1,0,1]
	v_pk_mul_f32 v[108:109], v[162:163], v[108:109] op_sel_hi:[1,0]
	v_mov_b32_e32 v105, v113
	v_pk_add_f32 v[102:103], v[110:111], v[102:103]
	s_wait_loadcnt 0x2
	v_pk_mul_f32 v[146:147], v[138:139], v[122:123] op_sel:[1,1] op_sel_hi:[0,1]
	v_mov_b32_e32 v110, v125
	v_pk_fma_f32 v[106:107], v[134:135], v[118:119], v[106:107] neg_lo:[0,0,1] neg_hi:[0,0,1]
	v_mov_b32_e32 v107, v115
	v_pk_fma_f32 v[112:113], v[136:137], v[120:121], v[108:109] op_sel_hi:[1,0,1]
	v_pk_add_f32 v[102:103], v[102:103], v[104:105]
	v_pk_fma_f32 v[104:105], v[138:139], v[122:123], v[146:147] op_sel_hi:[1,0,1]
	v_pk_mul_f32 v[110:111], v[164:165], v[110:111] op_sel_hi:[1,0]
	v_pk_fma_f32 v[108:109], v[136:137], v[120:121], v[108:109] neg_lo:[0,0,1] neg_hi:[0,0,1]
	v_mov_b32_e32 v109, v113
	v_pk_add_f32 v[102:103], v[102:103], v[106:107]
	v_pk_fma_f32 v[112:113], v[138:139], v[122:123], v[146:147] neg_lo:[0,0,1] neg_hi:[0,0,1]
	v_mov_b32_e32 v113, v105
	v_pk_fma_f32 v[104:105], v[140:141], v[124:125], v[110:111] op_sel_hi:[1,0,1]
	s_wait_loadcnt 0x1
	v_pk_mul_f32 v[106:107], v[142:143], v[126:127] op_sel:[1,1] op_sel_hi:[0,1]
	v_pk_add_f32 v[102:103], v[102:103], v[108:109]
	v_mov_b32_e32 v104, v129
	v_pk_fma_f32 v[110:111], v[140:141], v[124:125], v[110:111] neg_lo:[0,0,1] neg_hi:[0,0,1]
	v_mov_b32_e32 v111, v105
	v_pk_fma_f32 v[108:109], v[142:143], v[126:127], v[106:107] op_sel_hi:[1,0,1]
	v_pk_add_f32 v[102:103], v[102:103], v[112:113]
	v_pk_mul_f32 v[104:105], v[166:167], v[104:105] op_sel_hi:[1,0]
	v_pk_fma_f32 v[106:107], v[142:143], v[126:127], v[106:107] neg_lo:[0,0,1] neg_hi:[0,0,1]
	s_delay_alu instid0(VALU_DEP_4) | instskip(NEXT) | instid1(VALU_DEP_4)
	v_mov_b32_e32 v107, v109
	v_pk_add_f32 v[102:103], v[102:103], v[110:111]
	s_delay_alu instid0(VALU_DEP_4) | instskip(SKIP_1) | instid1(VALU_DEP_2)
	v_pk_fma_f32 v[108:109], v[144:145], v[128:129], v[104:105] op_sel_hi:[1,0,1]
	v_pk_fma_f32 v[104:105], v[144:145], v[128:129], v[104:105] neg_lo:[0,0,1] neg_hi:[0,0,1]
	v_mov_b32_e32 v105, v109
	s_delay_alu instid0(VALU_DEP_4) | instskip(NEXT) | instid1(VALU_DEP_1)
	v_pk_add_f32 v[102:103], v[102:103], v[106:107]
	v_pk_add_f32 v[102:103], v[102:103], v[104:105]
	s_wait_loadcnt 0x0
	s_delay_alu instid0(VALU_DEP_1)
	v_pk_add_f32 v[102:103], v[158:159], v[102:103] neg_lo:[0,1] neg_hi:[0,1]
	scratch_store_b64 off, v[102:103], off offset:280
	s_wait_xcnt 0x0
	v_cmpx_lt_u32_e32 34, v0
	s_cbranch_execz .LBB113_245
; %bb.244:
	scratch_load_b64 v[102:103], off, off offset:272
	v_mov_b64_e32 v[104:105], 0
	scratch_store_b64 off, v[104:105], off offset:272
	s_wait_loadcnt 0x0
	ds_store_b64 v1, v[102:103]
.LBB113_245:
	s_wait_xcnt 0x0
	s_or_b32 exec_lo, exec_lo, s0
	s_wait_storecnt_dscnt 0x0
	s_barrier_signal -1
	s_barrier_wait -1
	s_clause 0x8
	scratch_load_b128 v[102:105], off, off offset:280
	scratch_load_b128 v[106:109], off, off offset:296
	;; [unrolled: 1-line block ×7, first 2 shown]
	scratch_load_b64 v[158:159], off, off offset:392
	scratch_load_b64 v[160:161], off, off offset:272
	v_mov_b32_e32 v7, 0
	ds_load_2addr_b64 v[130:133], v7 offset0:91 offset1:92
	ds_load_2addr_b64 v[134:137], v7 offset0:93 offset1:94
	;; [unrolled: 1-line block ×7, first 2 shown]
	ds_load_b64 v[162:163], v7 offset:792
	s_mov_b32 s0, exec_lo
	s_wait_dscnt 0x7
	v_dual_mov_b32 v164, v133 :: v_dual_mov_b32 v165, v132
	s_wait_dscnt 0x4
	v_dual_mov_b32 v166, v137 :: v_dual_mov_b32 v171, v144
	v_dual_mov_b32 v167, v136 :: v_dual_mov_b32 v168, v141
	;; [unrolled: 1-line block ×3, first 2 shown]
	s_wait_loadcnt_dscnt 0x803
	v_dual_mul_f32 v9, v146, v103 :: v_dual_mul_f32 v19, v147, v103
	v_dual_mul_f32 v21, v149, v105 :: v_dual_mul_f32 v11, v148, v105
	s_wait_loadcnt_dscnt 0x702
	v_mul_f32_e32 v13, v150, v107
	s_wait_loadcnt 0x5
	v_dual_mul_f32 v31, v131, v115 :: v_dual_fma_f32 v19, v146, v102, -v19
	v_dual_fmac_f32 v9, v147, v102 :: v_dual_mov_b32 v102, v117
	v_dual_mul_f32 v23, v151, v107 :: v_dual_mul_f32 v25, v153, v109
	v_dual_fmac_f32 v11, v149, v104 :: v_dual_fma_f32 v21, v148, v104, -v21
	s_delay_alu instid0(VALU_DEP_3) | instskip(SKIP_3) | instid1(VALU_DEP_3)
	v_dual_add_f32 v9, 0, v9 :: v_dual_add_f32 v19, 0, v19
	s_wait_dscnt 0x1
	v_dual_mul_f32 v15, v152, v109 :: v_dual_mul_f32 v17, v154, v111
	v_dual_fmac_f32 v13, v151, v106 :: v_dual_fma_f32 v23, v150, v106, -v23
	v_dual_add_f32 v9, v9, v11 :: v_dual_add_f32 v11, v19, v21
	v_dual_mul_f32 v27, v155, v111 :: v_dual_mul_f32 v29, v157, v113
	s_wait_loadcnt 0x4
	v_dual_mov_b32 v106, v121 :: v_dual_fma_f32 v19, v152, v108, -v25
	s_delay_alu instid0(VALU_DEP_3) | instskip(SKIP_2) | instid1(VALU_DEP_2)
	v_dual_fmac_f32 v15, v153, v108 :: v_dual_add_f32 v11, v11, v23
	v_dual_add_f32 v9, v9, v13 :: v_dual_fmac_f32 v17, v155, v110
	v_dual_mul_f32 v173, v156, v113 :: v_dual_mul_f32 v175, v130, v115
	v_dual_fma_f32 v13, v154, v110, -v27 :: v_dual_add_f32 v9, v9, v15
	s_delay_alu instid0(VALU_DEP_2) | instskip(SKIP_1) | instid1(VALU_DEP_3)
	v_dual_add_f32 v11, v11, v19 :: v_dual_fmac_f32 v173, v157, v112
	v_pk_mul_f32 v[104:105], v[134:135], v[118:119] op_sel:[1,1] op_sel_hi:[0,1]
	v_dual_fma_f32 v172, v156, v112, -v29 :: v_dual_add_f32 v111, v9, v17
	v_pk_mul_f32 v[102:103], v[164:165], v[102:103] op_sel_hi:[1,0]
	s_wait_loadcnt 0x3
	v_dual_add_f32 v110, v11, v13 :: v_dual_mov_b32 v112, v125
	v_fmac_f32_e32 v175, v131, v114
	v_fma_f32 v174, v130, v114, -v31
	v_pk_fma_f32 v[114:115], v[132:133], v[116:117], v[102:103] op_sel_hi:[1,0,1]
	s_delay_alu instid0(VALU_DEP_4) | instskip(SKIP_4) | instid1(VALU_DEP_4)
	v_pk_add_f32 v[110:111], v[110:111], v[172:173]
	v_pk_fma_f32 v[130:131], v[134:135], v[118:119], v[104:105] op_sel_hi:[1,0,1]
	v_pk_fma_f32 v[102:103], v[132:133], v[116:117], v[102:103] neg_lo:[0,0,1] neg_hi:[0,0,1]
	v_pk_fma_f32 v[104:105], v[134:135], v[118:119], v[104:105] neg_lo:[0,0,1] neg_hi:[0,0,1]
	v_pk_mul_f32 v[106:107], v[166:167], v[106:107] op_sel_hi:[1,0]
	v_dual_mov_b32 v103, v115 :: v_dual_mov_b32 v105, v131
	v_pk_add_f32 v[110:111], v[110:111], v[174:175]
	v_pk_mul_f32 v[108:109], v[138:139], v[122:123] op_sel:[1,1] op_sel_hi:[0,1]
	s_delay_alu instid0(VALU_DEP_4)
	v_pk_fma_f32 v[116:117], v[136:137], v[120:121], v[106:107] op_sel_hi:[1,0,1]
	v_pk_fma_f32 v[106:107], v[136:137], v[120:121], v[106:107] neg_lo:[0,0,1] neg_hi:[0,0,1]
	v_pk_mul_f32 v[112:113], v[168:169], v[112:113] op_sel_hi:[1,0]
	v_pk_add_f32 v[102:103], v[110:111], v[102:103]
	v_pk_fma_f32 v[110:111], v[138:139], v[122:123], v[108:109] op_sel_hi:[1,0,1]
	v_mov_b32_e32 v107, v117
	v_pk_fma_f32 v[108:109], v[138:139], v[122:123], v[108:109] neg_lo:[0,0,1] neg_hi:[0,0,1]
	s_wait_loadcnt 0x2
	v_pk_mul_f32 v[114:115], v[142:143], v[126:127] op_sel:[1,1] op_sel_hi:[0,1]
	v_pk_add_f32 v[102:103], v[102:103], v[104:105]
	v_dual_mov_b32 v104, v129 :: v_dual_mov_b32 v109, v111
	v_pk_fma_f32 v[110:111], v[140:141], v[124:125], v[112:113] op_sel_hi:[1,0,1]
	v_pk_fma_f32 v[112:113], v[140:141], v[124:125], v[112:113] neg_lo:[0,0,1] neg_hi:[0,0,1]
	s_delay_alu instid0(VALU_DEP_4)
	v_pk_add_f32 v[102:103], v[102:103], v[106:107]
	v_pk_fma_f32 v[106:107], v[142:143], v[126:127], v[114:115] op_sel_hi:[1,0,1]
	v_pk_mul_f32 v[104:105], v[170:171], v[104:105] op_sel_hi:[1,0]
	v_mov_b32_e32 v113, v111
	s_wait_loadcnt_dscnt 0x100
	v_pk_mul_f32 v[110:111], v[162:163], v[158:159] op_sel:[1,1] op_sel_hi:[0,1]
	v_pk_add_f32 v[102:103], v[102:103], v[108:109]
	v_pk_fma_f32 v[108:109], v[142:143], v[126:127], v[114:115] neg_lo:[0,0,1] neg_hi:[0,0,1]
	v_mov_b32_e32 v109, v107
	v_pk_fma_f32 v[106:107], v[144:145], v[128:129], v[104:105] op_sel_hi:[1,0,1]
	v_pk_fma_f32 v[104:105], v[144:145], v[128:129], v[104:105] neg_lo:[0,0,1] neg_hi:[0,0,1]
	v_pk_add_f32 v[102:103], v[102:103], v[112:113]
	s_delay_alu instid0(VALU_DEP_3) | instskip(SKIP_1) | instid1(VALU_DEP_3)
	v_mov_b32_e32 v105, v107
	v_pk_fma_f32 v[106:107], v[162:163], v[158:159], v[110:111] op_sel_hi:[1,0,1]
	v_pk_add_f32 v[102:103], v[102:103], v[108:109]
	v_pk_fma_f32 v[108:109], v[162:163], v[158:159], v[110:111] neg_lo:[0,0,1] neg_hi:[0,0,1]
	s_delay_alu instid0(VALU_DEP_3) | instskip(NEXT) | instid1(VALU_DEP_3)
	v_mov_b32_e32 v109, v107
	v_pk_add_f32 v[102:103], v[102:103], v[104:105]
	s_delay_alu instid0(VALU_DEP_1) | instskip(SKIP_1) | instid1(VALU_DEP_1)
	v_pk_add_f32 v[102:103], v[102:103], v[108:109]
	s_wait_loadcnt 0x0
	v_pk_add_f32 v[102:103], v[160:161], v[102:103] neg_lo:[0,1] neg_hi:[0,1]
	scratch_store_b64 off, v[102:103], off offset:272
	s_wait_xcnt 0x0
	v_cmpx_lt_u32_e32 33, v0
	s_cbranch_execz .LBB113_247
; %bb.246:
	scratch_load_b64 v[102:103], off, off offset:264
	v_mov_b64_e32 v[104:105], 0
	scratch_store_b64 off, v[104:105], off offset:264
	s_wait_loadcnt 0x0
	ds_store_b64 v1, v[102:103]
.LBB113_247:
	s_wait_xcnt 0x0
	s_or_b32 exec_lo, exec_lo, s0
	s_wait_storecnt_dscnt 0x0
	s_barrier_signal -1
	s_barrier_wait -1
	s_clause 0x8
	scratch_load_b128 v[102:105], off, off offset:272
	scratch_load_b128 v[106:109], off, off offset:288
	;; [unrolled: 1-line block ×8, first 2 shown]
	scratch_load_b64 v[166:167], off, off offset:264
	ds_load_b128 v[134:137], v7 offset:736
	ds_load_b128 v[138:141], v7 offset:752
	;; [unrolled: 1-line block ×8, first 2 shown]
	s_mov_b32 s0, exec_lo
	s_wait_dscnt 0x7
	v_dual_mov_b32 v168, v137 :: v_dual_mov_b32 v169, v136
	s_wait_dscnt 0x6
	v_dual_mov_b32 v170, v141 :: v_dual_mov_b32 v171, v140
	;; [unrolled: 2-line block ×4, first 2 shown]
	s_wait_loadcnt_dscnt 0x803
	v_dual_mul_f32 v7, v150, v103 :: v_dual_mul_f32 v9, v152, v105
	v_dual_mul_f32 v19, v151, v103 :: v_dual_mul_f32 v21, v153, v105
	s_wait_loadcnt_dscnt 0x702
	v_dual_mul_f32 v11, v154, v107 :: v_dual_mul_f32 v13, v156, v109
	s_delay_alu instid0(VALU_DEP_3) | instskip(SKIP_3) | instid1(VALU_DEP_3)
	v_dual_fmac_f32 v7, v151, v102 :: v_dual_fmac_f32 v9, v153, v104
	s_wait_loadcnt_dscnt 0x500
	v_dual_fma_f32 v19, v150, v102, -v19 :: v_dual_mul_f32 v31, v163, v115
	v_dual_mul_f32 v23, v155, v107 :: v_dual_mul_f32 v25, v157, v109
	v_dual_fma_f32 v21, v152, v104, -v21 :: v_dual_add_f32 v7, 0, v7
	s_delay_alu instid0(VALU_DEP_3) | instskip(SKIP_1) | instid1(VALU_DEP_3)
	v_dual_add_f32 v19, 0, v19 :: v_dual_mul_f32 v33, v165, v117
	v_dual_fmac_f32 v11, v155, v106 :: v_dual_fmac_f32 v13, v157, v108
	v_dual_fma_f32 v23, v154, v106, -v23 :: v_dual_add_f32 v7, v7, v9
	s_delay_alu instid0(VALU_DEP_3) | instskip(SKIP_4) | instid1(VALU_DEP_3)
	v_dual_add_f32 v9, v19, v21 :: v_dual_fma_f32 v19, v156, v108, -v25
	v_dual_mul_f32 v15, v158, v111 :: v_dual_mul_f32 v17, v160, v113
	v_dual_mul_f32 v27, v159, v111 :: v_dual_mul_f32 v29, v161, v113
	s_wait_loadcnt 0x4
	v_dual_add_f32 v7, v7, v11 :: v_dual_mov_b32 v104, v121
	v_dual_add_f32 v9, v9, v23 :: v_dual_fmac_f32 v15, v159, v110
	s_delay_alu instid0(VALU_DEP_2) | instskip(SKIP_1) | instid1(VALU_DEP_3)
	v_dual_fma_f32 v11, v158, v110, -v27 :: v_dual_add_f32 v7, v7, v13
	v_dual_mul_f32 v177, v162, v115 :: v_dual_mul_f32 v179, v164, v117
	v_dual_add_f32 v9, v9, v19 :: v_dual_fma_f32 v13, v160, v112, -v29
	s_delay_alu instid0(VALU_DEP_3) | instskip(SKIP_1) | instid1(VALU_DEP_3)
	v_dual_fmac_f32 v17, v161, v112 :: v_dual_add_f32 v7, v7, v15
	v_pk_mul_f32 v[102:103], v[134:135], v[118:119] op_sel:[1,1] op_sel_hi:[0,1]
	v_dual_add_f32 v9, v9, v11 :: v_dual_fmac_f32 v177, v163, v114
	s_wait_loadcnt 0x3
	v_dual_mov_b32 v108, v125 :: v_dual_fma_f32 v176, v162, v114, -v31
	v_dual_add_f32 v111, v7, v17 :: v_dual_fmac_f32 v179, v165, v116
	s_delay_alu instid0(VALU_DEP_3) | instskip(SKIP_3) | instid1(VALU_DEP_4)
	v_dual_add_f32 v110, v9, v13 :: v_dual_fma_f32 v178, v164, v116, -v33
	v_pk_fma_f32 v[112:113], v[134:135], v[118:119], v[102:103] op_sel_hi:[1,0,1]
	v_pk_mul_f32 v[104:105], v[168:169], v[104:105] op_sel_hi:[1,0]
	v_pk_fma_f32 v[102:103], v[134:135], v[118:119], v[102:103] neg_lo:[0,0,1] neg_hi:[0,0,1]
	v_pk_add_f32 v[110:111], v[110:111], v[176:177]
	v_pk_mul_f32 v[106:107], v[138:139], v[122:123] op_sel:[1,1] op_sel_hi:[0,1]
	v_mov_b32_e32 v103, v113
	v_pk_fma_f32 v[112:113], v[136:137], v[120:121], v[104:105] op_sel_hi:[1,0,1]
	v_pk_fma_f32 v[104:105], v[136:137], v[120:121], v[104:105] neg_lo:[0,0,1] neg_hi:[0,0,1]
	v_pk_add_f32 v[110:111], v[110:111], v[178:179]
	v_pk_fma_f32 v[116:117], v[138:139], v[122:123], v[106:107] op_sel_hi:[1,0,1]
	v_pk_mul_f32 v[108:109], v[170:171], v[108:109] op_sel_hi:[1,0]
	v_mov_b32_e32 v105, v113
	s_wait_loadcnt 0x2
	v_pk_mul_f32 v[114:115], v[142:143], v[126:127] op_sel:[1,1] op_sel_hi:[0,1]
	v_pk_add_f32 v[102:103], v[110:111], v[102:103]
	v_mov_b32_e32 v110, v129
	v_pk_fma_f32 v[106:107], v[138:139], v[122:123], v[106:107] neg_lo:[0,0,1] neg_hi:[0,0,1]
	v_mov_b32_e32 v107, v117
	v_pk_fma_f32 v[112:113], v[140:141], v[124:125], v[108:109] op_sel_hi:[1,0,1]
	v_pk_add_f32 v[102:103], v[102:103], v[104:105]
	v_pk_fma_f32 v[104:105], v[142:143], v[126:127], v[114:115] op_sel_hi:[1,0,1]
	v_pk_mul_f32 v[110:111], v[172:173], v[110:111] op_sel_hi:[1,0]
	v_pk_fma_f32 v[108:109], v[140:141], v[124:125], v[108:109] neg_lo:[0,0,1] neg_hi:[0,0,1]
	v_mov_b32_e32 v109, v113
	v_pk_add_f32 v[102:103], v[102:103], v[106:107]
	v_pk_fma_f32 v[112:113], v[142:143], v[126:127], v[114:115] neg_lo:[0,0,1] neg_hi:[0,0,1]
	v_mov_b32_e32 v113, v105
	v_pk_fma_f32 v[104:105], v[144:145], v[128:129], v[110:111] op_sel_hi:[1,0,1]
	s_wait_loadcnt 0x1
	v_pk_mul_f32 v[106:107], v[146:147], v[130:131] op_sel:[1,1] op_sel_hi:[0,1]
	v_pk_add_f32 v[102:103], v[102:103], v[108:109]
	v_mov_b32_e32 v104, v133
	v_pk_fma_f32 v[110:111], v[144:145], v[128:129], v[110:111] neg_lo:[0,0,1] neg_hi:[0,0,1]
	v_mov_b32_e32 v111, v105
	v_pk_fma_f32 v[108:109], v[146:147], v[130:131], v[106:107] op_sel_hi:[1,0,1]
	v_pk_add_f32 v[102:103], v[102:103], v[112:113]
	v_pk_mul_f32 v[104:105], v[174:175], v[104:105] op_sel_hi:[1,0]
	v_pk_fma_f32 v[106:107], v[146:147], v[130:131], v[106:107] neg_lo:[0,0,1] neg_hi:[0,0,1]
	s_delay_alu instid0(VALU_DEP_4) | instskip(NEXT) | instid1(VALU_DEP_4)
	v_mov_b32_e32 v107, v109
	v_pk_add_f32 v[102:103], v[102:103], v[110:111]
	s_delay_alu instid0(VALU_DEP_4) | instskip(SKIP_1) | instid1(VALU_DEP_2)
	v_pk_fma_f32 v[108:109], v[148:149], v[132:133], v[104:105] op_sel_hi:[1,0,1]
	v_pk_fma_f32 v[104:105], v[148:149], v[132:133], v[104:105] neg_lo:[0,0,1] neg_hi:[0,0,1]
	v_mov_b32_e32 v105, v109
	s_delay_alu instid0(VALU_DEP_4) | instskip(NEXT) | instid1(VALU_DEP_1)
	v_pk_add_f32 v[102:103], v[102:103], v[106:107]
	v_pk_add_f32 v[102:103], v[102:103], v[104:105]
	s_wait_loadcnt 0x0
	s_delay_alu instid0(VALU_DEP_1)
	v_pk_add_f32 v[102:103], v[166:167], v[102:103] neg_lo:[0,1] neg_hi:[0,1]
	scratch_store_b64 off, v[102:103], off offset:264
	s_wait_xcnt 0x0
	v_cmpx_lt_u32_e32 32, v0
	s_cbranch_execz .LBB113_249
; %bb.248:
	scratch_load_b64 v[102:103], off, off offset:256
	v_mov_b64_e32 v[104:105], 0
	scratch_store_b64 off, v[104:105], off offset:256
	s_wait_loadcnt 0x0
	ds_store_b64 v1, v[102:103]
.LBB113_249:
	s_wait_xcnt 0x0
	s_or_b32 exec_lo, exec_lo, s0
	s_wait_storecnt_dscnt 0x0
	s_barrier_signal -1
	s_barrier_wait -1
	s_clause 0x9
	scratch_load_b128 v[102:105], off, off offset:264
	scratch_load_b128 v[106:109], off, off offset:280
	;; [unrolled: 1-line block ×8, first 2 shown]
	scratch_load_b64 v[166:167], off, off offset:392
	scratch_load_b64 v[168:169], off, off offset:256
	v_mov_b32_e32 v7, 0
	ds_load_2addr_b64 v[134:137], v7 offset0:91 offset1:92
	ds_load_2addr_b64 v[138:141], v7 offset0:93 offset1:94
	;; [unrolled: 1-line block ×8, first 2 shown]
	ds_load_b64 v[170:171], v7 offset:792
	s_mov_b32 s0, exec_lo
	s_wait_dscnt 0x8
	v_dual_mov_b32 v172, v137 :: v_dual_mov_b32 v173, v136
	s_wait_dscnt 0x5
	v_dual_mov_b32 v174, v141 :: v_dual_mov_b32 v179, v148
	v_dual_mov_b32 v175, v140 :: v_dual_mov_b32 v176, v145
	;; [unrolled: 1-line block ×3, first 2 shown]
	s_wait_loadcnt_dscnt 0x904
	v_dual_mul_f32 v9, v150, v103 :: v_dual_mul_f32 v23, v151, v103
	v_dual_mul_f32 v25, v153, v105 :: v_dual_mul_f32 v11, v152, v105
	s_wait_loadcnt_dscnt 0x803
	v_mul_f32_e32 v13, v154, v107
	s_wait_loadcnt_dscnt 0x601
	v_dual_mul_f32 v35, v163, v115 :: v_dual_fma_f32 v23, v150, v102, -v23
	v_dual_fmac_f32 v9, v151, v102 :: v_dual_mul_f32 v37, v165, v117
	v_dual_mul_f32 v27, v155, v107 :: v_dual_mul_f32 v29, v157, v109
	v_dual_fmac_f32 v11, v153, v104 :: v_dual_fma_f32 v25, v152, v104, -v25
	s_delay_alu instid0(VALU_DEP_3) | instskip(SKIP_3) | instid1(VALU_DEP_3)
	v_dual_add_f32 v9, 0, v9 :: v_dual_add_f32 v23, 0, v23
	v_dual_mul_f32 v15, v156, v109 :: v_dual_mul_f32 v17, v158, v111
	s_wait_loadcnt 0x5
	v_dual_mul_f32 v39, v135, v119 :: v_dual_fma_f32 v27, v154, v106, -v27
	v_dual_fmac_f32 v13, v155, v106 :: v_dual_add_f32 v9, v9, v11
	v_dual_add_f32 v11, v23, v25 :: v_dual_mov_b32 v102, v121
	v_dual_mul_f32 v31, v159, v111 :: v_dual_mul_f32 v33, v161, v113
	v_dual_fmac_f32 v15, v157, v108 :: v_dual_fma_f32 v23, v156, v108, -v29
	s_delay_alu instid0(VALU_DEP_3) | instskip(SKIP_1) | instid1(VALU_DEP_4)
	v_dual_add_f32 v9, v9, v13 :: v_dual_add_f32 v11, v11, v27
	v_dual_mul_f32 v19, v160, v113 :: v_dual_mul_f32 v21, v162, v115
	v_dual_fmac_f32 v17, v159, v110 :: v_dual_fma_f32 v13, v158, v110, -v31
	s_delay_alu instid0(VALU_DEP_3) | instskip(SKIP_3) | instid1(VALU_DEP_3)
	v_dual_add_f32 v9, v9, v15 :: v_dual_fma_f32 v15, v160, v112, -v33
	s_wait_loadcnt 0x4
	v_dual_add_f32 v11, v11, v23 :: v_dual_mov_b32 v106, v125
	v_fmac_f32_e32 v19, v161, v112
	v_dual_add_f32 v9, v9, v17 :: v_dual_fmac_f32 v21, v163, v114
	s_delay_alu instid0(VALU_DEP_3) | instskip(SKIP_1) | instid1(VALU_DEP_3)
	v_add_f32_e32 v11, v11, v13
	v_dual_mul_f32 v181, v164, v117 :: v_dual_mul_f32 v183, v134, v119
	v_dual_fma_f32 v13, v162, v114, -v35 :: v_dual_add_f32 v9, v9, v19
	s_delay_alu instid0(VALU_DEP_2) | instskip(SKIP_1) | instid1(VALU_DEP_3)
	v_dual_add_f32 v11, v11, v15 :: v_dual_fmac_f32 v181, v165, v116
	v_pk_mul_f32 v[104:105], v[138:139], v[122:123] op_sel:[1,1] op_sel_hi:[0,1]
	v_dual_fma_f32 v180, v164, v116, -v37 :: v_dual_add_f32 v111, v9, v21
	v_pk_mul_f32 v[102:103], v[172:173], v[102:103] op_sel_hi:[1,0]
	s_wait_loadcnt 0x3
	v_dual_add_f32 v110, v11, v13 :: v_dual_mov_b32 v112, v129
	v_pk_fma_f32 v[116:117], v[138:139], v[122:123], v[104:105] op_sel_hi:[1,0,1]
	v_fmac_f32_e32 v183, v135, v118
	v_pk_fma_f32 v[114:115], v[136:137], v[120:121], v[102:103] op_sel_hi:[1,0,1]
	v_fma_f32 v182, v134, v118, -v39
	v_pk_add_f32 v[110:111], v[110:111], v[180:181]
	v_pk_fma_f32 v[102:103], v[136:137], v[120:121], v[102:103] neg_lo:[0,0,1] neg_hi:[0,0,1]
	v_pk_fma_f32 v[104:105], v[138:139], v[122:123], v[104:105] neg_lo:[0,0,1] neg_hi:[0,0,1]
	v_pk_mul_f32 v[106:107], v[174:175], v[106:107] op_sel_hi:[1,0]
	v_dual_mov_b32 v103, v115 :: v_dual_mov_b32 v105, v117
	v_pk_add_f32 v[110:111], v[110:111], v[182:183]
	v_pk_mul_f32 v[108:109], v[142:143], v[126:127] op_sel:[1,1] op_sel_hi:[0,1]
	s_delay_alu instid0(VALU_DEP_4)
	v_pk_fma_f32 v[116:117], v[140:141], v[124:125], v[106:107] op_sel_hi:[1,0,1]
	v_pk_fma_f32 v[106:107], v[140:141], v[124:125], v[106:107] neg_lo:[0,0,1] neg_hi:[0,0,1]
	v_pk_mul_f32 v[112:113], v[176:177], v[112:113] op_sel_hi:[1,0]
	v_pk_add_f32 v[102:103], v[110:111], v[102:103]
	v_pk_fma_f32 v[110:111], v[142:143], v[126:127], v[108:109] op_sel_hi:[1,0,1]
	v_mov_b32_e32 v107, v117
	v_pk_fma_f32 v[108:109], v[142:143], v[126:127], v[108:109] neg_lo:[0,0,1] neg_hi:[0,0,1]
	s_wait_loadcnt 0x2
	v_pk_mul_f32 v[114:115], v[146:147], v[130:131] op_sel:[1,1] op_sel_hi:[0,1]
	v_pk_add_f32 v[102:103], v[102:103], v[104:105]
	v_dual_mov_b32 v104, v133 :: v_dual_mov_b32 v109, v111
	v_pk_fma_f32 v[110:111], v[144:145], v[128:129], v[112:113] op_sel_hi:[1,0,1]
	v_pk_fma_f32 v[112:113], v[144:145], v[128:129], v[112:113] neg_lo:[0,0,1] neg_hi:[0,0,1]
	s_delay_alu instid0(VALU_DEP_4)
	v_pk_add_f32 v[102:103], v[102:103], v[106:107]
	v_pk_fma_f32 v[106:107], v[146:147], v[130:131], v[114:115] op_sel_hi:[1,0,1]
	v_pk_mul_f32 v[104:105], v[178:179], v[104:105] op_sel_hi:[1,0]
	v_mov_b32_e32 v113, v111
	s_wait_loadcnt_dscnt 0x100
	v_pk_mul_f32 v[110:111], v[170:171], v[166:167] op_sel:[1,1] op_sel_hi:[0,1]
	v_pk_add_f32 v[102:103], v[102:103], v[108:109]
	v_pk_fma_f32 v[108:109], v[146:147], v[130:131], v[114:115] neg_lo:[0,0,1] neg_hi:[0,0,1]
	v_mov_b32_e32 v109, v107
	v_pk_fma_f32 v[106:107], v[148:149], v[132:133], v[104:105] op_sel_hi:[1,0,1]
	v_pk_fma_f32 v[104:105], v[148:149], v[132:133], v[104:105] neg_lo:[0,0,1] neg_hi:[0,0,1]
	v_pk_add_f32 v[102:103], v[102:103], v[112:113]
	s_delay_alu instid0(VALU_DEP_3) | instskip(SKIP_1) | instid1(VALU_DEP_3)
	v_mov_b32_e32 v105, v107
	v_pk_fma_f32 v[106:107], v[170:171], v[166:167], v[110:111] op_sel_hi:[1,0,1]
	v_pk_add_f32 v[102:103], v[102:103], v[108:109]
	v_pk_fma_f32 v[108:109], v[170:171], v[166:167], v[110:111] neg_lo:[0,0,1] neg_hi:[0,0,1]
	s_delay_alu instid0(VALU_DEP_3) | instskip(NEXT) | instid1(VALU_DEP_3)
	v_mov_b32_e32 v109, v107
	v_pk_add_f32 v[102:103], v[102:103], v[104:105]
	s_delay_alu instid0(VALU_DEP_1) | instskip(SKIP_1) | instid1(VALU_DEP_1)
	v_pk_add_f32 v[102:103], v[102:103], v[108:109]
	s_wait_loadcnt 0x0
	v_pk_add_f32 v[102:103], v[168:169], v[102:103] neg_lo:[0,1] neg_hi:[0,1]
	scratch_store_b64 off, v[102:103], off offset:256
	s_wait_xcnt 0x0
	v_cmpx_lt_u32_e32 31, v0
	s_cbranch_execz .LBB113_251
; %bb.250:
	scratch_load_b64 v[102:103], off, off offset:248
	v_mov_b64_e32 v[104:105], 0
	scratch_store_b64 off, v[104:105], off offset:248
	s_wait_loadcnt 0x0
	ds_store_b64 v1, v[102:103]
.LBB113_251:
	s_wait_xcnt 0x0
	s_or_b32 exec_lo, exec_lo, s0
	s_wait_storecnt_dscnt 0x0
	s_barrier_signal -1
	s_barrier_wait -1
	s_clause 0x9
	scratch_load_b128 v[102:105], off, off offset:256
	scratch_load_b128 v[106:109], off, off offset:272
	;; [unrolled: 1-line block ×9, first 2 shown]
	scratch_load_b64 v[174:175], off, off offset:248
	ds_load_b128 v[138:141], v7 offset:736
	ds_load_b128 v[142:145], v7 offset:752
	;; [unrolled: 1-line block ×9, first 2 shown]
	s_mov_b32 s0, exec_lo
	s_wait_dscnt 0x8
	v_dual_mov_b32 v176, v141 :: v_dual_mov_b32 v177, v140
	s_wait_dscnt 0x7
	v_dual_mov_b32 v178, v145 :: v_dual_mov_b32 v179, v144
	;; [unrolled: 2-line block ×4, first 2 shown]
	s_wait_loadcnt_dscnt 0x904
	v_dual_mul_f32 v7, v154, v103 :: v_dual_mul_f32 v9, v156, v105
	v_dual_mul_f32 v23, v155, v103 :: v_dual_mul_f32 v25, v157, v105
	s_wait_loadcnt_dscnt 0x803
	v_dual_mul_f32 v11, v158, v107 :: v_dual_mul_f32 v13, v160, v109
	s_delay_alu instid0(VALU_DEP_3) | instskip(SKIP_3) | instid1(VALU_DEP_3)
	v_dual_fmac_f32 v7, v155, v102 :: v_dual_fmac_f32 v9, v157, v104
	s_wait_loadcnt_dscnt 0x601
	v_dual_fma_f32 v23, v154, v102, -v23 :: v_dual_mul_f32 v35, v167, v115
	v_dual_mul_f32 v27, v159, v107 :: v_dual_mul_f32 v29, v161, v109
	v_dual_fma_f32 v25, v156, v104, -v25 :: v_dual_add_f32 v7, 0, v7
	s_delay_alu instid0(VALU_DEP_3) | instskip(SKIP_1) | instid1(VALU_DEP_3)
	v_dual_add_f32 v23, 0, v23 :: v_dual_mul_f32 v37, v169, v117
	v_dual_fmac_f32 v11, v159, v106 :: v_dual_fmac_f32 v13, v161, v108
	v_dual_fma_f32 v27, v158, v106, -v27 :: v_dual_add_f32 v7, v7, v9
	s_delay_alu instid0(VALU_DEP_3) | instskip(SKIP_2) | instid1(VALU_DEP_4)
	v_dual_add_f32 v9, v23, v25 :: v_dual_fma_f32 v25, v160, v108, -v29
	v_dual_mul_f32 v15, v162, v111 :: v_dual_mul_f32 v17, v164, v113
	v_dual_mul_f32 v31, v163, v111 :: v_dual_mul_f32 v33, v165, v113
	v_add_f32_e32 v7, v7, v11
	s_delay_alu instid0(VALU_DEP_3) | instskip(NEXT) | instid1(VALU_DEP_3)
	v_dual_add_f32 v9, v9, v27 :: v_dual_fmac_f32 v15, v163, v110
	v_fma_f32 v27, v162, v110, -v31
	v_dual_mul_f32 v19, v166, v115 :: v_dual_mul_f32 v21, v168, v117
	s_delay_alu instid0(VALU_DEP_4) | instskip(NEXT) | instid1(VALU_DEP_4)
	v_dual_add_f32 v7, v7, v13 :: v_dual_fmac_f32 v17, v165, v112
	v_dual_add_f32 v9, v9, v25 :: v_dual_fma_f32 v13, v164, v112, -v33
	s_wait_loadcnt 0x4
	s_delay_alu instid0(VALU_DEP_2) | instskip(NEXT) | instid1(VALU_DEP_2)
	v_dual_mov_b32 v104, v125 :: v_dual_add_f32 v7, v7, v15
	v_dual_fmac_f32 v19, v167, v114 :: v_dual_add_f32 v9, v9, v27
	v_fma_f32 v15, v166, v114, -v35
	s_wait_dscnt 0x0
	v_dual_mul_f32 v185, v170, v119 :: v_dual_mul_f32 v187, v172, v121
	v_add_f32_e32 v7, v7, v17
	v_dual_add_f32 v9, v9, v13 :: v_dual_fma_f32 v13, v168, v116, -v37
	v_dual_mul_f32 v23, v171, v119 :: v_dual_mul_f32 v11, v173, v121
	s_delay_alu instid0(VALU_DEP_3) | instskip(NEXT) | instid1(VALU_DEP_3)
	v_dual_fmac_f32 v21, v169, v116 :: v_dual_add_f32 v7, v7, v19
	v_dual_add_f32 v9, v9, v15 :: v_dual_fmac_f32 v185, v171, v118
	v_pk_mul_f32 v[102:103], v[138:139], v[122:123] op_sel:[1,1] op_sel_hi:[0,1]
	s_wait_loadcnt 0x3
	v_dual_mov_b32 v108, v129 :: v_dual_fma_f32 v184, v170, v118, -v23
	v_dual_add_f32 v111, v7, v21 :: v_dual_fmac_f32 v187, v173, v120
	v_dual_add_f32 v110, v9, v13 :: v_dual_fma_f32 v186, v172, v120, -v11
	v_pk_fma_f32 v[112:113], v[138:139], v[122:123], v[102:103] op_sel_hi:[1,0,1]
	v_pk_mul_f32 v[104:105], v[176:177], v[104:105] op_sel_hi:[1,0]
	v_pk_fma_f32 v[102:103], v[138:139], v[122:123], v[102:103] neg_lo:[0,0,1] neg_hi:[0,0,1]
	s_delay_alu instid0(VALU_DEP_4)
	v_pk_add_f32 v[110:111], v[110:111], v[184:185]
	v_pk_mul_f32 v[106:107], v[142:143], v[126:127] op_sel:[1,1] op_sel_hi:[0,1]
	v_mov_b32_e32 v103, v113
	v_pk_fma_f32 v[112:113], v[140:141], v[124:125], v[104:105] op_sel_hi:[1,0,1]
	v_pk_fma_f32 v[104:105], v[140:141], v[124:125], v[104:105] neg_lo:[0,0,1] neg_hi:[0,0,1]
	v_pk_add_f32 v[110:111], v[110:111], v[186:187]
	v_pk_fma_f32 v[116:117], v[142:143], v[126:127], v[106:107] op_sel_hi:[1,0,1]
	v_pk_mul_f32 v[108:109], v[178:179], v[108:109] op_sel_hi:[1,0]
	v_mov_b32_e32 v105, v113
	s_wait_loadcnt 0x2
	v_pk_mul_f32 v[114:115], v[146:147], v[130:131] op_sel:[1,1] op_sel_hi:[0,1]
	v_pk_add_f32 v[102:103], v[110:111], v[102:103]
	v_mov_b32_e32 v110, v133
	v_pk_fma_f32 v[106:107], v[142:143], v[126:127], v[106:107] neg_lo:[0,0,1] neg_hi:[0,0,1]
	v_mov_b32_e32 v107, v117
	v_pk_fma_f32 v[112:113], v[144:145], v[128:129], v[108:109] op_sel_hi:[1,0,1]
	v_pk_add_f32 v[102:103], v[102:103], v[104:105]
	v_pk_fma_f32 v[104:105], v[146:147], v[130:131], v[114:115] op_sel_hi:[1,0,1]
	v_pk_mul_f32 v[110:111], v[180:181], v[110:111] op_sel_hi:[1,0]
	v_pk_fma_f32 v[108:109], v[144:145], v[128:129], v[108:109] neg_lo:[0,0,1] neg_hi:[0,0,1]
	v_mov_b32_e32 v109, v113
	v_pk_add_f32 v[102:103], v[102:103], v[106:107]
	v_pk_fma_f32 v[112:113], v[146:147], v[130:131], v[114:115] neg_lo:[0,0,1] neg_hi:[0,0,1]
	v_mov_b32_e32 v113, v105
	v_pk_fma_f32 v[104:105], v[148:149], v[132:133], v[110:111] op_sel_hi:[1,0,1]
	s_wait_loadcnt 0x1
	v_pk_mul_f32 v[106:107], v[150:151], v[134:135] op_sel:[1,1] op_sel_hi:[0,1]
	v_pk_add_f32 v[102:103], v[102:103], v[108:109]
	v_mov_b32_e32 v104, v137
	v_pk_fma_f32 v[110:111], v[148:149], v[132:133], v[110:111] neg_lo:[0,0,1] neg_hi:[0,0,1]
	v_mov_b32_e32 v111, v105
	v_pk_fma_f32 v[108:109], v[150:151], v[134:135], v[106:107] op_sel_hi:[1,0,1]
	v_pk_add_f32 v[102:103], v[102:103], v[112:113]
	v_pk_mul_f32 v[104:105], v[182:183], v[104:105] op_sel_hi:[1,0]
	v_pk_fma_f32 v[106:107], v[150:151], v[134:135], v[106:107] neg_lo:[0,0,1] neg_hi:[0,0,1]
	s_delay_alu instid0(VALU_DEP_4) | instskip(NEXT) | instid1(VALU_DEP_4)
	v_mov_b32_e32 v107, v109
	v_pk_add_f32 v[102:103], v[102:103], v[110:111]
	s_delay_alu instid0(VALU_DEP_4) | instskip(SKIP_1) | instid1(VALU_DEP_2)
	v_pk_fma_f32 v[108:109], v[152:153], v[136:137], v[104:105] op_sel_hi:[1,0,1]
	v_pk_fma_f32 v[104:105], v[152:153], v[136:137], v[104:105] neg_lo:[0,0,1] neg_hi:[0,0,1]
	v_mov_b32_e32 v105, v109
	s_delay_alu instid0(VALU_DEP_4) | instskip(NEXT) | instid1(VALU_DEP_1)
	v_pk_add_f32 v[102:103], v[102:103], v[106:107]
	v_pk_add_f32 v[102:103], v[102:103], v[104:105]
	s_wait_loadcnt 0x0
	s_delay_alu instid0(VALU_DEP_1)
	v_pk_add_f32 v[102:103], v[174:175], v[102:103] neg_lo:[0,1] neg_hi:[0,1]
	scratch_store_b64 off, v[102:103], off offset:248
	s_wait_xcnt 0x0
	v_cmpx_lt_u32_e32 30, v0
	s_cbranch_execz .LBB113_253
; %bb.252:
	scratch_load_b64 v[102:103], off, off offset:240
	v_mov_b64_e32 v[104:105], 0
	scratch_store_b64 off, v[104:105], off offset:240
	s_wait_loadcnt 0x0
	ds_store_b64 v1, v[102:103]
.LBB113_253:
	s_wait_xcnt 0x0
	s_or_b32 exec_lo, exec_lo, s0
	s_wait_storecnt_dscnt 0x0
	s_barrier_signal -1
	s_barrier_wait -1
	s_clause 0xa
	scratch_load_b128 v[102:105], off, off offset:248
	scratch_load_b128 v[106:109], off, off offset:264
	;; [unrolled: 1-line block ×9, first 2 shown]
	scratch_load_b64 v[174:175], off, off offset:392
	scratch_load_b64 v[176:177], off, off offset:240
	v_mov_b32_e32 v7, 0
	ds_load_2addr_b64 v[138:141], v7 offset0:91 offset1:92
	ds_load_2addr_b64 v[142:145], v7 offset0:93 offset1:94
	;; [unrolled: 1-line block ×9, first 2 shown]
	ds_load_b64 v[178:179], v7 offset:792
	s_mov_b32 s0, exec_lo
	s_wait_dscnt 0x9
	v_dual_mov_b32 v180, v141 :: v_dual_mov_b32 v181, v140
	s_wait_dscnt 0x6
	v_dual_mov_b32 v182, v145 :: v_dual_mov_b32 v187, v152
	v_dual_mov_b32 v183, v144 :: v_dual_mov_b32 v184, v149
	;; [unrolled: 1-line block ×3, first 2 shown]
	s_wait_loadcnt_dscnt 0xa05
	v_dual_mul_f32 v9, v154, v103 :: v_dual_mul_f32 v27, v155, v103
	v_dual_mul_f32 v29, v157, v105 :: v_dual_mul_f32 v11, v156, v105
	s_wait_loadcnt_dscnt 0x904
	v_mul_f32_e32 v13, v158, v107
	s_wait_loadcnt_dscnt 0x702
	v_dual_mul_f32 v39, v167, v115 :: v_dual_fma_f32 v27, v154, v102, -v27
	v_dual_fmac_f32 v9, v155, v102 :: v_dual_mul_f32 v41, v169, v117
	v_dual_mul_f32 v31, v159, v107 :: v_dual_mul_f32 v33, v161, v109
	v_dual_fmac_f32 v11, v157, v104 :: v_dual_fma_f32 v29, v156, v104, -v29
	s_delay_alu instid0(VALU_DEP_3) | instskip(SKIP_3) | instid1(VALU_DEP_3)
	v_dual_add_f32 v9, 0, v9 :: v_dual_add_f32 v27, 0, v27
	v_dual_mul_f32 v15, v160, v109 :: v_dual_mul_f32 v17, v162, v111
	s_wait_loadcnt_dscnt 0x601
	v_dual_mul_f32 v43, v171, v119 :: v_dual_fma_f32 v31, v158, v106, -v31
	v_dual_fmac_f32 v13, v159, v106 :: v_dual_add_f32 v9, v9, v11
	s_delay_alu instid0(VALU_DEP_3) | instskip(SKIP_2) | instid1(VALU_DEP_3)
	v_dual_add_f32 v11, v27, v29 :: v_dual_fmac_f32 v15, v161, v108
	v_dual_mul_f32 v35, v163, v111 :: v_dual_mul_f32 v37, v165, v113
	v_dual_mul_f32 v27, v173, v121 :: v_dual_fma_f32 v29, v160, v108, -v33
	v_dual_add_f32 v9, v9, v13 :: v_dual_add_f32 v11, v11, v31
	v_dual_mul_f32 v19, v164, v113 :: v_dual_mul_f32 v21, v166, v115
	s_wait_loadcnt 0x5
	v_dual_mul_f32 v13, v139, v123 :: v_dual_fma_f32 v31, v162, v110, -v35
	s_delay_alu instid0(VALU_DEP_3) | instskip(SKIP_2) | instid1(VALU_DEP_2)
	v_dual_fmac_f32 v17, v163, v110 :: v_dual_add_f32 v9, v9, v15
	v_dual_add_f32 v11, v11, v29 :: v_dual_mov_b32 v102, v125
	v_dual_fmac_f32 v19, v165, v112 :: v_dual_fma_f32 v15, v164, v112, -v37
	v_dual_add_f32 v9, v9, v17 :: v_dual_add_f32 v11, v11, v31
	v_dual_mul_f32 v23, v168, v117 :: v_dual_mul_f32 v25, v170, v119
	v_dual_fmac_f32 v21, v167, v114 :: v_dual_fma_f32 v17, v166, v114, -v39
	s_delay_alu instid0(VALU_DEP_3) | instskip(SKIP_3) | instid1(VALU_DEP_3)
	v_add_f32_e32 v9, v9, v19
	s_wait_loadcnt 0x4
	v_dual_add_f32 v11, v11, v15 :: v_dual_mov_b32 v106, v129
	v_dual_fmac_f32 v23, v169, v116 :: v_dual_fma_f32 v15, v168, v116, -v41
	v_dual_add_f32 v9, v9, v21 :: v_dual_fmac_f32 v25, v171, v118
	s_delay_alu instid0(VALU_DEP_3) | instskip(SKIP_1) | instid1(VALU_DEP_3)
	v_add_f32_e32 v11, v11, v17
	v_dual_mul_f32 v189, v172, v121 :: v_dual_mul_f32 v191, v138, v123
	v_dual_fma_f32 v17, v170, v118, -v43 :: v_dual_add_f32 v9, v9, v23
	s_delay_alu instid0(VALU_DEP_2) | instskip(SKIP_2) | instid1(VALU_DEP_4)
	v_dual_add_f32 v11, v11, v15 :: v_dual_fmac_f32 v189, v173, v120
	v_fma_f32 v188, v172, v120, -v27
	v_pk_mul_f32 v[102:103], v[180:181], v[102:103] op_sel_hi:[1,0]
	v_add_f32_e32 v111, v9, v25
	s_wait_loadcnt 0x3
	v_dual_add_f32 v110, v11, v17 :: v_dual_mov_b32 v112, v133
	v_pk_mul_f32 v[104:105], v[142:143], v[126:127] op_sel:[1,1] op_sel_hi:[0,1]
	v_dual_fmac_f32 v191, v139, v122 :: v_dual_fma_f32 v190, v138, v122, -v13
	v_pk_fma_f32 v[114:115], v[140:141], v[124:125], v[102:103] op_sel_hi:[1,0,1]
	s_delay_alu instid0(VALU_DEP_4)
	v_pk_add_f32 v[110:111], v[110:111], v[188:189]
	v_pk_fma_f32 v[102:103], v[140:141], v[124:125], v[102:103] neg_lo:[0,0,1] neg_hi:[0,0,1]
	v_pk_fma_f32 v[116:117], v[142:143], v[126:127], v[104:105] op_sel_hi:[1,0,1]
	v_pk_mul_f32 v[106:107], v[182:183], v[106:107] op_sel_hi:[1,0]
	v_mov_b32_e32 v103, v115
	v_pk_add_f32 v[110:111], v[110:111], v[190:191]
	v_pk_fma_f32 v[104:105], v[142:143], v[126:127], v[104:105] neg_lo:[0,0,1] neg_hi:[0,0,1]
	v_pk_mul_f32 v[108:109], v[146:147], v[130:131] op_sel:[1,1] op_sel_hi:[0,1]
	v_mov_b32_e32 v105, v117
	v_pk_fma_f32 v[116:117], v[144:145], v[128:129], v[106:107] op_sel_hi:[1,0,1]
	v_pk_add_f32 v[102:103], v[110:111], v[102:103]
	v_pk_fma_f32 v[106:107], v[144:145], v[128:129], v[106:107] neg_lo:[0,0,1] neg_hi:[0,0,1]
	v_pk_fma_f32 v[110:111], v[146:147], v[130:131], v[108:109] op_sel_hi:[1,0,1]
	v_pk_mul_f32 v[112:113], v[184:185], v[112:113] op_sel_hi:[1,0]
	v_mov_b32_e32 v107, v117
	v_pk_add_f32 v[102:103], v[102:103], v[104:105]
	v_pk_fma_f32 v[108:109], v[146:147], v[130:131], v[108:109] neg_lo:[0,0,1] neg_hi:[0,0,1]
	s_wait_loadcnt 0x2
	v_pk_mul_f32 v[114:115], v[150:151], v[134:135] op_sel:[1,1] op_sel_hi:[0,1]
	v_dual_mov_b32 v104, v137 :: v_dual_mov_b32 v109, v111
	v_pk_fma_f32 v[110:111], v[148:149], v[132:133], v[112:113] op_sel_hi:[1,0,1]
	v_pk_add_f32 v[102:103], v[102:103], v[106:107]
	v_pk_fma_f32 v[112:113], v[148:149], v[132:133], v[112:113] neg_lo:[0,0,1] neg_hi:[0,0,1]
	v_pk_fma_f32 v[106:107], v[150:151], v[134:135], v[114:115] op_sel_hi:[1,0,1]
	v_pk_mul_f32 v[104:105], v[186:187], v[104:105] op_sel_hi:[1,0]
	v_mov_b32_e32 v113, v111
	v_pk_add_f32 v[102:103], v[102:103], v[108:109]
	v_pk_fma_f32 v[108:109], v[150:151], v[134:135], v[114:115] neg_lo:[0,0,1] neg_hi:[0,0,1]
	v_mov_b32_e32 v109, v107
	v_pk_fma_f32 v[106:107], v[152:153], v[136:137], v[104:105] op_sel_hi:[1,0,1]
	s_wait_loadcnt_dscnt 0x100
	v_pk_mul_f32 v[110:111], v[178:179], v[174:175] op_sel:[1,1] op_sel_hi:[0,1]
	v_pk_add_f32 v[102:103], v[102:103], v[112:113]
	v_pk_fma_f32 v[104:105], v[152:153], v[136:137], v[104:105] neg_lo:[0,0,1] neg_hi:[0,0,1]
	v_mov_b32_e32 v105, v107
	s_delay_alu instid0(VALU_DEP_4) | instskip(NEXT) | instid1(VALU_DEP_4)
	v_pk_fma_f32 v[106:107], v[178:179], v[174:175], v[110:111] op_sel_hi:[1,0,1]
	v_pk_add_f32 v[102:103], v[102:103], v[108:109]
	v_pk_fma_f32 v[108:109], v[178:179], v[174:175], v[110:111] neg_lo:[0,0,1] neg_hi:[0,0,1]
	s_delay_alu instid0(VALU_DEP_3) | instskip(NEXT) | instid1(VALU_DEP_3)
	v_mov_b32_e32 v109, v107
	v_pk_add_f32 v[102:103], v[102:103], v[104:105]
	s_delay_alu instid0(VALU_DEP_1) | instskip(SKIP_1) | instid1(VALU_DEP_1)
	v_pk_add_f32 v[102:103], v[102:103], v[108:109]
	s_wait_loadcnt 0x0
	v_pk_add_f32 v[102:103], v[176:177], v[102:103] neg_lo:[0,1] neg_hi:[0,1]
	scratch_store_b64 off, v[102:103], off offset:240
	s_wait_xcnt 0x0
	v_cmpx_lt_u32_e32 29, v0
	s_cbranch_execz .LBB113_255
; %bb.254:
	scratch_load_b64 v[102:103], off, off offset:232
	v_mov_b64_e32 v[104:105], 0
	scratch_store_b64 off, v[104:105], off offset:232
	s_wait_loadcnt 0x0
	ds_store_b64 v1, v[102:103]
.LBB113_255:
	s_wait_xcnt 0x0
	s_or_b32 exec_lo, exec_lo, s0
	s_wait_storecnt_dscnt 0x0
	s_barrier_signal -1
	s_barrier_wait -1
	s_clause 0xa
	scratch_load_b128 v[102:105], off, off offset:240
	scratch_load_b128 v[106:109], off, off offset:256
	;; [unrolled: 1-line block ×10, first 2 shown]
	scratch_load_b64 v[182:183], off, off offset:232
	ds_load_b128 v[142:145], v7 offset:736
	ds_load_b128 v[146:149], v7 offset:752
	;; [unrolled: 1-line block ×10, first 2 shown]
	s_mov_b32 s0, exec_lo
	s_wait_dscnt 0x9
	v_dual_mov_b32 v184, v145 :: v_dual_mov_b32 v185, v144
	s_wait_dscnt 0x8
	v_dual_mov_b32 v186, v149 :: v_dual_mov_b32 v187, v148
	;; [unrolled: 2-line block ×4, first 2 shown]
	s_wait_loadcnt_dscnt 0xa05
	v_dual_mul_f32 v7, v158, v103 :: v_dual_mul_f32 v9, v160, v105
	v_dual_mul_f32 v27, v159, v103 :: v_dual_mul_f32 v29, v161, v105
	s_wait_loadcnt_dscnt 0x904
	v_dual_mul_f32 v11, v162, v107 :: v_dual_mul_f32 v13, v164, v109
	s_delay_alu instid0(VALU_DEP_3) | instskip(SKIP_3) | instid1(VALU_DEP_3)
	v_dual_fmac_f32 v7, v159, v102 :: v_dual_fmac_f32 v9, v161, v104
	s_wait_loadcnt_dscnt 0x702
	v_dual_fma_f32 v27, v158, v102, -v27 :: v_dual_mul_f32 v39, v171, v115
	v_dual_mul_f32 v31, v163, v107 :: v_dual_mul_f32 v33, v165, v109
	v_dual_fma_f32 v29, v160, v104, -v29 :: v_dual_add_f32 v7, 0, v7
	s_delay_alu instid0(VALU_DEP_3) | instskip(SKIP_1) | instid1(VALU_DEP_3)
	v_dual_add_f32 v27, 0, v27 :: v_dual_mul_f32 v41, v173, v117
	v_dual_fmac_f32 v11, v163, v106 :: v_dual_fmac_f32 v13, v165, v108
	v_dual_fma_f32 v31, v162, v106, -v31 :: v_dual_add_f32 v7, v7, v9
	s_delay_alu instid0(VALU_DEP_3) | instskip(SKIP_2) | instid1(VALU_DEP_4)
	v_dual_add_f32 v9, v27, v29 :: v_dual_fma_f32 v29, v164, v108, -v33
	v_dual_mul_f32 v15, v166, v111 :: v_dual_mul_f32 v17, v168, v113
	v_dual_mul_f32 v35, v167, v111 :: v_dual_mul_f32 v37, v169, v113
	v_add_f32_e32 v7, v7, v11
	s_delay_alu instid0(VALU_DEP_3) | instskip(NEXT) | instid1(VALU_DEP_3)
	v_dual_add_f32 v9, v9, v31 :: v_dual_fmac_f32 v15, v167, v110
	v_fma_f32 v31, v166, v110, -v35
	v_dual_mul_f32 v19, v170, v115 :: v_dual_mul_f32 v21, v172, v117
	s_delay_alu instid0(VALU_DEP_4) | instskip(SKIP_2) | instid1(VALU_DEP_2)
	v_dual_add_f32 v7, v7, v13 :: v_dual_fmac_f32 v17, v169, v112
	s_wait_loadcnt_dscnt 0x500
	v_dual_add_f32 v9, v9, v29 :: v_dual_mul_f32 v13, v179, v123
	v_dual_fma_f32 v29, v168, v112, -v37 :: v_dual_add_f32 v7, v7, v15
	v_mul_f32_e32 v15, v181, v125
	s_delay_alu instid0(VALU_DEP_3) | instskip(NEXT) | instid1(VALU_DEP_3)
	v_dual_add_f32 v9, v9, v31 :: v_dual_fmac_f32 v19, v171, v114
	v_dual_fma_f32 v31, v170, v114, -v39 :: v_dual_add_f32 v7, v7, v17
	v_fmac_f32_e32 v21, v173, v116
	s_delay_alu instid0(VALU_DEP_3) | instskip(SKIP_4) | instid1(VALU_DEP_3)
	v_dual_add_f32 v9, v9, v29 :: v_dual_fma_f32 v17, v172, v116, -v41
	v_dual_mul_f32 v23, v174, v119 :: v_dual_mul_f32 v25, v176, v121
	v_dual_mul_f32 v27, v175, v119 :: v_dual_mul_f32 v11, v177, v121
	s_wait_loadcnt 0x4
	v_dual_add_f32 v7, v7, v19 :: v_dual_mov_b32 v104, v129
	v_dual_add_f32 v9, v9, v31 :: v_dual_fmac_f32 v23, v175, v118
	s_delay_alu instid0(VALU_DEP_2) | instskip(SKIP_1) | instid1(VALU_DEP_3)
	v_dual_fma_f32 v19, v174, v118, -v27 :: v_dual_add_f32 v7, v7, v21
	v_dual_mul_f32 v193, v178, v123 :: v_dual_mul_f32 v195, v180, v125
	v_dual_add_f32 v9, v9, v17 :: v_dual_fma_f32 v11, v176, v120, -v11
	s_delay_alu instid0(VALU_DEP_3) | instskip(SKIP_1) | instid1(VALU_DEP_3)
	v_dual_fmac_f32 v25, v177, v120 :: v_dual_add_f32 v7, v7, v23
	v_pk_mul_f32 v[102:103], v[142:143], v[126:127] op_sel:[1,1] op_sel_hi:[0,1]
	v_dual_add_f32 v9, v9, v19 :: v_dual_fmac_f32 v193, v179, v122
	s_wait_loadcnt 0x3
	v_dual_mov_b32 v108, v133 :: v_dual_fma_f32 v192, v178, v122, -v13
	s_delay_alu instid0(VALU_DEP_2)
	v_dual_add_f32 v111, v7, v25 :: v_dual_add_f32 v110, v9, v11
	v_fmac_f32_e32 v195, v181, v124
	v_pk_fma_f32 v[112:113], v[142:143], v[126:127], v[102:103] op_sel_hi:[1,0,1]
	v_fma_f32 v194, v180, v124, -v15
	v_pk_mul_f32 v[104:105], v[184:185], v[104:105] op_sel_hi:[1,0]
	v_pk_add_f32 v[110:111], v[110:111], v[192:193]
	v_pk_fma_f32 v[102:103], v[142:143], v[126:127], v[102:103] neg_lo:[0,0,1] neg_hi:[0,0,1]
	v_pk_mul_f32 v[106:107], v[146:147], v[130:131] op_sel:[1,1] op_sel_hi:[0,1]
	v_mov_b32_e32 v103, v113
	v_pk_fma_f32 v[112:113], v[144:145], v[128:129], v[104:105] op_sel_hi:[1,0,1]
	v_pk_add_f32 v[110:111], v[110:111], v[194:195]
	v_pk_fma_f32 v[104:105], v[144:145], v[128:129], v[104:105] neg_lo:[0,0,1] neg_hi:[0,0,1]
	v_pk_fma_f32 v[116:117], v[146:147], v[130:131], v[106:107] op_sel_hi:[1,0,1]
	v_pk_mul_f32 v[108:109], v[186:187], v[108:109] op_sel_hi:[1,0]
	v_mov_b32_e32 v105, v113
	v_pk_add_f32 v[102:103], v[110:111], v[102:103]
	s_wait_loadcnt 0x2
	v_pk_mul_f32 v[114:115], v[150:151], v[134:135] op_sel:[1,1] op_sel_hi:[0,1]
	v_mov_b32_e32 v110, v137
	v_pk_fma_f32 v[106:107], v[146:147], v[130:131], v[106:107] neg_lo:[0,0,1] neg_hi:[0,0,1]
	v_pk_fma_f32 v[112:113], v[148:149], v[132:133], v[108:109] op_sel_hi:[1,0,1]
	v_mov_b32_e32 v107, v117
	v_pk_add_f32 v[102:103], v[102:103], v[104:105]
	v_pk_fma_f32 v[104:105], v[150:151], v[134:135], v[114:115] op_sel_hi:[1,0,1]
	v_pk_mul_f32 v[110:111], v[188:189], v[110:111] op_sel_hi:[1,0]
	v_pk_fma_f32 v[108:109], v[148:149], v[132:133], v[108:109] neg_lo:[0,0,1] neg_hi:[0,0,1]
	v_mov_b32_e32 v109, v113
	v_pk_add_f32 v[102:103], v[102:103], v[106:107]
	v_pk_fma_f32 v[112:113], v[150:151], v[134:135], v[114:115] neg_lo:[0,0,1] neg_hi:[0,0,1]
	v_mov_b32_e32 v113, v105
	v_pk_fma_f32 v[104:105], v[152:153], v[136:137], v[110:111] op_sel_hi:[1,0,1]
	s_wait_loadcnt 0x1
	v_pk_mul_f32 v[106:107], v[154:155], v[138:139] op_sel:[1,1] op_sel_hi:[0,1]
	v_pk_add_f32 v[102:103], v[102:103], v[108:109]
	v_mov_b32_e32 v104, v141
	v_pk_fma_f32 v[110:111], v[152:153], v[136:137], v[110:111] neg_lo:[0,0,1] neg_hi:[0,0,1]
	s_delay_alu instid0(VALU_DEP_4)
	v_pk_fma_f32 v[108:109], v[154:155], v[138:139], v[106:107] op_sel_hi:[1,0,1]
	v_mov_b32_e32 v111, v105
	v_pk_add_f32 v[102:103], v[102:103], v[112:113]
	v_pk_mul_f32 v[104:105], v[190:191], v[104:105] op_sel_hi:[1,0]
	v_pk_fma_f32 v[106:107], v[154:155], v[138:139], v[106:107] neg_lo:[0,0,1] neg_hi:[0,0,1]
	v_mov_b32_e32 v107, v109
	s_delay_alu instid0(VALU_DEP_4) | instskip(NEXT) | instid1(VALU_DEP_4)
	v_pk_add_f32 v[102:103], v[102:103], v[110:111]
	v_pk_fma_f32 v[108:109], v[156:157], v[140:141], v[104:105] op_sel_hi:[1,0,1]
	v_pk_fma_f32 v[104:105], v[156:157], v[140:141], v[104:105] neg_lo:[0,0,1] neg_hi:[0,0,1]
	s_delay_alu instid0(VALU_DEP_3) | instskip(NEXT) | instid1(VALU_DEP_3)
	v_pk_add_f32 v[102:103], v[102:103], v[106:107]
	v_mov_b32_e32 v105, v109
	s_delay_alu instid0(VALU_DEP_1) | instskip(SKIP_1) | instid1(VALU_DEP_1)
	v_pk_add_f32 v[102:103], v[102:103], v[104:105]
	s_wait_loadcnt 0x0
	v_pk_add_f32 v[102:103], v[182:183], v[102:103] neg_lo:[0,1] neg_hi:[0,1]
	scratch_store_b64 off, v[102:103], off offset:232
	s_wait_xcnt 0x0
	v_cmpx_lt_u32_e32 28, v0
	s_cbranch_execz .LBB113_257
; %bb.256:
	scratch_load_b64 v[102:103], off, off offset:224
	v_mov_b64_e32 v[104:105], 0
	scratch_store_b64 off, v[104:105], off offset:224
	s_wait_loadcnt 0x0
	ds_store_b64 v1, v[102:103]
.LBB113_257:
	s_wait_xcnt 0x0
	s_or_b32 exec_lo, exec_lo, s0
	s_wait_storecnt_dscnt 0x0
	s_barrier_signal -1
	s_barrier_wait -1
	s_clause 0xb
	scratch_load_b128 v[102:105], off, off offset:232
	scratch_load_b128 v[106:109], off, off offset:248
	scratch_load_b128 v[110:113], off, off offset:264
	scratch_load_b128 v[114:117], off, off offset:280
	scratch_load_b128 v[118:121], off, off offset:296
	scratch_load_b128 v[122:125], off, off offset:312
	scratch_load_b128 v[126:129], off, off offset:328
	scratch_load_b128 v[130:133], off, off offset:344
	scratch_load_b128 v[134:137], off, off offset:360
	scratch_load_b128 v[138:141], off, off offset:376
	scratch_load_b64 v[182:183], off, off offset:392
	scratch_load_b64 v[184:185], off, off offset:224
	v_mov_b32_e32 v7, 0
	ds_load_2addr_b64 v[142:145], v7 offset0:91 offset1:92
	ds_load_2addr_b64 v[146:149], v7 offset0:93 offset1:94
	;; [unrolled: 1-line block ×10, first 2 shown]
	ds_load_b64 v[186:187], v7 offset:792
	s_mov_b32 s0, exec_lo
	s_wait_dscnt 0xa
	v_dual_mov_b32 v188, v145 :: v_dual_mov_b32 v189, v144
	s_wait_dscnt 0x7
	v_dual_mov_b32 v190, v149 :: v_dual_mov_b32 v195, v156
	v_dual_mov_b32 v191, v148 :: v_dual_mov_b32 v192, v153
	;; [unrolled: 1-line block ×3, first 2 shown]
	s_wait_loadcnt_dscnt 0xb06
	v_dual_mul_f32 v9, v158, v103 :: v_dual_mul_f32 v31, v159, v103
	v_dual_mul_f32 v33, v161, v105 :: v_dual_mul_f32 v11, v160, v105
	s_wait_loadcnt_dscnt 0xa05
	v_mul_f32_e32 v13, v162, v107
	s_wait_loadcnt_dscnt 0x803
	v_dual_mul_f32 v43, v171, v115 :: v_dual_fma_f32 v31, v158, v102, -v31
	v_dual_fmac_f32 v9, v159, v102 :: v_dual_mul_f32 v45, v173, v117
	v_dual_mul_f32 v35, v163, v107 :: v_dual_mul_f32 v37, v165, v109
	v_dual_fmac_f32 v11, v161, v104 :: v_dual_fma_f32 v33, v160, v104, -v33
	s_delay_alu instid0(VALU_DEP_3) | instskip(SKIP_3) | instid1(VALU_DEP_3)
	v_dual_add_f32 v9, 0, v9 :: v_dual_add_f32 v31, 0, v31
	v_dual_mul_f32 v15, v164, v109 :: v_dual_mul_f32 v17, v166, v111
	s_wait_loadcnt_dscnt 0x702
	v_dual_mul_f32 v47, v175, v119 :: v_dual_fma_f32 v35, v162, v106, -v35
	v_dual_fmac_f32 v13, v163, v106 :: v_dual_add_f32 v9, v9, v11
	s_delay_alu instid0(VALU_DEP_3) | instskip(SKIP_2) | instid1(VALU_DEP_3)
	v_dual_add_f32 v11, v31, v33 :: v_dual_fmac_f32 v15, v165, v108
	v_dual_mul_f32 v39, v167, v111 :: v_dual_mul_f32 v41, v169, v113
	v_dual_mul_f32 v31, v177, v121 :: v_dual_fma_f32 v33, v164, v108, -v37
	v_dual_add_f32 v9, v9, v13 :: v_dual_add_f32 v11, v11, v35
	v_dual_mul_f32 v19, v168, v113 :: v_dual_mul_f32 v21, v170, v115
	s_wait_loadcnt_dscnt 0x601
	v_dual_mul_f32 v13, v179, v123 :: v_dual_fma_f32 v35, v166, v110, -v39
	s_delay_alu instid0(VALU_DEP_3) | instskip(NEXT) | instid1(VALU_DEP_3)
	v_dual_fmac_f32 v17, v167, v110 :: v_dual_add_f32 v9, v9, v15
	v_dual_add_f32 v11, v11, v33 :: v_dual_fmac_f32 v19, v169, v112
	v_dual_mul_f32 v15, v181, v125 :: v_dual_fma_f32 v33, v168, v112, -v41
	s_delay_alu instid0(VALU_DEP_2) | instskip(SKIP_3) | instid1(VALU_DEP_3)
	v_dual_add_f32 v9, v9, v17 :: v_dual_add_f32 v11, v11, v35
	v_dual_mul_f32 v23, v172, v117 :: v_dual_mul_f32 v25, v174, v119
	s_wait_loadcnt 0x5
	v_dual_mul_f32 v17, v143, v127 :: v_dual_fma_f32 v35, v170, v114, -v43
	v_dual_fmac_f32 v21, v171, v114 :: v_dual_add_f32 v9, v9, v19
	v_dual_add_f32 v11, v11, v33 :: v_dual_mov_b32 v102, v129
	v_dual_fmac_f32 v23, v173, v116 :: v_dual_fma_f32 v19, v172, v116, -v45
	s_delay_alu instid0(VALU_DEP_2) | instskip(SKIP_2) | instid1(VALU_DEP_3)
	v_dual_add_f32 v9, v9, v21 :: v_dual_add_f32 v11, v11, v35
	v_dual_mul_f32 v27, v176, v121 :: v_dual_mul_f32 v29, v178, v123
	v_dual_fmac_f32 v25, v175, v118 :: v_dual_fma_f32 v21, v174, v118, -v47
	v_add_f32_e32 v9, v9, v23
	s_wait_loadcnt 0x4
	v_dual_add_f32 v11, v11, v19 :: v_dual_mov_b32 v106, v133
	v_fmac_f32_e32 v27, v177, v120
	s_delay_alu instid0(VALU_DEP_3) | instskip(SKIP_1) | instid1(VALU_DEP_4)
	v_dual_fma_f32 v19, v176, v120, -v31 :: v_dual_add_f32 v9, v9, v25
	v_fmac_f32_e32 v29, v179, v122
	v_add_f32_e32 v11, v11, v21
	v_dual_mul_f32 v197, v180, v125 :: v_dual_mul_f32 v199, v142, v127
	s_delay_alu instid0(VALU_DEP_4) | instskip(NEXT) | instid1(VALU_DEP_2)
	v_dual_fma_f32 v13, v178, v122, -v13 :: v_dual_add_f32 v9, v9, v27
	v_dual_add_f32 v11, v11, v19 :: v_dual_fmac_f32 v197, v181, v124
	v_fma_f32 v196, v180, v124, -v15
	v_pk_mul_f32 v[102:103], v[188:189], v[102:103] op_sel_hi:[1,0]
	s_delay_alu instid0(VALU_DEP_4)
	v_add_f32_e32 v111, v9, v29
	s_wait_loadcnt 0x3
	v_dual_add_f32 v110, v11, v13 :: v_dual_mov_b32 v112, v137
	v_pk_mul_f32 v[104:105], v[146:147], v[130:131] op_sel:[1,1] op_sel_hi:[0,1]
	v_dual_fmac_f32 v199, v143, v126 :: v_dual_fma_f32 v198, v142, v126, -v17
	v_pk_fma_f32 v[114:115], v[144:145], v[128:129], v[102:103] op_sel_hi:[1,0,1]
	s_delay_alu instid0(VALU_DEP_4)
	v_pk_add_f32 v[110:111], v[110:111], v[196:197]
	v_pk_fma_f32 v[102:103], v[144:145], v[128:129], v[102:103] neg_lo:[0,0,1] neg_hi:[0,0,1]
	v_pk_fma_f32 v[116:117], v[146:147], v[130:131], v[104:105] op_sel_hi:[1,0,1]
	v_pk_mul_f32 v[106:107], v[190:191], v[106:107] op_sel_hi:[1,0]
	v_mov_b32_e32 v103, v115
	v_pk_add_f32 v[110:111], v[110:111], v[198:199]
	v_pk_fma_f32 v[104:105], v[146:147], v[130:131], v[104:105] neg_lo:[0,0,1] neg_hi:[0,0,1]
	v_pk_mul_f32 v[108:109], v[150:151], v[134:135] op_sel:[1,1] op_sel_hi:[0,1]
	v_mov_b32_e32 v105, v117
	v_pk_fma_f32 v[116:117], v[148:149], v[132:133], v[106:107] op_sel_hi:[1,0,1]
	v_pk_add_f32 v[102:103], v[110:111], v[102:103]
	v_pk_fma_f32 v[106:107], v[148:149], v[132:133], v[106:107] neg_lo:[0,0,1] neg_hi:[0,0,1]
	v_pk_fma_f32 v[110:111], v[150:151], v[134:135], v[108:109] op_sel_hi:[1,0,1]
	v_pk_mul_f32 v[112:113], v[192:193], v[112:113] op_sel_hi:[1,0]
	v_mov_b32_e32 v107, v117
	v_pk_add_f32 v[102:103], v[102:103], v[104:105]
	v_pk_fma_f32 v[108:109], v[150:151], v[134:135], v[108:109] neg_lo:[0,0,1] neg_hi:[0,0,1]
	s_wait_loadcnt 0x2
	v_pk_mul_f32 v[114:115], v[154:155], v[138:139] op_sel:[1,1] op_sel_hi:[0,1]
	v_dual_mov_b32 v104, v141 :: v_dual_mov_b32 v109, v111
	v_pk_fma_f32 v[110:111], v[152:153], v[136:137], v[112:113] op_sel_hi:[1,0,1]
	v_pk_add_f32 v[102:103], v[102:103], v[106:107]
	v_pk_fma_f32 v[112:113], v[152:153], v[136:137], v[112:113] neg_lo:[0,0,1] neg_hi:[0,0,1]
	v_pk_fma_f32 v[106:107], v[154:155], v[138:139], v[114:115] op_sel_hi:[1,0,1]
	v_pk_mul_f32 v[104:105], v[194:195], v[104:105] op_sel_hi:[1,0]
	v_mov_b32_e32 v113, v111
	v_pk_add_f32 v[102:103], v[102:103], v[108:109]
	v_pk_fma_f32 v[108:109], v[154:155], v[138:139], v[114:115] neg_lo:[0,0,1] neg_hi:[0,0,1]
	v_mov_b32_e32 v109, v107
	v_pk_fma_f32 v[106:107], v[156:157], v[140:141], v[104:105] op_sel_hi:[1,0,1]
	s_wait_loadcnt_dscnt 0x100
	v_pk_mul_f32 v[110:111], v[186:187], v[182:183] op_sel:[1,1] op_sel_hi:[0,1]
	v_pk_add_f32 v[102:103], v[102:103], v[112:113]
	v_pk_fma_f32 v[104:105], v[156:157], v[140:141], v[104:105] neg_lo:[0,0,1] neg_hi:[0,0,1]
	v_mov_b32_e32 v105, v107
	s_delay_alu instid0(VALU_DEP_4) | instskip(NEXT) | instid1(VALU_DEP_4)
	v_pk_fma_f32 v[106:107], v[186:187], v[182:183], v[110:111] op_sel_hi:[1,0,1]
	v_pk_add_f32 v[102:103], v[102:103], v[108:109]
	v_pk_fma_f32 v[108:109], v[186:187], v[182:183], v[110:111] neg_lo:[0,0,1] neg_hi:[0,0,1]
	s_delay_alu instid0(VALU_DEP_3) | instskip(NEXT) | instid1(VALU_DEP_3)
	v_mov_b32_e32 v109, v107
	v_pk_add_f32 v[102:103], v[102:103], v[104:105]
	s_delay_alu instid0(VALU_DEP_1) | instskip(SKIP_1) | instid1(VALU_DEP_1)
	v_pk_add_f32 v[102:103], v[102:103], v[108:109]
	s_wait_loadcnt 0x0
	v_pk_add_f32 v[102:103], v[184:185], v[102:103] neg_lo:[0,1] neg_hi:[0,1]
	scratch_store_b64 off, v[102:103], off offset:224
	s_wait_xcnt 0x0
	v_cmpx_lt_u32_e32 27, v0
	s_cbranch_execz .LBB113_259
; %bb.258:
	scratch_load_b64 v[102:103], off, off offset:216
	v_mov_b64_e32 v[104:105], 0
	scratch_store_b64 off, v[104:105], off offset:216
	s_wait_loadcnt 0x0
	ds_store_b64 v1, v[102:103]
.LBB113_259:
	s_wait_xcnt 0x0
	s_or_b32 exec_lo, exec_lo, s0
	s_wait_storecnt_dscnt 0x0
	s_barrier_signal -1
	s_barrier_wait -1
	s_clause 0xb
	scratch_load_b128 v[102:105], off, off offset:224
	scratch_load_b128 v[106:109], off, off offset:240
	;; [unrolled: 1-line block ×11, first 2 shown]
	scratch_load_b64 v[190:191], off, off offset:216
	ds_load_b128 v[146:149], v7 offset:736
	ds_load_b128 v[150:153], v7 offset:752
	;; [unrolled: 1-line block ×11, first 2 shown]
	s_mov_b32 s0, exec_lo
	s_wait_dscnt 0xa
	v_dual_mov_b32 v192, v149 :: v_dual_mov_b32 v193, v148
	s_wait_dscnt 0x9
	v_dual_mov_b32 v194, v153 :: v_dual_mov_b32 v195, v152
	;; [unrolled: 2-line block ×4, first 2 shown]
	s_wait_loadcnt_dscnt 0xb06
	v_dual_mul_f32 v7, v162, v103 :: v_dual_mul_f32 v9, v164, v105
	v_dual_mul_f32 v31, v163, v103 :: v_dual_mul_f32 v33, v165, v105
	s_wait_loadcnt_dscnt 0xa05
	v_dual_mul_f32 v11, v166, v107 :: v_dual_mul_f32 v13, v168, v109
	s_delay_alu instid0(VALU_DEP_3) | instskip(SKIP_3) | instid1(VALU_DEP_3)
	v_dual_fmac_f32 v7, v163, v102 :: v_dual_fmac_f32 v9, v165, v104
	s_wait_loadcnt_dscnt 0x803
	v_dual_fma_f32 v31, v162, v102, -v31 :: v_dual_mul_f32 v43, v175, v115
	v_dual_mul_f32 v35, v167, v107 :: v_dual_mul_f32 v37, v169, v109
	v_dual_fma_f32 v33, v164, v104, -v33 :: v_dual_add_f32 v7, 0, v7
	s_delay_alu instid0(VALU_DEP_3) | instskip(SKIP_1) | instid1(VALU_DEP_3)
	v_dual_add_f32 v31, 0, v31 :: v_dual_mul_f32 v45, v177, v117
	v_dual_fmac_f32 v11, v167, v106 :: v_dual_fmac_f32 v13, v169, v108
	v_dual_fma_f32 v35, v166, v106, -v35 :: v_dual_add_f32 v7, v7, v9
	s_delay_alu instid0(VALU_DEP_3) | instskip(SKIP_2) | instid1(VALU_DEP_4)
	v_dual_add_f32 v9, v31, v33 :: v_dual_fma_f32 v33, v168, v108, -v37
	v_dual_mul_f32 v15, v170, v111 :: v_dual_mul_f32 v17, v172, v113
	v_dual_mul_f32 v39, v171, v111 :: v_dual_mul_f32 v41, v173, v113
	v_add_f32_e32 v7, v7, v11
	s_delay_alu instid0(VALU_DEP_3) | instskip(NEXT) | instid1(VALU_DEP_3)
	v_dual_add_f32 v9, v9, v35 :: v_dual_fmac_f32 v15, v171, v110
	v_fma_f32 v35, v170, v110, -v39
	v_dual_mul_f32 v19, v174, v115 :: v_dual_mul_f32 v21, v176, v117
	s_delay_alu instid0(VALU_DEP_4) | instskip(SKIP_2) | instid1(VALU_DEP_2)
	v_dual_add_f32 v7, v7, v13 :: v_dual_fmac_f32 v17, v173, v112
	s_wait_loadcnt_dscnt 0x601
	v_dual_add_f32 v9, v9, v33 :: v_dual_mul_f32 v13, v183, v123
	v_dual_fma_f32 v33, v172, v112, -v41 :: v_dual_add_f32 v7, v7, v15
	v_mul_f32_e32 v15, v185, v125
	s_delay_alu instid0(VALU_DEP_3) | instskip(NEXT) | instid1(VALU_DEP_3)
	v_dual_add_f32 v9, v9, v35 :: v_dual_fmac_f32 v19, v175, v114
	v_dual_fma_f32 v35, v174, v114, -v43 :: v_dual_add_f32 v7, v7, v17
	v_fmac_f32_e32 v21, v177, v116
	s_wait_loadcnt_dscnt 0x500
	s_delay_alu instid0(VALU_DEP_3) | instskip(SKIP_3) | instid1(VALU_DEP_3)
	v_dual_add_f32 v9, v9, v33 :: v_dual_mul_f32 v17, v187, v127
	v_dual_mul_f32 v23, v178, v119 :: v_dual_mul_f32 v25, v180, v121
	v_dual_mul_f32 v31, v179, v119 :: v_dual_mul_f32 v11, v181, v121
	v_dual_fma_f32 v33, v176, v116, -v45 :: v_dual_add_f32 v7, v7, v19
	v_dual_add_f32 v9, v9, v35 :: v_dual_fmac_f32 v23, v179, v118
	s_delay_alu instid0(VALU_DEP_3) | instskip(NEXT) | instid1(VALU_DEP_3)
	v_dual_mul_f32 v19, v189, v129 :: v_dual_fma_f32 v31, v178, v118, -v31
	v_dual_add_f32 v7, v7, v21 :: v_dual_fmac_f32 v25, v181, v120
	s_delay_alu instid0(VALU_DEP_3) | instskip(SKIP_2) | instid1(VALU_DEP_3)
	v_dual_add_f32 v9, v9, v33 :: v_dual_fma_f32 v11, v180, v120, -v11
	v_dual_mul_f32 v27, v182, v123 :: v_dual_mul_f32 v29, v184, v125
	s_wait_loadcnt 0x4
	v_dual_add_f32 v7, v7, v23 :: v_dual_mov_b32 v104, v133
	s_delay_alu instid0(VALU_DEP_2) | instskip(NEXT) | instid1(VALU_DEP_2)
	v_dual_add_f32 v9, v9, v31 :: v_dual_fmac_f32 v27, v183, v122
	v_dual_fma_f32 v13, v182, v122, -v13 :: v_dual_add_f32 v7, v7, v25
	v_dual_mul_f32 v201, v186, v127 :: v_dual_mul_f32 v203, v188, v129
	s_delay_alu instid0(VALU_DEP_3) | instskip(NEXT) | instid1(VALU_DEP_3)
	v_dual_add_f32 v9, v9, v11 :: v_dual_fma_f32 v11, v184, v124, -v15
	v_dual_fmac_f32 v29, v185, v124 :: v_dual_add_f32 v7, v7, v27
	v_pk_mul_f32 v[102:103], v[146:147], v[130:131] op_sel:[1,1] op_sel_hi:[0,1]
	s_delay_alu instid0(VALU_DEP_3) | instskip(SKIP_2) | instid1(VALU_DEP_2)
	v_dual_add_f32 v9, v9, v13 :: v_dual_fmac_f32 v201, v187, v126
	s_wait_loadcnt 0x3
	v_dual_mov_b32 v108, v137 :: v_dual_fma_f32 v200, v186, v126, -v17
	v_dual_add_f32 v111, v7, v29 :: v_dual_add_f32 v110, v9, v11
	v_fmac_f32_e32 v203, v189, v128
	v_pk_fma_f32 v[112:113], v[146:147], v[130:131], v[102:103] op_sel_hi:[1,0,1]
	v_fma_f32 v202, v188, v128, -v19
	v_pk_mul_f32 v[104:105], v[192:193], v[104:105] op_sel_hi:[1,0]
	v_pk_add_f32 v[110:111], v[110:111], v[200:201]
	v_pk_fma_f32 v[102:103], v[146:147], v[130:131], v[102:103] neg_lo:[0,0,1] neg_hi:[0,0,1]
	v_pk_mul_f32 v[106:107], v[150:151], v[134:135] op_sel:[1,1] op_sel_hi:[0,1]
	v_mov_b32_e32 v103, v113
	v_pk_fma_f32 v[112:113], v[148:149], v[132:133], v[104:105] op_sel_hi:[1,0,1]
	v_pk_add_f32 v[110:111], v[110:111], v[202:203]
	v_pk_fma_f32 v[104:105], v[148:149], v[132:133], v[104:105] neg_lo:[0,0,1] neg_hi:[0,0,1]
	v_pk_fma_f32 v[116:117], v[150:151], v[134:135], v[106:107] op_sel_hi:[1,0,1]
	v_pk_mul_f32 v[108:109], v[194:195], v[108:109] op_sel_hi:[1,0]
	v_mov_b32_e32 v105, v113
	v_pk_add_f32 v[102:103], v[110:111], v[102:103]
	s_wait_loadcnt 0x2
	v_pk_mul_f32 v[114:115], v[154:155], v[138:139] op_sel:[1,1] op_sel_hi:[0,1]
	v_mov_b32_e32 v110, v141
	v_pk_fma_f32 v[106:107], v[150:151], v[134:135], v[106:107] neg_lo:[0,0,1] neg_hi:[0,0,1]
	v_pk_fma_f32 v[112:113], v[152:153], v[136:137], v[108:109] op_sel_hi:[1,0,1]
	v_mov_b32_e32 v107, v117
	v_pk_add_f32 v[102:103], v[102:103], v[104:105]
	v_pk_fma_f32 v[104:105], v[154:155], v[138:139], v[114:115] op_sel_hi:[1,0,1]
	v_pk_mul_f32 v[110:111], v[196:197], v[110:111] op_sel_hi:[1,0]
	v_pk_fma_f32 v[108:109], v[152:153], v[136:137], v[108:109] neg_lo:[0,0,1] neg_hi:[0,0,1]
	v_mov_b32_e32 v109, v113
	v_pk_add_f32 v[102:103], v[102:103], v[106:107]
	v_pk_fma_f32 v[112:113], v[154:155], v[138:139], v[114:115] neg_lo:[0,0,1] neg_hi:[0,0,1]
	v_mov_b32_e32 v113, v105
	v_pk_fma_f32 v[104:105], v[156:157], v[140:141], v[110:111] op_sel_hi:[1,0,1]
	s_wait_loadcnt 0x1
	v_pk_mul_f32 v[106:107], v[158:159], v[142:143] op_sel:[1,1] op_sel_hi:[0,1]
	v_pk_add_f32 v[102:103], v[102:103], v[108:109]
	v_mov_b32_e32 v104, v145
	v_pk_fma_f32 v[110:111], v[156:157], v[140:141], v[110:111] neg_lo:[0,0,1] neg_hi:[0,0,1]
	s_delay_alu instid0(VALU_DEP_4)
	v_pk_fma_f32 v[108:109], v[158:159], v[142:143], v[106:107] op_sel_hi:[1,0,1]
	v_mov_b32_e32 v111, v105
	v_pk_add_f32 v[102:103], v[102:103], v[112:113]
	v_pk_mul_f32 v[104:105], v[198:199], v[104:105] op_sel_hi:[1,0]
	v_pk_fma_f32 v[106:107], v[158:159], v[142:143], v[106:107] neg_lo:[0,0,1] neg_hi:[0,0,1]
	v_mov_b32_e32 v107, v109
	s_delay_alu instid0(VALU_DEP_4) | instskip(NEXT) | instid1(VALU_DEP_4)
	v_pk_add_f32 v[102:103], v[102:103], v[110:111]
	v_pk_fma_f32 v[108:109], v[160:161], v[144:145], v[104:105] op_sel_hi:[1,0,1]
	v_pk_fma_f32 v[104:105], v[160:161], v[144:145], v[104:105] neg_lo:[0,0,1] neg_hi:[0,0,1]
	s_delay_alu instid0(VALU_DEP_3) | instskip(NEXT) | instid1(VALU_DEP_3)
	v_pk_add_f32 v[102:103], v[102:103], v[106:107]
	v_mov_b32_e32 v105, v109
	s_delay_alu instid0(VALU_DEP_1) | instskip(SKIP_1) | instid1(VALU_DEP_1)
	v_pk_add_f32 v[102:103], v[102:103], v[104:105]
	s_wait_loadcnt 0x0
	v_pk_add_f32 v[102:103], v[190:191], v[102:103] neg_lo:[0,1] neg_hi:[0,1]
	scratch_store_b64 off, v[102:103], off offset:216
	s_wait_xcnt 0x0
	v_cmpx_lt_u32_e32 26, v0
	s_cbranch_execz .LBB113_261
; %bb.260:
	scratch_load_b64 v[102:103], off, off offset:208
	v_mov_b64_e32 v[104:105], 0
	scratch_store_b64 off, v[104:105], off offset:208
	s_wait_loadcnt 0x0
	ds_store_b64 v1, v[102:103]
.LBB113_261:
	s_wait_xcnt 0x0
	s_or_b32 exec_lo, exec_lo, s0
	s_wait_storecnt_dscnt 0x0
	s_barrier_signal -1
	s_barrier_wait -1
	s_clause 0xc
	scratch_load_b128 v[102:105], off, off offset:216
	scratch_load_b128 v[106:109], off, off offset:232
	;; [unrolled: 1-line block ×11, first 2 shown]
	scratch_load_b64 v[190:191], off, off offset:392
	scratch_load_b64 v[192:193], off, off offset:208
	v_mov_b32_e32 v7, 0
	ds_load_2addr_b64 v[146:149], v7 offset0:91 offset1:92
	ds_load_2addr_b64 v[150:153], v7 offset0:93 offset1:94
	;; [unrolled: 1-line block ×11, first 2 shown]
	ds_load_b64 v[194:195], v7 offset:792
	s_mov_b32 s0, exec_lo
	s_wait_dscnt 0xb
	v_dual_mov_b32 v196, v149 :: v_dual_mov_b32 v197, v148
	s_wait_dscnt 0x8
	v_dual_mov_b32 v198, v153 :: v_dual_mov_b32 v203, v160
	v_dual_mov_b32 v199, v152 :: v_dual_mov_b32 v200, v157
	;; [unrolled: 1-line block ×3, first 2 shown]
	s_wait_loadcnt_dscnt 0xc07
	v_dual_mul_f32 v9, v162, v103 :: v_dual_mul_f32 v35, v163, v103
	v_dual_mul_f32 v37, v165, v105 :: v_dual_mul_f32 v11, v164, v105
	s_wait_loadcnt_dscnt 0xb06
	v_mul_f32_e32 v13, v166, v107
	s_wait_loadcnt_dscnt 0x904
	v_dual_mul_f32 v47, v175, v115 :: v_dual_fma_f32 v35, v162, v102, -v35
	v_dual_fmac_f32 v9, v163, v102 :: v_dual_mul_f32 v49, v177, v117
	v_dual_mul_f32 v39, v167, v107 :: v_dual_mul_f32 v41, v169, v109
	v_dual_fmac_f32 v11, v165, v104 :: v_dual_fma_f32 v37, v164, v104, -v37
	s_delay_alu instid0(VALU_DEP_3) | instskip(SKIP_3) | instid1(VALU_DEP_3)
	v_dual_add_f32 v9, 0, v9 :: v_dual_add_f32 v35, 0, v35
	v_dual_mul_f32 v15, v168, v109 :: v_dual_mul_f32 v17, v170, v111
	s_wait_loadcnt_dscnt 0x803
	v_dual_mul_f32 v51, v179, v119 :: v_dual_fma_f32 v39, v166, v106, -v39
	v_dual_fmac_f32 v13, v167, v106 :: v_dual_add_f32 v9, v9, v11
	s_delay_alu instid0(VALU_DEP_3) | instskip(SKIP_2) | instid1(VALU_DEP_3)
	v_dual_add_f32 v11, v35, v37 :: v_dual_fmac_f32 v15, v169, v108
	v_dual_mul_f32 v43, v171, v111 :: v_dual_mul_f32 v45, v173, v113
	v_dual_mul_f32 v35, v181, v121 :: v_dual_fma_f32 v37, v168, v108, -v41
	v_dual_add_f32 v9, v9, v13 :: v_dual_add_f32 v11, v11, v39
	v_dual_mul_f32 v19, v172, v113 :: v_dual_mul_f32 v21, v174, v115
	s_wait_loadcnt_dscnt 0x701
	v_dual_mul_f32 v13, v187, v123 :: v_dual_fma_f32 v39, v170, v110, -v43
	s_delay_alu instid0(VALU_DEP_3) | instskip(NEXT) | instid1(VALU_DEP_3)
	v_dual_fmac_f32 v17, v171, v110 :: v_dual_add_f32 v9, v9, v15
	v_dual_add_f32 v11, v11, v37 :: v_dual_fmac_f32 v19, v173, v112
	v_dual_mul_f32 v15, v189, v125 :: v_dual_fma_f32 v37, v172, v112, -v45
	s_delay_alu instid0(VALU_DEP_2) | instskip(SKIP_3) | instid1(VALU_DEP_3)
	v_dual_add_f32 v9, v9, v17 :: v_dual_add_f32 v11, v11, v39
	v_dual_mul_f32 v23, v176, v117 :: v_dual_mul_f32 v25, v178, v119
	s_wait_loadcnt 0x6
	v_dual_mul_f32 v17, v183, v127 :: v_dual_fma_f32 v39, v174, v114, -v47
	v_dual_fmac_f32 v21, v175, v114 :: v_dual_add_f32 v9, v9, v19
	s_delay_alu instid0(VALU_DEP_3) | instskip(SKIP_1) | instid1(VALU_DEP_2)
	v_dual_add_f32 v11, v11, v37 :: v_dual_fmac_f32 v23, v177, v116
	v_dual_mul_f32 v19, v185, v129 :: v_dual_fma_f32 v37, v176, v116, -v49
	v_dual_add_f32 v9, v9, v21 :: v_dual_add_f32 v11, v11, v39
	v_dual_mul_f32 v27, v180, v121 :: v_dual_mul_f32 v29, v186, v123
	s_wait_loadcnt 0x5
	v_dual_mul_f32 v21, v147, v131 :: v_dual_fma_f32 v39, v178, v118, -v51
	s_delay_alu instid0(VALU_DEP_3) | instskip(SKIP_2) | instid1(VALU_DEP_3)
	v_dual_fmac_f32 v25, v179, v118 :: v_dual_add_f32 v9, v9, v23
	v_dual_add_f32 v11, v11, v37 :: v_dual_mov_b32 v102, v133
	v_fmac_f32_e32 v27, v181, v120
	v_dual_fma_f32 v23, v180, v120, -v35 :: v_dual_add_f32 v9, v9, v25
	s_delay_alu instid0(VALU_DEP_3) | instskip(SKIP_1) | instid1(VALU_DEP_3)
	v_dual_add_f32 v11, v11, v39 :: v_dual_mul_f32 v31, v188, v125
	v_dual_mul_f32 v33, v182, v127 :: v_dual_fmac_f32 v29, v187, v122
	v_dual_add_f32 v9, v9, v27 :: v_dual_fma_f32 v13, v186, v122, -v13
	s_wait_loadcnt 0x4
	s_delay_alu instid0(VALU_DEP_3) | instskip(SKIP_3) | instid1(VALU_DEP_4)
	v_dual_add_f32 v11, v11, v23 :: v_dual_mov_b32 v106, v137
	v_fma_f32 v15, v188, v124, -v15
	v_fmac_f32_e32 v31, v189, v124
	v_dual_add_f32 v9, v9, v29 :: v_dual_fmac_f32 v33, v183, v126
	v_add_f32_e32 v11, v11, v13
	v_dual_mul_f32 v205, v184, v129 :: v_dual_mul_f32 v207, v146, v131
	s_delay_alu instid0(VALU_DEP_3) | instskip(NEXT) | instid1(VALU_DEP_2)
	v_dual_fma_f32 v13, v182, v126, -v17 :: v_dual_add_f32 v9, v9, v31
	v_dual_add_f32 v11, v11, v15 :: v_dual_fmac_f32 v205, v185, v128
	v_fma_f32 v204, v184, v128, -v19
	v_pk_mul_f32 v[102:103], v[196:197], v[102:103] op_sel_hi:[1,0]
	s_delay_alu instid0(VALU_DEP_4)
	v_add_f32_e32 v111, v9, v33
	s_wait_loadcnt 0x3
	v_dual_add_f32 v110, v11, v13 :: v_dual_mov_b32 v112, v141
	v_pk_mul_f32 v[104:105], v[150:151], v[134:135] op_sel:[1,1] op_sel_hi:[0,1]
	v_dual_fmac_f32 v207, v147, v130 :: v_dual_fma_f32 v206, v146, v130, -v21
	v_pk_fma_f32 v[114:115], v[148:149], v[132:133], v[102:103] op_sel_hi:[1,0,1]
	s_delay_alu instid0(VALU_DEP_4)
	v_pk_add_f32 v[110:111], v[110:111], v[204:205]
	v_pk_fma_f32 v[102:103], v[148:149], v[132:133], v[102:103] neg_lo:[0,0,1] neg_hi:[0,0,1]
	v_pk_fma_f32 v[116:117], v[150:151], v[134:135], v[104:105] op_sel_hi:[1,0,1]
	v_pk_mul_f32 v[106:107], v[198:199], v[106:107] op_sel_hi:[1,0]
	v_mov_b32_e32 v103, v115
	v_pk_add_f32 v[110:111], v[110:111], v[206:207]
	v_pk_fma_f32 v[104:105], v[150:151], v[134:135], v[104:105] neg_lo:[0,0,1] neg_hi:[0,0,1]
	v_pk_mul_f32 v[108:109], v[154:155], v[138:139] op_sel:[1,1] op_sel_hi:[0,1]
	v_mov_b32_e32 v105, v117
	v_pk_fma_f32 v[116:117], v[152:153], v[136:137], v[106:107] op_sel_hi:[1,0,1]
	v_pk_add_f32 v[102:103], v[110:111], v[102:103]
	v_pk_fma_f32 v[106:107], v[152:153], v[136:137], v[106:107] neg_lo:[0,0,1] neg_hi:[0,0,1]
	v_pk_fma_f32 v[110:111], v[154:155], v[138:139], v[108:109] op_sel_hi:[1,0,1]
	v_pk_mul_f32 v[112:113], v[200:201], v[112:113] op_sel_hi:[1,0]
	v_mov_b32_e32 v107, v117
	v_pk_add_f32 v[102:103], v[102:103], v[104:105]
	v_pk_fma_f32 v[108:109], v[154:155], v[138:139], v[108:109] neg_lo:[0,0,1] neg_hi:[0,0,1]
	s_wait_loadcnt 0x2
	v_pk_mul_f32 v[114:115], v[158:159], v[142:143] op_sel:[1,1] op_sel_hi:[0,1]
	v_dual_mov_b32 v104, v145 :: v_dual_mov_b32 v109, v111
	v_pk_fma_f32 v[110:111], v[156:157], v[140:141], v[112:113] op_sel_hi:[1,0,1]
	v_pk_add_f32 v[102:103], v[102:103], v[106:107]
	v_pk_fma_f32 v[112:113], v[156:157], v[140:141], v[112:113] neg_lo:[0,0,1] neg_hi:[0,0,1]
	v_pk_fma_f32 v[106:107], v[158:159], v[142:143], v[114:115] op_sel_hi:[1,0,1]
	v_pk_mul_f32 v[104:105], v[202:203], v[104:105] op_sel_hi:[1,0]
	v_mov_b32_e32 v113, v111
	v_pk_add_f32 v[102:103], v[102:103], v[108:109]
	v_pk_fma_f32 v[108:109], v[158:159], v[142:143], v[114:115] neg_lo:[0,0,1] neg_hi:[0,0,1]
	v_mov_b32_e32 v109, v107
	v_pk_fma_f32 v[106:107], v[160:161], v[144:145], v[104:105] op_sel_hi:[1,0,1]
	s_wait_loadcnt_dscnt 0x100
	v_pk_mul_f32 v[110:111], v[194:195], v[190:191] op_sel:[1,1] op_sel_hi:[0,1]
	v_pk_add_f32 v[102:103], v[102:103], v[112:113]
	v_pk_fma_f32 v[104:105], v[160:161], v[144:145], v[104:105] neg_lo:[0,0,1] neg_hi:[0,0,1]
	v_mov_b32_e32 v105, v107
	s_delay_alu instid0(VALU_DEP_4) | instskip(NEXT) | instid1(VALU_DEP_4)
	v_pk_fma_f32 v[106:107], v[194:195], v[190:191], v[110:111] op_sel_hi:[1,0,1]
	v_pk_add_f32 v[102:103], v[102:103], v[108:109]
	v_pk_fma_f32 v[108:109], v[194:195], v[190:191], v[110:111] neg_lo:[0,0,1] neg_hi:[0,0,1]
	s_delay_alu instid0(VALU_DEP_3) | instskip(NEXT) | instid1(VALU_DEP_3)
	v_mov_b32_e32 v109, v107
	v_pk_add_f32 v[102:103], v[102:103], v[104:105]
	s_delay_alu instid0(VALU_DEP_1) | instskip(SKIP_1) | instid1(VALU_DEP_1)
	v_pk_add_f32 v[102:103], v[102:103], v[108:109]
	s_wait_loadcnt 0x0
	v_pk_add_f32 v[102:103], v[192:193], v[102:103] neg_lo:[0,1] neg_hi:[0,1]
	scratch_store_b64 off, v[102:103], off offset:208
	s_wait_xcnt 0x0
	v_cmpx_lt_u32_e32 25, v0
	s_cbranch_execz .LBB113_263
; %bb.262:
	scratch_load_b64 v[102:103], off, off offset:200
	v_mov_b64_e32 v[104:105], 0
	scratch_store_b64 off, v[104:105], off offset:200
	s_wait_loadcnt 0x0
	ds_store_b64 v1, v[102:103]
.LBB113_263:
	s_wait_xcnt 0x0
	s_or_b32 exec_lo, exec_lo, s0
	s_wait_storecnt_dscnt 0x0
	s_barrier_signal -1
	s_barrier_wait -1
	s_clause 0xc
	scratch_load_b128 v[102:105], off, off offset:208
	scratch_load_b128 v[106:109], off, off offset:224
	;; [unrolled: 1-line block ×12, first 2 shown]
	scratch_load_b64 v[198:199], off, off offset:200
	ds_load_b128 v[150:153], v7 offset:736
	ds_load_b128 v[154:157], v7 offset:752
	;; [unrolled: 1-line block ×12, first 2 shown]
	s_mov_b32 s0, exec_lo
	s_wait_dscnt 0xb
	v_dual_mov_b32 v200, v153 :: v_dual_mov_b32 v201, v152
	s_wait_dscnt 0xa
	v_dual_mov_b32 v202, v157 :: v_dual_mov_b32 v203, v156
	;; [unrolled: 2-line block ×4, first 2 shown]
	s_wait_loadcnt_dscnt 0xc07
	v_dual_mul_f32 v7, v166, v103 :: v_dual_mul_f32 v9, v168, v105
	v_dual_mul_f32 v35, v167, v103 :: v_dual_mul_f32 v37, v169, v105
	s_wait_loadcnt_dscnt 0xb06
	v_dual_mul_f32 v11, v170, v107 :: v_dual_mul_f32 v13, v172, v109
	s_delay_alu instid0(VALU_DEP_3) | instskip(SKIP_3) | instid1(VALU_DEP_3)
	v_dual_fmac_f32 v7, v167, v102 :: v_dual_fmac_f32 v9, v169, v104
	s_wait_loadcnt_dscnt 0x904
	v_dual_fma_f32 v35, v166, v102, -v35 :: v_dual_mul_f32 v47, v179, v115
	v_dual_mul_f32 v39, v171, v107 :: v_dual_mul_f32 v41, v173, v109
	v_dual_fma_f32 v37, v168, v104, -v37 :: v_dual_add_f32 v7, 0, v7
	s_delay_alu instid0(VALU_DEP_3) | instskip(SKIP_1) | instid1(VALU_DEP_3)
	v_dual_add_f32 v35, 0, v35 :: v_dual_mul_f32 v49, v181, v117
	v_dual_fmac_f32 v11, v171, v106 :: v_dual_fmac_f32 v13, v173, v108
	v_dual_fma_f32 v39, v170, v106, -v39 :: v_dual_add_f32 v7, v7, v9
	s_delay_alu instid0(VALU_DEP_3) | instskip(SKIP_2) | instid1(VALU_DEP_4)
	v_dual_add_f32 v9, v35, v37 :: v_dual_fma_f32 v37, v172, v108, -v41
	v_dual_mul_f32 v15, v174, v111 :: v_dual_mul_f32 v17, v176, v113
	v_dual_mul_f32 v43, v175, v111 :: v_dual_mul_f32 v45, v177, v113
	v_add_f32_e32 v7, v7, v11
	s_delay_alu instid0(VALU_DEP_3) | instskip(NEXT) | instid1(VALU_DEP_3)
	v_dual_add_f32 v9, v9, v39 :: v_dual_fmac_f32 v15, v175, v110
	v_fma_f32 v39, v174, v110, -v43
	v_dual_mul_f32 v19, v178, v115 :: v_dual_mul_f32 v21, v180, v117
	s_delay_alu instid0(VALU_DEP_4) | instskip(SKIP_2) | instid1(VALU_DEP_2)
	v_dual_add_f32 v7, v7, v13 :: v_dual_fmac_f32 v17, v177, v112
	s_wait_loadcnt_dscnt 0x702
	v_dual_add_f32 v9, v9, v37 :: v_dual_mul_f32 v13, v187, v123
	v_dual_fma_f32 v37, v176, v112, -v45 :: v_dual_add_f32 v7, v7, v15
	v_mul_f32_e32 v15, v189, v125
	s_delay_alu instid0(VALU_DEP_3) | instskip(NEXT) | instid1(VALU_DEP_3)
	v_dual_add_f32 v9, v9, v39 :: v_dual_fmac_f32 v19, v179, v114
	v_dual_fma_f32 v39, v178, v114, -v47 :: v_dual_add_f32 v7, v7, v17
	v_fmac_f32_e32 v21, v181, v116
	s_wait_loadcnt_dscnt 0x601
	s_delay_alu instid0(VALU_DEP_3) | instskip(SKIP_3) | instid1(VALU_DEP_3)
	v_dual_add_f32 v9, v9, v37 :: v_dual_mul_f32 v17, v191, v127
	v_dual_mul_f32 v23, v182, v119 :: v_dual_mul_f32 v25, v184, v121
	v_dual_mul_f32 v35, v183, v119 :: v_dual_mul_f32 v11, v185, v121
	v_dual_fma_f32 v37, v180, v116, -v49 :: v_dual_add_f32 v7, v7, v19
	v_dual_add_f32 v9, v9, v39 :: v_dual_fmac_f32 v23, v183, v118
	s_delay_alu instid0(VALU_DEP_3) | instskip(NEXT) | instid1(VALU_DEP_3)
	v_dual_mul_f32 v19, v193, v129 :: v_dual_fma_f32 v35, v182, v118, -v35
	v_dual_add_f32 v7, v7, v21 :: v_dual_fmac_f32 v25, v185, v120
	s_wait_loadcnt_dscnt 0x500
	s_delay_alu instid0(VALU_DEP_3) | instskip(SKIP_1) | instid1(VALU_DEP_3)
	v_dual_add_f32 v9, v9, v37 :: v_dual_mul_f32 v21, v195, v131
	v_dual_mul_f32 v27, v186, v123 :: v_dual_mul_f32 v29, v188, v125
	v_dual_fma_f32 v11, v184, v120, -v11 :: v_dual_add_f32 v7, v7, v23
	s_delay_alu instid0(VALU_DEP_2) | instskip(SKIP_1) | instid1(VALU_DEP_2)
	v_dual_add_f32 v9, v9, v35 :: v_dual_fmac_f32 v27, v187, v122
	v_dual_mul_f32 v23, v197, v133 :: v_dual_fma_f32 v13, v186, v122, -v13
	v_dual_add_f32 v7, v7, v25 :: v_dual_add_f32 v9, v9, v11
	v_dual_mul_f32 v31, v190, v127 :: v_dual_mul_f32 v33, v192, v129
	v_dual_fmac_f32 v29, v189, v124 :: v_dual_fma_f32 v11, v188, v124, -v15
	s_delay_alu instid0(VALU_DEP_3) | instskip(SKIP_1) | instid1(VALU_DEP_3)
	v_dual_add_f32 v7, v7, v27 :: v_dual_add_f32 v9, v9, v13
	s_wait_loadcnt 0x4
	v_dual_mov_b32 v104, v137 :: v_dual_fmac_f32 v31, v191, v126
	s_delay_alu instid0(VALU_DEP_2) | instskip(NEXT) | instid1(VALU_DEP_3)
	v_dual_fma_f32 v13, v190, v126, -v17 :: v_dual_add_f32 v7, v7, v29
	v_dual_add_f32 v9, v9, v11 :: v_dual_fma_f32 v11, v192, v128, -v19
	v_dual_mul_f32 v209, v194, v131 :: v_dual_mul_f32 v211, v196, v133
	s_delay_alu instid0(VALU_DEP_3) | instskip(NEXT) | instid1(VALU_DEP_2)
	v_dual_fmac_f32 v33, v193, v128 :: v_dual_add_f32 v7, v7, v31
	v_dual_add_f32 v9, v9, v13 :: v_dual_fmac_f32 v209, v195, v130
	v_pk_mul_f32 v[102:103], v[150:151], v[134:135] op_sel:[1,1] op_sel_hi:[0,1]
	s_wait_loadcnt 0x3
	v_dual_mov_b32 v108, v141 :: v_dual_fma_f32 v208, v194, v130, -v21
	s_delay_alu instid0(VALU_DEP_3)
	v_dual_add_f32 v111, v7, v33 :: v_dual_add_f32 v110, v9, v11
	v_fmac_f32_e32 v211, v197, v132
	v_pk_fma_f32 v[112:113], v[150:151], v[134:135], v[102:103] op_sel_hi:[1,0,1]
	v_fma_f32 v210, v196, v132, -v23
	v_pk_mul_f32 v[104:105], v[200:201], v[104:105] op_sel_hi:[1,0]
	v_pk_add_f32 v[110:111], v[110:111], v[208:209]
	v_pk_fma_f32 v[102:103], v[150:151], v[134:135], v[102:103] neg_lo:[0,0,1] neg_hi:[0,0,1]
	v_pk_mul_f32 v[106:107], v[154:155], v[138:139] op_sel:[1,1] op_sel_hi:[0,1]
	v_mov_b32_e32 v103, v113
	v_pk_fma_f32 v[112:113], v[152:153], v[136:137], v[104:105] op_sel_hi:[1,0,1]
	v_pk_add_f32 v[110:111], v[110:111], v[210:211]
	v_pk_fma_f32 v[104:105], v[152:153], v[136:137], v[104:105] neg_lo:[0,0,1] neg_hi:[0,0,1]
	v_pk_fma_f32 v[116:117], v[154:155], v[138:139], v[106:107] op_sel_hi:[1,0,1]
	v_pk_mul_f32 v[108:109], v[202:203], v[108:109] op_sel_hi:[1,0]
	v_mov_b32_e32 v105, v113
	v_pk_add_f32 v[102:103], v[110:111], v[102:103]
	s_wait_loadcnt 0x2
	v_pk_mul_f32 v[114:115], v[158:159], v[142:143] op_sel:[1,1] op_sel_hi:[0,1]
	v_mov_b32_e32 v110, v145
	v_pk_fma_f32 v[106:107], v[154:155], v[138:139], v[106:107] neg_lo:[0,0,1] neg_hi:[0,0,1]
	v_pk_fma_f32 v[112:113], v[156:157], v[140:141], v[108:109] op_sel_hi:[1,0,1]
	v_mov_b32_e32 v107, v117
	v_pk_add_f32 v[102:103], v[102:103], v[104:105]
	v_pk_fma_f32 v[104:105], v[158:159], v[142:143], v[114:115] op_sel_hi:[1,0,1]
	v_pk_mul_f32 v[110:111], v[204:205], v[110:111] op_sel_hi:[1,0]
	v_pk_fma_f32 v[108:109], v[156:157], v[140:141], v[108:109] neg_lo:[0,0,1] neg_hi:[0,0,1]
	v_mov_b32_e32 v109, v113
	v_pk_add_f32 v[102:103], v[102:103], v[106:107]
	v_pk_fma_f32 v[112:113], v[158:159], v[142:143], v[114:115] neg_lo:[0,0,1] neg_hi:[0,0,1]
	v_mov_b32_e32 v113, v105
	v_pk_fma_f32 v[104:105], v[160:161], v[144:145], v[110:111] op_sel_hi:[1,0,1]
	s_wait_loadcnt 0x1
	v_pk_mul_f32 v[106:107], v[162:163], v[146:147] op_sel:[1,1] op_sel_hi:[0,1]
	v_pk_add_f32 v[102:103], v[102:103], v[108:109]
	v_mov_b32_e32 v104, v149
	v_pk_fma_f32 v[110:111], v[160:161], v[144:145], v[110:111] neg_lo:[0,0,1] neg_hi:[0,0,1]
	s_delay_alu instid0(VALU_DEP_4)
	v_pk_fma_f32 v[108:109], v[162:163], v[146:147], v[106:107] op_sel_hi:[1,0,1]
	v_mov_b32_e32 v111, v105
	v_pk_add_f32 v[102:103], v[102:103], v[112:113]
	v_pk_mul_f32 v[104:105], v[206:207], v[104:105] op_sel_hi:[1,0]
	v_pk_fma_f32 v[106:107], v[162:163], v[146:147], v[106:107] neg_lo:[0,0,1] neg_hi:[0,0,1]
	v_mov_b32_e32 v107, v109
	s_delay_alu instid0(VALU_DEP_4) | instskip(NEXT) | instid1(VALU_DEP_4)
	v_pk_add_f32 v[102:103], v[102:103], v[110:111]
	v_pk_fma_f32 v[108:109], v[164:165], v[148:149], v[104:105] op_sel_hi:[1,0,1]
	v_pk_fma_f32 v[104:105], v[164:165], v[148:149], v[104:105] neg_lo:[0,0,1] neg_hi:[0,0,1]
	s_delay_alu instid0(VALU_DEP_3) | instskip(NEXT) | instid1(VALU_DEP_3)
	v_pk_add_f32 v[102:103], v[102:103], v[106:107]
	v_mov_b32_e32 v105, v109
	s_delay_alu instid0(VALU_DEP_1) | instskip(SKIP_1) | instid1(VALU_DEP_1)
	v_pk_add_f32 v[102:103], v[102:103], v[104:105]
	s_wait_loadcnt 0x0
	v_pk_add_f32 v[102:103], v[198:199], v[102:103] neg_lo:[0,1] neg_hi:[0,1]
	scratch_store_b64 off, v[102:103], off offset:200
	s_wait_xcnt 0x0
	v_cmpx_lt_u32_e32 24, v0
	s_cbranch_execz .LBB113_265
; %bb.264:
	scratch_load_b64 v[102:103], off, off offset:192
	v_mov_b64_e32 v[104:105], 0
	scratch_store_b64 off, v[104:105], off offset:192
	s_wait_loadcnt 0x0
	ds_store_b64 v1, v[102:103]
.LBB113_265:
	s_wait_xcnt 0x0
	s_or_b32 exec_lo, exec_lo, s0
	s_wait_storecnt_dscnt 0x0
	s_barrier_signal -1
	s_barrier_wait -1
	s_clause 0xd
	scratch_load_b128 v[102:105], off, off offset:200
	scratch_load_b128 v[106:109], off, off offset:216
	;; [unrolled: 1-line block ×12, first 2 shown]
	scratch_load_b64 v[198:199], off, off offset:392
	scratch_load_b64 v[200:201], off, off offset:192
	v_mov_b32_e32 v7, 0
	ds_load_2addr_b64 v[150:153], v7 offset0:91 offset1:92
	ds_load_2addr_b64 v[154:157], v7 offset0:93 offset1:94
	;; [unrolled: 1-line block ×12, first 2 shown]
	ds_load_b64 v[202:203], v7 offset:792
	s_mov_b32 s0, exec_lo
	s_wait_dscnt 0xc
	v_dual_mov_b32 v204, v153 :: v_dual_mov_b32 v205, v152
	s_wait_dscnt 0x9
	v_dual_mov_b32 v206, v157 :: v_dual_mov_b32 v211, v164
	v_dual_mov_b32 v207, v156 :: v_dual_mov_b32 v208, v161
	;; [unrolled: 1-line block ×3, first 2 shown]
	s_wait_loadcnt_dscnt 0xd08
	v_dual_mul_f32 v9, v166, v103 :: v_dual_mul_f32 v39, v167, v103
	v_dual_mul_f32 v41, v169, v105 :: v_dual_mul_f32 v11, v168, v105
	s_wait_loadcnt_dscnt 0xc07
	v_mul_f32_e32 v13, v170, v107
	s_wait_loadcnt_dscnt 0xa05
	v_dual_mul_f32 v51, v179, v115 :: v_dual_fma_f32 v39, v166, v102, -v39
	v_dual_fmac_f32 v9, v167, v102 :: v_dual_mul_f32 v53, v181, v117
	v_dual_mul_f32 v43, v171, v107 :: v_dual_mul_f32 v45, v173, v109
	v_dual_fmac_f32 v11, v169, v104 :: v_dual_fma_f32 v41, v168, v104, -v41
	s_delay_alu instid0(VALU_DEP_3) | instskip(SKIP_3) | instid1(VALU_DEP_3)
	v_dual_add_f32 v9, 0, v9 :: v_dual_add_f32 v39, 0, v39
	v_dual_mul_f32 v15, v172, v109 :: v_dual_mul_f32 v17, v174, v111
	s_wait_loadcnt_dscnt 0x904
	v_dual_mul_f32 v55, v183, v119 :: v_dual_fma_f32 v43, v170, v106, -v43
	v_dual_fmac_f32 v13, v171, v106 :: v_dual_add_f32 v9, v9, v11
	s_delay_alu instid0(VALU_DEP_3) | instskip(SKIP_2) | instid1(VALU_DEP_3)
	v_dual_add_f32 v11, v39, v41 :: v_dual_fmac_f32 v15, v173, v108
	v_dual_mul_f32 v47, v175, v111 :: v_dual_mul_f32 v49, v177, v113
	v_dual_mul_f32 v39, v185, v121 :: v_dual_fma_f32 v41, v172, v108, -v45
	v_dual_add_f32 v9, v9, v13 :: v_dual_add_f32 v11, v11, v43
	v_dual_mul_f32 v19, v176, v113 :: v_dual_mul_f32 v21, v178, v115
	s_wait_loadcnt_dscnt 0x803
	v_dual_mul_f32 v13, v187, v123 :: v_dual_fma_f32 v43, v174, v110, -v47
	s_delay_alu instid0(VALU_DEP_3) | instskip(NEXT) | instid1(VALU_DEP_3)
	v_dual_fmac_f32 v17, v175, v110 :: v_dual_add_f32 v9, v9, v15
	v_dual_add_f32 v11, v11, v41 :: v_dual_fmac_f32 v19, v177, v112
	v_dual_mul_f32 v15, v189, v125 :: v_dual_fma_f32 v41, v176, v112, -v49
	s_delay_alu instid0(VALU_DEP_2) | instskip(SKIP_3) | instid1(VALU_DEP_3)
	v_dual_add_f32 v9, v9, v17 :: v_dual_add_f32 v11, v11, v43
	v_dual_mul_f32 v23, v180, v117 :: v_dual_mul_f32 v25, v182, v119
	s_wait_loadcnt_dscnt 0x702
	v_dual_mul_f32 v17, v191, v127 :: v_dual_fma_f32 v43, v178, v114, -v51
	v_dual_fmac_f32 v21, v179, v114 :: v_dual_add_f32 v9, v9, v19
	s_delay_alu instid0(VALU_DEP_3) | instskip(SKIP_1) | instid1(VALU_DEP_2)
	v_dual_add_f32 v11, v11, v41 :: v_dual_fmac_f32 v23, v181, v116
	v_dual_mul_f32 v19, v193, v129 :: v_dual_fma_f32 v41, v180, v116, -v53
	v_dual_add_f32 v9, v9, v21 :: v_dual_add_f32 v11, v11, v43
	v_dual_mul_f32 v27, v184, v121 :: v_dual_mul_f32 v29, v186, v123
	s_wait_loadcnt_dscnt 0x601
	v_dual_mul_f32 v21, v195, v131 :: v_dual_fma_f32 v43, v182, v118, -v55
	s_delay_alu instid0(VALU_DEP_3) | instskip(NEXT) | instid1(VALU_DEP_3)
	v_dual_fmac_f32 v25, v183, v118 :: v_dual_add_f32 v9, v9, v23
	v_dual_add_f32 v11, v11, v41 :: v_dual_fmac_f32 v27, v185, v120
	v_dual_mul_f32 v23, v197, v133 :: v_dual_fma_f32 v39, v184, v120, -v39
	s_delay_alu instid0(VALU_DEP_2) | instskip(SKIP_3) | instid1(VALU_DEP_3)
	v_dual_add_f32 v9, v9, v25 :: v_dual_add_f32 v11, v11, v43
	v_dual_mul_f32 v31, v188, v125 :: v_dual_mul_f32 v33, v190, v127
	s_wait_loadcnt 0x5
	v_dual_mul_f32 v25, v151, v135 :: v_dual_fma_f32 v13, v186, v122, -v13
	v_dual_fmac_f32 v29, v187, v122 :: v_dual_add_f32 v9, v9, v27
	v_dual_add_f32 v11, v11, v39 :: v_dual_mov_b32 v102, v137
	v_fmac_f32_e32 v31, v189, v124
	s_delay_alu instid0(VALU_DEP_3) | instskip(NEXT) | instid1(VALU_DEP_3)
	v_dual_fma_f32 v15, v188, v124, -v15 :: v_dual_add_f32 v9, v9, v29
	v_add_f32_e32 v11, v11, v13
	v_dual_mul_f32 v35, v192, v129 :: v_dual_mul_f32 v37, v194, v131
	s_delay_alu instid0(VALU_DEP_3) | instskip(NEXT) | instid1(VALU_DEP_3)
	v_dual_fmac_f32 v33, v191, v126 :: v_dual_add_f32 v9, v9, v31
	v_dual_fma_f32 v13, v190, v126, -v17 :: v_dual_add_f32 v11, v11, v15
	s_wait_loadcnt 0x4
	v_dual_mov_b32 v106, v141 :: v_dual_fma_f32 v15, v192, v128, -v19
	v_fmac_f32_e32 v35, v193, v128
	v_dual_add_f32 v9, v9, v33 :: v_dual_fmac_f32 v37, v195, v130
	v_add_f32_e32 v11, v11, v13
	v_dual_mul_f32 v213, v196, v133 :: v_dual_mul_f32 v215, v150, v135
	s_delay_alu instid0(VALU_DEP_3) | instskip(NEXT) | instid1(VALU_DEP_2)
	v_dual_fma_f32 v13, v194, v130, -v21 :: v_dual_add_f32 v9, v9, v35
	v_dual_add_f32 v11, v11, v15 :: v_dual_fmac_f32 v213, v197, v132
	v_fma_f32 v212, v196, v132, -v23
	v_pk_mul_f32 v[102:103], v[204:205], v[102:103] op_sel_hi:[1,0]
	s_delay_alu instid0(VALU_DEP_4)
	v_add_f32_e32 v111, v9, v37
	s_wait_loadcnt 0x3
	v_dual_add_f32 v110, v11, v13 :: v_dual_mov_b32 v112, v145
	v_pk_mul_f32 v[104:105], v[154:155], v[138:139] op_sel:[1,1] op_sel_hi:[0,1]
	v_dual_fmac_f32 v215, v151, v134 :: v_dual_fma_f32 v214, v150, v134, -v25
	v_pk_fma_f32 v[114:115], v[152:153], v[136:137], v[102:103] op_sel_hi:[1,0,1]
	s_delay_alu instid0(VALU_DEP_4)
	v_pk_add_f32 v[110:111], v[110:111], v[212:213]
	v_pk_fma_f32 v[102:103], v[152:153], v[136:137], v[102:103] neg_lo:[0,0,1] neg_hi:[0,0,1]
	v_pk_fma_f32 v[116:117], v[154:155], v[138:139], v[104:105] op_sel_hi:[1,0,1]
	v_pk_mul_f32 v[106:107], v[206:207], v[106:107] op_sel_hi:[1,0]
	v_mov_b32_e32 v103, v115
	v_pk_add_f32 v[110:111], v[110:111], v[214:215]
	v_pk_fma_f32 v[104:105], v[154:155], v[138:139], v[104:105] neg_lo:[0,0,1] neg_hi:[0,0,1]
	v_pk_mul_f32 v[108:109], v[158:159], v[142:143] op_sel:[1,1] op_sel_hi:[0,1]
	v_mov_b32_e32 v105, v117
	v_pk_fma_f32 v[116:117], v[156:157], v[140:141], v[106:107] op_sel_hi:[1,0,1]
	v_pk_add_f32 v[102:103], v[110:111], v[102:103]
	v_pk_fma_f32 v[106:107], v[156:157], v[140:141], v[106:107] neg_lo:[0,0,1] neg_hi:[0,0,1]
	v_pk_fma_f32 v[110:111], v[158:159], v[142:143], v[108:109] op_sel_hi:[1,0,1]
	v_pk_mul_f32 v[112:113], v[208:209], v[112:113] op_sel_hi:[1,0]
	v_mov_b32_e32 v107, v117
	v_pk_add_f32 v[102:103], v[102:103], v[104:105]
	v_pk_fma_f32 v[108:109], v[158:159], v[142:143], v[108:109] neg_lo:[0,0,1] neg_hi:[0,0,1]
	s_wait_loadcnt 0x2
	v_pk_mul_f32 v[114:115], v[162:163], v[146:147] op_sel:[1,1] op_sel_hi:[0,1]
	v_dual_mov_b32 v104, v149 :: v_dual_mov_b32 v109, v111
	v_pk_fma_f32 v[110:111], v[160:161], v[144:145], v[112:113] op_sel_hi:[1,0,1]
	v_pk_add_f32 v[102:103], v[102:103], v[106:107]
	v_pk_fma_f32 v[112:113], v[160:161], v[144:145], v[112:113] neg_lo:[0,0,1] neg_hi:[0,0,1]
	v_pk_fma_f32 v[106:107], v[162:163], v[146:147], v[114:115] op_sel_hi:[1,0,1]
	v_pk_mul_f32 v[104:105], v[210:211], v[104:105] op_sel_hi:[1,0]
	v_mov_b32_e32 v113, v111
	v_pk_add_f32 v[102:103], v[102:103], v[108:109]
	v_pk_fma_f32 v[108:109], v[162:163], v[146:147], v[114:115] neg_lo:[0,0,1] neg_hi:[0,0,1]
	v_mov_b32_e32 v109, v107
	v_pk_fma_f32 v[106:107], v[164:165], v[148:149], v[104:105] op_sel_hi:[1,0,1]
	s_wait_loadcnt_dscnt 0x100
	v_pk_mul_f32 v[110:111], v[202:203], v[198:199] op_sel:[1,1] op_sel_hi:[0,1]
	v_pk_add_f32 v[102:103], v[102:103], v[112:113]
	v_pk_fma_f32 v[104:105], v[164:165], v[148:149], v[104:105] neg_lo:[0,0,1] neg_hi:[0,0,1]
	v_mov_b32_e32 v105, v107
	s_delay_alu instid0(VALU_DEP_4) | instskip(NEXT) | instid1(VALU_DEP_4)
	v_pk_fma_f32 v[106:107], v[202:203], v[198:199], v[110:111] op_sel_hi:[1,0,1]
	v_pk_add_f32 v[102:103], v[102:103], v[108:109]
	v_pk_fma_f32 v[108:109], v[202:203], v[198:199], v[110:111] neg_lo:[0,0,1] neg_hi:[0,0,1]
	s_delay_alu instid0(VALU_DEP_3) | instskip(NEXT) | instid1(VALU_DEP_3)
	v_mov_b32_e32 v109, v107
	v_pk_add_f32 v[102:103], v[102:103], v[104:105]
	s_delay_alu instid0(VALU_DEP_1) | instskip(SKIP_1) | instid1(VALU_DEP_1)
	v_pk_add_f32 v[102:103], v[102:103], v[108:109]
	s_wait_loadcnt 0x0
	v_pk_add_f32 v[102:103], v[200:201], v[102:103] neg_lo:[0,1] neg_hi:[0,1]
	scratch_store_b64 off, v[102:103], off offset:192
	s_wait_xcnt 0x0
	v_cmpx_lt_u32_e32 23, v0
	s_cbranch_execz .LBB113_267
; %bb.266:
	scratch_load_b64 v[102:103], off, off offset:184
	v_mov_b64_e32 v[104:105], 0
	scratch_store_b64 off, v[104:105], off offset:184
	s_wait_loadcnt 0x0
	ds_store_b64 v1, v[102:103]
.LBB113_267:
	s_wait_xcnt 0x0
	s_or_b32 exec_lo, exec_lo, s0
	s_wait_storecnt_dscnt 0x0
	s_barrier_signal -1
	s_barrier_wait -1
	s_clause 0xd
	scratch_load_b128 v[102:105], off, off offset:192
	scratch_load_b128 v[106:109], off, off offset:208
	;; [unrolled: 1-line block ×13, first 2 shown]
	scratch_load_b64 v[206:207], off, off offset:184
	ds_load_b128 v[154:157], v7 offset:736
	ds_load_b128 v[158:161], v7 offset:752
	;; [unrolled: 1-line block ×13, first 2 shown]
	s_mov_b32 s0, exec_lo
	s_wait_dscnt 0xc
	v_dual_mov_b32 v208, v157 :: v_dual_mov_b32 v209, v156
	s_wait_dscnt 0xb
	v_dual_mov_b32 v210, v161 :: v_dual_mov_b32 v211, v160
	;; [unrolled: 2-line block ×4, first 2 shown]
	s_wait_loadcnt_dscnt 0xd08
	v_dual_mul_f32 v7, v170, v103 :: v_dual_mul_f32 v9, v172, v105
	v_dual_mul_f32 v39, v171, v103 :: v_dual_mul_f32 v41, v173, v105
	s_wait_loadcnt_dscnt 0xc07
	v_dual_mul_f32 v11, v174, v107 :: v_dual_mul_f32 v13, v176, v109
	s_delay_alu instid0(VALU_DEP_3) | instskip(SKIP_3) | instid1(VALU_DEP_3)
	v_dual_fmac_f32 v7, v171, v102 :: v_dual_fmac_f32 v9, v173, v104
	s_wait_loadcnt_dscnt 0xa05
	v_dual_fma_f32 v39, v170, v102, -v39 :: v_dual_mul_f32 v51, v183, v115
	v_dual_mul_f32 v43, v175, v107 :: v_dual_mul_f32 v45, v177, v109
	v_dual_fma_f32 v41, v172, v104, -v41 :: v_dual_add_f32 v7, 0, v7
	s_delay_alu instid0(VALU_DEP_3) | instskip(SKIP_1) | instid1(VALU_DEP_3)
	v_dual_add_f32 v39, 0, v39 :: v_dual_mul_f32 v53, v185, v117
	v_dual_fmac_f32 v11, v175, v106 :: v_dual_fmac_f32 v13, v177, v108
	v_dual_fma_f32 v43, v174, v106, -v43 :: v_dual_add_f32 v7, v7, v9
	s_delay_alu instid0(VALU_DEP_3) | instskip(SKIP_2) | instid1(VALU_DEP_4)
	v_dual_add_f32 v9, v39, v41 :: v_dual_fma_f32 v41, v176, v108, -v45
	v_dual_mul_f32 v15, v178, v111 :: v_dual_mul_f32 v17, v180, v113
	v_dual_mul_f32 v47, v179, v111 :: v_dual_mul_f32 v49, v181, v113
	v_add_f32_e32 v7, v7, v11
	s_delay_alu instid0(VALU_DEP_3) | instskip(NEXT) | instid1(VALU_DEP_3)
	v_dual_add_f32 v9, v9, v43 :: v_dual_fmac_f32 v15, v179, v110
	v_fma_f32 v43, v178, v110, -v47
	v_dual_mul_f32 v19, v182, v115 :: v_dual_mul_f32 v21, v184, v117
	s_delay_alu instid0(VALU_DEP_4) | instskip(SKIP_2) | instid1(VALU_DEP_2)
	v_dual_add_f32 v7, v7, v13 :: v_dual_fmac_f32 v17, v181, v112
	s_wait_loadcnt_dscnt 0x802
	v_dual_add_f32 v9, v9, v41 :: v_dual_mul_f32 v13, v195, v123
	v_dual_fma_f32 v41, v180, v112, -v49 :: v_dual_add_f32 v7, v7, v15
	v_mul_f32_e32 v15, v197, v125
	s_delay_alu instid0(VALU_DEP_3) | instskip(NEXT) | instid1(VALU_DEP_3)
	v_dual_add_f32 v9, v9, v43 :: v_dual_fmac_f32 v19, v183, v114
	v_dual_fma_f32 v43, v182, v114, -v51 :: v_dual_add_f32 v7, v7, v17
	v_fmac_f32_e32 v21, v185, v116
	s_wait_loadcnt_dscnt 0x701
	s_delay_alu instid0(VALU_DEP_3) | instskip(SKIP_3) | instid1(VALU_DEP_3)
	v_dual_add_f32 v9, v9, v41 :: v_dual_mul_f32 v17, v199, v127
	v_dual_mul_f32 v23, v190, v119 :: v_dual_mul_f32 v25, v192, v121
	v_dual_mul_f32 v39, v191, v119 :: v_dual_mul_f32 v11, v193, v121
	v_dual_fma_f32 v41, v184, v116, -v53 :: v_dual_add_f32 v7, v7, v19
	v_dual_add_f32 v9, v9, v43 :: v_dual_fmac_f32 v23, v191, v118
	s_delay_alu instid0(VALU_DEP_3) | instskip(NEXT) | instid1(VALU_DEP_3)
	v_dual_mul_f32 v19, v201, v129 :: v_dual_fma_f32 v39, v190, v118, -v39
	v_dual_add_f32 v7, v7, v21 :: v_dual_fmac_f32 v25, v193, v120
	s_wait_loadcnt_dscnt 0x600
	s_delay_alu instid0(VALU_DEP_3) | instskip(SKIP_1) | instid1(VALU_DEP_3)
	v_dual_add_f32 v9, v9, v41 :: v_dual_mul_f32 v21, v203, v131
	v_dual_mul_f32 v27, v194, v123 :: v_dual_mul_f32 v29, v196, v125
	v_dual_fma_f32 v11, v192, v120, -v11 :: v_dual_add_f32 v7, v7, v23
	s_delay_alu instid0(VALU_DEP_2) | instskip(SKIP_1) | instid1(VALU_DEP_2)
	v_dual_add_f32 v9, v9, v39 :: v_dual_fmac_f32 v27, v195, v122
	v_dual_mul_f32 v23, v205, v133 :: v_dual_fma_f32 v13, v194, v122, -v13
	v_dual_add_f32 v7, v7, v25 :: v_dual_add_f32 v9, v9, v11
	v_dual_mul_f32 v31, v198, v127 :: v_dual_mul_f32 v33, v200, v129
	s_wait_loadcnt 0x5
	v_dual_mul_f32 v11, v187, v135 :: v_dual_fmac_f32 v29, v197, v124
	s_delay_alu instid0(VALU_DEP_3) | instskip(NEXT) | instid1(VALU_DEP_3)
	v_dual_fma_f32 v15, v196, v124, -v15 :: v_dual_add_f32 v7, v7, v27
	v_dual_add_f32 v9, v9, v13 :: v_dual_fmac_f32 v31, v199, v126
	v_dual_mul_f32 v13, v189, v137 :: v_dual_fma_f32 v17, v198, v126, -v17
	s_delay_alu instid0(VALU_DEP_2) | instskip(SKIP_2) | instid1(VALU_DEP_3)
	v_dual_add_f32 v7, v7, v29 :: v_dual_add_f32 v9, v9, v15
	v_dual_mul_f32 v35, v202, v131 :: v_dual_mul_f32 v37, v204, v133
	v_dual_fmac_f32 v33, v201, v128 :: v_dual_fma_f32 v15, v200, v128, -v19
	v_dual_add_f32 v7, v7, v31 :: v_dual_add_f32 v9, v9, v17
	s_wait_loadcnt 0x4
	s_delay_alu instid0(VALU_DEP_3) | instskip(NEXT) | instid1(VALU_DEP_2)
	v_dual_mov_b32 v104, v141 :: v_dual_fmac_f32 v35, v203, v130
	v_dual_fma_f32 v17, v202, v130, -v21 :: v_dual_add_f32 v7, v7, v33
	s_delay_alu instid0(VALU_DEP_3) | instskip(SKIP_1) | instid1(VALU_DEP_3)
	v_dual_add_f32 v9, v9, v15 :: v_dual_fma_f32 v15, v204, v132, -v23
	v_dual_mul_f32 v217, v186, v135 :: v_dual_mul_f32 v219, v188, v137
	v_dual_fmac_f32 v37, v205, v132 :: v_dual_add_f32 v7, v7, v35
	s_delay_alu instid0(VALU_DEP_2) | instskip(SKIP_3) | instid1(VALU_DEP_3)
	v_dual_add_f32 v9, v9, v17 :: v_dual_fmac_f32 v217, v187, v134
	v_pk_mul_f32 v[102:103], v[154:155], v[138:139] op_sel:[1,1] op_sel_hi:[0,1]
	s_wait_loadcnt 0x3
	v_dual_mov_b32 v108, v145 :: v_dual_fma_f32 v216, v186, v134, -v11
	v_dual_add_f32 v111, v7, v37 :: v_dual_add_f32 v110, v9, v15
	v_dual_fmac_f32 v219, v189, v136 :: v_dual_fma_f32 v218, v188, v136, -v13
	v_pk_fma_f32 v[112:113], v[154:155], v[138:139], v[102:103] op_sel_hi:[1,0,1]
	v_pk_mul_f32 v[104:105], v[208:209], v[104:105] op_sel_hi:[1,0]
	s_delay_alu instid0(VALU_DEP_4)
	v_pk_add_f32 v[110:111], v[110:111], v[216:217]
	v_pk_fma_f32 v[102:103], v[154:155], v[138:139], v[102:103] neg_lo:[0,0,1] neg_hi:[0,0,1]
	v_pk_mul_f32 v[106:107], v[158:159], v[142:143] op_sel:[1,1] op_sel_hi:[0,1]
	v_mov_b32_e32 v103, v113
	v_pk_fma_f32 v[112:113], v[156:157], v[140:141], v[104:105] op_sel_hi:[1,0,1]
	v_pk_add_f32 v[110:111], v[110:111], v[218:219]
	v_pk_fma_f32 v[104:105], v[156:157], v[140:141], v[104:105] neg_lo:[0,0,1] neg_hi:[0,0,1]
	v_pk_fma_f32 v[116:117], v[158:159], v[142:143], v[106:107] op_sel_hi:[1,0,1]
	v_pk_mul_f32 v[108:109], v[210:211], v[108:109] op_sel_hi:[1,0]
	v_mov_b32_e32 v105, v113
	v_pk_add_f32 v[102:103], v[110:111], v[102:103]
	s_wait_loadcnt 0x2
	v_pk_mul_f32 v[114:115], v[162:163], v[146:147] op_sel:[1,1] op_sel_hi:[0,1]
	v_mov_b32_e32 v110, v149
	v_pk_fma_f32 v[106:107], v[158:159], v[142:143], v[106:107] neg_lo:[0,0,1] neg_hi:[0,0,1]
	v_mov_b32_e32 v107, v117
	v_pk_fma_f32 v[112:113], v[160:161], v[144:145], v[108:109] op_sel_hi:[1,0,1]
	v_pk_add_f32 v[102:103], v[102:103], v[104:105]
	v_pk_fma_f32 v[104:105], v[162:163], v[146:147], v[114:115] op_sel_hi:[1,0,1]
	v_pk_mul_f32 v[110:111], v[212:213], v[110:111] op_sel_hi:[1,0]
	v_pk_fma_f32 v[108:109], v[160:161], v[144:145], v[108:109] neg_lo:[0,0,1] neg_hi:[0,0,1]
	v_mov_b32_e32 v109, v113
	v_pk_add_f32 v[102:103], v[102:103], v[106:107]
	v_pk_fma_f32 v[112:113], v[162:163], v[146:147], v[114:115] neg_lo:[0,0,1] neg_hi:[0,0,1]
	v_mov_b32_e32 v113, v105
	v_pk_fma_f32 v[104:105], v[164:165], v[148:149], v[110:111] op_sel_hi:[1,0,1]
	s_wait_loadcnt 0x1
	v_pk_mul_f32 v[106:107], v[166:167], v[150:151] op_sel:[1,1] op_sel_hi:[0,1]
	v_pk_add_f32 v[102:103], v[102:103], v[108:109]
	v_mov_b32_e32 v104, v153
	v_pk_fma_f32 v[110:111], v[164:165], v[148:149], v[110:111] neg_lo:[0,0,1] neg_hi:[0,0,1]
	v_mov_b32_e32 v111, v105
	v_pk_fma_f32 v[108:109], v[166:167], v[150:151], v[106:107] op_sel_hi:[1,0,1]
	v_pk_add_f32 v[102:103], v[102:103], v[112:113]
	v_pk_mul_f32 v[104:105], v[214:215], v[104:105] op_sel_hi:[1,0]
	v_pk_fma_f32 v[106:107], v[166:167], v[150:151], v[106:107] neg_lo:[0,0,1] neg_hi:[0,0,1]
	s_delay_alu instid0(VALU_DEP_4) | instskip(NEXT) | instid1(VALU_DEP_4)
	v_mov_b32_e32 v107, v109
	v_pk_add_f32 v[102:103], v[102:103], v[110:111]
	s_delay_alu instid0(VALU_DEP_4) | instskip(SKIP_1) | instid1(VALU_DEP_2)
	v_pk_fma_f32 v[108:109], v[168:169], v[152:153], v[104:105] op_sel_hi:[1,0,1]
	v_pk_fma_f32 v[104:105], v[168:169], v[152:153], v[104:105] neg_lo:[0,0,1] neg_hi:[0,0,1]
	v_mov_b32_e32 v105, v109
	s_delay_alu instid0(VALU_DEP_4) | instskip(NEXT) | instid1(VALU_DEP_1)
	v_pk_add_f32 v[102:103], v[102:103], v[106:107]
	v_pk_add_f32 v[102:103], v[102:103], v[104:105]
	s_wait_loadcnt 0x0
	s_delay_alu instid0(VALU_DEP_1)
	v_pk_add_f32 v[102:103], v[206:207], v[102:103] neg_lo:[0,1] neg_hi:[0,1]
	scratch_store_b64 off, v[102:103], off offset:184
	s_wait_xcnt 0x0
	v_cmpx_lt_u32_e32 22, v0
	s_cbranch_execz .LBB113_269
; %bb.268:
	scratch_load_b64 v[102:103], off, off offset:176
	v_mov_b64_e32 v[104:105], 0
	scratch_store_b64 off, v[104:105], off offset:176
	s_wait_loadcnt 0x0
	ds_store_b64 v1, v[102:103]
.LBB113_269:
	s_wait_xcnt 0x0
	s_or_b32 exec_lo, exec_lo, s0
	s_wait_storecnt_dscnt 0x0
	s_barrier_signal -1
	s_barrier_wait -1
	s_clause 0xe
	scratch_load_b128 v[102:105], off, off offset:184
	scratch_load_b128 v[106:109], off, off offset:200
	;; [unrolled: 1-line block ×13, first 2 shown]
	scratch_load_b64 v[206:207], off, off offset:392
	scratch_load_b64 v[208:209], off, off offset:176
	v_mov_b32_e32 v7, 0
	ds_load_2addr_b64 v[154:157], v7 offset0:91 offset1:92
	ds_load_2addr_b64 v[158:161], v7 offset0:93 offset1:94
	;; [unrolled: 1-line block ×13, first 2 shown]
	ds_load_b64 v[210:211], v7 offset:792
	s_mov_b32 s0, exec_lo
	s_wait_dscnt 0xd
	v_dual_mov_b32 v212, v157 :: v_dual_mov_b32 v213, v156
	s_wait_dscnt 0xa
	v_dual_mov_b32 v214, v161 :: v_dual_mov_b32 v219, v168
	v_dual_mov_b32 v215, v160 :: v_dual_mov_b32 v216, v165
	;; [unrolled: 1-line block ×3, first 2 shown]
	s_wait_loadcnt_dscnt 0xe09
	v_dual_mul_f32 v9, v170, v103 :: v_dual_mul_f32 v43, v171, v103
	v_dual_mul_f32 v45, v173, v105 :: v_dual_mul_f32 v11, v172, v105
	s_wait_loadcnt_dscnt 0xd08
	v_mul_f32_e32 v13, v174, v107
	s_wait_loadcnt_dscnt 0xb05
	v_dual_mul_f32 v55, v187, v115 :: v_dual_fma_f32 v43, v170, v102, -v43
	v_dual_fmac_f32 v9, v171, v102 :: v_dual_mul_f32 v57, v189, v117
	v_dual_mul_f32 v47, v175, v107 :: v_dual_mul_f32 v49, v177, v109
	v_dual_fmac_f32 v11, v173, v104 :: v_dual_fma_f32 v45, v172, v104, -v45
	s_delay_alu instid0(VALU_DEP_3) | instskip(SKIP_3) | instid1(VALU_DEP_3)
	v_dual_add_f32 v9, 0, v9 :: v_dual_add_f32 v43, 0, v43
	v_dual_mul_f32 v15, v176, v109 :: v_dual_mul_f32 v17, v178, v111
	s_wait_loadcnt_dscnt 0xa04
	v_dual_mul_f32 v59, v191, v119 :: v_dual_fma_f32 v47, v174, v106, -v47
	v_dual_fmac_f32 v13, v175, v106 :: v_dual_add_f32 v9, v9, v11
	s_delay_alu instid0(VALU_DEP_3) | instskip(SKIP_2) | instid1(VALU_DEP_3)
	v_dual_add_f32 v11, v43, v45 :: v_dual_fmac_f32 v15, v177, v108
	v_dual_mul_f32 v51, v179, v111 :: v_dual_mul_f32 v53, v181, v113
	v_dual_mul_f32 v43, v193, v121 :: v_dual_fma_f32 v45, v176, v108, -v49
	v_dual_add_f32 v9, v9, v13 :: v_dual_add_f32 v11, v11, v47
	v_dual_mul_f32 v19, v180, v113 :: v_dual_mul_f32 v21, v186, v115
	s_wait_loadcnt_dscnt 0x903
	v_dual_mul_f32 v13, v195, v123 :: v_dual_fma_f32 v47, v178, v110, -v51
	s_delay_alu instid0(VALU_DEP_3) | instskip(NEXT) | instid1(VALU_DEP_3)
	v_dual_fmac_f32 v17, v179, v110 :: v_dual_add_f32 v9, v9, v15
	v_dual_add_f32 v11, v11, v45 :: v_dual_fmac_f32 v19, v181, v112
	v_dual_mul_f32 v15, v197, v125 :: v_dual_fma_f32 v45, v180, v112, -v53
	s_delay_alu instid0(VALU_DEP_2) | instskip(SKIP_3) | instid1(VALU_DEP_3)
	v_dual_add_f32 v9, v9, v17 :: v_dual_add_f32 v11, v11, v47
	v_dual_mul_f32 v23, v188, v117 :: v_dual_mul_f32 v25, v190, v119
	s_wait_loadcnt_dscnt 0x802
	v_dual_mul_f32 v17, v199, v127 :: v_dual_fma_f32 v47, v186, v114, -v55
	v_dual_fmac_f32 v21, v187, v114 :: v_dual_add_f32 v9, v9, v19
	s_delay_alu instid0(VALU_DEP_3) | instskip(SKIP_1) | instid1(VALU_DEP_2)
	v_dual_add_f32 v11, v11, v45 :: v_dual_fmac_f32 v23, v189, v116
	v_dual_mul_f32 v19, v201, v129 :: v_dual_fma_f32 v45, v188, v116, -v57
	v_dual_add_f32 v9, v9, v21 :: v_dual_add_f32 v11, v11, v47
	v_dual_mul_f32 v27, v192, v121 :: v_dual_mul_f32 v29, v194, v123
	s_wait_loadcnt_dscnt 0x701
	v_dual_mul_f32 v21, v203, v131 :: v_dual_fma_f32 v47, v190, v118, -v59
	s_delay_alu instid0(VALU_DEP_3) | instskip(NEXT) | instid1(VALU_DEP_3)
	v_dual_fmac_f32 v25, v191, v118 :: v_dual_add_f32 v9, v9, v23
	v_dual_add_f32 v11, v11, v45 :: v_dual_fmac_f32 v27, v193, v120
	v_dual_mul_f32 v23, v205, v133 :: v_dual_fma_f32 v43, v192, v120, -v43
	s_delay_alu instid0(VALU_DEP_2) | instskip(SKIP_3) | instid1(VALU_DEP_3)
	v_dual_add_f32 v9, v9, v25 :: v_dual_add_f32 v11, v11, v47
	v_dual_mul_f32 v31, v196, v125 :: v_dual_mul_f32 v33, v198, v127
	s_wait_loadcnt 0x6
	v_dual_mul_f32 v25, v183, v135 :: v_dual_fma_f32 v13, v194, v122, -v13
	v_dual_fmac_f32 v29, v195, v122 :: v_dual_add_f32 v9, v9, v27
	v_dual_add_f32 v11, v11, v43 :: v_dual_mul_f32 v27, v185, v137
	v_fmac_f32_e32 v31, v197, v124
	s_delay_alu instid0(VALU_DEP_3) | instskip(NEXT) | instid1(VALU_DEP_3)
	v_dual_fma_f32 v15, v196, v124, -v15 :: v_dual_add_f32 v9, v9, v29
	v_add_f32_e32 v11, v11, v13
	v_dual_mul_f32 v35, v200, v129 :: v_dual_mul_f32 v37, v202, v131
	s_wait_loadcnt 0x5
	v_dual_mul_f32 v13, v155, v139 :: v_dual_fma_f32 v17, v198, v126, -v17
	v_dual_fmac_f32 v33, v199, v126 :: v_dual_add_f32 v9, v9, v31
	v_dual_add_f32 v11, v11, v15 :: v_dual_mov_b32 v102, v141
	v_fmac_f32_e32 v35, v201, v128
	s_delay_alu instid0(VALU_DEP_3) | instskip(NEXT) | instid1(VALU_DEP_3)
	v_dual_fma_f32 v15, v200, v128, -v19 :: v_dual_add_f32 v9, v9, v33
	v_add_f32_e32 v11, v11, v17
	v_dual_mul_f32 v39, v204, v133 :: v_dual_mul_f32 v41, v182, v135
	s_delay_alu instid0(VALU_DEP_3) | instskip(NEXT) | instid1(VALU_DEP_3)
	v_dual_fmac_f32 v37, v203, v130 :: v_dual_add_f32 v9, v9, v35
	v_dual_fma_f32 v17, v202, v130, -v21 :: v_dual_add_f32 v11, v11, v15
	s_wait_loadcnt 0x4
	v_dual_mov_b32 v106, v145 :: v_dual_fma_f32 v15, v204, v132, -v23
	v_fmac_f32_e32 v39, v205, v132
	v_dual_add_f32 v9, v9, v37 :: v_dual_fmac_f32 v41, v183, v134
	v_add_f32_e32 v11, v11, v17
	v_dual_mul_f32 v221, v184, v137 :: v_dual_mul_f32 v223, v154, v139
	s_delay_alu instid0(VALU_DEP_3) | instskip(NEXT) | instid1(VALU_DEP_2)
	v_dual_fma_f32 v17, v182, v134, -v25 :: v_dual_add_f32 v9, v9, v39
	v_dual_add_f32 v11, v11, v15 :: v_dual_fmac_f32 v221, v185, v136
	v_fma_f32 v220, v184, v136, -v27
	v_pk_mul_f32 v[102:103], v[212:213], v[102:103] op_sel_hi:[1,0]
	s_delay_alu instid0(VALU_DEP_4)
	v_add_f32_e32 v111, v9, v41
	s_wait_loadcnt 0x3
	v_dual_add_f32 v110, v11, v17 :: v_dual_mov_b32 v112, v149
	v_pk_mul_f32 v[104:105], v[158:159], v[142:143] op_sel:[1,1] op_sel_hi:[0,1]
	v_dual_fmac_f32 v223, v155, v138 :: v_dual_fma_f32 v222, v154, v138, -v13
	v_pk_fma_f32 v[114:115], v[156:157], v[140:141], v[102:103] op_sel_hi:[1,0,1]
	s_delay_alu instid0(VALU_DEP_4)
	v_pk_add_f32 v[110:111], v[110:111], v[220:221]
	v_pk_fma_f32 v[102:103], v[156:157], v[140:141], v[102:103] neg_lo:[0,0,1] neg_hi:[0,0,1]
	v_pk_fma_f32 v[116:117], v[158:159], v[142:143], v[104:105] op_sel_hi:[1,0,1]
	v_pk_mul_f32 v[106:107], v[214:215], v[106:107] op_sel_hi:[1,0]
	v_mov_b32_e32 v103, v115
	v_pk_add_f32 v[110:111], v[110:111], v[222:223]
	v_pk_fma_f32 v[104:105], v[158:159], v[142:143], v[104:105] neg_lo:[0,0,1] neg_hi:[0,0,1]
	v_pk_mul_f32 v[108:109], v[162:163], v[146:147] op_sel:[1,1] op_sel_hi:[0,1]
	v_mov_b32_e32 v105, v117
	v_pk_fma_f32 v[116:117], v[160:161], v[144:145], v[106:107] op_sel_hi:[1,0,1]
	v_pk_add_f32 v[102:103], v[110:111], v[102:103]
	v_pk_fma_f32 v[106:107], v[160:161], v[144:145], v[106:107] neg_lo:[0,0,1] neg_hi:[0,0,1]
	v_pk_fma_f32 v[110:111], v[162:163], v[146:147], v[108:109] op_sel_hi:[1,0,1]
	v_pk_mul_f32 v[112:113], v[216:217], v[112:113] op_sel_hi:[1,0]
	v_mov_b32_e32 v107, v117
	v_pk_add_f32 v[102:103], v[102:103], v[104:105]
	v_pk_fma_f32 v[108:109], v[162:163], v[146:147], v[108:109] neg_lo:[0,0,1] neg_hi:[0,0,1]
	s_wait_loadcnt 0x2
	v_pk_mul_f32 v[114:115], v[166:167], v[150:151] op_sel:[1,1] op_sel_hi:[0,1]
	v_dual_mov_b32 v104, v153 :: v_dual_mov_b32 v109, v111
	v_pk_fma_f32 v[110:111], v[164:165], v[148:149], v[112:113] op_sel_hi:[1,0,1]
	v_pk_add_f32 v[102:103], v[102:103], v[106:107]
	v_pk_fma_f32 v[112:113], v[164:165], v[148:149], v[112:113] neg_lo:[0,0,1] neg_hi:[0,0,1]
	v_pk_fma_f32 v[106:107], v[166:167], v[150:151], v[114:115] op_sel_hi:[1,0,1]
	v_pk_mul_f32 v[104:105], v[218:219], v[104:105] op_sel_hi:[1,0]
	v_mov_b32_e32 v113, v111
	v_pk_add_f32 v[102:103], v[102:103], v[108:109]
	v_pk_fma_f32 v[108:109], v[166:167], v[150:151], v[114:115] neg_lo:[0,0,1] neg_hi:[0,0,1]
	v_mov_b32_e32 v109, v107
	v_pk_fma_f32 v[106:107], v[168:169], v[152:153], v[104:105] op_sel_hi:[1,0,1]
	s_wait_loadcnt_dscnt 0x100
	v_pk_mul_f32 v[110:111], v[210:211], v[206:207] op_sel:[1,1] op_sel_hi:[0,1]
	v_pk_add_f32 v[102:103], v[102:103], v[112:113]
	v_pk_fma_f32 v[104:105], v[168:169], v[152:153], v[104:105] neg_lo:[0,0,1] neg_hi:[0,0,1]
	v_mov_b32_e32 v105, v107
	s_delay_alu instid0(VALU_DEP_4) | instskip(NEXT) | instid1(VALU_DEP_4)
	v_pk_fma_f32 v[106:107], v[210:211], v[206:207], v[110:111] op_sel_hi:[1,0,1]
	v_pk_add_f32 v[102:103], v[102:103], v[108:109]
	v_pk_fma_f32 v[108:109], v[210:211], v[206:207], v[110:111] neg_lo:[0,0,1] neg_hi:[0,0,1]
	s_delay_alu instid0(VALU_DEP_3) | instskip(NEXT) | instid1(VALU_DEP_3)
	v_mov_b32_e32 v109, v107
	v_pk_add_f32 v[102:103], v[102:103], v[104:105]
	s_delay_alu instid0(VALU_DEP_1) | instskip(SKIP_1) | instid1(VALU_DEP_1)
	v_pk_add_f32 v[102:103], v[102:103], v[108:109]
	s_wait_loadcnt 0x0
	v_pk_add_f32 v[102:103], v[208:209], v[102:103] neg_lo:[0,1] neg_hi:[0,1]
	scratch_store_b64 off, v[102:103], off offset:176
	s_wait_xcnt 0x0
	v_cmpx_lt_u32_e32 21, v0
	s_cbranch_execz .LBB113_271
; %bb.270:
	scratch_load_b64 v[102:103], off, off offset:168
	v_mov_b64_e32 v[104:105], 0
	scratch_store_b64 off, v[104:105], off offset:168
	s_wait_loadcnt 0x0
	ds_store_b64 v1, v[102:103]
.LBB113_271:
	s_wait_xcnt 0x0
	s_or_b32 exec_lo, exec_lo, s0
	s_wait_storecnt_dscnt 0x0
	s_barrier_signal -1
	s_barrier_wait -1
	s_clause 0xe
	scratch_load_b128 v[102:105], off, off offset:176
	scratch_load_b128 v[106:109], off, off offset:192
	;; [unrolled: 1-line block ×14, first 2 shown]
	scratch_load_b64 v[214:215], off, off offset:168
	ds_load_b128 v[158:161], v7 offset:736
	ds_load_b128 v[162:165], v7 offset:752
	;; [unrolled: 1-line block ×14, first 2 shown]
	s_mov_b32 s0, exec_lo
	s_wait_dscnt 0xd
	v_dual_mov_b32 v216, v161 :: v_dual_mov_b32 v217, v160
	s_wait_dscnt 0xc
	v_dual_mov_b32 v218, v165 :: v_dual_mov_b32 v219, v164
	s_wait_dscnt 0xb
	v_dual_mov_b32 v220, v169 :: v_dual_mov_b32 v221, v168
	s_wait_dscnt 0xa
	v_dual_mov_b32 v222, v173 :: v_dual_mov_b32 v223, v172
	s_wait_loadcnt_dscnt 0xe09
	v_dual_mul_f32 v7, v174, v103 :: v_dual_mul_f32 v9, v176, v105
	v_dual_mul_f32 v43, v175, v103 :: v_dual_mul_f32 v45, v177, v105
	s_wait_loadcnt_dscnt 0xd08
	v_dual_mul_f32 v11, v178, v107 :: v_dual_mul_f32 v13, v180, v109
	s_delay_alu instid0(VALU_DEP_3) | instskip(SKIP_3) | instid1(VALU_DEP_3)
	v_dual_fmac_f32 v7, v175, v102 :: v_dual_fmac_f32 v9, v177, v104
	s_wait_loadcnt_dscnt 0xb06
	v_dual_fma_f32 v43, v174, v102, -v43 :: v_dual_mul_f32 v55, v187, v115
	v_dual_mul_f32 v47, v179, v107 :: v_dual_mul_f32 v49, v181, v109
	v_dual_fma_f32 v45, v176, v104, -v45 :: v_dual_add_f32 v7, 0, v7
	s_delay_alu instid0(VALU_DEP_3) | instskip(SKIP_1) | instid1(VALU_DEP_3)
	v_dual_add_f32 v43, 0, v43 :: v_dual_mul_f32 v57, v189, v117
	v_dual_fmac_f32 v11, v179, v106 :: v_dual_fmac_f32 v13, v181, v108
	v_dual_fma_f32 v47, v178, v106, -v47 :: v_dual_add_f32 v7, v7, v9
	s_delay_alu instid0(VALU_DEP_3) | instskip(SKIP_2) | instid1(VALU_DEP_4)
	v_dual_add_f32 v9, v43, v45 :: v_dual_fma_f32 v45, v180, v108, -v49
	v_dual_mul_f32 v15, v182, v111 :: v_dual_mul_f32 v17, v184, v113
	v_dual_mul_f32 v51, v183, v111 :: v_dual_mul_f32 v53, v185, v113
	v_add_f32_e32 v7, v7, v11
	s_delay_alu instid0(VALU_DEP_3) | instskip(NEXT) | instid1(VALU_DEP_3)
	v_dual_add_f32 v9, v9, v47 :: v_dual_fmac_f32 v15, v183, v110
	v_fma_f32 v47, v182, v110, -v51
	v_dual_mul_f32 v19, v186, v115 :: v_dual_mul_f32 v21, v188, v117
	s_delay_alu instid0(VALU_DEP_4) | instskip(SKIP_2) | instid1(VALU_DEP_2)
	v_dual_add_f32 v7, v7, v13 :: v_dual_fmac_f32 v17, v185, v112
	s_wait_loadcnt_dscnt 0x904
	v_dual_add_f32 v9, v9, v45 :: v_dual_mul_f32 v13, v195, v123
	v_dual_fma_f32 v45, v184, v112, -v53 :: v_dual_add_f32 v7, v7, v15
	v_mul_f32_e32 v15, v197, v125
	s_delay_alu instid0(VALU_DEP_3) | instskip(NEXT) | instid1(VALU_DEP_3)
	v_dual_add_f32 v9, v9, v47 :: v_dual_fmac_f32 v19, v187, v114
	v_dual_fma_f32 v47, v186, v114, -v55 :: v_dual_add_f32 v7, v7, v17
	v_fmac_f32_e32 v21, v189, v116
	s_wait_loadcnt_dscnt 0x803
	s_delay_alu instid0(VALU_DEP_3) | instskip(SKIP_3) | instid1(VALU_DEP_3)
	v_dual_add_f32 v9, v9, v45 :: v_dual_mul_f32 v17, v199, v127
	v_dual_mul_f32 v23, v190, v119 :: v_dual_mul_f32 v25, v192, v121
	v_dual_mul_f32 v43, v191, v119 :: v_dual_mul_f32 v11, v193, v121
	v_dual_fma_f32 v45, v188, v116, -v57 :: v_dual_add_f32 v7, v7, v19
	v_dual_add_f32 v9, v9, v47 :: v_dual_fmac_f32 v23, v191, v118
	s_delay_alu instid0(VALU_DEP_3) | instskip(NEXT) | instid1(VALU_DEP_3)
	v_dual_mul_f32 v19, v201, v129 :: v_dual_fma_f32 v43, v190, v118, -v43
	v_dual_add_f32 v7, v7, v21 :: v_dual_fmac_f32 v25, v193, v120
	s_wait_loadcnt_dscnt 0x702
	s_delay_alu instid0(VALU_DEP_3) | instskip(SKIP_1) | instid1(VALU_DEP_3)
	v_dual_add_f32 v9, v9, v45 :: v_dual_mul_f32 v21, v203, v131
	v_dual_mul_f32 v27, v194, v123 :: v_dual_mul_f32 v29, v196, v125
	v_dual_fma_f32 v11, v192, v120, -v11 :: v_dual_add_f32 v7, v7, v23
	s_delay_alu instid0(VALU_DEP_2) | instskip(SKIP_1) | instid1(VALU_DEP_2)
	v_dual_add_f32 v9, v9, v43 :: v_dual_fmac_f32 v27, v195, v122
	v_dual_mul_f32 v23, v205, v133 :: v_dual_fma_f32 v13, v194, v122, -v13
	v_dual_add_f32 v7, v7, v25 :: v_dual_add_f32 v9, v9, v11
	v_dual_mul_f32 v31, v198, v127 :: v_dual_mul_f32 v33, v200, v129
	s_wait_loadcnt_dscnt 0x601
	v_dual_mul_f32 v11, v207, v135 :: v_dual_fmac_f32 v29, v197, v124
	s_delay_alu instid0(VALU_DEP_3) | instskip(NEXT) | instid1(VALU_DEP_3)
	v_dual_fma_f32 v15, v196, v124, -v15 :: v_dual_add_f32 v7, v7, v27
	v_dual_add_f32 v9, v9, v13 :: v_dual_fmac_f32 v31, v199, v126
	v_dual_mul_f32 v13, v209, v137 :: v_dual_fma_f32 v17, v198, v126, -v17
	s_delay_alu instid0(VALU_DEP_2) | instskip(SKIP_3) | instid1(VALU_DEP_3)
	v_dual_add_f32 v7, v7, v29 :: v_dual_add_f32 v9, v9, v15
	v_dual_mul_f32 v35, v202, v131 :: v_dual_mul_f32 v37, v204, v133
	s_wait_loadcnt_dscnt 0x500
	v_dual_mul_f32 v15, v211, v139 :: v_dual_fmac_f32 v33, v201, v128
	v_dual_fma_f32 v19, v200, v128, -v19 :: v_dual_add_f32 v7, v7, v31
	s_delay_alu instid0(VALU_DEP_3) | instskip(SKIP_1) | instid1(VALU_DEP_2)
	v_dual_add_f32 v9, v9, v17 :: v_dual_fmac_f32 v35, v203, v130
	v_dual_mul_f32 v17, v213, v141 :: v_dual_fma_f32 v21, v202, v130, -v21
	v_dual_add_f32 v7, v7, v33 :: v_dual_add_f32 v9, v9, v19
	v_dual_mul_f32 v39, v206, v135 :: v_dual_mul_f32 v41, v208, v137
	v_dual_fmac_f32 v37, v205, v132 :: v_dual_fma_f32 v19, v204, v132, -v23
	s_delay_alu instid0(VALU_DEP_3) | instskip(SKIP_1) | instid1(VALU_DEP_3)
	v_dual_add_f32 v7, v7, v35 :: v_dual_add_f32 v9, v9, v21
	s_wait_loadcnt 0x4
	v_dual_mov_b32 v104, v145 :: v_dual_fmac_f32 v39, v207, v134
	s_delay_alu instid0(VALU_DEP_2) | instskip(NEXT) | instid1(VALU_DEP_3)
	v_dual_fma_f32 v11, v206, v134, -v11 :: v_dual_add_f32 v7, v7, v37
	v_dual_add_f32 v9, v9, v19 :: v_dual_fma_f32 v13, v208, v136, -v13
	v_dual_mul_f32 v225, v210, v139 :: v_dual_mul_f32 v227, v212, v141
	s_delay_alu instid0(VALU_DEP_3) | instskip(NEXT) | instid1(VALU_DEP_2)
	v_dual_fmac_f32 v41, v209, v136 :: v_dual_add_f32 v7, v7, v39
	v_dual_add_f32 v9, v9, v11 :: v_dual_fmac_f32 v225, v211, v138
	v_pk_mul_f32 v[102:103], v[158:159], v[142:143] op_sel:[1,1] op_sel_hi:[0,1]
	s_wait_loadcnt 0x3
	v_dual_mov_b32 v108, v149 :: v_dual_fma_f32 v224, v210, v138, -v15
	v_dual_add_f32 v111, v7, v41 :: v_dual_fmac_f32 v227, v213, v140
	v_dual_add_f32 v110, v9, v13 :: v_dual_fma_f32 v226, v212, v140, -v17
	v_pk_fma_f32 v[112:113], v[158:159], v[142:143], v[102:103] op_sel_hi:[1,0,1]
	v_pk_mul_f32 v[104:105], v[216:217], v[104:105] op_sel_hi:[1,0]
	v_pk_fma_f32 v[102:103], v[158:159], v[142:143], v[102:103] neg_lo:[0,0,1] neg_hi:[0,0,1]
	s_delay_alu instid0(VALU_DEP_4)
	v_pk_add_f32 v[110:111], v[110:111], v[224:225]
	v_pk_mul_f32 v[106:107], v[162:163], v[146:147] op_sel:[1,1] op_sel_hi:[0,1]
	v_mov_b32_e32 v103, v113
	v_pk_fma_f32 v[112:113], v[160:161], v[144:145], v[104:105] op_sel_hi:[1,0,1]
	v_pk_fma_f32 v[104:105], v[160:161], v[144:145], v[104:105] neg_lo:[0,0,1] neg_hi:[0,0,1]
	v_pk_add_f32 v[110:111], v[110:111], v[226:227]
	v_pk_fma_f32 v[116:117], v[162:163], v[146:147], v[106:107] op_sel_hi:[1,0,1]
	v_pk_mul_f32 v[108:109], v[218:219], v[108:109] op_sel_hi:[1,0]
	v_mov_b32_e32 v105, v113
	s_wait_loadcnt 0x2
	v_pk_mul_f32 v[114:115], v[166:167], v[150:151] op_sel:[1,1] op_sel_hi:[0,1]
	v_pk_add_f32 v[102:103], v[110:111], v[102:103]
	v_mov_b32_e32 v110, v153
	v_pk_fma_f32 v[106:107], v[162:163], v[146:147], v[106:107] neg_lo:[0,0,1] neg_hi:[0,0,1]
	v_mov_b32_e32 v107, v117
	v_pk_fma_f32 v[112:113], v[164:165], v[148:149], v[108:109] op_sel_hi:[1,0,1]
	v_pk_add_f32 v[102:103], v[102:103], v[104:105]
	v_pk_fma_f32 v[104:105], v[166:167], v[150:151], v[114:115] op_sel_hi:[1,0,1]
	v_pk_mul_f32 v[110:111], v[220:221], v[110:111] op_sel_hi:[1,0]
	v_pk_fma_f32 v[108:109], v[164:165], v[148:149], v[108:109] neg_lo:[0,0,1] neg_hi:[0,0,1]
	v_mov_b32_e32 v109, v113
	v_pk_add_f32 v[102:103], v[102:103], v[106:107]
	v_pk_fma_f32 v[112:113], v[166:167], v[150:151], v[114:115] neg_lo:[0,0,1] neg_hi:[0,0,1]
	v_mov_b32_e32 v113, v105
	v_pk_fma_f32 v[104:105], v[168:169], v[152:153], v[110:111] op_sel_hi:[1,0,1]
	s_wait_loadcnt 0x1
	v_pk_mul_f32 v[106:107], v[170:171], v[154:155] op_sel:[1,1] op_sel_hi:[0,1]
	v_pk_add_f32 v[102:103], v[102:103], v[108:109]
	v_mov_b32_e32 v104, v157
	v_pk_fma_f32 v[110:111], v[168:169], v[152:153], v[110:111] neg_lo:[0,0,1] neg_hi:[0,0,1]
	v_mov_b32_e32 v111, v105
	v_pk_fma_f32 v[108:109], v[170:171], v[154:155], v[106:107] op_sel_hi:[1,0,1]
	v_pk_add_f32 v[102:103], v[102:103], v[112:113]
	v_pk_mul_f32 v[104:105], v[222:223], v[104:105] op_sel_hi:[1,0]
	v_pk_fma_f32 v[106:107], v[170:171], v[154:155], v[106:107] neg_lo:[0,0,1] neg_hi:[0,0,1]
	s_delay_alu instid0(VALU_DEP_4) | instskip(NEXT) | instid1(VALU_DEP_4)
	v_mov_b32_e32 v107, v109
	v_pk_add_f32 v[102:103], v[102:103], v[110:111]
	s_delay_alu instid0(VALU_DEP_4) | instskip(SKIP_1) | instid1(VALU_DEP_2)
	v_pk_fma_f32 v[108:109], v[172:173], v[156:157], v[104:105] op_sel_hi:[1,0,1]
	v_pk_fma_f32 v[104:105], v[172:173], v[156:157], v[104:105] neg_lo:[0,0,1] neg_hi:[0,0,1]
	v_mov_b32_e32 v105, v109
	s_delay_alu instid0(VALU_DEP_4) | instskip(NEXT) | instid1(VALU_DEP_1)
	v_pk_add_f32 v[102:103], v[102:103], v[106:107]
	v_pk_add_f32 v[102:103], v[102:103], v[104:105]
	s_wait_loadcnt 0x0
	s_delay_alu instid0(VALU_DEP_1)
	v_pk_add_f32 v[102:103], v[214:215], v[102:103] neg_lo:[0,1] neg_hi:[0,1]
	scratch_store_b64 off, v[102:103], off offset:168
	s_wait_xcnt 0x0
	v_cmpx_lt_u32_e32 20, v0
	s_cbranch_execz .LBB113_273
; %bb.272:
	scratch_load_b64 v[102:103], off, off offset:160
	v_mov_b64_e32 v[104:105], 0
	scratch_store_b64 off, v[104:105], off offset:160
	s_wait_loadcnt 0x0
	ds_store_b64 v1, v[102:103]
.LBB113_273:
	s_wait_xcnt 0x0
	s_or_b32 exec_lo, exec_lo, s0
	s_wait_storecnt_dscnt 0x0
	s_barrier_signal -1
	s_barrier_wait -1
	s_clause 0xf
	scratch_load_b128 v[102:105], off, off offset:168
	scratch_load_b128 v[106:109], off, off offset:184
	;; [unrolled: 1-line block ×14, first 2 shown]
	scratch_load_b64 v[214:215], off, off offset:392
	scratch_load_b64 v[216:217], off, off offset:160
	v_mov_b32_e32 v7, 0
	ds_load_2addr_b64 v[158:161], v7 offset0:91 offset1:92
	ds_load_2addr_b64 v[162:165], v7 offset0:93 offset1:94
	;; [unrolled: 1-line block ×14, first 2 shown]
	ds_load_b64 v[218:219], v7 offset:792
	s_mov_b32 s0, exec_lo
	s_wait_dscnt 0xe
	v_dual_mov_b32 v220, v161 :: v_dual_mov_b32 v221, v160
	s_wait_dscnt 0xb
	v_dual_mov_b32 v222, v165 :: v_dual_mov_b32 v227, v172
	v_dual_mov_b32 v223, v164 :: v_dual_mov_b32 v224, v169
	;; [unrolled: 1-line block ×3, first 2 shown]
	s_wait_loadcnt_dscnt 0xf0a
	v_dual_mul_f32 v9, v174, v103 :: v_dual_mul_f32 v47, v175, v103
	v_dual_mul_f32 v49, v177, v105 :: v_dual_mul_f32 v11, v176, v105
	s_wait_loadcnt_dscnt 0xe09
	v_mul_f32_e32 v13, v178, v107
	s_wait_loadcnt_dscnt 0xc07
	v_dual_mul_f32 v59, v187, v115 :: v_dual_fma_f32 v47, v174, v102, -v47
	v_dual_fmac_f32 v9, v175, v102 :: v_dual_mul_f32 v61, v189, v117
	v_dual_mul_f32 v51, v179, v107 :: v_dual_mul_f32 v53, v181, v109
	v_dual_fmac_f32 v11, v177, v104 :: v_dual_fma_f32 v49, v176, v104, -v49
	s_delay_alu instid0(VALU_DEP_3) | instskip(SKIP_3) | instid1(VALU_DEP_3)
	v_dual_add_f32 v9, 0, v9 :: v_dual_add_f32 v47, 0, v47
	v_dual_mul_f32 v15, v180, v109 :: v_dual_mul_f32 v17, v182, v111
	s_wait_loadcnt_dscnt 0xb06
	v_dual_mul_f32 v63, v191, v119 :: v_dual_fma_f32 v51, v178, v106, -v51
	v_dual_fmac_f32 v13, v179, v106 :: v_dual_add_f32 v9, v9, v11
	s_delay_alu instid0(VALU_DEP_3) | instskip(SKIP_2) | instid1(VALU_DEP_3)
	v_dual_add_f32 v11, v47, v49 :: v_dual_fmac_f32 v15, v181, v108
	v_dual_mul_f32 v55, v183, v111 :: v_dual_mul_f32 v57, v185, v113
	v_dual_mul_f32 v47, v193, v121 :: v_dual_fma_f32 v49, v180, v108, -v53
	v_dual_add_f32 v9, v9, v13 :: v_dual_add_f32 v11, v11, v51
	v_dual_mul_f32 v19, v184, v113 :: v_dual_mul_f32 v21, v186, v115
	s_wait_loadcnt_dscnt 0xa05
	v_dual_mul_f32 v13, v195, v123 :: v_dual_fma_f32 v51, v182, v110, -v55
	s_delay_alu instid0(VALU_DEP_3) | instskip(NEXT) | instid1(VALU_DEP_3)
	v_dual_fmac_f32 v17, v183, v110 :: v_dual_add_f32 v9, v9, v15
	v_dual_add_f32 v11, v11, v49 :: v_dual_fmac_f32 v19, v185, v112
	v_dual_mul_f32 v15, v197, v125 :: v_dual_fma_f32 v49, v184, v112, -v57
	s_delay_alu instid0(VALU_DEP_2) | instskip(SKIP_3) | instid1(VALU_DEP_3)
	v_dual_add_f32 v9, v9, v17 :: v_dual_add_f32 v11, v11, v51
	v_dual_mul_f32 v23, v188, v117 :: v_dual_mul_f32 v25, v190, v119
	s_wait_loadcnt_dscnt 0x904
	v_dual_mul_f32 v17, v199, v127 :: v_dual_fma_f32 v51, v186, v114, -v59
	v_dual_fmac_f32 v21, v187, v114 :: v_dual_add_f32 v9, v9, v19
	s_delay_alu instid0(VALU_DEP_3) | instskip(SKIP_1) | instid1(VALU_DEP_2)
	v_dual_add_f32 v11, v11, v49 :: v_dual_fmac_f32 v23, v189, v116
	v_dual_mul_f32 v19, v201, v129 :: v_dual_fma_f32 v49, v188, v116, -v61
	v_dual_add_f32 v9, v9, v21 :: v_dual_add_f32 v11, v11, v51
	v_dual_mul_f32 v27, v192, v121 :: v_dual_mul_f32 v29, v194, v123
	s_wait_loadcnt_dscnt 0x803
	v_dual_mul_f32 v21, v203, v131 :: v_dual_fma_f32 v51, v190, v118, -v63
	s_delay_alu instid0(VALU_DEP_3) | instskip(NEXT) | instid1(VALU_DEP_3)
	v_dual_fmac_f32 v25, v191, v118 :: v_dual_add_f32 v9, v9, v23
	v_dual_add_f32 v11, v11, v49 :: v_dual_fmac_f32 v27, v193, v120
	v_dual_mul_f32 v23, v205, v133 :: v_dual_fma_f32 v47, v192, v120, -v47
	s_delay_alu instid0(VALU_DEP_2) | instskip(SKIP_3) | instid1(VALU_DEP_3)
	v_dual_add_f32 v9, v9, v25 :: v_dual_add_f32 v11, v11, v51
	v_dual_mul_f32 v31, v196, v125 :: v_dual_mul_f32 v33, v198, v127
	s_wait_loadcnt_dscnt 0x702
	v_dual_mul_f32 v25, v207, v135 :: v_dual_fma_f32 v13, v194, v122, -v13
	v_dual_fmac_f32 v29, v195, v122 :: v_dual_add_f32 v9, v9, v27
	v_dual_add_f32 v11, v11, v47 :: v_dual_mul_f32 v27, v209, v137
	v_fmac_f32_e32 v31, v197, v124
	s_delay_alu instid0(VALU_DEP_3) | instskip(NEXT) | instid1(VALU_DEP_3)
	v_dual_fma_f32 v15, v196, v124, -v15 :: v_dual_add_f32 v9, v9, v29
	v_add_f32_e32 v11, v11, v13
	v_dual_mul_f32 v35, v200, v129 :: v_dual_mul_f32 v37, v202, v131
	s_wait_loadcnt_dscnt 0x601
	v_dual_mul_f32 v13, v211, v139 :: v_dual_fma_f32 v17, v198, v126, -v17
	v_dual_fmac_f32 v33, v199, v126 :: v_dual_add_f32 v9, v9, v31
	v_dual_add_f32 v11, v11, v15 :: v_dual_mul_f32 v15, v213, v141
	v_fmac_f32_e32 v35, v201, v128
	s_delay_alu instid0(VALU_DEP_3) | instskip(NEXT) | instid1(VALU_DEP_3)
	v_dual_fma_f32 v19, v200, v128, -v19 :: v_dual_add_f32 v9, v9, v33
	v_add_f32_e32 v11, v11, v17
	v_dual_mul_f32 v39, v204, v133 :: v_dual_mul_f32 v41, v206, v135
	s_wait_loadcnt 0x5
	v_dual_mul_f32 v17, v159, v143 :: v_dual_fma_f32 v21, v202, v130, -v21
	v_dual_fmac_f32 v37, v203, v130 :: v_dual_add_f32 v9, v9, v35
	v_dual_add_f32 v11, v11, v19 :: v_dual_mov_b32 v102, v145
	v_fmac_f32_e32 v39, v205, v132
	s_delay_alu instid0(VALU_DEP_3) | instskip(NEXT) | instid1(VALU_DEP_3)
	v_dual_fma_f32 v19, v204, v132, -v23 :: v_dual_add_f32 v9, v9, v37
	v_add_f32_e32 v11, v11, v21
	v_dual_mul_f32 v43, v208, v137 :: v_dual_mul_f32 v45, v210, v139
	s_delay_alu instid0(VALU_DEP_3) | instskip(NEXT) | instid1(VALU_DEP_3)
	v_dual_fmac_f32 v41, v207, v134 :: v_dual_add_f32 v9, v9, v39
	v_dual_fma_f32 v21, v206, v134, -v25 :: v_dual_add_f32 v11, v11, v19
	s_wait_loadcnt 0x4
	v_dual_mov_b32 v106, v149 :: v_dual_fma_f32 v19, v208, v136, -v27
	v_fmac_f32_e32 v43, v209, v136
	v_dual_add_f32 v9, v9, v41 :: v_dual_fmac_f32 v45, v211, v138
	v_add_f32_e32 v11, v11, v21
	v_dual_mul_f32 v229, v212, v141 :: v_dual_mul_f32 v231, v158, v143
	s_delay_alu instid0(VALU_DEP_3) | instskip(NEXT) | instid1(VALU_DEP_2)
	v_dual_fma_f32 v13, v210, v138, -v13 :: v_dual_add_f32 v9, v9, v43
	v_dual_add_f32 v11, v11, v19 :: v_dual_fmac_f32 v229, v213, v140
	v_fma_f32 v228, v212, v140, -v15
	v_pk_mul_f32 v[102:103], v[220:221], v[102:103] op_sel_hi:[1,0]
	s_delay_alu instid0(VALU_DEP_4)
	v_add_f32_e32 v111, v9, v45
	s_wait_loadcnt 0x3
	v_dual_add_f32 v110, v11, v13 :: v_dual_mov_b32 v112, v153
	v_pk_mul_f32 v[104:105], v[162:163], v[146:147] op_sel:[1,1] op_sel_hi:[0,1]
	v_dual_fmac_f32 v231, v159, v142 :: v_dual_fma_f32 v230, v158, v142, -v17
	v_pk_fma_f32 v[114:115], v[160:161], v[144:145], v[102:103] op_sel_hi:[1,0,1]
	s_delay_alu instid0(VALU_DEP_4)
	v_pk_add_f32 v[110:111], v[110:111], v[228:229]
	v_pk_fma_f32 v[102:103], v[160:161], v[144:145], v[102:103] neg_lo:[0,0,1] neg_hi:[0,0,1]
	v_pk_fma_f32 v[116:117], v[162:163], v[146:147], v[104:105] op_sel_hi:[1,0,1]
	v_pk_mul_f32 v[106:107], v[222:223], v[106:107] op_sel_hi:[1,0]
	v_mov_b32_e32 v103, v115
	v_pk_add_f32 v[110:111], v[110:111], v[230:231]
	v_pk_fma_f32 v[104:105], v[162:163], v[146:147], v[104:105] neg_lo:[0,0,1] neg_hi:[0,0,1]
	v_pk_mul_f32 v[108:109], v[166:167], v[150:151] op_sel:[1,1] op_sel_hi:[0,1]
	v_mov_b32_e32 v105, v117
	v_pk_fma_f32 v[116:117], v[164:165], v[148:149], v[106:107] op_sel_hi:[1,0,1]
	v_pk_add_f32 v[102:103], v[110:111], v[102:103]
	v_pk_fma_f32 v[106:107], v[164:165], v[148:149], v[106:107] neg_lo:[0,0,1] neg_hi:[0,0,1]
	v_pk_fma_f32 v[110:111], v[166:167], v[150:151], v[108:109] op_sel_hi:[1,0,1]
	v_pk_mul_f32 v[112:113], v[224:225], v[112:113] op_sel_hi:[1,0]
	v_mov_b32_e32 v107, v117
	v_pk_add_f32 v[102:103], v[102:103], v[104:105]
	v_pk_fma_f32 v[108:109], v[166:167], v[150:151], v[108:109] neg_lo:[0,0,1] neg_hi:[0,0,1]
	s_wait_loadcnt 0x2
	v_pk_mul_f32 v[114:115], v[170:171], v[154:155] op_sel:[1,1] op_sel_hi:[0,1]
	v_dual_mov_b32 v104, v157 :: v_dual_mov_b32 v109, v111
	v_pk_fma_f32 v[110:111], v[168:169], v[152:153], v[112:113] op_sel_hi:[1,0,1]
	v_pk_add_f32 v[102:103], v[102:103], v[106:107]
	v_pk_fma_f32 v[112:113], v[168:169], v[152:153], v[112:113] neg_lo:[0,0,1] neg_hi:[0,0,1]
	v_pk_fma_f32 v[106:107], v[170:171], v[154:155], v[114:115] op_sel_hi:[1,0,1]
	v_pk_mul_f32 v[104:105], v[226:227], v[104:105] op_sel_hi:[1,0]
	v_mov_b32_e32 v113, v111
	v_pk_add_f32 v[102:103], v[102:103], v[108:109]
	v_pk_fma_f32 v[108:109], v[170:171], v[154:155], v[114:115] neg_lo:[0,0,1] neg_hi:[0,0,1]
	v_mov_b32_e32 v109, v107
	v_pk_fma_f32 v[106:107], v[172:173], v[156:157], v[104:105] op_sel_hi:[1,0,1]
	s_wait_loadcnt_dscnt 0x100
	v_pk_mul_f32 v[110:111], v[218:219], v[214:215] op_sel:[1,1] op_sel_hi:[0,1]
	v_pk_add_f32 v[102:103], v[102:103], v[112:113]
	v_pk_fma_f32 v[104:105], v[172:173], v[156:157], v[104:105] neg_lo:[0,0,1] neg_hi:[0,0,1]
	v_mov_b32_e32 v105, v107
	s_delay_alu instid0(VALU_DEP_4) | instskip(NEXT) | instid1(VALU_DEP_4)
	v_pk_fma_f32 v[106:107], v[218:219], v[214:215], v[110:111] op_sel_hi:[1,0,1]
	v_pk_add_f32 v[102:103], v[102:103], v[108:109]
	v_pk_fma_f32 v[108:109], v[218:219], v[214:215], v[110:111] neg_lo:[0,0,1] neg_hi:[0,0,1]
	s_delay_alu instid0(VALU_DEP_3) | instskip(NEXT) | instid1(VALU_DEP_3)
	v_mov_b32_e32 v109, v107
	v_pk_add_f32 v[102:103], v[102:103], v[104:105]
	s_delay_alu instid0(VALU_DEP_1) | instskip(SKIP_1) | instid1(VALU_DEP_1)
	v_pk_add_f32 v[102:103], v[102:103], v[108:109]
	s_wait_loadcnt 0x0
	v_pk_add_f32 v[102:103], v[216:217], v[102:103] neg_lo:[0,1] neg_hi:[0,1]
	scratch_store_b64 off, v[102:103], off offset:160
	s_wait_xcnt 0x0
	v_cmpx_lt_u32_e32 19, v0
	s_cbranch_execz .LBB113_275
; %bb.274:
	scratch_load_b64 v[102:103], off, off offset:152
	v_mov_b64_e32 v[104:105], 0
	scratch_store_b64 off, v[104:105], off offset:152
	s_wait_loadcnt 0x0
	ds_store_b64 v1, v[102:103]
.LBB113_275:
	s_wait_xcnt 0x0
	s_or_b32 exec_lo, exec_lo, s0
	s_wait_storecnt_dscnt 0x0
	s_barrier_signal -1
	s_barrier_wait -1
	s_clause 0xf
	scratch_load_b128 v[102:105], off, off offset:160
	scratch_load_b128 v[106:109], off, off offset:176
	;; [unrolled: 1-line block ×15, first 2 shown]
	scratch_load_b64 v[222:223], off, off offset:152
	ds_load_b128 v[162:165], v7 offset:736
	ds_load_b128 v[166:169], v7 offset:752
	;; [unrolled: 1-line block ×15, first 2 shown]
	s_mov_b32 s0, exec_lo
	s_wait_dscnt 0xe
	v_dual_mov_b32 v224, v165 :: v_dual_mov_b32 v225, v164
	s_wait_dscnt 0xd
	v_dual_mov_b32 v226, v169 :: v_dual_mov_b32 v227, v168
	;; [unrolled: 2-line block ×4, first 2 shown]
	s_wait_loadcnt_dscnt 0xf0a
	v_dual_mul_f32 v7, v178, v103 :: v_dual_mul_f32 v9, v180, v105
	v_dual_mul_f32 v47, v179, v103 :: v_dual_mul_f32 v49, v181, v105
	s_wait_loadcnt_dscnt 0xe09
	v_dual_mul_f32 v11, v182, v107 :: v_dual_mul_f32 v13, v184, v109
	s_delay_alu instid0(VALU_DEP_3) | instskip(SKIP_3) | instid1(VALU_DEP_3)
	v_dual_fmac_f32 v7, v179, v102 :: v_dual_fmac_f32 v9, v181, v104
	s_wait_loadcnt_dscnt 0xc06
	v_dual_fma_f32 v47, v178, v102, -v47 :: v_dual_mul_f32 v59, v195, v115
	v_dual_mul_f32 v51, v183, v107 :: v_dual_mul_f32 v53, v185, v109
	v_dual_fma_f32 v49, v180, v104, -v49 :: v_dual_add_f32 v7, 0, v7
	s_delay_alu instid0(VALU_DEP_3) | instskip(SKIP_1) | instid1(VALU_DEP_3)
	v_dual_add_f32 v47, 0, v47 :: v_dual_mul_f32 v61, v197, v117
	v_dual_fmac_f32 v11, v183, v106 :: v_dual_fmac_f32 v13, v185, v108
	v_dual_fma_f32 v51, v182, v106, -v51 :: v_dual_add_f32 v7, v7, v9
	s_delay_alu instid0(VALU_DEP_3) | instskip(SKIP_2) | instid1(VALU_DEP_4)
	v_dual_add_f32 v9, v47, v49 :: v_dual_fma_f32 v49, v184, v108, -v53
	v_dual_mul_f32 v15, v190, v111 :: v_dual_mul_f32 v17, v192, v113
	v_dual_mul_f32 v55, v191, v111 :: v_dual_mul_f32 v57, v193, v113
	v_add_f32_e32 v7, v7, v11
	s_delay_alu instid0(VALU_DEP_3) | instskip(NEXT) | instid1(VALU_DEP_3)
	v_dual_add_f32 v9, v9, v51 :: v_dual_fmac_f32 v15, v191, v110
	v_fma_f32 v51, v190, v110, -v55
	v_dual_mul_f32 v19, v194, v115 :: v_dual_mul_f32 v21, v196, v117
	s_delay_alu instid0(VALU_DEP_4) | instskip(SKIP_2) | instid1(VALU_DEP_2)
	v_dual_add_f32 v7, v7, v13 :: v_dual_fmac_f32 v17, v193, v112
	s_wait_loadcnt_dscnt 0xa04
	v_dual_add_f32 v9, v9, v49 :: v_dual_mul_f32 v13, v203, v123
	v_dual_fma_f32 v49, v192, v112, -v57 :: v_dual_add_f32 v7, v7, v15
	v_mul_f32_e32 v15, v205, v125
	s_delay_alu instid0(VALU_DEP_3) | instskip(NEXT) | instid1(VALU_DEP_3)
	v_dual_add_f32 v9, v9, v51 :: v_dual_fmac_f32 v19, v195, v114
	v_dual_fma_f32 v51, v194, v114, -v59 :: v_dual_add_f32 v7, v7, v17
	v_fmac_f32_e32 v21, v197, v116
	s_wait_loadcnt_dscnt 0x903
	s_delay_alu instid0(VALU_DEP_3) | instskip(SKIP_3) | instid1(VALU_DEP_3)
	v_dual_add_f32 v9, v9, v49 :: v_dual_mul_f32 v17, v207, v127
	v_dual_mul_f32 v23, v198, v119 :: v_dual_mul_f32 v25, v200, v121
	v_dual_mul_f32 v47, v199, v119 :: v_dual_mul_f32 v11, v201, v121
	v_dual_fma_f32 v49, v196, v116, -v61 :: v_dual_add_f32 v7, v7, v19
	v_dual_add_f32 v9, v9, v51 :: v_dual_fmac_f32 v23, v199, v118
	s_delay_alu instid0(VALU_DEP_3) | instskip(NEXT) | instid1(VALU_DEP_3)
	v_dual_mul_f32 v19, v209, v129 :: v_dual_fma_f32 v47, v198, v118, -v47
	v_dual_add_f32 v7, v7, v21 :: v_dual_fmac_f32 v25, v201, v120
	s_wait_loadcnt_dscnt 0x802
	s_delay_alu instid0(VALU_DEP_3) | instskip(SKIP_1) | instid1(VALU_DEP_3)
	v_dual_add_f32 v9, v9, v49 :: v_dual_mul_f32 v21, v211, v131
	v_dual_mul_f32 v27, v202, v123 :: v_dual_mul_f32 v29, v204, v125
	v_dual_fma_f32 v11, v200, v120, -v11 :: v_dual_add_f32 v7, v7, v23
	s_delay_alu instid0(VALU_DEP_2) | instskip(SKIP_1) | instid1(VALU_DEP_2)
	v_dual_add_f32 v9, v9, v47 :: v_dual_fmac_f32 v27, v203, v122
	v_dual_mul_f32 v23, v213, v133 :: v_dual_fma_f32 v13, v202, v122, -v13
	v_dual_add_f32 v7, v7, v25 :: v_dual_add_f32 v9, v9, v11
	v_dual_mul_f32 v31, v206, v127 :: v_dual_mul_f32 v33, v208, v129
	s_wait_loadcnt_dscnt 0x701
	v_dual_mul_f32 v11, v215, v135 :: v_dual_fmac_f32 v29, v205, v124
	s_delay_alu instid0(VALU_DEP_3) | instskip(NEXT) | instid1(VALU_DEP_3)
	v_dual_fma_f32 v15, v204, v124, -v15 :: v_dual_add_f32 v7, v7, v27
	v_dual_add_f32 v9, v9, v13 :: v_dual_fmac_f32 v31, v207, v126
	v_dual_mul_f32 v13, v217, v137 :: v_dual_fma_f32 v17, v206, v126, -v17
	s_delay_alu instid0(VALU_DEP_2) | instskip(SKIP_3) | instid1(VALU_DEP_3)
	v_dual_add_f32 v7, v7, v29 :: v_dual_add_f32 v9, v9, v15
	v_dual_mul_f32 v35, v210, v131 :: v_dual_mul_f32 v37, v212, v133
	s_wait_loadcnt_dscnt 0x600
	v_dual_mul_f32 v15, v219, v139 :: v_dual_fmac_f32 v33, v209, v128
	v_dual_fma_f32 v19, v208, v128, -v19 :: v_dual_add_f32 v7, v7, v31
	s_delay_alu instid0(VALU_DEP_3) | instskip(SKIP_1) | instid1(VALU_DEP_2)
	v_dual_add_f32 v9, v9, v17 :: v_dual_fmac_f32 v35, v211, v130
	v_dual_mul_f32 v17, v221, v141 :: v_dual_fma_f32 v21, v210, v130, -v21
	v_dual_add_f32 v7, v7, v33 :: v_dual_add_f32 v9, v9, v19
	v_dual_mul_f32 v39, v214, v135 :: v_dual_mul_f32 v41, v216, v137
	s_wait_loadcnt 0x5
	v_dual_mul_f32 v19, v187, v143 :: v_dual_fmac_f32 v37, v213, v132
	s_delay_alu instid0(VALU_DEP_3) | instskip(NEXT) | instid1(VALU_DEP_3)
	v_dual_fma_f32 v23, v212, v132, -v23 :: v_dual_add_f32 v7, v7, v35
	v_dual_add_f32 v9, v9, v21 :: v_dual_fmac_f32 v39, v215, v134
	v_dual_mul_f32 v21, v189, v145 :: v_dual_fma_f32 v11, v214, v134, -v11
	s_delay_alu instid0(VALU_DEP_2) | instskip(SKIP_1) | instid1(VALU_DEP_2)
	v_dual_add_f32 v7, v7, v37 :: v_dual_add_f32 v9, v9, v23
	v_dual_mul_f32 v43, v218, v139 :: v_dual_mul_f32 v45, v220, v141
	v_dual_fmac_f32 v41, v217, v136 :: v_dual_add_f32 v7, v7, v39
	s_delay_alu instid0(VALU_DEP_3) | instskip(SKIP_1) | instid1(VALU_DEP_3)
	v_dual_fma_f32 v13, v216, v136, -v13 :: v_dual_add_f32 v9, v9, v11
	s_wait_loadcnt 0x4
	v_dual_mov_b32 v104, v149 :: v_dual_fmac_f32 v43, v219, v138
	s_delay_alu instid0(VALU_DEP_3) | instskip(NEXT) | instid1(VALU_DEP_3)
	v_dual_fma_f32 v11, v218, v138, -v15 :: v_dual_add_f32 v7, v7, v41
	v_dual_add_f32 v9, v9, v13 :: v_dual_fma_f32 v13, v220, v140, -v17
	v_dual_mul_f32 v233, v186, v143 :: v_dual_mul_f32 v235, v188, v145
	s_delay_alu instid0(VALU_DEP_3) | instskip(NEXT) | instid1(VALU_DEP_2)
	v_dual_fmac_f32 v45, v221, v140 :: v_dual_add_f32 v7, v7, v43
	v_dual_add_f32 v9, v9, v11 :: v_dual_fmac_f32 v233, v187, v142
	v_pk_mul_f32 v[102:103], v[162:163], v[146:147] op_sel:[1,1] op_sel_hi:[0,1]
	s_wait_loadcnt 0x3
	v_dual_mov_b32 v108, v153 :: v_dual_fma_f32 v232, v186, v142, -v19
	v_dual_add_f32 v111, v7, v45 :: v_dual_fmac_f32 v235, v189, v144
	v_dual_add_f32 v110, v9, v13 :: v_dual_fma_f32 v234, v188, v144, -v21
	v_pk_fma_f32 v[112:113], v[162:163], v[146:147], v[102:103] op_sel_hi:[1,0,1]
	v_pk_mul_f32 v[104:105], v[224:225], v[104:105] op_sel_hi:[1,0]
	v_pk_fma_f32 v[102:103], v[162:163], v[146:147], v[102:103] neg_lo:[0,0,1] neg_hi:[0,0,1]
	s_delay_alu instid0(VALU_DEP_4)
	v_pk_add_f32 v[110:111], v[110:111], v[232:233]
	v_pk_mul_f32 v[106:107], v[166:167], v[150:151] op_sel:[1,1] op_sel_hi:[0,1]
	v_mov_b32_e32 v103, v113
	v_pk_fma_f32 v[112:113], v[164:165], v[148:149], v[104:105] op_sel_hi:[1,0,1]
	v_pk_fma_f32 v[104:105], v[164:165], v[148:149], v[104:105] neg_lo:[0,0,1] neg_hi:[0,0,1]
	v_pk_add_f32 v[110:111], v[110:111], v[234:235]
	v_pk_fma_f32 v[116:117], v[166:167], v[150:151], v[106:107] op_sel_hi:[1,0,1]
	v_pk_mul_f32 v[108:109], v[226:227], v[108:109] op_sel_hi:[1,0]
	v_mov_b32_e32 v105, v113
	s_wait_loadcnt 0x2
	v_pk_mul_f32 v[114:115], v[170:171], v[154:155] op_sel:[1,1] op_sel_hi:[0,1]
	v_pk_add_f32 v[102:103], v[110:111], v[102:103]
	v_mov_b32_e32 v110, v157
	v_pk_fma_f32 v[106:107], v[166:167], v[150:151], v[106:107] neg_lo:[0,0,1] neg_hi:[0,0,1]
	v_mov_b32_e32 v107, v117
	v_pk_fma_f32 v[112:113], v[168:169], v[152:153], v[108:109] op_sel_hi:[1,0,1]
	v_pk_add_f32 v[102:103], v[102:103], v[104:105]
	v_pk_fma_f32 v[104:105], v[170:171], v[154:155], v[114:115] op_sel_hi:[1,0,1]
	v_pk_mul_f32 v[110:111], v[228:229], v[110:111] op_sel_hi:[1,0]
	v_pk_fma_f32 v[108:109], v[168:169], v[152:153], v[108:109] neg_lo:[0,0,1] neg_hi:[0,0,1]
	v_mov_b32_e32 v109, v113
	v_pk_add_f32 v[102:103], v[102:103], v[106:107]
	v_pk_fma_f32 v[112:113], v[170:171], v[154:155], v[114:115] neg_lo:[0,0,1] neg_hi:[0,0,1]
	v_mov_b32_e32 v113, v105
	v_pk_fma_f32 v[104:105], v[172:173], v[156:157], v[110:111] op_sel_hi:[1,0,1]
	s_wait_loadcnt 0x1
	v_pk_mul_f32 v[106:107], v[174:175], v[158:159] op_sel:[1,1] op_sel_hi:[0,1]
	v_pk_add_f32 v[102:103], v[102:103], v[108:109]
	v_mov_b32_e32 v104, v161
	v_pk_fma_f32 v[110:111], v[172:173], v[156:157], v[110:111] neg_lo:[0,0,1] neg_hi:[0,0,1]
	v_mov_b32_e32 v111, v105
	v_pk_fma_f32 v[108:109], v[174:175], v[158:159], v[106:107] op_sel_hi:[1,0,1]
	v_pk_add_f32 v[102:103], v[102:103], v[112:113]
	v_pk_mul_f32 v[104:105], v[230:231], v[104:105] op_sel_hi:[1,0]
	v_pk_fma_f32 v[106:107], v[174:175], v[158:159], v[106:107] neg_lo:[0,0,1] neg_hi:[0,0,1]
	s_delay_alu instid0(VALU_DEP_4) | instskip(NEXT) | instid1(VALU_DEP_4)
	v_mov_b32_e32 v107, v109
	v_pk_add_f32 v[102:103], v[102:103], v[110:111]
	s_delay_alu instid0(VALU_DEP_4) | instskip(SKIP_1) | instid1(VALU_DEP_2)
	v_pk_fma_f32 v[108:109], v[176:177], v[160:161], v[104:105] op_sel_hi:[1,0,1]
	v_pk_fma_f32 v[104:105], v[176:177], v[160:161], v[104:105] neg_lo:[0,0,1] neg_hi:[0,0,1]
	v_mov_b32_e32 v105, v109
	s_delay_alu instid0(VALU_DEP_4) | instskip(NEXT) | instid1(VALU_DEP_1)
	v_pk_add_f32 v[102:103], v[102:103], v[106:107]
	v_pk_add_f32 v[102:103], v[102:103], v[104:105]
	s_wait_loadcnt 0x0
	s_delay_alu instid0(VALU_DEP_1)
	v_pk_add_f32 v[102:103], v[222:223], v[102:103] neg_lo:[0,1] neg_hi:[0,1]
	scratch_store_b64 off, v[102:103], off offset:152
	s_wait_xcnt 0x0
	v_cmpx_lt_u32_e32 18, v0
	s_cbranch_execz .LBB113_277
; %bb.276:
	scratch_load_b64 v[102:103], off, off offset:144
	v_mov_b64_e32 v[104:105], 0
	scratch_store_b64 off, v[104:105], off offset:144
	s_wait_loadcnt 0x0
	ds_store_b64 v1, v[102:103]
.LBB113_277:
	s_wait_xcnt 0x0
	s_or_b32 exec_lo, exec_lo, s0
	s_wait_storecnt_dscnt 0x0
	s_barrier_signal -1
	s_barrier_wait -1
	s_clause 0x10
	scratch_load_b128 v[102:105], off, off offset:152
	scratch_load_b128 v[106:109], off, off offset:168
	;; [unrolled: 1-line block ×15, first 2 shown]
	scratch_load_b64 v[222:223], off, off offset:392
	scratch_load_b64 v[224:225], off, off offset:144
	v_mov_b32_e32 v7, 0
	ds_load_2addr_b64 v[162:165], v7 offset0:91 offset1:92
	ds_load_2addr_b64 v[166:169], v7 offset0:93 offset1:94
	;; [unrolled: 1-line block ×15, first 2 shown]
	ds_load_b64 v[226:227], v7 offset:792
	s_mov_b32 s0, exec_lo
	s_wait_dscnt 0xf
	v_dual_mov_b32 v228, v165 :: v_dual_mov_b32 v229, v164
	s_wait_dscnt 0xc
	v_dual_mov_b32 v230, v169 :: v_dual_mov_b32 v235, v176
	v_dual_mov_b32 v231, v168 :: v_dual_mov_b32 v232, v173
	;; [unrolled: 1-line block ×3, first 2 shown]
	s_wait_loadcnt_dscnt 0x100b
	v_dual_mul_f32 v9, v178, v103 :: v_dual_mul_f32 v51, v179, v103
	v_dual_mul_f32 v53, v181, v105 :: v_dual_mul_f32 v11, v180, v105
	s_wait_loadcnt_dscnt 0xf09
	v_mul_f32_e32 v13, v186, v107
	s_wait_loadcnt_dscnt 0xd07
	v_dual_mul_f32 v63, v195, v115 :: v_dual_fma_f32 v51, v178, v102, -v51
	v_dual_fmac_f32 v9, v179, v102 :: v_dual_mul_f32 v65, v197, v117
	v_dual_mul_f32 v55, v187, v107 :: v_dual_mul_f32 v57, v189, v109
	v_dual_fmac_f32 v11, v181, v104 :: v_dual_fma_f32 v53, v180, v104, -v53
	s_delay_alu instid0(VALU_DEP_3) | instskip(SKIP_3) | instid1(VALU_DEP_3)
	v_dual_add_f32 v9, 0, v9 :: v_dual_add_f32 v51, 0, v51
	v_dual_mul_f32 v15, v188, v109 :: v_dual_mul_f32 v17, v190, v111
	s_wait_loadcnt_dscnt 0xc06
	v_dual_mul_f32 v67, v199, v119 :: v_dual_fma_f32 v55, v186, v106, -v55
	v_dual_fmac_f32 v13, v187, v106 :: v_dual_add_f32 v9, v9, v11
	s_delay_alu instid0(VALU_DEP_3) | instskip(SKIP_2) | instid1(VALU_DEP_3)
	v_dual_add_f32 v11, v51, v53 :: v_dual_fmac_f32 v15, v189, v108
	v_dual_mul_f32 v59, v191, v111 :: v_dual_mul_f32 v61, v193, v113
	v_dual_mul_f32 v51, v201, v121 :: v_dual_fma_f32 v53, v188, v108, -v57
	v_dual_add_f32 v9, v9, v13 :: v_dual_add_f32 v11, v11, v55
	v_dual_mul_f32 v19, v192, v113 :: v_dual_mul_f32 v21, v194, v115
	s_wait_loadcnt_dscnt 0xb05
	v_dual_mul_f32 v13, v203, v123 :: v_dual_fma_f32 v55, v190, v110, -v59
	s_delay_alu instid0(VALU_DEP_3) | instskip(NEXT) | instid1(VALU_DEP_3)
	v_dual_fmac_f32 v17, v191, v110 :: v_dual_add_f32 v9, v9, v15
	v_dual_add_f32 v11, v11, v53 :: v_dual_fmac_f32 v19, v193, v112
	v_dual_mul_f32 v15, v205, v125 :: v_dual_fma_f32 v53, v192, v112, -v61
	s_delay_alu instid0(VALU_DEP_2) | instskip(SKIP_3) | instid1(VALU_DEP_3)
	v_dual_add_f32 v9, v9, v17 :: v_dual_add_f32 v11, v11, v55
	v_dual_mul_f32 v23, v196, v117 :: v_dual_mul_f32 v25, v198, v119
	s_wait_loadcnt_dscnt 0xa04
	v_dual_mul_f32 v17, v207, v127 :: v_dual_fma_f32 v55, v194, v114, -v63
	v_dual_fmac_f32 v21, v195, v114 :: v_dual_add_f32 v9, v9, v19
	s_delay_alu instid0(VALU_DEP_3) | instskip(SKIP_1) | instid1(VALU_DEP_2)
	v_dual_add_f32 v11, v11, v53 :: v_dual_fmac_f32 v23, v197, v116
	v_dual_mul_f32 v19, v209, v129 :: v_dual_fma_f32 v53, v196, v116, -v65
	v_dual_add_f32 v9, v9, v21 :: v_dual_add_f32 v11, v11, v55
	v_dual_mul_f32 v27, v200, v121 :: v_dual_mul_f32 v29, v202, v123
	s_wait_loadcnt_dscnt 0x903
	v_dual_mul_f32 v21, v211, v131 :: v_dual_fma_f32 v55, v198, v118, -v67
	s_delay_alu instid0(VALU_DEP_3) | instskip(NEXT) | instid1(VALU_DEP_3)
	v_dual_fmac_f32 v25, v199, v118 :: v_dual_add_f32 v9, v9, v23
	v_dual_add_f32 v11, v11, v53 :: v_dual_fmac_f32 v27, v201, v120
	v_dual_mul_f32 v23, v213, v133 :: v_dual_fma_f32 v51, v200, v120, -v51
	s_delay_alu instid0(VALU_DEP_2) | instskip(SKIP_3) | instid1(VALU_DEP_3)
	v_dual_add_f32 v9, v9, v25 :: v_dual_add_f32 v11, v11, v55
	v_dual_mul_f32 v31, v204, v125 :: v_dual_mul_f32 v33, v206, v127
	s_wait_loadcnt_dscnt 0x802
	v_dual_mul_f32 v25, v215, v135 :: v_dual_fma_f32 v13, v202, v122, -v13
	v_dual_fmac_f32 v29, v203, v122 :: v_dual_add_f32 v9, v9, v27
	v_dual_add_f32 v11, v11, v51 :: v_dual_mul_f32 v27, v217, v137
	v_fmac_f32_e32 v31, v205, v124
	s_delay_alu instid0(VALU_DEP_3) | instskip(NEXT) | instid1(VALU_DEP_3)
	v_dual_fma_f32 v15, v204, v124, -v15 :: v_dual_add_f32 v9, v9, v29
	v_add_f32_e32 v11, v11, v13
	v_dual_mul_f32 v35, v208, v129 :: v_dual_mul_f32 v37, v210, v131
	s_wait_loadcnt_dscnt 0x701
	v_dual_mul_f32 v13, v219, v139 :: v_dual_fma_f32 v17, v206, v126, -v17
	v_dual_fmac_f32 v33, v207, v126 :: v_dual_add_f32 v9, v9, v31
	v_dual_add_f32 v11, v11, v15 :: v_dual_mul_f32 v15, v221, v141
	v_fmac_f32_e32 v35, v209, v128
	s_delay_alu instid0(VALU_DEP_3) | instskip(NEXT) | instid1(VALU_DEP_3)
	v_dual_fma_f32 v19, v208, v128, -v19 :: v_dual_add_f32 v9, v9, v33
	v_add_f32_e32 v11, v11, v17
	v_dual_mul_f32 v39, v212, v133 :: v_dual_mul_f32 v41, v214, v135
	s_wait_loadcnt 0x6
	v_dual_mul_f32 v17, v183, v143 :: v_dual_fma_f32 v21, v210, v130, -v21
	v_dual_fmac_f32 v37, v211, v130 :: v_dual_add_f32 v9, v9, v35
	v_dual_add_f32 v11, v11, v19 :: v_dual_mul_f32 v19, v185, v145
	v_fmac_f32_e32 v39, v213, v132
	s_delay_alu instid0(VALU_DEP_3) | instskip(NEXT) | instid1(VALU_DEP_3)
	v_dual_fma_f32 v23, v212, v132, -v23 :: v_dual_add_f32 v9, v9, v37
	v_add_f32_e32 v11, v11, v21
	v_dual_mul_f32 v43, v216, v137 :: v_dual_mul_f32 v45, v218, v139
	s_wait_loadcnt 0x5
	v_dual_mul_f32 v21, v163, v147 :: v_dual_fma_f32 v25, v214, v134, -v25
	v_dual_fmac_f32 v41, v215, v134 :: v_dual_add_f32 v9, v9, v39
	v_dual_add_f32 v11, v11, v23 :: v_dual_mov_b32 v102, v149
	v_fmac_f32_e32 v43, v217, v136
	s_delay_alu instid0(VALU_DEP_3) | instskip(NEXT) | instid1(VALU_DEP_3)
	v_dual_fma_f32 v23, v216, v136, -v27 :: v_dual_add_f32 v9, v9, v41
	v_add_f32_e32 v11, v11, v25
	v_dual_mul_f32 v47, v220, v141 :: v_dual_mul_f32 v49, v182, v143
	s_delay_alu instid0(VALU_DEP_3) | instskip(NEXT) | instid1(VALU_DEP_3)
	v_dual_fmac_f32 v45, v219, v138 :: v_dual_add_f32 v9, v9, v43
	v_dual_fma_f32 v13, v218, v138, -v13 :: v_dual_add_f32 v11, v11, v23
	s_wait_loadcnt 0x4
	v_dual_mov_b32 v106, v153 :: v_dual_fma_f32 v15, v220, v140, -v15
	v_fmac_f32_e32 v47, v221, v140
	v_dual_add_f32 v9, v9, v45 :: v_dual_fmac_f32 v49, v183, v142
	v_add_f32_e32 v11, v11, v13
	v_dual_mul_f32 v237, v184, v145 :: v_dual_mul_f32 v239, v162, v147
	s_delay_alu instid0(VALU_DEP_3) | instskip(NEXT) | instid1(VALU_DEP_2)
	v_dual_fma_f32 v13, v182, v142, -v17 :: v_dual_add_f32 v9, v9, v47
	v_dual_add_f32 v11, v11, v15 :: v_dual_fmac_f32 v237, v185, v144
	v_fma_f32 v236, v184, v144, -v19
	v_pk_mul_f32 v[102:103], v[228:229], v[102:103] op_sel_hi:[1,0]
	s_delay_alu instid0(VALU_DEP_4)
	v_add_f32_e32 v111, v9, v49
	s_wait_loadcnt 0x3
	v_dual_add_f32 v110, v11, v13 :: v_dual_mov_b32 v112, v157
	v_pk_mul_f32 v[104:105], v[166:167], v[150:151] op_sel:[1,1] op_sel_hi:[0,1]
	v_dual_fmac_f32 v239, v163, v146 :: v_dual_fma_f32 v238, v162, v146, -v21
	v_pk_fma_f32 v[114:115], v[164:165], v[148:149], v[102:103] op_sel_hi:[1,0,1]
	s_delay_alu instid0(VALU_DEP_4)
	v_pk_add_f32 v[110:111], v[110:111], v[236:237]
	v_pk_fma_f32 v[102:103], v[164:165], v[148:149], v[102:103] neg_lo:[0,0,1] neg_hi:[0,0,1]
	v_pk_fma_f32 v[116:117], v[166:167], v[150:151], v[104:105] op_sel_hi:[1,0,1]
	v_pk_mul_f32 v[106:107], v[230:231], v[106:107] op_sel_hi:[1,0]
	v_mov_b32_e32 v103, v115
	v_pk_add_f32 v[110:111], v[110:111], v[238:239]
	v_pk_fma_f32 v[104:105], v[166:167], v[150:151], v[104:105] neg_lo:[0,0,1] neg_hi:[0,0,1]
	v_pk_mul_f32 v[108:109], v[170:171], v[154:155] op_sel:[1,1] op_sel_hi:[0,1]
	v_mov_b32_e32 v105, v117
	v_pk_fma_f32 v[116:117], v[168:169], v[152:153], v[106:107] op_sel_hi:[1,0,1]
	v_pk_add_f32 v[102:103], v[110:111], v[102:103]
	v_pk_fma_f32 v[106:107], v[168:169], v[152:153], v[106:107] neg_lo:[0,0,1] neg_hi:[0,0,1]
	v_pk_fma_f32 v[110:111], v[170:171], v[154:155], v[108:109] op_sel_hi:[1,0,1]
	v_pk_mul_f32 v[112:113], v[232:233], v[112:113] op_sel_hi:[1,0]
	v_mov_b32_e32 v107, v117
	v_pk_add_f32 v[102:103], v[102:103], v[104:105]
	v_pk_fma_f32 v[108:109], v[170:171], v[154:155], v[108:109] neg_lo:[0,0,1] neg_hi:[0,0,1]
	s_wait_loadcnt 0x2
	v_pk_mul_f32 v[114:115], v[174:175], v[158:159] op_sel:[1,1] op_sel_hi:[0,1]
	v_dual_mov_b32 v104, v161 :: v_dual_mov_b32 v109, v111
	v_pk_fma_f32 v[110:111], v[172:173], v[156:157], v[112:113] op_sel_hi:[1,0,1]
	v_pk_add_f32 v[102:103], v[102:103], v[106:107]
	v_pk_fma_f32 v[112:113], v[172:173], v[156:157], v[112:113] neg_lo:[0,0,1] neg_hi:[0,0,1]
	v_pk_fma_f32 v[106:107], v[174:175], v[158:159], v[114:115] op_sel_hi:[1,0,1]
	v_pk_mul_f32 v[104:105], v[234:235], v[104:105] op_sel_hi:[1,0]
	v_mov_b32_e32 v113, v111
	v_pk_add_f32 v[102:103], v[102:103], v[108:109]
	v_pk_fma_f32 v[108:109], v[174:175], v[158:159], v[114:115] neg_lo:[0,0,1] neg_hi:[0,0,1]
	v_mov_b32_e32 v109, v107
	v_pk_fma_f32 v[106:107], v[176:177], v[160:161], v[104:105] op_sel_hi:[1,0,1]
	s_wait_loadcnt_dscnt 0x100
	v_pk_mul_f32 v[110:111], v[226:227], v[222:223] op_sel:[1,1] op_sel_hi:[0,1]
	v_pk_add_f32 v[102:103], v[102:103], v[112:113]
	v_pk_fma_f32 v[104:105], v[176:177], v[160:161], v[104:105] neg_lo:[0,0,1] neg_hi:[0,0,1]
	v_mov_b32_e32 v105, v107
	s_delay_alu instid0(VALU_DEP_4) | instskip(NEXT) | instid1(VALU_DEP_4)
	v_pk_fma_f32 v[106:107], v[226:227], v[222:223], v[110:111] op_sel_hi:[1,0,1]
	v_pk_add_f32 v[102:103], v[102:103], v[108:109]
	v_pk_fma_f32 v[108:109], v[226:227], v[222:223], v[110:111] neg_lo:[0,0,1] neg_hi:[0,0,1]
	s_delay_alu instid0(VALU_DEP_3) | instskip(NEXT) | instid1(VALU_DEP_3)
	v_mov_b32_e32 v109, v107
	v_pk_add_f32 v[102:103], v[102:103], v[104:105]
	s_delay_alu instid0(VALU_DEP_1) | instskip(SKIP_1) | instid1(VALU_DEP_1)
	v_pk_add_f32 v[102:103], v[102:103], v[108:109]
	s_wait_loadcnt 0x0
	v_pk_add_f32 v[102:103], v[224:225], v[102:103] neg_lo:[0,1] neg_hi:[0,1]
	scratch_store_b64 off, v[102:103], off offset:144
	s_wait_xcnt 0x0
	v_cmpx_lt_u32_e32 17, v0
	s_cbranch_execz .LBB113_279
; %bb.278:
	scratch_load_b64 v[102:103], off, off offset:136
	v_mov_b64_e32 v[104:105], 0
	scratch_store_b64 off, v[104:105], off offset:136
	s_wait_loadcnt 0x0
	ds_store_b64 v1, v[102:103]
.LBB113_279:
	s_wait_xcnt 0x0
	s_or_b32 exec_lo, exec_lo, s0
	s_wait_storecnt_dscnt 0x0
	s_barrier_signal -1
	s_barrier_wait -1
	s_clause 0x10
	scratch_load_b128 v[102:105], off, off offset:144
	scratch_load_b128 v[106:109], off, off offset:160
	;; [unrolled: 1-line block ×16, first 2 shown]
	scratch_load_b64 v[230:231], off, off offset:136
	ds_load_b128 v[166:169], v7 offset:736
	ds_load_b128 v[170:173], v7 offset:752
	;; [unrolled: 1-line block ×16, first 2 shown]
	s_mov_b32 s0, exec_lo
	s_wait_dscnt 0xf
	v_dual_mov_b32 v232, v169 :: v_dual_mov_b32 v233, v168
	s_wait_dscnt 0xe
	v_dual_mov_b32 v234, v173 :: v_dual_mov_b32 v235, v172
	;; [unrolled: 2-line block ×4, first 2 shown]
	s_wait_loadcnt_dscnt 0x100b
	v_dual_mul_f32 v7, v182, v103 :: v_dual_mul_f32 v9, v184, v105
	v_dual_mul_f32 v51, v183, v103 :: v_dual_mul_f32 v53, v185, v105
	s_wait_loadcnt_dscnt 0xf0a
	v_dual_mul_f32 v11, v186, v107 :: v_dual_mul_f32 v13, v188, v109
	s_delay_alu instid0(VALU_DEP_3) | instskip(SKIP_3) | instid1(VALU_DEP_3)
	v_dual_fmac_f32 v7, v183, v102 :: v_dual_fmac_f32 v9, v185, v104
	s_wait_loadcnt_dscnt 0xd08
	v_dual_fma_f32 v51, v182, v102, -v51 :: v_dual_mul_f32 v63, v195, v115
	v_dual_mul_f32 v55, v187, v107 :: v_dual_mul_f32 v57, v189, v109
	v_dual_fma_f32 v53, v184, v104, -v53 :: v_dual_add_f32 v7, 0, v7
	s_delay_alu instid0(VALU_DEP_3) | instskip(SKIP_1) | instid1(VALU_DEP_3)
	v_dual_add_f32 v51, 0, v51 :: v_dual_mul_f32 v65, v197, v117
	v_dual_fmac_f32 v11, v187, v106 :: v_dual_fmac_f32 v13, v189, v108
	v_dual_fma_f32 v55, v186, v106, -v55 :: v_dual_add_f32 v7, v7, v9
	s_delay_alu instid0(VALU_DEP_3) | instskip(SKIP_2) | instid1(VALU_DEP_4)
	v_dual_add_f32 v9, v51, v53 :: v_dual_fma_f32 v53, v188, v108, -v57
	v_dual_mul_f32 v15, v190, v111 :: v_dual_mul_f32 v17, v192, v113
	v_dual_mul_f32 v59, v191, v111 :: v_dual_mul_f32 v61, v193, v113
	v_add_f32_e32 v7, v7, v11
	s_delay_alu instid0(VALU_DEP_3) | instskip(NEXT) | instid1(VALU_DEP_3)
	v_dual_add_f32 v9, v9, v55 :: v_dual_fmac_f32 v15, v191, v110
	v_fma_f32 v55, v190, v110, -v59
	v_dual_mul_f32 v19, v194, v115 :: v_dual_mul_f32 v21, v196, v117
	s_delay_alu instid0(VALU_DEP_4) | instskip(SKIP_2) | instid1(VALU_DEP_2)
	v_dual_add_f32 v7, v7, v13 :: v_dual_fmac_f32 v17, v193, v112
	s_wait_loadcnt_dscnt 0xb06
	v_dual_add_f32 v9, v9, v53 :: v_dual_mul_f32 v13, v203, v123
	v_dual_fma_f32 v53, v192, v112, -v61 :: v_dual_add_f32 v7, v7, v15
	v_mul_f32_e32 v15, v205, v125
	s_delay_alu instid0(VALU_DEP_3) | instskip(NEXT) | instid1(VALU_DEP_3)
	v_dual_add_f32 v9, v9, v55 :: v_dual_fmac_f32 v19, v195, v114
	v_dual_fma_f32 v55, v194, v114, -v63 :: v_dual_add_f32 v7, v7, v17
	v_fmac_f32_e32 v21, v197, v116
	s_wait_loadcnt_dscnt 0xa05
	s_delay_alu instid0(VALU_DEP_3) | instskip(SKIP_3) | instid1(VALU_DEP_3)
	v_dual_add_f32 v9, v9, v53 :: v_dual_mul_f32 v17, v207, v127
	v_dual_mul_f32 v23, v198, v119 :: v_dual_mul_f32 v25, v200, v121
	v_dual_mul_f32 v51, v199, v119 :: v_dual_mul_f32 v11, v201, v121
	v_dual_fma_f32 v53, v196, v116, -v65 :: v_dual_add_f32 v7, v7, v19
	v_dual_add_f32 v9, v9, v55 :: v_dual_fmac_f32 v23, v199, v118
	s_delay_alu instid0(VALU_DEP_3) | instskip(NEXT) | instid1(VALU_DEP_3)
	v_dual_mul_f32 v19, v209, v129 :: v_dual_fma_f32 v51, v198, v118, -v51
	v_dual_add_f32 v7, v7, v21 :: v_dual_fmac_f32 v25, v201, v120
	s_wait_loadcnt_dscnt 0x904
	s_delay_alu instid0(VALU_DEP_3) | instskip(SKIP_1) | instid1(VALU_DEP_3)
	v_dual_add_f32 v9, v9, v53 :: v_dual_mul_f32 v21, v211, v131
	v_dual_mul_f32 v27, v202, v123 :: v_dual_mul_f32 v29, v204, v125
	v_dual_fma_f32 v11, v200, v120, -v11 :: v_dual_add_f32 v7, v7, v23
	s_delay_alu instid0(VALU_DEP_2) | instskip(SKIP_1) | instid1(VALU_DEP_2)
	v_dual_add_f32 v9, v9, v51 :: v_dual_fmac_f32 v27, v203, v122
	v_dual_mul_f32 v23, v213, v133 :: v_dual_fma_f32 v13, v202, v122, -v13
	v_dual_add_f32 v7, v7, v25 :: v_dual_add_f32 v9, v9, v11
	v_dual_mul_f32 v31, v206, v127 :: v_dual_mul_f32 v33, v208, v129
	s_wait_loadcnt_dscnt 0x803
	v_dual_mul_f32 v11, v215, v135 :: v_dual_fmac_f32 v29, v205, v124
	s_delay_alu instid0(VALU_DEP_3) | instskip(NEXT) | instid1(VALU_DEP_3)
	v_dual_fma_f32 v15, v204, v124, -v15 :: v_dual_add_f32 v7, v7, v27
	v_dual_add_f32 v9, v9, v13 :: v_dual_fmac_f32 v31, v207, v126
	v_dual_mul_f32 v13, v217, v137 :: v_dual_fma_f32 v17, v206, v126, -v17
	s_delay_alu instid0(VALU_DEP_2) | instskip(SKIP_3) | instid1(VALU_DEP_3)
	v_dual_add_f32 v7, v7, v29 :: v_dual_add_f32 v9, v9, v15
	v_dual_mul_f32 v35, v210, v131 :: v_dual_mul_f32 v37, v212, v133
	s_wait_loadcnt_dscnt 0x702
	v_dual_mul_f32 v15, v219, v139 :: v_dual_fmac_f32 v33, v209, v128
	v_dual_fma_f32 v19, v208, v128, -v19 :: v_dual_add_f32 v7, v7, v31
	s_delay_alu instid0(VALU_DEP_3) | instskip(SKIP_1) | instid1(VALU_DEP_2)
	v_dual_add_f32 v9, v9, v17 :: v_dual_fmac_f32 v35, v211, v130
	v_dual_mul_f32 v17, v221, v141 :: v_dual_fma_f32 v21, v210, v130, -v21
	v_dual_add_f32 v7, v7, v33 :: v_dual_add_f32 v9, v9, v19
	v_dual_mul_f32 v39, v214, v135 :: v_dual_mul_f32 v41, v216, v137
	s_wait_loadcnt_dscnt 0x601
	v_dual_mul_f32 v19, v223, v143 :: v_dual_fmac_f32 v37, v213, v132
	s_delay_alu instid0(VALU_DEP_3) | instskip(NEXT) | instid1(VALU_DEP_3)
	v_dual_fma_f32 v23, v212, v132, -v23 :: v_dual_add_f32 v7, v7, v35
	v_dual_add_f32 v9, v9, v21 :: v_dual_fmac_f32 v39, v215, v134
	v_dual_mul_f32 v21, v225, v145 :: v_dual_fma_f32 v11, v214, v134, -v11
	s_delay_alu instid0(VALU_DEP_2) | instskip(SKIP_3) | instid1(VALU_DEP_3)
	v_dual_add_f32 v7, v7, v37 :: v_dual_add_f32 v9, v9, v23
	v_dual_mul_f32 v43, v218, v139 :: v_dual_mul_f32 v45, v220, v141
	s_wait_loadcnt_dscnt 0x500
	v_dual_mul_f32 v23, v227, v147 :: v_dual_fmac_f32 v41, v217, v136
	v_dual_fma_f32 v13, v216, v136, -v13 :: v_dual_add_f32 v7, v7, v39
	s_delay_alu instid0(VALU_DEP_3) | instskip(SKIP_1) | instid1(VALU_DEP_3)
	v_dual_add_f32 v9, v9, v11 :: v_dual_fmac_f32 v43, v219, v138
	v_dual_mul_f32 v11, v229, v149 :: v_dual_fma_f32 v15, v218, v138, -v15
	v_dual_add_f32 v7, v7, v41 :: v_dual_fmac_f32 v45, v221, v140
	s_delay_alu instid0(VALU_DEP_3) | instskip(SKIP_2) | instid1(VALU_DEP_3)
	v_dual_add_f32 v9, v9, v13 :: v_dual_fma_f32 v13, v220, v140, -v17
	v_dual_mul_f32 v47, v222, v143 :: v_dual_mul_f32 v49, v224, v145
	s_wait_loadcnt 0x4
	v_dual_add_f32 v7, v7, v43 :: v_dual_mov_b32 v104, v153
	s_delay_alu instid0(VALU_DEP_2) | instskip(NEXT) | instid1(VALU_DEP_2)
	v_dual_add_f32 v9, v9, v15 :: v_dual_fmac_f32 v47, v223, v142
	v_dual_fma_f32 v15, v222, v142, -v19 :: v_dual_add_f32 v7, v7, v45
	v_dual_mul_f32 v241, v226, v147 :: v_dual_mul_f32 v243, v228, v149
	s_delay_alu instid0(VALU_DEP_3) | instskip(NEXT) | instid1(VALU_DEP_3)
	v_dual_add_f32 v9, v9, v13 :: v_dual_fma_f32 v13, v224, v144, -v21
	v_dual_fmac_f32 v49, v225, v144 :: v_dual_add_f32 v7, v7, v47
	v_pk_mul_f32 v[102:103], v[166:167], v[150:151] op_sel:[1,1] op_sel_hi:[0,1]
	s_delay_alu instid0(VALU_DEP_3) | instskip(SKIP_3) | instid1(VALU_DEP_3)
	v_dual_add_f32 v9, v9, v15 :: v_dual_fmac_f32 v241, v227, v146
	s_wait_loadcnt 0x3
	v_dual_mov_b32 v108, v157 :: v_dual_fma_f32 v240, v226, v146, -v23
	v_dual_add_f32 v111, v7, v49 :: v_dual_fmac_f32 v243, v229, v148
	v_dual_add_f32 v110, v9, v13 :: v_dual_fma_f32 v242, v228, v148, -v11
	v_pk_fma_f32 v[112:113], v[166:167], v[150:151], v[102:103] op_sel_hi:[1,0,1]
	v_pk_mul_f32 v[104:105], v[232:233], v[104:105] op_sel_hi:[1,0]
	v_pk_fma_f32 v[102:103], v[166:167], v[150:151], v[102:103] neg_lo:[0,0,1] neg_hi:[0,0,1]
	s_delay_alu instid0(VALU_DEP_4)
	v_pk_add_f32 v[110:111], v[110:111], v[240:241]
	v_pk_mul_f32 v[106:107], v[170:171], v[154:155] op_sel:[1,1] op_sel_hi:[0,1]
	v_mov_b32_e32 v103, v113
	v_pk_fma_f32 v[112:113], v[168:169], v[152:153], v[104:105] op_sel_hi:[1,0,1]
	v_pk_fma_f32 v[104:105], v[168:169], v[152:153], v[104:105] neg_lo:[0,0,1] neg_hi:[0,0,1]
	v_pk_add_f32 v[110:111], v[110:111], v[242:243]
	v_pk_fma_f32 v[116:117], v[170:171], v[154:155], v[106:107] op_sel_hi:[1,0,1]
	v_pk_mul_f32 v[108:109], v[234:235], v[108:109] op_sel_hi:[1,0]
	v_mov_b32_e32 v105, v113
	s_wait_loadcnt 0x2
	v_pk_mul_f32 v[114:115], v[174:175], v[158:159] op_sel:[1,1] op_sel_hi:[0,1]
	v_pk_add_f32 v[102:103], v[110:111], v[102:103]
	v_mov_b32_e32 v110, v161
	v_pk_fma_f32 v[106:107], v[170:171], v[154:155], v[106:107] neg_lo:[0,0,1] neg_hi:[0,0,1]
	v_mov_b32_e32 v107, v117
	v_pk_fma_f32 v[112:113], v[172:173], v[156:157], v[108:109] op_sel_hi:[1,0,1]
	v_pk_add_f32 v[102:103], v[102:103], v[104:105]
	v_pk_fma_f32 v[104:105], v[174:175], v[158:159], v[114:115] op_sel_hi:[1,0,1]
	v_pk_mul_f32 v[110:111], v[236:237], v[110:111] op_sel_hi:[1,0]
	v_pk_fma_f32 v[108:109], v[172:173], v[156:157], v[108:109] neg_lo:[0,0,1] neg_hi:[0,0,1]
	v_mov_b32_e32 v109, v113
	v_pk_add_f32 v[102:103], v[102:103], v[106:107]
	v_pk_fma_f32 v[112:113], v[174:175], v[158:159], v[114:115] neg_lo:[0,0,1] neg_hi:[0,0,1]
	v_mov_b32_e32 v113, v105
	v_pk_fma_f32 v[104:105], v[176:177], v[160:161], v[110:111] op_sel_hi:[1,0,1]
	s_wait_loadcnt 0x1
	v_pk_mul_f32 v[106:107], v[178:179], v[162:163] op_sel:[1,1] op_sel_hi:[0,1]
	v_pk_add_f32 v[102:103], v[102:103], v[108:109]
	v_mov_b32_e32 v104, v165
	v_pk_fma_f32 v[110:111], v[176:177], v[160:161], v[110:111] neg_lo:[0,0,1] neg_hi:[0,0,1]
	v_mov_b32_e32 v111, v105
	v_pk_fma_f32 v[108:109], v[178:179], v[162:163], v[106:107] op_sel_hi:[1,0,1]
	v_pk_add_f32 v[102:103], v[102:103], v[112:113]
	v_pk_mul_f32 v[104:105], v[238:239], v[104:105] op_sel_hi:[1,0]
	v_pk_fma_f32 v[106:107], v[178:179], v[162:163], v[106:107] neg_lo:[0,0,1] neg_hi:[0,0,1]
	s_delay_alu instid0(VALU_DEP_4) | instskip(NEXT) | instid1(VALU_DEP_4)
	v_mov_b32_e32 v107, v109
	v_pk_add_f32 v[102:103], v[102:103], v[110:111]
	s_delay_alu instid0(VALU_DEP_4) | instskip(SKIP_1) | instid1(VALU_DEP_2)
	v_pk_fma_f32 v[108:109], v[180:181], v[164:165], v[104:105] op_sel_hi:[1,0,1]
	v_pk_fma_f32 v[104:105], v[180:181], v[164:165], v[104:105] neg_lo:[0,0,1] neg_hi:[0,0,1]
	v_mov_b32_e32 v105, v109
	s_delay_alu instid0(VALU_DEP_4) | instskip(NEXT) | instid1(VALU_DEP_1)
	v_pk_add_f32 v[102:103], v[102:103], v[106:107]
	v_pk_add_f32 v[102:103], v[102:103], v[104:105]
	s_wait_loadcnt 0x0
	s_delay_alu instid0(VALU_DEP_1)
	v_pk_add_f32 v[102:103], v[230:231], v[102:103] neg_lo:[0,1] neg_hi:[0,1]
	scratch_store_b64 off, v[102:103], off offset:136
	s_wait_xcnt 0x0
	v_cmpx_lt_u32_e32 16, v0
	s_cbranch_execz .LBB113_281
; %bb.280:
	scratch_load_b64 v[102:103], off, off offset:128
	v_mov_b64_e32 v[104:105], 0
	scratch_store_b64 off, v[104:105], off offset:128
	s_wait_loadcnt 0x0
	ds_store_b64 v1, v[102:103]
.LBB113_281:
	s_wait_xcnt 0x0
	s_or_b32 exec_lo, exec_lo, s0
	s_wait_storecnt_dscnt 0x0
	s_barrier_signal -1
	s_barrier_wait -1
	s_clause 0x11
	scratch_load_b128 v[102:105], off, off offset:136
	scratch_load_b128 v[106:109], off, off offset:152
	;; [unrolled: 1-line block ×16, first 2 shown]
	scratch_load_b64 v[230:231], off, off offset:392
	scratch_load_b64 v[232:233], off, off offset:128
	v_mov_b32_e32 v7, 0
	ds_load_2addr_b64 v[166:169], v7 offset0:91 offset1:92
	ds_load_2addr_b64 v[170:173], v7 offset0:93 offset1:94
	;; [unrolled: 1-line block ×16, first 2 shown]
	ds_load_b64 v[234:235], v7 offset:792
	s_mov_b32 s0, exec_lo
	s_wait_dscnt 0x10
	v_dual_mov_b32 v236, v169 :: v_dual_mov_b32 v237, v168
	s_wait_dscnt 0xd
	v_dual_mov_b32 v238, v173 :: v_dual_mov_b32 v243, v180
	v_dual_mov_b32 v239, v172 :: v_dual_mov_b32 v240, v177
	;; [unrolled: 1-line block ×3, first 2 shown]
	s_wait_loadcnt_dscnt 0x110c
	v_dual_mul_f32 v9, v182, v103 :: v_dual_mul_f32 v55, v183, v103
	v_dual_mul_f32 v57, v185, v105 :: v_dual_mul_f32 v11, v184, v105
	s_wait_loadcnt_dscnt 0x100b
	v_mul_f32_e32 v13, v186, v107
	s_wait_loadcnt_dscnt 0xe09
	v_dual_mul_f32 v67, v195, v115 :: v_dual_fma_f32 v55, v182, v102, -v55
	v_dual_fmac_f32 v9, v183, v102 :: v_dual_mul_f32 v69, v197, v117
	v_dual_mul_f32 v59, v187, v107 :: v_dual_mul_f32 v61, v189, v109
	v_dual_fmac_f32 v11, v185, v104 :: v_dual_fma_f32 v57, v184, v104, -v57
	s_delay_alu instid0(VALU_DEP_3) | instskip(SKIP_3) | instid1(VALU_DEP_3)
	v_dual_add_f32 v9, 0, v9 :: v_dual_add_f32 v55, 0, v55
	v_dual_mul_f32 v15, v188, v109 :: v_dual_mul_f32 v17, v190, v111
	s_wait_loadcnt_dscnt 0xd08
	v_dual_mul_f32 v71, v199, v119 :: v_dual_fma_f32 v59, v186, v106, -v59
	v_dual_fmac_f32 v13, v187, v106 :: v_dual_add_f32 v9, v9, v11
	s_delay_alu instid0(VALU_DEP_3) | instskip(SKIP_2) | instid1(VALU_DEP_3)
	v_dual_add_f32 v11, v55, v57 :: v_dual_fmac_f32 v15, v189, v108
	v_dual_mul_f32 v63, v191, v111 :: v_dual_mul_f32 v65, v193, v113
	v_dual_mul_f32 v55, v201, v121 :: v_dual_fma_f32 v57, v188, v108, -v61
	v_dual_add_f32 v9, v9, v13 :: v_dual_add_f32 v11, v11, v59
	v_dual_mul_f32 v19, v192, v113 :: v_dual_mul_f32 v21, v194, v115
	s_wait_loadcnt_dscnt 0xc07
	v_dual_mul_f32 v13, v203, v123 :: v_dual_fma_f32 v59, v190, v110, -v63
	s_delay_alu instid0(VALU_DEP_3) | instskip(NEXT) | instid1(VALU_DEP_3)
	v_dual_fmac_f32 v17, v191, v110 :: v_dual_add_f32 v9, v9, v15
	v_dual_add_f32 v11, v11, v57 :: v_dual_fmac_f32 v19, v193, v112
	v_dual_mul_f32 v15, v205, v125 :: v_dual_fma_f32 v57, v192, v112, -v65
	s_delay_alu instid0(VALU_DEP_2) | instskip(SKIP_3) | instid1(VALU_DEP_3)
	v_dual_add_f32 v9, v9, v17 :: v_dual_add_f32 v11, v11, v59
	v_dual_mul_f32 v23, v196, v117 :: v_dual_mul_f32 v25, v198, v119
	s_wait_loadcnt_dscnt 0xb06
	v_dual_mul_f32 v17, v207, v127 :: v_dual_fma_f32 v59, v194, v114, -v67
	v_dual_fmac_f32 v21, v195, v114 :: v_dual_add_f32 v9, v9, v19
	s_delay_alu instid0(VALU_DEP_3) | instskip(SKIP_1) | instid1(VALU_DEP_2)
	v_dual_add_f32 v11, v11, v57 :: v_dual_fmac_f32 v23, v197, v116
	v_dual_mul_f32 v19, v209, v129 :: v_dual_fma_f32 v57, v196, v116, -v69
	v_dual_add_f32 v9, v9, v21 :: v_dual_add_f32 v11, v11, v59
	v_dual_mul_f32 v27, v200, v121 :: v_dual_mul_f32 v29, v202, v123
	s_wait_loadcnt_dscnt 0xa05
	v_dual_mul_f32 v21, v211, v131 :: v_dual_fma_f32 v59, v198, v118, -v71
	s_delay_alu instid0(VALU_DEP_3) | instskip(NEXT) | instid1(VALU_DEP_3)
	v_dual_fmac_f32 v25, v199, v118 :: v_dual_add_f32 v9, v9, v23
	v_dual_add_f32 v11, v11, v57 :: v_dual_fmac_f32 v27, v201, v120
	v_dual_mul_f32 v23, v213, v133 :: v_dual_fma_f32 v55, v200, v120, -v55
	s_delay_alu instid0(VALU_DEP_2) | instskip(SKIP_3) | instid1(VALU_DEP_3)
	v_dual_add_f32 v9, v9, v25 :: v_dual_add_f32 v11, v11, v59
	v_dual_mul_f32 v31, v204, v125 :: v_dual_mul_f32 v33, v206, v127
	s_wait_loadcnt_dscnt 0x904
	v_dual_mul_f32 v25, v215, v135 :: v_dual_fma_f32 v13, v202, v122, -v13
	v_dual_fmac_f32 v29, v203, v122 :: v_dual_add_f32 v9, v9, v27
	v_dual_add_f32 v11, v11, v55 :: v_dual_mul_f32 v27, v217, v137
	v_fmac_f32_e32 v31, v205, v124
	s_delay_alu instid0(VALU_DEP_3) | instskip(NEXT) | instid1(VALU_DEP_3)
	v_dual_fma_f32 v15, v204, v124, -v15 :: v_dual_add_f32 v9, v9, v29
	v_add_f32_e32 v11, v11, v13
	v_dual_mul_f32 v35, v208, v129 :: v_dual_mul_f32 v37, v210, v131
	s_wait_loadcnt_dscnt 0x803
	v_dual_mul_f32 v13, v219, v139 :: v_dual_fma_f32 v17, v206, v126, -v17
	v_dual_fmac_f32 v33, v207, v126 :: v_dual_add_f32 v9, v9, v31
	v_dual_add_f32 v11, v11, v15 :: v_dual_mul_f32 v15, v221, v141
	v_fmac_f32_e32 v35, v209, v128
	s_delay_alu instid0(VALU_DEP_3) | instskip(NEXT) | instid1(VALU_DEP_3)
	v_dual_fma_f32 v19, v208, v128, -v19 :: v_dual_add_f32 v9, v9, v33
	v_add_f32_e32 v11, v11, v17
	;; [unrolled: 9-line block ×4, first 2 shown]
	v_dual_mul_f32 v47, v220, v141 :: v_dual_mul_f32 v49, v222, v143
	s_wait_loadcnt 0x5
	v_dual_mul_f32 v25, v167, v151 :: v_dual_fma_f32 v13, v218, v138, -v13
	v_dual_fmac_f32 v45, v219, v138 :: v_dual_add_f32 v9, v9, v43
	v_dual_add_f32 v11, v11, v27 :: v_dual_mov_b32 v102, v153
	v_fmac_f32_e32 v47, v221, v140
	s_delay_alu instid0(VALU_DEP_3) | instskip(NEXT) | instid1(VALU_DEP_3)
	v_dual_fma_f32 v15, v220, v140, -v15 :: v_dual_add_f32 v9, v9, v45
	v_add_f32_e32 v11, v11, v13
	v_dual_mul_f32 v51, v224, v145 :: v_dual_mul_f32 v53, v226, v147
	s_delay_alu instid0(VALU_DEP_3) | instskip(NEXT) | instid1(VALU_DEP_3)
	v_dual_fmac_f32 v49, v223, v142 :: v_dual_add_f32 v9, v9, v47
	v_dual_fma_f32 v13, v222, v142, -v17 :: v_dual_add_f32 v11, v11, v15
	s_wait_loadcnt 0x4
	v_dual_mov_b32 v106, v157 :: v_dual_fma_f32 v15, v224, v144, -v19
	v_fmac_f32_e32 v51, v225, v144
	v_dual_add_f32 v9, v9, v49 :: v_dual_fmac_f32 v53, v227, v146
	v_add_f32_e32 v11, v11, v13
	v_dual_mul_f32 v245, v228, v149 :: v_dual_mul_f32 v247, v166, v151
	s_delay_alu instid0(VALU_DEP_3) | instskip(NEXT) | instid1(VALU_DEP_2)
	v_dual_fma_f32 v13, v226, v146, -v21 :: v_dual_add_f32 v9, v9, v51
	v_dual_add_f32 v11, v11, v15 :: v_dual_fmac_f32 v245, v229, v148
	v_fma_f32 v244, v228, v148, -v23
	v_pk_mul_f32 v[102:103], v[236:237], v[102:103] op_sel_hi:[1,0]
	s_delay_alu instid0(VALU_DEP_4)
	v_add_f32_e32 v111, v9, v53
	s_wait_loadcnt 0x3
	v_dual_add_f32 v110, v11, v13 :: v_dual_mov_b32 v112, v161
	v_pk_mul_f32 v[104:105], v[170:171], v[154:155] op_sel:[1,1] op_sel_hi:[0,1]
	v_dual_fmac_f32 v247, v167, v150 :: v_dual_fma_f32 v246, v166, v150, -v25
	v_pk_fma_f32 v[114:115], v[168:169], v[152:153], v[102:103] op_sel_hi:[1,0,1]
	s_delay_alu instid0(VALU_DEP_4)
	v_pk_add_f32 v[110:111], v[110:111], v[244:245]
	v_pk_fma_f32 v[102:103], v[168:169], v[152:153], v[102:103] neg_lo:[0,0,1] neg_hi:[0,0,1]
	v_pk_fma_f32 v[116:117], v[170:171], v[154:155], v[104:105] op_sel_hi:[1,0,1]
	v_pk_mul_f32 v[106:107], v[238:239], v[106:107] op_sel_hi:[1,0]
	v_mov_b32_e32 v103, v115
	v_pk_add_f32 v[110:111], v[110:111], v[246:247]
	v_pk_fma_f32 v[104:105], v[170:171], v[154:155], v[104:105] neg_lo:[0,0,1] neg_hi:[0,0,1]
	v_pk_mul_f32 v[108:109], v[174:175], v[158:159] op_sel:[1,1] op_sel_hi:[0,1]
	v_mov_b32_e32 v105, v117
	v_pk_fma_f32 v[116:117], v[172:173], v[156:157], v[106:107] op_sel_hi:[1,0,1]
	v_pk_add_f32 v[102:103], v[110:111], v[102:103]
	v_pk_fma_f32 v[106:107], v[172:173], v[156:157], v[106:107] neg_lo:[0,0,1] neg_hi:[0,0,1]
	v_pk_fma_f32 v[110:111], v[174:175], v[158:159], v[108:109] op_sel_hi:[1,0,1]
	v_pk_mul_f32 v[112:113], v[240:241], v[112:113] op_sel_hi:[1,0]
	v_mov_b32_e32 v107, v117
	v_pk_add_f32 v[102:103], v[102:103], v[104:105]
	v_pk_fma_f32 v[108:109], v[174:175], v[158:159], v[108:109] neg_lo:[0,0,1] neg_hi:[0,0,1]
	s_wait_loadcnt 0x2
	v_pk_mul_f32 v[114:115], v[178:179], v[162:163] op_sel:[1,1] op_sel_hi:[0,1]
	v_dual_mov_b32 v104, v165 :: v_dual_mov_b32 v109, v111
	v_pk_fma_f32 v[110:111], v[176:177], v[160:161], v[112:113] op_sel_hi:[1,0,1]
	v_pk_add_f32 v[102:103], v[102:103], v[106:107]
	v_pk_fma_f32 v[112:113], v[176:177], v[160:161], v[112:113] neg_lo:[0,0,1] neg_hi:[0,0,1]
	v_pk_fma_f32 v[106:107], v[178:179], v[162:163], v[114:115] op_sel_hi:[1,0,1]
	v_pk_mul_f32 v[104:105], v[242:243], v[104:105] op_sel_hi:[1,0]
	v_mov_b32_e32 v113, v111
	v_pk_add_f32 v[102:103], v[102:103], v[108:109]
	v_pk_fma_f32 v[108:109], v[178:179], v[162:163], v[114:115] neg_lo:[0,0,1] neg_hi:[0,0,1]
	v_mov_b32_e32 v109, v107
	v_pk_fma_f32 v[106:107], v[180:181], v[164:165], v[104:105] op_sel_hi:[1,0,1]
	s_wait_loadcnt_dscnt 0x100
	v_pk_mul_f32 v[110:111], v[234:235], v[230:231] op_sel:[1,1] op_sel_hi:[0,1]
	v_pk_add_f32 v[102:103], v[102:103], v[112:113]
	v_pk_fma_f32 v[104:105], v[180:181], v[164:165], v[104:105] neg_lo:[0,0,1] neg_hi:[0,0,1]
	v_mov_b32_e32 v105, v107
	s_delay_alu instid0(VALU_DEP_4) | instskip(NEXT) | instid1(VALU_DEP_4)
	v_pk_fma_f32 v[106:107], v[234:235], v[230:231], v[110:111] op_sel_hi:[1,0,1]
	v_pk_add_f32 v[102:103], v[102:103], v[108:109]
	v_pk_fma_f32 v[108:109], v[234:235], v[230:231], v[110:111] neg_lo:[0,0,1] neg_hi:[0,0,1]
	s_delay_alu instid0(VALU_DEP_3) | instskip(NEXT) | instid1(VALU_DEP_3)
	v_mov_b32_e32 v109, v107
	v_pk_add_f32 v[102:103], v[102:103], v[104:105]
	s_delay_alu instid0(VALU_DEP_1) | instskip(SKIP_1) | instid1(VALU_DEP_1)
	v_pk_add_f32 v[102:103], v[102:103], v[108:109]
	s_wait_loadcnt 0x0
	v_pk_add_f32 v[102:103], v[232:233], v[102:103] neg_lo:[0,1] neg_hi:[0,1]
	scratch_store_b64 off, v[102:103], off offset:128
	s_wait_xcnt 0x0
	v_cmpx_lt_u32_e32 15, v0
	s_cbranch_execz .LBB113_283
; %bb.282:
	scratch_load_b64 v[102:103], off, off offset:120
	v_mov_b64_e32 v[104:105], 0
	scratch_store_b64 off, v[104:105], off offset:120
	s_wait_loadcnt 0x0
	ds_store_b64 v1, v[102:103]
.LBB113_283:
	s_wait_xcnt 0x0
	s_or_b32 exec_lo, exec_lo, s0
	s_wait_storecnt_dscnt 0x0
	s_barrier_signal -1
	s_barrier_wait -1
	s_clause 0x11
	scratch_load_b128 v[102:105], off, off offset:128
	scratch_load_b128 v[106:109], off, off offset:144
	;; [unrolled: 1-line block ×17, first 2 shown]
	scratch_load_b64 v[238:239], off, off offset:120
	ds_load_b128 v[170:173], v7 offset:736
	ds_load_b128 v[174:177], v7 offset:752
	ds_load_b128 v[178:181], v7 offset:768
	ds_load_b128 v[182:185], v7 offset:784
	ds_load_b128 v[186:189], v7 offset:720
	ds_load_b128 v[190:193], v7 offset:528
	ds_load_b128 v[194:197], v7 offset:544
	ds_load_b128 v[198:201], v7 offset:560
	ds_load_b128 v[202:205], v7 offset:576
	ds_load_b128 v[206:209], v7 offset:592
	ds_load_b128 v[210:213], v7 offset:608
	ds_load_b128 v[214:217], v7 offset:624
	ds_load_b128 v[218:221], v7 offset:640
	ds_load_b128 v[222:225], v7 offset:656
	ds_load_b128 v[226:229], v7 offset:672
	ds_load_b128 v[230:233], v7 offset:688
	ds_load_b128 v[234:237], v7 offset:704
	s_mov_b32 s0, exec_lo
	s_wait_dscnt 0x10
	v_dual_mov_b32 v240, v173 :: v_dual_mov_b32 v241, v172
	s_wait_dscnt 0xf
	v_dual_mov_b32 v242, v177 :: v_dual_mov_b32 v243, v176
	;; [unrolled: 2-line block ×4, first 2 shown]
	s_wait_loadcnt_dscnt 0x110b
	v_dual_mul_f32 v7, v190, v103 :: v_dual_mul_f32 v9, v192, v105
	v_dual_mul_f32 v55, v191, v103 :: v_dual_mul_f32 v57, v193, v105
	s_wait_loadcnt_dscnt 0x100a
	v_dual_mul_f32 v11, v194, v107 :: v_dual_mul_f32 v13, v196, v109
	s_delay_alu instid0(VALU_DEP_3) | instskip(SKIP_3) | instid1(VALU_DEP_3)
	v_dual_fmac_f32 v7, v191, v102 :: v_dual_fmac_f32 v9, v193, v104
	s_wait_loadcnt_dscnt 0xe08
	v_dual_fma_f32 v55, v190, v102, -v55 :: v_dual_mul_f32 v67, v203, v115
	v_dual_mul_f32 v59, v195, v107 :: v_dual_mul_f32 v61, v197, v109
	v_dual_fma_f32 v57, v192, v104, -v57 :: v_dual_add_f32 v7, 0, v7
	s_delay_alu instid0(VALU_DEP_3) | instskip(SKIP_1) | instid1(VALU_DEP_3)
	v_dual_add_f32 v55, 0, v55 :: v_dual_mul_f32 v69, v205, v117
	v_dual_fmac_f32 v11, v195, v106 :: v_dual_fmac_f32 v13, v197, v108
	v_dual_fma_f32 v59, v194, v106, -v59 :: v_dual_add_f32 v7, v7, v9
	s_delay_alu instid0(VALU_DEP_3) | instskip(SKIP_2) | instid1(VALU_DEP_4)
	v_dual_add_f32 v9, v55, v57 :: v_dual_fma_f32 v57, v196, v108, -v61
	v_dual_mul_f32 v15, v198, v111 :: v_dual_mul_f32 v17, v200, v113
	v_dual_mul_f32 v63, v199, v111 :: v_dual_mul_f32 v65, v201, v113
	v_add_f32_e32 v7, v7, v11
	s_delay_alu instid0(VALU_DEP_3) | instskip(NEXT) | instid1(VALU_DEP_3)
	v_dual_add_f32 v9, v9, v59 :: v_dual_fmac_f32 v15, v199, v110
	v_fma_f32 v59, v198, v110, -v63
	v_dual_mul_f32 v19, v202, v115 :: v_dual_mul_f32 v21, v204, v117
	s_delay_alu instid0(VALU_DEP_4) | instskip(SKIP_2) | instid1(VALU_DEP_2)
	v_dual_add_f32 v7, v7, v13 :: v_dual_fmac_f32 v17, v201, v112
	s_wait_loadcnt_dscnt 0xc06
	v_dual_add_f32 v9, v9, v57 :: v_dual_mul_f32 v13, v211, v123
	v_dual_fma_f32 v57, v200, v112, -v65 :: v_dual_add_f32 v7, v7, v15
	v_mul_f32_e32 v15, v213, v125
	s_delay_alu instid0(VALU_DEP_3) | instskip(NEXT) | instid1(VALU_DEP_3)
	v_dual_add_f32 v9, v9, v59 :: v_dual_fmac_f32 v19, v203, v114
	v_dual_fma_f32 v59, v202, v114, -v67 :: v_dual_add_f32 v7, v7, v17
	v_fmac_f32_e32 v21, v205, v116
	s_wait_loadcnt_dscnt 0xb05
	s_delay_alu instid0(VALU_DEP_3) | instskip(SKIP_3) | instid1(VALU_DEP_3)
	v_dual_add_f32 v9, v9, v57 :: v_dual_mul_f32 v17, v215, v127
	v_dual_mul_f32 v23, v206, v119 :: v_dual_mul_f32 v25, v208, v121
	v_dual_mul_f32 v55, v207, v119 :: v_dual_mul_f32 v11, v209, v121
	v_dual_fma_f32 v57, v204, v116, -v69 :: v_dual_add_f32 v7, v7, v19
	v_dual_add_f32 v9, v9, v59 :: v_dual_fmac_f32 v23, v207, v118
	s_delay_alu instid0(VALU_DEP_3) | instskip(NEXT) | instid1(VALU_DEP_3)
	v_dual_mul_f32 v19, v217, v129 :: v_dual_fma_f32 v55, v206, v118, -v55
	v_dual_add_f32 v7, v7, v21 :: v_dual_fmac_f32 v25, v209, v120
	s_wait_loadcnt_dscnt 0xa04
	s_delay_alu instid0(VALU_DEP_3) | instskip(SKIP_1) | instid1(VALU_DEP_3)
	v_dual_add_f32 v9, v9, v57 :: v_dual_mul_f32 v21, v219, v131
	v_dual_mul_f32 v27, v210, v123 :: v_dual_mul_f32 v29, v212, v125
	v_dual_fma_f32 v11, v208, v120, -v11 :: v_dual_add_f32 v7, v7, v23
	s_delay_alu instid0(VALU_DEP_2) | instskip(SKIP_1) | instid1(VALU_DEP_2)
	v_dual_add_f32 v9, v9, v55 :: v_dual_fmac_f32 v27, v211, v122
	v_dual_mul_f32 v23, v221, v133 :: v_dual_fma_f32 v13, v210, v122, -v13
	v_dual_add_f32 v7, v7, v25 :: v_dual_add_f32 v9, v9, v11
	v_dual_mul_f32 v31, v214, v127 :: v_dual_mul_f32 v33, v216, v129
	s_wait_loadcnt_dscnt 0x903
	v_dual_mul_f32 v11, v223, v135 :: v_dual_fmac_f32 v29, v213, v124
	s_delay_alu instid0(VALU_DEP_3) | instskip(NEXT) | instid1(VALU_DEP_3)
	v_dual_fma_f32 v15, v212, v124, -v15 :: v_dual_add_f32 v7, v7, v27
	v_dual_add_f32 v9, v9, v13 :: v_dual_fmac_f32 v31, v215, v126
	v_dual_mul_f32 v13, v225, v137 :: v_dual_fma_f32 v17, v214, v126, -v17
	s_delay_alu instid0(VALU_DEP_2) | instskip(SKIP_3) | instid1(VALU_DEP_3)
	v_dual_add_f32 v7, v7, v29 :: v_dual_add_f32 v9, v9, v15
	v_dual_mul_f32 v35, v218, v131 :: v_dual_mul_f32 v37, v220, v133
	s_wait_loadcnt_dscnt 0x802
	v_dual_mul_f32 v15, v227, v139 :: v_dual_fmac_f32 v33, v217, v128
	v_dual_fma_f32 v19, v216, v128, -v19 :: v_dual_add_f32 v7, v7, v31
	s_delay_alu instid0(VALU_DEP_3) | instskip(SKIP_1) | instid1(VALU_DEP_2)
	v_dual_add_f32 v9, v9, v17 :: v_dual_fmac_f32 v35, v219, v130
	v_dual_mul_f32 v17, v229, v141 :: v_dual_fma_f32 v21, v218, v130, -v21
	v_dual_add_f32 v7, v7, v33 :: v_dual_add_f32 v9, v9, v19
	v_dual_mul_f32 v39, v222, v135 :: v_dual_mul_f32 v41, v224, v137
	s_wait_loadcnt_dscnt 0x701
	v_dual_mul_f32 v19, v231, v143 :: v_dual_fmac_f32 v37, v221, v132
	s_delay_alu instid0(VALU_DEP_3) | instskip(NEXT) | instid1(VALU_DEP_3)
	v_dual_fma_f32 v23, v220, v132, -v23 :: v_dual_add_f32 v7, v7, v35
	v_dual_add_f32 v9, v9, v21 :: v_dual_fmac_f32 v39, v223, v134
	v_dual_mul_f32 v21, v233, v145 :: v_dual_fma_f32 v11, v222, v134, -v11
	s_delay_alu instid0(VALU_DEP_2) | instskip(SKIP_3) | instid1(VALU_DEP_3)
	v_dual_add_f32 v7, v7, v37 :: v_dual_add_f32 v9, v9, v23
	v_dual_mul_f32 v43, v226, v139 :: v_dual_mul_f32 v45, v228, v141
	s_wait_loadcnt_dscnt 0x600
	v_dual_mul_f32 v23, v235, v147 :: v_dual_fmac_f32 v41, v225, v136
	v_dual_fma_f32 v13, v224, v136, -v13 :: v_dual_add_f32 v7, v7, v39
	s_delay_alu instid0(VALU_DEP_3) | instskip(SKIP_1) | instid1(VALU_DEP_3)
	v_dual_add_f32 v9, v9, v11 :: v_dual_fmac_f32 v43, v227, v138
	v_dual_mul_f32 v11, v237, v149 :: v_dual_fma_f32 v15, v226, v138, -v15
	v_dual_add_f32 v7, v7, v41 :: v_dual_fmac_f32 v45, v229, v140
	s_wait_loadcnt 0x5
	s_delay_alu instid0(VALU_DEP_3) | instskip(SKIP_1) | instid1(VALU_DEP_3)
	v_dual_add_f32 v9, v9, v13 :: v_dual_mul_f32 v13, v187, v151
	v_dual_mul_f32 v47, v230, v143 :: v_dual_mul_f32 v49, v232, v145
	v_dual_fma_f32 v17, v228, v140, -v17 :: v_dual_add_f32 v7, v7, v43
	s_delay_alu instid0(VALU_DEP_2) | instskip(SKIP_1) | instid1(VALU_DEP_3)
	v_dual_add_f32 v9, v9, v15 :: v_dual_fmac_f32 v47, v231, v142
	v_dual_mul_f32 v15, v189, v153 :: v_dual_fma_f32 v19, v230, v142, -v19
	v_dual_add_f32 v7, v7, v45 :: v_dual_fmac_f32 v49, v233, v144
	s_delay_alu instid0(VALU_DEP_3) | instskip(SKIP_2) | instid1(VALU_DEP_3)
	v_dual_add_f32 v9, v9, v17 :: v_dual_fma_f32 v17, v232, v144, -v21
	v_dual_mul_f32 v51, v234, v147 :: v_dual_mul_f32 v53, v236, v149
	s_wait_loadcnt 0x4
	v_dual_add_f32 v7, v7, v47 :: v_dual_mov_b32 v104, v157
	s_delay_alu instid0(VALU_DEP_2) | instskip(NEXT) | instid1(VALU_DEP_2)
	v_dual_add_f32 v9, v9, v19 :: v_dual_fmac_f32 v51, v235, v146
	v_dual_fma_f32 v19, v234, v146, -v23 :: v_dual_add_f32 v7, v7, v49
	v_dual_mul_f32 v249, v186, v151 :: v_dual_mul_f32 v251, v188, v153
	s_delay_alu instid0(VALU_DEP_3) | instskip(NEXT) | instid1(VALU_DEP_3)
	v_dual_add_f32 v9, v9, v17 :: v_dual_fma_f32 v11, v236, v148, -v11
	v_dual_fmac_f32 v53, v237, v148 :: v_dual_add_f32 v7, v7, v51
	v_pk_mul_f32 v[102:103], v[170:171], v[154:155] op_sel:[1,1] op_sel_hi:[0,1]
	s_delay_alu instid0(VALU_DEP_3) | instskip(SKIP_2) | instid1(VALU_DEP_2)
	v_dual_add_f32 v9, v9, v19 :: v_dual_fmac_f32 v249, v187, v150
	s_wait_loadcnt 0x3
	v_dual_mov_b32 v108, v161 :: v_dual_fma_f32 v248, v186, v150, -v13
	v_dual_add_f32 v111, v7, v53 :: v_dual_add_f32 v110, v9, v11
	v_fmac_f32_e32 v251, v189, v152
	v_pk_fma_f32 v[112:113], v[170:171], v[154:155], v[102:103] op_sel_hi:[1,0,1]
	v_fma_f32 v250, v188, v152, -v15
	v_pk_mul_f32 v[104:105], v[240:241], v[104:105] op_sel_hi:[1,0]
	v_pk_add_f32 v[110:111], v[110:111], v[248:249]
	v_pk_fma_f32 v[102:103], v[170:171], v[154:155], v[102:103] neg_lo:[0,0,1] neg_hi:[0,0,1]
	v_pk_mul_f32 v[106:107], v[174:175], v[158:159] op_sel:[1,1] op_sel_hi:[0,1]
	v_mov_b32_e32 v103, v113
	v_pk_fma_f32 v[112:113], v[172:173], v[156:157], v[104:105] op_sel_hi:[1,0,1]
	v_pk_add_f32 v[110:111], v[110:111], v[250:251]
	v_pk_fma_f32 v[104:105], v[172:173], v[156:157], v[104:105] neg_lo:[0,0,1] neg_hi:[0,0,1]
	v_pk_fma_f32 v[116:117], v[174:175], v[158:159], v[106:107] op_sel_hi:[1,0,1]
	v_pk_mul_f32 v[108:109], v[242:243], v[108:109] op_sel_hi:[1,0]
	v_mov_b32_e32 v105, v113
	v_pk_add_f32 v[102:103], v[110:111], v[102:103]
	s_wait_loadcnt 0x2
	v_pk_mul_f32 v[114:115], v[178:179], v[162:163] op_sel:[1,1] op_sel_hi:[0,1]
	v_mov_b32_e32 v110, v165
	v_pk_fma_f32 v[106:107], v[174:175], v[158:159], v[106:107] neg_lo:[0,0,1] neg_hi:[0,0,1]
	v_pk_fma_f32 v[112:113], v[176:177], v[160:161], v[108:109] op_sel_hi:[1,0,1]
	v_mov_b32_e32 v107, v117
	v_pk_add_f32 v[102:103], v[102:103], v[104:105]
	v_pk_fma_f32 v[104:105], v[178:179], v[162:163], v[114:115] op_sel_hi:[1,0,1]
	v_pk_mul_f32 v[110:111], v[244:245], v[110:111] op_sel_hi:[1,0]
	v_pk_fma_f32 v[108:109], v[176:177], v[160:161], v[108:109] neg_lo:[0,0,1] neg_hi:[0,0,1]
	v_mov_b32_e32 v109, v113
	v_pk_add_f32 v[102:103], v[102:103], v[106:107]
	v_pk_fma_f32 v[112:113], v[178:179], v[162:163], v[114:115] neg_lo:[0,0,1] neg_hi:[0,0,1]
	v_mov_b32_e32 v113, v105
	v_pk_fma_f32 v[104:105], v[180:181], v[164:165], v[110:111] op_sel_hi:[1,0,1]
	s_wait_loadcnt 0x1
	v_pk_mul_f32 v[106:107], v[182:183], v[166:167] op_sel:[1,1] op_sel_hi:[0,1]
	v_pk_add_f32 v[102:103], v[102:103], v[108:109]
	v_mov_b32_e32 v104, v169
	v_pk_fma_f32 v[110:111], v[180:181], v[164:165], v[110:111] neg_lo:[0,0,1] neg_hi:[0,0,1]
	s_delay_alu instid0(VALU_DEP_4)
	v_pk_fma_f32 v[108:109], v[182:183], v[166:167], v[106:107] op_sel_hi:[1,0,1]
	v_mov_b32_e32 v111, v105
	v_pk_add_f32 v[102:103], v[102:103], v[112:113]
	v_pk_mul_f32 v[104:105], v[246:247], v[104:105] op_sel_hi:[1,0]
	v_pk_fma_f32 v[106:107], v[182:183], v[166:167], v[106:107] neg_lo:[0,0,1] neg_hi:[0,0,1]
	v_mov_b32_e32 v107, v109
	s_delay_alu instid0(VALU_DEP_4) | instskip(NEXT) | instid1(VALU_DEP_4)
	v_pk_add_f32 v[102:103], v[102:103], v[110:111]
	v_pk_fma_f32 v[108:109], v[184:185], v[168:169], v[104:105] op_sel_hi:[1,0,1]
	v_pk_fma_f32 v[104:105], v[184:185], v[168:169], v[104:105] neg_lo:[0,0,1] neg_hi:[0,0,1]
	s_delay_alu instid0(VALU_DEP_3) | instskip(NEXT) | instid1(VALU_DEP_3)
	v_pk_add_f32 v[102:103], v[102:103], v[106:107]
	v_mov_b32_e32 v105, v109
	s_delay_alu instid0(VALU_DEP_1) | instskip(SKIP_1) | instid1(VALU_DEP_1)
	v_pk_add_f32 v[102:103], v[102:103], v[104:105]
	s_wait_loadcnt 0x0
	v_pk_add_f32 v[102:103], v[238:239], v[102:103] neg_lo:[0,1] neg_hi:[0,1]
	scratch_store_b64 off, v[102:103], off offset:120
	s_wait_xcnt 0x0
	v_cmpx_lt_u32_e32 14, v0
	s_cbranch_execz .LBB113_285
; %bb.284:
	scratch_load_b64 v[102:103], off, off offset:112
	v_mov_b64_e32 v[104:105], 0
	scratch_store_b64 off, v[104:105], off offset:112
	s_wait_loadcnt 0x0
	ds_store_b64 v1, v[102:103]
.LBB113_285:
	s_wait_xcnt 0x0
	s_or_b32 exec_lo, exec_lo, s0
	s_wait_storecnt_dscnt 0x0
	s_barrier_signal -1
	s_barrier_wait -1
	s_clause 0x12
	scratch_load_b128 v[102:105], off, off offset:120
	scratch_load_b128 v[106:109], off, off offset:136
	;; [unrolled: 1-line block ×17, first 2 shown]
	scratch_load_b64 v[238:239], off, off offset:392
	scratch_load_b64 v[240:241], off, off offset:112
	v_mov_b32_e32 v7, 0
	ds_load_2addr_b64 v[170:173], v7 offset0:91 offset1:92
	ds_load_2addr_b64 v[174:177], v7 offset0:93 offset1:94
	;; [unrolled: 1-line block ×17, first 2 shown]
	ds_load_b64 v[242:243], v7 offset:792
	s_mov_b32 s0, exec_lo
	s_wait_dscnt 0x11
	v_dual_mov_b32 v244, v173 :: v_dual_mov_b32 v245, v172
	s_wait_dscnt 0x10
	v_dual_mov_b32 v246, v177 :: v_dual_mov_b32 v247, v176
	;; [unrolled: 2-line block ×3, first 2 shown]
	v_dual_mov_b32 v249, v180 :: v_dual_mov_b32 v250, v189
	s_wait_loadcnt_dscnt 0x120c
	v_dual_mul_f32 v9, v190, v103 :: v_dual_mul_f32 v59, v191, v103
	v_dual_mul_f32 v61, v193, v105 :: v_dual_mul_f32 v11, v192, v105
	s_wait_loadcnt_dscnt 0x110b
	v_mul_f32_e32 v13, v194, v107
	s_wait_loadcnt_dscnt 0xf09
	v_dual_mul_f32 v71, v203, v115 :: v_dual_fma_f32 v59, v190, v102, -v59
	v_dual_fmac_f32 v9, v191, v102 :: v_dual_mul_f32 v73, v205, v117
	v_dual_mul_f32 v63, v195, v107 :: v_dual_mul_f32 v65, v197, v109
	v_dual_fmac_f32 v11, v193, v104 :: v_dual_fma_f32 v61, v192, v104, -v61
	s_delay_alu instid0(VALU_DEP_3) | instskip(SKIP_3) | instid1(VALU_DEP_3)
	v_dual_add_f32 v9, 0, v9 :: v_dual_add_f32 v59, 0, v59
	v_dual_mul_f32 v15, v196, v109 :: v_dual_mul_f32 v17, v198, v111
	s_wait_loadcnt_dscnt 0xe08
	v_dual_mul_f32 v75, v207, v119 :: v_dual_fma_f32 v63, v194, v106, -v63
	v_dual_fmac_f32 v13, v195, v106 :: v_dual_add_f32 v9, v9, v11
	s_delay_alu instid0(VALU_DEP_3) | instskip(SKIP_2) | instid1(VALU_DEP_3)
	v_dual_add_f32 v11, v59, v61 :: v_dual_fmac_f32 v15, v197, v108
	v_dual_mul_f32 v67, v199, v111 :: v_dual_mul_f32 v69, v201, v113
	v_dual_mul_f32 v59, v209, v121 :: v_dual_fma_f32 v61, v196, v108, -v65
	v_dual_add_f32 v9, v9, v13 :: v_dual_add_f32 v11, v11, v63
	v_dual_mul_f32 v19, v200, v113 :: v_dual_mul_f32 v21, v202, v115
	s_wait_loadcnt_dscnt 0xd07
	v_dual_mul_f32 v13, v211, v123 :: v_dual_fma_f32 v63, v198, v110, -v67
	s_delay_alu instid0(VALU_DEP_3) | instskip(NEXT) | instid1(VALU_DEP_3)
	v_dual_fmac_f32 v17, v199, v110 :: v_dual_add_f32 v9, v9, v15
	v_dual_add_f32 v11, v11, v61 :: v_dual_fmac_f32 v19, v201, v112
	v_dual_mul_f32 v15, v213, v125 :: v_dual_fma_f32 v61, v200, v112, -v69
	s_delay_alu instid0(VALU_DEP_2) | instskip(SKIP_3) | instid1(VALU_DEP_3)
	v_dual_add_f32 v9, v9, v17 :: v_dual_add_f32 v11, v11, v63
	v_dual_mul_f32 v23, v204, v117 :: v_dual_mul_f32 v25, v206, v119
	s_wait_loadcnt_dscnt 0xc06
	v_dual_mul_f32 v17, v215, v127 :: v_dual_fma_f32 v63, v202, v114, -v71
	v_dual_fmac_f32 v21, v203, v114 :: v_dual_add_f32 v9, v9, v19
	s_delay_alu instid0(VALU_DEP_3) | instskip(SKIP_1) | instid1(VALU_DEP_2)
	v_dual_add_f32 v11, v11, v61 :: v_dual_fmac_f32 v23, v205, v116
	v_dual_mul_f32 v19, v217, v129 :: v_dual_fma_f32 v61, v204, v116, -v73
	v_dual_add_f32 v9, v9, v21 :: v_dual_add_f32 v11, v11, v63
	v_dual_mul_f32 v27, v208, v121 :: v_dual_mul_f32 v29, v210, v123
	s_wait_loadcnt_dscnt 0xb05
	v_dual_mul_f32 v21, v219, v131 :: v_dual_fma_f32 v63, v206, v118, -v75
	s_delay_alu instid0(VALU_DEP_3) | instskip(NEXT) | instid1(VALU_DEP_3)
	v_dual_fmac_f32 v25, v207, v118 :: v_dual_add_f32 v9, v9, v23
	v_dual_add_f32 v11, v11, v61 :: v_dual_fmac_f32 v27, v209, v120
	v_dual_mul_f32 v23, v221, v133 :: v_dual_fma_f32 v59, v208, v120, -v59
	s_delay_alu instid0(VALU_DEP_2) | instskip(SKIP_3) | instid1(VALU_DEP_3)
	v_dual_add_f32 v9, v9, v25 :: v_dual_add_f32 v11, v11, v63
	v_dual_mul_f32 v31, v212, v125 :: v_dual_mul_f32 v33, v214, v127
	s_wait_loadcnt_dscnt 0xa04
	v_dual_mul_f32 v25, v223, v135 :: v_dual_fma_f32 v13, v210, v122, -v13
	v_dual_fmac_f32 v29, v211, v122 :: v_dual_add_f32 v9, v9, v27
	v_dual_add_f32 v11, v11, v59 :: v_dual_mul_f32 v27, v225, v137
	v_fmac_f32_e32 v31, v213, v124
	s_delay_alu instid0(VALU_DEP_3) | instskip(NEXT) | instid1(VALU_DEP_3)
	v_dual_fma_f32 v15, v212, v124, -v15 :: v_dual_add_f32 v9, v9, v29
	v_add_f32_e32 v11, v11, v13
	v_dual_mul_f32 v35, v216, v129 :: v_dual_mul_f32 v37, v218, v131
	s_wait_loadcnt_dscnt 0x903
	v_dual_mul_f32 v13, v227, v139 :: v_dual_fma_f32 v17, v214, v126, -v17
	v_dual_fmac_f32 v33, v215, v126 :: v_dual_add_f32 v9, v9, v31
	v_dual_add_f32 v11, v11, v15 :: v_dual_mul_f32 v15, v229, v141
	v_fmac_f32_e32 v35, v217, v128
	s_delay_alu instid0(VALU_DEP_3) | instskip(NEXT) | instid1(VALU_DEP_3)
	v_dual_fma_f32 v19, v216, v128, -v19 :: v_dual_add_f32 v9, v9, v33
	v_add_f32_e32 v11, v11, v17
	;; [unrolled: 9-line block ×4, first 2 shown]
	v_dual_mul_f32 v47, v228, v141 :: v_dual_mul_f32 v49, v230, v143
	s_wait_loadcnt 0x6
	v_dual_mul_f32 v25, v183, v151 :: v_dual_fma_f32 v13, v226, v138, -v13
	v_dual_fmac_f32 v45, v227, v138 :: v_dual_add_f32 v9, v9, v43
	v_dual_add_f32 v11, v11, v27 :: v_dual_mul_f32 v27, v185, v153
	v_fmac_f32_e32 v47, v229, v140
	s_delay_alu instid0(VALU_DEP_3) | instskip(NEXT) | instid1(VALU_DEP_3)
	v_dual_fma_f32 v15, v228, v140, -v15 :: v_dual_add_f32 v9, v9, v45
	v_add_f32_e32 v11, v11, v13
	v_dual_mul_f32 v51, v232, v145 :: v_dual_mul_f32 v53, v234, v147
	s_wait_loadcnt 0x5
	v_dual_mul_f32 v13, v171, v155 :: v_dual_fma_f32 v17, v230, v142, -v17
	v_dual_fmac_f32 v49, v231, v142 :: v_dual_add_f32 v9, v9, v47
	v_dual_add_f32 v11, v11, v15 :: v_dual_mov_b32 v102, v157
	v_fmac_f32_e32 v51, v233, v144
	s_delay_alu instid0(VALU_DEP_3) | instskip(NEXT) | instid1(VALU_DEP_3)
	v_dual_fma_f32 v15, v232, v144, -v19 :: v_dual_add_f32 v9, v9, v49
	v_add_f32_e32 v11, v11, v17
	v_dual_mul_f32 v55, v236, v149 :: v_dual_mul_f32 v57, v182, v151
	s_delay_alu instid0(VALU_DEP_3) | instskip(NEXT) | instid1(VALU_DEP_3)
	v_dual_fmac_f32 v53, v235, v146 :: v_dual_add_f32 v9, v9, v51
	v_dual_fma_f32 v17, v234, v146, -v21 :: v_dual_add_f32 v11, v11, v15
	s_wait_loadcnt 0x4
	v_dual_mov_b32 v106, v161 :: v_dual_fma_f32 v15, v236, v148, -v23
	v_fmac_f32_e32 v55, v237, v148
	v_dual_add_f32 v9, v9, v53 :: v_dual_fmac_f32 v57, v183, v150
	v_add_f32_e32 v11, v11, v17
	v_dual_mul_f32 v253, v184, v153 :: v_dual_mul_f32 v255, v170, v155
	s_delay_alu instid0(VALU_DEP_3) | instskip(NEXT) | instid1(VALU_DEP_2)
	v_dual_fma_f32 v17, v182, v150, -v25 :: v_dual_add_f32 v9, v9, v55
	v_dual_add_f32 v11, v11, v15 :: v_dual_fmac_f32 v253, v185, v152
	v_fma_f32 v252, v184, v152, -v27
	v_pk_mul_f32 v[102:103], v[244:245], v[102:103] op_sel_hi:[1,0]
	s_delay_alu instid0(VALU_DEP_4)
	v_add_f32_e32 v111, v9, v57
	s_wait_loadcnt 0x3
	v_dual_add_f32 v110, v11, v17 :: v_dual_mov_b32 v112, v165
	v_pk_mul_f32 v[104:105], v[174:175], v[158:159] op_sel:[1,1] op_sel_hi:[0,1]
	v_dual_fmac_f32 v255, v171, v154 :: v_dual_fma_f32 v254, v170, v154, -v13
	v_pk_fma_f32 v[114:115], v[172:173], v[156:157], v[102:103] op_sel_hi:[1,0,1]
	s_delay_alu instid0(VALU_DEP_4)
	v_pk_add_f32 v[110:111], v[110:111], v[252:253]
	v_pk_fma_f32 v[102:103], v[172:173], v[156:157], v[102:103] neg_lo:[0,0,1] neg_hi:[0,0,1]
	v_pk_fma_f32 v[116:117], v[174:175], v[158:159], v[104:105] op_sel_hi:[1,0,1]
	v_pk_mul_f32 v[106:107], v[246:247], v[106:107] op_sel_hi:[1,0]
	v_mov_b32_e32 v103, v115
	v_pk_add_f32 v[110:111], v[110:111], v[254:255]
	v_pk_fma_f32 v[104:105], v[174:175], v[158:159], v[104:105] neg_lo:[0,0,1] neg_hi:[0,0,1]
	v_pk_mul_f32 v[108:109], v[178:179], v[162:163] op_sel:[1,1] op_sel_hi:[0,1]
	v_mov_b32_e32 v105, v117
	v_pk_fma_f32 v[116:117], v[176:177], v[160:161], v[106:107] op_sel_hi:[1,0,1]
	v_pk_add_f32 v[102:103], v[110:111], v[102:103]
	v_pk_fma_f32 v[106:107], v[176:177], v[160:161], v[106:107] neg_lo:[0,0,1] neg_hi:[0,0,1]
	v_pk_fma_f32 v[110:111], v[178:179], v[162:163], v[108:109] op_sel_hi:[1,0,1]
	v_pk_mul_f32 v[112:113], v[248:249], v[112:113] op_sel_hi:[1,0]
	v_mov_b32_e32 v107, v117
	v_pk_add_f32 v[102:103], v[102:103], v[104:105]
	v_pk_fma_f32 v[108:109], v[178:179], v[162:163], v[108:109] neg_lo:[0,0,1] neg_hi:[0,0,1]
	s_wait_loadcnt 0x2
	v_pk_mul_f32 v[114:115], v[186:187], v[166:167] op_sel:[1,1] op_sel_hi:[0,1]
	v_dual_mov_b32 v104, v169 :: v_dual_mov_b32 v109, v111
	v_pk_fma_f32 v[110:111], v[180:181], v[164:165], v[112:113] op_sel_hi:[1,0,1]
	v_pk_add_f32 v[102:103], v[102:103], v[106:107]
	v_pk_fma_f32 v[112:113], v[180:181], v[164:165], v[112:113] neg_lo:[0,0,1] neg_hi:[0,0,1]
	v_pk_fma_f32 v[106:107], v[186:187], v[166:167], v[114:115] op_sel_hi:[1,0,1]
	v_pk_mul_f32 v[104:105], v[250:251], v[104:105] op_sel_hi:[1,0]
	v_mov_b32_e32 v113, v111
	v_pk_add_f32 v[102:103], v[102:103], v[108:109]
	v_pk_fma_f32 v[108:109], v[186:187], v[166:167], v[114:115] neg_lo:[0,0,1] neg_hi:[0,0,1]
	v_mov_b32_e32 v109, v107
	v_pk_fma_f32 v[106:107], v[188:189], v[168:169], v[104:105] op_sel_hi:[1,0,1]
	s_wait_loadcnt_dscnt 0x100
	v_pk_mul_f32 v[110:111], v[242:243], v[238:239] op_sel:[1,1] op_sel_hi:[0,1]
	v_pk_add_f32 v[102:103], v[102:103], v[112:113]
	v_pk_fma_f32 v[104:105], v[188:189], v[168:169], v[104:105] neg_lo:[0,0,1] neg_hi:[0,0,1]
	v_mov_b32_e32 v105, v107
	s_delay_alu instid0(VALU_DEP_4) | instskip(NEXT) | instid1(VALU_DEP_4)
	v_pk_fma_f32 v[106:107], v[242:243], v[238:239], v[110:111] op_sel_hi:[1,0,1]
	v_pk_add_f32 v[102:103], v[102:103], v[108:109]
	v_pk_fma_f32 v[108:109], v[242:243], v[238:239], v[110:111] neg_lo:[0,0,1] neg_hi:[0,0,1]
	s_delay_alu instid0(VALU_DEP_3) | instskip(NEXT) | instid1(VALU_DEP_3)
	v_mov_b32_e32 v109, v107
	v_pk_add_f32 v[102:103], v[102:103], v[104:105]
	s_delay_alu instid0(VALU_DEP_1) | instskip(SKIP_1) | instid1(VALU_DEP_1)
	v_pk_add_f32 v[102:103], v[102:103], v[108:109]
	s_wait_loadcnt 0x0
	v_pk_add_f32 v[102:103], v[240:241], v[102:103] neg_lo:[0,1] neg_hi:[0,1]
	scratch_store_b64 off, v[102:103], off offset:112
	s_wait_xcnt 0x0
	v_cmpx_lt_u32_e32 13, v0
	s_cbranch_execz .LBB113_287
; %bb.286:
	scratch_load_b64 v[102:103], off, off offset:104
	v_mov_b64_e32 v[104:105], 0
	scratch_store_b64 off, v[104:105], off offset:104
	s_wait_loadcnt 0x0
	ds_store_b64 v1, v[102:103]
.LBB113_287:
	s_wait_xcnt 0x0
	s_or_b32 exec_lo, exec_lo, s0
	s_wait_storecnt_dscnt 0x0
	s_barrier_signal -1
	s_barrier_wait -1
	s_clause 0x12
	scratch_load_b128 v[102:105], off, off offset:112
	scratch_load_b128 v[106:109], off, off offset:128
	;; [unrolled: 1-line block ×18, first 2 shown]
	scratch_load_b64 v[246:247], off, off offset:104
	ds_load_b128 v[174:177], v7 offset:736
	ds_load_b128 v[178:181], v7 offset:752
	;; [unrolled: 1-line block ×18, first 2 shown]
	s_mov_b32 s0, exec_lo
	s_wait_dscnt 0x11
	v_dual_mov_b32 v248, v177 :: v_dual_mov_b32 v249, v176
	s_wait_dscnt 0x10
	v_dual_mov_b32 v250, v181 :: v_dual_mov_b32 v251, v180
	;; [unrolled: 2-line block ×4, first 2 shown]
	s_wait_loadcnt_dscnt 0x120d
	v_dual_mul_f32 v7, v190, v103 :: v_dual_mul_f32 v9, v192, v105
	v_dual_mul_f32 v59, v191, v103 :: v_dual_mul_f32 v61, v193, v105
	s_wait_loadcnt_dscnt 0x110c
	v_dual_mul_f32 v11, v194, v107 :: v_dual_mul_f32 v13, v196, v109
	s_delay_alu instid0(VALU_DEP_3) | instskip(SKIP_3) | instid1(VALU_DEP_3)
	v_dual_fmac_f32 v7, v191, v102 :: v_dual_fmac_f32 v9, v193, v104
	s_wait_loadcnt_dscnt 0xf0a
	v_dual_fma_f32 v59, v190, v102, -v59 :: v_dual_mul_f32 v71, v203, v115
	v_dual_mul_f32 v63, v195, v107 :: v_dual_mul_f32 v65, v197, v109
	v_dual_fma_f32 v61, v192, v104, -v61 :: v_dual_add_f32 v7, 0, v7
	s_delay_alu instid0(VALU_DEP_3) | instskip(SKIP_1) | instid1(VALU_DEP_3)
	v_dual_add_f32 v59, 0, v59 :: v_dual_mul_f32 v73, v205, v117
	v_dual_fmac_f32 v11, v195, v106 :: v_dual_fmac_f32 v13, v197, v108
	v_dual_fma_f32 v63, v194, v106, -v63 :: v_dual_add_f32 v7, v7, v9
	s_delay_alu instid0(VALU_DEP_3) | instskip(SKIP_2) | instid1(VALU_DEP_4)
	v_dual_add_f32 v9, v59, v61 :: v_dual_fma_f32 v61, v196, v108, -v65
	v_dual_mul_f32 v15, v198, v111 :: v_dual_mul_f32 v17, v200, v113
	v_dual_mul_f32 v67, v199, v111 :: v_dual_mul_f32 v69, v201, v113
	v_add_f32_e32 v7, v7, v11
	s_delay_alu instid0(VALU_DEP_3) | instskip(NEXT) | instid1(VALU_DEP_3)
	v_dual_add_f32 v9, v9, v63 :: v_dual_fmac_f32 v15, v199, v110
	v_fma_f32 v63, v198, v110, -v67
	v_dual_mul_f32 v19, v202, v115 :: v_dual_mul_f32 v21, v204, v117
	s_delay_alu instid0(VALU_DEP_4) | instskip(SKIP_2) | instid1(VALU_DEP_2)
	v_dual_add_f32 v7, v7, v13 :: v_dual_fmac_f32 v17, v201, v112
	s_wait_loadcnt_dscnt 0xd08
	v_dual_add_f32 v9, v9, v61 :: v_dual_mul_f32 v13, v211, v123
	v_dual_fma_f32 v61, v200, v112, -v69 :: v_dual_add_f32 v7, v7, v15
	v_mul_f32_e32 v15, v213, v125
	s_delay_alu instid0(VALU_DEP_3) | instskip(NEXT) | instid1(VALU_DEP_3)
	v_dual_add_f32 v9, v9, v63 :: v_dual_fmac_f32 v19, v203, v114
	v_dual_fma_f32 v63, v202, v114, -v71 :: v_dual_add_f32 v7, v7, v17
	v_fmac_f32_e32 v21, v205, v116
	s_wait_loadcnt_dscnt 0xc07
	s_delay_alu instid0(VALU_DEP_3) | instskip(SKIP_3) | instid1(VALU_DEP_3)
	v_dual_add_f32 v9, v9, v61 :: v_dual_mul_f32 v17, v215, v127
	v_dual_mul_f32 v23, v206, v119 :: v_dual_mul_f32 v25, v208, v121
	v_dual_mul_f32 v59, v207, v119 :: v_dual_mul_f32 v11, v209, v121
	v_dual_fma_f32 v61, v204, v116, -v73 :: v_dual_add_f32 v7, v7, v19
	v_dual_add_f32 v9, v9, v63 :: v_dual_fmac_f32 v23, v207, v118
	s_delay_alu instid0(VALU_DEP_3) | instskip(NEXT) | instid1(VALU_DEP_3)
	v_dual_mul_f32 v19, v217, v129 :: v_dual_fma_f32 v59, v206, v118, -v59
	v_dual_add_f32 v7, v7, v21 :: v_dual_fmac_f32 v25, v209, v120
	s_wait_loadcnt_dscnt 0xb06
	s_delay_alu instid0(VALU_DEP_3) | instskip(SKIP_1) | instid1(VALU_DEP_3)
	v_dual_add_f32 v9, v9, v61 :: v_dual_mul_f32 v21, v219, v131
	v_dual_mul_f32 v27, v210, v123 :: v_dual_mul_f32 v29, v212, v125
	v_dual_fma_f32 v11, v208, v120, -v11 :: v_dual_add_f32 v7, v7, v23
	s_delay_alu instid0(VALU_DEP_2) | instskip(SKIP_1) | instid1(VALU_DEP_2)
	v_dual_add_f32 v9, v9, v59 :: v_dual_fmac_f32 v27, v211, v122
	v_dual_mul_f32 v23, v221, v133 :: v_dual_fma_f32 v13, v210, v122, -v13
	v_dual_add_f32 v7, v7, v25 :: v_dual_add_f32 v9, v9, v11
	v_dual_mul_f32 v31, v214, v127 :: v_dual_mul_f32 v33, v216, v129
	s_wait_loadcnt_dscnt 0xa05
	v_dual_mul_f32 v11, v223, v135 :: v_dual_fmac_f32 v29, v213, v124
	s_delay_alu instid0(VALU_DEP_3) | instskip(NEXT) | instid1(VALU_DEP_3)
	v_dual_fma_f32 v15, v212, v124, -v15 :: v_dual_add_f32 v7, v7, v27
	v_dual_add_f32 v9, v9, v13 :: v_dual_fmac_f32 v31, v215, v126
	v_dual_mul_f32 v13, v225, v137 :: v_dual_fma_f32 v17, v214, v126, -v17
	s_delay_alu instid0(VALU_DEP_2) | instskip(SKIP_3) | instid1(VALU_DEP_3)
	v_dual_add_f32 v7, v7, v29 :: v_dual_add_f32 v9, v9, v15
	v_dual_mul_f32 v35, v218, v131 :: v_dual_mul_f32 v37, v220, v133
	s_wait_loadcnt_dscnt 0x904
	v_dual_mul_f32 v15, v227, v139 :: v_dual_fmac_f32 v33, v217, v128
	v_dual_fma_f32 v19, v216, v128, -v19 :: v_dual_add_f32 v7, v7, v31
	s_delay_alu instid0(VALU_DEP_3) | instskip(SKIP_1) | instid1(VALU_DEP_2)
	v_dual_add_f32 v9, v9, v17 :: v_dual_fmac_f32 v35, v219, v130
	v_dual_mul_f32 v17, v229, v141 :: v_dual_fma_f32 v21, v218, v130, -v21
	v_dual_add_f32 v7, v7, v33 :: v_dual_add_f32 v9, v9, v19
	v_dual_mul_f32 v39, v222, v135 :: v_dual_mul_f32 v41, v224, v137
	s_wait_loadcnt_dscnt 0x803
	v_dual_mul_f32 v19, v231, v143 :: v_dual_fmac_f32 v37, v221, v132
	s_delay_alu instid0(VALU_DEP_3) | instskip(NEXT) | instid1(VALU_DEP_3)
	v_dual_fma_f32 v23, v220, v132, -v23 :: v_dual_add_f32 v7, v7, v35
	v_dual_add_f32 v9, v9, v21 :: v_dual_fmac_f32 v39, v223, v134
	v_dual_mul_f32 v21, v233, v145 :: v_dual_fma_f32 v11, v222, v134, -v11
	s_delay_alu instid0(VALU_DEP_2) | instskip(SKIP_3) | instid1(VALU_DEP_3)
	v_dual_add_f32 v7, v7, v37 :: v_dual_add_f32 v9, v9, v23
	v_dual_mul_f32 v43, v226, v139 :: v_dual_mul_f32 v45, v228, v141
	s_wait_loadcnt_dscnt 0x702
	v_dual_mul_f32 v23, v235, v147 :: v_dual_fmac_f32 v41, v225, v136
	v_dual_fma_f32 v13, v224, v136, -v13 :: v_dual_add_f32 v7, v7, v39
	s_delay_alu instid0(VALU_DEP_3) | instskip(SKIP_1) | instid1(VALU_DEP_3)
	v_dual_add_f32 v9, v9, v11 :: v_dual_fmac_f32 v43, v227, v138
	v_dual_mul_f32 v11, v237, v149 :: v_dual_fma_f32 v15, v226, v138, -v15
	v_dual_add_f32 v7, v7, v41 :: v_dual_fmac_f32 v45, v229, v140
	s_wait_loadcnt_dscnt 0x601
	s_delay_alu instid0(VALU_DEP_3) | instskip(SKIP_1) | instid1(VALU_DEP_3)
	v_dual_add_f32 v9, v9, v13 :: v_dual_mul_f32 v13, v239, v151
	v_dual_mul_f32 v47, v230, v143 :: v_dual_mul_f32 v49, v232, v145
	v_dual_fma_f32 v17, v228, v140, -v17 :: v_dual_add_f32 v7, v7, v43
	s_delay_alu instid0(VALU_DEP_2) | instskip(SKIP_1) | instid1(VALU_DEP_3)
	v_dual_add_f32 v9, v9, v15 :: v_dual_fmac_f32 v47, v231, v142
	v_dual_mul_f32 v15, v241, v153 :: v_dual_fma_f32 v19, v230, v142, -v19
	v_dual_add_f32 v7, v7, v45 :: v_dual_fmac_f32 v49, v233, v144
	s_wait_loadcnt_dscnt 0x500
	s_delay_alu instid0(VALU_DEP_3) | instskip(SKIP_1) | instid1(VALU_DEP_3)
	v_dual_add_f32 v9, v9, v17 :: v_dual_mul_f32 v17, v243, v155
	v_dual_mul_f32 v51, v234, v147 :: v_dual_mul_f32 v53, v236, v149
	v_dual_fma_f32 v21, v232, v144, -v21 :: v_dual_add_f32 v7, v7, v47
	s_delay_alu instid0(VALU_DEP_2) | instskip(SKIP_1) | instid1(VALU_DEP_3)
	v_dual_add_f32 v9, v9, v19 :: v_dual_fmac_f32 v51, v235, v146
	v_dual_mul_f32 v19, v245, v157 :: v_dual_fma_f32 v23, v234, v146, -v23
	v_dual_add_f32 v7, v7, v49 :: v_dual_fmac_f32 v53, v237, v148
	s_delay_alu instid0(VALU_DEP_3) | instskip(SKIP_2) | instid1(VALU_DEP_3)
	v_dual_add_f32 v9, v9, v21 :: v_dual_fma_f32 v11, v236, v148, -v11
	v_dual_mul_f32 v55, v238, v151 :: v_dual_mul_f32 v57, v240, v153
	s_wait_loadcnt 0x4
	v_dual_add_f32 v7, v7, v51 :: v_dual_mov_b32 v104, v161
	s_delay_alu instid0(VALU_DEP_2) | instskip(NEXT) | instid1(VALU_DEP_2)
	v_dual_add_f32 v9, v9, v23 :: v_dual_fmac_f32 v55, v239, v150
	v_dual_fma_f32 v13, v238, v150, -v13 :: v_dual_add_f32 v7, v7, v53
	s_set_vgpr_msb 64                       ;  msbs: dst=1 src0=0 src1=0 src2=0
	v_dual_mul_f32 v1 /*v257*/, v242, v155 :: v_dual_mul_f32 v3 /*v259*/, v244, v157
	s_set_vgpr_msb 0                        ;  msbs: dst=0 src0=0 src1=0 src2=0
	v_dual_add_f32 v9, v9, v11 :: v_dual_fma_f32 v11, v240, v152, -v15
	v_dual_fmac_f32 v57, v241, v152 :: v_dual_add_f32 v7, v7, v55
	v_pk_mul_f32 v[102:103], v[174:175], v[158:159] op_sel:[1,1] op_sel_hi:[0,1]
	s_delay_alu instid0(VALU_DEP_3)
	v_add_f32_e32 v9, v9, v13
	s_wait_loadcnt 0x3
	v_mov_b32_e32 v108, v165
	s_set_vgpr_msb 64                       ;  msbs: dst=1 src0=0 src1=0 src2=0
	v_dual_fmac_f32 v1 /*v257*/, v243, v154 :: v_dual_fmac_f32 v3 /*v259*/, v245, v156
	v_dual_fma_f32 v0 /*v256*/, v242, v154, -v17 :: v_dual_fma_f32 v2 /*v258*/, v244, v156, -v19
	s_set_vgpr_msb 0                        ;  msbs: dst=0 src0=0 src1=0 src2=0
	v_dual_add_f32 v111, v7, v57 :: v_dual_add_f32 v110, v9, v11
	v_pk_fma_f32 v[112:113], v[174:175], v[158:159], v[102:103] op_sel_hi:[1,0,1]
	v_pk_mul_f32 v[104:105], v[248:249], v[104:105] op_sel_hi:[1,0]
	v_pk_fma_f32 v[102:103], v[174:175], v[158:159], v[102:103] neg_lo:[0,0,1] neg_hi:[0,0,1]
	v_pk_mul_f32 v[106:107], v[178:179], v[162:163] op_sel:[1,1] op_sel_hi:[0,1]
	s_set_vgpr_msb 4                        ;  msbs: dst=0 src0=0 src1=1 src2=0
	v_pk_add_f32 v[110:111], v[110:111], v[0:1] /*v[256:257]*/
	v_mov_b32_e32 v103, v113
	s_set_vgpr_msb 0                        ;  msbs: dst=0 src0=0 src1=0 src2=0
	v_pk_fma_f32 v[112:113], v[176:177], v[160:161], v[104:105] op_sel_hi:[1,0,1]
	v_pk_fma_f32 v[104:105], v[176:177], v[160:161], v[104:105] neg_lo:[0,0,1] neg_hi:[0,0,1]
	v_pk_fma_f32 v[116:117], v[178:179], v[162:163], v[106:107] op_sel_hi:[1,0,1]
	s_set_vgpr_msb 4                        ;  msbs: dst=0 src0=0 src1=1 src2=0
	v_pk_add_f32 v[110:111], v[110:111], v[2:3] /*v[258:259]*/
	s_set_vgpr_msb 0                        ;  msbs: dst=0 src0=0 src1=0 src2=0
	v_pk_mul_f32 v[108:109], v[250:251], v[108:109] op_sel_hi:[1,0]
	v_mov_b32_e32 v105, v113
	s_wait_loadcnt 0x2
	v_pk_mul_f32 v[114:115], v[182:183], v[166:167] op_sel:[1,1] op_sel_hi:[0,1]
	v_pk_fma_f32 v[106:107], v[178:179], v[162:163], v[106:107] neg_lo:[0,0,1] neg_hi:[0,0,1]
	v_pk_add_f32 v[102:103], v[110:111], v[102:103]
	v_dual_mov_b32 v110, v169 :: v_dual_mov_b32 v107, v117
	v_pk_fma_f32 v[112:113], v[180:181], v[164:165], v[108:109] op_sel_hi:[1,0,1]
	v_pk_fma_f32 v[108:109], v[180:181], v[164:165], v[108:109] neg_lo:[0,0,1] neg_hi:[0,0,1]
	s_delay_alu instid0(VALU_DEP_4)
	v_pk_add_f32 v[102:103], v[102:103], v[104:105]
	v_pk_fma_f32 v[104:105], v[182:183], v[166:167], v[114:115] op_sel_hi:[1,0,1]
	v_pk_mul_f32 v[110:111], v[252:253], v[110:111] op_sel_hi:[1,0]
	v_mov_b32_e32 v109, v113
	v_pk_fma_f32 v[112:113], v[182:183], v[166:167], v[114:115] neg_lo:[0,0,1] neg_hi:[0,0,1]
	v_pk_add_f32 v[102:103], v[102:103], v[106:107]
	v_mov_b32_e32 v113, v105
	v_pk_fma_f32 v[104:105], v[184:185], v[168:169], v[110:111] op_sel_hi:[1,0,1]
	s_wait_loadcnt 0x1
	v_pk_mul_f32 v[106:107], v[186:187], v[170:171] op_sel:[1,1] op_sel_hi:[0,1]
	v_mov_b32_e32 v104, v173
	v_pk_add_f32 v[102:103], v[102:103], v[108:109]
	v_pk_fma_f32 v[110:111], v[184:185], v[168:169], v[110:111] neg_lo:[0,0,1] neg_hi:[0,0,1]
	v_mov_b32_e32 v111, v105
	v_pk_fma_f32 v[108:109], v[186:187], v[170:171], v[106:107] op_sel_hi:[1,0,1]
	v_pk_mul_f32 v[104:105], v[254:255], v[104:105] op_sel_hi:[1,0]
	v_pk_add_f32 v[102:103], v[102:103], v[112:113]
	v_pk_fma_f32 v[106:107], v[186:187], v[170:171], v[106:107] neg_lo:[0,0,1] neg_hi:[0,0,1]
	s_delay_alu instid0(VALU_DEP_4) | instskip(NEXT) | instid1(VALU_DEP_4)
	v_mov_b32_e32 v107, v109
	v_pk_fma_f32 v[108:109], v[188:189], v[172:173], v[104:105] op_sel_hi:[1,0,1]
	s_delay_alu instid0(VALU_DEP_4) | instskip(SKIP_1) | instid1(VALU_DEP_3)
	v_pk_add_f32 v[102:103], v[102:103], v[110:111]
	v_pk_fma_f32 v[104:105], v[188:189], v[172:173], v[104:105] neg_lo:[0,0,1] neg_hi:[0,0,1]
	v_mov_b32_e32 v105, v109
	s_delay_alu instid0(VALU_DEP_3) | instskip(NEXT) | instid1(VALU_DEP_1)
	v_pk_add_f32 v[102:103], v[102:103], v[106:107]
	v_pk_add_f32 v[102:103], v[102:103], v[104:105]
	s_wait_loadcnt 0x0
	s_delay_alu instid0(VALU_DEP_1)
	v_pk_add_f32 v[102:103], v[246:247], v[102:103] neg_lo:[0,1] neg_hi:[0,1]
	scratch_store_b64 off, v[102:103], off offset:104
	s_wait_xcnt 0x0
	v_cmpx_lt_u32_e32 12, v0
	s_cbranch_execz .LBB113_289
; %bb.288:
	scratch_load_b64 v[102:103], off, off offset:96
	v_mov_b64_e32 v[104:105], 0
	scratch_store_b64 off, v[104:105], off offset:96
	s_wait_loadcnt 0x0
	ds_store_b64 v1, v[102:103]
.LBB113_289:
	s_wait_xcnt 0x0
	s_or_b32 exec_lo, exec_lo, s0
	s_wait_storecnt_dscnt 0x0
	s_barrier_signal -1
	s_barrier_wait -1
	s_clause 0x13
	scratch_load_b128 v[102:105], off, off offset:104
	scratch_load_b128 v[106:109], off, off offset:120
	;; [unrolled: 1-line block ×18, first 2 shown]
	scratch_load_b64 v[246:247], off, off offset:392
	scratch_load_b64 v[248:249], off, off offset:96
	v_mov_b32_e32 v7, 0
	ds_load_2addr_b64 v[174:177], v7 offset0:91 offset1:92
	ds_load_2addr_b64 v[178:181], v7 offset0:93 offset1:94
	;; [unrolled: 1-line block ×18, first 2 shown]
	ds_load_b64 v[250:251], v7 offset:792
	s_mov_b32 s0, exec_lo
	s_wait_dscnt 0x11
	v_dual_mov_b32 v252, v177 :: v_dual_mov_b32 v255, v180
	v_dual_mov_b32 v253, v176 :: v_dual_mov_b32 v254, v181
	s_wait_dscnt 0x10
	s_set_vgpr_msb 64                       ;  msbs: dst=1 src0=0 src1=0 src2=0
	v_dual_mov_b32 v0 /*v256*/, v185 :: v_dual_mov_b32 v1 /*v257*/, v184
	s_wait_dscnt 0xd
	v_dual_mov_b32 v2 /*v258*/, v197 :: v_dual_mov_b32 v3 /*v259*/, v196
	s_wait_loadcnt 0x13
	s_set_vgpr_msb 0                        ;  msbs: dst=0 src0=0 src1=0 src2=0
	v_dual_mul_f32 v9, v186, v103 :: v_dual_mul_f32 v63, v187, v103
	v_dual_mul_f32 v65, v189, v105 :: v_dual_mul_f32 v11, v188, v105
	s_wait_loadcnt 0x12
	v_mul_f32_e32 v13, v190, v107
	s_wait_loadcnt_dscnt 0x100b
	v_dual_mul_f32 v75, v203, v115 :: v_dual_fma_f32 v63, v186, v102, -v63
	v_dual_fmac_f32 v9, v187, v102 :: v_dual_mul_f32 v77, v205, v117
	v_dual_mul_f32 v67, v191, v107 :: v_dual_mul_f32 v69, v193, v109
	v_dual_fmac_f32 v11, v189, v104 :: v_dual_fma_f32 v65, v188, v104, -v65
	s_delay_alu instid0(VALU_DEP_3) | instskip(SKIP_3) | instid1(VALU_DEP_3)
	v_dual_add_f32 v9, 0, v9 :: v_dual_add_f32 v63, 0, v63
	v_dual_mul_f32 v15, v192, v109 :: v_dual_mul_f32 v17, v198, v111
	s_wait_loadcnt_dscnt 0xf0a
	v_dual_mul_f32 v79, v207, v119 :: v_dual_fma_f32 v67, v190, v106, -v67
	v_dual_fmac_f32 v13, v191, v106 :: v_dual_add_f32 v9, v9, v11
	s_delay_alu instid0(VALU_DEP_3) | instskip(SKIP_2) | instid1(VALU_DEP_3)
	v_dual_add_f32 v11, v63, v65 :: v_dual_fmac_f32 v15, v193, v108
	v_dual_mul_f32 v71, v199, v111 :: v_dual_mul_f32 v73, v201, v113
	v_dual_mul_f32 v63, v209, v121 :: v_dual_fma_f32 v65, v192, v108, -v69
	v_dual_add_f32 v9, v9, v13 :: v_dual_add_f32 v11, v11, v67
	v_dual_mul_f32 v19, v200, v113 :: v_dual_mul_f32 v21, v202, v115
	s_wait_loadcnt_dscnt 0xe09
	v_dual_mul_f32 v13, v211, v123 :: v_dual_fma_f32 v67, v198, v110, -v71
	s_delay_alu instid0(VALU_DEP_3) | instskip(NEXT) | instid1(VALU_DEP_3)
	v_dual_fmac_f32 v17, v199, v110 :: v_dual_add_f32 v9, v9, v15
	v_dual_add_f32 v11, v11, v65 :: v_dual_fmac_f32 v19, v201, v112
	v_dual_mul_f32 v15, v213, v125 :: v_dual_fma_f32 v65, v200, v112, -v73
	s_delay_alu instid0(VALU_DEP_2) | instskip(SKIP_3) | instid1(VALU_DEP_3)
	v_dual_add_f32 v9, v9, v17 :: v_dual_add_f32 v11, v11, v67
	v_dual_mul_f32 v23, v204, v117 :: v_dual_mul_f32 v25, v206, v119
	s_wait_loadcnt_dscnt 0xd08
	v_dual_mul_f32 v17, v215, v127 :: v_dual_fma_f32 v67, v202, v114, -v75
	v_dual_fmac_f32 v21, v203, v114 :: v_dual_add_f32 v9, v9, v19
	s_delay_alu instid0(VALU_DEP_3) | instskip(SKIP_1) | instid1(VALU_DEP_2)
	v_dual_add_f32 v11, v11, v65 :: v_dual_fmac_f32 v23, v205, v116
	v_dual_mul_f32 v19, v217, v129 :: v_dual_fma_f32 v65, v204, v116, -v77
	v_dual_add_f32 v9, v9, v21 :: v_dual_add_f32 v11, v11, v67
	v_dual_mul_f32 v27, v208, v121 :: v_dual_mul_f32 v29, v210, v123
	s_wait_loadcnt_dscnt 0xc07
	v_dual_mul_f32 v21, v219, v131 :: v_dual_fma_f32 v67, v206, v118, -v79
	s_delay_alu instid0(VALU_DEP_3) | instskip(NEXT) | instid1(VALU_DEP_3)
	v_dual_fmac_f32 v25, v207, v118 :: v_dual_add_f32 v9, v9, v23
	v_dual_add_f32 v11, v11, v65 :: v_dual_fmac_f32 v27, v209, v120
	v_dual_mul_f32 v23, v221, v133 :: v_dual_fma_f32 v63, v208, v120, -v63
	s_delay_alu instid0(VALU_DEP_2) | instskip(SKIP_3) | instid1(VALU_DEP_3)
	v_dual_add_f32 v9, v9, v25 :: v_dual_add_f32 v11, v11, v67
	v_dual_mul_f32 v31, v212, v125 :: v_dual_mul_f32 v33, v214, v127
	s_wait_loadcnt_dscnt 0xb06
	v_dual_mul_f32 v25, v223, v135 :: v_dual_fma_f32 v13, v210, v122, -v13
	v_dual_fmac_f32 v29, v211, v122 :: v_dual_add_f32 v9, v9, v27
	v_dual_add_f32 v11, v11, v63 :: v_dual_mul_f32 v27, v225, v137
	v_fmac_f32_e32 v31, v213, v124
	s_delay_alu instid0(VALU_DEP_3) | instskip(NEXT) | instid1(VALU_DEP_3)
	v_dual_fma_f32 v15, v212, v124, -v15 :: v_dual_add_f32 v9, v9, v29
	v_add_f32_e32 v11, v11, v13
	v_dual_mul_f32 v35, v216, v129 :: v_dual_mul_f32 v37, v218, v131
	s_wait_loadcnt_dscnt 0xa05
	v_dual_mul_f32 v13, v227, v139 :: v_dual_fma_f32 v17, v214, v126, -v17
	v_dual_fmac_f32 v33, v215, v126 :: v_dual_add_f32 v9, v9, v31
	v_dual_add_f32 v11, v11, v15 :: v_dual_mul_f32 v15, v229, v141
	v_fmac_f32_e32 v35, v217, v128
	s_delay_alu instid0(VALU_DEP_3) | instskip(NEXT) | instid1(VALU_DEP_3)
	v_dual_fma_f32 v19, v216, v128, -v19 :: v_dual_add_f32 v9, v9, v33
	v_add_f32_e32 v11, v11, v17
	;; [unrolled: 9-line block ×6, first 2 shown]
	v_dual_mul_f32 v55, v236, v149 :: v_dual_mul_f32 v57, v238, v151
	s_wait_loadcnt 0x5
	v_dual_mul_f32 v17, v175, v159 :: v_dual_fma_f32 v21, v234, v146, -v21
	v_dual_fmac_f32 v53, v235, v146 :: v_dual_add_f32 v9, v9, v51
	v_dual_add_f32 v11, v11, v19 :: v_dual_mov_b32 v102, v161
	v_fmac_f32_e32 v55, v237, v148
	s_delay_alu instid0(VALU_DEP_3) | instskip(NEXT) | instid1(VALU_DEP_3)
	v_dual_fma_f32 v19, v236, v148, -v23 :: v_dual_add_f32 v9, v9, v53
	v_add_f32_e32 v11, v11, v21
	v_dual_mul_f32 v59, v240, v153 :: v_dual_mul_f32 v61, v242, v155
	s_delay_alu instid0(VALU_DEP_3) | instskip(NEXT) | instid1(VALU_DEP_3)
	v_dual_fmac_f32 v57, v239, v150 :: v_dual_add_f32 v9, v9, v55
	v_dual_fma_f32 v21, v238, v150, -v25 :: v_dual_add_f32 v11, v11, v19
	s_wait_loadcnt 0x4
	v_dual_mov_b32 v106, v165 :: v_dual_fma_f32 v19, v240, v152, -v27
	v_fmac_f32_e32 v59, v241, v152
	v_dual_add_f32 v9, v9, v57 :: v_dual_fmac_f32 v61, v243, v154
	v_add_f32_e32 v11, v11, v21
	s_set_vgpr_msb 64                       ;  msbs: dst=1 src0=0 src1=0 src2=0
	v_dual_mul_f32 v5 /*v261*/, v244, v157 :: v_dual_mul_f32 v7 /*v263*/, v174, v159
	s_set_vgpr_msb 0                        ;  msbs: dst=0 src0=0 src1=0 src2=0
	v_dual_fma_f32 v13, v242, v154, -v13 :: v_dual_add_f32 v9, v9, v59
	v_add_f32_e32 v11, v11, v19
	s_set_vgpr_msb 64                       ;  msbs: dst=1 src0=0 src1=0 src2=0
	v_dual_fmac_f32 v5 /*v261*/, v245, v156 :: v_dual_fmac_f32 v7 /*v263*/, v175, v158
	v_dual_fma_f32 v4 /*v260*/, v244, v156, -v15 :: v_dual_fma_f32 v6 /*v262*/, v174, v158, -v17
	s_set_vgpr_msb 0                        ;  msbs: dst=0 src0=0 src1=0 src2=0
	v_pk_mul_f32 v[102:103], v[252:253], v[102:103] op_sel_hi:[1,0]
	v_add_f32_e32 v111, v9, v61
	s_wait_loadcnt 0x3
	v_dual_add_f32 v110, v11, v13 :: v_dual_mov_b32 v112, v169
	v_pk_mul_f32 v[104:105], v[178:179], v[162:163] op_sel:[1,1] op_sel_hi:[0,1]
	v_pk_fma_f32 v[114:115], v[176:177], v[160:161], v[102:103] op_sel_hi:[1,0,1]
	v_pk_fma_f32 v[102:103], v[176:177], v[160:161], v[102:103] neg_lo:[0,0,1] neg_hi:[0,0,1]
	s_set_vgpr_msb 4                        ;  msbs: dst=0 src0=0 src1=1 src2=0
	v_pk_add_f32 v[110:111], v[110:111], v[4:5] /*v[260:261]*/
	s_set_vgpr_msb 0                        ;  msbs: dst=0 src0=0 src1=0 src2=0
	v_pk_mul_f32 v[106:107], v[254:255], v[106:107] op_sel_hi:[1,0]
	v_pk_fma_f32 v[116:117], v[178:179], v[162:163], v[104:105] op_sel_hi:[1,0,1]
	v_mov_b32_e32 v103, v115
	v_pk_fma_f32 v[104:105], v[178:179], v[162:163], v[104:105] neg_lo:[0,0,1] neg_hi:[0,0,1]
	s_set_vgpr_msb 4                        ;  msbs: dst=0 src0=0 src1=1 src2=0
	v_pk_add_f32 v[110:111], v[110:111], v[6:7] /*v[262:263]*/
	s_set_vgpr_msb 0                        ;  msbs: dst=0 src0=0 src1=0 src2=0
	v_pk_mul_f32 v[108:109], v[182:183], v[166:167] op_sel:[1,1] op_sel_hi:[0,1]
	v_mov_b32_e32 v105, v117
	v_pk_fma_f32 v[116:117], v[180:181], v[164:165], v[106:107] op_sel_hi:[1,0,1]
	v_pk_fma_f32 v[106:107], v[180:181], v[164:165], v[106:107] neg_lo:[0,0,1] neg_hi:[0,0,1]
	v_pk_add_f32 v[102:103], v[110:111], v[102:103]
	v_pk_fma_f32 v[110:111], v[182:183], v[166:167], v[108:109] op_sel_hi:[1,0,1]
	s_set_vgpr_msb 1                        ;  msbs: dst=0 src0=1 src1=0 src2=0
	v_pk_mul_f32 v[112:113], v[0:1] /*v[256:257]*/, v[112:113] op_sel_hi:[1,0]
	s_set_vgpr_msb 0                        ;  msbs: dst=0 src0=0 src1=0 src2=0
	v_mov_b32_e32 v107, v117
	v_pk_fma_f32 v[108:109], v[182:183], v[166:167], v[108:109] neg_lo:[0,0,1] neg_hi:[0,0,1]
	v_pk_add_f32 v[102:103], v[102:103], v[104:105]
	s_wait_loadcnt 0x2
	v_pk_mul_f32 v[114:115], v[194:195], v[170:171] op_sel:[1,1] op_sel_hi:[0,1]
	v_dual_mov_b32 v104, v173 :: v_dual_mov_b32 v109, v111
	v_pk_fma_f32 v[110:111], v[184:185], v[168:169], v[112:113] op_sel_hi:[1,0,1]
	v_pk_add_f32 v[102:103], v[102:103], v[106:107]
	v_pk_fma_f32 v[112:113], v[184:185], v[168:169], v[112:113] neg_lo:[0,0,1] neg_hi:[0,0,1]
	v_pk_fma_f32 v[106:107], v[194:195], v[170:171], v[114:115] op_sel_hi:[1,0,1]
	s_set_vgpr_msb 1                        ;  msbs: dst=0 src0=1 src1=0 src2=0
	v_pk_mul_f32 v[104:105], v[2:3] /*v[258:259]*/, v[104:105] op_sel_hi:[1,0]
	s_set_vgpr_msb 0                        ;  msbs: dst=0 src0=0 src1=0 src2=0
	v_mov_b32_e32 v113, v111
	v_pk_add_f32 v[102:103], v[102:103], v[108:109]
	v_pk_fma_f32 v[108:109], v[194:195], v[170:171], v[114:115] neg_lo:[0,0,1] neg_hi:[0,0,1]
	v_mov_b32_e32 v109, v107
	v_pk_fma_f32 v[106:107], v[196:197], v[172:173], v[104:105] op_sel_hi:[1,0,1]
	s_wait_loadcnt_dscnt 0x100
	v_pk_mul_f32 v[110:111], v[250:251], v[246:247] op_sel:[1,1] op_sel_hi:[0,1]
	v_pk_add_f32 v[102:103], v[102:103], v[112:113]
	v_pk_fma_f32 v[104:105], v[196:197], v[172:173], v[104:105] neg_lo:[0,0,1] neg_hi:[0,0,1]
	v_mov_b32_e32 v105, v107
	s_delay_alu instid0(VALU_DEP_4) | instskip(NEXT) | instid1(VALU_DEP_4)
	v_pk_fma_f32 v[106:107], v[250:251], v[246:247], v[110:111] op_sel_hi:[1,0,1]
	v_pk_add_f32 v[102:103], v[102:103], v[108:109]
	v_pk_fma_f32 v[108:109], v[250:251], v[246:247], v[110:111] neg_lo:[0,0,1] neg_hi:[0,0,1]
	s_delay_alu instid0(VALU_DEP_3) | instskip(NEXT) | instid1(VALU_DEP_3)
	v_mov_b32_e32 v109, v107
	v_pk_add_f32 v[102:103], v[102:103], v[104:105]
	s_delay_alu instid0(VALU_DEP_1) | instskip(SKIP_1) | instid1(VALU_DEP_1)
	v_pk_add_f32 v[102:103], v[102:103], v[108:109]
	s_wait_loadcnt 0x0
	v_pk_add_f32 v[102:103], v[248:249], v[102:103] neg_lo:[0,1] neg_hi:[0,1]
	scratch_store_b64 off, v[102:103], off offset:96
	s_wait_xcnt 0x0
	v_cmpx_lt_u32_e32 11, v0
	s_cbranch_execz .LBB113_291
; %bb.290:
	scratch_load_b64 v[102:103], off, off offset:88
	v_mov_b64_e32 v[104:105], 0
	scratch_store_b64 off, v[104:105], off offset:88
	s_wait_loadcnt 0x0
	ds_store_b64 v1, v[102:103]
.LBB113_291:
	s_wait_xcnt 0x0
	s_or_b32 exec_lo, exec_lo, s0
	s_wait_storecnt_dscnt 0x0
	s_barrier_signal -1
	s_barrier_wait -1
	s_clause 0x13
	scratch_load_b128 v[102:105], off, off offset:96
	scratch_load_b128 v[106:109], off, off offset:112
	;; [unrolled: 1-line block ×19, first 2 shown]
	scratch_load_b64 v[254:255], off, off offset:88
	ds_load_b128 v[178:181], v7 offset:736
	ds_load_b128 v[182:185], v7 offset:752
	;; [unrolled: 1-line block ×19, first 2 shown]
	s_mov_b32 s0, exec_lo
	s_wait_dscnt 0x12
	s_set_vgpr_msb 64                       ;  msbs: dst=1 src0=0 src1=0 src2=0
	v_dual_mov_b32 v0 /*v256*/, v181 :: v_dual_mov_b32 v1 /*v257*/, v180
	s_wait_dscnt 0x11
	v_dual_mov_b32 v2 /*v258*/, v185 :: v_dual_mov_b32 v3 /*v259*/, v184
	s_wait_dscnt 0xf
	;; [unrolled: 2-line block ×3, first 2 shown]
	v_dual_mov_b32 v6 /*v262*/, v197 :: v_dual_mov_b32 v7 /*v263*/, v196
	s_wait_loadcnt_dscnt 0x130d
	s_set_vgpr_msb 0                        ;  msbs: dst=0 src0=0 src1=0 src2=0
	v_dual_mul_f32 v7, v198, v103 :: v_dual_mul_f32 v9, v200, v105
	v_dual_mul_f32 v63, v199, v103 :: v_dual_mul_f32 v65, v201, v105
	s_wait_loadcnt_dscnt 0x120c
	v_dual_mul_f32 v11, v202, v107 :: v_dual_mul_f32 v13, v204, v109
	s_delay_alu instid0(VALU_DEP_3) | instskip(SKIP_3) | instid1(VALU_DEP_3)
	v_dual_fmac_f32 v7, v199, v102 :: v_dual_fmac_f32 v9, v201, v104
	s_wait_loadcnt_dscnt 0x100a
	v_dual_fma_f32 v63, v198, v102, -v63 :: v_dual_mul_f32 v75, v211, v115
	v_dual_mul_f32 v67, v203, v107 :: v_dual_mul_f32 v69, v205, v109
	v_dual_fma_f32 v65, v200, v104, -v65 :: v_dual_add_f32 v7, 0, v7
	s_delay_alu instid0(VALU_DEP_3) | instskip(SKIP_1) | instid1(VALU_DEP_3)
	v_dual_add_f32 v63, 0, v63 :: v_dual_mul_f32 v77, v213, v117
	v_dual_fmac_f32 v11, v203, v106 :: v_dual_fmac_f32 v13, v205, v108
	v_dual_fma_f32 v67, v202, v106, -v67 :: v_dual_add_f32 v7, v7, v9
	s_delay_alu instid0(VALU_DEP_3) | instskip(SKIP_2) | instid1(VALU_DEP_4)
	v_dual_add_f32 v9, v63, v65 :: v_dual_fma_f32 v65, v204, v108, -v69
	v_dual_mul_f32 v15, v206, v111 :: v_dual_mul_f32 v17, v208, v113
	v_dual_mul_f32 v71, v207, v111 :: v_dual_mul_f32 v73, v209, v113
	v_add_f32_e32 v7, v7, v11
	s_delay_alu instid0(VALU_DEP_3) | instskip(NEXT) | instid1(VALU_DEP_3)
	v_dual_add_f32 v9, v9, v67 :: v_dual_fmac_f32 v15, v207, v110
	v_fma_f32 v67, v206, v110, -v71
	v_dual_mul_f32 v19, v210, v115 :: v_dual_mul_f32 v21, v212, v117
	s_delay_alu instid0(VALU_DEP_4) | instskip(SKIP_2) | instid1(VALU_DEP_2)
	v_dual_add_f32 v7, v7, v13 :: v_dual_fmac_f32 v17, v209, v112
	s_wait_loadcnt_dscnt 0xe08
	v_dual_add_f32 v9, v9, v65 :: v_dual_mul_f32 v13, v219, v123
	v_dual_fma_f32 v65, v208, v112, -v73 :: v_dual_add_f32 v7, v7, v15
	v_mul_f32_e32 v15, v221, v125
	s_delay_alu instid0(VALU_DEP_3) | instskip(NEXT) | instid1(VALU_DEP_3)
	v_dual_add_f32 v9, v9, v67 :: v_dual_fmac_f32 v19, v211, v114
	v_dual_fma_f32 v67, v210, v114, -v75 :: v_dual_add_f32 v7, v7, v17
	v_fmac_f32_e32 v21, v213, v116
	s_wait_loadcnt_dscnt 0xd07
	s_delay_alu instid0(VALU_DEP_3) | instskip(SKIP_3) | instid1(VALU_DEP_3)
	v_dual_add_f32 v9, v9, v65 :: v_dual_mul_f32 v17, v223, v127
	v_dual_mul_f32 v23, v214, v119 :: v_dual_mul_f32 v25, v216, v121
	v_dual_mul_f32 v63, v215, v119 :: v_dual_mul_f32 v11, v217, v121
	v_dual_fma_f32 v65, v212, v116, -v77 :: v_dual_add_f32 v7, v7, v19
	v_dual_add_f32 v9, v9, v67 :: v_dual_fmac_f32 v23, v215, v118
	s_delay_alu instid0(VALU_DEP_3) | instskip(NEXT) | instid1(VALU_DEP_3)
	v_dual_mul_f32 v19, v225, v129 :: v_dual_fma_f32 v63, v214, v118, -v63
	v_dual_add_f32 v7, v7, v21 :: v_dual_fmac_f32 v25, v217, v120
	s_wait_loadcnt_dscnt 0xc06
	s_delay_alu instid0(VALU_DEP_3) | instskip(SKIP_1) | instid1(VALU_DEP_3)
	v_dual_add_f32 v9, v9, v65 :: v_dual_mul_f32 v21, v227, v131
	v_dual_mul_f32 v27, v218, v123 :: v_dual_mul_f32 v29, v220, v125
	v_dual_fma_f32 v11, v216, v120, -v11 :: v_dual_add_f32 v7, v7, v23
	s_delay_alu instid0(VALU_DEP_2) | instskip(SKIP_1) | instid1(VALU_DEP_2)
	v_dual_add_f32 v9, v9, v63 :: v_dual_fmac_f32 v27, v219, v122
	v_dual_mul_f32 v23, v229, v133 :: v_dual_fma_f32 v13, v218, v122, -v13
	v_dual_add_f32 v7, v7, v25 :: v_dual_add_f32 v9, v9, v11
	v_dual_mul_f32 v31, v222, v127 :: v_dual_mul_f32 v33, v224, v129
	s_wait_loadcnt_dscnt 0xb05
	v_dual_mul_f32 v11, v231, v135 :: v_dual_fmac_f32 v29, v221, v124
	s_delay_alu instid0(VALU_DEP_3) | instskip(NEXT) | instid1(VALU_DEP_3)
	v_dual_fma_f32 v15, v220, v124, -v15 :: v_dual_add_f32 v7, v7, v27
	v_dual_add_f32 v9, v9, v13 :: v_dual_fmac_f32 v31, v223, v126
	v_dual_mul_f32 v13, v233, v137 :: v_dual_fma_f32 v17, v222, v126, -v17
	s_delay_alu instid0(VALU_DEP_2) | instskip(SKIP_3) | instid1(VALU_DEP_3)
	v_dual_add_f32 v7, v7, v29 :: v_dual_add_f32 v9, v9, v15
	v_dual_mul_f32 v35, v226, v131 :: v_dual_mul_f32 v37, v228, v133
	s_wait_loadcnt_dscnt 0xa04
	v_dual_mul_f32 v15, v235, v139 :: v_dual_fmac_f32 v33, v225, v128
	v_dual_fma_f32 v19, v224, v128, -v19 :: v_dual_add_f32 v7, v7, v31
	s_delay_alu instid0(VALU_DEP_3) | instskip(SKIP_1) | instid1(VALU_DEP_2)
	v_dual_add_f32 v9, v9, v17 :: v_dual_fmac_f32 v35, v227, v130
	v_dual_mul_f32 v17, v237, v141 :: v_dual_fma_f32 v21, v226, v130, -v21
	v_dual_add_f32 v7, v7, v33 :: v_dual_add_f32 v9, v9, v19
	v_dual_mul_f32 v39, v230, v135 :: v_dual_mul_f32 v41, v232, v137
	s_wait_loadcnt_dscnt 0x903
	v_dual_mul_f32 v19, v239, v143 :: v_dual_fmac_f32 v37, v229, v132
	s_delay_alu instid0(VALU_DEP_3) | instskip(NEXT) | instid1(VALU_DEP_3)
	v_dual_fma_f32 v23, v228, v132, -v23 :: v_dual_add_f32 v7, v7, v35
	v_dual_add_f32 v9, v9, v21 :: v_dual_fmac_f32 v39, v231, v134
	v_dual_mul_f32 v21, v241, v145 :: v_dual_fma_f32 v11, v230, v134, -v11
	s_delay_alu instid0(VALU_DEP_2) | instskip(SKIP_3) | instid1(VALU_DEP_3)
	v_dual_add_f32 v7, v7, v37 :: v_dual_add_f32 v9, v9, v23
	v_dual_mul_f32 v43, v234, v139 :: v_dual_mul_f32 v45, v236, v141
	s_wait_loadcnt_dscnt 0x802
	v_dual_mul_f32 v23, v243, v147 :: v_dual_fmac_f32 v41, v233, v136
	v_dual_fma_f32 v13, v232, v136, -v13 :: v_dual_add_f32 v7, v7, v39
	s_delay_alu instid0(VALU_DEP_3) | instskip(SKIP_1) | instid1(VALU_DEP_3)
	v_dual_add_f32 v9, v9, v11 :: v_dual_fmac_f32 v43, v235, v138
	v_dual_mul_f32 v11, v245, v149 :: v_dual_fma_f32 v15, v234, v138, -v15
	v_dual_add_f32 v7, v7, v41 :: v_dual_fmac_f32 v45, v237, v140
	s_wait_loadcnt_dscnt 0x701
	s_delay_alu instid0(VALU_DEP_3) | instskip(SKIP_1) | instid1(VALU_DEP_3)
	v_dual_add_f32 v9, v9, v13 :: v_dual_mul_f32 v13, v247, v151
	v_dual_mul_f32 v47, v238, v143 :: v_dual_mul_f32 v49, v240, v145
	v_dual_fma_f32 v17, v236, v140, -v17 :: v_dual_add_f32 v7, v7, v43
	s_delay_alu instid0(VALU_DEP_2) | instskip(SKIP_1) | instid1(VALU_DEP_3)
	v_dual_add_f32 v9, v9, v15 :: v_dual_fmac_f32 v47, v239, v142
	v_dual_mul_f32 v15, v249, v153 :: v_dual_fma_f32 v19, v238, v142, -v19
	v_dual_add_f32 v7, v7, v45 :: v_dual_fmac_f32 v49, v241, v144
	s_wait_loadcnt_dscnt 0x600
	s_delay_alu instid0(VALU_DEP_3) | instskip(SKIP_1) | instid1(VALU_DEP_3)
	v_dual_add_f32 v9, v9, v17 :: v_dual_mul_f32 v17, v251, v155
	v_dual_mul_f32 v51, v242, v147 :: v_dual_mul_f32 v53, v244, v149
	v_dual_fma_f32 v21, v240, v144, -v21 :: v_dual_add_f32 v7, v7, v47
	s_delay_alu instid0(VALU_DEP_2) | instskip(SKIP_1) | instid1(VALU_DEP_3)
	v_dual_add_f32 v9, v9, v19 :: v_dual_fmac_f32 v51, v243, v146
	v_dual_mul_f32 v19, v253, v157 :: v_dual_fma_f32 v23, v242, v146, -v23
	v_dual_add_f32 v7, v7, v49 :: v_dual_fmac_f32 v53, v245, v148
	s_wait_loadcnt 0x5
	s_delay_alu instid0(VALU_DEP_3) | instskip(SKIP_1) | instid1(VALU_DEP_3)
	v_dual_add_f32 v9, v9, v21 :: v_dual_mul_f32 v21, v187, v159
	v_dual_mul_f32 v55, v246, v151 :: v_dual_mul_f32 v57, v248, v153
	v_dual_fma_f32 v11, v244, v148, -v11 :: v_dual_add_f32 v7, v7, v51
	s_delay_alu instid0(VALU_DEP_2) | instskip(SKIP_1) | instid1(VALU_DEP_2)
	v_dual_add_f32 v9, v9, v23 :: v_dual_fmac_f32 v55, v247, v150
	v_dual_mul_f32 v23, v189, v161 :: v_dual_fma_f32 v13, v246, v150, -v13
	v_dual_add_f32 v7, v7, v53 :: v_dual_add_f32 v9, v9, v11
	v_dual_mul_f32 v59, v250, v155 :: v_dual_mul_f32 v61, v252, v157
	v_dual_fmac_f32 v57, v249, v152 :: v_dual_fma_f32 v11, v248, v152, -v15
	s_delay_alu instid0(VALU_DEP_3) | instskip(SKIP_1) | instid1(VALU_DEP_3)
	v_dual_add_f32 v7, v7, v55 :: v_dual_add_f32 v9, v9, v13
	s_wait_loadcnt 0x4
	v_dual_mov_b32 v104, v165 :: v_dual_fmac_f32 v59, v251, v154
	s_delay_alu instid0(VALU_DEP_2) | instskip(NEXT) | instid1(VALU_DEP_3)
	v_dual_fma_f32 v13, v250, v154, -v17 :: v_dual_add_f32 v7, v7, v57
	v_dual_add_f32 v9, v9, v11 :: v_dual_fma_f32 v11, v252, v156, -v19
	s_set_vgpr_msb 64                       ;  msbs: dst=1 src0=0 src1=0 src2=0
	v_dual_mul_f32 v9 /*v265*/, v186, v159 :: v_dual_mul_f32 v11 /*v267*/, v188, v161
	s_set_vgpr_msb 0                        ;  msbs: dst=0 src0=0 src1=0 src2=0
	v_dual_fmac_f32 v61, v253, v156 :: v_dual_add_f32 v7, v7, v59
	v_add_f32_e32 v9, v9, v13
	v_pk_mul_f32 v[102:103], v[178:179], v[162:163] op_sel:[1,1] op_sel_hi:[0,1]
	s_wait_loadcnt 0x3
	v_mov_b32_e32 v108, v169
	s_set_vgpr_msb 64                       ;  msbs: dst=1 src0=0 src1=0 src2=0
	v_dual_fmac_f32 v9 /*v265*/, v187, v158 :: v_dual_fmac_f32 v11 /*v267*/, v189, v160
	v_dual_fma_f32 v8 /*v264*/, v186, v158, -v21 :: v_dual_fma_f32 v10 /*v266*/, v188, v160, -v23
	s_set_vgpr_msb 0                        ;  msbs: dst=0 src0=0 src1=0 src2=0
	v_dual_add_f32 v111, v7, v61 :: v_dual_add_f32 v110, v9, v11
	v_pk_fma_f32 v[112:113], v[178:179], v[162:163], v[102:103] op_sel_hi:[1,0,1]
	s_set_vgpr_msb 1                        ;  msbs: dst=0 src0=1 src1=0 src2=0
	v_pk_mul_f32 v[104:105], v[0:1] /*v[256:257]*/, v[104:105] op_sel_hi:[1,0]
	s_set_vgpr_msb 0                        ;  msbs: dst=0 src0=0 src1=0 src2=0
	v_pk_fma_f32 v[102:103], v[178:179], v[162:163], v[102:103] neg_lo:[0,0,1] neg_hi:[0,0,1]
	v_pk_mul_f32 v[106:107], v[182:183], v[166:167] op_sel:[1,1] op_sel_hi:[0,1]
	s_set_vgpr_msb 4                        ;  msbs: dst=0 src0=0 src1=1 src2=0
	v_pk_add_f32 v[110:111], v[110:111], v[8:9] /*v[264:265]*/
	v_mov_b32_e32 v103, v113
	s_set_vgpr_msb 0                        ;  msbs: dst=0 src0=0 src1=0 src2=0
	v_pk_fma_f32 v[112:113], v[180:181], v[164:165], v[104:105] op_sel_hi:[1,0,1]
	v_pk_fma_f32 v[104:105], v[180:181], v[164:165], v[104:105] neg_lo:[0,0,1] neg_hi:[0,0,1]
	v_pk_fma_f32 v[116:117], v[182:183], v[166:167], v[106:107] op_sel_hi:[1,0,1]
	s_set_vgpr_msb 4                        ;  msbs: dst=0 src0=0 src1=1 src2=0
	v_pk_add_f32 v[110:111], v[110:111], v[10:11] /*v[266:267]*/
	s_set_vgpr_msb 1                        ;  msbs: dst=0 src0=1 src1=0 src2=0
	v_pk_mul_f32 v[108:109], v[2:3] /*v[258:259]*/, v[108:109] op_sel_hi:[1,0]
	s_set_vgpr_msb 0                        ;  msbs: dst=0 src0=0 src1=0 src2=0
	v_mov_b32_e32 v105, v113
	s_wait_loadcnt 0x2
	v_pk_mul_f32 v[114:115], v[190:191], v[170:171] op_sel:[1,1] op_sel_hi:[0,1]
	v_pk_fma_f32 v[106:107], v[182:183], v[166:167], v[106:107] neg_lo:[0,0,1] neg_hi:[0,0,1]
	v_pk_add_f32 v[102:103], v[110:111], v[102:103]
	v_dual_mov_b32 v110, v173 :: v_dual_mov_b32 v107, v117
	v_pk_fma_f32 v[112:113], v[184:185], v[168:169], v[108:109] op_sel_hi:[1,0,1]
	v_pk_fma_f32 v[108:109], v[184:185], v[168:169], v[108:109] neg_lo:[0,0,1] neg_hi:[0,0,1]
	s_delay_alu instid0(VALU_DEP_4)
	v_pk_add_f32 v[102:103], v[102:103], v[104:105]
	v_pk_fma_f32 v[104:105], v[190:191], v[170:171], v[114:115] op_sel_hi:[1,0,1]
	s_set_vgpr_msb 1                        ;  msbs: dst=0 src0=1 src1=0 src2=0
	v_pk_mul_f32 v[110:111], v[4:5] /*v[260:261]*/, v[110:111] op_sel_hi:[1,0]
	s_set_vgpr_msb 0                        ;  msbs: dst=0 src0=0 src1=0 src2=0
	v_mov_b32_e32 v109, v113
	v_pk_fma_f32 v[112:113], v[190:191], v[170:171], v[114:115] neg_lo:[0,0,1] neg_hi:[0,0,1]
	v_pk_add_f32 v[102:103], v[102:103], v[106:107]
	v_mov_b32_e32 v113, v105
	v_pk_fma_f32 v[104:105], v[192:193], v[172:173], v[110:111] op_sel_hi:[1,0,1]
	s_wait_loadcnt 0x1
	v_pk_mul_f32 v[106:107], v[194:195], v[174:175] op_sel:[1,1] op_sel_hi:[0,1]
	v_mov_b32_e32 v104, v177
	v_pk_add_f32 v[102:103], v[102:103], v[108:109]
	v_pk_fma_f32 v[110:111], v[192:193], v[172:173], v[110:111] neg_lo:[0,0,1] neg_hi:[0,0,1]
	v_mov_b32_e32 v111, v105
	v_pk_fma_f32 v[108:109], v[194:195], v[174:175], v[106:107] op_sel_hi:[1,0,1]
	s_set_vgpr_msb 1                        ;  msbs: dst=0 src0=1 src1=0 src2=0
	v_pk_mul_f32 v[104:105], v[6:7] /*v[262:263]*/, v[104:105] op_sel_hi:[1,0]
	s_set_vgpr_msb 0                        ;  msbs: dst=0 src0=0 src1=0 src2=0
	v_pk_add_f32 v[102:103], v[102:103], v[112:113]
	v_pk_fma_f32 v[106:107], v[194:195], v[174:175], v[106:107] neg_lo:[0,0,1] neg_hi:[0,0,1]
	v_mov_b32_e32 v107, v109
	v_pk_fma_f32 v[108:109], v[196:197], v[176:177], v[104:105] op_sel_hi:[1,0,1]
	s_delay_alu instid0(VALU_DEP_4) | instskip(SKIP_1) | instid1(VALU_DEP_3)
	v_pk_add_f32 v[102:103], v[102:103], v[110:111]
	v_pk_fma_f32 v[104:105], v[196:197], v[176:177], v[104:105] neg_lo:[0,0,1] neg_hi:[0,0,1]
	v_mov_b32_e32 v105, v109
	s_delay_alu instid0(VALU_DEP_3) | instskip(NEXT) | instid1(VALU_DEP_1)
	v_pk_add_f32 v[102:103], v[102:103], v[106:107]
	v_pk_add_f32 v[102:103], v[102:103], v[104:105]
	s_wait_loadcnt 0x0
	s_delay_alu instid0(VALU_DEP_1)
	v_pk_add_f32 v[102:103], v[254:255], v[102:103] neg_lo:[0,1] neg_hi:[0,1]
	scratch_store_b64 off, v[102:103], off offset:88
	s_wait_xcnt 0x0
	v_cmpx_lt_u32_e32 10, v0
	s_cbranch_execz .LBB113_293
; %bb.292:
	scratch_load_b64 v[102:103], off, off offset:80
	v_mov_b64_e32 v[104:105], 0
	scratch_store_b64 off, v[104:105], off offset:80
	s_wait_loadcnt 0x0
	ds_store_b64 v1, v[102:103]
.LBB113_293:
	s_wait_xcnt 0x0
	s_or_b32 exec_lo, exec_lo, s0
	s_wait_storecnt_dscnt 0x0
	s_barrier_signal -1
	s_barrier_wait -1
	s_clause 0x15
	scratch_load_b128 v[102:105], off, off offset:88
	scratch_load_b128 v[106:109], off, off offset:104
	;; [unrolled: 1-line block ×19, first 2 shown]
	scratch_load_b64 v[254:255], off, off offset:392
	s_set_vgpr_msb 64                       ;  msbs: dst=1 src0=0 src1=0 src2=0
	scratch_load_b64 v[0:1] /*v[256:257]*/, off, off offset:80
	s_set_vgpr_msb 0                        ;  msbs: dst=0 src0=0 src1=0 src2=0
	v_mov_b32_e32 v7, 0
	ds_load_2addr_b64 v[178:181], v7 offset0:91 offset1:92
	ds_load_2addr_b64 v[182:185], v7 offset0:89 offset1:90
	;; [unrolled: 1-line block ×19, first 2 shown]
	s_set_vgpr_msb 64                       ;  msbs: dst=1 src0=0 src1=0 src2=0
	ds_load_b64 v[2:3] /*v[258:259]*/, v7 offset:792
	s_wait_dscnt 0x13
	v_dual_mov_b32 v4 /*v260*/, v181 :: v_dual_mov_b32 v5 /*v261*/, v180
	s_wait_dscnt 0x11
	v_dual_mov_b32 v6 /*v262*/, v189 :: v_dual_mov_b32 v7 /*v263*/, v188
	;; [unrolled: 2-line block ×4, first 2 shown]
	s_mov_b32 s0, exec_lo
	s_wait_loadcnt 0x14
	s_set_vgpr_msb 0                        ;  msbs: dst=0 src0=0 src1=0 src2=0
	v_dual_mul_f32 v9, v194, v103 :: v_dual_mul_f32 v67, v195, v103
	v_dual_mul_f32 v69, v197, v105 :: v_dual_mul_f32 v11, v196, v105
	s_wait_loadcnt 0x13
	v_mul_f32_e32 v13, v198, v107
	s_wait_loadcnt_dscnt 0x110b
	v_dual_mul_f32 v79, v211, v115 :: v_dual_fma_f32 v67, v194, v102, -v67
	v_dual_fmac_f32 v9, v195, v102 :: v_dual_mul_f32 v81, v213, v117
	v_dual_mul_f32 v71, v199, v107 :: v_dual_mul_f32 v73, v201, v109
	v_dual_fmac_f32 v11, v197, v104 :: v_dual_fma_f32 v69, v196, v104, -v69
	s_delay_alu instid0(VALU_DEP_3) | instskip(SKIP_3) | instid1(VALU_DEP_3)
	v_dual_add_f32 v9, 0, v9 :: v_dual_add_f32 v67, 0, v67
	v_dual_mul_f32 v15, v200, v109 :: v_dual_mul_f32 v17, v206, v111
	s_wait_loadcnt_dscnt 0x100a
	v_dual_mul_f32 v83, v215, v119 :: v_dual_fma_f32 v71, v198, v106, -v71
	v_dual_fmac_f32 v13, v199, v106 :: v_dual_add_f32 v9, v9, v11
	s_delay_alu instid0(VALU_DEP_3) | instskip(SKIP_2) | instid1(VALU_DEP_3)
	v_dual_add_f32 v11, v67, v69 :: v_dual_fmac_f32 v15, v201, v108
	v_dual_mul_f32 v75, v207, v111 :: v_dual_mul_f32 v77, v209, v113
	v_dual_mul_f32 v67, v217, v121 :: v_dual_fma_f32 v69, v200, v108, -v73
	v_dual_add_f32 v9, v9, v13 :: v_dual_add_f32 v11, v11, v71
	v_dual_mul_f32 v19, v208, v113 :: v_dual_mul_f32 v21, v210, v115
	s_wait_loadcnt_dscnt 0xf09
	v_dual_mul_f32 v13, v219, v123 :: v_dual_fma_f32 v71, v206, v110, -v75
	s_delay_alu instid0(VALU_DEP_3) | instskip(NEXT) | instid1(VALU_DEP_3)
	v_dual_fmac_f32 v17, v207, v110 :: v_dual_add_f32 v9, v9, v15
	v_dual_add_f32 v11, v11, v69 :: v_dual_fmac_f32 v19, v209, v112
	v_dual_mul_f32 v15, v221, v125 :: v_dual_fma_f32 v69, v208, v112, -v77
	s_delay_alu instid0(VALU_DEP_2) | instskip(SKIP_3) | instid1(VALU_DEP_3)
	v_dual_add_f32 v9, v9, v17 :: v_dual_add_f32 v11, v11, v71
	v_dual_mul_f32 v23, v212, v117 :: v_dual_mul_f32 v25, v214, v119
	s_wait_loadcnt_dscnt 0xe08
	v_dual_mul_f32 v17, v223, v127 :: v_dual_fma_f32 v71, v210, v114, -v79
	v_dual_fmac_f32 v21, v211, v114 :: v_dual_add_f32 v9, v9, v19
	s_delay_alu instid0(VALU_DEP_3) | instskip(SKIP_1) | instid1(VALU_DEP_2)
	v_dual_add_f32 v11, v11, v69 :: v_dual_fmac_f32 v23, v213, v116
	v_dual_mul_f32 v19, v225, v129 :: v_dual_fma_f32 v69, v212, v116, -v81
	v_dual_add_f32 v9, v9, v21 :: v_dual_add_f32 v11, v11, v71
	v_dual_mul_f32 v27, v216, v121 :: v_dual_mul_f32 v29, v218, v123
	s_wait_loadcnt_dscnt 0xd07
	v_dual_mul_f32 v21, v227, v131 :: v_dual_fma_f32 v71, v214, v118, -v83
	s_delay_alu instid0(VALU_DEP_3) | instskip(NEXT) | instid1(VALU_DEP_3)
	v_dual_fmac_f32 v25, v215, v118 :: v_dual_add_f32 v9, v9, v23
	v_dual_add_f32 v11, v11, v69 :: v_dual_fmac_f32 v27, v217, v120
	v_dual_mul_f32 v23, v229, v133 :: v_dual_fma_f32 v67, v216, v120, -v67
	s_delay_alu instid0(VALU_DEP_2) | instskip(SKIP_3) | instid1(VALU_DEP_3)
	v_dual_add_f32 v9, v9, v25 :: v_dual_add_f32 v11, v11, v71
	v_dual_mul_f32 v31, v220, v125 :: v_dual_mul_f32 v33, v222, v127
	s_wait_loadcnt_dscnt 0xc06
	v_dual_mul_f32 v25, v231, v135 :: v_dual_fma_f32 v13, v218, v122, -v13
	v_dual_fmac_f32 v29, v219, v122 :: v_dual_add_f32 v9, v9, v27
	v_dual_add_f32 v11, v11, v67 :: v_dual_mul_f32 v27, v233, v137
	v_fmac_f32_e32 v31, v221, v124
	s_delay_alu instid0(VALU_DEP_3) | instskip(NEXT) | instid1(VALU_DEP_3)
	v_dual_fma_f32 v15, v220, v124, -v15 :: v_dual_add_f32 v9, v9, v29
	v_add_f32_e32 v11, v11, v13
	v_dual_mul_f32 v35, v224, v129 :: v_dual_mul_f32 v37, v226, v131
	s_wait_loadcnt_dscnt 0xb05
	v_dual_mul_f32 v13, v235, v139 :: v_dual_fma_f32 v17, v222, v126, -v17
	v_dual_fmac_f32 v33, v223, v126 :: v_dual_add_f32 v9, v9, v31
	v_dual_add_f32 v11, v11, v15 :: v_dual_mul_f32 v15, v237, v141
	v_fmac_f32_e32 v35, v225, v128
	s_delay_alu instid0(VALU_DEP_3) | instskip(NEXT) | instid1(VALU_DEP_3)
	v_dual_fma_f32 v19, v224, v128, -v19 :: v_dual_add_f32 v9, v9, v33
	v_add_f32_e32 v11, v11, v17
	;; [unrolled: 9-line block ×6, first 2 shown]
	v_dual_mul_f32 v55, v244, v149 :: v_dual_mul_f32 v57, v246, v151
	s_wait_loadcnt 0x6
	v_dual_mul_f32 v17, v183, v159 :: v_dual_fma_f32 v21, v242, v146, -v21
	v_dual_fmac_f32 v53, v243, v146 :: v_dual_add_f32 v9, v9, v51
	v_dual_add_f32 v11, v11, v19 :: v_dual_mul_f32 v19, v185, v161
	v_fmac_f32_e32 v55, v245, v148
	s_delay_alu instid0(VALU_DEP_3) | instskip(NEXT) | instid1(VALU_DEP_3)
	v_dual_fma_f32 v23, v244, v148, -v23 :: v_dual_add_f32 v9, v9, v53
	v_add_f32_e32 v11, v11, v21
	v_dual_mul_f32 v59, v248, v153 :: v_dual_mul_f32 v61, v250, v155
	s_wait_loadcnt 0x5
	v_dual_mul_f32 v21, v179, v163 :: v_dual_fma_f32 v25, v246, v150, -v25
	v_dual_fmac_f32 v57, v247, v150 :: v_dual_add_f32 v9, v9, v55
	v_dual_add_f32 v11, v11, v23 :: v_dual_mov_b32 v102, v165
	v_fmac_f32_e32 v59, v249, v152
	s_delay_alu instid0(VALU_DEP_3) | instskip(NEXT) | instid1(VALU_DEP_3)
	v_dual_fma_f32 v23, v248, v152, -v27 :: v_dual_add_f32 v9, v9, v57
	v_add_f32_e32 v11, v11, v25
	v_dual_mul_f32 v63, v252, v157 :: v_dual_mul_f32 v65, v182, v159
	s_delay_alu instid0(VALU_DEP_3) | instskip(NEXT) | instid1(VALU_DEP_3)
	v_dual_fmac_f32 v61, v251, v154 :: v_dual_add_f32 v9, v9, v59
	v_dual_fma_f32 v13, v250, v154, -v13 :: v_dual_add_f32 v11, v11, v23
	s_wait_loadcnt 0x4
	v_dual_mov_b32 v106, v169 :: v_dual_fma_f32 v15, v252, v156, -v15
	v_fmac_f32_e32 v63, v253, v156
	v_dual_add_f32 v9, v9, v61 :: v_dual_fmac_f32 v65, v183, v158
	v_add_f32_e32 v11, v11, v13
	s_set_vgpr_msb 64                       ;  msbs: dst=1 src0=0 src1=0 src2=0
	v_dual_mul_f32 v13 /*v269*/, v184, v161 :: v_dual_mul_f32 v15 /*v271*/, v178, v163
	s_set_vgpr_msb 0                        ;  msbs: dst=0 src0=0 src1=0 src2=0
	v_dual_fma_f32 v13, v182, v158, -v17 :: v_dual_add_f32 v9, v9, v63
	v_add_f32_e32 v11, v11, v15
	s_set_vgpr_msb 64                       ;  msbs: dst=1 src0=0 src1=0 src2=0
	v_dual_fmac_f32 v13 /*v269*/, v185, v160 :: v_dual_fmac_f32 v15 /*v271*/, v179, v162
	v_dual_fma_f32 v12 /*v268*/, v184, v160, -v19 :: v_dual_fma_f32 v14 /*v270*/, v178, v162, -v21
	s_set_vgpr_msb 1                        ;  msbs: dst=0 src0=1 src1=0 src2=0
	v_pk_mul_f32 v[102:103], v[4:5] /*v[260:261]*/, v[102:103] op_sel_hi:[1,0]
	s_set_vgpr_msb 0                        ;  msbs: dst=0 src0=0 src1=0 src2=0
	v_add_f32_e32 v111, v9, v65
	s_wait_loadcnt 0x3
	v_dual_add_f32 v110, v11, v13 :: v_dual_mov_b32 v112, v173
	v_pk_mul_f32 v[104:105], v[186:187], v[166:167] op_sel:[1,1] op_sel_hi:[0,1]
	v_pk_fma_f32 v[114:115], v[180:181], v[164:165], v[102:103] op_sel_hi:[1,0,1]
	v_pk_fma_f32 v[102:103], v[180:181], v[164:165], v[102:103] neg_lo:[0,0,1] neg_hi:[0,0,1]
	s_set_vgpr_msb 4                        ;  msbs: dst=0 src0=0 src1=1 src2=0
	v_pk_add_f32 v[110:111], v[110:111], v[12:13] /*v[268:269]*/
	s_set_vgpr_msb 1                        ;  msbs: dst=0 src0=1 src1=0 src2=0
	v_pk_mul_f32 v[106:107], v[6:7] /*v[262:263]*/, v[106:107] op_sel_hi:[1,0]
	s_set_vgpr_msb 0                        ;  msbs: dst=0 src0=0 src1=0 src2=0
	v_pk_fma_f32 v[116:117], v[186:187], v[166:167], v[104:105] op_sel_hi:[1,0,1]
	v_mov_b32_e32 v103, v115
	v_pk_fma_f32 v[104:105], v[186:187], v[166:167], v[104:105] neg_lo:[0,0,1] neg_hi:[0,0,1]
	s_set_vgpr_msb 4                        ;  msbs: dst=0 src0=0 src1=1 src2=0
	v_pk_add_f32 v[110:111], v[110:111], v[14:15] /*v[270:271]*/
	s_set_vgpr_msb 0                        ;  msbs: dst=0 src0=0 src1=0 src2=0
	v_pk_mul_f32 v[108:109], v[190:191], v[170:171] op_sel:[1,1] op_sel_hi:[0,1]
	v_mov_b32_e32 v105, v117
	v_pk_fma_f32 v[116:117], v[188:189], v[168:169], v[106:107] op_sel_hi:[1,0,1]
	v_pk_fma_f32 v[106:107], v[188:189], v[168:169], v[106:107] neg_lo:[0,0,1] neg_hi:[0,0,1]
	v_pk_add_f32 v[102:103], v[110:111], v[102:103]
	v_pk_fma_f32 v[110:111], v[190:191], v[170:171], v[108:109] op_sel_hi:[1,0,1]
	s_set_vgpr_msb 1                        ;  msbs: dst=0 src0=1 src1=0 src2=0
	v_pk_mul_f32 v[112:113], v[8:9] /*v[264:265]*/, v[112:113] op_sel_hi:[1,0]
	s_set_vgpr_msb 0                        ;  msbs: dst=0 src0=0 src1=0 src2=0
	v_mov_b32_e32 v107, v117
	v_pk_fma_f32 v[108:109], v[190:191], v[170:171], v[108:109] neg_lo:[0,0,1] neg_hi:[0,0,1]
	v_pk_add_f32 v[102:103], v[102:103], v[104:105]
	s_wait_loadcnt 0x2
	v_pk_mul_f32 v[114:115], v[202:203], v[174:175] op_sel:[1,1] op_sel_hi:[0,1]
	v_dual_mov_b32 v104, v177 :: v_dual_mov_b32 v109, v111
	v_pk_fma_f32 v[110:111], v[192:193], v[172:173], v[112:113] op_sel_hi:[1,0,1]
	v_pk_add_f32 v[102:103], v[102:103], v[106:107]
	v_pk_fma_f32 v[112:113], v[192:193], v[172:173], v[112:113] neg_lo:[0,0,1] neg_hi:[0,0,1]
	v_pk_fma_f32 v[106:107], v[202:203], v[174:175], v[114:115] op_sel_hi:[1,0,1]
	s_set_vgpr_msb 1                        ;  msbs: dst=0 src0=1 src1=0 src2=0
	v_pk_mul_f32 v[104:105], v[10:11] /*v[266:267]*/, v[104:105] op_sel_hi:[1,0]
	s_set_vgpr_msb 0                        ;  msbs: dst=0 src0=0 src1=0 src2=0
	v_mov_b32_e32 v113, v111
	v_pk_add_f32 v[102:103], v[102:103], v[108:109]
	v_pk_fma_f32 v[108:109], v[202:203], v[174:175], v[114:115] neg_lo:[0,0,1] neg_hi:[0,0,1]
	v_mov_b32_e32 v109, v107
	v_pk_fma_f32 v[106:107], v[204:205], v[176:177], v[104:105] op_sel_hi:[1,0,1]
	s_wait_loadcnt_dscnt 0x100
	s_set_vgpr_msb 1                        ;  msbs: dst=0 src0=1 src1=0 src2=0
	v_pk_mul_f32 v[110:111], v[2:3] /*v[258:259]*/, v[254:255] op_sel:[1,1] op_sel_hi:[0,1]
	s_set_vgpr_msb 0                        ;  msbs: dst=0 src0=0 src1=0 src2=0
	v_pk_add_f32 v[102:103], v[102:103], v[112:113]
	v_pk_fma_f32 v[104:105], v[204:205], v[176:177], v[104:105] neg_lo:[0,0,1] neg_hi:[0,0,1]
	v_mov_b32_e32 v105, v107
	s_set_vgpr_msb 1                        ;  msbs: dst=0 src0=1 src1=0 src2=0
	v_pk_fma_f32 v[106:107], v[2:3] /*v[258:259]*/, v[254:255], v[110:111] op_sel_hi:[1,0,1]
	s_set_vgpr_msb 0                        ;  msbs: dst=0 src0=0 src1=0 src2=0
	v_pk_add_f32 v[102:103], v[102:103], v[108:109]
	s_set_vgpr_msb 1                        ;  msbs: dst=0 src0=1 src1=0 src2=0
	v_pk_fma_f32 v[108:109], v[2:3] /*v[258:259]*/, v[254:255], v[110:111] neg_lo:[0,0,1] neg_hi:[0,0,1]
	s_set_vgpr_msb 0                        ;  msbs: dst=0 src0=0 src1=0 src2=0
	v_mov_b32_e32 v109, v107
	v_pk_add_f32 v[102:103], v[102:103], v[104:105]
	s_delay_alu instid0(VALU_DEP_1) | instskip(SKIP_2) | instid1(VALU_DEP_1)
	v_pk_add_f32 v[102:103], v[102:103], v[108:109]
	s_wait_loadcnt 0x0
	s_set_vgpr_msb 1                        ;  msbs: dst=0 src0=1 src1=0 src2=0
	v_pk_add_f32 v[102:103], v[0:1] /*v[256:257]*/, v[102:103] neg_lo:[0,1] neg_hi:[0,1]
	scratch_store_b64 off, v[102:103], off offset:80
	s_wait_xcnt 0x0
	v_cmpx_lt_u32_e32 9, v0
	s_set_vgpr_msb 0                        ;  msbs: dst=0 src0=0 src1=0 src2=0
	s_cbranch_execz .LBB113_295
; %bb.294:
	scratch_load_b64 v[102:103], off, off offset:72
	v_mov_b64_e32 v[104:105], 0
	scratch_store_b64 off, v[104:105], off offset:72
	s_wait_loadcnt 0x0
	ds_store_b64 v1, v[102:103]
.LBB113_295:
	s_wait_xcnt 0x0
	s_or_b32 exec_lo, exec_lo, s0
	s_wait_storecnt_dscnt 0x0
	s_barrier_signal -1
	s_barrier_wait -1
	ds_load_b128 v[102:105], v7 offset:480
	ds_load_b128 v[106:109], v7 offset:496
	;; [unrolled: 1-line block ×4, first 2 shown]
	s_clause 0xf
	scratch_load_b128 v[118:121], off, off offset:80
	scratch_load_b128 v[122:125], off, off offset:96
	;; [unrolled: 1-line block ×16, first 2 shown]
	ds_load_b128 v[214:217], v7 offset:704
	ds_load_b128 v[222:225], v7 offset:720
	;; [unrolled: 1-line block ×12, first 2 shown]
	s_clause 0x3
	scratch_load_b128 v[230:233], off, off offset:336
	scratch_load_b128 v[234:237], off, off offset:352
	;; [unrolled: 1-line block ×4, first 2 shown]
	s_mov_b32 s0, exec_lo
	s_wait_loadcnt_dscnt 0x130f
	v_dual_mul_f32 v9, v102, v119 :: v_dual_mul_f32 v11, v104, v121
	s_delay_alu instid0(VALU_DEP_1) | instskip(SKIP_2) | instid1(VALU_DEP_1)
	v_dual_fmac_f32 v9, v103, v118 :: v_dual_fmac_f32 v11, v105, v120
	s_wait_loadcnt_dscnt 0xe0a
	v_dual_mul_f32 v249, v222, v227 :: v_dual_mul_f32 v251, v224, v229
	v_dual_add_f32 v9, 0, v9 :: v_dual_fmac_f32 v249, v223, v226
	s_delay_alu instid0(VALU_DEP_2) | instskip(NEXT) | instid1(VALU_DEP_2)
	v_fmac_f32_e32 v251, v225, v228
	v_add_f32_e32 v9, v9, v11
	v_mul_f32_e32 v11, v106, v123
	s_delay_alu instid0(VALU_DEP_1) | instskip(NEXT) | instid1(VALU_DEP_1)
	v_fmac_f32_e32 v11, v107, v122
	v_dual_add_f32 v9, v9, v11 :: v_dual_mul_f32 v11, v108, v125
	s_delay_alu instid0(VALU_DEP_1) | instskip(NEXT) | instid1(VALU_DEP_1)
	v_fmac_f32_e32 v11, v109, v124
	v_add_f32_e32 v9, v9, v11
	v_mul_f32_e32 v11, v110, v127
	s_delay_alu instid0(VALU_DEP_1) | instskip(NEXT) | instid1(VALU_DEP_1)
	v_fmac_f32_e32 v11, v111, v126
	v_dual_add_f32 v9, v9, v11 :: v_dual_mul_f32 v11, v112, v129
	s_delay_alu instid0(VALU_DEP_1) | instskip(NEXT) | instid1(VALU_DEP_1)
	;; [unrolled: 7-line block ×3, first 2 shown]
	v_fmac_f32_e32 v11, v117, v132
	v_add_f32_e32 v9, v9, v11
	s_wait_loadcnt_dscnt 0xd09
	v_mul_f32_e32 v11, v134, v139
	s_delay_alu instid0(VALU_DEP_1) | instskip(NEXT) | instid1(VALU_DEP_1)
	v_fmac_f32_e32 v11, v135, v138
	v_dual_add_f32 v9, v9, v11 :: v_dual_mul_f32 v11, v136, v141
	s_delay_alu instid0(VALU_DEP_1) | instskip(NEXT) | instid1(VALU_DEP_1)
	v_fmac_f32_e32 v11, v137, v140
	v_add_f32_e32 v9, v9, v11
	s_wait_loadcnt_dscnt 0xc08
	v_mul_f32_e32 v11, v142, v147
	s_delay_alu instid0(VALU_DEP_1) | instskip(NEXT) | instid1(VALU_DEP_1)
	v_fmac_f32_e32 v11, v143, v146
	v_dual_add_f32 v9, v9, v11 :: v_dual_mul_f32 v11, v144, v149
	s_delay_alu instid0(VALU_DEP_1) | instskip(NEXT) | instid1(VALU_DEP_1)
	v_fmac_f32_e32 v11, v145, v148
	v_add_f32_e32 v9, v9, v11
	s_wait_loadcnt_dscnt 0xb07
	v_mul_f32_e32 v11, v150, v155
	s_delay_alu instid0(VALU_DEP_1) | instskip(NEXT) | instid1(VALU_DEP_1)
	v_fmac_f32_e32 v11, v151, v154
	v_dual_add_f32 v9, v9, v11 :: v_dual_mul_f32 v11, v152, v157
	s_delay_alu instid0(VALU_DEP_1) | instskip(NEXT) | instid1(VALU_DEP_1)
	v_fmac_f32_e32 v11, v153, v156
	v_add_f32_e32 v9, v9, v11
	s_wait_loadcnt_dscnt 0xa06
	v_mul_f32_e32 v11, v158, v163
	s_delay_alu instid0(VALU_DEP_1) | instskip(NEXT) | instid1(VALU_DEP_1)
	v_fmac_f32_e32 v11, v159, v162
	v_dual_add_f32 v9, v9, v11 :: v_dual_mul_f32 v11, v160, v165
	s_delay_alu instid0(VALU_DEP_1) | instskip(NEXT) | instid1(VALU_DEP_1)
	v_fmac_f32_e32 v11, v161, v164
	v_add_f32_e32 v9, v9, v11
	s_wait_loadcnt_dscnt 0x905
	v_mul_f32_e32 v11, v166, v171
	s_delay_alu instid0(VALU_DEP_1) | instskip(NEXT) | instid1(VALU_DEP_1)
	v_fmac_f32_e32 v11, v167, v170
	v_dual_add_f32 v9, v9, v11 :: v_dual_mul_f32 v11, v168, v173
	s_delay_alu instid0(VALU_DEP_1) | instskip(NEXT) | instid1(VALU_DEP_1)
	v_fmac_f32_e32 v11, v169, v172
	v_add_f32_e32 v9, v9, v11
	s_wait_loadcnt_dscnt 0x804
	v_mul_f32_e32 v11, v174, v179
	s_delay_alu instid0(VALU_DEP_1) | instskip(NEXT) | instid1(VALU_DEP_1)
	v_fmac_f32_e32 v11, v175, v178
	v_dual_add_f32 v9, v9, v11 :: v_dual_mul_f32 v11, v176, v181
	s_delay_alu instid0(VALU_DEP_1) | instskip(NEXT) | instid1(VALU_DEP_1)
	v_fmac_f32_e32 v11, v177, v180
	v_add_f32_e32 v9, v9, v11
	s_wait_loadcnt_dscnt 0x703
	v_mul_f32_e32 v11, v182, v187
	s_delay_alu instid0(VALU_DEP_1) | instskip(NEXT) | instid1(VALU_DEP_1)
	v_fmac_f32_e32 v11, v183, v186
	v_dual_add_f32 v9, v9, v11 :: v_dual_mul_f32 v11, v184, v189
	s_delay_alu instid0(VALU_DEP_1) | instskip(NEXT) | instid1(VALU_DEP_1)
	v_fmac_f32_e32 v11, v185, v188
	v_add_f32_e32 v9, v9, v11
	s_wait_loadcnt_dscnt 0x602
	v_mul_f32_e32 v11, v190, v195
	s_delay_alu instid0(VALU_DEP_1) | instskip(NEXT) | instid1(VALU_DEP_1)
	v_fmac_f32_e32 v11, v191, v194
	v_dual_add_f32 v9, v9, v11 :: v_dual_mul_f32 v11, v192, v197
	s_delay_alu instid0(VALU_DEP_1) | instskip(NEXT) | instid1(VALU_DEP_1)
	v_fmac_f32_e32 v11, v193, v196
	v_add_f32_e32 v9, v9, v11
	s_wait_loadcnt_dscnt 0x501
	v_mul_f32_e32 v11, v198, v203
	s_delay_alu instid0(VALU_DEP_1) | instskip(NEXT) | instid1(VALU_DEP_1)
	v_fmac_f32_e32 v11, v199, v202
	v_dual_add_f32 v9, v9, v11 :: v_dual_mul_f32 v11, v200, v205
	s_delay_alu instid0(VALU_DEP_1) | instskip(NEXT) | instid1(VALU_DEP_1)
	v_fmac_f32_e32 v11, v201, v204
	v_add_f32_e32 v9, v9, v11
	s_wait_loadcnt_dscnt 0x400
	v_mul_f32_e32 v11, v206, v211
	s_delay_alu instid0(VALU_DEP_1) | instskip(NEXT) | instid1(VALU_DEP_1)
	v_fmac_f32_e32 v11, v207, v210
	v_dual_add_f32 v9, v9, v11 :: v_dual_mul_f32 v11, v208, v213
	s_delay_alu instid0(VALU_DEP_1) | instskip(NEXT) | instid1(VALU_DEP_1)
	v_fmac_f32_e32 v11, v209, v212
	v_add_f32_e32 v9, v9, v11
	v_mul_f32_e32 v11, v214, v219
	s_delay_alu instid0(VALU_DEP_1) | instskip(NEXT) | instid1(VALU_DEP_1)
	v_fmac_f32_e32 v11, v215, v218
	v_dual_add_f32 v9, v9, v11 :: v_dual_mul_f32 v11, v216, v221
	s_delay_alu instid0(VALU_DEP_1) | instskip(NEXT) | instid1(VALU_DEP_1)
	v_fmac_f32_e32 v11, v217, v220
	v_add_f32_e32 v247, v9, v11
	v_dual_mul_f32 v9, v103, v119 :: v_dual_mul_f32 v11, v105, v121
	s_delay_alu instid0(VALU_DEP_1) | instskip(NEXT) | instid1(VALU_DEP_1)
	v_dual_fma_f32 v9, v102, v118, -v9 :: v_dual_fma_f32 v11, v104, v120, -v11
	v_add_f32_e32 v9, 0, v9
	s_delay_alu instid0(VALU_DEP_1) | instskip(SKIP_1) | instid1(VALU_DEP_1)
	v_add_f32_e32 v9, v9, v11
	v_mul_f32_e32 v11, v107, v123
	v_fma_f32 v11, v106, v122, -v11
	s_delay_alu instid0(VALU_DEP_1) | instskip(SKIP_1) | instid1(VALU_DEP_1)
	v_add_f32_e32 v9, v9, v11
	v_mul_f32_e32 v11, v109, v125
	v_fma_f32 v11, v108, v124, -v11
	;; [unrolled: 4-line block ×6, first 2 shown]
	ds_load_b128 v[102:105], v7 offset:736
	ds_load_b128 v[106:109], v7 offset:752
	ds_load_b128 v[110:113], v7 offset:768
	ds_load_b128 v[114:117], v7 offset:784
	v_add_f32_e32 v9, v9, v11
	v_mul_f32_e32 v11, v135, v139
	s_delay_alu instid0(VALU_DEP_1) | instskip(NEXT) | instid1(VALU_DEP_1)
	v_fma_f32 v11, v134, v138, -v11
	v_add_f32_e32 v9, v9, v11
	v_mul_f32_e32 v11, v137, v141
	s_wait_loadcnt_dscnt 0x303
	v_pk_mul_f32 v[120:121], v[102:103], v[230:231] op_sel:[1,1] op_sel_hi:[0,1]
	s_delay_alu instid0(VALU_DEP_2) | instskip(NEXT) | instid1(VALU_DEP_2)
	v_fma_f32 v11, v136, v140, -v11
	v_pk_fma_f32 v[122:123], v[102:103], v[230:231], v[120:121] neg_lo:[0,0,1] neg_hi:[0,0,1]
	v_pk_fma_f32 v[102:103], v[102:103], v[230:231], v[120:121] op_sel_hi:[1,0,1]
	v_mov_b32_e32 v120, v233
	s_delay_alu instid0(VALU_DEP_4) | instskip(SKIP_1) | instid1(VALU_DEP_1)
	v_add_f32_e32 v9, v9, v11
	v_mul_f32_e32 v11, v143, v147
	v_dual_mov_b32 v123, v103 :: v_dual_fma_f32 v11, v142, v146, -v11
	s_delay_alu instid0(VALU_DEP_1) | instskip(SKIP_1) | instid1(VALU_DEP_1)
	v_add_f32_e32 v9, v9, v11
	v_mul_f32_e32 v11, v145, v149
	v_fma_f32 v11, v144, v148, -v11
	s_delay_alu instid0(VALU_DEP_1) | instskip(SKIP_1) | instid1(VALU_DEP_1)
	v_add_f32_e32 v9, v9, v11
	v_mul_f32_e32 v11, v151, v155
	v_fma_f32 v11, v150, v154, -v11
	;; [unrolled: 4-line block ×19, first 2 shown]
	s_delay_alu instid0(VALU_DEP_1) | instskip(SKIP_1) | instid1(VALU_DEP_1)
	v_add_f32_e32 v246, v9, v11
	v_mul_f32_e32 v9, v223, v227
	v_dual_fma_f32 v248, v222, v226, -v9 :: v_dual_mul_f32 v9, v225, v229
	s_delay_alu instid0(VALU_DEP_1) | instskip(NEXT) | instid1(VALU_DEP_2)
	v_pk_add_f32 v[118:119], v[246:247], v[248:249]
	v_fma_f32 v250, v224, v228, -v9
	s_delay_alu instid0(VALU_DEP_1) | instskip(NEXT) | instid1(VALU_DEP_1)
	v_pk_add_f32 v[118:119], v[118:119], v[250:251]
	v_pk_add_f32 v[102:103], v[118:119], v[122:123]
	v_dual_mov_b32 v118, v105 :: v_dual_mov_b32 v119, v104
	s_delay_alu instid0(VALU_DEP_1) | instskip(NEXT) | instid1(VALU_DEP_1)
	v_pk_mul_f32 v[118:119], v[118:119], v[120:121] op_sel_hi:[1,0]
	v_pk_fma_f32 v[120:121], v[104:105], v[232:233], v[118:119] neg_lo:[0,0,1] neg_hi:[0,0,1]
	v_pk_fma_f32 v[104:105], v[104:105], v[232:233], v[118:119] op_sel_hi:[1,0,1]
	s_delay_alu instid0(VALU_DEP_1) | instskip(SKIP_2) | instid1(VALU_DEP_2)
	v_mov_b32_e32 v121, v105
	s_wait_loadcnt_dscnt 0x202
	v_pk_mul_f32 v[104:105], v[106:107], v[234:235] op_sel:[1,1] op_sel_hi:[0,1]
	v_pk_add_f32 v[102:103], v[102:103], v[120:121]
	s_delay_alu instid0(VALU_DEP_2) | instskip(SKIP_2) | instid1(VALU_DEP_2)
	v_pk_fma_f32 v[118:119], v[106:107], v[234:235], v[104:105] neg_lo:[0,0,1] neg_hi:[0,0,1]
	v_pk_fma_f32 v[104:105], v[106:107], v[234:235], v[104:105] op_sel_hi:[1,0,1]
	v_dual_mov_b32 v104, v109 :: v_dual_mov_b32 v106, v237
	v_dual_mov_b32 v119, v105 :: v_dual_mov_b32 v105, v108
	s_delay_alu instid0(VALU_DEP_1) | instskip(NEXT) | instid1(VALU_DEP_2)
	v_pk_add_f32 v[102:103], v[102:103], v[118:119]
	v_pk_mul_f32 v[104:105], v[104:105], v[106:107] op_sel_hi:[1,0]
	s_delay_alu instid0(VALU_DEP_1) | instskip(SKIP_1) | instid1(VALU_DEP_1)
	v_pk_fma_f32 v[106:107], v[108:109], v[236:237], v[104:105] neg_lo:[0,0,1] neg_hi:[0,0,1]
	v_pk_fma_f32 v[104:105], v[108:109], v[236:237], v[104:105] op_sel_hi:[1,0,1]
	v_mov_b32_e32 v107, v105
	s_wait_loadcnt_dscnt 0x101
	v_pk_mul_f32 v[104:105], v[110:111], v[238:239] op_sel:[1,1] op_sel_hi:[0,1]
	s_delay_alu instid0(VALU_DEP_2) | instskip(NEXT) | instid1(VALU_DEP_2)
	v_pk_add_f32 v[102:103], v[102:103], v[106:107]
	v_pk_fma_f32 v[106:107], v[110:111], v[238:239], v[104:105] neg_lo:[0,0,1] neg_hi:[0,0,1]
	v_pk_fma_f32 v[104:105], v[110:111], v[238:239], v[104:105] op_sel_hi:[1,0,1]
	s_delay_alu instid0(VALU_DEP_1) | instskip(SKIP_1) | instid1(VALU_DEP_2)
	v_dual_mov_b32 v104, v113 :: v_dual_mov_b32 v107, v105
	v_mov_b32_e32 v105, v112
	v_pk_add_f32 v[102:103], v[102:103], v[106:107]
	v_mov_b32_e32 v106, v241
	s_delay_alu instid0(VALU_DEP_1) | instskip(NEXT) | instid1(VALU_DEP_1)
	v_pk_mul_f32 v[104:105], v[104:105], v[106:107] op_sel_hi:[1,0]
	v_pk_fma_f32 v[106:107], v[112:113], v[240:241], v[104:105] neg_lo:[0,0,1] neg_hi:[0,0,1]
	v_pk_fma_f32 v[104:105], v[112:113], v[240:241], v[104:105] op_sel_hi:[1,0,1]
	s_delay_alu instid0(VALU_DEP_1) | instskip(SKIP_2) | instid1(VALU_DEP_2)
	v_mov_b32_e32 v107, v105
	s_wait_loadcnt_dscnt 0x0
	v_pk_mul_f32 v[104:105], v[114:115], v[242:243] op_sel:[1,1] op_sel_hi:[0,1]
	v_pk_add_f32 v[102:103], v[102:103], v[106:107]
	s_delay_alu instid0(VALU_DEP_2) | instskip(SKIP_1) | instid1(VALU_DEP_1)
	v_pk_fma_f32 v[106:107], v[114:115], v[242:243], v[104:105] neg_lo:[0,0,1] neg_hi:[0,0,1]
	v_pk_fma_f32 v[104:105], v[114:115], v[242:243], v[104:105] op_sel_hi:[1,0,1]
	v_dual_mov_b32 v104, v117 :: v_dual_mov_b32 v107, v105
	v_mov_b32_e32 v105, v116
	s_delay_alu instid0(VALU_DEP_2) | instskip(SKIP_1) | instid1(VALU_DEP_1)
	v_pk_add_f32 v[102:103], v[102:103], v[106:107]
	v_mov_b32_e32 v106, v245
	v_pk_mul_f32 v[104:105], v[104:105], v[106:107] op_sel_hi:[1,0]
	s_delay_alu instid0(VALU_DEP_1) | instskip(SKIP_1) | instid1(VALU_DEP_1)
	v_pk_fma_f32 v[106:107], v[116:117], v[244:245], v[104:105] neg_lo:[0,0,1] neg_hi:[0,0,1]
	v_pk_fma_f32 v[104:105], v[116:117], v[244:245], v[104:105] op_sel_hi:[1,0,1]
	v_mov_b32_e32 v107, v105
	scratch_load_b64 v[104:105], off, off offset:72
	v_pk_add_f32 v[102:103], v[102:103], v[106:107]
	s_wait_loadcnt 0x0
	s_delay_alu instid0(VALU_DEP_1)
	v_pk_add_f32 v[102:103], v[104:105], v[102:103] neg_lo:[0,1] neg_hi:[0,1]
	scratch_store_b64 off, v[102:103], off offset:72
	s_wait_xcnt 0x0
	v_cmpx_lt_u32_e32 8, v0
	s_cbranch_execz .LBB113_297
; %bb.296:
	scratch_load_b64 v[102:103], off, off offset:64
	v_mov_b64_e32 v[104:105], 0
	scratch_store_b64 off, v[104:105], off offset:64
	s_wait_loadcnt 0x0
	ds_store_b64 v1, v[102:103]
.LBB113_297:
	s_wait_xcnt 0x0
	s_or_b32 exec_lo, exec_lo, s0
	s_wait_storecnt_dscnt 0x0
	s_barrier_signal -1
	s_barrier_wait -1
	s_clause 0x10
	scratch_load_b128 v[106:109], off, off offset:72
	scratch_load_b128 v[114:117], off, off offset:88
	;; [unrolled: 1-line block ×17, first 2 shown]
	v_mov_b32_e32 v7, 0
	s_mov_b32 s0, exec_lo
	ds_load_2addr_b64 v[102:105], v7 offset0:59 offset1:60
	ds_load_2addr_b64 v[110:113], v7 offset0:61 offset1:62
	s_wait_loadcnt_dscnt 0x1001
	v_mul_f32_e32 v9, v102, v107
	ds_load_2addr_b64 v[214:217], v7 offset0:87 offset1:88
	ds_load_2addr_b64 v[222:225], v7 offset0:89 offset1:90
	v_mul_f32_e32 v11, v104, v109
	ds_load_2addr_b64 v[118:121], v7 offset0:63 offset1:64
	ds_load_2addr_b64 v[126:129], v7 offset0:65 offset1:66
	v_fmac_f32_e32 v9, v103, v106
	ds_load_2addr_b64 v[230:233], v7 offset0:91 offset1:92
	v_fmac_f32_e32 v11, v105, v108
	ds_load_2addr_b64 v[134:137], v7 offset0:67 offset1:68
	ds_load_2addr_b64 v[142:145], v7 offset0:69 offset1:70
	v_add_f32_e32 v9, 0, v9
	ds_load_2addr_b64 v[150:153], v7 offset0:71 offset1:72
	ds_load_2addr_b64 v[158:161], v7 offset0:73 offset1:74
	;; [unrolled: 1-line block ×4, first 2 shown]
	v_add_f32_e32 v9, v9, v11
	s_wait_loadcnt_dscnt 0xf0b
	v_mul_f32_e32 v11, v110, v115
	ds_load_2addr_b64 v[182:185], v7 offset0:79 offset1:80
	ds_load_2addr_b64 v[190:193], v7 offset0:81 offset1:82
	;; [unrolled: 1-line block ×4, first 2 shown]
	s_wait_loadcnt_dscnt 0xd0d
	v_dual_mul_f32 v253, v224, v229 :: v_dual_fmac_f32 v11, v111, v114
	s_clause 0x4
	scratch_load_b128 v[238:241], off, off offset:344
	scratch_load_b128 v[242:245], off, off offset:360
	;; [unrolled: 1-line block ×3, first 2 shown]
	s_set_vgpr_msb 64                       ;  msbs: dst=1 src0=0 src1=0 src2=0
	scratch_load_b64 v[0:1] /*v[256:257]*/, off, off offset:392
	s_wait_loadcnt_dscnt 0xe0a
	s_set_vgpr_msb 0                        ;  msbs: dst=0 src0=0 src1=0 src2=0
	v_mul_f32_e32 v255, v230, v235
	v_dual_add_f32 v9, v9, v11 :: v_dual_mul_f32 v11, v112, v117
	s_delay_alu instid0(VALU_DEP_2) | instskip(NEXT) | instid1(VALU_DEP_2)
	v_dual_fmac_f32 v253, v225, v228 :: v_dual_fmac_f32 v255, v231, v234
	v_fmac_f32_e32 v11, v113, v116
	s_delay_alu instid0(VALU_DEP_1) | instskip(SKIP_1) | instid1(VALU_DEP_1)
	v_add_f32_e32 v9, v9, v11
	v_mul_f32_e32 v11, v118, v123
	v_fmac_f32_e32 v11, v119, v122
	s_delay_alu instid0(VALU_DEP_1) | instskip(NEXT) | instid1(VALU_DEP_1)
	v_dual_add_f32 v9, v9, v11 :: v_dual_mul_f32 v11, v120, v125
	v_fmac_f32_e32 v11, v121, v124
	s_delay_alu instid0(VALU_DEP_1) | instskip(SKIP_1) | instid1(VALU_DEP_1)
	v_add_f32_e32 v9, v9, v11
	v_mul_f32_e32 v11, v126, v131
	v_fmac_f32_e32 v11, v127, v130
	s_delay_alu instid0(VALU_DEP_1) | instskip(NEXT) | instid1(VALU_DEP_1)
	v_dual_add_f32 v9, v9, v11 :: v_dual_mul_f32 v11, v128, v133
	v_fmac_f32_e32 v11, v129, v132
	s_delay_alu instid0(VALU_DEP_1) | instskip(SKIP_2) | instid1(VALU_DEP_1)
	v_add_f32_e32 v9, v9, v11
	s_wait_loadcnt_dscnt 0xd09
	v_mul_f32_e32 v11, v134, v139
	v_fmac_f32_e32 v11, v135, v138
	s_delay_alu instid0(VALU_DEP_1) | instskip(NEXT) | instid1(VALU_DEP_1)
	v_dual_add_f32 v9, v9, v11 :: v_dual_mul_f32 v11, v136, v141
	v_fmac_f32_e32 v11, v137, v140
	s_delay_alu instid0(VALU_DEP_1) | instskip(SKIP_2) | instid1(VALU_DEP_1)
	v_add_f32_e32 v9, v9, v11
	s_wait_loadcnt_dscnt 0xc08
	;; [unrolled: 8-line block ×10, first 2 shown]
	v_mul_f32_e32 v11, v206, v211
	v_fmac_f32_e32 v11, v207, v210
	s_delay_alu instid0(VALU_DEP_1) | instskip(NEXT) | instid1(VALU_DEP_1)
	v_dual_add_f32 v9, v9, v11 :: v_dual_mul_f32 v11, v208, v213
	v_fmac_f32_e32 v11, v209, v212
	s_delay_alu instid0(VALU_DEP_1) | instskip(SKIP_1) | instid1(VALU_DEP_1)
	v_add_f32_e32 v9, v9, v11
	v_mul_f32_e32 v11, v214, v219
	v_fmac_f32_e32 v11, v215, v218
	s_delay_alu instid0(VALU_DEP_1) | instskip(NEXT) | instid1(VALU_DEP_1)
	v_dual_add_f32 v9, v9, v11 :: v_dual_mul_f32 v11, v216, v221
	v_fmac_f32_e32 v11, v217, v220
	s_delay_alu instid0(VALU_DEP_1) | instskip(SKIP_1) | instid1(VALU_DEP_1)
	v_add_f32_e32 v9, v9, v11
	v_mul_f32_e32 v11, v222, v227
	v_fmac_f32_e32 v11, v223, v226
	s_delay_alu instid0(VALU_DEP_1) | instskip(SKIP_1) | instid1(VALU_DEP_1)
	v_add_f32_e32 v251, v9, v11
	v_dual_mul_f32 v9, v103, v107 :: v_dual_mul_f32 v11, v105, v109
	v_dual_fma_f32 v9, v102, v106, -v9 :: v_dual_fma_f32 v11, v104, v108, -v11
	s_delay_alu instid0(VALU_DEP_1) | instskip(NEXT) | instid1(VALU_DEP_1)
	v_add_f32_e32 v9, 0, v9
	v_add_f32_e32 v9, v9, v11
	v_mul_f32_e32 v11, v111, v115
	s_delay_alu instid0(VALU_DEP_1) | instskip(NEXT) | instid1(VALU_DEP_1)
	v_fma_f32 v11, v110, v114, -v11
	v_add_f32_e32 v9, v9, v11
	v_mul_f32_e32 v11, v113, v117
	s_delay_alu instid0(VALU_DEP_1)
	v_fma_f32 v11, v112, v116, -v11
	ds_load_2addr_b64 v[102:105], v7 offset0:93 offset1:94
	ds_load_2addr_b64 v[106:109], v7 offset0:95 offset1:96
	;; [unrolled: 1-line block ×3, first 2 shown]
	ds_load_b64 v[114:115], v7 offset:792
	v_add_f32_e32 v9, v9, v11
	v_dual_mul_f32 v11, v119, v123 :: v_dual_mov_b32 v119, v232
	s_delay_alu instid0(VALU_DEP_1) | instskip(NEXT) | instid1(VALU_DEP_1)
	v_dual_fma_f32 v11, v118, v122, -v11 :: v_dual_mov_b32 v118, v233
	v_add_f32_e32 v9, v9, v11
	v_mul_f32_e32 v11, v121, v125
	s_delay_alu instid0(VALU_DEP_1) | instskip(NEXT) | instid1(VALU_DEP_1)
	v_dual_fma_f32 v11, v120, v124, -v11 :: v_dual_mov_b32 v120, v237
	v_add_f32_e32 v9, v9, v11
	v_mul_f32_e32 v11, v127, v131
	s_delay_alu instid0(VALU_DEP_3) | instskip(NEXT) | instid1(VALU_DEP_2)
	v_pk_mul_f32 v[118:119], v[118:119], v[120:121] op_sel_hi:[1,0]
	v_fma_f32 v11, v126, v130, -v11
	s_delay_alu instid0(VALU_DEP_2) | instskip(SKIP_1) | instid1(VALU_DEP_3)
	v_pk_fma_f32 v[120:121], v[232:233], v[236:237], v[118:119] neg_lo:[0,0,1] neg_hi:[0,0,1]
	v_pk_fma_f32 v[118:119], v[232:233], v[236:237], v[118:119] op_sel_hi:[1,0,1]
	v_add_f32_e32 v9, v9, v11
	s_delay_alu instid0(VALU_DEP_2) | instskip(SKIP_2) | instid1(VALU_DEP_2)
	v_dual_mul_f32 v11, v129, v133 :: v_dual_mov_b32 v121, v119
	s_wait_loadcnt_dscnt 0x303
	v_pk_mul_f32 v[118:119], v[102:103], v[238:239] op_sel:[1,1] op_sel_hi:[0,1]
	v_fma_f32 v11, v128, v132, -v11
	s_delay_alu instid0(VALU_DEP_1) | instskip(SKIP_1) | instid1(VALU_DEP_1)
	v_add_f32_e32 v9, v9, v11
	v_mul_f32_e32 v11, v135, v139
	v_fma_f32 v11, v134, v138, -v11
	s_delay_alu instid0(VALU_DEP_1) | instskip(SKIP_1) | instid1(VALU_DEP_1)
	v_add_f32_e32 v9, v9, v11
	v_mul_f32_e32 v11, v137, v141
	;; [unrolled: 4-line block ×24, first 2 shown]
	v_dual_fma_f32 v252, v224, v228, -v9 :: v_dual_mul_f32 v9, v231, v235
	s_delay_alu instid0(VALU_DEP_1) | instskip(NEXT) | instid1(VALU_DEP_2)
	v_pk_add_f32 v[116:117], v[250:251], v[252:253]
	v_fma_f32 v254, v230, v234, -v9
	s_delay_alu instid0(VALU_DEP_1) | instskip(NEXT) | instid1(VALU_DEP_1)
	v_pk_add_f32 v[116:117], v[116:117], v[254:255]
	v_pk_add_f32 v[116:117], v[116:117], v[120:121]
	v_pk_fma_f32 v[120:121], v[102:103], v[238:239], v[118:119] neg_lo:[0,0,1] neg_hi:[0,0,1]
	v_pk_fma_f32 v[102:103], v[102:103], v[238:239], v[118:119] op_sel_hi:[1,0,1]
	s_delay_alu instid0(VALU_DEP_1) | instskip(NEXT) | instid1(VALU_DEP_1)
	v_dual_mov_b32 v118, v241 :: v_dual_mov_b32 v121, v103
	v_pk_add_f32 v[102:103], v[116:117], v[120:121]
	v_dual_mov_b32 v116, v105 :: v_dual_mov_b32 v117, v104
	s_delay_alu instid0(VALU_DEP_1) | instskip(NEXT) | instid1(VALU_DEP_1)
	v_pk_mul_f32 v[116:117], v[116:117], v[118:119] op_sel_hi:[1,0]
	v_pk_fma_f32 v[118:119], v[104:105], v[240:241], v[116:117] neg_lo:[0,0,1] neg_hi:[0,0,1]
	v_pk_fma_f32 v[104:105], v[104:105], v[240:241], v[116:117] op_sel_hi:[1,0,1]
	s_delay_alu instid0(VALU_DEP_1) | instskip(SKIP_2) | instid1(VALU_DEP_2)
	v_mov_b32_e32 v119, v105
	s_wait_loadcnt_dscnt 0x202
	v_pk_mul_f32 v[104:105], v[106:107], v[242:243] op_sel:[1,1] op_sel_hi:[0,1]
	v_pk_add_f32 v[102:103], v[102:103], v[118:119]
	s_delay_alu instid0(VALU_DEP_2) | instskip(SKIP_2) | instid1(VALU_DEP_2)
	v_pk_fma_f32 v[116:117], v[106:107], v[242:243], v[104:105] neg_lo:[0,0,1] neg_hi:[0,0,1]
	v_pk_fma_f32 v[104:105], v[106:107], v[242:243], v[104:105] op_sel_hi:[1,0,1]
	v_dual_mov_b32 v104, v109 :: v_dual_mov_b32 v106, v245
	v_dual_mov_b32 v117, v105 :: v_dual_mov_b32 v105, v108
	s_delay_alu instid0(VALU_DEP_1) | instskip(NEXT) | instid1(VALU_DEP_2)
	v_pk_add_f32 v[102:103], v[102:103], v[116:117]
	v_pk_mul_f32 v[104:105], v[104:105], v[106:107] op_sel_hi:[1,0]
	s_delay_alu instid0(VALU_DEP_1) | instskip(SKIP_1) | instid1(VALU_DEP_1)
	v_pk_fma_f32 v[106:107], v[108:109], v[244:245], v[104:105] neg_lo:[0,0,1] neg_hi:[0,0,1]
	v_pk_fma_f32 v[104:105], v[108:109], v[244:245], v[104:105] op_sel_hi:[1,0,1]
	v_mov_b32_e32 v107, v105
	s_wait_loadcnt_dscnt 0x101
	v_pk_mul_f32 v[104:105], v[110:111], v[246:247] op_sel:[1,1] op_sel_hi:[0,1]
	s_delay_alu instid0(VALU_DEP_2) | instskip(NEXT) | instid1(VALU_DEP_2)
	v_pk_add_f32 v[102:103], v[102:103], v[106:107]
	v_pk_fma_f32 v[106:107], v[110:111], v[246:247], v[104:105] neg_lo:[0,0,1] neg_hi:[0,0,1]
	v_pk_fma_f32 v[104:105], v[110:111], v[246:247], v[104:105] op_sel_hi:[1,0,1]
	s_delay_alu instid0(VALU_DEP_1) | instskip(SKIP_1) | instid1(VALU_DEP_2)
	v_dual_mov_b32 v104, v113 :: v_dual_mov_b32 v107, v105
	v_mov_b32_e32 v105, v112
	v_pk_add_f32 v[102:103], v[102:103], v[106:107]
	v_mov_b32_e32 v106, v249
	s_delay_alu instid0(VALU_DEP_1) | instskip(NEXT) | instid1(VALU_DEP_1)
	v_pk_mul_f32 v[104:105], v[104:105], v[106:107] op_sel_hi:[1,0]
	v_pk_fma_f32 v[106:107], v[112:113], v[248:249], v[104:105] neg_lo:[0,0,1] neg_hi:[0,0,1]
	v_pk_fma_f32 v[104:105], v[112:113], v[248:249], v[104:105] op_sel_hi:[1,0,1]
	s_delay_alu instid0(VALU_DEP_1)
	v_mov_b32_e32 v107, v105
	s_wait_loadcnt_dscnt 0x0
	s_set_vgpr_msb 4                        ;  msbs: dst=0 src0=0 src1=1 src2=0
	v_pk_mul_f32 v[104:105], v[114:115], v[0:1] /*v[256:257]*/ op_sel:[1,1] op_sel_hi:[0,1]
	s_set_vgpr_msb 0                        ;  msbs: dst=0 src0=0 src1=0 src2=0
	v_pk_add_f32 v[102:103], v[102:103], v[106:107]
	s_set_vgpr_msb 4                        ;  msbs: dst=0 src0=0 src1=1 src2=0
	s_delay_alu instid0(VALU_DEP_2) | instskip(SKIP_1) | instid1(VALU_DEP_1)
	v_pk_fma_f32 v[106:107], v[114:115], v[0:1] /*v[256:257]*/, v[104:105] neg_lo:[0,0,1] neg_hi:[0,0,1]
	v_pk_fma_f32 v[104:105], v[114:115], v[0:1] /*v[256:257]*/, v[104:105] op_sel_hi:[1,0,1]
	v_mov_b32_e32 v107, v105
	scratch_load_b64 v[104:105], off, off offset:64
	s_set_vgpr_msb 0                        ;  msbs: dst=0 src0=0 src1=0 src2=0
	v_pk_add_f32 v[102:103], v[102:103], v[106:107]
	s_wait_loadcnt 0x0
	s_delay_alu instid0(VALU_DEP_1)
	v_pk_add_f32 v[102:103], v[104:105], v[102:103] neg_lo:[0,1] neg_hi:[0,1]
	scratch_store_b64 off, v[102:103], off offset:64
	s_wait_xcnt 0x0
	v_cmpx_lt_u32_e32 7, v0
	s_cbranch_execz .LBB113_299
; %bb.298:
	scratch_load_b64 v[102:103], off, off offset:56
	v_mov_b64_e32 v[104:105], 0
	scratch_store_b64 off, v[104:105], off offset:56
	s_wait_loadcnt 0x0
	ds_store_b64 v1, v[102:103]
.LBB113_299:
	s_wait_xcnt 0x0
	s_or_b32 exec_lo, exec_lo, s0
	s_wait_storecnt_dscnt 0x0
	s_barrier_signal -1
	s_barrier_wait -1
	ds_load_b128 v[102:105], v7 offset:464
	ds_load_b128 v[106:109], v7 offset:480
	;; [unrolled: 1-line block ×4, first 2 shown]
	s_clause 0xf
	scratch_load_b128 v[118:121], off, off offset:64
	scratch_load_b128 v[122:125], off, off offset:80
	;; [unrolled: 1-line block ×16, first 2 shown]
	ds_load_b128 v[134:137], v7 offset:528
	ds_load_b128 v[142:145], v7 offset:544
	;; [unrolled: 1-line block ×3, first 2 shown]
	scratch_load_b128 v[234:237], off, off offset:320
	ds_load_b128 v[150:153], v7 offset:560
	ds_load_b128 v[158:161], v7 offset:576
	ds_load_b128 v[166:169], v7 offset:592
	ds_load_b128 v[174:177], v7 offset:608
	ds_load_b128 v[182:185], v7 offset:624
	ds_load_b128 v[190:193], v7 offset:640
	ds_load_b128 v[198:201], v7 offset:656
	ds_load_b128 v[206:209], v7 offset:672
	ds_load_b128 v[214:217], v7 offset:688
	ds_load_b128 v[222:225], v7 offset:704
	s_clause 0x3
	scratch_load_b128 v[238:241], off, off offset:336
	scratch_load_b128 v[242:245], off, off offset:352
	;; [unrolled: 1-line block ×4, first 2 shown]
	s_mov_b32 s0, exec_lo
	s_wait_loadcnt_dscnt 0x1410
	v_dual_mul_f32 v9, v102, v119 :: v_dual_mul_f32 v11, v104, v121
	s_delay_alu instid0(VALU_DEP_1) | instskip(NEXT) | instid1(VALU_DEP_1)
	v_dual_fmac_f32 v9, v103, v118 :: v_dual_fmac_f32 v11, v105, v120
	v_add_f32_e32 v9, 0, v9
	s_delay_alu instid0(VALU_DEP_1)
	v_add_f32_e32 v9, v9, v11
	s_wait_loadcnt_dscnt 0x130f
	v_mul_f32_e32 v11, v106, v123
	s_wait_loadcnt_dscnt 0x40a
	s_set_vgpr_msb 64                       ;  msbs: dst=1 src0=0 src1=0 src2=0
	v_dual_mul_f32 v1 /*v257*/, v230, v235 :: v_dual_mul_f32 v3 /*v259*/, v232, v237
	s_set_vgpr_msb 0                        ;  msbs: dst=0 src0=0 src1=0 src2=0
	v_fmac_f32_e32 v11, v107, v122
	s_set_vgpr_msb 64                       ;  msbs: dst=1 src0=0 src1=0 src2=0
	s_delay_alu instid0(VALU_DEP_2) | instskip(SKIP_1) | instid1(VALU_DEP_2)
	v_dual_fmac_f32 v1 /*v257*/, v231, v234 :: v_dual_fmac_f32 v3 /*v259*/, v233, v236
	s_set_vgpr_msb 0                        ;  msbs: dst=0 src0=0 src1=0 src2=0
	v_dual_add_f32 v9, v9, v11 :: v_dual_mul_f32 v11, v108, v125
	s_delay_alu instid0(VALU_DEP_1) | instskip(NEXT) | instid1(VALU_DEP_1)
	v_fmac_f32_e32 v11, v109, v124
	v_add_f32_e32 v9, v9, v11
	v_mul_f32_e32 v11, v110, v127
	s_delay_alu instid0(VALU_DEP_1) | instskip(NEXT) | instid1(VALU_DEP_1)
	v_fmac_f32_e32 v11, v111, v126
	v_dual_add_f32 v9, v9, v11 :: v_dual_mul_f32 v11, v112, v129
	s_delay_alu instid0(VALU_DEP_1) | instskip(NEXT) | instid1(VALU_DEP_1)
	v_fmac_f32_e32 v11, v113, v128
	v_add_f32_e32 v9, v9, v11
	v_mul_f32_e32 v11, v114, v131
	s_delay_alu instid0(VALU_DEP_1) | instskip(NEXT) | instid1(VALU_DEP_1)
	v_fmac_f32_e32 v11, v115, v130
	;; [unrolled: 7-line block ×4, first 2 shown]
	v_dual_add_f32 v9, v9, v11 :: v_dual_mul_f32 v11, v144, v149
	s_delay_alu instid0(VALU_DEP_1) | instskip(NEXT) | instid1(VALU_DEP_1)
	v_fmac_f32_e32 v11, v145, v148
	v_add_f32_e32 v9, v9, v11
	s_wait_dscnt 0x9
	v_mul_f32_e32 v11, v150, v155
	s_delay_alu instid0(VALU_DEP_1) | instskip(NEXT) | instid1(VALU_DEP_1)
	v_fmac_f32_e32 v11, v151, v154
	v_dual_add_f32 v9, v9, v11 :: v_dual_mul_f32 v11, v152, v157
	s_delay_alu instid0(VALU_DEP_1) | instskip(NEXT) | instid1(VALU_DEP_1)
	v_fmac_f32_e32 v11, v153, v156
	v_add_f32_e32 v9, v9, v11
	s_wait_dscnt 0x8
	v_mul_f32_e32 v11, v158, v163
	s_delay_alu instid0(VALU_DEP_1) | instskip(NEXT) | instid1(VALU_DEP_1)
	v_fmac_f32_e32 v11, v159, v162
	;; [unrolled: 8-line block ×10, first 2 shown]
	v_dual_add_f32 v9, v9, v11 :: v_dual_mul_f32 v11, v224, v229
	s_delay_alu instid0(VALU_DEP_1) | instskip(NEXT) | instid1(VALU_DEP_1)
	v_fmac_f32_e32 v11, v225, v228
	v_add_f32_e32 v255, v9, v11
	v_dual_mul_f32 v9, v103, v119 :: v_dual_mul_f32 v11, v105, v121
	s_delay_alu instid0(VALU_DEP_1) | instskip(NEXT) | instid1(VALU_DEP_1)
	v_dual_fma_f32 v9, v102, v118, -v9 :: v_dual_fma_f32 v11, v104, v120, -v11
	v_add_f32_e32 v9, 0, v9
	s_delay_alu instid0(VALU_DEP_1) | instskip(SKIP_1) | instid1(VALU_DEP_1)
	v_add_f32_e32 v9, v9, v11
	v_mul_f32_e32 v11, v107, v123
	v_fma_f32 v11, v106, v122, -v11
	s_delay_alu instid0(VALU_DEP_1) | instskip(SKIP_1) | instid1(VALU_DEP_1)
	v_add_f32_e32 v9, v9, v11
	v_mul_f32_e32 v11, v109, v125
	v_fma_f32 v11, v108, v124, -v11
	;; [unrolled: 4-line block ×6, first 2 shown]
	ds_load_b128 v[102:105], v7 offset:736
	ds_load_b128 v[106:109], v7 offset:752
	;; [unrolled: 1-line block ×4, first 2 shown]
	v_add_f32_e32 v9, v9, v11
	v_mul_f32_e32 v11, v135, v139
	s_delay_alu instid0(VALU_DEP_1) | instskip(NEXT) | instid1(VALU_DEP_1)
	v_fma_f32 v11, v134, v138, -v11
	v_add_f32_e32 v9, v9, v11
	v_mul_f32_e32 v11, v137, v141
	s_wait_loadcnt_dscnt 0x303
	v_pk_mul_f32 v[120:121], v[102:103], v[238:239] op_sel:[1,1] op_sel_hi:[0,1]
	s_delay_alu instid0(VALU_DEP_2) | instskip(NEXT) | instid1(VALU_DEP_2)
	v_fma_f32 v11, v136, v140, -v11
	v_pk_fma_f32 v[122:123], v[102:103], v[238:239], v[120:121] neg_lo:[0,0,1] neg_hi:[0,0,1]
	v_pk_fma_f32 v[102:103], v[102:103], v[238:239], v[120:121] op_sel_hi:[1,0,1]
	v_mov_b32_e32 v120, v241
	s_delay_alu instid0(VALU_DEP_4) | instskip(SKIP_1) | instid1(VALU_DEP_1)
	v_add_f32_e32 v9, v9, v11
	v_mul_f32_e32 v11, v143, v147
	v_dual_mov_b32 v123, v103 :: v_dual_fma_f32 v11, v142, v146, -v11
	s_delay_alu instid0(VALU_DEP_1) | instskip(SKIP_1) | instid1(VALU_DEP_1)
	v_add_f32_e32 v9, v9, v11
	v_mul_f32_e32 v11, v145, v149
	v_fma_f32 v11, v144, v148, -v11
	s_delay_alu instid0(VALU_DEP_1) | instskip(SKIP_1) | instid1(VALU_DEP_1)
	v_add_f32_e32 v9, v9, v11
	v_mul_f32_e32 v11, v151, v155
	v_fma_f32 v11, v150, v154, -v11
	;; [unrolled: 4-line block ×21, first 2 shown]
	s_delay_alu instid0(VALU_DEP_1) | instskip(SKIP_2) | instid1(VALU_DEP_1)
	v_add_f32_e32 v254, v9, v11
	v_mul_f32_e32 v9, v231, v235
	s_set_vgpr_msb 64                       ;  msbs: dst=1 src0=0 src1=0 src2=0
	v_fma_f32 v0 /*v256*/, v230, v234, -v9
	s_set_vgpr_msb 0                        ;  msbs: dst=0 src0=0 src1=0 src2=0
	v_mul_f32_e32 v9, v233, v237
	s_set_vgpr_msb 64                       ;  msbs: dst=1 src0=0 src1=0 src2=0
	s_delay_alu instid0(VALU_DEP_1) | instskip(SKIP_2) | instid1(VALU_DEP_1)
	v_fma_f32 v2 /*v258*/, v232, v236, -v9
	s_set_vgpr_msb 4                        ;  msbs: dst=0 src0=0 src1=1 src2=0
	v_pk_add_f32 v[118:119], v[254:255], v[0:1] /*v[256:257]*/
	v_pk_add_f32 v[118:119], v[118:119], v[2:3] /*v[258:259]*/
	s_set_vgpr_msb 0                        ;  msbs: dst=0 src0=0 src1=0 src2=0
	s_delay_alu instid0(VALU_DEP_1) | instskip(SKIP_1) | instid1(VALU_DEP_1)
	v_pk_add_f32 v[102:103], v[118:119], v[122:123]
	v_dual_mov_b32 v118, v105 :: v_dual_mov_b32 v119, v104
	v_pk_mul_f32 v[118:119], v[118:119], v[120:121] op_sel_hi:[1,0]
	s_delay_alu instid0(VALU_DEP_1) | instskip(SKIP_1) | instid1(VALU_DEP_1)
	v_pk_fma_f32 v[120:121], v[104:105], v[240:241], v[118:119] neg_lo:[0,0,1] neg_hi:[0,0,1]
	v_pk_fma_f32 v[104:105], v[104:105], v[240:241], v[118:119] op_sel_hi:[1,0,1]
	v_mov_b32_e32 v121, v105
	s_wait_loadcnt_dscnt 0x202
	v_pk_mul_f32 v[104:105], v[106:107], v[242:243] op_sel:[1,1] op_sel_hi:[0,1]
	s_delay_alu instid0(VALU_DEP_2) | instskip(NEXT) | instid1(VALU_DEP_2)
	v_pk_add_f32 v[102:103], v[102:103], v[120:121]
	v_pk_fma_f32 v[118:119], v[106:107], v[242:243], v[104:105] neg_lo:[0,0,1] neg_hi:[0,0,1]
	v_pk_fma_f32 v[104:105], v[106:107], v[242:243], v[104:105] op_sel_hi:[1,0,1]
	v_dual_mov_b32 v104, v109 :: v_dual_mov_b32 v106, v245
	s_delay_alu instid0(VALU_DEP_2) | instskip(NEXT) | instid1(VALU_DEP_1)
	v_dual_mov_b32 v119, v105 :: v_dual_mov_b32 v105, v108
	v_pk_add_f32 v[102:103], v[102:103], v[118:119]
	s_delay_alu instid0(VALU_DEP_2) | instskip(NEXT) | instid1(VALU_DEP_1)
	v_pk_mul_f32 v[104:105], v[104:105], v[106:107] op_sel_hi:[1,0]
	v_pk_fma_f32 v[106:107], v[108:109], v[244:245], v[104:105] neg_lo:[0,0,1] neg_hi:[0,0,1]
	v_pk_fma_f32 v[104:105], v[108:109], v[244:245], v[104:105] op_sel_hi:[1,0,1]
	s_delay_alu instid0(VALU_DEP_1) | instskip(SKIP_2) | instid1(VALU_DEP_2)
	v_mov_b32_e32 v107, v105
	s_wait_loadcnt_dscnt 0x101
	v_pk_mul_f32 v[104:105], v[110:111], v[246:247] op_sel:[1,1] op_sel_hi:[0,1]
	v_pk_add_f32 v[102:103], v[102:103], v[106:107]
	s_delay_alu instid0(VALU_DEP_2) | instskip(SKIP_1) | instid1(VALU_DEP_1)
	v_pk_fma_f32 v[106:107], v[110:111], v[246:247], v[104:105] neg_lo:[0,0,1] neg_hi:[0,0,1]
	v_pk_fma_f32 v[104:105], v[110:111], v[246:247], v[104:105] op_sel_hi:[1,0,1]
	v_dual_mov_b32 v104, v113 :: v_dual_mov_b32 v107, v105
	v_mov_b32_e32 v105, v112
	s_delay_alu instid0(VALU_DEP_2) | instskip(SKIP_1) | instid1(VALU_DEP_1)
	v_pk_add_f32 v[102:103], v[102:103], v[106:107]
	v_mov_b32_e32 v106, v249
	v_pk_mul_f32 v[104:105], v[104:105], v[106:107] op_sel_hi:[1,0]
	s_delay_alu instid0(VALU_DEP_1) | instskip(SKIP_1) | instid1(VALU_DEP_1)
	v_pk_fma_f32 v[106:107], v[112:113], v[248:249], v[104:105] neg_lo:[0,0,1] neg_hi:[0,0,1]
	v_pk_fma_f32 v[104:105], v[112:113], v[248:249], v[104:105] op_sel_hi:[1,0,1]
	v_mov_b32_e32 v107, v105
	s_wait_loadcnt_dscnt 0x0
	v_pk_mul_f32 v[104:105], v[114:115], v[250:251] op_sel:[1,1] op_sel_hi:[0,1]
	s_delay_alu instid0(VALU_DEP_2) | instskip(NEXT) | instid1(VALU_DEP_2)
	v_pk_add_f32 v[102:103], v[102:103], v[106:107]
	v_pk_fma_f32 v[106:107], v[114:115], v[250:251], v[104:105] neg_lo:[0,0,1] neg_hi:[0,0,1]
	v_pk_fma_f32 v[104:105], v[114:115], v[250:251], v[104:105] op_sel_hi:[1,0,1]
	s_delay_alu instid0(VALU_DEP_1) | instskip(SKIP_1) | instid1(VALU_DEP_2)
	v_dual_mov_b32 v104, v117 :: v_dual_mov_b32 v107, v105
	v_mov_b32_e32 v105, v116
	v_pk_add_f32 v[102:103], v[102:103], v[106:107]
	v_mov_b32_e32 v106, v253
	s_delay_alu instid0(VALU_DEP_1) | instskip(NEXT) | instid1(VALU_DEP_1)
	v_pk_mul_f32 v[104:105], v[104:105], v[106:107] op_sel_hi:[1,0]
	v_pk_fma_f32 v[106:107], v[116:117], v[252:253], v[104:105] neg_lo:[0,0,1] neg_hi:[0,0,1]
	v_pk_fma_f32 v[104:105], v[116:117], v[252:253], v[104:105] op_sel_hi:[1,0,1]
	s_delay_alu instid0(VALU_DEP_1) | instskip(SKIP_3) | instid1(VALU_DEP_1)
	v_mov_b32_e32 v107, v105
	scratch_load_b64 v[104:105], off, off offset:56
	v_pk_add_f32 v[102:103], v[102:103], v[106:107]
	s_wait_loadcnt 0x0
	v_pk_add_f32 v[102:103], v[104:105], v[102:103] neg_lo:[0,1] neg_hi:[0,1]
	scratch_store_b64 off, v[102:103], off offset:56
	s_wait_xcnt 0x0
	v_cmpx_lt_u32_e32 6, v0
	s_cbranch_execz .LBB113_301
; %bb.300:
	scratch_load_b64 v[102:103], off, off offset:48
	v_mov_b64_e32 v[104:105], 0
	scratch_store_b64 off, v[104:105], off offset:48
	s_wait_loadcnt 0x0
	ds_store_b64 v1, v[102:103]
.LBB113_301:
	s_wait_xcnt 0x0
	s_or_b32 exec_lo, exec_lo, s0
	s_wait_storecnt_dscnt 0x0
	s_barrier_signal -1
	s_barrier_wait -1
	s_clause 0xf
	scratch_load_b128 v[106:109], off, off offset:56
	scratch_load_b128 v[114:117], off, off offset:72
	;; [unrolled: 1-line block ×16, first 2 shown]
	v_mov_b32_e32 v7, 0
	s_clause 0x1
	scratch_load_b128 v[234:237], off, off offset:312
	scratch_load_b128 v[242:245], off, off offset:328
	s_mov_b32 s0, exec_lo
	ds_load_2addr_b64 v[102:105], v7 offset0:57 offset1:58
	ds_load_2addr_b64 v[110:113], v7 offset0:59 offset1:60
	s_wait_loadcnt_dscnt 0x1101
	v_dual_mul_f32 v9, v102, v107 :: v_dual_mul_f32 v11, v104, v109
	ds_load_2addr_b64 v[118:121], v7 offset0:61 offset1:62
	ds_load_2addr_b64 v[126:129], v7 offset0:63 offset1:64
	;; [unrolled: 1-line block ×4, first 2 shown]
	v_dual_fmac_f32 v9, v103, v106 :: v_dual_fmac_f32 v11, v105, v108
	ds_load_2addr_b64 v[134:137], v7 offset0:65 offset1:66
	ds_load_2addr_b64 v[142:145], v7 offset0:67 offset1:68
	;; [unrolled: 1-line block ×4, first 2 shown]
	v_add_f32_e32 v9, 0, v9
	ds_load_2addr_b64 v[166:169], v7 offset0:73 offset1:74
	ds_load_2addr_b64 v[174:177], v7 offset0:75 offset1:76
	;; [unrolled: 1-line block ×4, first 2 shown]
	v_add_f32_e32 v9, v9, v11
	s_wait_loadcnt_dscnt 0x100c
	v_mul_f32_e32 v11, v110, v115
	ds_load_2addr_b64 v[198:201], v7 offset0:81 offset1:82
	ds_load_2addr_b64 v[206:209], v7 offset0:83 offset1:84
	;; [unrolled: 1-line block ×4, first 2 shown]
	v_fmac_f32_e32 v11, v111, v114
	s_clause 0x4
	scratch_load_b128 v[246:249], off, off offset:344
	scratch_load_b128 v[250:253], off, off offset:360
	;; [unrolled: 1-line block ×3, first 2 shown]
	s_set_vgpr_msb 64                       ;  msbs: dst=1 src0=0 src1=0 src2=0
	scratch_load_b64 v[8:9] /*v[264:265]*/, off, off offset:392
	s_wait_loadcnt_dscnt 0x40c
	v_dual_mul_f32 v5 /*v261*/, v232, v237 :: v_dual_mul_f32 v7 /*v263*/, v238, v243
	s_set_vgpr_msb 0                        ;  msbs: dst=0 src0=0 src1=0 src2=0
	v_dual_add_f32 v9, v9, v11 :: v_dual_mul_f32 v11, v112, v117
	s_set_vgpr_msb 64                       ;  msbs: dst=1 src0=0 src1=0 src2=0
	s_delay_alu instid0(VALU_DEP_2) | instskip(SKIP_1) | instid1(VALU_DEP_2)
	v_fmac_f32_e32 v5 /*v261*/, v233, v236
	s_set_vgpr_msb 0                        ;  msbs: dst=0 src0=0 src1=0 src2=0
	v_fmac_f32_e32 v11, v113, v116
	s_delay_alu instid0(VALU_DEP_1) | instskip(SKIP_1) | instid1(VALU_DEP_1)
	v_add_f32_e32 v9, v9, v11
	v_mul_f32_e32 v11, v118, v123
	v_fmac_f32_e32 v11, v119, v122
	s_delay_alu instid0(VALU_DEP_1) | instskip(NEXT) | instid1(VALU_DEP_1)
	v_dual_add_f32 v9, v9, v11 :: v_dual_mul_f32 v11, v120, v125
	v_fmac_f32_e32 v11, v121, v124
	s_delay_alu instid0(VALU_DEP_1) | instskip(SKIP_1) | instid1(VALU_DEP_1)
	v_add_f32_e32 v9, v9, v11
	v_mul_f32_e32 v11, v126, v131
	v_fmac_f32_e32 v11, v127, v130
	s_delay_alu instid0(VALU_DEP_1) | instskip(NEXT) | instid1(VALU_DEP_1)
	v_dual_add_f32 v9, v9, v11 :: v_dual_mul_f32 v11, v128, v133
	v_fmac_f32_e32 v11, v129, v132
	s_delay_alu instid0(VALU_DEP_1) | instskip(SKIP_2) | instid1(VALU_DEP_1)
	v_add_f32_e32 v9, v9, v11
	s_wait_dscnt 0xb
	v_mul_f32_e32 v11, v134, v139
	v_fmac_f32_e32 v11, v135, v138
	s_delay_alu instid0(VALU_DEP_1) | instskip(NEXT) | instid1(VALU_DEP_1)
	v_dual_add_f32 v9, v9, v11 :: v_dual_mul_f32 v11, v136, v141
	v_fmac_f32_e32 v11, v137, v140
	s_delay_alu instid0(VALU_DEP_1) | instskip(SKIP_2) | instid1(VALU_DEP_1)
	v_add_f32_e32 v9, v9, v11
	s_wait_dscnt 0xa
	;; [unrolled: 8-line block ×12, first 2 shown]
	v_mul_f32_e32 v11, v222, v227
	v_fmac_f32_e32 v11, v223, v226
	s_delay_alu instid0(VALU_DEP_1) | instskip(NEXT) | instid1(VALU_DEP_1)
	v_dual_add_f32 v9, v9, v11 :: v_dual_mul_f32 v11, v224, v229
	v_fmac_f32_e32 v11, v225, v228
	s_delay_alu instid0(VALU_DEP_1) | instskip(SKIP_1) | instid1(VALU_DEP_1)
	v_add_f32_e32 v9, v9, v11
	v_mul_f32_e32 v11, v230, v235
	v_fmac_f32_e32 v11, v231, v234
	s_set_vgpr_msb 64                       ;  msbs: dst=1 src0=0 src1=0 src2=0
	s_delay_alu instid0(VALU_DEP_1) | instskip(SKIP_2) | instid1(VALU_DEP_1)
	v_add_f32_e32 v3 /*v259*/, v9, v11
	s_set_vgpr_msb 0                        ;  msbs: dst=0 src0=0 src1=0 src2=0
	v_dual_mul_f32 v9, v103, v107 :: v_dual_mul_f32 v11, v105, v109
	v_dual_fma_f32 v9, v102, v106, -v9 :: v_dual_fma_f32 v11, v104, v108, -v11
	s_delay_alu instid0(VALU_DEP_1) | instskip(NEXT) | instid1(VALU_DEP_1)
	v_add_f32_e32 v9, 0, v9
	v_add_f32_e32 v9, v9, v11
	v_mul_f32_e32 v11, v111, v115
	s_delay_alu instid0(VALU_DEP_1) | instskip(NEXT) | instid1(VALU_DEP_1)
	v_fma_f32 v11, v110, v114, -v11
	v_add_f32_e32 v9, v9, v11
	v_mul_f32_e32 v11, v113, v117
	s_delay_alu instid0(VALU_DEP_1)
	v_fma_f32 v11, v112, v116, -v11
	ds_load_2addr_b64 v[102:105], v7 offset0:93 offset1:94
	ds_load_2addr_b64 v[106:109], v7 offset0:95 offset1:96
	;; [unrolled: 1-line block ×3, first 2 shown]
	ds_load_b64 v[114:115], v7 offset:792
	v_add_f32_e32 v9, v9, v11
	v_dual_mul_f32 v11, v119, v123 :: v_dual_mov_b32 v119, v240
	s_delay_alu instid0(VALU_DEP_1) | instskip(NEXT) | instid1(VALU_DEP_1)
	v_dual_fma_f32 v11, v118, v122, -v11 :: v_dual_mov_b32 v118, v241
	v_add_f32_e32 v9, v9, v11
	v_mul_f32_e32 v11, v121, v125
	s_delay_alu instid0(VALU_DEP_1) | instskip(NEXT) | instid1(VALU_DEP_1)
	v_dual_fma_f32 v11, v120, v124, -v11 :: v_dual_mov_b32 v120, v245
	v_add_f32_e32 v9, v9, v11
	v_mul_f32_e32 v11, v127, v131
	s_delay_alu instid0(VALU_DEP_3) | instskip(NEXT) | instid1(VALU_DEP_2)
	v_pk_mul_f32 v[118:119], v[118:119], v[120:121] op_sel_hi:[1,0]
	v_fma_f32 v11, v126, v130, -v11
	s_delay_alu instid0(VALU_DEP_2) | instskip(SKIP_1) | instid1(VALU_DEP_3)
	v_pk_fma_f32 v[120:121], v[240:241], v[244:245], v[118:119] neg_lo:[0,0,1] neg_hi:[0,0,1]
	v_pk_fma_f32 v[118:119], v[240:241], v[244:245], v[118:119] op_sel_hi:[1,0,1]
	v_add_f32_e32 v9, v9, v11
	s_delay_alu instid0(VALU_DEP_2) | instskip(SKIP_2) | instid1(VALU_DEP_2)
	v_dual_mul_f32 v11, v129, v133 :: v_dual_mov_b32 v121, v119
	s_wait_loadcnt_dscnt 0x303
	v_pk_mul_f32 v[118:119], v[102:103], v[246:247] op_sel:[1,1] op_sel_hi:[0,1]
	v_fma_f32 v11, v128, v132, -v11
	s_delay_alu instid0(VALU_DEP_1) | instskip(SKIP_1) | instid1(VALU_DEP_1)
	v_add_f32_e32 v9, v9, v11
	v_mul_f32_e32 v11, v135, v139
	v_fma_f32 v11, v134, v138, -v11
	s_delay_alu instid0(VALU_DEP_1) | instskip(SKIP_1) | instid1(VALU_DEP_1)
	v_add_f32_e32 v9, v9, v11
	v_mul_f32_e32 v11, v137, v141
	;; [unrolled: 4-line block ×25, first 2 shown]
	v_fma_f32 v11, v230, v234, -v11
	s_set_vgpr_msb 64                       ;  msbs: dst=1 src0=0 src1=0 src2=0
	s_delay_alu instid0(VALU_DEP_1) | instskip(SKIP_3) | instid1(VALU_DEP_1)
	v_dual_fmac_f32 v7 /*v263*/, v239, v242 :: v_dual_add_f32 v2 /*v258*/, v9, v11
	s_set_vgpr_msb 0                        ;  msbs: dst=0 src0=0 src1=0 src2=0
	v_mul_f32_e32 v9, v233, v237
	s_set_vgpr_msb 64                       ;  msbs: dst=1 src0=0 src1=0 src2=0
	v_fma_f32 v4 /*v260*/, v232, v236, -v9
	s_set_vgpr_msb 0                        ;  msbs: dst=0 src0=0 src1=0 src2=0
	v_mul_f32_e32 v9, v239, v243
	s_set_vgpr_msb 64                       ;  msbs: dst=1 src0=0 src1=0 src2=0
	s_delay_alu instid0(VALU_DEP_1) | instskip(SKIP_3) | instid1(VALU_DEP_1)
	v_fma_f32 v6 /*v262*/, v238, v242, -v9
	s_set_vgpr_msb 5                        ;  msbs: dst=0 src0=1 src1=1 src2=0
	v_pk_add_f32 v[116:117], v[2:3] /*v[258:259]*/, v[4:5] /*v[260:261]*/
	s_set_vgpr_msb 4                        ;  msbs: dst=0 src0=0 src1=1 src2=0
	v_pk_add_f32 v[116:117], v[116:117], v[6:7] /*v[262:263]*/
	s_set_vgpr_msb 0                        ;  msbs: dst=0 src0=0 src1=0 src2=0
	s_delay_alu instid0(VALU_DEP_1) | instskip(SKIP_2) | instid1(VALU_DEP_1)
	v_pk_add_f32 v[116:117], v[116:117], v[120:121]
	v_pk_fma_f32 v[120:121], v[102:103], v[246:247], v[118:119] neg_lo:[0,0,1] neg_hi:[0,0,1]
	v_pk_fma_f32 v[102:103], v[102:103], v[246:247], v[118:119] op_sel_hi:[1,0,1]
	v_dual_mov_b32 v118, v249 :: v_dual_mov_b32 v121, v103
	s_delay_alu instid0(VALU_DEP_1) | instskip(SKIP_1) | instid1(VALU_DEP_1)
	v_pk_add_f32 v[102:103], v[116:117], v[120:121]
	v_dual_mov_b32 v116, v105 :: v_dual_mov_b32 v117, v104
	v_pk_mul_f32 v[116:117], v[116:117], v[118:119] op_sel_hi:[1,0]
	s_delay_alu instid0(VALU_DEP_1) | instskip(SKIP_1) | instid1(VALU_DEP_1)
	v_pk_fma_f32 v[118:119], v[104:105], v[248:249], v[116:117] neg_lo:[0,0,1] neg_hi:[0,0,1]
	v_pk_fma_f32 v[104:105], v[104:105], v[248:249], v[116:117] op_sel_hi:[1,0,1]
	v_mov_b32_e32 v119, v105
	s_wait_loadcnt_dscnt 0x202
	v_pk_mul_f32 v[104:105], v[106:107], v[250:251] op_sel:[1,1] op_sel_hi:[0,1]
	s_delay_alu instid0(VALU_DEP_2) | instskip(NEXT) | instid1(VALU_DEP_2)
	v_pk_add_f32 v[102:103], v[102:103], v[118:119]
	v_pk_fma_f32 v[116:117], v[106:107], v[250:251], v[104:105] neg_lo:[0,0,1] neg_hi:[0,0,1]
	v_pk_fma_f32 v[104:105], v[106:107], v[250:251], v[104:105] op_sel_hi:[1,0,1]
	v_dual_mov_b32 v104, v109 :: v_dual_mov_b32 v106, v253
	s_delay_alu instid0(VALU_DEP_2) | instskip(NEXT) | instid1(VALU_DEP_1)
	v_dual_mov_b32 v117, v105 :: v_dual_mov_b32 v105, v108
	v_pk_add_f32 v[102:103], v[102:103], v[116:117]
	s_delay_alu instid0(VALU_DEP_2) | instskip(NEXT) | instid1(VALU_DEP_1)
	v_pk_mul_f32 v[104:105], v[104:105], v[106:107] op_sel_hi:[1,0]
	v_pk_fma_f32 v[106:107], v[108:109], v[252:253], v[104:105] neg_lo:[0,0,1] neg_hi:[0,0,1]
	v_pk_fma_f32 v[104:105], v[108:109], v[252:253], v[104:105] op_sel_hi:[1,0,1]
	s_delay_alu instid0(VALU_DEP_1) | instskip(SKIP_2) | instid1(VALU_DEP_2)
	v_mov_b32_e32 v107, v105
	s_wait_loadcnt_dscnt 0x101
	v_pk_mul_f32 v[104:105], v[110:111], v[254:255] op_sel:[1,1] op_sel_hi:[0,1]
	v_pk_add_f32 v[102:103], v[102:103], v[106:107]
	s_delay_alu instid0(VALU_DEP_2) | instskip(SKIP_1) | instid1(VALU_DEP_1)
	v_pk_fma_f32 v[106:107], v[110:111], v[254:255], v[104:105] neg_lo:[0,0,1] neg_hi:[0,0,1]
	v_pk_fma_f32 v[104:105], v[110:111], v[254:255], v[104:105] op_sel_hi:[1,0,1]
	v_dual_mov_b32 v104, v113 :: v_dual_mov_b32 v107, v105
	v_mov_b32_e32 v105, v112
	s_delay_alu instid0(VALU_DEP_2) | instskip(SKIP_3) | instid1(VALU_DEP_1)
	v_pk_add_f32 v[102:103], v[102:103], v[106:107]
	s_set_vgpr_msb 1                        ;  msbs: dst=0 src0=1 src1=0 src2=0
	v_mov_b32_e32 v106, v1 /*v257*/
	s_set_vgpr_msb 0                        ;  msbs: dst=0 src0=0 src1=0 src2=0
	v_pk_mul_f32 v[104:105], v[104:105], v[106:107] op_sel_hi:[1,0]
	s_set_vgpr_msb 4                        ;  msbs: dst=0 src0=0 src1=1 src2=0
	s_delay_alu instid0(VALU_DEP_1) | instskip(SKIP_1) | instid1(VALU_DEP_1)
	v_pk_fma_f32 v[106:107], v[112:113], v[0:1] /*v[256:257]*/, v[104:105] neg_lo:[0,0,1] neg_hi:[0,0,1]
	v_pk_fma_f32 v[104:105], v[112:113], v[0:1] /*v[256:257]*/, v[104:105] op_sel_hi:[1,0,1]
	v_mov_b32_e32 v107, v105
	s_wait_loadcnt_dscnt 0x0
	v_pk_mul_f32 v[104:105], v[114:115], v[8:9] /*v[264:265]*/ op_sel:[1,1] op_sel_hi:[0,1]
	s_set_vgpr_msb 0                        ;  msbs: dst=0 src0=0 src1=0 src2=0
	s_delay_alu instid0(VALU_DEP_2) | instskip(SKIP_1) | instid1(VALU_DEP_2)
	v_pk_add_f32 v[102:103], v[102:103], v[106:107]
	s_set_vgpr_msb 4                        ;  msbs: dst=0 src0=0 src1=1 src2=0
	v_pk_fma_f32 v[106:107], v[114:115], v[8:9] /*v[264:265]*/, v[104:105] neg_lo:[0,0,1] neg_hi:[0,0,1]
	v_pk_fma_f32 v[104:105], v[114:115], v[8:9] /*v[264:265]*/, v[104:105] op_sel_hi:[1,0,1]
	s_delay_alu instid0(VALU_DEP_1) | instskip(SKIP_4) | instid1(VALU_DEP_1)
	v_mov_b32_e32 v107, v105
	scratch_load_b64 v[104:105], off, off offset:48
	s_set_vgpr_msb 0                        ;  msbs: dst=0 src0=0 src1=0 src2=0
	v_pk_add_f32 v[102:103], v[102:103], v[106:107]
	s_wait_loadcnt 0x0
	v_pk_add_f32 v[102:103], v[104:105], v[102:103] neg_lo:[0,1] neg_hi:[0,1]
	scratch_store_b64 off, v[102:103], off offset:48
	s_wait_xcnt 0x0
	v_cmpx_lt_u32_e32 5, v0
	s_cbranch_execz .LBB113_303
; %bb.302:
	scratch_load_b64 v[102:103], off, off offset:40
	v_mov_b64_e32 v[104:105], 0
	scratch_store_b64 off, v[104:105], off offset:40
	s_wait_loadcnt 0x0
	ds_store_b64 v1, v[102:103]
.LBB113_303:
	s_wait_xcnt 0x0
	s_or_b32 exec_lo, exec_lo, s0
	s_wait_storecnt_dscnt 0x0
	s_barrier_signal -1
	s_barrier_wait -1
	ds_load_b128 v[102:105], v7 offset:448
	ds_load_b128 v[106:109], v7 offset:464
	ds_load_b128 v[110:113], v7 offset:480
	ds_load_b128 v[114:117], v7 offset:496
	s_clause 0x11
	scratch_load_b128 v[118:121], off, off offset:48
	scratch_load_b128 v[122:125], off, off offset:64
	;; [unrolled: 1-line block ×18, first 2 shown]
	ds_load_b128 v[134:137], v7 offset:512
	ds_load_b128 v[142:145], v7 offset:528
	;; [unrolled: 1-line block ×14, first 2 shown]
	s_clause 0x4
	scratch_load_b128 v[246:249], off, off offset:336
	scratch_load_b128 v[250:253], off, off offset:352
	;; [unrolled: 1-line block ×3, first 2 shown]
	s_set_vgpr_msb 64                       ;  msbs: dst=1 src0=0 src1=0 src2=0
	scratch_load_b128 v[2:5] /*v[258:261]*/, off, off offset:384
	s_mov_b32 s0, exec_lo
	s_wait_loadcnt_dscnt 0x1511
	s_set_vgpr_msb 0                        ;  msbs: dst=0 src0=0 src1=0 src2=0
	v_dual_mul_f32 v9, v102, v119 :: v_dual_mul_f32 v11, v104, v121
	s_delay_alu instid0(VALU_DEP_1) | instskip(NEXT) | instid1(VALU_DEP_1)
	v_dual_fmac_f32 v9, v103, v118 :: v_dual_fmac_f32 v11, v105, v120
	v_add_f32_e32 v9, 0, v9
	s_delay_alu instid0(VALU_DEP_1)
	v_add_f32_e32 v9, v9, v11
	s_wait_loadcnt_dscnt 0x1410
	v_mul_f32_e32 v11, v106, v123
	s_wait_loadcnt_dscnt 0x40a
	s_set_vgpr_msb 64                       ;  msbs: dst=1 src0=0 src1=0 src2=0
	v_dual_mul_f32 v9 /*v265*/, v238, v243 :: v_dual_mul_f32 v11 /*v267*/, v240, v245
	s_set_vgpr_msb 0                        ;  msbs: dst=0 src0=0 src1=0 src2=0
	v_fmac_f32_e32 v11, v107, v122
	s_set_vgpr_msb 64                       ;  msbs: dst=1 src0=0 src1=0 src2=0
	s_delay_alu instid0(VALU_DEP_2) | instskip(SKIP_1) | instid1(VALU_DEP_2)
	v_dual_fmac_f32 v9 /*v265*/, v239, v242 :: v_dual_fmac_f32 v11 /*v267*/, v241, v244
	s_set_vgpr_msb 0                        ;  msbs: dst=0 src0=0 src1=0 src2=0
	v_dual_add_f32 v9, v9, v11 :: v_dual_mul_f32 v11, v108, v125
	s_delay_alu instid0(VALU_DEP_1) | instskip(NEXT) | instid1(VALU_DEP_1)
	v_fmac_f32_e32 v11, v109, v124
	v_add_f32_e32 v9, v9, v11
	v_mul_f32_e32 v11, v110, v127
	s_delay_alu instid0(VALU_DEP_1) | instskip(NEXT) | instid1(VALU_DEP_1)
	v_fmac_f32_e32 v11, v111, v126
	v_dual_add_f32 v9, v9, v11 :: v_dual_mul_f32 v11, v112, v129
	s_delay_alu instid0(VALU_DEP_1) | instskip(NEXT) | instid1(VALU_DEP_1)
	v_fmac_f32_e32 v11, v113, v128
	v_add_f32_e32 v9, v9, v11
	v_mul_f32_e32 v11, v114, v131
	s_delay_alu instid0(VALU_DEP_1) | instskip(NEXT) | instid1(VALU_DEP_1)
	v_fmac_f32_e32 v11, v115, v130
	;; [unrolled: 7-line block ×4, first 2 shown]
	v_dual_add_f32 v9, v9, v11 :: v_dual_mul_f32 v11, v144, v149
	s_delay_alu instid0(VALU_DEP_1) | instskip(NEXT) | instid1(VALU_DEP_1)
	v_fmac_f32_e32 v11, v145, v148
	v_add_f32_e32 v9, v9, v11
	s_wait_dscnt 0x9
	v_mul_f32_e32 v11, v150, v155
	s_delay_alu instid0(VALU_DEP_1) | instskip(NEXT) | instid1(VALU_DEP_1)
	v_fmac_f32_e32 v11, v151, v154
	v_dual_add_f32 v9, v9, v11 :: v_dual_mul_f32 v11, v152, v157
	s_delay_alu instid0(VALU_DEP_1) | instskip(NEXT) | instid1(VALU_DEP_1)
	v_fmac_f32_e32 v11, v153, v156
	v_add_f32_e32 v9, v9, v11
	s_wait_dscnt 0x8
	v_mul_f32_e32 v11, v158, v163
	s_delay_alu instid0(VALU_DEP_1) | instskip(NEXT) | instid1(VALU_DEP_1)
	v_fmac_f32_e32 v11, v159, v162
	v_dual_add_f32 v9, v9, v11 :: v_dual_mul_f32 v11, v160, v165
	s_delay_alu instid0(VALU_DEP_1) | instskip(NEXT) | instid1(VALU_DEP_1)
	v_fmac_f32_e32 v11, v161, v164
	v_add_f32_e32 v9, v9, v11
	s_wait_dscnt 0x7
	v_mul_f32_e32 v11, v166, v171
	s_delay_alu instid0(VALU_DEP_1) | instskip(NEXT) | instid1(VALU_DEP_1)
	v_fmac_f32_e32 v11, v167, v170
	v_dual_add_f32 v9, v9, v11 :: v_dual_mul_f32 v11, v168, v173
	s_delay_alu instid0(VALU_DEP_1) | instskip(NEXT) | instid1(VALU_DEP_1)
	v_fmac_f32_e32 v11, v169, v172
	v_add_f32_e32 v9, v9, v11
	s_wait_dscnt 0x6
	v_mul_f32_e32 v11, v174, v179
	s_delay_alu instid0(VALU_DEP_1) | instskip(NEXT) | instid1(VALU_DEP_1)
	v_fmac_f32_e32 v11, v175, v178
	v_dual_add_f32 v9, v9, v11 :: v_dual_mul_f32 v11, v176, v181
	s_delay_alu instid0(VALU_DEP_1) | instskip(NEXT) | instid1(VALU_DEP_1)
	v_fmac_f32_e32 v11, v177, v180
	v_add_f32_e32 v9, v9, v11
	s_wait_dscnt 0x5
	v_mul_f32_e32 v11, v182, v187
	s_delay_alu instid0(VALU_DEP_1) | instskip(NEXT) | instid1(VALU_DEP_1)
	v_fmac_f32_e32 v11, v183, v186
	v_dual_add_f32 v9, v9, v11 :: v_dual_mul_f32 v11, v184, v189
	s_delay_alu instid0(VALU_DEP_1) | instskip(NEXT) | instid1(VALU_DEP_1)
	v_fmac_f32_e32 v11, v185, v188
	v_add_f32_e32 v9, v9, v11
	s_wait_dscnt 0x4
	v_mul_f32_e32 v11, v190, v195
	s_delay_alu instid0(VALU_DEP_1) | instskip(NEXT) | instid1(VALU_DEP_1)
	v_fmac_f32_e32 v11, v191, v194
	v_dual_add_f32 v9, v9, v11 :: v_dual_mul_f32 v11, v192, v197
	s_delay_alu instid0(VALU_DEP_1) | instskip(NEXT) | instid1(VALU_DEP_1)
	v_fmac_f32_e32 v11, v193, v196
	v_add_f32_e32 v9, v9, v11
	s_wait_dscnt 0x3
	v_mul_f32_e32 v11, v198, v203
	s_delay_alu instid0(VALU_DEP_1) | instskip(NEXT) | instid1(VALU_DEP_1)
	v_fmac_f32_e32 v11, v199, v202
	v_dual_add_f32 v9, v9, v11 :: v_dual_mul_f32 v11, v200, v205
	s_delay_alu instid0(VALU_DEP_1) | instskip(NEXT) | instid1(VALU_DEP_1)
	v_fmac_f32_e32 v11, v201, v204
	v_add_f32_e32 v9, v9, v11
	s_wait_dscnt 0x2
	v_mul_f32_e32 v11, v206, v211
	s_delay_alu instid0(VALU_DEP_1) | instskip(NEXT) | instid1(VALU_DEP_1)
	v_fmac_f32_e32 v11, v207, v210
	v_dual_add_f32 v9, v9, v11 :: v_dual_mul_f32 v11, v208, v213
	s_delay_alu instid0(VALU_DEP_1) | instskip(NEXT) | instid1(VALU_DEP_1)
	v_fmac_f32_e32 v11, v209, v212
	v_add_f32_e32 v9, v9, v11
	s_wait_dscnt 0x1
	v_mul_f32_e32 v11, v214, v219
	s_delay_alu instid0(VALU_DEP_1) | instskip(NEXT) | instid1(VALU_DEP_1)
	v_fmac_f32_e32 v11, v215, v218
	v_dual_add_f32 v9, v9, v11 :: v_dual_mul_f32 v11, v216, v221
	s_delay_alu instid0(VALU_DEP_1) | instskip(NEXT) | instid1(VALU_DEP_1)
	v_fmac_f32_e32 v11, v217, v220
	v_add_f32_e32 v9, v9, v11
	s_wait_dscnt 0x0
	v_mul_f32_e32 v11, v222, v227
	s_delay_alu instid0(VALU_DEP_1) | instskip(NEXT) | instid1(VALU_DEP_1)
	v_fmac_f32_e32 v11, v223, v226
	v_dual_add_f32 v9, v9, v11 :: v_dual_mul_f32 v11, v224, v229
	s_delay_alu instid0(VALU_DEP_1) | instskip(NEXT) | instid1(VALU_DEP_1)
	v_fmac_f32_e32 v11, v225, v228
	v_add_f32_e32 v9, v9, v11
	v_mul_f32_e32 v11, v230, v235
	s_delay_alu instid0(VALU_DEP_1) | instskip(NEXT) | instid1(VALU_DEP_1)
	v_fmac_f32_e32 v11, v231, v234
	v_dual_add_f32 v9, v9, v11 :: v_dual_mul_f32 v11, v232, v237
	s_delay_alu instid0(VALU_DEP_1) | instskip(SKIP_1) | instid1(VALU_DEP_1)
	v_fmac_f32_e32 v11, v233, v236
	s_set_vgpr_msb 64                       ;  msbs: dst=1 src0=0 src1=0 src2=0
	v_add_f32_e32 v7 /*v263*/, v9, v11
	s_set_vgpr_msb 0                        ;  msbs: dst=0 src0=0 src1=0 src2=0
	v_dual_mul_f32 v9, v103, v119 :: v_dual_mul_f32 v11, v105, v121
	s_delay_alu instid0(VALU_DEP_1) | instskip(NEXT) | instid1(VALU_DEP_1)
	v_dual_fma_f32 v9, v102, v118, -v9 :: v_dual_fma_f32 v11, v104, v120, -v11
	v_add_f32_e32 v9, 0, v9
	s_delay_alu instid0(VALU_DEP_1) | instskip(SKIP_1) | instid1(VALU_DEP_1)
	v_add_f32_e32 v9, v9, v11
	v_mul_f32_e32 v11, v107, v123
	v_fma_f32 v11, v106, v122, -v11
	s_delay_alu instid0(VALU_DEP_1) | instskip(SKIP_1) | instid1(VALU_DEP_1)
	v_add_f32_e32 v9, v9, v11
	v_mul_f32_e32 v11, v109, v125
	v_fma_f32 v11, v108, v124, -v11
	;; [unrolled: 4-line block ×6, first 2 shown]
	ds_load_b128 v[102:105], v7 offset:736
	ds_load_b128 v[106:109], v7 offset:752
	;; [unrolled: 1-line block ×4, first 2 shown]
	v_add_f32_e32 v9, v9, v11
	v_mul_f32_e32 v11, v135, v139
	s_delay_alu instid0(VALU_DEP_1) | instskip(NEXT) | instid1(VALU_DEP_1)
	v_fma_f32 v11, v134, v138, -v11
	v_add_f32_e32 v9, v9, v11
	v_mul_f32_e32 v11, v137, v141
	s_wait_loadcnt_dscnt 0x303
	v_pk_mul_f32 v[120:121], v[102:103], v[246:247] op_sel:[1,1] op_sel_hi:[0,1]
	s_delay_alu instid0(VALU_DEP_2) | instskip(NEXT) | instid1(VALU_DEP_2)
	v_fma_f32 v11, v136, v140, -v11
	v_pk_fma_f32 v[122:123], v[102:103], v[246:247], v[120:121] neg_lo:[0,0,1] neg_hi:[0,0,1]
	v_pk_fma_f32 v[102:103], v[102:103], v[246:247], v[120:121] op_sel_hi:[1,0,1]
	v_mov_b32_e32 v120, v249
	s_delay_alu instid0(VALU_DEP_4) | instskip(SKIP_1) | instid1(VALU_DEP_1)
	v_add_f32_e32 v9, v9, v11
	v_mul_f32_e32 v11, v143, v147
	v_dual_mov_b32 v123, v103 :: v_dual_fma_f32 v11, v142, v146, -v11
	s_delay_alu instid0(VALU_DEP_1) | instskip(SKIP_1) | instid1(VALU_DEP_1)
	v_add_f32_e32 v9, v9, v11
	v_mul_f32_e32 v11, v145, v149
	v_fma_f32 v11, v144, v148, -v11
	s_delay_alu instid0(VALU_DEP_1) | instskip(SKIP_1) | instid1(VALU_DEP_1)
	v_add_f32_e32 v9, v9, v11
	v_mul_f32_e32 v11, v151, v155
	v_fma_f32 v11, v150, v154, -v11
	;; [unrolled: 4-line block ×23, first 2 shown]
	s_set_vgpr_msb 64                       ;  msbs: dst=1 src0=0 src1=0 src2=0
	s_delay_alu instid0(VALU_DEP_1) | instskip(SKIP_3) | instid1(VALU_DEP_1)
	v_add_f32_e32 v6 /*v262*/, v9, v11
	s_set_vgpr_msb 0                        ;  msbs: dst=0 src0=0 src1=0 src2=0
	v_mul_f32_e32 v9, v239, v243
	s_set_vgpr_msb 64                       ;  msbs: dst=1 src0=0 src1=0 src2=0
	v_fma_f32 v8 /*v264*/, v238, v242, -v9
	s_set_vgpr_msb 0                        ;  msbs: dst=0 src0=0 src1=0 src2=0
	v_mul_f32_e32 v9, v241, v245
	s_set_vgpr_msb 5                        ;  msbs: dst=0 src0=1 src1=1 src2=0
	s_delay_alu instid0(VALU_DEP_2) | instskip(SKIP_1) | instid1(VALU_DEP_2)
	v_pk_add_f32 v[118:119], v[6:7] /*v[262:263]*/, v[8:9] /*v[264:265]*/
	s_set_vgpr_msb 64                       ;  msbs: dst=1 src0=0 src1=0 src2=0
	v_fma_f32 v10 /*v266*/, v240, v244, -v9
	s_set_vgpr_msb 4                        ;  msbs: dst=0 src0=0 src1=1 src2=0
	s_delay_alu instid0(VALU_DEP_1) | instskip(SKIP_1) | instid1(VALU_DEP_1)
	v_pk_add_f32 v[118:119], v[118:119], v[10:11] /*v[266:267]*/
	s_set_vgpr_msb 0                        ;  msbs: dst=0 src0=0 src1=0 src2=0
	v_pk_add_f32 v[102:103], v[118:119], v[122:123]
	v_dual_mov_b32 v118, v105 :: v_dual_mov_b32 v119, v104
	s_delay_alu instid0(VALU_DEP_1) | instskip(NEXT) | instid1(VALU_DEP_1)
	v_pk_mul_f32 v[118:119], v[118:119], v[120:121] op_sel_hi:[1,0]
	v_pk_fma_f32 v[120:121], v[104:105], v[248:249], v[118:119] neg_lo:[0,0,1] neg_hi:[0,0,1]
	v_pk_fma_f32 v[104:105], v[104:105], v[248:249], v[118:119] op_sel_hi:[1,0,1]
	s_delay_alu instid0(VALU_DEP_1) | instskip(SKIP_2) | instid1(VALU_DEP_2)
	v_mov_b32_e32 v121, v105
	s_wait_loadcnt_dscnt 0x202
	v_pk_mul_f32 v[104:105], v[106:107], v[250:251] op_sel:[1,1] op_sel_hi:[0,1]
	v_pk_add_f32 v[102:103], v[102:103], v[120:121]
	s_delay_alu instid0(VALU_DEP_2) | instskip(SKIP_2) | instid1(VALU_DEP_2)
	v_pk_fma_f32 v[118:119], v[106:107], v[250:251], v[104:105] neg_lo:[0,0,1] neg_hi:[0,0,1]
	v_pk_fma_f32 v[104:105], v[106:107], v[250:251], v[104:105] op_sel_hi:[1,0,1]
	v_dual_mov_b32 v104, v109 :: v_dual_mov_b32 v106, v253
	v_dual_mov_b32 v119, v105 :: v_dual_mov_b32 v105, v108
	s_delay_alu instid0(VALU_DEP_1) | instskip(NEXT) | instid1(VALU_DEP_2)
	v_pk_add_f32 v[102:103], v[102:103], v[118:119]
	v_pk_mul_f32 v[104:105], v[104:105], v[106:107] op_sel_hi:[1,0]
	s_delay_alu instid0(VALU_DEP_1) | instskip(SKIP_1) | instid1(VALU_DEP_1)
	v_pk_fma_f32 v[106:107], v[108:109], v[252:253], v[104:105] neg_lo:[0,0,1] neg_hi:[0,0,1]
	v_pk_fma_f32 v[104:105], v[108:109], v[252:253], v[104:105] op_sel_hi:[1,0,1]
	v_mov_b32_e32 v107, v105
	s_wait_loadcnt_dscnt 0x101
	v_pk_mul_f32 v[104:105], v[110:111], v[254:255] op_sel:[1,1] op_sel_hi:[0,1]
	s_delay_alu instid0(VALU_DEP_2) | instskip(NEXT) | instid1(VALU_DEP_2)
	v_pk_add_f32 v[102:103], v[102:103], v[106:107]
	v_pk_fma_f32 v[106:107], v[110:111], v[254:255], v[104:105] neg_lo:[0,0,1] neg_hi:[0,0,1]
	v_pk_fma_f32 v[104:105], v[110:111], v[254:255], v[104:105] op_sel_hi:[1,0,1]
	s_delay_alu instid0(VALU_DEP_1) | instskip(SKIP_1) | instid1(VALU_DEP_2)
	v_dual_mov_b32 v104, v113 :: v_dual_mov_b32 v107, v105
	v_mov_b32_e32 v105, v112
	v_pk_add_f32 v[102:103], v[102:103], v[106:107]
	s_set_vgpr_msb 1                        ;  msbs: dst=0 src0=1 src1=0 src2=0
	v_mov_b32_e32 v106, v1 /*v257*/
	s_set_vgpr_msb 0                        ;  msbs: dst=0 src0=0 src1=0 src2=0
	s_delay_alu instid0(VALU_DEP_1) | instskip(SKIP_1) | instid1(VALU_DEP_1)
	v_pk_mul_f32 v[104:105], v[104:105], v[106:107] op_sel_hi:[1,0]
	s_set_vgpr_msb 4                        ;  msbs: dst=0 src0=0 src1=1 src2=0
	v_pk_fma_f32 v[106:107], v[112:113], v[0:1] /*v[256:257]*/, v[104:105] neg_lo:[0,0,1] neg_hi:[0,0,1]
	v_pk_fma_f32 v[104:105], v[112:113], v[0:1] /*v[256:257]*/, v[104:105] op_sel_hi:[1,0,1]
	s_delay_alu instid0(VALU_DEP_1) | instskip(SKIP_3) | instid1(VALU_DEP_2)
	v_mov_b32_e32 v107, v105
	s_wait_loadcnt_dscnt 0x0
	v_pk_mul_f32 v[104:105], v[114:115], v[2:3] /*v[258:259]*/ op_sel:[1,1] op_sel_hi:[0,1]
	s_set_vgpr_msb 0                        ;  msbs: dst=0 src0=0 src1=0 src2=0
	v_pk_add_f32 v[102:103], v[102:103], v[106:107]
	s_set_vgpr_msb 4                        ;  msbs: dst=0 src0=0 src1=1 src2=0
	s_delay_alu instid0(VALU_DEP_2) | instskip(SKIP_1) | instid1(VALU_DEP_1)
	v_pk_fma_f32 v[106:107], v[114:115], v[2:3] /*v[258:259]*/, v[104:105] neg_lo:[0,0,1] neg_hi:[0,0,1]
	v_pk_fma_f32 v[104:105], v[114:115], v[2:3] /*v[258:259]*/, v[104:105] op_sel_hi:[1,0,1]
	v_dual_mov_b32 v104, v117 :: v_dual_mov_b32 v107, v105
	v_mov_b32_e32 v105, v116
	s_set_vgpr_msb 0                        ;  msbs: dst=0 src0=0 src1=0 src2=0
	s_delay_alu instid0(VALU_DEP_2) | instskip(SKIP_3) | instid1(VALU_DEP_1)
	v_pk_add_f32 v[102:103], v[102:103], v[106:107]
	s_set_vgpr_msb 1                        ;  msbs: dst=0 src0=1 src1=0 src2=0
	v_mov_b32_e32 v106, v5 /*v261*/
	s_set_vgpr_msb 0                        ;  msbs: dst=0 src0=0 src1=0 src2=0
	v_pk_mul_f32 v[104:105], v[104:105], v[106:107] op_sel_hi:[1,0]
	s_set_vgpr_msb 4                        ;  msbs: dst=0 src0=0 src1=1 src2=0
	s_delay_alu instid0(VALU_DEP_1) | instskip(SKIP_1) | instid1(VALU_DEP_1)
	v_pk_fma_f32 v[106:107], v[116:117], v[4:5] /*v[260:261]*/, v[104:105] neg_lo:[0,0,1] neg_hi:[0,0,1]
	v_pk_fma_f32 v[104:105], v[116:117], v[4:5] /*v[260:261]*/, v[104:105] op_sel_hi:[1,0,1]
	v_mov_b32_e32 v107, v105
	scratch_load_b64 v[104:105], off, off offset:40
	s_set_vgpr_msb 0                        ;  msbs: dst=0 src0=0 src1=0 src2=0
	v_pk_add_f32 v[102:103], v[102:103], v[106:107]
	s_wait_loadcnt 0x0
	s_delay_alu instid0(VALU_DEP_1)
	v_pk_add_f32 v[102:103], v[104:105], v[102:103] neg_lo:[0,1] neg_hi:[0,1]
	scratch_store_b64 off, v[102:103], off offset:40
	s_wait_xcnt 0x0
	v_cmpx_lt_u32_e32 4, v0
	s_cbranch_execz .LBB113_305
; %bb.304:
	scratch_load_b64 v[102:103], off, off offset:32
	v_mov_b64_e32 v[104:105], 0
	scratch_store_b64 off, v[104:105], off offset:32
	s_wait_loadcnt 0x0
	ds_store_b64 v1, v[102:103]
.LBB113_305:
	s_wait_xcnt 0x0
	s_or_b32 exec_lo, exec_lo, s0
	s_wait_storecnt_dscnt 0x0
	s_barrier_signal -1
	s_barrier_wait -1
	s_clause 0xf
	scratch_load_b128 v[106:109], off, off offset:40
	scratch_load_b128 v[114:117], off, off offset:56
	;; [unrolled: 1-line block ×16, first 2 shown]
	v_mov_b32_e32 v7, 0
	s_clause 0x2
	scratch_load_b128 v[234:237], off, off offset:296
	scratch_load_b128 v[242:245], off, off offset:312
	;; [unrolled: 1-line block ×3, first 2 shown]
	s_mov_b32 s0, exec_lo
	ds_load_2addr_b64 v[102:105], v7 offset0:55 offset1:56
	ds_load_2addr_b64 v[110:113], v7 offset0:57 offset1:58
	s_wait_loadcnt_dscnt 0x1201
	v_dual_mul_f32 v9, v102, v107 :: v_dual_mul_f32 v11, v104, v109
	ds_load_2addr_b64 v[118:121], v7 offset0:59 offset1:60
	ds_load_2addr_b64 v[126:129], v7 offset0:61 offset1:62
	;; [unrolled: 1-line block ×4, first 2 shown]
	v_dual_fmac_f32 v9, v103, v106 :: v_dual_fmac_f32 v11, v105, v108
	ds_load_2addr_b64 v[134:137], v7 offset0:63 offset1:64
	ds_load_2addr_b64 v[142:145], v7 offset0:65 offset1:66
	;; [unrolled: 1-line block ×3, first 2 shown]
	v_add_f32_e32 v9, 0, v9
	ds_load_2addr_b64 v[150:153], v7 offset0:67 offset1:68
	ds_load_2addr_b64 v[158:161], v7 offset0:69 offset1:70
	;; [unrolled: 1-line block ×4, first 2 shown]
	v_add_f32_e32 v9, v9, v11
	s_wait_loadcnt_dscnt 0x110b
	v_mul_f32_e32 v11, v110, v115
	ds_load_2addr_b64 v[182:185], v7 offset0:75 offset1:76
	ds_load_2addr_b64 v[190:193], v7 offset0:77 offset1:78
	;; [unrolled: 1-line block ×4, first 2 shown]
	v_fmac_f32_e32 v11, v111, v114
	ds_load_2addr_b64 v[214:217], v7 offset0:83 offset1:84
	ds_load_2addr_b64 v[222:225], v7 offset0:85 offset1:86
	s_clause 0x4
	scratch_load_b128 v[254:257], off, off offset:344
	s_set_vgpr_msb 64                       ;  msbs: dst=1 src0=0 src1=0 src2=0
	scratch_load_b128 v[2:5] /*v[258:261]*/, off, off offset:360
	scratch_load_b128 v[6:9] /*v[262:265]*/, off, off offset:376
	scratch_load_b64 v[16:17] /*v[272:273]*/, off, off offset:392
	s_wait_loadcnt_dscnt 0x50d
	v_mul_f32_e32 v13 /*v269*/, v240, v245
	s_set_vgpr_msb 0                        ;  msbs: dst=0 src0=0 src1=0 src2=0
	v_dual_add_f32 v9, v9, v11 :: v_dual_mul_f32 v11, v112, v117
	s_wait_loadcnt_dscnt 0x40a
	s_set_vgpr_msb 64                       ;  msbs: dst=1 src0=0 src1=0 src2=0
	v_dual_mul_f32 v15 /*v271*/, v246, v251 :: v_dual_fmac_f32 v13 /*v269*/, v241, v244
	s_set_vgpr_msb 0                        ;  msbs: dst=0 src0=0 src1=0 src2=0
	v_fmac_f32_e32 v11, v113, v116
	s_delay_alu instid0(VALU_DEP_1) | instskip(SKIP_1) | instid1(VALU_DEP_1)
	v_add_f32_e32 v9, v9, v11
	v_mul_f32_e32 v11, v118, v123
	v_fmac_f32_e32 v11, v119, v122
	s_delay_alu instid0(VALU_DEP_1) | instskip(NEXT) | instid1(VALU_DEP_1)
	v_dual_add_f32 v9, v9, v11 :: v_dual_mul_f32 v11, v120, v125
	v_fmac_f32_e32 v11, v121, v124
	s_delay_alu instid0(VALU_DEP_1) | instskip(SKIP_1) | instid1(VALU_DEP_1)
	v_add_f32_e32 v9, v9, v11
	v_mul_f32_e32 v11, v126, v131
	v_fmac_f32_e32 v11, v127, v130
	s_delay_alu instid0(VALU_DEP_1) | instskip(NEXT) | instid1(VALU_DEP_1)
	v_dual_add_f32 v9, v9, v11 :: v_dual_mul_f32 v11, v128, v133
	;; [unrolled: 7-line block ×4, first 2 shown]
	v_fmac_f32_e32 v11, v145, v148
	s_delay_alu instid0(VALU_DEP_1) | instskip(SKIP_2) | instid1(VALU_DEP_1)
	v_add_f32_e32 v9, v9, v11
	s_wait_dscnt 0x9
	v_mul_f32_e32 v11, v150, v155
	v_fmac_f32_e32 v11, v151, v154
	s_delay_alu instid0(VALU_DEP_1) | instskip(NEXT) | instid1(VALU_DEP_1)
	v_dual_add_f32 v9, v9, v11 :: v_dual_mul_f32 v11, v152, v157
	v_fmac_f32_e32 v11, v153, v156
	s_delay_alu instid0(VALU_DEP_1) | instskip(SKIP_2) | instid1(VALU_DEP_1)
	v_add_f32_e32 v9, v9, v11
	s_wait_dscnt 0x8
	v_mul_f32_e32 v11, v158, v163
	v_fmac_f32_e32 v11, v159, v162
	s_delay_alu instid0(VALU_DEP_1) | instskip(NEXT) | instid1(VALU_DEP_1)
	v_dual_add_f32 v9, v9, v11 :: v_dual_mul_f32 v11, v160, v165
	;; [unrolled: 8-line block ×10, first 2 shown]
	v_fmac_f32_e32 v11, v225, v228
	s_delay_alu instid0(VALU_DEP_1) | instskip(SKIP_1) | instid1(VALU_DEP_1)
	v_add_f32_e32 v9, v9, v11
	v_mul_f32_e32 v11, v230, v235
	v_fmac_f32_e32 v11, v231, v234
	s_delay_alu instid0(VALU_DEP_1) | instskip(NEXT) | instid1(VALU_DEP_1)
	v_dual_add_f32 v9, v9, v11 :: v_dual_mul_f32 v11, v232, v237
	v_fmac_f32_e32 v11, v233, v236
	s_delay_alu instid0(VALU_DEP_1) | instskip(SKIP_1) | instid1(VALU_DEP_1)
	v_add_f32_e32 v9, v9, v11
	v_mul_f32_e32 v11, v238, v243
	v_fmac_f32_e32 v11, v239, v242
	s_set_vgpr_msb 64                       ;  msbs: dst=1 src0=0 src1=0 src2=0
	s_delay_alu instid0(VALU_DEP_1) | instskip(SKIP_2) | instid1(VALU_DEP_1)
	v_add_f32_e32 v11 /*v267*/, v9, v11
	s_set_vgpr_msb 0                        ;  msbs: dst=0 src0=0 src1=0 src2=0
	v_dual_mul_f32 v9, v103, v107 :: v_dual_mul_f32 v11, v105, v109
	v_dual_fma_f32 v9, v102, v106, -v9 :: v_dual_fma_f32 v11, v104, v108, -v11
	s_delay_alu instid0(VALU_DEP_1) | instskip(NEXT) | instid1(VALU_DEP_1)
	v_add_f32_e32 v9, 0, v9
	v_add_f32_e32 v9, v9, v11
	v_mul_f32_e32 v11, v111, v115
	s_delay_alu instid0(VALU_DEP_1) | instskip(NEXT) | instid1(VALU_DEP_1)
	v_fma_f32 v11, v110, v114, -v11
	v_add_f32_e32 v9, v9, v11
	v_mul_f32_e32 v11, v113, v117
	s_delay_alu instid0(VALU_DEP_1)
	v_fma_f32 v11, v112, v116, -v11
	ds_load_2addr_b64 v[102:105], v7 offset0:93 offset1:94
	ds_load_2addr_b64 v[106:109], v7 offset0:95 offset1:96
	;; [unrolled: 1-line block ×3, first 2 shown]
	ds_load_b64 v[114:115], v7 offset:792
	v_add_f32_e32 v9, v9, v11
	v_dual_mul_f32 v11, v119, v123 :: v_dual_mov_b32 v119, v248
	s_delay_alu instid0(VALU_DEP_1) | instskip(NEXT) | instid1(VALU_DEP_1)
	v_dual_fma_f32 v11, v118, v122, -v11 :: v_dual_mov_b32 v118, v249
	v_add_f32_e32 v9, v9, v11
	v_mul_f32_e32 v11, v121, v125
	s_delay_alu instid0(VALU_DEP_1) | instskip(NEXT) | instid1(VALU_DEP_1)
	v_dual_fma_f32 v11, v120, v124, -v11 :: v_dual_mov_b32 v120, v253
	v_add_f32_e32 v9, v9, v11
	v_mul_f32_e32 v11, v127, v131
	s_delay_alu instid0(VALU_DEP_3) | instskip(NEXT) | instid1(VALU_DEP_2)
	v_pk_mul_f32 v[118:119], v[118:119], v[120:121] op_sel_hi:[1,0]
	v_fma_f32 v11, v126, v130, -v11
	s_delay_alu instid0(VALU_DEP_2) | instskip(SKIP_1) | instid1(VALU_DEP_3)
	v_pk_fma_f32 v[120:121], v[248:249], v[252:253], v[118:119] neg_lo:[0,0,1] neg_hi:[0,0,1]
	v_pk_fma_f32 v[118:119], v[248:249], v[252:253], v[118:119] op_sel_hi:[1,0,1]
	v_add_f32_e32 v9, v9, v11
	s_delay_alu instid0(VALU_DEP_2) | instskip(SKIP_2) | instid1(VALU_DEP_2)
	v_dual_mul_f32 v11, v129, v133 :: v_dual_mov_b32 v121, v119
	s_wait_loadcnt_dscnt 0x303
	v_pk_mul_f32 v[118:119], v[102:103], v[254:255] op_sel:[1,1] op_sel_hi:[0,1]
	v_fma_f32 v11, v128, v132, -v11
	s_delay_alu instid0(VALU_DEP_1) | instskip(SKIP_1) | instid1(VALU_DEP_1)
	v_add_f32_e32 v9, v9, v11
	v_mul_f32_e32 v11, v135, v139
	v_fma_f32 v11, v134, v138, -v11
	s_delay_alu instid0(VALU_DEP_1) | instskip(SKIP_1) | instid1(VALU_DEP_1)
	v_add_f32_e32 v9, v9, v11
	v_mul_f32_e32 v11, v137, v141
	;; [unrolled: 4-line block ×27, first 2 shown]
	v_fma_f32 v11, v238, v242, -v11
	s_set_vgpr_msb 64                       ;  msbs: dst=1 src0=0 src1=0 src2=0
	s_delay_alu instid0(VALU_DEP_1) | instskip(SKIP_3) | instid1(VALU_DEP_1)
	v_dual_fmac_f32 v15 /*v271*/, v247, v250 :: v_dual_add_f32 v10 /*v266*/, v9, v11
	s_set_vgpr_msb 0                        ;  msbs: dst=0 src0=0 src1=0 src2=0
	v_mul_f32_e32 v9, v241, v245
	s_set_vgpr_msb 64                       ;  msbs: dst=1 src0=0 src1=0 src2=0
	v_fma_f32 v12 /*v268*/, v240, v244, -v9
	s_set_vgpr_msb 0                        ;  msbs: dst=0 src0=0 src1=0 src2=0
	v_mul_f32_e32 v9, v247, v251
	s_set_vgpr_msb 64                       ;  msbs: dst=1 src0=0 src1=0 src2=0
	s_delay_alu instid0(VALU_DEP_1) | instskip(SKIP_3) | instid1(VALU_DEP_1)
	v_fma_f32 v14 /*v270*/, v246, v250, -v9
	s_set_vgpr_msb 5                        ;  msbs: dst=0 src0=1 src1=1 src2=0
	v_pk_add_f32 v[116:117], v[10:11] /*v[266:267]*/, v[12:13] /*v[268:269]*/
	s_set_vgpr_msb 4                        ;  msbs: dst=0 src0=0 src1=1 src2=0
	v_pk_add_f32 v[116:117], v[116:117], v[14:15] /*v[270:271]*/
	s_set_vgpr_msb 0                        ;  msbs: dst=0 src0=0 src1=0 src2=0
	s_delay_alu instid0(VALU_DEP_1)
	v_pk_add_f32 v[116:117], v[116:117], v[120:121]
	v_pk_fma_f32 v[120:121], v[102:103], v[254:255], v[118:119] neg_lo:[0,0,1] neg_hi:[0,0,1]
	v_pk_fma_f32 v[102:103], v[102:103], v[254:255], v[118:119] op_sel_hi:[1,0,1]
	s_set_vgpr_msb 1                        ;  msbs: dst=0 src0=1 src1=0 src2=0
	v_mov_b32_e32 v118, v1 /*v257*/
	s_set_vgpr_msb 0                        ;  msbs: dst=0 src0=0 src1=0 src2=0
	s_delay_alu instid0(VALU_DEP_2) | instskip(NEXT) | instid1(VALU_DEP_1)
	v_mov_b32_e32 v121, v103
	v_pk_add_f32 v[102:103], v[116:117], v[120:121]
	v_dual_mov_b32 v116, v105 :: v_dual_mov_b32 v117, v104
	s_delay_alu instid0(VALU_DEP_1) | instskip(SKIP_1) | instid1(VALU_DEP_1)
	v_pk_mul_f32 v[116:117], v[116:117], v[118:119] op_sel_hi:[1,0]
	s_set_vgpr_msb 4                        ;  msbs: dst=0 src0=0 src1=1 src2=0
	v_pk_fma_f32 v[118:119], v[104:105], v[0:1] /*v[256:257]*/, v[116:117] neg_lo:[0,0,1] neg_hi:[0,0,1]
	v_pk_fma_f32 v[104:105], v[104:105], v[0:1] /*v[256:257]*/, v[116:117] op_sel_hi:[1,0,1]
	s_delay_alu instid0(VALU_DEP_1) | instskip(SKIP_3) | instid1(VALU_DEP_2)
	v_mov_b32_e32 v119, v105
	s_wait_loadcnt_dscnt 0x202
	v_pk_mul_f32 v[104:105], v[106:107], v[2:3] /*v[258:259]*/ op_sel:[1,1] op_sel_hi:[0,1]
	s_set_vgpr_msb 0                        ;  msbs: dst=0 src0=0 src1=0 src2=0
	v_pk_add_f32 v[102:103], v[102:103], v[118:119]
	s_set_vgpr_msb 4                        ;  msbs: dst=0 src0=0 src1=1 src2=0
	s_delay_alu instid0(VALU_DEP_2)
	v_pk_fma_f32 v[116:117], v[106:107], v[2:3] /*v[258:259]*/, v[104:105] neg_lo:[0,0,1] neg_hi:[0,0,1]
	v_pk_fma_f32 v[104:105], v[106:107], v[2:3] /*v[258:259]*/, v[104:105] op_sel_hi:[1,0,1]
	v_mov_b32_e32 v104, v109
	s_set_vgpr_msb 1                        ;  msbs: dst=0 src0=1 src1=0 src2=0
	v_mov_b32_e32 v106, v5 /*v261*/
	s_set_vgpr_msb 0                        ;  msbs: dst=0 src0=0 src1=0 src2=0
	v_dual_mov_b32 v117, v105 :: v_dual_mov_b32 v105, v108
	s_delay_alu instid0(VALU_DEP_1) | instskip(NEXT) | instid1(VALU_DEP_2)
	v_pk_add_f32 v[102:103], v[102:103], v[116:117]
	v_pk_mul_f32 v[104:105], v[104:105], v[106:107] op_sel_hi:[1,0]
	s_set_vgpr_msb 4                        ;  msbs: dst=0 src0=0 src1=1 src2=0
	s_delay_alu instid0(VALU_DEP_1) | instskip(SKIP_1) | instid1(VALU_DEP_1)
	v_pk_fma_f32 v[106:107], v[108:109], v[4:5] /*v[260:261]*/, v[104:105] neg_lo:[0,0,1] neg_hi:[0,0,1]
	v_pk_fma_f32 v[104:105], v[108:109], v[4:5] /*v[260:261]*/, v[104:105] op_sel_hi:[1,0,1]
	v_mov_b32_e32 v107, v105
	s_wait_loadcnt_dscnt 0x101
	v_pk_mul_f32 v[104:105], v[110:111], v[6:7] /*v[262:263]*/ op_sel:[1,1] op_sel_hi:[0,1]
	s_set_vgpr_msb 0                        ;  msbs: dst=0 src0=0 src1=0 src2=0
	s_delay_alu instid0(VALU_DEP_2) | instskip(SKIP_1) | instid1(VALU_DEP_2)
	v_pk_add_f32 v[102:103], v[102:103], v[106:107]
	s_set_vgpr_msb 4                        ;  msbs: dst=0 src0=0 src1=1 src2=0
	v_pk_fma_f32 v[106:107], v[110:111], v[6:7] /*v[262:263]*/, v[104:105] neg_lo:[0,0,1] neg_hi:[0,0,1]
	v_pk_fma_f32 v[104:105], v[110:111], v[6:7] /*v[262:263]*/, v[104:105] op_sel_hi:[1,0,1]
	s_delay_alu instid0(VALU_DEP_1) | instskip(SKIP_2) | instid1(VALU_DEP_2)
	v_dual_mov_b32 v104, v113 :: v_dual_mov_b32 v107, v105
	v_mov_b32_e32 v105, v112
	s_set_vgpr_msb 0                        ;  msbs: dst=0 src0=0 src1=0 src2=0
	v_pk_add_f32 v[102:103], v[102:103], v[106:107]
	s_set_vgpr_msb 1                        ;  msbs: dst=0 src0=1 src1=0 src2=0
	v_mov_b32_e32 v106, v9 /*v265*/
	s_set_vgpr_msb 0                        ;  msbs: dst=0 src0=0 src1=0 src2=0
	s_delay_alu instid0(VALU_DEP_1) | instskip(SKIP_1) | instid1(VALU_DEP_1)
	v_pk_mul_f32 v[104:105], v[104:105], v[106:107] op_sel_hi:[1,0]
	s_set_vgpr_msb 4                        ;  msbs: dst=0 src0=0 src1=1 src2=0
	v_pk_fma_f32 v[106:107], v[112:113], v[8:9] /*v[264:265]*/, v[104:105] neg_lo:[0,0,1] neg_hi:[0,0,1]
	v_pk_fma_f32 v[104:105], v[112:113], v[8:9] /*v[264:265]*/, v[104:105] op_sel_hi:[1,0,1]
	s_delay_alu instid0(VALU_DEP_1) | instskip(SKIP_3) | instid1(VALU_DEP_2)
	v_mov_b32_e32 v107, v105
	s_wait_loadcnt_dscnt 0x0
	v_pk_mul_f32 v[104:105], v[114:115], v[16:17] /*v[272:273]*/ op_sel:[1,1] op_sel_hi:[0,1]
	s_set_vgpr_msb 0                        ;  msbs: dst=0 src0=0 src1=0 src2=0
	v_pk_add_f32 v[102:103], v[102:103], v[106:107]
	s_set_vgpr_msb 4                        ;  msbs: dst=0 src0=0 src1=1 src2=0
	s_delay_alu instid0(VALU_DEP_2) | instskip(SKIP_1) | instid1(VALU_DEP_1)
	v_pk_fma_f32 v[106:107], v[114:115], v[16:17] /*v[272:273]*/, v[104:105] neg_lo:[0,0,1] neg_hi:[0,0,1]
	v_pk_fma_f32 v[104:105], v[114:115], v[16:17] /*v[272:273]*/, v[104:105] op_sel_hi:[1,0,1]
	v_mov_b32_e32 v107, v105
	scratch_load_b64 v[104:105], off, off offset:32
	s_set_vgpr_msb 0                        ;  msbs: dst=0 src0=0 src1=0 src2=0
	v_pk_add_f32 v[102:103], v[102:103], v[106:107]
	s_wait_loadcnt 0x0
	s_delay_alu instid0(VALU_DEP_1)
	v_pk_add_f32 v[102:103], v[104:105], v[102:103] neg_lo:[0,1] neg_hi:[0,1]
	scratch_store_b64 off, v[102:103], off offset:32
	s_wait_xcnt 0x0
	v_cmpx_lt_u32_e32 3, v0
	s_cbranch_execz .LBB113_307
; %bb.306:
	scratch_load_b64 v[102:103], off, off offset:24
	v_mov_b64_e32 v[104:105], 0
	scratch_store_b64 off, v[104:105], off offset:24
	s_wait_loadcnt 0x0
	ds_store_b64 v1, v[102:103]
.LBB113_307:
	s_wait_xcnt 0x0
	s_or_b32 exec_lo, exec_lo, s0
	s_wait_storecnt_dscnt 0x0
	s_barrier_signal -1
	s_barrier_wait -1
	ds_load_b128 v[102:105], v7 offset:432
	ds_load_b128 v[106:109], v7 offset:448
	;; [unrolled: 1-line block ×4, first 2 shown]
	s_clause 0x12
	scratch_load_b128 v[118:121], off, off offset:32
	scratch_load_b128 v[122:125], off, off offset:48
	;; [unrolled: 1-line block ×19, first 2 shown]
	ds_load_b128 v[134:137], v7 offset:496
	ds_load_b128 v[142:145], v7 offset:512
	;; [unrolled: 1-line block ×15, first 2 shown]
	s_clause 0x4
	scratch_load_b128 v[254:257], off, off offset:336
	s_set_vgpr_msb 64                       ;  msbs: dst=1 src0=0 src1=0 src2=0
	scratch_load_b128 v[2:5] /*v[258:261]*/, off, off offset:352
	scratch_load_b128 v[6:9] /*v[262:265]*/, off, off offset:368
	;; [unrolled: 1-line block ×3, first 2 shown]
	s_mov_b32 s0, exec_lo
	s_wait_loadcnt_dscnt 0x1612
	s_set_vgpr_msb 0                        ;  msbs: dst=0 src0=0 src1=0 src2=0
	v_dual_mul_f32 v9, v102, v119 :: v_dual_mul_f32 v11, v104, v121
	s_delay_alu instid0(VALU_DEP_1) | instskip(NEXT) | instid1(VALU_DEP_1)
	v_dual_fmac_f32 v9, v103, v118 :: v_dual_fmac_f32 v11, v105, v120
	v_add_f32_e32 v9, 0, v9
	s_delay_alu instid0(VALU_DEP_1)
	v_add_f32_e32 v9, v9, v11
	s_wait_loadcnt_dscnt 0x1511
	v_mul_f32_e32 v11, v106, v123
	s_wait_loadcnt_dscnt 0x40c
	s_set_vgpr_msb 64                       ;  msbs: dst=1 src0=0 src1=0 src2=0
	v_dual_mul_f32 v17 /*v273*/, v246, v251 :: v_dual_mul_f32 v19 /*v275*/, v248, v253
	s_set_vgpr_msb 0                        ;  msbs: dst=0 src0=0 src1=0 src2=0
	v_fmac_f32_e32 v11, v107, v122
	s_set_vgpr_msb 64                       ;  msbs: dst=1 src0=0 src1=0 src2=0
	s_delay_alu instid0(VALU_DEP_2) | instskip(SKIP_1) | instid1(VALU_DEP_2)
	v_dual_fmac_f32 v17 /*v273*/, v247, v250 :: v_dual_fmac_f32 v19 /*v275*/, v249, v252
	s_set_vgpr_msb 0                        ;  msbs: dst=0 src0=0 src1=0 src2=0
	v_dual_add_f32 v9, v9, v11 :: v_dual_mul_f32 v11, v108, v125
	s_delay_alu instid0(VALU_DEP_1) | instskip(NEXT) | instid1(VALU_DEP_1)
	v_fmac_f32_e32 v11, v109, v124
	v_add_f32_e32 v9, v9, v11
	v_mul_f32_e32 v11, v110, v127
	s_delay_alu instid0(VALU_DEP_1) | instskip(NEXT) | instid1(VALU_DEP_1)
	v_fmac_f32_e32 v11, v111, v126
	v_dual_add_f32 v9, v9, v11 :: v_dual_mul_f32 v11, v112, v129
	s_delay_alu instid0(VALU_DEP_1) | instskip(NEXT) | instid1(VALU_DEP_1)
	v_fmac_f32_e32 v11, v113, v128
	v_add_f32_e32 v9, v9, v11
	v_mul_f32_e32 v11, v114, v131
	s_delay_alu instid0(VALU_DEP_1) | instskip(NEXT) | instid1(VALU_DEP_1)
	v_fmac_f32_e32 v11, v115, v130
	;; [unrolled: 7-line block ×4, first 2 shown]
	v_dual_add_f32 v9, v9, v11 :: v_dual_mul_f32 v11, v144, v149
	s_delay_alu instid0(VALU_DEP_1) | instskip(NEXT) | instid1(VALU_DEP_1)
	v_fmac_f32_e32 v11, v145, v148
	v_add_f32_e32 v9, v9, v11
	s_wait_dscnt 0xb
	v_mul_f32_e32 v11, v150, v155
	s_delay_alu instid0(VALU_DEP_1) | instskip(NEXT) | instid1(VALU_DEP_1)
	v_fmac_f32_e32 v11, v151, v154
	v_dual_add_f32 v9, v9, v11 :: v_dual_mul_f32 v11, v152, v157
	s_delay_alu instid0(VALU_DEP_1) | instskip(NEXT) | instid1(VALU_DEP_1)
	v_fmac_f32_e32 v11, v153, v156
	v_add_f32_e32 v9, v9, v11
	s_wait_dscnt 0xa
	v_mul_f32_e32 v11, v158, v163
	s_delay_alu instid0(VALU_DEP_1) | instskip(NEXT) | instid1(VALU_DEP_1)
	v_fmac_f32_e32 v11, v159, v162
	;; [unrolled: 8-line block ×12, first 2 shown]
	v_dual_add_f32 v9, v9, v11 :: v_dual_mul_f32 v11, v240, v245
	s_delay_alu instid0(VALU_DEP_1) | instskip(SKIP_1) | instid1(VALU_DEP_1)
	v_fmac_f32_e32 v11, v241, v244
	s_set_vgpr_msb 64                       ;  msbs: dst=1 src0=0 src1=0 src2=0
	v_add_f32_e32 v15 /*v271*/, v9, v11
	s_set_vgpr_msb 0                        ;  msbs: dst=0 src0=0 src1=0 src2=0
	v_dual_mul_f32 v9, v103, v119 :: v_dual_mul_f32 v11, v105, v121
	s_delay_alu instid0(VALU_DEP_1) | instskip(NEXT) | instid1(VALU_DEP_1)
	v_dual_fma_f32 v9, v102, v118, -v9 :: v_dual_fma_f32 v11, v104, v120, -v11
	v_add_f32_e32 v9, 0, v9
	s_delay_alu instid0(VALU_DEP_1) | instskip(SKIP_1) | instid1(VALU_DEP_1)
	v_add_f32_e32 v9, v9, v11
	v_mul_f32_e32 v11, v107, v123
	v_fma_f32 v11, v106, v122, -v11
	s_delay_alu instid0(VALU_DEP_1) | instskip(SKIP_1) | instid1(VALU_DEP_1)
	v_add_f32_e32 v9, v9, v11
	v_mul_f32_e32 v11, v109, v125
	v_fma_f32 v11, v108, v124, -v11
	;; [unrolled: 4-line block ×6, first 2 shown]
	ds_load_b128 v[102:105], v7 offset:736
	ds_load_b128 v[106:109], v7 offset:752
	;; [unrolled: 1-line block ×4, first 2 shown]
	v_add_f32_e32 v9, v9, v11
	v_mul_f32_e32 v11, v135, v139
	s_delay_alu instid0(VALU_DEP_1) | instskip(NEXT) | instid1(VALU_DEP_1)
	v_fma_f32 v11, v134, v138, -v11
	v_add_f32_e32 v9, v9, v11
	v_mul_f32_e32 v11, v137, v141
	s_wait_loadcnt_dscnt 0x303
	v_pk_mul_f32 v[120:121], v[102:103], v[254:255] op_sel:[1,1] op_sel_hi:[0,1]
	s_delay_alu instid0(VALU_DEP_2) | instskip(NEXT) | instid1(VALU_DEP_2)
	v_fma_f32 v11, v136, v140, -v11
	v_pk_fma_f32 v[122:123], v[102:103], v[254:255], v[120:121] neg_lo:[0,0,1] neg_hi:[0,0,1]
	v_pk_fma_f32 v[102:103], v[102:103], v[254:255], v[120:121] op_sel_hi:[1,0,1]
	s_set_vgpr_msb 1                        ;  msbs: dst=0 src0=1 src1=0 src2=0
	v_mov_b32_e32 v120, v1 /*v257*/
	s_set_vgpr_msb 0                        ;  msbs: dst=0 src0=0 src1=0 src2=0
	v_add_f32_e32 v9, v9, v11
	v_mul_f32_e32 v11, v143, v147
	s_delay_alu instid0(VALU_DEP_1) | instskip(NEXT) | instid1(VALU_DEP_1)
	v_dual_mov_b32 v123, v103 :: v_dual_fma_f32 v11, v142, v146, -v11
	v_add_f32_e32 v9, v9, v11
	v_mul_f32_e32 v11, v145, v149
	s_delay_alu instid0(VALU_DEP_1) | instskip(NEXT) | instid1(VALU_DEP_1)
	v_fma_f32 v11, v144, v148, -v11
	v_add_f32_e32 v9, v9, v11
	v_mul_f32_e32 v11, v151, v155
	s_delay_alu instid0(VALU_DEP_1) | instskip(NEXT) | instid1(VALU_DEP_1)
	v_fma_f32 v11, v150, v154, -v11
	;; [unrolled: 4-line block ×24, first 2 shown]
	v_add_f32_e32 v9, v9, v11
	v_mul_f32_e32 v11, v241, v245
	s_delay_alu instid0(VALU_DEP_1) | instskip(SKIP_1) | instid1(VALU_DEP_1)
	v_fma_f32 v11, v240, v244, -v11
	s_set_vgpr_msb 64                       ;  msbs: dst=1 src0=0 src1=0 src2=0
	v_add_f32_e32 v14 /*v270*/, v9, v11
	s_set_vgpr_msb 0                        ;  msbs: dst=0 src0=0 src1=0 src2=0
	v_mul_f32_e32 v9, v247, v251
	s_set_vgpr_msb 64                       ;  msbs: dst=1 src0=0 src1=0 src2=0
	s_delay_alu instid0(VALU_DEP_1) | instskip(SKIP_3) | instid1(VALU_DEP_2)
	v_fma_f32 v16 /*v272*/, v246, v250, -v9
	s_set_vgpr_msb 0                        ;  msbs: dst=0 src0=0 src1=0 src2=0
	v_mul_f32_e32 v9, v249, v253
	s_set_vgpr_msb 5                        ;  msbs: dst=0 src0=1 src1=1 src2=0
	v_pk_add_f32 v[118:119], v[14:15] /*v[270:271]*/, v[16:17] /*v[272:273]*/
	s_set_vgpr_msb 64                       ;  msbs: dst=1 src0=0 src1=0 src2=0
	s_delay_alu instid0(VALU_DEP_2) | instskip(SKIP_1) | instid1(VALU_DEP_1)
	v_fma_f32 v18 /*v274*/, v248, v252, -v9
	s_set_vgpr_msb 4                        ;  msbs: dst=0 src0=0 src1=1 src2=0
	v_pk_add_f32 v[118:119], v[118:119], v[18:19] /*v[274:275]*/
	s_set_vgpr_msb 0                        ;  msbs: dst=0 src0=0 src1=0 src2=0
	s_delay_alu instid0(VALU_DEP_1) | instskip(SKIP_1) | instid1(VALU_DEP_1)
	v_pk_add_f32 v[102:103], v[118:119], v[122:123]
	v_dual_mov_b32 v118, v105 :: v_dual_mov_b32 v119, v104
	v_pk_mul_f32 v[118:119], v[118:119], v[120:121] op_sel_hi:[1,0]
	s_set_vgpr_msb 4                        ;  msbs: dst=0 src0=0 src1=1 src2=0
	s_delay_alu instid0(VALU_DEP_1) | instskip(SKIP_1) | instid1(VALU_DEP_1)
	v_pk_fma_f32 v[120:121], v[104:105], v[0:1] /*v[256:257]*/, v[118:119] neg_lo:[0,0,1] neg_hi:[0,0,1]
	v_pk_fma_f32 v[104:105], v[104:105], v[0:1] /*v[256:257]*/, v[118:119] op_sel_hi:[1,0,1]
	v_mov_b32_e32 v121, v105
	s_wait_loadcnt_dscnt 0x202
	v_pk_mul_f32 v[104:105], v[106:107], v[2:3] /*v[258:259]*/ op_sel:[1,1] op_sel_hi:[0,1]
	s_set_vgpr_msb 0                        ;  msbs: dst=0 src0=0 src1=0 src2=0
	s_delay_alu instid0(VALU_DEP_2) | instskip(SKIP_1) | instid1(VALU_DEP_2)
	v_pk_add_f32 v[102:103], v[102:103], v[120:121]
	s_set_vgpr_msb 4                        ;  msbs: dst=0 src0=0 src1=1 src2=0
	v_pk_fma_f32 v[118:119], v[106:107], v[2:3] /*v[258:259]*/, v[104:105] neg_lo:[0,0,1] neg_hi:[0,0,1]
	v_pk_fma_f32 v[104:105], v[106:107], v[2:3] /*v[258:259]*/, v[104:105] op_sel_hi:[1,0,1]
	v_mov_b32_e32 v104, v109
	s_set_vgpr_msb 1                        ;  msbs: dst=0 src0=1 src1=0 src2=0
	v_mov_b32_e32 v106, v5 /*v261*/
	s_set_vgpr_msb 0                        ;  msbs: dst=0 src0=0 src1=0 src2=0
	v_dual_mov_b32 v119, v105 :: v_dual_mov_b32 v105, v108
	s_delay_alu instid0(VALU_DEP_1) | instskip(NEXT) | instid1(VALU_DEP_2)
	v_pk_add_f32 v[102:103], v[102:103], v[118:119]
	v_pk_mul_f32 v[104:105], v[104:105], v[106:107] op_sel_hi:[1,0]
	s_set_vgpr_msb 4                        ;  msbs: dst=0 src0=0 src1=1 src2=0
	s_delay_alu instid0(VALU_DEP_1) | instskip(SKIP_1) | instid1(VALU_DEP_1)
	v_pk_fma_f32 v[106:107], v[108:109], v[4:5] /*v[260:261]*/, v[104:105] neg_lo:[0,0,1] neg_hi:[0,0,1]
	v_pk_fma_f32 v[104:105], v[108:109], v[4:5] /*v[260:261]*/, v[104:105] op_sel_hi:[1,0,1]
	v_mov_b32_e32 v107, v105
	s_wait_loadcnt_dscnt 0x101
	v_pk_mul_f32 v[104:105], v[110:111], v[6:7] /*v[262:263]*/ op_sel:[1,1] op_sel_hi:[0,1]
	s_set_vgpr_msb 0                        ;  msbs: dst=0 src0=0 src1=0 src2=0
	s_delay_alu instid0(VALU_DEP_2) | instskip(SKIP_1) | instid1(VALU_DEP_2)
	v_pk_add_f32 v[102:103], v[102:103], v[106:107]
	s_set_vgpr_msb 4                        ;  msbs: dst=0 src0=0 src1=1 src2=0
	v_pk_fma_f32 v[106:107], v[110:111], v[6:7] /*v[262:263]*/, v[104:105] neg_lo:[0,0,1] neg_hi:[0,0,1]
	v_pk_fma_f32 v[104:105], v[110:111], v[6:7] /*v[262:263]*/, v[104:105] op_sel_hi:[1,0,1]
	s_delay_alu instid0(VALU_DEP_1) | instskip(SKIP_2) | instid1(VALU_DEP_2)
	v_dual_mov_b32 v104, v113 :: v_dual_mov_b32 v107, v105
	v_mov_b32_e32 v105, v112
	s_set_vgpr_msb 0                        ;  msbs: dst=0 src0=0 src1=0 src2=0
	v_pk_add_f32 v[102:103], v[102:103], v[106:107]
	s_set_vgpr_msb 1                        ;  msbs: dst=0 src0=1 src1=0 src2=0
	v_mov_b32_e32 v106, v9 /*v265*/
	s_set_vgpr_msb 0                        ;  msbs: dst=0 src0=0 src1=0 src2=0
	s_delay_alu instid0(VALU_DEP_1) | instskip(SKIP_1) | instid1(VALU_DEP_1)
	v_pk_mul_f32 v[104:105], v[104:105], v[106:107] op_sel_hi:[1,0]
	s_set_vgpr_msb 4                        ;  msbs: dst=0 src0=0 src1=1 src2=0
	v_pk_fma_f32 v[106:107], v[112:113], v[8:9] /*v[264:265]*/, v[104:105] neg_lo:[0,0,1] neg_hi:[0,0,1]
	v_pk_fma_f32 v[104:105], v[112:113], v[8:9] /*v[264:265]*/, v[104:105] op_sel_hi:[1,0,1]
	s_delay_alu instid0(VALU_DEP_1) | instskip(SKIP_3) | instid1(VALU_DEP_2)
	v_mov_b32_e32 v107, v105
	s_wait_loadcnt_dscnt 0x0
	v_pk_mul_f32 v[104:105], v[114:115], v[10:11] /*v[266:267]*/ op_sel:[1,1] op_sel_hi:[0,1]
	s_set_vgpr_msb 0                        ;  msbs: dst=0 src0=0 src1=0 src2=0
	v_pk_add_f32 v[102:103], v[102:103], v[106:107]
	s_set_vgpr_msb 4                        ;  msbs: dst=0 src0=0 src1=1 src2=0
	s_delay_alu instid0(VALU_DEP_2) | instskip(SKIP_1) | instid1(VALU_DEP_1)
	v_pk_fma_f32 v[106:107], v[114:115], v[10:11] /*v[266:267]*/, v[104:105] neg_lo:[0,0,1] neg_hi:[0,0,1]
	v_pk_fma_f32 v[104:105], v[114:115], v[10:11] /*v[266:267]*/, v[104:105] op_sel_hi:[1,0,1]
	v_dual_mov_b32 v104, v117 :: v_dual_mov_b32 v107, v105
	v_mov_b32_e32 v105, v116
	s_set_vgpr_msb 0                        ;  msbs: dst=0 src0=0 src1=0 src2=0
	s_delay_alu instid0(VALU_DEP_2) | instskip(SKIP_3) | instid1(VALU_DEP_1)
	v_pk_add_f32 v[102:103], v[102:103], v[106:107]
	s_set_vgpr_msb 1                        ;  msbs: dst=0 src0=1 src1=0 src2=0
	v_mov_b32_e32 v106, v13 /*v269*/
	s_set_vgpr_msb 0                        ;  msbs: dst=0 src0=0 src1=0 src2=0
	v_pk_mul_f32 v[104:105], v[104:105], v[106:107] op_sel_hi:[1,0]
	s_set_vgpr_msb 4                        ;  msbs: dst=0 src0=0 src1=1 src2=0
	s_delay_alu instid0(VALU_DEP_1) | instskip(SKIP_1) | instid1(VALU_DEP_1)
	v_pk_fma_f32 v[106:107], v[116:117], v[12:13] /*v[268:269]*/, v[104:105] neg_lo:[0,0,1] neg_hi:[0,0,1]
	v_pk_fma_f32 v[104:105], v[116:117], v[12:13] /*v[268:269]*/, v[104:105] op_sel_hi:[1,0,1]
	v_mov_b32_e32 v107, v105
	scratch_load_b64 v[104:105], off, off offset:24
	s_set_vgpr_msb 0                        ;  msbs: dst=0 src0=0 src1=0 src2=0
	v_pk_add_f32 v[102:103], v[102:103], v[106:107]
	s_wait_loadcnt 0x0
	s_delay_alu instid0(VALU_DEP_1)
	v_pk_add_f32 v[102:103], v[104:105], v[102:103] neg_lo:[0,1] neg_hi:[0,1]
	scratch_store_b64 off, v[102:103], off offset:24
	s_wait_xcnt 0x0
	v_cmpx_lt_u32_e32 2, v0
	s_cbranch_execz .LBB113_309
; %bb.308:
	scratch_load_b64 v[102:103], off, off offset:16
	v_mov_b64_e32 v[104:105], 0
	scratch_store_b64 off, v[104:105], off offset:16
	s_wait_loadcnt 0x0
	ds_store_b64 v1, v[102:103]
.LBB113_309:
	s_wait_xcnt 0x0
	s_or_b32 exec_lo, exec_lo, s0
	s_wait_storecnt_dscnt 0x0
	s_barrier_signal -1
	s_barrier_wait -1
	s_clause 0xf
	scratch_load_b128 v[106:109], off, off offset:24
	scratch_load_b128 v[114:117], off, off offset:40
	;; [unrolled: 1-line block ×16, first 2 shown]
	v_mov_b32_e32 v81, 0
	s_clause 0x4
	scratch_load_b128 v[234:237], off, off offset:280
	scratch_load_b128 v[242:245], off, off offset:296
	;; [unrolled: 1-line block ×3, first 2 shown]
	s_set_vgpr_msb 64                       ;  msbs: dst=1 src0=0 src1=0 src2=0
	scratch_load_b128 v[2:5] /*v[258:261]*/, off, off offset:328
	s_set_vgpr_msb 0                        ;  msbs: dst=0 src0=0 src1=0 src2=0
	ds_load_2addr_b64 v[102:105], v81 offset0:53 offset1:54
	ds_load_2addr_b64 v[110:113], v81 offset0:55 offset1:56
	s_mov_b32 s0, exec_lo
	s_wait_loadcnt_dscnt 0x1301
	v_dual_mul_f32 v7, v102, v107 :: v_dual_mul_f32 v9, v104, v109
	ds_load_2addr_b64 v[118:121], v81 offset0:57 offset1:58
	ds_load_2addr_b64 v[126:129], v81 offset0:59 offset1:60
	;; [unrolled: 1-line block ×4, first 2 shown]
	v_dual_fmac_f32 v7, v103, v106 :: v_dual_fmac_f32 v9, v105, v108
	ds_load_2addr_b64 v[134:137], v81 offset0:61 offset1:62
	ds_load_2addr_b64 v[142:145], v81 offset0:63 offset1:64
	;; [unrolled: 1-line block ×4, first 2 shown]
	v_add_f32_e32 v7, 0, v7
	ds_load_2addr_b64 v[166:169], v81 offset0:69 offset1:70
	ds_load_2addr_b64 v[174:177], v81 offset0:71 offset1:72
	ds_load_2addr_b64 v[182:185], v81 offset0:73 offset1:74
	ds_load_2addr_b64 v[190:193], v81 offset0:75 offset1:76
	s_wait_loadcnt_dscnt 0x120c
	v_dual_add_f32 v7, v7, v9 :: v_dual_mul_f32 v9, v110, v115
	ds_load_2addr_b64 v[198:201], v81 offset0:77 offset1:78
	ds_load_2addr_b64 v[206:209], v81 offset0:79 offset1:80
	;; [unrolled: 1-line block ×4, first 2 shown]
	v_fmac_f32_e32 v9, v111, v114
	ds_load_2addr_b64 v[230:233], v81 offset0:85 offset1:86
	ds_load_2addr_b64 v[238:241], v81 offset0:87 offset1:88
	s_wait_loadcnt_dscnt 0x10f
	s_set_vgpr_msb 64                       ;  msbs: dst=1 src0=0 src1=0 src2=0
	v_mul_f32_e32 v21 /*v277*/, v248, v253
	s_clause 0x3
	scratch_load_b128 v[6:9] /*v[262:265]*/, off, off offset:344
	scratch_load_b128 v[10:13] /*v[266:269]*/, off, off offset:360
	;; [unrolled: 1-line block ×3, first 2 shown]
	scratch_load_b64 v[24:25] /*v[280:281]*/, off, off offset:392
	s_set_vgpr_msb 0                        ;  msbs: dst=0 src0=0 src1=0 src2=0
	v_add_f32_e32 v7, v7, v9
	v_mul_f32_e32 v9, v112, v117
	s_delay_alu instid0(VALU_DEP_1) | instskip(NEXT) | instid1(VALU_DEP_1)
	v_fmac_f32_e32 v9, v113, v116
	v_dual_add_f32 v7, v7, v9 :: v_dual_mul_f32 v9, v118, v123
	s_delay_alu instid0(VALU_DEP_1) | instskip(NEXT) | instid1(VALU_DEP_1)
	v_fmac_f32_e32 v9, v119, v122
	v_add_f32_e32 v7, v7, v9
	v_mul_f32_e32 v9, v120, v125
	s_delay_alu instid0(VALU_DEP_1) | instskip(NEXT) | instid1(VALU_DEP_1)
	v_fmac_f32_e32 v9, v121, v124
	v_dual_add_f32 v7, v7, v9 :: v_dual_mul_f32 v9, v126, v131
	s_delay_alu instid0(VALU_DEP_1) | instskip(NEXT) | instid1(VALU_DEP_1)
	v_fmac_f32_e32 v9, v127, v130
	v_add_f32_e32 v7, v7, v9
	v_mul_f32_e32 v9, v128, v133
	s_delay_alu instid0(VALU_DEP_1) | instskip(SKIP_1) | instid1(VALU_DEP_1)
	v_fmac_f32_e32 v9, v129, v132
	s_wait_dscnt 0xd
	v_dual_add_f32 v7, v7, v9 :: v_dual_mul_f32 v9, v134, v139
	s_delay_alu instid0(VALU_DEP_1) | instskip(NEXT) | instid1(VALU_DEP_1)
	v_fmac_f32_e32 v9, v135, v138
	v_add_f32_e32 v7, v7, v9
	v_mul_f32_e32 v9, v136, v141
	s_delay_alu instid0(VALU_DEP_1) | instskip(SKIP_1) | instid1(VALU_DEP_1)
	v_fmac_f32_e32 v9, v137, v140
	s_wait_dscnt 0xc
	;; [unrolled: 8-line block ×14, first 2 shown]
	v_dual_add_f32 v7, v7, v9 :: v_dual_mul_f32 v9, v238, v243
	s_delay_alu instid0(VALU_DEP_1) | instskip(NEXT) | instid1(VALU_DEP_1)
	v_fmac_f32_e32 v9, v239, v242
	v_add_f32_e32 v7, v7, v9
	v_mul_f32_e32 v9, v240, v245
	s_delay_alu instid0(VALU_DEP_1) | instskip(NEXT) | instid1(VALU_DEP_1)
	v_fmac_f32_e32 v9, v241, v244
	v_dual_add_f32 v7, v7, v9 :: v_dual_mul_f32 v9, v246, v251
	s_delay_alu instid0(VALU_DEP_1) | instskip(SKIP_1) | instid1(VALU_DEP_1)
	v_fmac_f32_e32 v9, v247, v250
	s_set_vgpr_msb 64                       ;  msbs: dst=1 src0=0 src1=0 src2=0
	v_add_f32_e32 v19 /*v275*/, v7, v9
	s_set_vgpr_msb 0                        ;  msbs: dst=0 src0=0 src1=0 src2=0
	v_dual_mul_f32 v7, v103, v107 :: v_dual_mul_f32 v9, v105, v109
	s_delay_alu instid0(VALU_DEP_1) | instskip(NEXT) | instid1(VALU_DEP_1)
	v_dual_fma_f32 v7, v102, v106, -v7 :: v_dual_fma_f32 v9, v104, v108, -v9
	v_add_f32_e32 v7, 0, v7
	s_delay_alu instid0(VALU_DEP_1) | instskip(SKIP_1) | instid1(VALU_DEP_1)
	v_add_f32_e32 v7, v7, v9
	v_mul_f32_e32 v9, v111, v115
	v_fma_f32 v9, v110, v114, -v9
	s_delay_alu instid0(VALU_DEP_1) | instskip(SKIP_1) | instid1(VALU_DEP_1)
	v_add_f32_e32 v7, v7, v9
	v_mul_f32_e32 v9, v113, v117
	v_fma_f32 v9, v112, v116, -v9
	ds_load_2addr_b64 v[102:105], v81 offset0:93 offset1:94
	ds_load_2addr_b64 v[106:109], v81 offset0:95 offset1:96
	ds_load_2addr_b64 v[110:113], v81 offset0:97 offset1:98
	ds_load_b64 v[114:115], v81 offset:792
	v_add_f32_e32 v7, v7, v9
	v_mul_f32_e32 v9, v119, v123
	s_set_vgpr_msb 1                        ;  msbs: dst=0 src0=1 src1=0 src2=0
	v_mov_b32_e32 v119, v0 /*v256*/
	s_set_vgpr_msb 0                        ;  msbs: dst=0 src0=0 src1=0 src2=0
	s_delay_alu instid0(VALU_DEP_2) | instskip(SKIP_3) | instid1(VALU_DEP_2)
	v_fma_f32 v9, v118, v122, -v9
	s_set_vgpr_msb 1                        ;  msbs: dst=0 src0=1 src1=0 src2=0
	v_mov_b32_e32 v118, v1 /*v257*/
	s_set_vgpr_msb 0                        ;  msbs: dst=0 src0=0 src1=0 src2=0
	v_add_f32_e32 v7, v7, v9
	v_mul_f32_e32 v9, v121, v125
	s_delay_alu instid0(VALU_DEP_1)
	v_fma_f32 v9, v120, v124, -v9
	s_wait_loadcnt 0x4
	s_set_vgpr_msb 1                        ;  msbs: dst=0 src0=1 src1=0 src2=0
	v_mov_b32_e32 v120, v5 /*v261*/
	s_set_vgpr_msb 0                        ;  msbs: dst=0 src0=0 src1=0 src2=0
	v_add_f32_e32 v7, v7, v9
	v_mul_f32_e32 v9, v127, v131
	s_delay_alu instid0(VALU_DEP_3) | instskip(NEXT) | instid1(VALU_DEP_2)
	v_pk_mul_f32 v[118:119], v[118:119], v[120:121] op_sel_hi:[1,0]
	v_fma_f32 v9, v126, v130, -v9
	s_set_vgpr_msb 5                        ;  msbs: dst=0 src0=1 src1=1 src2=0
	s_delay_alu instid0(VALU_DEP_2) | instskip(SKIP_3) | instid1(VALU_DEP_2)
	v_pk_fma_f32 v[120:121], v[0:1] /*v[256:257]*/, v[4:5] /*v[260:261]*/, v[118:119] neg_lo:[0,0,1] neg_hi:[0,0,1]
	v_pk_fma_f32 v[118:119], v[0:1] /*v[256:257]*/, v[4:5] /*v[260:261]*/, v[118:119] op_sel_hi:[1,0,1]
	s_set_vgpr_msb 0                        ;  msbs: dst=0 src0=0 src1=0 src2=0
	v_add_f32_e32 v7, v7, v9
	v_dual_mul_f32 v9, v129, v133 :: v_dual_mov_b32 v121, v119
	s_wait_loadcnt_dscnt 0x303
	s_set_vgpr_msb 4                        ;  msbs: dst=0 src0=0 src1=1 src2=0
	v_pk_mul_f32 v[118:119], v[102:103], v[6:7] /*v[262:263]*/ op_sel:[1,1] op_sel_hi:[0,1]
	s_set_vgpr_msb 0                        ;  msbs: dst=0 src0=0 src1=0 src2=0
	v_fma_f32 v9, v128, v132, -v9
	s_delay_alu instid0(VALU_DEP_1) | instskip(SKIP_1) | instid1(VALU_DEP_1)
	v_add_f32_e32 v7, v7, v9
	v_mul_f32_e32 v9, v135, v139
	v_fma_f32 v9, v134, v138, -v9
	s_delay_alu instid0(VALU_DEP_1) | instskip(SKIP_1) | instid1(VALU_DEP_1)
	v_add_f32_e32 v7, v7, v9
	v_mul_f32_e32 v9, v137, v141
	;; [unrolled: 4-line block ×29, first 2 shown]
	v_fma_f32 v9, v246, v250, -v9
	s_set_vgpr_msb 64                       ;  msbs: dst=1 src0=0 src1=0 src2=0
	s_delay_alu instid0(VALU_DEP_1) | instskip(SKIP_3) | instid1(VALU_DEP_1)
	v_add_f32_e32 v18 /*v274*/, v7, v9
	s_set_vgpr_msb 0                        ;  msbs: dst=0 src0=0 src1=0 src2=0
	v_mul_f32_e32 v7, v249, v253
	s_set_vgpr_msb 64                       ;  msbs: dst=1 src0=0 src1=0 src2=0
	v_fma_f32 v20 /*v276*/, v248, v252, -v7
	v_fmac_f32_e32 v21 /*v277*/, v249, v252
	s_set_vgpr_msb 4                        ;  msbs: dst=0 src0=0 src1=1 src2=0
	v_mul_f32_e32 v7, v255, v3 /*v259*/
	s_set_vgpr_msb 0x44                     ;  msbs: dst=1 src0=0 src1=1 src2=0
	v_mul_f32_e32 v23 /*v279*/, v254, v3 /*v259*/
	s_set_vgpr_msb 5                        ;  msbs: dst=0 src0=1 src1=1 src2=0
	v_pk_add_f32 v[116:117], v[18:19] /*v[274:275]*/, v[20:21] /*v[276:277]*/
	s_set_vgpr_msb 0x44                     ;  msbs: dst=1 src0=0 src1=1 src2=0
	v_fma_f32 v22 /*v278*/, v254, v2 /*v258*/, -v7
	v_fmac_f32_e32 v23 /*v279*/, v255, v2 /*v258*/
	s_set_vgpr_msb 4                        ;  msbs: dst=0 src0=0 src1=1 src2=0
	s_delay_alu instid0(VALU_DEP_1) | instskip(SKIP_1) | instid1(VALU_DEP_1)
	v_pk_add_f32 v[116:117], v[116:117], v[22:23] /*v[278:279]*/
	s_set_vgpr_msb 0                        ;  msbs: dst=0 src0=0 src1=0 src2=0
	v_pk_add_f32 v[116:117], v[116:117], v[120:121]
	s_set_vgpr_msb 4                        ;  msbs: dst=0 src0=0 src1=1 src2=0
	v_pk_fma_f32 v[120:121], v[102:103], v[6:7] /*v[262:263]*/, v[118:119] neg_lo:[0,0,1] neg_hi:[0,0,1]
	v_pk_fma_f32 v[102:103], v[102:103], v[6:7] /*v[262:263]*/, v[118:119] op_sel_hi:[1,0,1]
	s_set_vgpr_msb 1                        ;  msbs: dst=0 src0=1 src1=0 src2=0
	v_mov_b32_e32 v118, v9 /*v265*/
	s_set_vgpr_msb 0                        ;  msbs: dst=0 src0=0 src1=0 src2=0
	s_delay_alu instid0(VALU_DEP_2) | instskip(NEXT) | instid1(VALU_DEP_1)
	v_mov_b32_e32 v121, v103
	v_pk_add_f32 v[102:103], v[116:117], v[120:121]
	v_dual_mov_b32 v116, v105 :: v_dual_mov_b32 v117, v104
	s_delay_alu instid0(VALU_DEP_1) | instskip(SKIP_1) | instid1(VALU_DEP_1)
	v_pk_mul_f32 v[116:117], v[116:117], v[118:119] op_sel_hi:[1,0]
	s_set_vgpr_msb 4                        ;  msbs: dst=0 src0=0 src1=1 src2=0
	v_pk_fma_f32 v[118:119], v[104:105], v[8:9] /*v[264:265]*/, v[116:117] neg_lo:[0,0,1] neg_hi:[0,0,1]
	v_pk_fma_f32 v[104:105], v[104:105], v[8:9] /*v[264:265]*/, v[116:117] op_sel_hi:[1,0,1]
	s_delay_alu instid0(VALU_DEP_1) | instskip(SKIP_3) | instid1(VALU_DEP_2)
	v_mov_b32_e32 v119, v105
	s_wait_loadcnt_dscnt 0x202
	v_pk_mul_f32 v[104:105], v[106:107], v[10:11] /*v[266:267]*/ op_sel:[1,1] op_sel_hi:[0,1]
	s_set_vgpr_msb 0                        ;  msbs: dst=0 src0=0 src1=0 src2=0
	v_pk_add_f32 v[102:103], v[102:103], v[118:119]
	s_set_vgpr_msb 4                        ;  msbs: dst=0 src0=0 src1=1 src2=0
	s_delay_alu instid0(VALU_DEP_2)
	v_pk_fma_f32 v[116:117], v[106:107], v[10:11] /*v[266:267]*/, v[104:105] neg_lo:[0,0,1] neg_hi:[0,0,1]
	v_pk_fma_f32 v[104:105], v[106:107], v[10:11] /*v[266:267]*/, v[104:105] op_sel_hi:[1,0,1]
	v_mov_b32_e32 v104, v109
	s_set_vgpr_msb 1                        ;  msbs: dst=0 src0=1 src1=0 src2=0
	v_mov_b32_e32 v106, v13 /*v269*/
	s_set_vgpr_msb 0                        ;  msbs: dst=0 src0=0 src1=0 src2=0
	v_dual_mov_b32 v117, v105 :: v_dual_mov_b32 v105, v108
	s_delay_alu instid0(VALU_DEP_1) | instskip(NEXT) | instid1(VALU_DEP_2)
	v_pk_add_f32 v[102:103], v[102:103], v[116:117]
	v_pk_mul_f32 v[104:105], v[104:105], v[106:107] op_sel_hi:[1,0]
	s_set_vgpr_msb 4                        ;  msbs: dst=0 src0=0 src1=1 src2=0
	s_delay_alu instid0(VALU_DEP_1) | instskip(SKIP_1) | instid1(VALU_DEP_1)
	v_pk_fma_f32 v[106:107], v[108:109], v[12:13] /*v[268:269]*/, v[104:105] neg_lo:[0,0,1] neg_hi:[0,0,1]
	v_pk_fma_f32 v[104:105], v[108:109], v[12:13] /*v[268:269]*/, v[104:105] op_sel_hi:[1,0,1]
	v_mov_b32_e32 v107, v105
	s_wait_loadcnt_dscnt 0x101
	v_pk_mul_f32 v[104:105], v[110:111], v[14:15] /*v[270:271]*/ op_sel:[1,1] op_sel_hi:[0,1]
	s_set_vgpr_msb 0                        ;  msbs: dst=0 src0=0 src1=0 src2=0
	s_delay_alu instid0(VALU_DEP_2) | instskip(SKIP_1) | instid1(VALU_DEP_2)
	v_pk_add_f32 v[102:103], v[102:103], v[106:107]
	s_set_vgpr_msb 4                        ;  msbs: dst=0 src0=0 src1=1 src2=0
	v_pk_fma_f32 v[106:107], v[110:111], v[14:15] /*v[270:271]*/, v[104:105] neg_lo:[0,0,1] neg_hi:[0,0,1]
	v_pk_fma_f32 v[104:105], v[110:111], v[14:15] /*v[270:271]*/, v[104:105] op_sel_hi:[1,0,1]
	s_delay_alu instid0(VALU_DEP_1) | instskip(SKIP_2) | instid1(VALU_DEP_2)
	v_dual_mov_b32 v104, v113 :: v_dual_mov_b32 v107, v105
	v_mov_b32_e32 v105, v112
	s_set_vgpr_msb 0                        ;  msbs: dst=0 src0=0 src1=0 src2=0
	v_pk_add_f32 v[102:103], v[102:103], v[106:107]
	s_set_vgpr_msb 1                        ;  msbs: dst=0 src0=1 src1=0 src2=0
	v_mov_b32_e32 v106, v17 /*v273*/
	s_set_vgpr_msb 0                        ;  msbs: dst=0 src0=0 src1=0 src2=0
	s_delay_alu instid0(VALU_DEP_1) | instskip(SKIP_1) | instid1(VALU_DEP_1)
	v_pk_mul_f32 v[104:105], v[104:105], v[106:107] op_sel_hi:[1,0]
	s_set_vgpr_msb 4                        ;  msbs: dst=0 src0=0 src1=1 src2=0
	v_pk_fma_f32 v[106:107], v[112:113], v[16:17] /*v[272:273]*/, v[104:105] neg_lo:[0,0,1] neg_hi:[0,0,1]
	v_pk_fma_f32 v[104:105], v[112:113], v[16:17] /*v[272:273]*/, v[104:105] op_sel_hi:[1,0,1]
	s_delay_alu instid0(VALU_DEP_1) | instskip(SKIP_3) | instid1(VALU_DEP_2)
	v_mov_b32_e32 v107, v105
	s_wait_loadcnt_dscnt 0x0
	v_pk_mul_f32 v[104:105], v[114:115], v[24:25] /*v[280:281]*/ op_sel:[1,1] op_sel_hi:[0,1]
	s_set_vgpr_msb 0                        ;  msbs: dst=0 src0=0 src1=0 src2=0
	v_pk_add_f32 v[102:103], v[102:103], v[106:107]
	s_set_vgpr_msb 4                        ;  msbs: dst=0 src0=0 src1=1 src2=0
	s_delay_alu instid0(VALU_DEP_2) | instskip(SKIP_1) | instid1(VALU_DEP_1)
	v_pk_fma_f32 v[106:107], v[114:115], v[24:25] /*v[280:281]*/, v[104:105] neg_lo:[0,0,1] neg_hi:[0,0,1]
	v_pk_fma_f32 v[104:105], v[114:115], v[24:25] /*v[280:281]*/, v[104:105] op_sel_hi:[1,0,1]
	v_mov_b32_e32 v107, v105
	scratch_load_b64 v[104:105], off, off offset:16
	s_set_vgpr_msb 0                        ;  msbs: dst=0 src0=0 src1=0 src2=0
	v_pk_add_f32 v[102:103], v[102:103], v[106:107]
	s_wait_loadcnt 0x0
	s_delay_alu instid0(VALU_DEP_1)
	v_pk_add_f32 v[102:103], v[104:105], v[102:103] neg_lo:[0,1] neg_hi:[0,1]
	scratch_store_b64 off, v[102:103], off offset:16
	s_wait_xcnt 0x0
	v_cmpx_lt_u32_e32 1, v0
	s_cbranch_execz .LBB113_311
; %bb.310:
	scratch_load_b64 v[102:103], off, off offset:8
	v_mov_b64_e32 v[104:105], 0
	scratch_store_b64 off, v[104:105], off offset:8
	s_wait_loadcnt 0x0
	ds_store_b64 v1, v[102:103]
.LBB113_311:
	s_wait_xcnt 0x0
	s_or_b32 exec_lo, exec_lo, s0
	s_wait_storecnt_dscnt 0x0
	s_barrier_signal -1
	s_barrier_wait -1
	s_clause 0x17
	scratch_load_b128 v[102:105], off, off offset:16
	scratch_load_b128 v[106:109], off, off offset:32
	;; [unrolled: 1-line block ×24, first 2 shown]
	ds_load_b128 v[198:201], v81 offset:416
	ds_load_b128 v[202:205], v81 offset:432
	;; [unrolled: 1-line block ×4, first 2 shown]
	s_set_vgpr_msb 64                       ;  msbs: dst=1 src0=0 src1=0 src2=0
	scratch_load_b64 v[38:39] /*v[294:295]*/, off, off offset:8
	s_set_vgpr_msb 0                        ;  msbs: dst=0 src0=0 src1=0 src2=0
	ds_load_b128 v[214:217], v81 offset:736
	ds_load_b128 v[218:221], v81 offset:752
	;; [unrolled: 1-line block ×11, first 2 shown]
	s_set_vgpr_msb 64                       ;  msbs: dst=1 src0=0 src1=0 src2=0
	ds_load_b128 v[2:5] /*v[258:261]*/, v81 offset:592
	ds_load_b128 v[6:9] /*v[262:265]*/, v81 offset:608
	;; [unrolled: 1-line block ×9, first 2 shown]
	s_set_vgpr_msb 0                        ;  msbs: dst=0 src0=0 src1=0 src2=0
	v_ashrrev_i32_e32 v79, 31, v78
	s_wait_dscnt 0x13
	s_set_vgpr_msb 64                       ;  msbs: dst=1 src0=0 src1=0 src2=0
	v_dual_mov_b32 v40 /*v296*/, v217 :: v_dual_mov_b32 v41 /*v297*/, v216
	s_wait_dscnt 0x12
	v_dual_mov_b32 v42 /*v298*/, v221 :: v_dual_mov_b32 v43 /*v299*/, v220
	s_wait_dscnt 0xf
	;; [unrolled: 2-line block ×3, first 2 shown]
	v_dual_mov_b32 v46 /*v302*/, v237 :: v_dual_mov_b32 v47 /*v303*/, v236
	s_set_vgpr_msb 0                        ;  msbs: dst=0 src0=0 src1=0 src2=0
	v_dual_ashrrev_i32 v7, 31, v6 :: v_dual_ashrrev_i32 v9, 31, v8
	v_dual_ashrrev_i32 v11, 31, v10 :: v_dual_ashrrev_i32 v13, 31, v12
	;; [unrolled: 1-line block ×18, first 2 shown]
	s_mov_b32 s0, exec_lo
	s_wait_loadcnt 0x17
	v_dual_mul_f32 v81, v198, v103 :: v_dual_mul_f32 v87, v204, v109
	v_dual_mul_f32 v89, v199, v103 :: v_dual_mul_f32 v83, v200, v105
	;; [unrolled: 1-line block ×3, first 2 shown]
	v_mul_f32_e32 v93, v203, v107
	s_delay_alu instid0(VALU_DEP_3) | instskip(NEXT) | instid1(VALU_DEP_3)
	v_dual_fmac_f32 v81, v199, v102 :: v_dual_fmac_f32 v83, v201, v104
	v_dual_fma_f32 v89, v198, v102, -v89 :: v_dual_fma_f32 v91, v200, v104, -v91
	s_delay_alu instid0(VALU_DEP_4)
	v_dual_fmac_f32 v85, v203, v106 :: v_dual_fmac_f32 v87, v205, v108
	s_wait_loadcnt_dscnt 0xb06
	s_set_vgpr_msb 1                        ;  msbs: dst=0 src0=1 src1=0 src2=0
	v_dual_add_f32 v81, 0, v81 :: v_dual_mul_f32 v203, v10 /*v266*/, v155
	v_add_f32_e32 v89, 0, v89
	s_set_vgpr_msb 0                        ;  msbs: dst=0 src0=0 src1=0 src2=0
	v_dual_mul_f32 v95, v205, v109 :: v_dual_mul_f32 v97, v206, v111
	s_delay_alu instid0(VALU_DEP_3) | instskip(NEXT) | instid1(VALU_DEP_3)
	v_dual_fma_f32 v93, v202, v106, -v93 :: v_dual_add_f32 v81, v81, v83
	v_dual_add_f32 v83, v89, v91 :: v_dual_mul_f32 v103, v212, v117
	v_mul_f32_e32 v105, v207, v111
	s_set_vgpr_msb 64                       ;  msbs: dst=1 src0=0 src1=0 src2=0
	v_dual_mul_f32 v52 /*v308*/, v244, v133 :: v_dual_mul_f32 v53 /*v309*/, v246, v135
	s_set_vgpr_msb 0                        ;  msbs: dst=0 src0=0 src1=0 src2=0
	v_dual_mul_f32 v102, v248, v137 :: v_dual_mul_f32 v104, v247, v135
	v_dual_mul_f32 v135, v249, v137 :: v_dual_mul_f32 v137, v250, v139
	v_dual_fma_f32 v95, v204, v108, -v95 :: v_dual_mul_f32 v139, v251, v139
	v_dual_add_f32 v81, v81, v85 :: v_dual_fmac_f32 v97, v207, v110
	v_dual_add_f32 v83, v83, v93 :: v_dual_fma_f32 v93, v206, v110, -v105
	v_dual_mul_f32 v99, v208, v113 :: v_dual_mul_f32 v101, v210, v115
	v_dual_mul_f32 v107, v209, v113 :: v_dual_mul_f32 v109, v211, v115
	s_delay_alu instid0(VALU_DEP_3) | instskip(NEXT) | instid1(VALU_DEP_2)
	v_dual_mul_f32 v85, v253, v141 :: v_dual_add_f32 v83, v83, v95
	v_dual_add_f32 v81, v81, v87 :: v_dual_fma_f32 v95, v208, v112, -v107
	s_delay_alu instid0(VALU_DEP_4) | instskip(SKIP_1) | instid1(VALU_DEP_3)
	v_fmac_f32_e32 v99, v209, v112
	v_dual_mul_f32 v111, v213, v117 :: v_dual_mul_f32 v113, v222, v119
	v_dual_add_f32 v81, v81, v97 :: v_dual_fmac_f32 v101, v211, v114
	v_dual_add_f32 v83, v83, v93 :: v_dual_fma_f32 v97, v210, v114, -v109
	v_dual_mul_f32 v115, v224, v121 :: v_dual_mul_f32 v117, v226, v123
	s_delay_alu instid0(VALU_DEP_3) | instskip(NEXT) | instid1(VALU_DEP_3)
	v_add_f32_e32 v81, v81, v99
	v_dual_add_f32 v83, v83, v95 :: v_dual_fmac_f32 v103, v213, v116
	v_dual_mul_f32 v119, v223, v119 :: v_dual_mul_f32 v121, v225, v121
	s_delay_alu instid0(VALU_DEP_3) | instskip(NEXT) | instid1(VALU_DEP_2)
	v_dual_fma_f32 v99, v212, v116, -v111 :: v_dual_add_f32 v81, v81, v101
	v_dual_add_f32 v83, v83, v97 :: v_dual_fma_f32 v101, v222, v118, -v119
	v_fmac_f32_e32 v113, v223, v118
	s_set_vgpr_msb 64                       ;  msbs: dst=1 src0=0 src1=0 src2=0
	v_dual_mul_f32 v48 /*v304*/, v228, v125 :: v_dual_mul_f32 v49 /*v305*/, v238, v127
	s_set_vgpr_msb 0                        ;  msbs: dst=0 src0=0 src1=0 src2=0
	v_add_f32_e32 v81, v81, v103
	v_dual_add_f32 v83, v83, v99 :: v_dual_fmac_f32 v115, v225, v120
	v_dual_mul_f32 v123, v227, v123 :: v_dual_mul_f32 v125, v229, v125
	s_delay_alu instid0(VALU_DEP_3) | instskip(NEXT) | instid1(VALU_DEP_2)
	v_dual_fma_f32 v103, v224, v120, -v121 :: v_dual_add_f32 v81, v81, v113
	v_dual_add_f32 v83, v83, v101 :: v_dual_fma_f32 v105, v226, v122, -v123
	v_fmac_f32_e32 v117, v227, v122
	s_set_vgpr_msb 64                       ;  msbs: dst=1 src0=0 src1=0 src2=0
	v_dual_mul_f32 v50 /*v306*/, v240, v129 :: v_dual_mul_f32 v51 /*v307*/, v242, v131
	s_set_vgpr_msb 0                        ;  msbs: dst=0 src0=0 src1=0 src2=0
	v_add_f32_e32 v81, v81, v115
	v_dual_add_f32 v83, v83, v103 :: v_dual_fma_f32 v103, v228, v124, -v125
	v_dual_mul_f32 v127, v239, v127 :: v_dual_mul_f32 v129, v241, v129
	s_set_vgpr_msb 64                       ;  msbs: dst=1 src0=0 src1=0 src2=0
	v_dual_fmac_f32 v48 /*v304*/, v229, v124 :: v_dual_fmac_f32 v49 /*v305*/, v239, v126
	s_set_vgpr_msb 0                        ;  msbs: dst=0 src0=0 src1=0 src2=0
	v_add_f32_e32 v81, v81, v117
	v_dual_add_f32 v83, v83, v105 :: v_dual_fma_f32 v107, v240, v128, -v129
	v_dual_mul_f32 v131, v243, v131 :: v_dual_mul_f32 v133, v245, v133
	v_fma_f32 v105, v238, v126, -v127
	s_set_vgpr_msb 4                        ;  msbs: dst=0 src0=0 src1=1 src2=0
	v_add_f32_e32 v81, v81, v48 /*v304*/
	s_set_vgpr_msb 0                        ;  msbs: dst=0 src0=0 src1=0 src2=0
	v_dual_add_f32 v83, v83, v103 :: v_dual_fma_f32 v110, v242, v130, -v131
	s_set_vgpr_msb 64                       ;  msbs: dst=1 src0=0 src1=0 src2=0
	v_dual_fmac_f32 v50 /*v306*/, v241, v128 :: v_dual_fmac_f32 v51 /*v307*/, v243, v130
	s_set_vgpr_msb 4                        ;  msbs: dst=0 src0=0 src1=1 src2=0
	v_add_f32_e32 v81, v81, v49 /*v305*/
	s_set_vgpr_msb 0                        ;  msbs: dst=0 src0=0 src1=0 src2=0
	v_dual_add_f32 v83, v83, v105 :: v_dual_fma_f32 v111, v244, v132, -v133
	s_set_vgpr_msb 64                       ;  msbs: dst=1 src0=0 src1=0 src2=0
	v_dual_fmac_f32 v52 /*v308*/, v245, v132 :: v_dual_fmac_f32 v53 /*v309*/, v247, v134
	s_set_vgpr_msb 4                        ;  msbs: dst=0 src0=0 src1=1 src2=0
	v_add_f32_e32 v81, v81, v50 /*v306*/
	s_set_vgpr_msb 0                        ;  msbs: dst=0 src0=0 src1=0 src2=0
	v_dual_add_f32 v83, v83, v107 :: v_dual_fma_f32 v104, v246, v134, -v104
	v_fma_f32 v112, v248, v136, -v135
	v_dual_mul_f32 v198, v252, v141 :: v_dual_mul_f32 v199, v254, v143
	s_set_vgpr_msb 4                        ;  msbs: dst=0 src0=0 src1=1 src2=0
	v_add_f32_e32 v81, v81, v51 /*v307*/
	s_set_vgpr_msb 0                        ;  msbs: dst=0 src0=0 src1=0 src2=0
	v_add_f32_e32 v83, v83, v110
	v_dual_mul_f32 v107, v255, v143 :: v_dual_fmac_f32 v102, v249, v136
	v_fma_f32 v114, v250, v138, -v139
	s_set_vgpr_msb 4                        ;  msbs: dst=0 src0=0 src1=1 src2=0
	v_add_f32_e32 v81, v81, v52 /*v308*/
	s_set_vgpr_msb 0                        ;  msbs: dst=0 src0=0 src1=0 src2=0
	v_add_f32_e32 v83, v83, v111
	v_dual_fmac_f32 v137, v251, v138 :: v_dual_fmac_f32 v198, v253, v140
	s_set_vgpr_msb 1                        ;  msbs: dst=0 src0=1 src1=0 src2=0
	v_dual_mul_f32 v200, v0 /*v256*/, v145 :: v_dual_mul_f32 v201, v2 /*v258*/, v147
	s_set_vgpr_msb 4                        ;  msbs: dst=0 src0=0 src1=1 src2=0
	v_add_f32_e32 v81, v81, v53 /*v309*/
	s_set_vgpr_msb 0                        ;  msbs: dst=0 src0=0 src1=0 src2=0
	v_add_f32_e32 v83, v83, v104
	s_wait_loadcnt_dscnt 0x601
	s_set_vgpr_msb 1                        ;  msbs: dst=0 src0=1 src1=0 src2=0
	v_dual_mul_f32 v113, v32 /*v288*/, v177 :: v_dual_mul_f32 v111, v3 /*v259*/, v147
	v_mul_f32_e32 v110, v1 /*v257*/, v145
	s_set_vgpr_msb 0                        ;  msbs: dst=0 src0=0 src1=0 src2=0
	v_dual_add_f32 v81, v81, v102 :: v_dual_add_f32 v83, v83, v112
	s_set_vgpr_msb 1                        ;  msbs: dst=0 src0=1 src1=0 src2=0
	v_dual_fmac_f32 v200, v1 /*v257*/, v144 :: v_dual_fma_f32 v111, v2 /*v258*/, v146, -v111
	s_set_vgpr_msb 0                        ;  msbs: dst=0 src0=0 src1=0 src2=0
	s_delay_alu instid0(VALU_DEP_2)
	v_dual_fmac_f32 v199, v255, v142 :: v_dual_add_f32 v81, v81, v137
	v_dual_fma_f32 v85, v252, v140, -v85 :: v_dual_add_f32 v83, v83, v114
	v_fma_f32 v107, v254, v142, -v107
	s_set_vgpr_msb 1                        ;  msbs: dst=0 src0=1 src1=0 src2=0
	v_dual_mul_f32 v106, v4 /*v260*/, v149 :: v_dual_mul_f32 v108, v6 /*v262*/, v151
	v_dual_mul_f32 v112, v9 /*v265*/, v153 :: v_dual_fmac_f32 v201, v3 /*v259*/, v146
	s_set_vgpr_msb 0                        ;  msbs: dst=0 src0=0 src1=0 src2=0
	v_dual_add_f32 v83, v83, v85 :: v_dual_add_f32 v81, v81, v198
	s_set_vgpr_msb 1                        ;  msbs: dst=0 src0=1 src1=0 src2=0
	v_dual_mul_f32 v85, v11 /*v267*/, v155 :: v_dual_mul_f32 v104, v5 /*v261*/, v149
	v_fma_f32 v110, v0 /*v256*/, v144, -v110
	s_set_vgpr_msb 0                        ;  msbs: dst=0 src0=0 src1=0 src2=0
	v_add_f32_e32 v83, v83, v107
	v_add_f32_e32 v81, v81, v199
	s_wait_loadcnt_dscnt 0x500
	s_set_vgpr_msb 1                        ;  msbs: dst=0 src0=1 src1=0 src2=0
	v_dual_mul_f32 v105, v36 /*v292*/, v181 :: v_dual_mul_f32 v102, v7 /*v263*/, v151
	v_dual_fmac_f32 v106, v5 /*v261*/, v148 :: v_dual_fma_f32 v104, v4 /*v260*/, v148, -v104
	s_set_vgpr_msb 0                        ;  msbs: dst=0 src0=0 src1=0 src2=0
	v_dual_add_f32 v83, v83, v110 :: v_dual_add_f32 v81, v81, v200
	s_set_vgpr_msb 1                        ;  msbs: dst=0 src0=1 src1=0 src2=0
	v_dual_mul_f32 v202, v8 /*v264*/, v153 :: v_dual_mul_f32 v89, v14 /*v270*/, v159
	v_fmac_f32_e32 v108, v7 /*v263*/, v150
	s_set_vgpr_msb 0                        ;  msbs: dst=0 src0=0 src1=0 src2=0
	v_dual_add_f32 v83, v83, v111 :: v_dual_add_f32 v81, v81, v201
	s_set_vgpr_msb 1                        ;  msbs: dst=0 src0=1 src1=0 src2=0
	v_dual_mul_f32 v111, v17 /*v273*/, v161 :: v_dual_fma_f32 v102, v6 /*v262*/, v150, -v102
	v_fmac_f32_e32 v202, v9 /*v265*/, v152
	s_set_vgpr_msb 0                        ;  msbs: dst=0 src0=0 src1=0 src2=0
	v_dual_add_f32 v83, v83, v104 :: v_dual_add_f32 v81, v81, v106
	s_set_vgpr_msb 1                        ;  msbs: dst=0 src0=1 src1=0 src2=0
	v_dual_mul_f32 v104, v19 /*v275*/, v163 :: v_dual_fma_f32 v106, v8 /*v264*/, v152, -v112
	v_dual_mul_f32 v204, v12 /*v268*/, v157 :: v_dual_mul_f32 v87, v18 /*v274*/, v163
	s_set_vgpr_msb 0                        ;  msbs: dst=0 src0=0 src1=0 src2=0
	v_dual_add_f32 v81, v81, v108 :: v_dual_add_f32 v83, v83, v102
	s_set_vgpr_msb 1                        ;  msbs: dst=0 src0=1 src1=0 src2=0
	v_dual_mul_f32 v107, v13 /*v269*/, v157 :: v_dual_mul_f32 v110, v15 /*v271*/, v159
	v_dual_mul_f32 v102, v21 /*v277*/, v165 :: v_dual_fmac_f32 v203, v11 /*v267*/, v154
	v_fma_f32 v85, v10 /*v266*/, v154, -v85
	s_set_vgpr_msb 0                        ;  msbs: dst=0 src0=0 src1=0 src2=0
	v_add_f32_e32 v83, v83, v106
	s_set_vgpr_msb 1                        ;  msbs: dst=0 src0=1 src1=0 src2=0
	v_mul_f32_e32 v106, v23 /*v279*/, v167
	s_set_vgpr_msb 0                        ;  msbs: dst=0 src0=0 src1=0 src2=0
	v_add_f32_e32 v81, v81, v202
	s_set_vgpr_msb 1                        ;  msbs: dst=0 src0=1 src1=0 src2=0
	v_dual_fmac_f32 v204, v13 /*v269*/, v156 :: v_dual_fma_f32 v107, v12 /*v268*/, v156, -v107
	s_set_vgpr_msb 0                        ;  msbs: dst=0 src0=0 src1=0 src2=0
	v_add_f32_e32 v83, v83, v85
	s_set_vgpr_msb 1                        ;  msbs: dst=0 src0=1 src1=0 src2=0
	v_dual_mul_f32 v91, v16 /*v272*/, v161 :: v_dual_mul_f32 v95, v22 /*v278*/, v167
	s_set_vgpr_msb 0                        ;  msbs: dst=0 src0=0 src1=0 src2=0
	v_add_f32_e32 v81, v81, v203
	s_set_vgpr_msb 1                        ;  msbs: dst=0 src0=1 src1=0 src2=0
	v_dual_mul_f32 v85, v25 /*v281*/, v169 :: v_dual_fmac_f32 v89, v15 /*v271*/, v158
	v_fma_f32 v108, v14 /*v270*/, v158, -v110
	s_set_vgpr_msb 0                        ;  msbs: dst=0 src0=0 src1=0 src2=0
	v_dual_add_f32 v83, v83, v107 :: v_dual_add_f32 v81, v81, v204
	s_set_vgpr_msb 1                        ;  msbs: dst=0 src0=1 src1=0 src2=0
	v_dual_mul_f32 v107, v27 /*v283*/, v171 :: v_dual_fmac_f32 v91, v17 /*v273*/, v160
	v_dual_fma_f32 v104, v18 /*v274*/, v162, -v104 :: v_dual_fma_f32 v110, v16 /*v272*/, v160, -v111
	s_set_vgpr_msb 0                        ;  msbs: dst=0 src0=0 src1=0 src2=0
	v_dual_add_f32 v81, v81, v89 :: v_dual_add_f32 v83, v83, v108
	s_set_vgpr_msb 1                        ;  msbs: dst=0 src0=1 src1=0 src2=0
	v_dual_mul_f32 v93, v20 /*v276*/, v165 :: v_dual_mul_f32 v99, v26 /*v282*/, v171
	v_dual_mul_f32 v89, v29 /*v285*/, v173 :: v_dual_fmac_f32 v87, v19 /*v275*/, v162
	s_set_vgpr_msb 0                        ;  msbs: dst=0 src0=0 src1=0 src2=0
	v_dual_add_f32 v81, v81, v91 :: v_dual_add_f32 v83, v83, v110
	s_set_vgpr_msb 1                        ;  msbs: dst=0 src0=1 src1=0 src2=0
	v_dual_mul_f32 v91, v31 /*v287*/, v175 :: v_dual_fma_f32 v102, v20 /*v276*/, v164, -v102
	v_fmac_f32_e32 v93, v21 /*v277*/, v164
	s_set_vgpr_msb 0                        ;  msbs: dst=0 src0=0 src1=0 src2=0
	v_dual_add_f32 v81, v81, v87 :: v_dual_add_f32 v83, v83, v104
	s_set_vgpr_msb 1                        ;  msbs: dst=0 src0=1 src1=0 src2=0
	v_dual_mul_f32 v87, v33 /*v289*/, v177 :: v_dual_fmac_f32 v95, v23 /*v279*/, v166
	v_fma_f32 v104, v22 /*v278*/, v166, -v106
	s_set_vgpr_msb 0                        ;  msbs: dst=0 src0=0 src1=0 src2=0
	v_dual_add_f32 v81, v81, v93 :: v_dual_add_f32 v83, v83, v102
	s_set_vgpr_msb 1                        ;  msbs: dst=0 src0=1 src1=0 src2=0
	v_dual_mul_f32 v97, v24 /*v280*/, v169 :: v_dual_mul_f32 v109, v30 /*v286*/, v175
	v_dual_mul_f32 v93, v35 /*v291*/, v179 :: v_dual_fma_f32 v85, v24 /*v280*/, v168, -v85
	s_set_vgpr_msb 0                        ;  msbs: dst=0 src0=0 src1=0 src2=0
	v_dual_add_f32 v81, v81, v95 :: v_dual_add_f32 v83, v83, v104
	s_set_vgpr_msb 1                        ;  msbs: dst=0 src0=1 src1=0 src2=0
	v_dual_mul_f32 v101, v28 /*v284*/, v173 :: v_dual_mul_f32 v103, v34 /*v290*/, v179
	v_dual_fmac_f32 v97, v25 /*v281*/, v168 :: v_dual_fmac_f32 v99, v27 /*v283*/, v170
	v_dual_mul_f32 v95, v37 /*v293*/, v181 :: v_dual_fma_f32 v102, v26 /*v282*/, v170, -v107
	s_delay_alu instid0(VALU_DEP_3)
	v_fmac_f32_e32 v101, v29 /*v285*/, v172
	s_set_vgpr_msb 0                        ;  msbs: dst=0 src0=0 src1=0 src2=0
	v_add_f32_e32 v83, v83, v85
	v_add_f32_e32 v81, v81, v97
	s_set_vgpr_msb 1                        ;  msbs: dst=0 src0=1 src1=0 src2=0
	v_dual_fma_f32 v85, v28 /*v284*/, v172, -v89 :: v_dual_fma_f32 v89, v30 /*v286*/, v174, -v91
	s_wait_loadcnt 0x4
	s_set_vgpr_msb 0                        ;  msbs: dst=0 src0=0 src1=0 src2=0
	v_pk_mul_f32 v[106:107], v[214:215], v[182:183] op_sel:[1,1] op_sel_hi:[0,1]
	v_dual_add_f32 v83, v83, v102 :: v_dual_add_f32 v81, v81, v99
	v_mov_b32_e32 v108, v185
	s_set_vgpr_msb 1                        ;  msbs: dst=0 src0=1 src1=0 src2=0
	v_fmac_f32_e32 v109, v31 /*v287*/, v174
	v_dual_fmac_f32 v113, v33 /*v289*/, v176 :: v_dual_fmac_f32 v103, v35 /*v291*/, v178
	s_set_vgpr_msb 0                        ;  msbs: dst=0 src0=0 src1=0 src2=0
	v_add_f32_e32 v83, v83, v85
	v_add_f32_e32 v81, v81, v101
	s_set_vgpr_msb 1                        ;  msbs: dst=0 src0=1 src1=0 src2=0
	v_fma_f32 v85, v32 /*v288*/, v176, -v87
	s_wait_loadcnt 0x3
	s_set_vgpr_msb 0                        ;  msbs: dst=0 src0=0 src1=0 src2=0
	v_mov_b32_e32 v112, v189
	v_pk_fma_f32 v[116:117], v[214:215], v[182:183], v[106:107] op_sel_hi:[1,0,1]
	v_add_f32_e32 v83, v83, v89
	s_set_vgpr_msb 1                        ;  msbs: dst=0 src0=1 src1=0 src2=0
	v_dual_fma_f32 v102, v34 /*v290*/, v178, -v93 :: v_dual_fma_f32 v104, v36 /*v292*/, v180, -v95
	s_set_vgpr_msb 0                        ;  msbs: dst=0 src0=0 src1=0 src2=0
	v_pk_fma_f32 v[106:107], v[214:215], v[182:183], v[106:107] neg_lo:[0,0,1] neg_hi:[0,0,1]
	s_set_vgpr_msb 1                        ;  msbs: dst=0 src0=1 src1=0 src2=0
	v_dual_fmac_f32 v105, v37 /*v293*/, v180 :: v_dual_ashrrev_i32 v87, 31, v86
	s_set_vgpr_msb 0                        ;  msbs: dst=0 src0=0 src1=0 src2=0
	v_dual_add_f32 v114, v83, v85 :: v_dual_mov_b32 v107, v117
	v_dual_ashrrev_i32 v83, 31, v82 :: v_dual_add_f32 v81, v81, v109
	v_ashrrev_i32_e32 v85, 31, v84
	s_set_vgpr_msb 1                        ;  msbs: dst=0 src0=1 src1=0 src2=0
	v_pk_mul_f32 v[108:109], v[40:41] /*v[296:297]*/, v[108:109] op_sel_hi:[1,0]
	s_set_vgpr_msb 0                        ;  msbs: dst=0 src0=0 src1=0 src2=0
	v_pk_mul_f32 v[110:111], v[218:219], v[186:187] op_sel:[1,1] op_sel_hi:[0,1]
	v_dual_ashrrev_i32 v89, 31, v88 :: v_dual_ashrrev_i32 v91, 31, v90
	v_dual_add_f32 v115, v81, v113 :: v_dual_ashrrev_i32 v81, 31, v80
	v_pk_fma_f32 v[116:117], v[216:217], v[184:185], v[108:109] op_sel_hi:[1,0,1]
	s_set_vgpr_msb 1                        ;  msbs: dst=0 src0=1 src1=0 src2=0
	v_pk_mul_f32 v[112:113], v[42:43] /*v[298:299]*/, v[112:113] op_sel_hi:[1,0]
	s_set_vgpr_msb 0                        ;  msbs: dst=0 src0=0 src1=0 src2=0
	v_pk_fma_f32 v[108:109], v[216:217], v[184:185], v[108:109] neg_lo:[0,0,1] neg_hi:[0,0,1]
	v_pk_add_f32 v[102:103], v[114:115], v[102:103]
	s_wait_loadcnt 0x2
	v_pk_mul_f32 v[114:115], v[230:231], v[190:191] op_sel:[1,1] op_sel_hi:[0,1]
	v_dual_mov_b32 v109, v117 :: v_dual_ashrrev_i32 v93, 31, v92
	v_ashrrev_i32_e32 v95, 31, v94
	v_pk_add_f32 v[102:103], v[102:103], v[104:105]
	v_pk_fma_f32 v[104:105], v[218:219], v[186:187], v[110:111] op_sel_hi:[1,0,1]
	v_dual_mov_b32 v104, v193 :: v_dual_ashrrev_i32 v97, 31, v96
	v_ashrrev_i32_e32 v99, 31, v98
	s_delay_alu instid0(VALU_DEP_4)
	v_pk_add_f32 v[102:103], v[102:103], v[106:107]
	v_pk_fma_f32 v[106:107], v[218:219], v[186:187], v[110:111] neg_lo:[0,0,1] neg_hi:[0,0,1]
	v_pk_fma_f32 v[110:111], v[220:221], v[188:189], v[112:113] op_sel_hi:[1,0,1]
	v_pk_fma_f32 v[112:113], v[220:221], v[188:189], v[112:113] neg_lo:[0,0,1] neg_hi:[0,0,1]
	v_ashrrev_i32_e32 v101, 31, v100
	v_pk_add_f32 v[102:103], v[102:103], v[108:109]
	v_pk_fma_f32 v[108:109], v[230:231], v[190:191], v[114:115] op_sel_hi:[1,0,1]
	v_mov_b32_e32 v107, v105
	s_set_vgpr_msb 1                        ;  msbs: dst=0 src0=1 src1=0 src2=0
	v_pk_mul_f32 v[104:105], v[44:45] /*v[300:301]*/, v[104:105] op_sel_hi:[1,0]
	s_set_vgpr_msb 0                        ;  msbs: dst=0 src0=0 src1=0 src2=0
	v_mov_b32_e32 v113, v111
	v_pk_fma_f32 v[110:111], v[230:231], v[190:191], v[114:115] neg_lo:[0,0,1] neg_hi:[0,0,1]
	v_mov_b32_e32 v111, v109
	v_pk_add_f32 v[102:103], v[102:103], v[106:107]
	v_pk_fma_f32 v[108:109], v[232:233], v[192:193], v[104:105] op_sel_hi:[1,0,1]
	s_wait_loadcnt 0x1
	v_pk_mul_f32 v[106:107], v[234:235], v[194:195] op_sel:[1,1] op_sel_hi:[0,1]
	v_mov_b32_e32 v108, v197
	v_pk_fma_f32 v[104:105], v[232:233], v[192:193], v[104:105] neg_lo:[0,0,1] neg_hi:[0,0,1]
	v_pk_add_f32 v[102:103], v[102:103], v[112:113]
	v_mov_b32_e32 v105, v109
	v_pk_fma_f32 v[112:113], v[234:235], v[194:195], v[106:107] op_sel_hi:[1,0,1]
	s_set_vgpr_msb 1                        ;  msbs: dst=0 src0=1 src1=0 src2=0
	v_pk_mul_f32 v[108:109], v[46:47] /*v[302:303]*/, v[108:109] op_sel_hi:[1,0]
	s_set_vgpr_msb 0                        ;  msbs: dst=0 src0=0 src1=0 src2=0
	v_pk_fma_f32 v[106:107], v[234:235], v[194:195], v[106:107] neg_lo:[0,0,1] neg_hi:[0,0,1]
	v_pk_add_f32 v[102:103], v[102:103], v[110:111]
	s_delay_alu instid0(VALU_DEP_1) | instskip(SKIP_3) | instid1(VALU_DEP_3)
	v_pk_add_f32 v[102:103], v[102:103], v[104:105]
	v_pk_fma_f32 v[104:105], v[236:237], v[196:197], v[108:109] op_sel_hi:[1,0,1]
	v_mov_b32_e32 v107, v113
	v_pk_fma_f32 v[108:109], v[236:237], v[196:197], v[108:109] neg_lo:[0,0,1] neg_hi:[0,0,1]
	v_mov_b32_e32 v109, v105
	s_delay_alu instid0(VALU_DEP_3) | instskip(NEXT) | instid1(VALU_DEP_1)
	v_pk_add_f32 v[102:103], v[102:103], v[106:107]
	v_pk_add_f32 v[102:103], v[102:103], v[108:109]
	s_wait_loadcnt 0x0
	s_set_vgpr_msb 1                        ;  msbs: dst=0 src0=1 src1=0 src2=0
	s_delay_alu instid0(VALU_DEP_1)
	v_pk_add_f32 v[102:103], v[38:39] /*v[294:295]*/, v[102:103] neg_lo:[0,1] neg_hi:[0,1]
	scratch_store_b64 off, v[102:103], off offset:8
	s_wait_xcnt 0x0
	v_cmpx_ne_u32_e32 0, v0
	s_set_vgpr_msb 0                        ;  msbs: dst=0 src0=0 src1=0 src2=0
	s_cbranch_execz .LBB113_313
; %bb.312:
	scratch_load_b64 v[102:103], off, off
	v_mov_b64_e32 v[104:105], 0
	scratch_store_b64 off, v[104:105], off
	s_wait_loadcnt 0x0
	ds_store_b64 v1, v[102:103]
.LBB113_313:
	s_wait_xcnt 0x0
	s_or_b32 exec_lo, exec_lo, s0
	s_wait_storecnt_dscnt 0x0
	s_barrier_signal -1
	s_barrier_wait -1
	s_clause 0xf
	scratch_load_b128 v[110:113], off, off offset:8
	scratch_load_b128 v[118:121], off, off offset:24
	;; [unrolled: 1-line block ×16, first 2 shown]
	v_mov_b32_e32 v104, 0
	s_clause 0x4
	scratch_load_b128 v[238:241], off, off offset:264
	scratch_load_b128 v[246:249], off, off offset:280
	;; [unrolled: 1-line block ×3, first 2 shown]
	s_set_vgpr_msb 64                       ;  msbs: dst=1 src0=0 src1=0 src2=0
	scratch_load_b128 v[6:9] /*v[262:265]*/, off, off offset:312
	s_set_vgpr_msb 0                        ;  msbs: dst=0 src0=0 src1=0 src2=0
	ds_load_2addr_b64 v[106:109], v104 offset0:51 offset1:52
	ds_load_2addr_b64 v[114:117], v104 offset0:53 offset1:54
	s_set_vgpr_msb 64                       ;  msbs: dst=1 src0=0 src1=0 src2=0
	scratch_load_b128 v[14:17] /*v[270:273]*/, off, off offset:328
	s_and_b32 vcc_lo, exec_lo, s12
	s_wait_loadcnt_dscnt 0x1401
	s_set_vgpr_msb 0                        ;  msbs: dst=0 src0=0 src1=0 src2=0
	v_dual_mul_f32 v0, v106, v111 :: v_dual_mul_f32 v1, v108, v113
	ds_load_2addr_b64 v[122:125], v104 offset0:55 offset1:56
	ds_load_2addr_b64 v[130:133], v104 offset0:57 offset1:58
	;; [unrolled: 1-line block ×4, first 2 shown]
	v_dual_fmac_f32 v0, v107, v110 :: v_dual_fmac_f32 v1, v109, v112
	ds_load_2addr_b64 v[154:157], v104 offset0:63 offset1:64
	ds_load_2addr_b64 v[162:165], v104 offset0:65 offset1:66
	;; [unrolled: 1-line block ×4, first 2 shown]
	v_add_f32_e32 v0, 0, v0
	ds_load_2addr_b64 v[186:189], v104 offset0:71 offset1:72
	ds_load_2addr_b64 v[194:197], v104 offset0:73 offset1:74
	ds_load_2addr_b64 v[202:205], v104 offset0:75 offset1:76
	ds_load_2addr_b64 v[210:213], v104 offset0:77 offset1:78
	s_wait_loadcnt_dscnt 0x130c
	v_dual_add_f32 v0, v0, v1 :: v_dual_mul_f32 v1, v114, v119
	ds_load_2addr_b64 v[218:221], v104 offset0:79 offset1:80
	ds_load_2addr_b64 v[226:229], v104 offset0:81 offset1:82
	;; [unrolled: 1-line block ×4, first 2 shown]
	v_fmac_f32_e32 v1, v115, v118
	ds_load_2addr_b64 v[250:253], v104 offset0:87 offset1:88
	s_set_vgpr_msb 64                       ;  msbs: dst=1 src0=0 src1=0 src2=0
	ds_load_2addr_b64 v[2:5] /*v[258:261]*/, v104 offset0:89 offset1:90
	ds_load_2addr_b64 v[10:13] /*v[266:269]*/, v104 offset0:91 offset1:92
	s_clause 0x3
	scratch_load_b128 v[18:21] /*v[274:277]*/, off, off offset:344
	scratch_load_b128 v[22:25] /*v[278:281]*/, off, off offset:360
	;; [unrolled: 1-line block ×3, first 2 shown]
	scratch_load_b64 v[32:33] /*v[288:289]*/, off, off offset:392
	s_set_vgpr_msb 0                        ;  msbs: dst=0 src0=0 src1=0 src2=0
	v_add_f32_e32 v0, v0, v1
	v_mul_f32_e32 v1, v116, v121
	v_mul_f32_e32 v102, v109, v113
	s_delay_alu instid0(VALU_DEP_2) | instskip(NEXT) | instid1(VALU_DEP_2)
	v_fmac_f32_e32 v1, v117, v120
	v_fma_f32 v102, v108, v112, -v102
	s_wait_loadcnt_dscnt 0x1612
	s_delay_alu instid0(VALU_DEP_2) | instskip(NEXT) | instid1(VALU_DEP_1)
	v_dual_add_f32 v0, v0, v1 :: v_dual_mul_f32 v1, v122, v127
	v_fmac_f32_e32 v1, v123, v126
	s_wait_loadcnt_dscnt 0x400
	s_set_vgpr_msb 5                        ;  msbs: dst=0 src0=1 src1=1 src2=0
	v_dual_mul_f32 v103, v4 /*v260*/, v9 /*v265*/ :: v_dual_mul_f32 v105, v11 /*v267*/, v15 /*v271*/
	s_set_vgpr_msb 0x45                     ;  msbs: dst=1 src0=1 src1=1 src2=0
	v_mul_f32_e32 v31 /*v287*/, v10 /*v266*/, v15 /*v271*/
	s_set_vgpr_msb 0                        ;  msbs: dst=0 src0=0 src1=0 src2=0
	v_add_f32_e32 v0, v0, v1
	v_mul_f32_e32 v1, v124, v129
	s_set_vgpr_msb 5                        ;  msbs: dst=0 src0=1 src1=1 src2=0
	v_fmac_f32_e32 v103, v5 /*v261*/, v8 /*v264*/
	s_set_vgpr_msb 0x45                     ;  msbs: dst=1 src0=1 src1=1 src2=0
	v_fma_f32 v30 /*v286*/, v10 /*v266*/, v14 /*v270*/, -v105
	v_fmac_f32_e32 v31 /*v287*/, v11 /*v267*/, v14 /*v270*/
	s_set_vgpr_msb 0                        ;  msbs: dst=0 src0=0 src1=0 src2=0
	v_fmac_f32_e32 v1, v125, v128
	s_delay_alu instid0(VALU_DEP_1) | instskip(NEXT) | instid1(VALU_DEP_1)
	v_dual_add_f32 v0, v0, v1 :: v_dual_mul_f32 v1, v130, v135
	v_fmac_f32_e32 v1, v131, v134
	s_delay_alu instid0(VALU_DEP_1) | instskip(SKIP_1) | instid1(VALU_DEP_1)
	v_add_f32_e32 v0, v0, v1
	v_mul_f32_e32 v1, v132, v137
	v_fmac_f32_e32 v1, v133, v136
	s_delay_alu instid0(VALU_DEP_1) | instskip(NEXT) | instid1(VALU_DEP_1)
	v_dual_add_f32 v0, v0, v1 :: v_dual_mul_f32 v1, v138, v143
	v_fmac_f32_e32 v1, v139, v142
	s_delay_alu instid0(VALU_DEP_1) | instskip(SKIP_1) | instid1(VALU_DEP_1)
	v_add_f32_e32 v0, v0, v1
	v_mul_f32_e32 v1, v140, v145
	;; [unrolled: 7-line block ×15, first 2 shown]
	v_fmac_f32_e32 v1, v245, v248
	s_delay_alu instid0(VALU_DEP_1) | instskip(NEXT) | instid1(VALU_DEP_1)
	v_dual_add_f32 v0, v0, v1 :: v_dual_mul_f32 v1, v250, v255
	v_fmac_f32_e32 v1, v251, v254
	s_delay_alu instid0(VALU_DEP_1) | instskip(SKIP_2) | instid1(VALU_DEP_1)
	v_add_f32_e32 v0, v0, v1
	s_set_vgpr_msb 4                        ;  msbs: dst=0 src0=0 src1=1 src2=0
	v_mul_f32_e32 v1, v252, v1 /*v257*/
	v_fmac_f32_e32 v1, v253, v0 /*v256*/
	s_set_vgpr_msb 0                        ;  msbs: dst=0 src0=0 src1=0 src2=0
	s_delay_alu instid0(VALU_DEP_1) | instskip(SKIP_2) | instid1(VALU_DEP_1)
	v_add_f32_e32 v0, v0, v1
	s_set_vgpr_msb 5                        ;  msbs: dst=0 src0=1 src1=1 src2=0
	v_mul_f32_e32 v1, v2 /*v258*/, v7 /*v263*/
	v_fmac_f32_e32 v1, v3 /*v259*/, v6 /*v262*/
	s_set_vgpr_msb 0                        ;  msbs: dst=0 src0=0 src1=0 src2=0
	s_delay_alu instid0(VALU_DEP_1) | instskip(NEXT) | instid1(VALU_DEP_1)
	v_dual_add_f32 v1, v0, v1 :: v_dual_mul_f32 v0, v107, v111
	v_fma_f32 v0, v106, v110, -v0
	s_delay_alu instid0(VALU_DEP_1) | instskip(NEXT) | instid1(VALU_DEP_1)
	v_add_f32_e32 v0, 0, v0
	v_dual_add_f32 v0, v0, v102 :: v_dual_mul_f32 v102, v115, v119
	s_delay_alu instid0(VALU_DEP_1) | instskip(NEXT) | instid1(VALU_DEP_1)
	v_fma_f32 v102, v114, v118, -v102
	v_dual_add_f32 v0, v0, v102 :: v_dual_mul_f32 v102, v117, v121
	s_delay_alu instid0(VALU_DEP_1)
	v_fma_f32 v102, v116, v120, -v102
	ds_load_2addr_b64 v[106:109], v104 offset0:93 offset1:94
	ds_load_2addr_b64 v[110:113], v104 offset0:95 offset1:96
	;; [unrolled: 1-line block ×3, first 2 shown]
	ds_load_b64 v[118:119], v104 offset:792
	s_set_vgpr_msb 1                        ;  msbs: dst=0 src0=1 src1=0 src2=0
	v_mov_b32_e32 v120, v17 /*v273*/
	s_set_vgpr_msb 0                        ;  msbs: dst=0 src0=0 src1=0 src2=0
	v_dual_add_f32 v0, v0, v102 :: v_dual_mul_f32 v102, v123, v127
	s_delay_alu instid0(VALU_DEP_1) | instskip(NEXT) | instid1(VALU_DEP_1)
	v_fma_f32 v102, v122, v126, -v102
	v_dual_add_f32 v0, v0, v102 :: v_dual_mul_f32 v102, v125, v129
	s_delay_alu instid0(VALU_DEP_1) | instskip(NEXT) | instid1(VALU_DEP_1)
	v_fma_f32 v102, v124, v128, -v102
	;; [unrolled: 3-line block ×33, first 2 shown]
	v_add_f32_e32 v0, v0, v102
	s_set_vgpr_msb 4                        ;  msbs: dst=0 src0=0 src1=1 src2=0
	v_mul_f32_e32 v102, v253, v1 /*v257*/
	s_delay_alu instid0(VALU_DEP_1) | instskip(SKIP_1) | instid1(VALU_DEP_1)
	v_fma_f32 v102, v252, v0 /*v256*/, -v102
	s_set_vgpr_msb 0                        ;  msbs: dst=0 src0=0 src1=0 src2=0
	v_add_f32_e32 v0, v0, v102
	s_set_vgpr_msb 5                        ;  msbs: dst=0 src0=1 src1=1 src2=0
	v_mul_f32_e32 v102, v3 /*v259*/, v7 /*v263*/
	s_delay_alu instid0(VALU_DEP_1) | instskip(SKIP_1) | instid1(VALU_DEP_1)
	v_fma_f32 v102, v2 /*v258*/, v6 /*v262*/, -v102
	s_set_vgpr_msb 0                        ;  msbs: dst=0 src0=0 src1=0 src2=0
	v_add_f32_e32 v0, v0, v102
	s_set_vgpr_msb 5                        ;  msbs: dst=0 src0=1 src1=1 src2=0
	v_mul_f32_e32 v102, v5 /*v261*/, v9 /*v265*/
	s_delay_alu instid0(VALU_DEP_1) | instskip(SKIP_1) | instid1(VALU_DEP_1)
	v_fma_f32 v102, v4 /*v260*/, v8 /*v264*/, -v102
	s_set_vgpr_msb 0                        ;  msbs: dst=0 src0=0 src1=0 src2=0
	v_pk_add_f32 v[0:1], v[0:1], v[102:103]
	s_set_vgpr_msb 1                        ;  msbs: dst=0 src0=1 src1=0 src2=0
	v_dual_mov_b32 v102, v13 /*v269*/ :: v_dual_mov_b32 v103, v12 /*v268*/
	s_set_vgpr_msb 4                        ;  msbs: dst=0 src0=0 src1=1 src2=0
	s_delay_alu instid0(VALU_DEP_2) | instskip(SKIP_1) | instid1(VALU_DEP_2)
	v_pk_add_f32 v[0:1], v[0:1], v[30:31] /*v[286:287]*/
	s_set_vgpr_msb 0                        ;  msbs: dst=0 src0=0 src1=0 src2=0
	v_pk_mul_f32 v[102:103], v[102:103], v[120:121] op_sel_hi:[1,0]
	s_set_vgpr_msb 5                        ;  msbs: dst=0 src0=1 src1=1 src2=0
	s_delay_alu instid0(VALU_DEP_1) | instskip(SKIP_2) | instid1(VALU_DEP_1)
	v_pk_fma_f32 v[120:121], v[12:13] /*v[268:269]*/, v[16:17] /*v[272:273]*/, v[102:103] neg_lo:[0,0,1] neg_hi:[0,0,1]
	v_pk_fma_f32 v[102:103], v[12:13] /*v[268:269]*/, v[16:17] /*v[272:273]*/, v[102:103] op_sel_hi:[1,0,1]
	s_set_vgpr_msb 4                        ;  msbs: dst=0 src0=0 src1=1 src2=0
	v_mov_b32_e32 v121, v103
	s_wait_loadcnt_dscnt 0x303
	v_pk_mul_f32 v[102:103], v[106:107], v[18:19] /*v[274:275]*/ op_sel:[1,1] op_sel_hi:[0,1]
	s_set_vgpr_msb 0                        ;  msbs: dst=0 src0=0 src1=0 src2=0
	s_delay_alu instid0(VALU_DEP_2) | instskip(SKIP_1) | instid1(VALU_DEP_2)
	v_pk_add_f32 v[0:1], v[0:1], v[120:121]
	s_set_vgpr_msb 4                        ;  msbs: dst=0 src0=0 src1=1 src2=0
	v_pk_fma_f32 v[120:121], v[106:107], v[18:19] /*v[274:275]*/, v[102:103] neg_lo:[0,0,1] neg_hi:[0,0,1]
	v_pk_fma_f32 v[102:103], v[106:107], v[18:19] /*v[274:275]*/, v[102:103] op_sel_hi:[1,0,1]
	v_mov_b32_e32 v102, v109
	s_set_vgpr_msb 1                        ;  msbs: dst=0 src0=1 src1=0 src2=0
	v_mov_b32_e32 v106, v21 /*v277*/
	s_set_vgpr_msb 0                        ;  msbs: dst=0 src0=0 src1=0 src2=0
	v_dual_mov_b32 v121, v103 :: v_dual_mov_b32 v103, v108
	s_delay_alu instid0(VALU_DEP_1) | instskip(NEXT) | instid1(VALU_DEP_2)
	v_pk_add_f32 v[0:1], v[0:1], v[120:121]
	v_pk_mul_f32 v[102:103], v[102:103], v[106:107] op_sel_hi:[1,0]
	s_set_vgpr_msb 4                        ;  msbs: dst=0 src0=0 src1=1 src2=0
	s_delay_alu instid0(VALU_DEP_1) | instskip(SKIP_1) | instid1(VALU_DEP_1)
	v_pk_fma_f32 v[106:107], v[108:109], v[20:21] /*v[276:277]*/, v[102:103] neg_lo:[0,0,1] neg_hi:[0,0,1]
	v_pk_fma_f32 v[102:103], v[108:109], v[20:21] /*v[276:277]*/, v[102:103] op_sel_hi:[1,0,1]
	v_mov_b32_e32 v107, v103
	s_wait_loadcnt_dscnt 0x202
	v_pk_mul_f32 v[102:103], v[110:111], v[22:23] /*v[278:279]*/ op_sel:[1,1] op_sel_hi:[0,1]
	s_set_vgpr_msb 0                        ;  msbs: dst=0 src0=0 src1=0 src2=0
	s_delay_alu instid0(VALU_DEP_2) | instskip(SKIP_1) | instid1(VALU_DEP_2)
	v_pk_add_f32 v[0:1], v[0:1], v[106:107]
	s_set_vgpr_msb 4                        ;  msbs: dst=0 src0=0 src1=1 src2=0
	v_pk_fma_f32 v[106:107], v[110:111], v[22:23] /*v[278:279]*/, v[102:103] neg_lo:[0,0,1] neg_hi:[0,0,1]
	v_pk_fma_f32 v[102:103], v[110:111], v[22:23] /*v[278:279]*/, v[102:103] op_sel_hi:[1,0,1]
	s_delay_alu instid0(VALU_DEP_1) | instskip(SKIP_2) | instid1(VALU_DEP_2)
	v_dual_mov_b32 v102, v113 :: v_dual_mov_b32 v107, v103
	v_mov_b32_e32 v103, v112
	s_set_vgpr_msb 0                        ;  msbs: dst=0 src0=0 src1=0 src2=0
	v_pk_add_f32 v[0:1], v[0:1], v[106:107]
	s_set_vgpr_msb 1                        ;  msbs: dst=0 src0=1 src1=0 src2=0
	v_mov_b32_e32 v106, v25 /*v281*/
	s_set_vgpr_msb 0                        ;  msbs: dst=0 src0=0 src1=0 src2=0
	s_delay_alu instid0(VALU_DEP_1) | instskip(SKIP_1) | instid1(VALU_DEP_1)
	v_pk_mul_f32 v[102:103], v[102:103], v[106:107] op_sel_hi:[1,0]
	s_set_vgpr_msb 4                        ;  msbs: dst=0 src0=0 src1=1 src2=0
	v_pk_fma_f32 v[106:107], v[112:113], v[24:25] /*v[280:281]*/, v[102:103] neg_lo:[0,0,1] neg_hi:[0,0,1]
	v_pk_fma_f32 v[102:103], v[112:113], v[24:25] /*v[280:281]*/, v[102:103] op_sel_hi:[1,0,1]
	s_delay_alu instid0(VALU_DEP_1) | instskip(SKIP_3) | instid1(VALU_DEP_2)
	v_mov_b32_e32 v107, v103
	s_wait_loadcnt_dscnt 0x101
	v_pk_mul_f32 v[102:103], v[114:115], v[26:27] /*v[282:283]*/ op_sel:[1,1] op_sel_hi:[0,1]
	s_set_vgpr_msb 0                        ;  msbs: dst=0 src0=0 src1=0 src2=0
	v_pk_add_f32 v[0:1], v[0:1], v[106:107]
	s_set_vgpr_msb 4                        ;  msbs: dst=0 src0=0 src1=1 src2=0
	s_delay_alu instid0(VALU_DEP_2) | instskip(SKIP_1) | instid1(VALU_DEP_1)
	v_pk_fma_f32 v[106:107], v[114:115], v[26:27] /*v[282:283]*/, v[102:103] neg_lo:[0,0,1] neg_hi:[0,0,1]
	v_pk_fma_f32 v[102:103], v[114:115], v[26:27] /*v[282:283]*/, v[102:103] op_sel_hi:[1,0,1]
	v_dual_mov_b32 v102, v117 :: v_dual_mov_b32 v107, v103
	v_mov_b32_e32 v103, v116
	s_set_vgpr_msb 0                        ;  msbs: dst=0 src0=0 src1=0 src2=0
	s_delay_alu instid0(VALU_DEP_2) | instskip(SKIP_3) | instid1(VALU_DEP_1)
	v_pk_add_f32 v[0:1], v[0:1], v[106:107]
	s_set_vgpr_msb 1                        ;  msbs: dst=0 src0=1 src1=0 src2=0
	v_mov_b32_e32 v106, v29 /*v285*/
	s_set_vgpr_msb 0                        ;  msbs: dst=0 src0=0 src1=0 src2=0
	v_pk_mul_f32 v[102:103], v[102:103], v[106:107] op_sel_hi:[1,0]
	s_set_vgpr_msb 4                        ;  msbs: dst=0 src0=0 src1=1 src2=0
	s_delay_alu instid0(VALU_DEP_1) | instskip(SKIP_1) | instid1(VALU_DEP_1)
	v_pk_fma_f32 v[106:107], v[116:117], v[28:29] /*v[284:285]*/, v[102:103] neg_lo:[0,0,1] neg_hi:[0,0,1]
	v_pk_fma_f32 v[102:103], v[116:117], v[28:29] /*v[284:285]*/, v[102:103] op_sel_hi:[1,0,1]
	v_mov_b32_e32 v107, v103
	s_wait_loadcnt_dscnt 0x0
	v_pk_mul_f32 v[102:103], v[118:119], v[32:33] /*v[288:289]*/ op_sel:[1,1] op_sel_hi:[0,1]
	s_set_vgpr_msb 0                        ;  msbs: dst=0 src0=0 src1=0 src2=0
	s_delay_alu instid0(VALU_DEP_2) | instskip(SKIP_1) | instid1(VALU_DEP_2)
	v_pk_add_f32 v[0:1], v[0:1], v[106:107]
	s_set_vgpr_msb 4                        ;  msbs: dst=0 src0=0 src1=1 src2=0
	v_pk_fma_f32 v[106:107], v[118:119], v[32:33] /*v[288:289]*/, v[102:103] neg_lo:[0,0,1] neg_hi:[0,0,1]
	v_pk_fma_f32 v[102:103], v[118:119], v[32:33] /*v[288:289]*/, v[102:103] op_sel_hi:[1,0,1]
	s_delay_alu instid0(VALU_DEP_1) | instskip(SKIP_4) | instid1(VALU_DEP_1)
	v_mov_b32_e32 v107, v103
	scratch_load_b64 v[102:103], off, off
	s_set_vgpr_msb 0                        ;  msbs: dst=0 src0=0 src1=0 src2=0
	v_pk_add_f32 v[0:1], v[0:1], v[106:107]
	s_wait_loadcnt 0x0
	v_pk_add_f32 v[102:103], v[102:103], v[0:1] neg_lo:[0,1] neg_hi:[0,1]
	scratch_store_b64 off, v[102:103], off
	s_cbranch_vccz .LBB113_412
; %bb.314:
	global_load_b32 v0, v104, s[8:9] offset:192
	s_wait_loadcnt 0x0
	v_cmp_ne_u32_e32 vcc_lo, 49, v0
	s_cbranch_vccz .LBB113_316
; %bb.315:
	v_lshlrev_b32_e32 v0, 3, v0
	s_wait_xcnt 0x0
	s_delay_alu instid0(VALU_DEP_1)
	v_mov_b32_e32 v104, v0
	scratch_load_b64 v[0:1], v104, off offset:-8
	scratch_load_b64 v[102:103], off, off offset:384
	s_wait_loadcnt 0x1
	scratch_store_b64 off, v[0:1], off offset:384
	s_wait_loadcnt 0x0
	scratch_store_b64 v104, v[102:103], off offset:-8
.LBB113_316:
	s_wait_xcnt 0x1
	v_mov_b32_e32 v0, 0
	global_load_b32 v1, v0, s[8:9] offset:188
	s_wait_loadcnt 0x0
	v_cmp_eq_u32_e32 vcc_lo, 48, v1
	s_cbranch_vccnz .LBB113_318
; %bb.317:
	v_lshlrev_b32_e32 v1, 3, v1
	scratch_load_b64 v[102:103], v1, off offset:-8
	scratch_load_b64 v[104:105], off, off offset:376
	s_wait_loadcnt 0x1
	scratch_store_b64 off, v[102:103], off offset:376
	s_wait_loadcnt 0x0
	scratch_store_b64 v1, v[104:105], off offset:-8
.LBB113_318:
	global_load_b32 v0, v0, s[8:9] offset:184
	s_wait_loadcnt 0x0
	v_cmp_eq_u32_e32 vcc_lo, 47, v0
	s_cbranch_vccnz .LBB113_320
; %bb.319:
	s_wait_xcnt 0x0
	v_lshlrev_b32_e32 v0, 3, v0
	s_delay_alu instid0(VALU_DEP_1)
	v_mov_b32_e32 v104, v0
	scratch_load_b64 v[0:1], v104, off offset:-8
	scratch_load_b64 v[102:103], off, off offset:368
	s_wait_loadcnt 0x1
	scratch_store_b64 off, v[0:1], off offset:368
	s_wait_loadcnt 0x0
	scratch_store_b64 v104, v[102:103], off offset:-8
.LBB113_320:
	s_wait_xcnt 0x0
	v_mov_b32_e32 v0, 0
	global_load_b32 v1, v0, s[8:9] offset:180
	s_wait_loadcnt 0x0
	v_cmp_eq_u32_e32 vcc_lo, 46, v1
	s_cbranch_vccnz .LBB113_322
; %bb.321:
	v_lshlrev_b32_e32 v1, 3, v1
	scratch_load_b64 v[102:103], v1, off offset:-8
	scratch_load_b64 v[104:105], off, off offset:360
	s_wait_loadcnt 0x1
	scratch_store_b64 off, v[102:103], off offset:360
	s_wait_loadcnt 0x0
	scratch_store_b64 v1, v[104:105], off offset:-8
.LBB113_322:
	global_load_b32 v0, v0, s[8:9] offset:176
	s_wait_loadcnt 0x0
	v_cmp_eq_u32_e32 vcc_lo, 45, v0
	s_cbranch_vccnz .LBB113_324
; %bb.323:
	s_wait_xcnt 0x0
	v_lshlrev_b32_e32 v0, 3, v0
	s_delay_alu instid0(VALU_DEP_1)
	v_mov_b32_e32 v104, v0
	scratch_load_b64 v[0:1], v104, off offset:-8
	scratch_load_b64 v[102:103], off, off offset:352
	s_wait_loadcnt 0x1
	scratch_store_b64 off, v[0:1], off offset:352
	s_wait_loadcnt 0x0
	scratch_store_b64 v104, v[102:103], off offset:-8
.LBB113_324:
	s_wait_xcnt 0x0
	v_mov_b32_e32 v0, 0
	global_load_b32 v1, v0, s[8:9] offset:172
	s_wait_loadcnt 0x0
	v_cmp_eq_u32_e32 vcc_lo, 44, v1
	s_cbranch_vccnz .LBB113_326
; %bb.325:
	v_lshlrev_b32_e32 v1, 3, v1
	scratch_load_b64 v[102:103], v1, off offset:-8
	scratch_load_b64 v[104:105], off, off offset:344
	s_wait_loadcnt 0x1
	scratch_store_b64 off, v[102:103], off offset:344
	s_wait_loadcnt 0x0
	scratch_store_b64 v1, v[104:105], off offset:-8
.LBB113_326:
	global_load_b32 v0, v0, s[8:9] offset:168
	s_wait_loadcnt 0x0
	v_cmp_eq_u32_e32 vcc_lo, 43, v0
	s_cbranch_vccnz .LBB113_328
; %bb.327:
	s_wait_xcnt 0x0
	v_lshlrev_b32_e32 v0, 3, v0
	s_delay_alu instid0(VALU_DEP_1)
	v_mov_b32_e32 v104, v0
	scratch_load_b64 v[0:1], v104, off offset:-8
	scratch_load_b64 v[102:103], off, off offset:336
	s_wait_loadcnt 0x1
	scratch_store_b64 off, v[0:1], off offset:336
	s_wait_loadcnt 0x0
	scratch_store_b64 v104, v[102:103], off offset:-8
.LBB113_328:
	s_wait_xcnt 0x0
	v_mov_b32_e32 v0, 0
	global_load_b32 v1, v0, s[8:9] offset:164
	s_wait_loadcnt 0x0
	v_cmp_eq_u32_e32 vcc_lo, 42, v1
	s_cbranch_vccnz .LBB113_330
; %bb.329:
	v_lshlrev_b32_e32 v1, 3, v1
	scratch_load_b64 v[102:103], v1, off offset:-8
	scratch_load_b64 v[104:105], off, off offset:328
	s_wait_loadcnt 0x1
	scratch_store_b64 off, v[102:103], off offset:328
	s_wait_loadcnt 0x0
	scratch_store_b64 v1, v[104:105], off offset:-8
.LBB113_330:
	global_load_b32 v0, v0, s[8:9] offset:160
	s_wait_loadcnt 0x0
	v_cmp_eq_u32_e32 vcc_lo, 41, v0
	s_cbranch_vccnz .LBB113_332
; %bb.331:
	s_wait_xcnt 0x0
	v_lshlrev_b32_e32 v0, 3, v0
	s_delay_alu instid0(VALU_DEP_1)
	v_mov_b32_e32 v104, v0
	scratch_load_b64 v[0:1], v104, off offset:-8
	scratch_load_b64 v[102:103], off, off offset:320
	s_wait_loadcnt 0x1
	scratch_store_b64 off, v[0:1], off offset:320
	s_wait_loadcnt 0x0
	scratch_store_b64 v104, v[102:103], off offset:-8
.LBB113_332:
	s_wait_xcnt 0x0
	v_mov_b32_e32 v0, 0
	global_load_b32 v1, v0, s[8:9] offset:156
	s_wait_loadcnt 0x0
	v_cmp_eq_u32_e32 vcc_lo, 40, v1
	s_cbranch_vccnz .LBB113_334
; %bb.333:
	v_lshlrev_b32_e32 v1, 3, v1
	scratch_load_b64 v[102:103], v1, off offset:-8
	scratch_load_b64 v[104:105], off, off offset:312
	s_wait_loadcnt 0x1
	scratch_store_b64 off, v[102:103], off offset:312
	s_wait_loadcnt 0x0
	scratch_store_b64 v1, v[104:105], off offset:-8
.LBB113_334:
	global_load_b32 v0, v0, s[8:9] offset:152
	s_wait_loadcnt 0x0
	v_cmp_eq_u32_e32 vcc_lo, 39, v0
	s_cbranch_vccnz .LBB113_336
; %bb.335:
	s_wait_xcnt 0x0
	v_lshlrev_b32_e32 v0, 3, v0
	s_delay_alu instid0(VALU_DEP_1)
	v_mov_b32_e32 v104, v0
	scratch_load_b64 v[0:1], v104, off offset:-8
	scratch_load_b64 v[102:103], off, off offset:304
	s_wait_loadcnt 0x1
	scratch_store_b64 off, v[0:1], off offset:304
	s_wait_loadcnt 0x0
	scratch_store_b64 v104, v[102:103], off offset:-8
.LBB113_336:
	s_wait_xcnt 0x0
	v_mov_b32_e32 v0, 0
	global_load_b32 v1, v0, s[8:9] offset:148
	s_wait_loadcnt 0x0
	v_cmp_eq_u32_e32 vcc_lo, 38, v1
	s_cbranch_vccnz .LBB113_338
; %bb.337:
	v_lshlrev_b32_e32 v1, 3, v1
	scratch_load_b64 v[102:103], v1, off offset:-8
	scratch_load_b64 v[104:105], off, off offset:296
	s_wait_loadcnt 0x1
	scratch_store_b64 off, v[102:103], off offset:296
	s_wait_loadcnt 0x0
	scratch_store_b64 v1, v[104:105], off offset:-8
.LBB113_338:
	global_load_b32 v0, v0, s[8:9] offset:144
	s_wait_loadcnt 0x0
	v_cmp_eq_u32_e32 vcc_lo, 37, v0
	s_cbranch_vccnz .LBB113_340
; %bb.339:
	s_wait_xcnt 0x0
	v_lshlrev_b32_e32 v0, 3, v0
	s_delay_alu instid0(VALU_DEP_1)
	v_mov_b32_e32 v104, v0
	scratch_load_b64 v[0:1], v104, off offset:-8
	scratch_load_b64 v[102:103], off, off offset:288
	s_wait_loadcnt 0x1
	scratch_store_b64 off, v[0:1], off offset:288
	s_wait_loadcnt 0x0
	scratch_store_b64 v104, v[102:103], off offset:-8
.LBB113_340:
	s_wait_xcnt 0x0
	v_mov_b32_e32 v0, 0
	global_load_b32 v1, v0, s[8:9] offset:140
	s_wait_loadcnt 0x0
	v_cmp_eq_u32_e32 vcc_lo, 36, v1
	s_cbranch_vccnz .LBB113_342
; %bb.341:
	v_lshlrev_b32_e32 v1, 3, v1
	scratch_load_b64 v[102:103], v1, off offset:-8
	scratch_load_b64 v[104:105], off, off offset:280
	s_wait_loadcnt 0x1
	scratch_store_b64 off, v[102:103], off offset:280
	s_wait_loadcnt 0x0
	scratch_store_b64 v1, v[104:105], off offset:-8
.LBB113_342:
	global_load_b32 v0, v0, s[8:9] offset:136
	s_wait_loadcnt 0x0
	v_cmp_eq_u32_e32 vcc_lo, 35, v0
	s_cbranch_vccnz .LBB113_344
; %bb.343:
	s_wait_xcnt 0x0
	v_lshlrev_b32_e32 v0, 3, v0
	s_delay_alu instid0(VALU_DEP_1)
	v_mov_b32_e32 v104, v0
	scratch_load_b64 v[0:1], v104, off offset:-8
	scratch_load_b64 v[102:103], off, off offset:272
	s_wait_loadcnt 0x1
	scratch_store_b64 off, v[0:1], off offset:272
	s_wait_loadcnt 0x0
	scratch_store_b64 v104, v[102:103], off offset:-8
.LBB113_344:
	s_wait_xcnt 0x0
	v_mov_b32_e32 v0, 0
	global_load_b32 v1, v0, s[8:9] offset:132
	s_wait_loadcnt 0x0
	v_cmp_eq_u32_e32 vcc_lo, 34, v1
	s_cbranch_vccnz .LBB113_346
; %bb.345:
	v_lshlrev_b32_e32 v1, 3, v1
	scratch_load_b64 v[102:103], v1, off offset:-8
	scratch_load_b64 v[104:105], off, off offset:264
	s_wait_loadcnt 0x1
	scratch_store_b64 off, v[102:103], off offset:264
	s_wait_loadcnt 0x0
	scratch_store_b64 v1, v[104:105], off offset:-8
.LBB113_346:
	global_load_b32 v0, v0, s[8:9] offset:128
	s_wait_loadcnt 0x0
	v_cmp_eq_u32_e32 vcc_lo, 33, v0
	s_cbranch_vccnz .LBB113_348
; %bb.347:
	s_wait_xcnt 0x0
	v_lshlrev_b32_e32 v0, 3, v0
	s_delay_alu instid0(VALU_DEP_1)
	v_mov_b32_e32 v104, v0
	scratch_load_b64 v[0:1], v104, off offset:-8
	scratch_load_b64 v[102:103], off, off offset:256
	s_wait_loadcnt 0x1
	scratch_store_b64 off, v[0:1], off offset:256
	s_wait_loadcnt 0x0
	scratch_store_b64 v104, v[102:103], off offset:-8
.LBB113_348:
	s_wait_xcnt 0x0
	v_mov_b32_e32 v0, 0
	global_load_b32 v1, v0, s[8:9] offset:124
	s_wait_loadcnt 0x0
	v_cmp_eq_u32_e32 vcc_lo, 32, v1
	s_cbranch_vccnz .LBB113_350
; %bb.349:
	v_lshlrev_b32_e32 v1, 3, v1
	scratch_load_b64 v[102:103], v1, off offset:-8
	scratch_load_b64 v[104:105], off, off offset:248
	s_wait_loadcnt 0x1
	scratch_store_b64 off, v[102:103], off offset:248
	s_wait_loadcnt 0x0
	scratch_store_b64 v1, v[104:105], off offset:-8
.LBB113_350:
	global_load_b32 v0, v0, s[8:9] offset:120
	s_wait_loadcnt 0x0
	v_cmp_eq_u32_e32 vcc_lo, 31, v0
	s_cbranch_vccnz .LBB113_352
; %bb.351:
	s_wait_xcnt 0x0
	v_lshlrev_b32_e32 v0, 3, v0
	s_delay_alu instid0(VALU_DEP_1)
	v_mov_b32_e32 v104, v0
	scratch_load_b64 v[0:1], v104, off offset:-8
	scratch_load_b64 v[102:103], off, off offset:240
	s_wait_loadcnt 0x1
	scratch_store_b64 off, v[0:1], off offset:240
	s_wait_loadcnt 0x0
	scratch_store_b64 v104, v[102:103], off offset:-8
.LBB113_352:
	s_wait_xcnt 0x0
	v_mov_b32_e32 v0, 0
	global_load_b32 v1, v0, s[8:9] offset:116
	s_wait_loadcnt 0x0
	v_cmp_eq_u32_e32 vcc_lo, 30, v1
	s_cbranch_vccnz .LBB113_354
; %bb.353:
	v_lshlrev_b32_e32 v1, 3, v1
	scratch_load_b64 v[102:103], v1, off offset:-8
	scratch_load_b64 v[104:105], off, off offset:232
	s_wait_loadcnt 0x1
	scratch_store_b64 off, v[102:103], off offset:232
	s_wait_loadcnt 0x0
	scratch_store_b64 v1, v[104:105], off offset:-8
.LBB113_354:
	global_load_b32 v0, v0, s[8:9] offset:112
	s_wait_loadcnt 0x0
	v_cmp_eq_u32_e32 vcc_lo, 29, v0
	s_cbranch_vccnz .LBB113_356
; %bb.355:
	s_wait_xcnt 0x0
	v_lshlrev_b32_e32 v0, 3, v0
	s_delay_alu instid0(VALU_DEP_1)
	v_mov_b32_e32 v104, v0
	scratch_load_b64 v[0:1], v104, off offset:-8
	scratch_load_b64 v[102:103], off, off offset:224
	s_wait_loadcnt 0x1
	scratch_store_b64 off, v[0:1], off offset:224
	s_wait_loadcnt 0x0
	scratch_store_b64 v104, v[102:103], off offset:-8
.LBB113_356:
	s_wait_xcnt 0x0
	v_mov_b32_e32 v0, 0
	global_load_b32 v1, v0, s[8:9] offset:108
	s_wait_loadcnt 0x0
	v_cmp_eq_u32_e32 vcc_lo, 28, v1
	s_cbranch_vccnz .LBB113_358
; %bb.357:
	v_lshlrev_b32_e32 v1, 3, v1
	scratch_load_b64 v[102:103], v1, off offset:-8
	scratch_load_b64 v[104:105], off, off offset:216
	s_wait_loadcnt 0x1
	scratch_store_b64 off, v[102:103], off offset:216
	s_wait_loadcnt 0x0
	scratch_store_b64 v1, v[104:105], off offset:-8
.LBB113_358:
	global_load_b32 v0, v0, s[8:9] offset:104
	s_wait_loadcnt 0x0
	v_cmp_eq_u32_e32 vcc_lo, 27, v0
	s_cbranch_vccnz .LBB113_360
; %bb.359:
	s_wait_xcnt 0x0
	v_lshlrev_b32_e32 v0, 3, v0
	s_delay_alu instid0(VALU_DEP_1)
	v_mov_b32_e32 v104, v0
	scratch_load_b64 v[0:1], v104, off offset:-8
	scratch_load_b64 v[102:103], off, off offset:208
	s_wait_loadcnt 0x1
	scratch_store_b64 off, v[0:1], off offset:208
	s_wait_loadcnt 0x0
	scratch_store_b64 v104, v[102:103], off offset:-8
.LBB113_360:
	s_wait_xcnt 0x0
	v_mov_b32_e32 v0, 0
	global_load_b32 v1, v0, s[8:9] offset:100
	s_wait_loadcnt 0x0
	v_cmp_eq_u32_e32 vcc_lo, 26, v1
	s_cbranch_vccnz .LBB113_362
; %bb.361:
	v_lshlrev_b32_e32 v1, 3, v1
	scratch_load_b64 v[102:103], v1, off offset:-8
	scratch_load_b64 v[104:105], off, off offset:200
	s_wait_loadcnt 0x1
	scratch_store_b64 off, v[102:103], off offset:200
	s_wait_loadcnt 0x0
	scratch_store_b64 v1, v[104:105], off offset:-8
.LBB113_362:
	global_load_b32 v0, v0, s[8:9] offset:96
	s_wait_loadcnt 0x0
	v_cmp_eq_u32_e32 vcc_lo, 25, v0
	s_cbranch_vccnz .LBB113_364
; %bb.363:
	s_wait_xcnt 0x0
	v_lshlrev_b32_e32 v0, 3, v0
	s_delay_alu instid0(VALU_DEP_1)
	v_mov_b32_e32 v104, v0
	scratch_load_b64 v[0:1], v104, off offset:-8
	scratch_load_b64 v[102:103], off, off offset:192
	s_wait_loadcnt 0x1
	scratch_store_b64 off, v[0:1], off offset:192
	s_wait_loadcnt 0x0
	scratch_store_b64 v104, v[102:103], off offset:-8
.LBB113_364:
	s_wait_xcnt 0x0
	v_mov_b32_e32 v0, 0
	global_load_b32 v1, v0, s[8:9] offset:92
	s_wait_loadcnt 0x0
	v_cmp_eq_u32_e32 vcc_lo, 24, v1
	s_cbranch_vccnz .LBB113_366
; %bb.365:
	v_lshlrev_b32_e32 v1, 3, v1
	scratch_load_b64 v[102:103], v1, off offset:-8
	scratch_load_b64 v[104:105], off, off offset:184
	s_wait_loadcnt 0x1
	scratch_store_b64 off, v[102:103], off offset:184
	s_wait_loadcnt 0x0
	scratch_store_b64 v1, v[104:105], off offset:-8
.LBB113_366:
	global_load_b32 v0, v0, s[8:9] offset:88
	s_wait_loadcnt 0x0
	v_cmp_eq_u32_e32 vcc_lo, 23, v0
	s_cbranch_vccnz .LBB113_368
; %bb.367:
	s_wait_xcnt 0x0
	v_lshlrev_b32_e32 v0, 3, v0
	s_delay_alu instid0(VALU_DEP_1)
	v_mov_b32_e32 v104, v0
	scratch_load_b64 v[0:1], v104, off offset:-8
	scratch_load_b64 v[102:103], off, off offset:176
	s_wait_loadcnt 0x1
	scratch_store_b64 off, v[0:1], off offset:176
	s_wait_loadcnt 0x0
	scratch_store_b64 v104, v[102:103], off offset:-8
.LBB113_368:
	s_wait_xcnt 0x0
	v_mov_b32_e32 v0, 0
	global_load_b32 v1, v0, s[8:9] offset:84
	s_wait_loadcnt 0x0
	v_cmp_eq_u32_e32 vcc_lo, 22, v1
	s_cbranch_vccnz .LBB113_370
; %bb.369:
	v_lshlrev_b32_e32 v1, 3, v1
	scratch_load_b64 v[102:103], v1, off offset:-8
	scratch_load_b64 v[104:105], off, off offset:168
	s_wait_loadcnt 0x1
	scratch_store_b64 off, v[102:103], off offset:168
	s_wait_loadcnt 0x0
	scratch_store_b64 v1, v[104:105], off offset:-8
.LBB113_370:
	global_load_b32 v0, v0, s[8:9] offset:80
	s_wait_loadcnt 0x0
	v_cmp_eq_u32_e32 vcc_lo, 21, v0
	s_cbranch_vccnz .LBB113_372
; %bb.371:
	s_wait_xcnt 0x0
	v_lshlrev_b32_e32 v0, 3, v0
	s_delay_alu instid0(VALU_DEP_1)
	v_mov_b32_e32 v104, v0
	scratch_load_b64 v[0:1], v104, off offset:-8
	scratch_load_b64 v[102:103], off, off offset:160
	s_wait_loadcnt 0x1
	scratch_store_b64 off, v[0:1], off offset:160
	s_wait_loadcnt 0x0
	scratch_store_b64 v104, v[102:103], off offset:-8
.LBB113_372:
	s_wait_xcnt 0x0
	v_mov_b32_e32 v0, 0
	global_load_b32 v1, v0, s[8:9] offset:76
	s_wait_loadcnt 0x0
	v_cmp_eq_u32_e32 vcc_lo, 20, v1
	s_cbranch_vccnz .LBB113_374
; %bb.373:
	v_lshlrev_b32_e32 v1, 3, v1
	scratch_load_b64 v[102:103], v1, off offset:-8
	scratch_load_b64 v[104:105], off, off offset:152
	s_wait_loadcnt 0x1
	scratch_store_b64 off, v[102:103], off offset:152
	s_wait_loadcnt 0x0
	scratch_store_b64 v1, v[104:105], off offset:-8
.LBB113_374:
	global_load_b32 v0, v0, s[8:9] offset:72
	s_wait_loadcnt 0x0
	v_cmp_eq_u32_e32 vcc_lo, 19, v0
	s_cbranch_vccnz .LBB113_376
; %bb.375:
	s_wait_xcnt 0x0
	v_lshlrev_b32_e32 v0, 3, v0
	s_delay_alu instid0(VALU_DEP_1)
	v_mov_b32_e32 v104, v0
	scratch_load_b64 v[0:1], v104, off offset:-8
	scratch_load_b64 v[102:103], off, off offset:144
	s_wait_loadcnt 0x1
	scratch_store_b64 off, v[0:1], off offset:144
	s_wait_loadcnt 0x0
	scratch_store_b64 v104, v[102:103], off offset:-8
.LBB113_376:
	s_wait_xcnt 0x0
	v_mov_b32_e32 v0, 0
	global_load_b32 v1, v0, s[8:9] offset:68
	s_wait_loadcnt 0x0
	v_cmp_eq_u32_e32 vcc_lo, 18, v1
	s_cbranch_vccnz .LBB113_378
; %bb.377:
	v_lshlrev_b32_e32 v1, 3, v1
	scratch_load_b64 v[102:103], v1, off offset:-8
	scratch_load_b64 v[104:105], off, off offset:136
	s_wait_loadcnt 0x1
	scratch_store_b64 off, v[102:103], off offset:136
	s_wait_loadcnt 0x0
	scratch_store_b64 v1, v[104:105], off offset:-8
.LBB113_378:
	global_load_b32 v0, v0, s[8:9] offset:64
	s_wait_loadcnt 0x0
	v_cmp_eq_u32_e32 vcc_lo, 17, v0
	s_cbranch_vccnz .LBB113_380
; %bb.379:
	s_wait_xcnt 0x0
	v_lshlrev_b32_e32 v0, 3, v0
	s_delay_alu instid0(VALU_DEP_1)
	v_mov_b32_e32 v104, v0
	scratch_load_b64 v[0:1], v104, off offset:-8
	scratch_load_b64 v[102:103], off, off offset:128
	s_wait_loadcnt 0x1
	scratch_store_b64 off, v[0:1], off offset:128
	s_wait_loadcnt 0x0
	scratch_store_b64 v104, v[102:103], off offset:-8
.LBB113_380:
	s_wait_xcnt 0x0
	v_mov_b32_e32 v0, 0
	global_load_b32 v1, v0, s[8:9] offset:60
	s_wait_loadcnt 0x0
	v_cmp_eq_u32_e32 vcc_lo, 16, v1
	s_cbranch_vccnz .LBB113_382
; %bb.381:
	v_lshlrev_b32_e32 v1, 3, v1
	scratch_load_b64 v[102:103], v1, off offset:-8
	scratch_load_b64 v[104:105], off, off offset:120
	s_wait_loadcnt 0x1
	scratch_store_b64 off, v[102:103], off offset:120
	s_wait_loadcnt 0x0
	scratch_store_b64 v1, v[104:105], off offset:-8
.LBB113_382:
	global_load_b32 v0, v0, s[8:9] offset:56
	s_wait_loadcnt 0x0
	v_cmp_eq_u32_e32 vcc_lo, 15, v0
	s_cbranch_vccnz .LBB113_384
; %bb.383:
	s_wait_xcnt 0x0
	v_lshlrev_b32_e32 v0, 3, v0
	s_delay_alu instid0(VALU_DEP_1)
	v_mov_b32_e32 v104, v0
	scratch_load_b64 v[0:1], v104, off offset:-8
	scratch_load_b64 v[102:103], off, off offset:112
	s_wait_loadcnt 0x1
	scratch_store_b64 off, v[0:1], off offset:112
	s_wait_loadcnt 0x0
	scratch_store_b64 v104, v[102:103], off offset:-8
.LBB113_384:
	s_wait_xcnt 0x0
	v_mov_b32_e32 v0, 0
	global_load_b32 v1, v0, s[8:9] offset:52
	s_wait_loadcnt 0x0
	v_cmp_eq_u32_e32 vcc_lo, 14, v1
	s_cbranch_vccnz .LBB113_386
; %bb.385:
	v_lshlrev_b32_e32 v1, 3, v1
	scratch_load_b64 v[102:103], v1, off offset:-8
	scratch_load_b64 v[104:105], off, off offset:104
	s_wait_loadcnt 0x1
	scratch_store_b64 off, v[102:103], off offset:104
	s_wait_loadcnt 0x0
	scratch_store_b64 v1, v[104:105], off offset:-8
.LBB113_386:
	global_load_b32 v0, v0, s[8:9] offset:48
	s_wait_loadcnt 0x0
	v_cmp_eq_u32_e32 vcc_lo, 13, v0
	s_cbranch_vccnz .LBB113_388
; %bb.387:
	s_wait_xcnt 0x0
	v_lshlrev_b32_e32 v0, 3, v0
	s_delay_alu instid0(VALU_DEP_1)
	v_mov_b32_e32 v104, v0
	scratch_load_b64 v[0:1], v104, off offset:-8
	scratch_load_b64 v[102:103], off, off offset:96
	s_wait_loadcnt 0x1
	scratch_store_b64 off, v[0:1], off offset:96
	s_wait_loadcnt 0x0
	scratch_store_b64 v104, v[102:103], off offset:-8
.LBB113_388:
	s_wait_xcnt 0x0
	v_mov_b32_e32 v0, 0
	global_load_b32 v1, v0, s[8:9] offset:44
	s_wait_loadcnt 0x0
	v_cmp_eq_u32_e32 vcc_lo, 12, v1
	s_cbranch_vccnz .LBB113_390
; %bb.389:
	v_lshlrev_b32_e32 v1, 3, v1
	scratch_load_b64 v[102:103], v1, off offset:-8
	scratch_load_b64 v[104:105], off, off offset:88
	s_wait_loadcnt 0x1
	scratch_store_b64 off, v[102:103], off offset:88
	s_wait_loadcnt 0x0
	scratch_store_b64 v1, v[104:105], off offset:-8
.LBB113_390:
	global_load_b32 v0, v0, s[8:9] offset:40
	s_wait_loadcnt 0x0
	v_cmp_eq_u32_e32 vcc_lo, 11, v0
	s_cbranch_vccnz .LBB113_392
; %bb.391:
	s_wait_xcnt 0x0
	v_lshlrev_b32_e32 v0, 3, v0
	s_delay_alu instid0(VALU_DEP_1)
	v_mov_b32_e32 v104, v0
	scratch_load_b64 v[0:1], v104, off offset:-8
	scratch_load_b64 v[102:103], off, off offset:80
	s_wait_loadcnt 0x1
	scratch_store_b64 off, v[0:1], off offset:80
	s_wait_loadcnt 0x0
	scratch_store_b64 v104, v[102:103], off offset:-8
.LBB113_392:
	s_wait_xcnt 0x0
	v_mov_b32_e32 v0, 0
	global_load_b32 v1, v0, s[8:9] offset:36
	s_wait_loadcnt 0x0
	v_cmp_eq_u32_e32 vcc_lo, 10, v1
	s_cbranch_vccnz .LBB113_394
; %bb.393:
	v_lshlrev_b32_e32 v1, 3, v1
	scratch_load_b64 v[102:103], v1, off offset:-8
	scratch_load_b64 v[104:105], off, off offset:72
	s_wait_loadcnt 0x1
	scratch_store_b64 off, v[102:103], off offset:72
	s_wait_loadcnt 0x0
	scratch_store_b64 v1, v[104:105], off offset:-8
.LBB113_394:
	global_load_b32 v0, v0, s[8:9] offset:32
	s_wait_loadcnt 0x0
	v_cmp_eq_u32_e32 vcc_lo, 9, v0
	s_cbranch_vccnz .LBB113_396
; %bb.395:
	s_wait_xcnt 0x0
	v_lshlrev_b32_e32 v0, 3, v0
	s_delay_alu instid0(VALU_DEP_1)
	v_mov_b32_e32 v104, v0
	scratch_load_b64 v[0:1], v104, off offset:-8
	scratch_load_b64 v[102:103], off, off offset:64
	s_wait_loadcnt 0x1
	scratch_store_b64 off, v[0:1], off offset:64
	s_wait_loadcnt 0x0
	scratch_store_b64 v104, v[102:103], off offset:-8
.LBB113_396:
	s_wait_xcnt 0x0
	v_mov_b32_e32 v0, 0
	global_load_b32 v1, v0, s[8:9] offset:28
	s_wait_loadcnt 0x0
	v_cmp_eq_u32_e32 vcc_lo, 8, v1
	s_cbranch_vccnz .LBB113_398
; %bb.397:
	v_lshlrev_b32_e32 v1, 3, v1
	scratch_load_b64 v[102:103], v1, off offset:-8
	scratch_load_b64 v[104:105], off, off offset:56
	s_wait_loadcnt 0x1
	scratch_store_b64 off, v[102:103], off offset:56
	s_wait_loadcnt 0x0
	scratch_store_b64 v1, v[104:105], off offset:-8
.LBB113_398:
	global_load_b32 v0, v0, s[8:9] offset:24
	s_wait_loadcnt 0x0
	v_cmp_eq_u32_e32 vcc_lo, 7, v0
	s_cbranch_vccnz .LBB113_400
; %bb.399:
	s_wait_xcnt 0x0
	v_lshlrev_b32_e32 v0, 3, v0
	s_delay_alu instid0(VALU_DEP_1)
	v_mov_b32_e32 v104, v0
	scratch_load_b64 v[0:1], v104, off offset:-8
	scratch_load_b64 v[102:103], off, off offset:48
	s_wait_loadcnt 0x1
	scratch_store_b64 off, v[0:1], off offset:48
	s_wait_loadcnt 0x0
	scratch_store_b64 v104, v[102:103], off offset:-8
.LBB113_400:
	s_wait_xcnt 0x0
	v_mov_b32_e32 v0, 0
	global_load_b32 v1, v0, s[8:9] offset:20
	s_wait_loadcnt 0x0
	v_cmp_eq_u32_e32 vcc_lo, 6, v1
	s_cbranch_vccnz .LBB113_402
; %bb.401:
	v_lshlrev_b32_e32 v1, 3, v1
	scratch_load_b64 v[102:103], v1, off offset:-8
	scratch_load_b64 v[104:105], off, off offset:40
	s_wait_loadcnt 0x1
	scratch_store_b64 off, v[102:103], off offset:40
	s_wait_loadcnt 0x0
	scratch_store_b64 v1, v[104:105], off offset:-8
.LBB113_402:
	global_load_b32 v0, v0, s[8:9] offset:16
	s_wait_loadcnt 0x0
	v_cmp_eq_u32_e32 vcc_lo, 5, v0
	s_cbranch_vccnz .LBB113_404
; %bb.403:
	s_wait_xcnt 0x0
	v_lshlrev_b32_e32 v0, 3, v0
	s_delay_alu instid0(VALU_DEP_1)
	v_mov_b32_e32 v104, v0
	scratch_load_b64 v[0:1], v104, off offset:-8
	scratch_load_b64 v[102:103], off, off offset:32
	s_wait_loadcnt 0x1
	scratch_store_b64 off, v[0:1], off offset:32
	s_wait_loadcnt 0x0
	scratch_store_b64 v104, v[102:103], off offset:-8
.LBB113_404:
	s_wait_xcnt 0x0
	v_mov_b32_e32 v0, 0
	global_load_b32 v1, v0, s[8:9] offset:12
	s_wait_loadcnt 0x0
	v_cmp_eq_u32_e32 vcc_lo, 4, v1
	s_cbranch_vccnz .LBB113_406
; %bb.405:
	v_lshlrev_b32_e32 v1, 3, v1
	scratch_load_b64 v[102:103], v1, off offset:-8
	scratch_load_b64 v[104:105], off, off offset:24
	s_wait_loadcnt 0x1
	scratch_store_b64 off, v[102:103], off offset:24
	s_wait_loadcnt 0x0
	scratch_store_b64 v1, v[104:105], off offset:-8
.LBB113_406:
	global_load_b32 v0, v0, s[8:9] offset:8
	s_wait_loadcnt 0x0
	v_cmp_eq_u32_e32 vcc_lo, 3, v0
	s_cbranch_vccnz .LBB113_408
; %bb.407:
	s_wait_xcnt 0x0
	v_lshlrev_b32_e32 v0, 3, v0
	s_delay_alu instid0(VALU_DEP_1)
	v_mov_b32_e32 v104, v0
	scratch_load_b64 v[0:1], v104, off offset:-8
	scratch_load_b64 v[102:103], off, off offset:16
	s_wait_loadcnt 0x1
	scratch_store_b64 off, v[0:1], off offset:16
	s_wait_loadcnt 0x0
	scratch_store_b64 v104, v[102:103], off offset:-8
.LBB113_408:
	s_wait_xcnt 0x0
	v_mov_b32_e32 v0, 0
	global_load_b32 v1, v0, s[8:9] offset:4
	s_wait_loadcnt 0x0
	v_cmp_eq_u32_e32 vcc_lo, 2, v1
	s_cbranch_vccnz .LBB113_410
; %bb.409:
	v_lshlrev_b32_e32 v1, 3, v1
	scratch_load_b64 v[102:103], v1, off offset:-8
	scratch_load_b64 v[104:105], off, off offset:8
	s_wait_loadcnt 0x1
	scratch_store_b64 off, v[102:103], off offset:8
	s_wait_loadcnt 0x0
	scratch_store_b64 v1, v[104:105], off offset:-8
.LBB113_410:
	global_load_b32 v0, v0, s[8:9]
	scratch_load_b64 v[102:103], off, off
	s_wait_loadcnt 0x1
	v_cmp_eq_u32_e32 vcc_lo, 1, v0
	s_cbranch_vccnz .LBB113_412
; %bb.411:
	s_wait_xcnt 0x1
	v_lshlrev_b32_e32 v0, 3, v0
	s_delay_alu instid0(VALU_DEP_1)
	v_mov_b32_e32 v104, v0
	scratch_load_b64 v[0:1], v104, off offset:-8
	s_wait_loadcnt 0x0
	scratch_store_b64 off, v[0:1], off
	scratch_store_b64 v104, v[102:103], off offset:-8
	scratch_load_b64 v[102:103], off, off
.LBB113_412:
	s_wait_loadcnt 0x0
	flat_store_b64 v[2:3], v[102:103]
	scratch_load_b64 v[2:3], off, off offset:8
	v_lshl_add_u64 v[148:149], v[6:7], 3, s[2:3]
	v_lshl_add_u64 v[146:147], v[8:9], 3, s[2:3]
	;; [unrolled: 1-line block ×48, first 2 shown]
	s_wait_loadcnt 0x0
	flat_store_b64 v[4:5], v[2:3]
	scratch_load_b64 v[2:3], off, off offset:16
	s_wait_loadcnt 0x0
	flat_store_b64 v[148:149], v[2:3]
	scratch_load_b64 v[2:3], off, off offset:24
	;; [unrolled: 3-line block ×48, first 2 shown]
	s_wait_loadcnt 0x0
	flat_store_b64 v[0:1], v[2:3]
	s_sendmsg sendmsg(MSG_DEALLOC_VGPRS)
	s_endpgm
	.section	.rodata,"a",@progbits
	.p2align	6, 0x0
	.amdhsa_kernel _ZN9rocsolver6v33100L18getri_kernel_smallILi50E19rocblas_complex_numIfEPKPS3_EEvT1_iilPiilS8_bb
		.amdhsa_group_segment_fixed_size 804
		.amdhsa_private_segment_fixed_size 416
		.amdhsa_kernarg_size 60
		.amdhsa_user_sgpr_count 2
		.amdhsa_user_sgpr_dispatch_ptr 0
		.amdhsa_user_sgpr_queue_ptr 0
		.amdhsa_user_sgpr_kernarg_segment_ptr 1
		.amdhsa_user_sgpr_dispatch_id 0
		.amdhsa_user_sgpr_kernarg_preload_length 0
		.amdhsa_user_sgpr_kernarg_preload_offset 0
		.amdhsa_user_sgpr_private_segment_size 0
		.amdhsa_wavefront_size32 1
		.amdhsa_uses_dynamic_stack 0
		.amdhsa_enable_private_segment 1
		.amdhsa_system_sgpr_workgroup_id_x 1
		.amdhsa_system_sgpr_workgroup_id_y 0
		.amdhsa_system_sgpr_workgroup_id_z 0
		.amdhsa_system_sgpr_workgroup_info 0
		.amdhsa_system_vgpr_workitem_id 0
		.amdhsa_next_free_vgpr 310
		.amdhsa_next_free_sgpr 19
		.amdhsa_named_barrier_count 0
		.amdhsa_reserve_vcc 1
		.amdhsa_float_round_mode_32 0
		.amdhsa_float_round_mode_16_64 0
		.amdhsa_float_denorm_mode_32 3
		.amdhsa_float_denorm_mode_16_64 3
		.amdhsa_fp16_overflow 0
		.amdhsa_memory_ordered 1
		.amdhsa_forward_progress 1
		.amdhsa_inst_pref_size 255
		.amdhsa_round_robin_scheduling 0
		.amdhsa_exception_fp_ieee_invalid_op 0
		.amdhsa_exception_fp_denorm_src 0
		.amdhsa_exception_fp_ieee_div_zero 0
		.amdhsa_exception_fp_ieee_overflow 0
		.amdhsa_exception_fp_ieee_underflow 0
		.amdhsa_exception_fp_ieee_inexact 0
		.amdhsa_exception_int_div_zero 0
	.end_amdhsa_kernel
	.section	.text._ZN9rocsolver6v33100L18getri_kernel_smallILi50E19rocblas_complex_numIfEPKPS3_EEvT1_iilPiilS8_bb,"axG",@progbits,_ZN9rocsolver6v33100L18getri_kernel_smallILi50E19rocblas_complex_numIfEPKPS3_EEvT1_iilPiilS8_bb,comdat
.Lfunc_end113:
	.size	_ZN9rocsolver6v33100L18getri_kernel_smallILi50E19rocblas_complex_numIfEPKPS3_EEvT1_iilPiilS8_bb, .Lfunc_end113-_ZN9rocsolver6v33100L18getri_kernel_smallILi50E19rocblas_complex_numIfEPKPS3_EEvT1_iilPiilS8_bb
                                        ; -- End function
	.set _ZN9rocsolver6v33100L18getri_kernel_smallILi50E19rocblas_complex_numIfEPKPS3_EEvT1_iilPiilS8_bb.num_vgpr, 310
	.set _ZN9rocsolver6v33100L18getri_kernel_smallILi50E19rocblas_complex_numIfEPKPS3_EEvT1_iilPiilS8_bb.num_agpr, 0
	.set _ZN9rocsolver6v33100L18getri_kernel_smallILi50E19rocblas_complex_numIfEPKPS3_EEvT1_iilPiilS8_bb.numbered_sgpr, 19
	.set _ZN9rocsolver6v33100L18getri_kernel_smallILi50E19rocblas_complex_numIfEPKPS3_EEvT1_iilPiilS8_bb.num_named_barrier, 0
	.set _ZN9rocsolver6v33100L18getri_kernel_smallILi50E19rocblas_complex_numIfEPKPS3_EEvT1_iilPiilS8_bb.private_seg_size, 416
	.set _ZN9rocsolver6v33100L18getri_kernel_smallILi50E19rocblas_complex_numIfEPKPS3_EEvT1_iilPiilS8_bb.uses_vcc, 1
	.set _ZN9rocsolver6v33100L18getri_kernel_smallILi50E19rocblas_complex_numIfEPKPS3_EEvT1_iilPiilS8_bb.uses_flat_scratch, 1
	.set _ZN9rocsolver6v33100L18getri_kernel_smallILi50E19rocblas_complex_numIfEPKPS3_EEvT1_iilPiilS8_bb.has_dyn_sized_stack, 0
	.set _ZN9rocsolver6v33100L18getri_kernel_smallILi50E19rocblas_complex_numIfEPKPS3_EEvT1_iilPiilS8_bb.has_recursion, 0
	.set _ZN9rocsolver6v33100L18getri_kernel_smallILi50E19rocblas_complex_numIfEPKPS3_EEvT1_iilPiilS8_bb.has_indirect_call, 0
	.section	.AMDGPU.csdata,"",@progbits
; Kernel info:
; codeLenInByte = 94128
; TotalNumSgprs: 21
; NumVgprs: 310
; ScratchSize: 416
; MemoryBound: 0
; FloatMode: 240
; IeeeMode: 1
; LDSByteSize: 804 bytes/workgroup (compile time only)
; SGPRBlocks: 0
; VGPRBlocks: 19
; NumSGPRsForWavesPerEU: 21
; NumVGPRsForWavesPerEU: 310
; NamedBarCnt: 0
; Occupancy: 3
; WaveLimiterHint : 1
; COMPUTE_PGM_RSRC2:SCRATCH_EN: 1
; COMPUTE_PGM_RSRC2:USER_SGPR: 2
; COMPUTE_PGM_RSRC2:TRAP_HANDLER: 0
; COMPUTE_PGM_RSRC2:TGID_X_EN: 1
; COMPUTE_PGM_RSRC2:TGID_Y_EN: 0
; COMPUTE_PGM_RSRC2:TGID_Z_EN: 0
; COMPUTE_PGM_RSRC2:TIDIG_COMP_CNT: 0
	.section	.text._ZN9rocsolver6v33100L18getri_kernel_smallILi51E19rocblas_complex_numIfEPKPS3_EEvT1_iilPiilS8_bb,"axG",@progbits,_ZN9rocsolver6v33100L18getri_kernel_smallILi51E19rocblas_complex_numIfEPKPS3_EEvT1_iilPiilS8_bb,comdat
	.globl	_ZN9rocsolver6v33100L18getri_kernel_smallILi51E19rocblas_complex_numIfEPKPS3_EEvT1_iilPiilS8_bb ; -- Begin function _ZN9rocsolver6v33100L18getri_kernel_smallILi51E19rocblas_complex_numIfEPKPS3_EEvT1_iilPiilS8_bb
	.p2align	8
	.type	_ZN9rocsolver6v33100L18getri_kernel_smallILi51E19rocblas_complex_numIfEPKPS3_EEvT1_iilPiilS8_bb,@function
_ZN9rocsolver6v33100L18getri_kernel_smallILi51E19rocblas_complex_numIfEPKPS3_EEvT1_iilPiilS8_bb: ; @_ZN9rocsolver6v33100L18getri_kernel_smallILi51E19rocblas_complex_numIfEPKPS3_EEvT1_iilPiilS8_bb
; %bb.0:
	s_mov_b32 s2, exec_lo
	v_cmpx_gt_u32_e32 51, v0
	s_cbranch_execz .LBB114_218
; %bb.1:
	s_clause 0x1
	s_load_b32 s13, s[0:1], 0x38
	s_load_b64 s[2:3], s[0:1], 0x0
	s_getreg_b32 s6, hwreg(HW_REG_IB_STS2, 6, 4)
	s_wait_kmcnt 0x0
	s_bitcmp1_b32 s13, 8
	s_cselect_b32 s12, -1, 0
	s_bfe_u32 s4, ttmp6, 0x4000c
	s_and_b32 s5, ttmp6, 15
	s_add_co_i32 s4, s4, 1
	s_delay_alu instid0(SALU_CYCLE_1) | instskip(NEXT) | instid1(SALU_CYCLE_1)
	s_mul_i32 s4, ttmp9, s4
	s_add_co_i32 s5, s5, s4
	s_cmp_eq_u32 s6, 0
	s_cselect_b32 s10, ttmp9, s5
	s_load_b128 s[4:7], s[0:1], 0x28
	s_ashr_i32 s11, s10, 31
	s_delay_alu instid0(SALU_CYCLE_1) | instskip(NEXT) | instid1(SALU_CYCLE_1)
	s_lshl_b64 s[8:9], s[10:11], 3
	s_add_nc_u64 s[2:3], s[2:3], s[8:9]
	s_bfe_u32 s8, s13, 0x10008
	s_load_b64 s[2:3], s[2:3], 0x0
	s_cmp_eq_u32 s8, 0
                                        ; implicit-def: $sgpr8_sgpr9
	s_cbranch_scc1 .LBB114_3
; %bb.2:
	s_load_b96 s[16:18], s[0:1], 0x18
	s_wait_kmcnt 0x0
	s_mul_u64 s[4:5], s[4:5], s[10:11]
	s_delay_alu instid0(SALU_CYCLE_1) | instskip(SKIP_4) | instid1(SALU_CYCLE_1)
	s_lshl_b64 s[4:5], s[4:5], 2
	s_ashr_i32 s9, s18, 31
	s_mov_b32 s8, s18
	s_add_nc_u64 s[4:5], s[16:17], s[4:5]
	s_lshl_b64 s[8:9], s[8:9], 2
	s_add_nc_u64 s[8:9], s[4:5], s[8:9]
.LBB114_3:
	s_wait_kmcnt 0x0
	s_clause 0x1
	s_load_b64 s[4:5], s[0:1], 0x8
	s_load_b32 s13, s[0:1], 0x38
	v_dual_mov_b32 v105, 0 :: v_dual_lshlrev_b32 v104, 3, v0
	s_wait_kmcnt 0x0
	s_ashr_i32 s1, s4, 31
	s_mov_b32 s0, s4
	s_delay_alu instid0(SALU_CYCLE_1) | instskip(NEXT) | instid1(SALU_CYCLE_1)
	s_lshl_b64 s[0:1], s[0:1], 3
	s_add_nc_u64 s[2:3], s[2:3], s[0:1]
	s_ashr_i32 s1, s5, 31
	flat_load_b64 v[6:7], v0, s[2:3] scale_offset
	v_add_nc_u64_e32 v[2:3], s[2:3], v[104:105]
	s_mov_b32 s0, s5
	s_bitcmp0_b32 s13, 0
	s_delay_alu instid0(VALU_DEP_1)
	v_lshl_add_u64 v[4:5], s[0:1], 3, v[2:3]
	s_mov_b32 s1, -1
	s_wait_loadcnt_dscnt 0x0
	scratch_store_b64 off, v[6:7], off
	flat_load_b64 v[8:9], v[4:5]
	s_wait_xcnt 0x1
	v_add3_u32 v6, s5, s5, v0
	s_wait_loadcnt_dscnt 0x0
	scratch_store_b64 off, v[8:9], off offset:8
	flat_load_b64 v[10:11], v6, s[2:3] scale_offset
	s_wait_xcnt 0x1
	v_add_nc_u32_e32 v8, s5, v6
	s_wait_loadcnt_dscnt 0x0
	scratch_store_b64 off, v[10:11], off offset:16
	flat_load_b64 v[12:13], v8, s[2:3] scale_offset
	s_wait_xcnt 0x1
	v_add_nc_u32_e32 v10, s5, v8
	;; [unrolled: 5-line block ×48, first 2 shown]
	s_wait_loadcnt_dscnt 0x0
	scratch_store_b64 off, v[106:107], off offset:392
	flat_load_b64 v[106:107], v102, s[2:3] scale_offset
	s_wait_loadcnt_dscnt 0x0
	scratch_store_b64 off, v[106:107], off offset:400
	s_cbranch_scc1 .LBB114_216
; %bb.4:
	v_cmp_eq_u32_e64 s0, 0, v0
	s_wait_xcnt 0x0
	s_and_saveexec_b32 s1, s0
; %bb.5:
	v_mov_b32_e32 v1, 0
	ds_store_b32 v1, v1 offset:408
; %bb.6:
	s_or_b32 exec_lo, exec_lo, s1
	s_wait_storecnt_dscnt 0x0
	s_barrier_signal -1
	s_barrier_wait -1
	scratch_load_b64 v[106:107], v0, off scale_offset
	s_wait_loadcnt 0x0
	v_cmp_eq_f32_e32 vcc_lo, 0, v106
	v_cmp_eq_f32_e64 s1, 0, v107
	s_and_b32 s1, vcc_lo, s1
	s_delay_alu instid0(SALU_CYCLE_1)
	s_and_saveexec_b32 s4, s1
	s_cbranch_execz .LBB114_10
; %bb.7:
	v_mov_b32_e32 v1, 0
	s_mov_b32 s5, 0
	ds_load_b32 v7, v1 offset:408
	s_wait_dscnt 0x0
	v_readfirstlane_b32 s1, v7
	v_add_nc_u32_e32 v7, 1, v0
	s_cmp_eq_u32 s1, 0
	s_delay_alu instid0(VALU_DEP_1) | instskip(SKIP_1) | instid1(SALU_CYCLE_1)
	v_cmp_gt_i32_e32 vcc_lo, s1, v7
	s_cselect_b32 s13, -1, 0
	s_or_b32 s13, s13, vcc_lo
	s_delay_alu instid0(SALU_CYCLE_1)
	s_and_b32 exec_lo, exec_lo, s13
	s_cbranch_execz .LBB114_10
; %bb.8:
	v_mov_b32_e32 v9, s1
.LBB114_9:                              ; =>This Inner Loop Header: Depth=1
	ds_cmpstore_rtn_b32 v9, v1, v7, v9 offset:408
	s_wait_dscnt 0x0
	v_cmp_ne_u32_e32 vcc_lo, 0, v9
	v_cmp_le_i32_e64 s1, v9, v7
	s_and_b32 s1, vcc_lo, s1
	s_delay_alu instid0(SALU_CYCLE_1) | instskip(NEXT) | instid1(SALU_CYCLE_1)
	s_and_b32 s1, exec_lo, s1
	s_or_b32 s5, s1, s5
	s_delay_alu instid0(SALU_CYCLE_1)
	s_and_not1_b32 exec_lo, exec_lo, s5
	s_cbranch_execnz .LBB114_9
.LBB114_10:
	s_or_b32 exec_lo, exec_lo, s4
	v_mov_b32_e32 v1, 0
	s_barrier_signal -1
	s_barrier_wait -1
	ds_load_b32 v7, v1 offset:408
	s_and_saveexec_b32 s1, s0
	s_cbranch_execz .LBB114_12
; %bb.11:
	s_lshl_b64 s[4:5], s[10:11], 2
	s_delay_alu instid0(SALU_CYCLE_1)
	s_add_nc_u64 s[4:5], s[6:7], s[4:5]
	s_wait_dscnt 0x0
	global_store_b32 v1, v7, s[4:5]
.LBB114_12:
	s_wait_xcnt 0x0
	s_or_b32 exec_lo, exec_lo, s1
	s_wait_dscnt 0x0
	v_cmp_ne_u32_e32 vcc_lo, 0, v7
	s_mov_b32 s1, 0
	s_cbranch_vccnz .LBB114_216
; %bb.13:
	v_lshl_add_u32 v7, v0, 3, 0
                                        ; implicit-def: $vgpr109
                                        ; implicit-def: $vgpr110
	scratch_load_b64 v[106:107], v7, off
	s_wait_loadcnt 0x0
	v_cmp_ngt_f32_e64 s1, |v106|, |v107|
	s_wait_xcnt 0x0
	s_and_saveexec_b32 s4, s1
	s_delay_alu instid0(SALU_CYCLE_1)
	s_xor_b32 s1, exec_lo, s4
	s_cbranch_execz .LBB114_15
; %bb.14:
	v_div_scale_f32 v1, null, v107, v107, v106
	v_div_scale_f32 v13, vcc_lo, v106, v107, v106
	s_delay_alu instid0(VALU_DEP_2) | instskip(SKIP_1) | instid1(TRANS32_DEP_1)
	v_rcp_f32_e32 v9, v1
	v_nop
	v_fma_f32 v11, -v1, v9, 1.0
	s_delay_alu instid0(VALU_DEP_1) | instskip(NEXT) | instid1(VALU_DEP_1)
	v_fmac_f32_e32 v9, v11, v9
	v_mul_f32_e32 v11, v13, v9
	s_delay_alu instid0(VALU_DEP_1) | instskip(NEXT) | instid1(VALU_DEP_1)
	v_fma_f32 v15, -v1, v11, v13
	v_fmac_f32_e32 v11, v15, v9
	s_delay_alu instid0(VALU_DEP_1) | instskip(NEXT) | instid1(VALU_DEP_1)
	v_fma_f32 v1, -v1, v11, v13
	v_div_fmas_f32 v1, v1, v9, v11
	s_delay_alu instid0(VALU_DEP_1) | instskip(NEXT) | instid1(VALU_DEP_1)
	v_div_fixup_f32 v1, v1, v107, v106
	v_fmac_f32_e32 v107, v106, v1
	s_delay_alu instid0(VALU_DEP_1) | instskip(NEXT) | instid1(VALU_DEP_1)
	v_div_scale_f32 v9, null, v107, v107, -1.0
	v_rcp_f32_e32 v11, v9
	v_nop
	s_delay_alu instid0(TRANS32_DEP_1) | instskip(NEXT) | instid1(VALU_DEP_1)
	v_fma_f32 v13, -v9, v11, 1.0
	v_fmac_f32_e32 v11, v13, v11
	v_div_scale_f32 v13, vcc_lo, -1.0, v107, -1.0
	s_delay_alu instid0(VALU_DEP_1) | instskip(NEXT) | instid1(VALU_DEP_1)
	v_mul_f32_e32 v15, v13, v11
	v_fma_f32 v17, -v9, v15, v13
	s_delay_alu instid0(VALU_DEP_1) | instskip(NEXT) | instid1(VALU_DEP_1)
	v_fmac_f32_e32 v15, v17, v11
	v_fma_f32 v9, -v9, v15, v13
	s_delay_alu instid0(VALU_DEP_1) | instskip(NEXT) | instid1(VALU_DEP_1)
	v_div_fmas_f32 v9, v9, v11, v15
	v_div_fixup_f32 v109, v9, v107, -1.0
                                        ; implicit-def: $vgpr106_vgpr107
	s_delay_alu instid0(VALU_DEP_1) | instskip(NEXT) | instid1(VALU_DEP_1)
	v_mul_f32_e32 v110, v1, v109
	v_xor_b32_e32 v108, 0x80000000, v110
.LBB114_15:
	s_and_not1_saveexec_b32 s1, s1
	s_cbranch_execz .LBB114_17
; %bb.16:
	v_div_scale_f32 v1, null, v106, v106, v107
	v_div_scale_f32 v13, vcc_lo, v107, v106, v107
	s_delay_alu instid0(VALU_DEP_2) | instskip(SKIP_1) | instid1(TRANS32_DEP_1)
	v_rcp_f32_e32 v9, v1
	v_nop
	v_fma_f32 v11, -v1, v9, 1.0
	s_delay_alu instid0(VALU_DEP_1) | instskip(NEXT) | instid1(VALU_DEP_1)
	v_fmac_f32_e32 v9, v11, v9
	v_mul_f32_e32 v11, v13, v9
	s_delay_alu instid0(VALU_DEP_1) | instskip(NEXT) | instid1(VALU_DEP_1)
	v_fma_f32 v15, -v1, v11, v13
	v_fmac_f32_e32 v11, v15, v9
	s_delay_alu instid0(VALU_DEP_1) | instskip(NEXT) | instid1(VALU_DEP_1)
	v_fma_f32 v1, -v1, v11, v13
	v_div_fmas_f32 v1, v1, v9, v11
	s_delay_alu instid0(VALU_DEP_1) | instskip(NEXT) | instid1(VALU_DEP_1)
	v_div_fixup_f32 v1, v1, v106, v107
	v_fmac_f32_e32 v106, v107, v1
	s_delay_alu instid0(VALU_DEP_1) | instskip(SKIP_1) | instid1(VALU_DEP_2)
	v_div_scale_f32 v9, null, v106, v106, 1.0
	v_div_scale_f32 v15, vcc_lo, 1.0, v106, 1.0
	v_rcp_f32_e32 v11, v9
	v_nop
	s_delay_alu instid0(TRANS32_DEP_1) | instskip(NEXT) | instid1(VALU_DEP_1)
	v_fma_f32 v13, -v9, v11, 1.0
	v_fmac_f32_e32 v11, v13, v11
	s_delay_alu instid0(VALU_DEP_1) | instskip(NEXT) | instid1(VALU_DEP_1)
	v_mul_f32_e32 v13, v15, v11
	v_fma_f32 v17, -v9, v13, v15
	s_delay_alu instid0(VALU_DEP_1) | instskip(NEXT) | instid1(VALU_DEP_1)
	v_fmac_f32_e32 v13, v17, v11
	v_fma_f32 v9, -v9, v13, v15
	s_delay_alu instid0(VALU_DEP_1) | instskip(NEXT) | instid1(VALU_DEP_1)
	v_div_fmas_f32 v9, v9, v11, v13
	v_div_fixup_f32 v108, v9, v106, 1.0
	s_delay_alu instid0(VALU_DEP_1)
	v_xor_b32_e32 v110, 0x80000000, v108
	v_mul_f32_e64 v109, v1, -v108
.LBB114_17:
	s_or_b32 exec_lo, exec_lo, s1
	scratch_store_b64 v7, v[108:109], off
	scratch_load_b64 v[106:107], off, off offset:8
	v_xor_b32_e32 v111, 0x80000000, v109
	v_add_nc_u32_e32 v1, 0x1a0, v104
	s_wait_loadcnt 0x0
	ds_store_2addr_b64 v104, v[110:111], v[106:107] offset1:52
	s_wait_storecnt_dscnt 0x0
	s_barrier_signal -1
	s_barrier_wait -1
	s_wait_xcnt 0x0
	s_and_saveexec_b32 s1, s0
	s_cbranch_execz .LBB114_19
; %bb.18:
	scratch_load_b64 v[106:107], v7, off
	ds_load_b64 v[108:109], v1
	s_wait_loadcnt_dscnt 0x0
	v_pk_mul_f32 v[112:113], v[108:109], v[106:107] op_sel:[1,1] op_sel_hi:[0,1]
	s_delay_alu instid0(VALU_DEP_1) | instskip(SKIP_2) | instid1(VALU_DEP_3)
	v_pk_fma_f32 v[114:115], v[108:109], v[106:107], v[112:113] op_sel_hi:[1,0,1]
	v_mov_b32_e32 v9, 0
	v_pk_fma_f32 v[106:107], v[108:109], v[106:107], v[112:113] neg_lo:[0,0,1] neg_hi:[0,0,1]
	v_mov_b32_e32 v107, v115
	ds_load_b64 v[110:111], v9 offset:8
	v_pk_add_f32 v[106:107], v[106:107], 0 op_sel_hi:[1,0]
	s_wait_dscnt 0x0
	s_delay_alu instid0(VALU_DEP_1) | instskip(NEXT) | instid1(VALU_DEP_1)
	v_pk_mul_f32 v[108:109], v[106:107], v[110:111] op_sel:[1,1] op_sel_hi:[0,1]
	v_pk_fma_f32 v[112:113], v[106:107], v[110:111], v[108:109] op_sel_hi:[1,0,1]
	v_pk_fma_f32 v[106:107], v[106:107], v[110:111], v[108:109] neg_lo:[0,0,1] neg_hi:[0,0,1]
	s_delay_alu instid0(VALU_DEP_2)
	v_mov_b32_e32 v107, v113
	scratch_store_b64 off, v[106:107], off offset:8
.LBB114_19:
	s_wait_xcnt 0x0
	s_or_b32 exec_lo, exec_lo, s1
	s_wait_storecnt 0x0
	s_barrier_signal -1
	s_barrier_wait -1
	scratch_load_b64 v[106:107], off, off offset:16
	s_mov_b32 s1, exec_lo
	s_wait_loadcnt 0x0
	ds_store_b64 v1, v[106:107]
	s_wait_dscnt 0x0
	s_barrier_signal -1
	s_barrier_wait -1
	v_cmpx_gt_u32_e32 2, v0
	s_cbranch_execz .LBB114_23
; %bb.20:
	scratch_load_b64 v[106:107], v7, off
	ds_load_b64 v[108:109], v1
	s_wait_loadcnt_dscnt 0x0
	v_pk_mul_f32 v[110:111], v[108:109], v[106:107] op_sel:[1,1] op_sel_hi:[0,1]
	s_delay_alu instid0(VALU_DEP_1) | instskip(SKIP_1) | instid1(VALU_DEP_2)
	v_pk_fma_f32 v[112:113], v[108:109], v[106:107], v[110:111] op_sel_hi:[1,0,1]
	v_pk_fma_f32 v[106:107], v[108:109], v[106:107], v[110:111] neg_lo:[0,0,1] neg_hi:[0,0,1]
	v_mov_b32_e32 v107, v113
	s_delay_alu instid0(VALU_DEP_1)
	v_pk_add_f32 v[106:107], v[106:107], 0 op_sel_hi:[1,0]
	s_and_saveexec_b32 s4, s0
	s_cbranch_execz .LBB114_22
; %bb.21:
	scratch_load_b64 v[108:109], off, off offset:8
	v_mov_b32_e32 v7, 0
	ds_load_b64 v[110:111], v7 offset:424
	s_wait_loadcnt_dscnt 0x0
	v_pk_mul_f32 v[112:113], v[110:111], v[108:109] op_sel:[1,1] op_sel_hi:[0,1]
	s_delay_alu instid0(VALU_DEP_1) | instskip(SKIP_1) | instid1(VALU_DEP_2)
	v_pk_fma_f32 v[114:115], v[110:111], v[108:109], v[112:113] op_sel_hi:[1,0,1]
	v_pk_fma_f32 v[108:109], v[110:111], v[108:109], v[112:113] neg_lo:[0,0,1] neg_hi:[0,0,1]
	v_mov_b32_e32 v109, v115
	s_delay_alu instid0(VALU_DEP_1)
	v_pk_add_f32 v[106:107], v[106:107], v[108:109]
.LBB114_22:
	s_or_b32 exec_lo, exec_lo, s4
	v_mov_b32_e32 v7, 0
	ds_load_b64 v[108:109], v7 offset:16
	s_wait_dscnt 0x0
	v_pk_mul_f32 v[110:111], v[106:107], v[108:109] op_sel:[1,1] op_sel_hi:[0,1]
	s_delay_alu instid0(VALU_DEP_1) | instskip(SKIP_1) | instid1(VALU_DEP_2)
	v_pk_fma_f32 v[112:113], v[106:107], v[108:109], v[110:111] op_sel_hi:[1,0,1]
	v_pk_fma_f32 v[106:107], v[106:107], v[108:109], v[110:111] neg_lo:[0,0,1] neg_hi:[0,0,1]
	v_mov_b32_e32 v107, v113
	scratch_store_b64 off, v[106:107], off offset:16
.LBB114_23:
	s_wait_xcnt 0x0
	s_or_b32 exec_lo, exec_lo, s1
	s_wait_storecnt 0x0
	s_barrier_signal -1
	s_barrier_wait -1
	scratch_load_b64 v[106:107], off, off offset:24
	v_add_nc_u32_e32 v7, -1, v0
	s_mov_b32 s0, exec_lo
	s_wait_loadcnt 0x0
	ds_store_b64 v1, v[106:107]
	s_wait_dscnt 0x0
	s_barrier_signal -1
	s_barrier_wait -1
	v_cmpx_gt_u32_e32 3, v0
	s_cbranch_execz .LBB114_27
; %bb.24:
	v_dual_mov_b32 v106, 0 :: v_dual_add_nc_u32 v9, -1, v0
	v_add_nc_u32_e32 v11, 0x1a0, v104
	v_mov_b32_e32 v13, v104
	s_mov_b32 s1, 0
	s_delay_alu instid0(VALU_DEP_3)
	v_mov_b32_e32 v107, v106
.LBB114_25:                             ; =>This Inner Loop Header: Depth=1
	scratch_load_b64 v[108:109], v13, off
	ds_load_b64 v[110:111], v11
	s_wait_xcnt 0x0
	v_dual_add_nc_u32 v11, 8, v11 :: v_dual_add_nc_u32 v13, 8, v13
	s_wait_loadcnt_dscnt 0x0
	v_pk_mul_f32 v[112:113], v[110:111], v[108:109] op_sel:[1,1] op_sel_hi:[0,1]
	s_delay_alu instid0(VALU_DEP_1) | instskip(SKIP_2) | instid1(VALU_DEP_3)
	v_pk_fma_f32 v[114:115], v[110:111], v[108:109], v[112:113] op_sel_hi:[1,0,1]
	v_add_nc_u32_e32 v9, 1, v9
	v_pk_fma_f32 v[108:109], v[110:111], v[108:109], v[112:113] neg_lo:[0,0,1] neg_hi:[0,0,1]
	v_mov_b32_e32 v109, v115
	s_delay_alu instid0(VALU_DEP_3) | instskip(NEXT) | instid1(VALU_DEP_2)
	v_cmp_lt_u32_e32 vcc_lo, 1, v9
	v_pk_add_f32 v[106:107], v[106:107], v[108:109]
	s_or_b32 s1, vcc_lo, s1
	s_delay_alu instid0(SALU_CYCLE_1)
	s_and_not1_b32 exec_lo, exec_lo, s1
	s_cbranch_execnz .LBB114_25
; %bb.26:
	s_or_b32 exec_lo, exec_lo, s1
	v_mov_b32_e32 v9, 0
	ds_load_b64 v[108:109], v9 offset:24
	s_wait_dscnt 0x0
	v_pk_mul_f32 v[110:111], v[106:107], v[108:109] op_sel:[1,1] op_sel_hi:[0,1]
	s_delay_alu instid0(VALU_DEP_1) | instskip(SKIP_1) | instid1(VALU_DEP_2)
	v_pk_fma_f32 v[112:113], v[106:107], v[108:109], v[110:111] op_sel_hi:[1,0,1]
	v_pk_fma_f32 v[106:107], v[106:107], v[108:109], v[110:111] neg_lo:[0,0,1] neg_hi:[0,0,1]
	v_mov_b32_e32 v107, v113
	scratch_store_b64 off, v[106:107], off offset:24
.LBB114_27:
	s_wait_xcnt 0x0
	s_or_b32 exec_lo, exec_lo, s0
	s_wait_storecnt 0x0
	s_barrier_signal -1
	s_barrier_wait -1
	scratch_load_b64 v[106:107], off, off offset:32
	s_mov_b32 s0, exec_lo
	s_wait_loadcnt 0x0
	ds_store_b64 v1, v[106:107]
	s_wait_dscnt 0x0
	s_barrier_signal -1
	s_barrier_wait -1
	v_cmpx_gt_u32_e32 4, v0
	s_cbranch_execz .LBB114_31
; %bb.28:
	v_dual_mov_b32 v106, 0 :: v_dual_add_nc_u32 v9, -1, v0
	v_add_nc_u32_e32 v11, 0x1a0, v104
	v_mov_b32_e32 v13, v104
	s_mov_b32 s1, 0
	s_delay_alu instid0(VALU_DEP_3)
	v_mov_b32_e32 v107, v106
.LBB114_29:                             ; =>This Inner Loop Header: Depth=1
	scratch_load_b64 v[108:109], v13, off
	ds_load_b64 v[110:111], v11
	s_wait_xcnt 0x0
	v_dual_add_nc_u32 v11, 8, v11 :: v_dual_add_nc_u32 v13, 8, v13
	s_wait_loadcnt_dscnt 0x0
	v_pk_mul_f32 v[112:113], v[110:111], v[108:109] op_sel:[1,1] op_sel_hi:[0,1]
	s_delay_alu instid0(VALU_DEP_1) | instskip(SKIP_2) | instid1(VALU_DEP_3)
	v_pk_fma_f32 v[114:115], v[110:111], v[108:109], v[112:113] op_sel_hi:[1,0,1]
	v_add_nc_u32_e32 v9, 1, v9
	v_pk_fma_f32 v[108:109], v[110:111], v[108:109], v[112:113] neg_lo:[0,0,1] neg_hi:[0,0,1]
	v_mov_b32_e32 v109, v115
	s_delay_alu instid0(VALU_DEP_3) | instskip(NEXT) | instid1(VALU_DEP_2)
	v_cmp_lt_u32_e32 vcc_lo, 2, v9
	v_pk_add_f32 v[106:107], v[106:107], v[108:109]
	s_or_b32 s1, vcc_lo, s1
	s_delay_alu instid0(SALU_CYCLE_1)
	s_and_not1_b32 exec_lo, exec_lo, s1
	s_cbranch_execnz .LBB114_29
; %bb.30:
	s_or_b32 exec_lo, exec_lo, s1
	v_mov_b32_e32 v9, 0
	ds_load_b64 v[108:109], v9 offset:32
	s_wait_dscnt 0x0
	v_pk_mul_f32 v[110:111], v[106:107], v[108:109] op_sel:[1,1] op_sel_hi:[0,1]
	s_delay_alu instid0(VALU_DEP_1) | instskip(SKIP_1) | instid1(VALU_DEP_2)
	v_pk_fma_f32 v[112:113], v[106:107], v[108:109], v[110:111] op_sel_hi:[1,0,1]
	v_pk_fma_f32 v[106:107], v[106:107], v[108:109], v[110:111] neg_lo:[0,0,1] neg_hi:[0,0,1]
	v_mov_b32_e32 v107, v113
	scratch_store_b64 off, v[106:107], off offset:32
.LBB114_31:
	s_wait_xcnt 0x0
	s_or_b32 exec_lo, exec_lo, s0
	s_wait_storecnt 0x0
	s_barrier_signal -1
	s_barrier_wait -1
	scratch_load_b64 v[106:107], off, off offset:40
	;; [unrolled: 52-line block ×19, first 2 shown]
	s_mov_b32 s0, exec_lo
	s_wait_loadcnt 0x0
	ds_store_b64 v1, v[106:107]
	s_wait_dscnt 0x0
	s_barrier_signal -1
	s_barrier_wait -1
	v_cmpx_gt_u32_e32 22, v0
	s_cbranch_execz .LBB114_103
; %bb.100:
	v_dual_mov_b32 v106, 0 :: v_dual_add_nc_u32 v9, -1, v0
	v_add_nc_u32_e32 v11, 0x1a0, v104
	v_mov_b32_e32 v13, v104
	s_mov_b32 s1, 0
	s_delay_alu instid0(VALU_DEP_3)
	v_mov_b32_e32 v107, v106
.LBB114_101:                            ; =>This Inner Loop Header: Depth=1
	scratch_load_b64 v[108:109], v13, off
	ds_load_b64 v[110:111], v11
	s_wait_xcnt 0x0
	v_dual_add_nc_u32 v11, 8, v11 :: v_dual_add_nc_u32 v13, 8, v13
	s_wait_loadcnt_dscnt 0x0
	v_pk_mul_f32 v[112:113], v[110:111], v[108:109] op_sel:[1,1] op_sel_hi:[0,1]
	s_delay_alu instid0(VALU_DEP_1) | instskip(SKIP_2) | instid1(VALU_DEP_3)
	v_pk_fma_f32 v[114:115], v[110:111], v[108:109], v[112:113] op_sel_hi:[1,0,1]
	v_add_nc_u32_e32 v9, 1, v9
	v_pk_fma_f32 v[108:109], v[110:111], v[108:109], v[112:113] neg_lo:[0,0,1] neg_hi:[0,0,1]
	v_mov_b32_e32 v109, v115
	s_delay_alu instid0(VALU_DEP_3) | instskip(NEXT) | instid1(VALU_DEP_2)
	v_cmp_lt_u32_e32 vcc_lo, 20, v9
	v_pk_add_f32 v[106:107], v[106:107], v[108:109]
	s_or_b32 s1, vcc_lo, s1
	s_delay_alu instid0(SALU_CYCLE_1)
	s_and_not1_b32 exec_lo, exec_lo, s1
	s_cbranch_execnz .LBB114_101
; %bb.102:
	s_or_b32 exec_lo, exec_lo, s1
	v_mov_b32_e32 v9, 0
	ds_load_b64 v[108:109], v9 offset:176
	s_wait_dscnt 0x0
	v_pk_mul_f32 v[110:111], v[106:107], v[108:109] op_sel:[1,1] op_sel_hi:[0,1]
	s_delay_alu instid0(VALU_DEP_1) | instskip(SKIP_1) | instid1(VALU_DEP_2)
	v_pk_fma_f32 v[112:113], v[106:107], v[108:109], v[110:111] op_sel_hi:[1,0,1]
	v_pk_fma_f32 v[106:107], v[106:107], v[108:109], v[110:111] neg_lo:[0,0,1] neg_hi:[0,0,1]
	v_mov_b32_e32 v107, v113
	scratch_store_b64 off, v[106:107], off offset:176
.LBB114_103:
	s_wait_xcnt 0x0
	s_or_b32 exec_lo, exec_lo, s0
	s_wait_storecnt 0x0
	s_barrier_signal -1
	s_barrier_wait -1
	scratch_load_b64 v[106:107], off, off offset:184
	s_mov_b32 s0, exec_lo
	s_wait_loadcnt 0x0
	ds_store_b64 v1, v[106:107]
	s_wait_dscnt 0x0
	s_barrier_signal -1
	s_barrier_wait -1
	v_cmpx_gt_u32_e32 23, v0
	s_cbranch_execz .LBB114_107
; %bb.104:
	v_dual_mov_b32 v106, 0 :: v_dual_add_nc_u32 v9, -1, v0
	v_add_nc_u32_e32 v11, 0x1a0, v104
	v_mov_b32_e32 v13, v104
	s_mov_b32 s1, 0
	s_delay_alu instid0(VALU_DEP_3)
	v_mov_b32_e32 v107, v106
.LBB114_105:                            ; =>This Inner Loop Header: Depth=1
	scratch_load_b64 v[108:109], v13, off
	ds_load_b64 v[110:111], v11
	s_wait_xcnt 0x0
	v_dual_add_nc_u32 v11, 8, v11 :: v_dual_add_nc_u32 v13, 8, v13
	s_wait_loadcnt_dscnt 0x0
	v_pk_mul_f32 v[112:113], v[110:111], v[108:109] op_sel:[1,1] op_sel_hi:[0,1]
	s_delay_alu instid0(VALU_DEP_1) | instskip(SKIP_2) | instid1(VALU_DEP_3)
	v_pk_fma_f32 v[114:115], v[110:111], v[108:109], v[112:113] op_sel_hi:[1,0,1]
	v_add_nc_u32_e32 v9, 1, v9
	v_pk_fma_f32 v[108:109], v[110:111], v[108:109], v[112:113] neg_lo:[0,0,1] neg_hi:[0,0,1]
	v_mov_b32_e32 v109, v115
	s_delay_alu instid0(VALU_DEP_3) | instskip(NEXT) | instid1(VALU_DEP_2)
	v_cmp_lt_u32_e32 vcc_lo, 21, v9
	v_pk_add_f32 v[106:107], v[106:107], v[108:109]
	s_or_b32 s1, vcc_lo, s1
	s_delay_alu instid0(SALU_CYCLE_1)
	s_and_not1_b32 exec_lo, exec_lo, s1
	s_cbranch_execnz .LBB114_105
; %bb.106:
	s_or_b32 exec_lo, exec_lo, s1
	v_mov_b32_e32 v9, 0
	ds_load_b64 v[108:109], v9 offset:184
	s_wait_dscnt 0x0
	v_pk_mul_f32 v[110:111], v[106:107], v[108:109] op_sel:[1,1] op_sel_hi:[0,1]
	s_delay_alu instid0(VALU_DEP_1) | instskip(SKIP_1) | instid1(VALU_DEP_2)
	v_pk_fma_f32 v[112:113], v[106:107], v[108:109], v[110:111] op_sel_hi:[1,0,1]
	v_pk_fma_f32 v[106:107], v[106:107], v[108:109], v[110:111] neg_lo:[0,0,1] neg_hi:[0,0,1]
	v_mov_b32_e32 v107, v113
	scratch_store_b64 off, v[106:107], off offset:184
.LBB114_107:
	s_wait_xcnt 0x0
	s_or_b32 exec_lo, exec_lo, s0
	s_wait_storecnt 0x0
	s_barrier_signal -1
	s_barrier_wait -1
	scratch_load_b64 v[106:107], off, off offset:192
	;; [unrolled: 52-line block ×28, first 2 shown]
	s_mov_b32 s0, exec_lo
	s_wait_loadcnt 0x0
	ds_store_b64 v1, v[106:107]
	s_wait_dscnt 0x0
	s_barrier_signal -1
	s_barrier_wait -1
	v_cmpx_ne_u32_e32 50, v0
	s_cbranch_execz .LBB114_215
; %bb.212:
	v_dual_mov_b32 v106, 0 :: v_dual_mov_b32 v9, v104
	s_mov_b32 s1, 0
	s_delay_alu instid0(VALU_DEP_1)
	v_mov_b32_e32 v107, v106
.LBB114_213:                            ; =>This Inner Loop Header: Depth=1
	scratch_load_b64 v[104:105], v9, off
	ds_load_b64 v[108:109], v1
	v_add_nc_u32_e32 v1, 8, v1
	s_wait_xcnt 0x0
	v_add_nc_u32_e32 v9, 8, v9
	s_wait_loadcnt_dscnt 0x0
	v_pk_mul_f32 v[110:111], v[108:109], v[104:105] op_sel:[1,1] op_sel_hi:[0,1]
	s_delay_alu instid0(VALU_DEP_1) | instskip(SKIP_2) | instid1(VALU_DEP_3)
	v_pk_fma_f32 v[112:113], v[108:109], v[104:105], v[110:111] op_sel_hi:[1,0,1]
	v_add_nc_u32_e32 v7, 1, v7
	v_pk_fma_f32 v[104:105], v[108:109], v[104:105], v[110:111] neg_lo:[0,0,1] neg_hi:[0,0,1]
	v_mov_b32_e32 v105, v113
	s_delay_alu instid0(VALU_DEP_3) | instskip(NEXT) | instid1(VALU_DEP_2)
	v_cmp_lt_u32_e32 vcc_lo, 48, v7
	v_pk_add_f32 v[106:107], v[106:107], v[104:105]
	s_or_b32 s1, vcc_lo, s1
	s_delay_alu instid0(SALU_CYCLE_1)
	s_and_not1_b32 exec_lo, exec_lo, s1
	s_cbranch_execnz .LBB114_213
; %bb.214:
	s_or_b32 exec_lo, exec_lo, s1
	v_mov_b32_e32 v1, 0
	ds_load_b64 v[104:105], v1 offset:400
	s_wait_dscnt 0x0
	v_pk_mul_f32 v[108:109], v[106:107], v[104:105] op_sel:[1,1] op_sel_hi:[0,1]
	s_delay_alu instid0(VALU_DEP_1) | instskip(SKIP_1) | instid1(VALU_DEP_2)
	v_pk_fma_f32 v[110:111], v[106:107], v[104:105], v[108:109] op_sel_hi:[1,0,1]
	v_pk_fma_f32 v[104:105], v[106:107], v[104:105], v[108:109] neg_lo:[0,0,1] neg_hi:[0,0,1]
	v_mov_b32_e32 v105, v111
	scratch_store_b64 off, v[104:105], off offset:400
.LBB114_215:
	s_wait_xcnt 0x0
	s_or_b32 exec_lo, exec_lo, s0
	s_mov_b32 s1, -1
	s_wait_storecnt 0x0
	s_barrier_signal -1
	s_barrier_wait -1
.LBB114_216:
	s_and_b32 vcc_lo, exec_lo, s1
	s_cbranch_vccz .LBB114_218
; %bb.217:
	v_mov_b32_e32 v1, 0
	s_lshl_b64 s[0:1], s[10:11], 2
	s_delay_alu instid0(SALU_CYCLE_1)
	s_add_nc_u64 s[0:1], s[6:7], s[0:1]
	global_load_b32 v1, v1, s[0:1]
	s_wait_loadcnt 0x0
	v_cmp_ne_u32_e32 vcc_lo, 0, v1
	s_cbranch_vccz .LBB114_219
.LBB114_218:
	s_sendmsg sendmsg(MSG_DEALLOC_VGPRS)
	s_endpgm
.LBB114_219:
	s_wait_xcnt 0x0
	v_lshl_add_u32 v1, v0, 3, 0x1a0
	s_mov_b32 s0, exec_lo
	v_cmpx_eq_u32_e32 50, v0
	s_cbranch_execz .LBB114_221
; %bb.220:
	scratch_load_b64 v[104:105], off, off offset:392
	v_mov_b64_e32 v[106:107], 0
	scratch_store_b64 off, v[106:107], off offset:392
	s_wait_loadcnt 0x0
	ds_store_b64 v1, v[104:105]
.LBB114_221:
	s_wait_xcnt 0x0
	s_or_b32 exec_lo, exec_lo, s0
	s_wait_storecnt_dscnt 0x0
	s_barrier_signal -1
	s_barrier_wait -1
	s_clause 0x1
	scratch_load_b64 v[104:105], off, off offset:400
	scratch_load_b64 v[106:107], off, off offset:392
	v_mov_b32_e32 v7, 0
	s_mov_b32 s0, exec_lo
	ds_load_b64 v[108:109], v7 offset:816
	s_wait_loadcnt_dscnt 0x100
	v_pk_mul_f32 v[110:111], v[108:109], v[104:105] op_sel:[1,1] op_sel_hi:[0,1]
	s_delay_alu instid0(VALU_DEP_1) | instskip(SKIP_1) | instid1(VALU_DEP_2)
	v_pk_fma_f32 v[112:113], v[108:109], v[104:105], v[110:111] op_sel_hi:[1,0,1]
	v_pk_fma_f32 v[104:105], v[108:109], v[104:105], v[110:111] neg_lo:[0,0,1] neg_hi:[0,0,1]
	v_mov_b32_e32 v105, v113
	s_delay_alu instid0(VALU_DEP_1) | instskip(SKIP_1) | instid1(VALU_DEP_1)
	v_pk_add_f32 v[104:105], v[104:105], 0 op_sel_hi:[1,0]
	s_wait_loadcnt 0x0
	v_pk_add_f32 v[104:105], v[106:107], v[104:105] neg_lo:[0,1] neg_hi:[0,1]
	scratch_store_b64 off, v[104:105], off offset:392
	s_wait_xcnt 0x0
	v_cmpx_lt_u32_e32 48, v0
	s_cbranch_execz .LBB114_223
; %bb.222:
	scratch_load_b64 v[104:105], off, off offset:384
	v_mov_b64_e32 v[106:107], 0
	scratch_store_b64 off, v[106:107], off offset:384
	s_wait_loadcnt 0x0
	ds_store_b64 v1, v[104:105]
.LBB114_223:
	s_wait_xcnt 0x0
	s_or_b32 exec_lo, exec_lo, s0
	s_wait_storecnt_dscnt 0x0
	s_barrier_signal -1
	s_barrier_wait -1
	s_clause 0x1
	scratch_load_b128 v[104:107], off, off offset:392
	scratch_load_b64 v[112:113], off, off offset:384
	ds_load_2addr_b64 v[108:111], v7 offset0:101 offset1:102
	s_mov_b32 s0, exec_lo
	s_wait_dscnt 0x0
	v_dual_mov_b32 v114, v111 :: v_dual_mov_b32 v115, v110
	s_wait_loadcnt 0x1
	v_pk_mul_f32 v[116:117], v[108:109], v[104:105] op_sel:[1,1] op_sel_hi:[0,1]
	s_delay_alu instid0(VALU_DEP_1) | instskip(SKIP_2) | instid1(VALU_DEP_3)
	v_pk_fma_f32 v[120:121], v[108:109], v[104:105], v[116:117] op_sel_hi:[1,0,1]
	v_mov_b32_e32 v118, v107
	v_pk_fma_f32 v[104:105], v[108:109], v[104:105], v[116:117] neg_lo:[0,0,1] neg_hi:[0,0,1]
	v_mov_b32_e32 v105, v121
	s_delay_alu instid0(VALU_DEP_3) | instskip(NEXT) | instid1(VALU_DEP_2)
	v_pk_mul_f32 v[114:115], v[114:115], v[118:119] op_sel_hi:[1,0]
	v_pk_add_f32 v[104:105], v[104:105], 0 op_sel_hi:[1,0]
	s_delay_alu instid0(VALU_DEP_2) | instskip(SKIP_1) | instid1(VALU_DEP_2)
	v_pk_fma_f32 v[108:109], v[110:111], v[106:107], v[114:115] op_sel_hi:[1,0,1]
	v_pk_fma_f32 v[106:107], v[110:111], v[106:107], v[114:115] neg_lo:[0,0,1] neg_hi:[0,0,1]
	v_mov_b32_e32 v107, v109
	s_delay_alu instid0(VALU_DEP_1) | instskip(SKIP_1) | instid1(VALU_DEP_1)
	v_pk_add_f32 v[104:105], v[104:105], v[106:107]
	s_wait_loadcnt 0x0
	v_pk_add_f32 v[104:105], v[112:113], v[104:105] neg_lo:[0,1] neg_hi:[0,1]
	scratch_store_b64 off, v[104:105], off offset:384
	s_wait_xcnt 0x0
	v_cmpx_lt_u32_e32 47, v0
	s_cbranch_execz .LBB114_225
; %bb.224:
	scratch_load_b64 v[104:105], off, off offset:376
	v_mov_b64_e32 v[106:107], 0
	scratch_store_b64 off, v[106:107], off offset:376
	s_wait_loadcnt 0x0
	ds_store_b64 v1, v[104:105]
.LBB114_225:
	s_wait_xcnt 0x0
	s_or_b32 exec_lo, exec_lo, s0
	s_wait_storecnt_dscnt 0x0
	s_barrier_signal -1
	s_barrier_wait -1
	s_clause 0x2
	scratch_load_b128 v[104:107], off, off offset:384
	scratch_load_b64 v[112:113], off, off offset:400
	scratch_load_b64 v[114:115], off, off offset:376
	v_mov_b32_e32 v7, 0
	ds_load_b128 v[108:111], v7 offset:800
	ds_load_b64 v[116:117], v7 offset:816
	s_mov_b32 s0, exec_lo
	s_wait_dscnt 0x1
	v_dual_mov_b32 v118, v111 :: v_dual_mov_b32 v119, v110
	s_wait_loadcnt 0x2
	v_mov_b32_e32 v122, v107
	v_pk_mul_f32 v[120:121], v[108:109], v[104:105] op_sel:[1,1] op_sel_hi:[0,1]
	s_delay_alu instid0(VALU_DEP_2) | instskip(NEXT) | instid1(VALU_DEP_2)
	v_pk_mul_f32 v[118:119], v[118:119], v[122:123] op_sel_hi:[1,0]
	v_pk_fma_f32 v[124:125], v[108:109], v[104:105], v[120:121] op_sel_hi:[1,0,1]
	v_pk_fma_f32 v[104:105], v[108:109], v[104:105], v[120:121] neg_lo:[0,0,1] neg_hi:[0,0,1]
	s_wait_loadcnt_dscnt 0x100
	v_pk_mul_f32 v[120:121], v[116:117], v[112:113] op_sel:[1,1] op_sel_hi:[0,1]
	v_pk_fma_f32 v[108:109], v[110:111], v[106:107], v[118:119] op_sel_hi:[1,0,1]
	v_mov_b32_e32 v105, v125
	v_pk_fma_f32 v[106:107], v[110:111], v[106:107], v[118:119] neg_lo:[0,0,1] neg_hi:[0,0,1]
	s_delay_alu instid0(VALU_DEP_4) | instskip(NEXT) | instid1(VALU_DEP_4)
	v_pk_fma_f32 v[110:111], v[116:117], v[112:113], v[120:121] neg_lo:[0,0,1] neg_hi:[0,0,1]
	v_mov_b32_e32 v107, v109
	s_delay_alu instid0(VALU_DEP_4) | instskip(SKIP_1) | instid1(VALU_DEP_2)
	v_pk_add_f32 v[104:105], v[104:105], 0 op_sel_hi:[1,0]
	v_pk_fma_f32 v[108:109], v[116:117], v[112:113], v[120:121] op_sel_hi:[1,0,1]
	v_pk_add_f32 v[104:105], v[104:105], v[106:107]
	s_delay_alu instid0(VALU_DEP_2) | instskip(NEXT) | instid1(VALU_DEP_1)
	v_mov_b32_e32 v111, v109
	v_pk_add_f32 v[104:105], v[104:105], v[110:111]
	s_wait_loadcnt 0x0
	s_delay_alu instid0(VALU_DEP_1)
	v_pk_add_f32 v[104:105], v[114:115], v[104:105] neg_lo:[0,1] neg_hi:[0,1]
	scratch_store_b64 off, v[104:105], off offset:376
	s_wait_xcnt 0x0
	v_cmpx_lt_u32_e32 46, v0
	s_cbranch_execz .LBB114_227
; %bb.226:
	scratch_load_b64 v[104:105], off, off offset:368
	v_mov_b64_e32 v[106:107], 0
	scratch_store_b64 off, v[106:107], off offset:368
	s_wait_loadcnt 0x0
	ds_store_b64 v1, v[104:105]
.LBB114_227:
	s_wait_xcnt 0x0
	s_or_b32 exec_lo, exec_lo, s0
	s_wait_storecnt_dscnt 0x0
	s_barrier_signal -1
	s_barrier_wait -1
	s_clause 0x2
	scratch_load_b128 v[104:107], off, off offset:376
	scratch_load_b128 v[108:111], off, off offset:392
	scratch_load_b64 v[120:121], off, off offset:368
	ds_load_2addr_b64 v[112:115], v7 offset0:99 offset1:100
	ds_load_2addr_b64 v[116:119], v7 offset0:101 offset1:102
	s_mov_b32 s0, exec_lo
	s_wait_dscnt 0x1
	v_dual_mov_b32 v122, v115 :: v_dual_mov_b32 v123, v114
	s_wait_loadcnt_dscnt 0x200
	v_dual_mov_b32 v128, v119 :: v_dual_mov_b32 v126, v107
	v_pk_mul_f32 v[124:125], v[112:113], v[104:105] op_sel:[1,1] op_sel_hi:[0,1]
	s_delay_alu instid0(VALU_DEP_2) | instskip(NEXT) | instid1(VALU_DEP_2)
	v_pk_mul_f32 v[122:123], v[122:123], v[126:127] op_sel_hi:[1,0]
	v_pk_fma_f32 v[130:131], v[112:113], v[104:105], v[124:125] op_sel_hi:[1,0,1]
	v_pk_fma_f32 v[104:105], v[112:113], v[104:105], v[124:125] neg_lo:[0,0,1] neg_hi:[0,0,1]
	v_mov_b32_e32 v129, v118
	s_wait_loadcnt 0x1
	v_pk_mul_f32 v[126:127], v[116:117], v[108:109] op_sel:[1,1] op_sel_hi:[0,1]
	v_pk_fma_f32 v[112:113], v[114:115], v[106:107], v[122:123] op_sel_hi:[1,0,1]
	v_dual_mov_b32 v105, v131 :: v_dual_mov_b32 v112, v111
	v_pk_fma_f32 v[106:107], v[114:115], v[106:107], v[122:123] neg_lo:[0,0,1] neg_hi:[0,0,1]
	s_delay_alu instid0(VALU_DEP_4) | instskip(NEXT) | instid1(VALU_DEP_4)
	v_pk_fma_f32 v[124:125], v[116:117], v[108:109], v[126:127] op_sel_hi:[1,0,1]
	v_mov_b32_e32 v107, v113
	s_delay_alu instid0(VALU_DEP_4) | instskip(SKIP_2) | instid1(VALU_DEP_3)
	v_pk_add_f32 v[104:105], v[104:105], 0 op_sel_hi:[1,0]
	v_pk_mul_f32 v[112:113], v[128:129], v[112:113] op_sel_hi:[1,0]
	v_pk_fma_f32 v[108:109], v[116:117], v[108:109], v[126:127] neg_lo:[0,0,1] neg_hi:[0,0,1]
	v_pk_add_f32 v[104:105], v[104:105], v[106:107]
	s_delay_alu instid0(VALU_DEP_3) | instskip(SKIP_2) | instid1(VALU_DEP_3)
	v_pk_fma_f32 v[106:107], v[118:119], v[110:111], v[112:113] op_sel_hi:[1,0,1]
	v_mov_b32_e32 v109, v125
	v_pk_fma_f32 v[110:111], v[118:119], v[110:111], v[112:113] neg_lo:[0,0,1] neg_hi:[0,0,1]
	v_mov_b32_e32 v111, v107
	s_delay_alu instid0(VALU_DEP_3) | instskip(NEXT) | instid1(VALU_DEP_1)
	v_pk_add_f32 v[104:105], v[104:105], v[108:109]
	v_pk_add_f32 v[104:105], v[104:105], v[110:111]
	s_wait_loadcnt 0x0
	s_delay_alu instid0(VALU_DEP_1)
	v_pk_add_f32 v[104:105], v[120:121], v[104:105] neg_lo:[0,1] neg_hi:[0,1]
	scratch_store_b64 off, v[104:105], off offset:368
	s_wait_xcnt 0x0
	v_cmpx_lt_u32_e32 45, v0
	s_cbranch_execz .LBB114_229
; %bb.228:
	scratch_load_b64 v[104:105], off, off offset:360
	v_mov_b64_e32 v[106:107], 0
	scratch_store_b64 off, v[106:107], off offset:360
	s_wait_loadcnt 0x0
	ds_store_b64 v1, v[104:105]
.LBB114_229:
	s_wait_xcnt 0x0
	s_or_b32 exec_lo, exec_lo, s0
	s_wait_storecnt_dscnt 0x0
	s_barrier_signal -1
	s_barrier_wait -1
	s_clause 0x3
	scratch_load_b128 v[104:107], off, off offset:368
	scratch_load_b128 v[108:111], off, off offset:384
	scratch_load_b64 v[120:121], off, off offset:400
	scratch_load_b64 v[122:123], off, off offset:360
	v_mov_b32_e32 v7, 0
	ds_load_b128 v[112:115], v7 offset:784
	ds_load_b128 v[116:119], v7 offset:800
	s_mov_b32 s0, exec_lo
	s_wait_dscnt 0x1
	v_dual_mov_b32 v124, v115 :: v_dual_mov_b32 v125, v114
	ds_load_b64 v[130:131], v7 offset:816
	s_wait_dscnt 0x1
	v_dual_mov_b32 v132, v119 :: v_dual_mov_b32 v133, v118
	s_wait_loadcnt 0x3
	v_pk_mul_f32 v[126:127], v[112:113], v[104:105] op_sel:[1,1] op_sel_hi:[0,1]
	v_mov_b32_e32 v128, v107
	s_delay_alu instid0(VALU_DEP_2) | instskip(NEXT) | instid1(VALU_DEP_2)
	v_pk_fma_f32 v[134:135], v[112:113], v[104:105], v[126:127] op_sel_hi:[1,0,1]
	v_pk_mul_f32 v[124:125], v[124:125], v[128:129] op_sel_hi:[1,0]
	v_pk_fma_f32 v[104:105], v[112:113], v[104:105], v[126:127] neg_lo:[0,0,1] neg_hi:[0,0,1]
	s_wait_loadcnt 0x2
	v_pk_mul_f32 v[128:129], v[116:117], v[108:109] op_sel:[1,1] op_sel_hi:[0,1]
	v_dual_mov_b32 v134, v111 :: v_dual_mov_b32 v105, v135
	v_pk_fma_f32 v[112:113], v[114:115], v[106:107], v[124:125] op_sel_hi:[1,0,1]
	v_pk_fma_f32 v[106:107], v[114:115], v[106:107], v[124:125] neg_lo:[0,0,1] neg_hi:[0,0,1]
	s_delay_alu instid0(VALU_DEP_4) | instskip(NEXT) | instid1(VALU_DEP_4)
	v_pk_fma_f32 v[126:127], v[116:117], v[108:109], v[128:129] op_sel_hi:[1,0,1]
	v_pk_mul_f32 v[132:133], v[132:133], v[134:135] op_sel_hi:[1,0]
	v_pk_add_f32 v[104:105], v[104:105], 0 op_sel_hi:[1,0]
	v_mov_b32_e32 v107, v113
	v_pk_fma_f32 v[108:109], v[116:117], v[108:109], v[128:129] neg_lo:[0,0,1] neg_hi:[0,0,1]
	v_mov_b32_e32 v109, v127
	v_pk_fma_f32 v[112:113], v[118:119], v[110:111], v[132:133] op_sel_hi:[1,0,1]
	v_pk_fma_f32 v[110:111], v[118:119], v[110:111], v[132:133] neg_lo:[0,0,1] neg_hi:[0,0,1]
	v_pk_add_f32 v[104:105], v[104:105], v[106:107]
	s_wait_loadcnt_dscnt 0x100
	v_pk_mul_f32 v[106:107], v[130:131], v[120:121] op_sel:[1,1] op_sel_hi:[0,1]
	s_delay_alu instid0(VALU_DEP_2) | instskip(NEXT) | instid1(VALU_DEP_2)
	v_pk_add_f32 v[104:105], v[104:105], v[108:109]
	v_pk_fma_f32 v[108:109], v[130:131], v[120:121], v[106:107] op_sel_hi:[1,0,1]
	v_mov_b32_e32 v111, v113
	v_pk_fma_f32 v[106:107], v[130:131], v[120:121], v[106:107] neg_lo:[0,0,1] neg_hi:[0,0,1]
	s_delay_alu instid0(VALU_DEP_3) | instskip(NEXT) | instid1(VALU_DEP_3)
	v_mov_b32_e32 v107, v109
	v_pk_add_f32 v[104:105], v[104:105], v[110:111]
	s_delay_alu instid0(VALU_DEP_1) | instskip(SKIP_1) | instid1(VALU_DEP_1)
	v_pk_add_f32 v[104:105], v[104:105], v[106:107]
	s_wait_loadcnt 0x0
	v_pk_add_f32 v[104:105], v[122:123], v[104:105] neg_lo:[0,1] neg_hi:[0,1]
	scratch_store_b64 off, v[104:105], off offset:360
	s_wait_xcnt 0x0
	v_cmpx_lt_u32_e32 44, v0
	s_cbranch_execz .LBB114_231
; %bb.230:
	scratch_load_b64 v[104:105], off, off offset:352
	v_mov_b64_e32 v[106:107], 0
	scratch_store_b64 off, v[106:107], off offset:352
	s_wait_loadcnt 0x0
	ds_store_b64 v1, v[104:105]
.LBB114_231:
	s_wait_xcnt 0x0
	s_or_b32 exec_lo, exec_lo, s0
	s_wait_storecnt_dscnt 0x0
	s_barrier_signal -1
	s_barrier_wait -1
	s_clause 0x3
	scratch_load_b128 v[104:107], off, off offset:360
	scratch_load_b128 v[108:111], off, off offset:376
	;; [unrolled: 1-line block ×3, first 2 shown]
	scratch_load_b64 v[128:129], off, off offset:352
	ds_load_2addr_b64 v[116:119], v7 offset0:97 offset1:98
	ds_load_2addr_b64 v[120:123], v7 offset0:99 offset1:100
	;; [unrolled: 1-line block ×3, first 2 shown]
	s_mov_b32 s0, exec_lo
	s_wait_dscnt 0x2
	v_dual_mov_b32 v130, v119 :: v_dual_mov_b32 v131, v118
	s_wait_dscnt 0x1
	v_dual_mov_b32 v132, v123 :: v_dual_mov_b32 v133, v122
	;; [unrolled: 2-line block ×3, first 2 shown]
	s_wait_loadcnt 0x3
	v_pk_mul_f32 v[134:135], v[116:117], v[104:105] op_sel:[1,1] op_sel_hi:[0,1]
	v_mov_b32_e32 v136, v107
	s_delay_alu instid0(VALU_DEP_2) | instskip(NEXT) | instid1(VALU_DEP_2)
	v_pk_fma_f32 v[140:141], v[116:117], v[104:105], v[134:135] op_sel_hi:[1,0,1]
	v_pk_mul_f32 v[130:131], v[130:131], v[136:137] op_sel_hi:[1,0]
	v_pk_fma_f32 v[104:105], v[116:117], v[104:105], v[134:135] neg_lo:[0,0,1] neg_hi:[0,0,1]
	s_wait_loadcnt 0x2
	v_pk_mul_f32 v[136:137], v[120:121], v[108:109] op_sel:[1,1] op_sel_hi:[0,1]
	v_mov_b32_e32 v140, v111
	v_pk_fma_f32 v[116:117], v[118:119], v[106:107], v[130:131] op_sel_hi:[1,0,1]
	v_mov_b32_e32 v105, v141
	v_pk_fma_f32 v[106:107], v[118:119], v[106:107], v[130:131] neg_lo:[0,0,1] neg_hi:[0,0,1]
	v_pk_fma_f32 v[134:135], v[120:121], v[108:109], v[136:137] op_sel_hi:[1,0,1]
	v_pk_mul_f32 v[132:133], v[132:133], v[140:141] op_sel_hi:[1,0]
	v_mov_b32_e32 v107, v117
	v_pk_add_f32 v[104:105], v[104:105], 0 op_sel_hi:[1,0]
	v_pk_fma_f32 v[108:109], v[120:121], v[108:109], v[136:137] neg_lo:[0,0,1] neg_hi:[0,0,1]
	s_wait_loadcnt 0x1
	v_pk_mul_f32 v[116:117], v[124:125], v[112:113] op_sel:[1,1] op_sel_hi:[0,1]
	v_mov_b32_e32 v109, v135
	v_pk_fma_f32 v[118:119], v[122:123], v[110:111], v[132:133] op_sel_hi:[1,0,1]
	v_pk_add_f32 v[104:105], v[104:105], v[106:107]
	v_mov_b32_e32 v106, v115
	v_pk_fma_f32 v[110:111], v[122:123], v[110:111], v[132:133] neg_lo:[0,0,1] neg_hi:[0,0,1]
	v_pk_fma_f32 v[120:121], v[124:125], v[112:113], v[116:117] op_sel_hi:[1,0,1]
	v_mov_b32_e32 v111, v119
	v_pk_add_f32 v[104:105], v[104:105], v[108:109]
	v_pk_mul_f32 v[106:107], v[138:139], v[106:107] op_sel_hi:[1,0]
	v_pk_fma_f32 v[108:109], v[124:125], v[112:113], v[116:117] neg_lo:[0,0,1] neg_hi:[0,0,1]
	v_mov_b32_e32 v109, v121
	s_delay_alu instid0(VALU_DEP_4) | instskip(NEXT) | instid1(VALU_DEP_4)
	v_pk_add_f32 v[104:105], v[104:105], v[110:111]
	v_pk_fma_f32 v[110:111], v[126:127], v[114:115], v[106:107] op_sel_hi:[1,0,1]
	v_pk_fma_f32 v[106:107], v[126:127], v[114:115], v[106:107] neg_lo:[0,0,1] neg_hi:[0,0,1]
	s_delay_alu instid0(VALU_DEP_3) | instskip(NEXT) | instid1(VALU_DEP_3)
	v_pk_add_f32 v[104:105], v[104:105], v[108:109]
	v_mov_b32_e32 v107, v111
	s_delay_alu instid0(VALU_DEP_1) | instskip(SKIP_1) | instid1(VALU_DEP_1)
	v_pk_add_f32 v[104:105], v[104:105], v[106:107]
	s_wait_loadcnt 0x0
	v_pk_add_f32 v[104:105], v[128:129], v[104:105] neg_lo:[0,1] neg_hi:[0,1]
	scratch_store_b64 off, v[104:105], off offset:352
	s_wait_xcnt 0x0
	v_cmpx_lt_u32_e32 43, v0
	s_cbranch_execz .LBB114_233
; %bb.232:
	scratch_load_b64 v[104:105], off, off offset:344
	v_mov_b64_e32 v[106:107], 0
	scratch_store_b64 off, v[106:107], off offset:344
	s_wait_loadcnt 0x0
	ds_store_b64 v1, v[104:105]
.LBB114_233:
	s_wait_xcnt 0x0
	s_or_b32 exec_lo, exec_lo, s0
	s_wait_storecnt_dscnt 0x0
	s_barrier_signal -1
	s_barrier_wait -1
	s_clause 0x4
	scratch_load_b128 v[104:107], off, off offset:352
	scratch_load_b128 v[108:111], off, off offset:368
	;; [unrolled: 1-line block ×3, first 2 shown]
	scratch_load_b64 v[128:129], off, off offset:400
	scratch_load_b64 v[130:131], off, off offset:344
	v_mov_b32_e32 v7, 0
	ds_load_b128 v[116:119], v7 offset:768
	ds_load_b128 v[120:123], v7 offset:784
	;; [unrolled: 1-line block ×3, first 2 shown]
	ds_load_b64 v[132:133], v7 offset:816
	s_mov_b32 s0, exec_lo
	s_wait_dscnt 0x3
	v_dual_mov_b32 v134, v119 :: v_dual_mov_b32 v135, v118
	s_wait_dscnt 0x2
	v_dual_mov_b32 v136, v123 :: v_dual_mov_b32 v137, v122
	;; [unrolled: 2-line block ×3, first 2 shown]
	s_wait_loadcnt 0x4
	v_pk_mul_f32 v[138:139], v[116:117], v[104:105] op_sel:[1,1] op_sel_hi:[0,1]
	v_mov_b32_e32 v140, v107
	s_wait_loadcnt 0x3
	v_pk_mul_f32 v[144:145], v[120:121], v[108:109] op_sel:[1,1] op_sel_hi:[0,1]
	s_wait_loadcnt 0x2
	v_pk_mul_f32 v[148:149], v[124:125], v[112:113] op_sel:[1,1] op_sel_hi:[0,1]
	v_pk_fma_f32 v[146:147], v[116:117], v[104:105], v[138:139] op_sel_hi:[1,0,1]
	v_pk_mul_f32 v[134:135], v[134:135], v[140:141] op_sel_hi:[1,0]
	v_pk_fma_f32 v[104:105], v[116:117], v[104:105], v[138:139] neg_lo:[0,0,1] neg_hi:[0,0,1]
	v_mov_b32_e32 v140, v111
	v_pk_fma_f32 v[138:139], v[120:121], v[108:109], v[144:145] op_sel_hi:[1,0,1]
	v_mov_b32_e32 v105, v147
	v_pk_fma_f32 v[116:117], v[118:119], v[106:107], v[134:135] op_sel_hi:[1,0,1]
	v_pk_fma_f32 v[106:107], v[118:119], v[106:107], v[134:135] neg_lo:[0,0,1] neg_hi:[0,0,1]
	v_pk_mul_f32 v[136:137], v[136:137], v[140:141] op_sel_hi:[1,0]
	v_pk_fma_f32 v[108:109], v[120:121], v[108:109], v[144:145] neg_lo:[0,0,1] neg_hi:[0,0,1]
	v_pk_add_f32 v[104:105], v[104:105], 0 op_sel_hi:[1,0]
	v_dual_mov_b32 v107, v117 :: v_dual_mov_b32 v116, v115
	s_delay_alu instid0(VALU_DEP_4) | instskip(SKIP_2) | instid1(VALU_DEP_4)
	v_pk_fma_f32 v[118:119], v[122:123], v[110:111], v[136:137] op_sel_hi:[1,0,1]
	v_mov_b32_e32 v109, v139
	v_pk_fma_f32 v[110:111], v[122:123], v[110:111], v[136:137] neg_lo:[0,0,1] neg_hi:[0,0,1]
	v_pk_add_f32 v[104:105], v[104:105], v[106:107]
	v_pk_fma_f32 v[106:107], v[124:125], v[112:113], v[148:149] op_sel_hi:[1,0,1]
	v_pk_mul_f32 v[116:117], v[142:143], v[116:117] op_sel_hi:[1,0]
	v_mov_b32_e32 v111, v119
	s_delay_alu instid0(VALU_DEP_4)
	v_pk_add_f32 v[104:105], v[104:105], v[108:109]
	v_pk_fma_f32 v[108:109], v[124:125], v[112:113], v[148:149] neg_lo:[0,0,1] neg_hi:[0,0,1]
	v_mov_b32_e32 v109, v107
	v_pk_fma_f32 v[106:107], v[126:127], v[114:115], v[116:117] op_sel_hi:[1,0,1]
	v_pk_fma_f32 v[112:113], v[126:127], v[114:115], v[116:117] neg_lo:[0,0,1] neg_hi:[0,0,1]
	v_pk_add_f32 v[104:105], v[104:105], v[110:111]
	s_wait_loadcnt_dscnt 0x100
	v_pk_mul_f32 v[110:111], v[132:133], v[128:129] op_sel:[1,1] op_sel_hi:[0,1]
	v_mov_b32_e32 v113, v107
	s_delay_alu instid0(VALU_DEP_3) | instskip(NEXT) | instid1(VALU_DEP_3)
	v_pk_add_f32 v[104:105], v[104:105], v[108:109]
	v_pk_fma_f32 v[106:107], v[132:133], v[128:129], v[110:111] op_sel_hi:[1,0,1]
	v_pk_fma_f32 v[108:109], v[132:133], v[128:129], v[110:111] neg_lo:[0,0,1] neg_hi:[0,0,1]
	s_delay_alu instid0(VALU_DEP_3) | instskip(NEXT) | instid1(VALU_DEP_3)
	v_pk_add_f32 v[104:105], v[104:105], v[112:113]
	v_mov_b32_e32 v109, v107
	s_delay_alu instid0(VALU_DEP_1) | instskip(SKIP_1) | instid1(VALU_DEP_1)
	v_pk_add_f32 v[104:105], v[104:105], v[108:109]
	s_wait_loadcnt 0x0
	v_pk_add_f32 v[104:105], v[130:131], v[104:105] neg_lo:[0,1] neg_hi:[0,1]
	scratch_store_b64 off, v[104:105], off offset:344
	s_wait_xcnt 0x0
	v_cmpx_lt_u32_e32 42, v0
	s_cbranch_execz .LBB114_235
; %bb.234:
	scratch_load_b64 v[104:105], off, off offset:336
	v_mov_b64_e32 v[106:107], 0
	scratch_store_b64 off, v[106:107], off offset:336
	s_wait_loadcnt 0x0
	ds_store_b64 v1, v[104:105]
.LBB114_235:
	s_wait_xcnt 0x0
	s_or_b32 exec_lo, exec_lo, s0
	s_wait_storecnt_dscnt 0x0
	s_barrier_signal -1
	s_barrier_wait -1
	s_clause 0x4
	scratch_load_b128 v[104:107], off, off offset:344
	scratch_load_b128 v[108:111], off, off offset:360
	;; [unrolled: 1-line block ×4, first 2 shown]
	scratch_load_b64 v[136:137], off, off offset:336
	ds_load_2addr_b64 v[120:123], v7 offset0:95 offset1:96
	ds_load_2addr_b64 v[124:127], v7 offset0:97 offset1:98
	;; [unrolled: 1-line block ×4, first 2 shown]
	s_mov_b32 s0, exec_lo
	s_wait_dscnt 0x3
	v_dual_mov_b32 v138, v123 :: v_dual_mov_b32 v139, v122
	s_wait_dscnt 0x2
	v_dual_mov_b32 v140, v127 :: v_dual_mov_b32 v141, v126
	;; [unrolled: 2-line block ×3, first 2 shown]
	v_dual_mov_b32 v143, v130 :: v_dual_mov_b32 v148, v135
	s_wait_loadcnt 0x4
	v_mov_b32_e32 v146, v107
	v_pk_mul_f32 v[144:145], v[120:121], v[104:105] op_sel:[1,1] op_sel_hi:[0,1]
	s_wait_loadcnt 0x3
	v_pk_mul_f32 v[150:151], v[124:125], v[108:109] op_sel:[1,1] op_sel_hi:[0,1]
	s_wait_loadcnt 0x2
	v_pk_mul_f32 v[154:155], v[128:129], v[112:113] op_sel:[1,1] op_sel_hi:[0,1]
	v_pk_mul_f32 v[138:139], v[138:139], v[146:147] op_sel_hi:[1,0]
	v_pk_fma_f32 v[152:153], v[120:121], v[104:105], v[144:145] op_sel_hi:[1,0,1]
	v_pk_fma_f32 v[104:105], v[120:121], v[104:105], v[144:145] neg_lo:[0,0,1] neg_hi:[0,0,1]
	v_mov_b32_e32 v146, v111
	v_pk_fma_f32 v[144:145], v[124:125], v[108:109], v[150:151] op_sel_hi:[1,0,1]
	v_pk_fma_f32 v[120:121], v[122:123], v[106:107], v[138:139] op_sel_hi:[1,0,1]
	v_mov_b32_e32 v105, v153
	v_pk_fma_f32 v[106:107], v[122:123], v[106:107], v[138:139] neg_lo:[0,0,1] neg_hi:[0,0,1]
	v_pk_mul_f32 v[140:141], v[140:141], v[146:147] op_sel_hi:[1,0]
	s_delay_alu instid0(VALU_DEP_4) | instskip(NEXT) | instid1(VALU_DEP_4)
	v_dual_mov_b32 v120, v115 :: v_dual_mov_b32 v107, v121
	v_pk_add_f32 v[104:105], v[104:105], 0 op_sel_hi:[1,0]
	v_pk_fma_f32 v[108:109], v[124:125], v[108:109], v[150:151] neg_lo:[0,0,1] neg_hi:[0,0,1]
	v_mov_b32_e32 v109, v145
	v_pk_fma_f32 v[122:123], v[126:127], v[110:111], v[140:141] op_sel_hi:[1,0,1]
	v_pk_mul_f32 v[120:121], v[142:143], v[120:121] op_sel_hi:[1,0]
	v_pk_add_f32 v[104:105], v[104:105], v[106:107]
	v_pk_fma_f32 v[106:107], v[128:129], v[112:113], v[154:155] op_sel_hi:[1,0,1]
	v_pk_fma_f32 v[110:111], v[126:127], v[110:111], v[140:141] neg_lo:[0,0,1] neg_hi:[0,0,1]
	v_mov_b32_e32 v111, v123
	v_pk_fma_f32 v[112:113], v[128:129], v[112:113], v[154:155] neg_lo:[0,0,1] neg_hi:[0,0,1]
	v_pk_add_f32 v[104:105], v[104:105], v[108:109]
	v_mov_b32_e32 v113, v107
	v_pk_fma_f32 v[106:107], v[130:131], v[114:115], v[120:121] op_sel_hi:[1,0,1]
	s_wait_loadcnt 0x1
	v_pk_mul_f32 v[108:109], v[132:133], v[116:117] op_sel:[1,1] op_sel_hi:[0,1]
	v_mov_b32_e32 v106, v119
	v_pk_add_f32 v[104:105], v[104:105], v[110:111]
	v_pk_fma_f32 v[114:115], v[130:131], v[114:115], v[120:121] neg_lo:[0,0,1] neg_hi:[0,0,1]
	v_mov_b32_e32 v115, v107
	v_pk_fma_f32 v[110:111], v[132:133], v[116:117], v[108:109] op_sel_hi:[1,0,1]
	v_pk_mul_f32 v[106:107], v[148:149], v[106:107] op_sel_hi:[1,0]
	v_pk_add_f32 v[104:105], v[104:105], v[112:113]
	v_pk_fma_f32 v[108:109], v[132:133], v[116:117], v[108:109] neg_lo:[0,0,1] neg_hi:[0,0,1]
	s_delay_alu instid0(VALU_DEP_4) | instskip(NEXT) | instid1(VALU_DEP_4)
	v_mov_b32_e32 v109, v111
	v_pk_fma_f32 v[110:111], v[134:135], v[118:119], v[106:107] op_sel_hi:[1,0,1]
	s_delay_alu instid0(VALU_DEP_4) | instskip(SKIP_1) | instid1(VALU_DEP_3)
	v_pk_add_f32 v[104:105], v[104:105], v[114:115]
	v_pk_fma_f32 v[106:107], v[134:135], v[118:119], v[106:107] neg_lo:[0,0,1] neg_hi:[0,0,1]
	v_mov_b32_e32 v107, v111
	s_delay_alu instid0(VALU_DEP_3) | instskip(NEXT) | instid1(VALU_DEP_1)
	v_pk_add_f32 v[104:105], v[104:105], v[108:109]
	v_pk_add_f32 v[104:105], v[104:105], v[106:107]
	s_wait_loadcnt 0x0
	s_delay_alu instid0(VALU_DEP_1)
	v_pk_add_f32 v[104:105], v[136:137], v[104:105] neg_lo:[0,1] neg_hi:[0,1]
	scratch_store_b64 off, v[104:105], off offset:336
	s_wait_xcnt 0x0
	v_cmpx_lt_u32_e32 41, v0
	s_cbranch_execz .LBB114_237
; %bb.236:
	scratch_load_b64 v[104:105], off, off offset:328
	v_mov_b64_e32 v[106:107], 0
	scratch_store_b64 off, v[106:107], off offset:328
	s_wait_loadcnt 0x0
	ds_store_b64 v1, v[104:105]
.LBB114_237:
	s_wait_xcnt 0x0
	s_or_b32 exec_lo, exec_lo, s0
	s_wait_storecnt_dscnt 0x0
	s_barrier_signal -1
	s_barrier_wait -1
	s_clause 0x5
	scratch_load_b128 v[104:107], off, off offset:336
	scratch_load_b128 v[108:111], off, off offset:352
	;; [unrolled: 1-line block ×4, first 2 shown]
	scratch_load_b64 v[136:137], off, off offset:400
	scratch_load_b64 v[138:139], off, off offset:328
	v_mov_b32_e32 v7, 0
	ds_load_b128 v[120:123], v7 offset:752
	ds_load_b128 v[124:127], v7 offset:768
	ds_load_b128 v[128:131], v7 offset:784
	ds_load_b128 v[132:135], v7 offset:800
	ds_load_b64 v[140:141], v7 offset:816
	s_mov_b32 s0, exec_lo
	s_wait_dscnt 0x4
	v_dual_mov_b32 v142, v123 :: v_dual_mov_b32 v143, v122
	s_wait_dscnt 0x1
	v_dual_mov_b32 v144, v127 :: v_dual_mov_b32 v149, v134
	v_dual_mov_b32 v145, v126 :: v_dual_mov_b32 v146, v131
	;; [unrolled: 1-line block ×3, first 2 shown]
	s_wait_loadcnt 0x5
	v_dual_mov_b32 v150, v107 :: v_dual_mul_f32 v151, v120, v105
	v_mul_f32_e32 v9, v121, v105
	s_wait_loadcnt 0x4
	v_pk_mul_f32 v[152:153], v[124:125], v[108:109] op_sel:[1,1] op_sel_hi:[0,1]
	v_mov_b32_e32 v154, v111
	s_wait_loadcnt 0x3
	v_pk_mul_f32 v[156:157], v[128:129], v[112:113] op_sel:[1,1] op_sel_hi:[0,1]
	v_pk_mul_f32 v[142:143], v[142:143], v[150:151] op_sel_hi:[1,0]
	v_dual_fmac_f32 v151, v121, v104 :: v_dual_fma_f32 v150, v120, v104, -v9
	v_mov_b32_e32 v104, v115
	v_pk_fma_f32 v[158:159], v[124:125], v[108:109], v[152:153] op_sel_hi:[1,0,1]
	s_delay_alu instid0(VALU_DEP_4)
	v_pk_fma_f32 v[120:121], v[122:123], v[106:107], v[142:143] op_sel_hi:[1,0,1]
	v_pk_fma_f32 v[106:107], v[122:123], v[106:107], v[142:143] neg_lo:[0,0,1] neg_hi:[0,0,1]
	v_pk_mul_f32 v[144:145], v[144:145], v[154:155] op_sel_hi:[1,0]
	v_pk_add_f32 v[150:151], v[150:151], 0 op_sel_hi:[1,0]
	v_pk_fma_f32 v[108:109], v[124:125], v[108:109], v[152:153] neg_lo:[0,0,1] neg_hi:[0,0,1]
	v_dual_mov_b32 v107, v121 :: v_dual_mov_b32 v109, v159
	s_delay_alu instid0(VALU_DEP_4) | instskip(SKIP_2) | instid1(VALU_DEP_4)
	v_pk_fma_f32 v[122:123], v[126:127], v[110:111], v[144:145] op_sel_hi:[1,0,1]
	v_pk_fma_f32 v[110:111], v[126:127], v[110:111], v[144:145] neg_lo:[0,0,1] neg_hi:[0,0,1]
	v_pk_fma_f32 v[124:125], v[128:129], v[112:113], v[156:157] op_sel_hi:[1,0,1]
	v_pk_add_f32 v[106:107], v[150:151], v[106:107]
	v_pk_mul_f32 v[104:105], v[146:147], v[104:105] op_sel_hi:[1,0]
	v_mov_b32_e32 v111, v123
	v_pk_fma_f32 v[112:113], v[128:129], v[112:113], v[156:157] neg_lo:[0,0,1] neg_hi:[0,0,1]
	s_wait_loadcnt 0x2
	v_pk_mul_f32 v[120:121], v[132:133], v[116:117] op_sel:[1,1] op_sel_hi:[0,1]
	v_pk_add_f32 v[106:107], v[106:107], v[108:109]
	v_mov_b32_e32 v108, v119
	v_pk_fma_f32 v[122:123], v[130:131], v[114:115], v[104:105] op_sel_hi:[1,0,1]
	v_mov_b32_e32 v113, v125
	v_pk_fma_f32 v[104:105], v[130:131], v[114:115], v[104:105] neg_lo:[0,0,1] neg_hi:[0,0,1]
	v_pk_add_f32 v[106:107], v[106:107], v[110:111]
	v_pk_fma_f32 v[110:111], v[132:133], v[116:117], v[120:121] op_sel_hi:[1,0,1]
	v_pk_mul_f32 v[108:109], v[148:149], v[108:109] op_sel_hi:[1,0]
	v_mov_b32_e32 v105, v123
	s_delay_alu instid0(VALU_DEP_4)
	v_pk_add_f32 v[106:107], v[106:107], v[112:113]
	v_pk_fma_f32 v[112:113], v[132:133], v[116:117], v[120:121] neg_lo:[0,0,1] neg_hi:[0,0,1]
	v_mov_b32_e32 v113, v111
	v_pk_fma_f32 v[110:111], v[134:135], v[118:119], v[108:109] op_sel_hi:[1,0,1]
	v_pk_fma_f32 v[108:109], v[134:135], v[118:119], v[108:109] neg_lo:[0,0,1] neg_hi:[0,0,1]
	v_pk_add_f32 v[104:105], v[106:107], v[104:105]
	s_wait_loadcnt_dscnt 0x100
	v_pk_mul_f32 v[106:107], v[140:141], v[136:137] op_sel:[1,1] op_sel_hi:[0,1]
	v_mov_b32_e32 v109, v111
	s_delay_alu instid0(VALU_DEP_3) | instskip(NEXT) | instid1(VALU_DEP_3)
	v_pk_add_f32 v[104:105], v[104:105], v[112:113]
	v_pk_fma_f32 v[110:111], v[140:141], v[136:137], v[106:107] op_sel_hi:[1,0,1]
	v_pk_fma_f32 v[106:107], v[140:141], v[136:137], v[106:107] neg_lo:[0,0,1] neg_hi:[0,0,1]
	s_delay_alu instid0(VALU_DEP_3) | instskip(NEXT) | instid1(VALU_DEP_3)
	v_pk_add_f32 v[104:105], v[104:105], v[108:109]
	v_mov_b32_e32 v107, v111
	s_delay_alu instid0(VALU_DEP_1) | instskip(SKIP_1) | instid1(VALU_DEP_1)
	v_pk_add_f32 v[104:105], v[104:105], v[106:107]
	s_wait_loadcnt 0x0
	v_pk_add_f32 v[104:105], v[138:139], v[104:105] neg_lo:[0,1] neg_hi:[0,1]
	scratch_store_b64 off, v[104:105], off offset:328
	s_wait_xcnt 0x0
	v_cmpx_lt_u32_e32 40, v0
	s_cbranch_execz .LBB114_239
; %bb.238:
	scratch_load_b64 v[104:105], off, off offset:320
	v_mov_b64_e32 v[106:107], 0
	scratch_store_b64 off, v[106:107], off offset:320
	s_wait_loadcnt 0x0
	ds_store_b64 v1, v[104:105]
.LBB114_239:
	s_wait_xcnt 0x0
	s_or_b32 exec_lo, exec_lo, s0
	s_wait_storecnt_dscnt 0x0
	s_barrier_signal -1
	s_barrier_wait -1
	s_clause 0x5
	scratch_load_b128 v[104:107], off, off offset:328
	scratch_load_b128 v[108:111], off, off offset:344
	scratch_load_b128 v[112:115], off, off offset:360
	scratch_load_b128 v[116:119], off, off offset:376
	scratch_load_b128 v[120:123], off, off offset:392
	scratch_load_b64 v[144:145], off, off offset:320
	ds_load_2addr_b64 v[124:127], v7 offset0:95 offset1:96
	ds_load_2addr_b64 v[128:131], v7 offset0:97 offset1:98
	;; [unrolled: 1-line block ×5, first 2 shown]
	s_mov_b32 s0, exec_lo
	s_wait_dscnt 0x4
	v_dual_mov_b32 v146, v127 :: v_dual_mov_b32 v147, v126
	s_wait_dscnt 0x3
	v_dual_mov_b32 v148, v131 :: v_dual_mov_b32 v149, v130
	;; [unrolled: 2-line block ×4, first 2 shown]
	s_wait_loadcnt_dscnt 0x500
	v_dual_mul_f32 v155, v140, v105 :: v_dual_mul_f32 v157, v142, v107
	v_dual_mul_f32 v7, v141, v105 :: v_dual_mul_f32 v9, v143, v107
	s_wait_loadcnt 0x4
	v_pk_mul_f32 v[158:159], v[124:125], v[108:109] op_sel:[1,1] op_sel_hi:[0,1]
	s_wait_loadcnt 0x3
	v_dual_mov_b32 v160, v111 :: v_dual_mov_b32 v164, v115
	v_dual_fmac_f32 v155, v141, v104 :: v_dual_fmac_f32 v157, v143, v106
	v_dual_fma_f32 v154, v140, v104, -v7 :: v_dual_fma_f32 v156, v142, v106, -v9
	v_pk_fma_f32 v[104:105], v[124:125], v[108:109], v[158:159] op_sel_hi:[1,0,1]
	s_delay_alu instid0(VALU_DEP_4) | instskip(SKIP_1) | instid1(VALU_DEP_4)
	v_pk_mul_f32 v[106:107], v[146:147], v[160:161] op_sel_hi:[1,0]
	v_pk_fma_f32 v[108:109], v[124:125], v[108:109], v[158:159] neg_lo:[0,0,1] neg_hi:[0,0,1]
	v_pk_add_f32 v[140:141], v[154:155], 0 op_sel_hi:[1,0]
	v_pk_mul_f32 v[162:163], v[128:129], v[112:113] op_sel:[1,1] op_sel_hi:[0,1]
	v_mov_b32_e32 v109, v105
	v_pk_fma_f32 v[104:105], v[126:127], v[110:111], v[106:107] op_sel_hi:[1,0,1]
	v_pk_fma_f32 v[106:107], v[126:127], v[110:111], v[106:107] neg_lo:[0,0,1] neg_hi:[0,0,1]
	v_pk_add_f32 v[124:125], v[140:141], v[156:157]
	v_pk_fma_f32 v[140:141], v[128:129], v[112:113], v[162:163] op_sel_hi:[1,0,1]
	v_pk_mul_f32 v[146:147], v[148:149], v[164:165] op_sel_hi:[1,0]
	v_mov_b32_e32 v107, v105
	s_wait_loadcnt 0x2
	v_pk_mul_f32 v[142:143], v[132:133], v[116:117] op_sel:[1,1] op_sel_hi:[0,1]
	v_pk_add_f32 v[104:105], v[124:125], v[108:109]
	v_mov_b32_e32 v108, v119
	v_pk_fma_f32 v[110:111], v[128:129], v[112:113], v[162:163] neg_lo:[0,0,1] neg_hi:[0,0,1]
	v_mov_b32_e32 v111, v141
	v_pk_fma_f32 v[112:113], v[130:131], v[114:115], v[146:147] op_sel_hi:[1,0,1]
	v_pk_add_f32 v[104:105], v[104:105], v[106:107]
	v_pk_fma_f32 v[106:107], v[132:133], v[116:117], v[142:143] op_sel_hi:[1,0,1]
	v_pk_mul_f32 v[108:109], v[150:151], v[108:109] op_sel_hi:[1,0]
	v_pk_fma_f32 v[114:115], v[130:131], v[114:115], v[146:147] neg_lo:[0,0,1] neg_hi:[0,0,1]
	v_mov_b32_e32 v115, v113
	v_pk_add_f32 v[104:105], v[104:105], v[110:111]
	v_pk_fma_f32 v[112:113], v[132:133], v[116:117], v[142:143] neg_lo:[0,0,1] neg_hi:[0,0,1]
	v_mov_b32_e32 v113, v107
	v_pk_fma_f32 v[106:107], v[134:135], v[118:119], v[108:109] op_sel_hi:[1,0,1]
	s_wait_loadcnt 0x1
	v_pk_mul_f32 v[110:111], v[136:137], v[120:121] op_sel:[1,1] op_sel_hi:[0,1]
	v_pk_add_f32 v[104:105], v[104:105], v[114:115]
	v_mov_b32_e32 v106, v123
	v_pk_fma_f32 v[108:109], v[134:135], v[118:119], v[108:109] neg_lo:[0,0,1] neg_hi:[0,0,1]
	v_mov_b32_e32 v109, v107
	v_pk_fma_f32 v[114:115], v[136:137], v[120:121], v[110:111] op_sel_hi:[1,0,1]
	v_pk_add_f32 v[104:105], v[104:105], v[112:113]
	v_pk_mul_f32 v[106:107], v[152:153], v[106:107] op_sel_hi:[1,0]
	v_pk_fma_f32 v[110:111], v[136:137], v[120:121], v[110:111] neg_lo:[0,0,1] neg_hi:[0,0,1]
	s_delay_alu instid0(VALU_DEP_3) | instskip(NEXT) | instid1(VALU_DEP_3)
	v_pk_add_f32 v[104:105], v[104:105], v[108:109]
	v_pk_fma_f32 v[108:109], v[138:139], v[122:123], v[106:107] op_sel_hi:[1,0,1]
	v_mov_b32_e32 v111, v115
	v_pk_fma_f32 v[106:107], v[138:139], v[122:123], v[106:107] neg_lo:[0,0,1] neg_hi:[0,0,1]
	s_delay_alu instid0(VALU_DEP_3) | instskip(NEXT) | instid1(VALU_DEP_3)
	v_mov_b32_e32 v107, v109
	v_pk_add_f32 v[104:105], v[104:105], v[110:111]
	s_delay_alu instid0(VALU_DEP_1) | instskip(SKIP_1) | instid1(VALU_DEP_1)
	v_pk_add_f32 v[104:105], v[104:105], v[106:107]
	s_wait_loadcnt 0x0
	v_pk_add_f32 v[104:105], v[144:145], v[104:105] neg_lo:[0,1] neg_hi:[0,1]
	scratch_store_b64 off, v[104:105], off offset:320
	s_wait_xcnt 0x0
	v_cmpx_lt_u32_e32 39, v0
	s_cbranch_execz .LBB114_241
; %bb.240:
	scratch_load_b64 v[104:105], off, off offset:312
	v_mov_b64_e32 v[106:107], 0
	scratch_store_b64 off, v[106:107], off offset:312
	s_wait_loadcnt 0x0
	ds_store_b64 v1, v[104:105]
.LBB114_241:
	s_wait_xcnt 0x0
	s_or_b32 exec_lo, exec_lo, s0
	s_wait_storecnt_dscnt 0x0
	s_barrier_signal -1
	s_barrier_wait -1
	s_clause 0x6
	scratch_load_b128 v[104:107], off, off offset:320
	scratch_load_b128 v[108:111], off, off offset:336
	;; [unrolled: 1-line block ×5, first 2 shown]
	scratch_load_b64 v[144:145], off, off offset:400
	scratch_load_b64 v[146:147], off, off offset:312
	v_mov_b32_e32 v7, 0
	ds_load_b128 v[124:127], v7 offset:752
	ds_load_b128 v[128:131], v7 offset:768
	;; [unrolled: 1-line block ×5, first 2 shown]
	ds_load_b64 v[148:149], v7 offset:816
	s_mov_b32 s0, exec_lo
	s_wait_dscnt 0x5
	v_dual_mov_b32 v150, v127 :: v_dual_mov_b32 v151, v126
	s_wait_dscnt 0x2
	v_dual_mov_b32 v152, v131 :: v_dual_mov_b32 v157, v138
	v_dual_mov_b32 v153, v130 :: v_dual_mov_b32 v154, v135
	;; [unrolled: 1-line block ×3, first 2 shown]
	s_wait_loadcnt_dscnt 0x601
	v_dual_mul_f32 v9, v140, v105 :: v_dual_mul_f32 v11, v141, v105
	v_dual_mul_f32 v13, v143, v107 :: v_dual_mul_f32 v159, v142, v107
	s_wait_loadcnt 0x5
	v_dual_mul_f32 v161, v124, v109 :: v_dual_mul_f32 v15, v125, v109
	s_wait_loadcnt 0x4
	v_dual_mov_b32 v160, v111 :: v_dual_mov_b32 v164, v115
	v_dual_fmac_f32 v9, v141, v104 :: v_dual_fma_f32 v11, v140, v104, -v11
	v_dual_fma_f32 v158, v142, v106, -v13 :: v_dual_fmac_f32 v159, v143, v106
	s_delay_alu instid0(VALU_DEP_3) | instskip(NEXT) | instid1(VALU_DEP_3)
	v_pk_mul_f32 v[104:105], v[150:151], v[160:161] op_sel_hi:[1,0]
	v_dual_add_f32 v107, 0, v9 :: v_dual_add_f32 v106, 0, v11
	s_wait_loadcnt 0x3
	v_mov_b32_e32 v140, v119
	v_pk_mul_f32 v[162:163], v[128:129], v[112:113] op_sel:[1,1] op_sel_hi:[0,1]
	v_dual_fmac_f32 v161, v125, v108 :: v_dual_fma_f32 v160, v124, v108, -v15
	v_pk_fma_f32 v[108:109], v[126:127], v[110:111], v[104:105] op_sel_hi:[1,0,1]
	v_pk_add_f32 v[106:107], v[106:107], v[158:159]
	v_pk_fma_f32 v[104:105], v[126:127], v[110:111], v[104:105] neg_lo:[0,0,1] neg_hi:[0,0,1]
	v_pk_fma_f32 v[124:125], v[128:129], v[112:113], v[162:163] op_sel_hi:[1,0,1]
	v_pk_mul_f32 v[142:143], v[152:153], v[164:165] op_sel_hi:[1,0]
	v_mov_b32_e32 v105, v109
	v_pk_add_f32 v[106:107], v[106:107], v[160:161]
	v_pk_fma_f32 v[110:111], v[128:129], v[112:113], v[162:163] neg_lo:[0,0,1] neg_hi:[0,0,1]
	v_pk_mul_f32 v[166:167], v[132:133], v[116:117] op_sel:[1,1] op_sel_hi:[0,1]
	v_mov_b32_e32 v111, v125
	v_pk_fma_f32 v[112:113], v[130:131], v[114:115], v[142:143] op_sel_hi:[1,0,1]
	v_pk_add_f32 v[104:105], v[106:107], v[104:105]
	v_pk_fma_f32 v[114:115], v[130:131], v[114:115], v[142:143] neg_lo:[0,0,1] neg_hi:[0,0,1]
	v_pk_fma_f32 v[106:107], v[132:133], v[116:117], v[166:167] op_sel_hi:[1,0,1]
	v_pk_mul_f32 v[124:125], v[154:155], v[140:141] op_sel_hi:[1,0]
	s_wait_loadcnt 0x2
	v_dual_mov_b32 v115, v113 :: v_dual_mov_b32 v106, v123
	v_pk_add_f32 v[104:105], v[104:105], v[110:111]
	v_pk_fma_f32 v[110:111], v[132:133], v[116:117], v[166:167] neg_lo:[0,0,1] neg_hi:[0,0,1]
	v_pk_mul_f32 v[108:109], v[136:137], v[120:121] op_sel:[1,1] op_sel_hi:[0,1]
	v_pk_fma_f32 v[112:113], v[134:135], v[118:119], v[124:125] op_sel_hi:[1,0,1]
	v_mov_b32_e32 v111, v107
	v_pk_add_f32 v[104:105], v[104:105], v[114:115]
	v_pk_fma_f32 v[116:117], v[134:135], v[118:119], v[124:125] neg_lo:[0,0,1] neg_hi:[0,0,1]
	v_pk_fma_f32 v[114:115], v[136:137], v[120:121], v[108:109] op_sel_hi:[1,0,1]
	v_pk_mul_f32 v[106:107], v[156:157], v[106:107] op_sel_hi:[1,0]
	v_mov_b32_e32 v117, v113
	v_pk_add_f32 v[104:105], v[104:105], v[110:111]
	v_pk_fma_f32 v[108:109], v[136:137], v[120:121], v[108:109] neg_lo:[0,0,1] neg_hi:[0,0,1]
	s_wait_loadcnt_dscnt 0x100
	v_pk_mul_f32 v[112:113], v[148:149], v[144:145] op_sel:[1,1] op_sel_hi:[0,1]
	v_pk_fma_f32 v[110:111], v[138:139], v[122:123], v[106:107] op_sel_hi:[1,0,1]
	v_mov_b32_e32 v109, v115
	v_pk_add_f32 v[104:105], v[104:105], v[116:117]
	v_pk_fma_f32 v[106:107], v[138:139], v[122:123], v[106:107] neg_lo:[0,0,1] neg_hi:[0,0,1]
	s_delay_alu instid0(VALU_DEP_4) | instskip(SKIP_1) | instid1(VALU_DEP_4)
	v_mov_b32_e32 v107, v111
	v_pk_fma_f32 v[110:111], v[148:149], v[144:145], v[112:113] neg_lo:[0,0,1] neg_hi:[0,0,1]
	v_pk_add_f32 v[104:105], v[104:105], v[108:109]
	v_pk_fma_f32 v[108:109], v[148:149], v[144:145], v[112:113] op_sel_hi:[1,0,1]
	s_delay_alu instid0(VALU_DEP_2) | instskip(NEXT) | instid1(VALU_DEP_2)
	v_pk_add_f32 v[104:105], v[104:105], v[106:107]
	v_mov_b32_e32 v111, v109
	s_delay_alu instid0(VALU_DEP_1) | instskip(SKIP_1) | instid1(VALU_DEP_1)
	v_pk_add_f32 v[104:105], v[104:105], v[110:111]
	s_wait_loadcnt 0x0
	v_pk_add_f32 v[104:105], v[146:147], v[104:105] neg_lo:[0,1] neg_hi:[0,1]
	scratch_store_b64 off, v[104:105], off offset:312
	s_wait_xcnt 0x0
	v_cmpx_lt_u32_e32 38, v0
	s_cbranch_execz .LBB114_243
; %bb.242:
	scratch_load_b64 v[104:105], off, off offset:304
	v_mov_b64_e32 v[106:107], 0
	scratch_store_b64 off, v[106:107], off offset:304
	s_wait_loadcnt 0x0
	ds_store_b64 v1, v[104:105]
.LBB114_243:
	s_wait_xcnt 0x0
	s_or_b32 exec_lo, exec_lo, s0
	s_wait_storecnt_dscnt 0x0
	s_barrier_signal -1
	s_barrier_wait -1
	s_clause 0x6
	scratch_load_b128 v[104:107], off, off offset:312
	scratch_load_b128 v[108:111], off, off offset:328
	scratch_load_b128 v[112:115], off, off offset:344
	scratch_load_b128 v[116:119], off, off offset:360
	scratch_load_b128 v[120:123], off, off offset:376
	scratch_load_b128 v[124:127], off, off offset:392
	scratch_load_b64 v[152:153], off, off offset:304
	ds_load_2addr_b64 v[128:131], v7 offset0:95 offset1:96
	ds_load_2addr_b64 v[132:135], v7 offset0:97 offset1:98
	;; [unrolled: 1-line block ×6, first 2 shown]
	s_mov_b32 s0, exec_lo
	s_wait_dscnt 0x5
	v_dual_mov_b32 v154, v131 :: v_dual_mov_b32 v155, v130
	s_wait_dscnt 0x4
	v_dual_mov_b32 v156, v135 :: v_dual_mov_b32 v157, v134
	s_wait_dscnt 0x3
	v_dual_mov_b32 v158, v139 :: v_dual_mov_b32 v159, v138
	s_wait_dscnt 0x2
	v_dual_mov_b32 v160, v143 :: v_dual_mov_b32 v161, v142
	s_wait_loadcnt_dscnt 0x601
	v_dual_mul_f32 v7, v144, v105 :: v_dual_mul_f32 v9, v146, v107
	v_dual_mul_f32 v11, v145, v105 :: v_dual_mul_f32 v13, v147, v107
	s_wait_loadcnt 0x4
	s_delay_alu instid0(VALU_DEP_2)
	v_dual_mov_b32 v168, v115 :: v_dual_fmac_f32 v7, v145, v104
	s_wait_dscnt 0x0
	v_dual_mul_f32 v163, v148, v109 :: v_dual_mul_f32 v165, v150, v111
	v_dual_fma_f32 v11, v144, v104, -v11 :: v_dual_fmac_f32 v9, v147, v106
	v_dual_mul_f32 v15, v149, v109 :: v_dual_mul_f32 v17, v151, v111
	v_dual_fma_f32 v13, v146, v106, -v13 :: v_dual_add_f32 v7, 0, v7
	s_wait_loadcnt 0x3
	s_delay_alu instid0(VALU_DEP_3) | instskip(SKIP_3) | instid1(VALU_DEP_4)
	v_dual_add_f32 v11, 0, v11 :: v_dual_mov_b32 v106, v119
	v_pk_mul_f32 v[166:167], v[128:129], v[112:113] op_sel:[1,1] op_sel_hi:[0,1]
	v_pk_mul_f32 v[104:105], v[132:133], v[116:117] op_sel:[1,1] op_sel_hi:[0,1]
	v_dual_fmac_f32 v163, v149, v108 :: v_dual_add_f32 v109, v7, v9
	v_dual_fma_f32 v162, v148, v108, -v15 :: v_dual_add_f32 v108, v11, v13
	v_fmac_f32_e32 v165, v151, v110
	v_fma_f32 v164, v150, v110, -v17
	v_pk_fma_f32 v[110:111], v[128:129], v[112:113], v[166:167] op_sel_hi:[1,0,1]
	v_pk_mul_f32 v[144:145], v[154:155], v[168:169] op_sel_hi:[1,0]
	v_pk_add_f32 v[108:109], v[108:109], v[162:163]
	v_pk_fma_f32 v[112:113], v[128:129], v[112:113], v[166:167] neg_lo:[0,0,1] neg_hi:[0,0,1]
	v_pk_fma_f32 v[128:129], v[132:133], v[116:117], v[104:105] op_sel_hi:[1,0,1]
	v_pk_fma_f32 v[104:105], v[132:133], v[116:117], v[104:105] neg_lo:[0,0,1] neg_hi:[0,0,1]
	v_mov_b32_e32 v113, v111
	v_pk_fma_f32 v[110:111], v[130:131], v[114:115], v[144:145] op_sel_hi:[1,0,1]
	v_pk_fma_f32 v[114:115], v[130:131], v[114:115], v[144:145] neg_lo:[0,0,1] neg_hi:[0,0,1]
	v_mov_b32_e32 v105, v129
	v_pk_add_f32 v[108:109], v[108:109], v[164:165]
	v_pk_mul_f32 v[106:107], v[156:157], v[106:107] op_sel_hi:[1,0]
	s_wait_loadcnt 0x2
	v_dual_mov_b32 v115, v111 :: v_dual_mov_b32 v110, v123
	v_pk_mul_f32 v[146:147], v[136:137], v[120:121] op_sel:[1,1] op_sel_hi:[0,1]
	v_pk_add_f32 v[108:109], v[108:109], v[112:113]
	v_pk_fma_f32 v[112:113], v[134:135], v[118:119], v[106:107] op_sel_hi:[1,0,1]
	v_pk_fma_f32 v[106:107], v[134:135], v[118:119], v[106:107] neg_lo:[0,0,1] neg_hi:[0,0,1]
	v_pk_mul_f32 v[110:111], v[158:159], v[110:111] op_sel_hi:[1,0]
	s_delay_alu instid0(VALU_DEP_4) | instskip(SKIP_3) | instid1(VALU_DEP_4)
	v_pk_add_f32 v[108:109], v[108:109], v[114:115]
	v_pk_fma_f32 v[114:115], v[136:137], v[120:121], v[146:147] op_sel_hi:[1,0,1]
	v_mov_b32_e32 v107, v113
	v_pk_fma_f32 v[112:113], v[136:137], v[120:121], v[146:147] neg_lo:[0,0,1] neg_hi:[0,0,1]
	v_pk_add_f32 v[104:105], v[108:109], v[104:105]
	s_wait_loadcnt 0x1
	v_pk_mul_f32 v[108:109], v[140:141], v[124:125] op_sel:[1,1] op_sel_hi:[0,1]
	v_mov_b32_e32 v113, v115
	v_pk_fma_f32 v[114:115], v[138:139], v[122:123], v[110:111] op_sel_hi:[1,0,1]
	v_pk_fma_f32 v[110:111], v[138:139], v[122:123], v[110:111] neg_lo:[0,0,1] neg_hi:[0,0,1]
	v_pk_add_f32 v[104:105], v[104:105], v[106:107]
	v_mov_b32_e32 v106, v127
	v_pk_fma_f32 v[116:117], v[140:141], v[124:125], v[108:109] op_sel_hi:[1,0,1]
	v_mov_b32_e32 v111, v115
	v_pk_fma_f32 v[108:109], v[140:141], v[124:125], v[108:109] neg_lo:[0,0,1] neg_hi:[0,0,1]
	v_pk_add_f32 v[104:105], v[104:105], v[112:113]
	v_pk_mul_f32 v[106:107], v[160:161], v[106:107] op_sel_hi:[1,0]
	s_delay_alu instid0(VALU_DEP_2) | instskip(NEXT) | instid1(VALU_DEP_2)
	v_pk_add_f32 v[104:105], v[104:105], v[110:111]
	v_pk_fma_f32 v[110:111], v[142:143], v[126:127], v[106:107] op_sel_hi:[1,0,1]
	v_mov_b32_e32 v109, v117
	v_pk_fma_f32 v[106:107], v[142:143], v[126:127], v[106:107] neg_lo:[0,0,1] neg_hi:[0,0,1]
	s_delay_alu instid0(VALU_DEP_3) | instskip(NEXT) | instid1(VALU_DEP_3)
	v_mov_b32_e32 v107, v111
	v_pk_add_f32 v[104:105], v[104:105], v[108:109]
	s_delay_alu instid0(VALU_DEP_1) | instskip(SKIP_1) | instid1(VALU_DEP_1)
	v_pk_add_f32 v[104:105], v[104:105], v[106:107]
	s_wait_loadcnt 0x0
	v_pk_add_f32 v[104:105], v[152:153], v[104:105] neg_lo:[0,1] neg_hi:[0,1]
	scratch_store_b64 off, v[104:105], off offset:304
	s_wait_xcnt 0x0
	v_cmpx_lt_u32_e32 37, v0
	s_cbranch_execz .LBB114_245
; %bb.244:
	scratch_load_b64 v[104:105], off, off offset:296
	v_mov_b64_e32 v[106:107], 0
	scratch_store_b64 off, v[106:107], off offset:296
	s_wait_loadcnt 0x0
	ds_store_b64 v1, v[104:105]
.LBB114_245:
	s_wait_xcnt 0x0
	s_or_b32 exec_lo, exec_lo, s0
	s_wait_storecnt_dscnt 0x0
	s_barrier_signal -1
	s_barrier_wait -1
	s_clause 0x7
	scratch_load_b128 v[104:107], off, off offset:304
	scratch_load_b128 v[108:111], off, off offset:320
	;; [unrolled: 1-line block ×6, first 2 shown]
	scratch_load_b64 v[152:153], off, off offset:400
	scratch_load_b64 v[154:155], off, off offset:296
	v_mov_b32_e32 v7, 0
	ds_load_b128 v[128:131], v7 offset:752
	ds_load_b128 v[132:135], v7 offset:768
	;; [unrolled: 1-line block ×6, first 2 shown]
	ds_load_b64 v[156:157], v7 offset:816
	s_mov_b32 s0, exec_lo
	s_wait_dscnt 0x6
	v_dual_mov_b32 v158, v131 :: v_dual_mov_b32 v159, v130
	s_wait_dscnt 0x3
	v_dual_mov_b32 v160, v135 :: v_dual_mov_b32 v165, v142
	v_dual_mov_b32 v161, v134 :: v_dual_mov_b32 v162, v139
	;; [unrolled: 1-line block ×3, first 2 shown]
	s_wait_loadcnt_dscnt 0x702
	v_dual_mul_f32 v9, v144, v105 :: v_dual_mul_f32 v15, v145, v105
	v_dual_mul_f32 v17, v147, v107 :: v_dual_mul_f32 v11, v146, v107
	s_wait_loadcnt_dscnt 0x601
	s_delay_alu instid0(VALU_DEP_2) | instskip(NEXT) | instid1(VALU_DEP_3)
	v_dual_mul_f32 v13, v148, v109 :: v_dual_fmac_f32 v9, v145, v104
	v_dual_fma_f32 v15, v144, v104, -v15 :: v_dual_mul_f32 v19, v149, v109
	v_mul_f32_e32 v21, v151, v111
	s_wait_loadcnt 0x4
	v_dual_mov_b32 v104, v119 :: v_dual_fma_f32 v17, v146, v106, -v17
	v_dual_fmac_f32 v11, v147, v106 :: v_dual_add_f32 v9, 0, v9
	v_dual_add_f32 v15, 0, v15 :: v_dual_fmac_f32 v13, v149, v108
	v_dual_mul_f32 v167, v150, v111 :: v_dual_mul_f32 v169, v128, v113
	v_dual_mul_f32 v23, v129, v113 :: v_dual_mov_b32 v168, v115
	s_delay_alu instid0(VALU_DEP_4) | instskip(NEXT) | instid1(VALU_DEP_4)
	v_dual_fma_f32 v19, v148, v108, -v19 :: v_dual_add_f32 v9, v9, v11
	v_dual_add_f32 v11, v15, v17 :: v_dual_fma_f32 v166, v150, v110, -v21
	s_delay_alu instid0(VALU_DEP_4) | instskip(NEXT) | instid1(VALU_DEP_4)
	v_fmac_f32_e32 v167, v151, v110
	v_pk_mul_f32 v[108:109], v[158:159], v[168:169] op_sel_hi:[1,0]
	s_delay_alu instid0(VALU_DEP_3)
	v_dual_add_f32 v111, v9, v13 :: v_dual_add_f32 v110, v11, v19
	v_fmac_f32_e32 v169, v129, v112
	v_pk_mul_f32 v[170:171], v[132:133], v[116:117] op_sel:[1,1] op_sel_hi:[0,1]
	s_wait_loadcnt 0x3
	v_dual_mov_b32 v144, v123 :: v_dual_fma_f32 v168, v128, v112, -v23
	v_pk_fma_f32 v[112:113], v[130:131], v[114:115], v[108:109] op_sel_hi:[1,0,1]
	v_pk_add_f32 v[110:111], v[110:111], v[166:167]
	v_pk_fma_f32 v[108:109], v[130:131], v[114:115], v[108:109] neg_lo:[0,0,1] neg_hi:[0,0,1]
	v_pk_fma_f32 v[128:129], v[132:133], v[116:117], v[170:171] op_sel_hi:[1,0,1]
	v_pk_mul_f32 v[104:105], v[160:161], v[104:105] op_sel_hi:[1,0]
	v_mov_b32_e32 v109, v113
	v_pk_add_f32 v[110:111], v[110:111], v[168:169]
	v_pk_fma_f32 v[114:115], v[132:133], v[116:117], v[170:171] neg_lo:[0,0,1] neg_hi:[0,0,1]
	v_pk_mul_f32 v[106:107], v[136:137], v[120:121] op_sel:[1,1] op_sel_hi:[0,1]
	v_mov_b32_e32 v115, v129
	v_pk_fma_f32 v[116:117], v[134:135], v[118:119], v[104:105] op_sel_hi:[1,0,1]
	v_pk_add_f32 v[108:109], v[110:111], v[108:109]
	v_pk_fma_f32 v[104:105], v[134:135], v[118:119], v[104:105] neg_lo:[0,0,1] neg_hi:[0,0,1]
	v_pk_fma_f32 v[110:111], v[136:137], v[120:121], v[106:107] op_sel_hi:[1,0,1]
	v_pk_mul_f32 v[128:129], v[162:163], v[144:145] op_sel_hi:[1,0]
	s_wait_loadcnt 0x2
	v_dual_mov_b32 v105, v117 :: v_dual_mov_b32 v110, v127
	v_pk_add_f32 v[108:109], v[108:109], v[114:115]
	v_pk_fma_f32 v[106:107], v[136:137], v[120:121], v[106:107] neg_lo:[0,0,1] neg_hi:[0,0,1]
	v_pk_mul_f32 v[112:113], v[140:141], v[124:125] op_sel:[1,1] op_sel_hi:[0,1]
	v_pk_fma_f32 v[114:115], v[138:139], v[122:123], v[128:129] op_sel_hi:[1,0,1]
	v_mov_b32_e32 v107, v111
	v_pk_add_f32 v[104:105], v[108:109], v[104:105]
	v_pk_fma_f32 v[116:117], v[138:139], v[122:123], v[128:129] neg_lo:[0,0,1] neg_hi:[0,0,1]
	v_pk_fma_f32 v[108:109], v[140:141], v[124:125], v[112:113] op_sel_hi:[1,0,1]
	v_pk_mul_f32 v[110:111], v[164:165], v[110:111] op_sel_hi:[1,0]
	v_mov_b32_e32 v117, v115
	v_pk_add_f32 v[104:105], v[104:105], v[106:107]
	v_pk_fma_f32 v[106:107], v[140:141], v[124:125], v[112:113] neg_lo:[0,0,1] neg_hi:[0,0,1]
	v_mov_b32_e32 v107, v109
	v_pk_fma_f32 v[108:109], v[142:143], v[126:127], v[110:111] op_sel_hi:[1,0,1]
	s_wait_loadcnt_dscnt 0x100
	v_pk_mul_f32 v[112:113], v[156:157], v[152:153] op_sel:[1,1] op_sel_hi:[0,1]
	v_pk_add_f32 v[104:105], v[104:105], v[116:117]
	v_pk_fma_f32 v[110:111], v[142:143], v[126:127], v[110:111] neg_lo:[0,0,1] neg_hi:[0,0,1]
	v_mov_b32_e32 v111, v109
	s_delay_alu instid0(VALU_DEP_4) | instskip(NEXT) | instid1(VALU_DEP_4)
	v_pk_fma_f32 v[108:109], v[156:157], v[152:153], v[112:113] neg_lo:[0,0,1] neg_hi:[0,0,1]
	v_pk_add_f32 v[104:105], v[104:105], v[106:107]
	v_pk_fma_f32 v[106:107], v[156:157], v[152:153], v[112:113] op_sel_hi:[1,0,1]
	s_delay_alu instid0(VALU_DEP_2) | instskip(NEXT) | instid1(VALU_DEP_2)
	v_pk_add_f32 v[104:105], v[104:105], v[110:111]
	v_mov_b32_e32 v109, v107
	s_delay_alu instid0(VALU_DEP_1) | instskip(SKIP_1) | instid1(VALU_DEP_1)
	v_pk_add_f32 v[104:105], v[104:105], v[108:109]
	s_wait_loadcnt 0x0
	v_pk_add_f32 v[104:105], v[154:155], v[104:105] neg_lo:[0,1] neg_hi:[0,1]
	scratch_store_b64 off, v[104:105], off offset:296
	s_wait_xcnt 0x0
	v_cmpx_lt_u32_e32 36, v0
	s_cbranch_execz .LBB114_247
; %bb.246:
	scratch_load_b64 v[104:105], off, off offset:288
	v_mov_b64_e32 v[106:107], 0
	scratch_store_b64 off, v[106:107], off offset:288
	s_wait_loadcnt 0x0
	ds_store_b64 v1, v[104:105]
.LBB114_247:
	s_wait_xcnt 0x0
	s_or_b32 exec_lo, exec_lo, s0
	s_wait_storecnt_dscnt 0x0
	s_barrier_signal -1
	s_barrier_wait -1
	s_clause 0x7
	scratch_load_b128 v[104:107], off, off offset:296
	scratch_load_b128 v[108:111], off, off offset:312
	;; [unrolled: 1-line block ×7, first 2 shown]
	scratch_load_b64 v[160:161], off, off offset:288
	ds_load_2addr_b64 v[132:135], v7 offset0:95 offset1:96
	ds_load_2addr_b64 v[136:139], v7 offset0:97 offset1:98
	;; [unrolled: 1-line block ×7, first 2 shown]
	s_mov_b32 s0, exec_lo
	s_wait_dscnt 0x6
	v_dual_mov_b32 v162, v135 :: v_dual_mov_b32 v163, v134
	s_wait_dscnt 0x5
	v_dual_mov_b32 v164, v139 :: v_dual_mov_b32 v165, v138
	;; [unrolled: 2-line block ×4, first 2 shown]
	s_wait_loadcnt_dscnt 0x702
	v_dual_mul_f32 v7, v148, v105 :: v_dual_mul_f32 v9, v150, v107
	v_dual_mul_f32 v15, v149, v105 :: v_dual_mul_f32 v17, v151, v107
	s_wait_loadcnt_dscnt 0x601
	v_dual_mul_f32 v11, v152, v109 :: v_dual_mul_f32 v13, v154, v111
	s_delay_alu instid0(VALU_DEP_3) | instskip(NEXT) | instid1(VALU_DEP_3)
	v_dual_fmac_f32 v7, v149, v104 :: v_dual_fmac_f32 v9, v151, v106
	v_dual_fma_f32 v15, v148, v104, -v15 :: v_dual_fma_f32 v17, v150, v106, -v17
	v_dual_mul_f32 v19, v153, v109 :: v_dual_mul_f32 v21, v155, v111
	s_wait_loadcnt 0x4
	s_delay_alu instid0(VALU_DEP_3) | instskip(NEXT) | instid1(VALU_DEP_3)
	v_dual_add_f32 v7, 0, v7 :: v_dual_mov_b32 v106, v119
	v_dual_add_f32 v15, 0, v15 :: v_dual_fmac_f32 v11, v153, v108
	s_delay_alu instid0(VALU_DEP_2) | instskip(SKIP_2) | instid1(VALU_DEP_3)
	v_dual_fma_f32 v19, v152, v108, -v19 :: v_dual_add_f32 v7, v7, v9
	s_wait_dscnt 0x0
	v_dual_mul_f32 v171, v156, v113 :: v_dual_mul_f32 v173, v158, v115
	v_dual_add_f32 v9, v15, v17 :: v_dual_fma_f32 v15, v154, v110, -v21
	v_dual_mul_f32 v23, v157, v113 :: v_dual_mul_f32 v25, v159, v115
	s_delay_alu instid0(VALU_DEP_2) | instskip(NEXT) | instid1(VALU_DEP_4)
	v_dual_fmac_f32 v13, v155, v110 :: v_dual_add_f32 v9, v9, v19
	v_dual_add_f32 v7, v7, v11 :: v_dual_fmac_f32 v171, v157, v112
	v_pk_mul_f32 v[104:105], v[132:133], v[116:117] op_sel:[1,1] op_sel_hi:[0,1]
	s_wait_loadcnt 0x3
	v_pk_mul_f32 v[108:109], v[136:137], v[120:121] op_sel:[1,1] op_sel_hi:[0,1]
	v_dual_mov_b32 v110, v123 :: v_dual_fma_f32 v170, v156, v112, -v23
	v_dual_add_f32 v113, v7, v13 :: v_dual_add_f32 v112, v9, v15
	v_fmac_f32_e32 v173, v159, v114
	v_fma_f32 v172, v158, v114, -v25
	v_pk_fma_f32 v[114:115], v[132:133], v[116:117], v[104:105] op_sel_hi:[1,0,1]
	v_pk_mul_f32 v[106:107], v[162:163], v[106:107] op_sel_hi:[1,0]
	v_pk_add_f32 v[112:113], v[112:113], v[170:171]
	v_pk_fma_f32 v[104:105], v[132:133], v[116:117], v[104:105] neg_lo:[0,0,1] neg_hi:[0,0,1]
	v_pk_fma_f32 v[116:117], v[136:137], v[120:121], v[108:109] op_sel_hi:[1,0,1]
	v_pk_fma_f32 v[108:109], v[136:137], v[120:121], v[108:109] neg_lo:[0,0,1] neg_hi:[0,0,1]
	v_mov_b32_e32 v105, v115
	v_pk_fma_f32 v[114:115], v[134:135], v[118:119], v[106:107] op_sel_hi:[1,0,1]
	v_pk_fma_f32 v[106:107], v[134:135], v[118:119], v[106:107] neg_lo:[0,0,1] neg_hi:[0,0,1]
	v_mov_b32_e32 v109, v117
	v_pk_add_f32 v[112:113], v[112:113], v[172:173]
	v_pk_mul_f32 v[110:111], v[164:165], v[110:111] op_sel_hi:[1,0]
	v_mov_b32_e32 v107, v115
	s_wait_loadcnt 0x2
	v_pk_mul_f32 v[148:149], v[140:141], v[124:125] op_sel:[1,1] op_sel_hi:[0,1]
	v_pk_add_f32 v[104:105], v[112:113], v[104:105]
	v_mov_b32_e32 v112, v127
	v_pk_fma_f32 v[114:115], v[138:139], v[122:123], v[110:111] op_sel_hi:[1,0,1]
	v_pk_fma_f32 v[110:111], v[138:139], v[122:123], v[110:111] neg_lo:[0,0,1] neg_hi:[0,0,1]
	s_delay_alu instid0(VALU_DEP_4)
	v_pk_add_f32 v[104:105], v[104:105], v[106:107]
	v_pk_fma_f32 v[106:107], v[140:141], v[124:125], v[148:149] op_sel_hi:[1,0,1]
	v_pk_mul_f32 v[112:113], v[166:167], v[112:113] op_sel_hi:[1,0]
	v_mov_b32_e32 v111, v115
	v_pk_fma_f32 v[114:115], v[140:141], v[124:125], v[148:149] neg_lo:[0,0,1] neg_hi:[0,0,1]
	v_pk_add_f32 v[104:105], v[104:105], v[108:109]
	v_mov_b32_e32 v115, v107
	v_pk_fma_f32 v[106:107], v[142:143], v[126:127], v[112:113] op_sel_hi:[1,0,1]
	s_wait_loadcnt 0x1
	v_pk_mul_f32 v[108:109], v[144:145], v[128:129] op_sel:[1,1] op_sel_hi:[0,1]
	v_mov_b32_e32 v106, v131
	v_pk_add_f32 v[104:105], v[104:105], v[110:111]
	v_pk_fma_f32 v[112:113], v[142:143], v[126:127], v[112:113] neg_lo:[0,0,1] neg_hi:[0,0,1]
	v_mov_b32_e32 v113, v107
	v_pk_fma_f32 v[110:111], v[144:145], v[128:129], v[108:109] op_sel_hi:[1,0,1]
	v_pk_mul_f32 v[106:107], v[168:169], v[106:107] op_sel_hi:[1,0]
	v_pk_add_f32 v[104:105], v[104:105], v[114:115]
	v_pk_fma_f32 v[108:109], v[144:145], v[128:129], v[108:109] neg_lo:[0,0,1] neg_hi:[0,0,1]
	s_delay_alu instid0(VALU_DEP_4) | instskip(NEXT) | instid1(VALU_DEP_4)
	v_mov_b32_e32 v109, v111
	v_pk_fma_f32 v[110:111], v[146:147], v[130:131], v[106:107] op_sel_hi:[1,0,1]
	s_delay_alu instid0(VALU_DEP_4) | instskip(SKIP_1) | instid1(VALU_DEP_3)
	v_pk_add_f32 v[104:105], v[104:105], v[112:113]
	v_pk_fma_f32 v[106:107], v[146:147], v[130:131], v[106:107] neg_lo:[0,0,1] neg_hi:[0,0,1]
	v_mov_b32_e32 v107, v111
	s_delay_alu instid0(VALU_DEP_3) | instskip(NEXT) | instid1(VALU_DEP_1)
	v_pk_add_f32 v[104:105], v[104:105], v[108:109]
	v_pk_add_f32 v[104:105], v[104:105], v[106:107]
	s_wait_loadcnt 0x0
	s_delay_alu instid0(VALU_DEP_1)
	v_pk_add_f32 v[104:105], v[160:161], v[104:105] neg_lo:[0,1] neg_hi:[0,1]
	scratch_store_b64 off, v[104:105], off offset:288
	s_wait_xcnt 0x0
	v_cmpx_lt_u32_e32 35, v0
	s_cbranch_execz .LBB114_249
; %bb.248:
	scratch_load_b64 v[104:105], off, off offset:280
	v_mov_b64_e32 v[106:107], 0
	scratch_store_b64 off, v[106:107], off offset:280
	s_wait_loadcnt 0x0
	ds_store_b64 v1, v[104:105]
.LBB114_249:
	s_wait_xcnt 0x0
	s_or_b32 exec_lo, exec_lo, s0
	s_wait_storecnt_dscnt 0x0
	s_barrier_signal -1
	s_barrier_wait -1
	s_clause 0x8
	scratch_load_b128 v[104:107], off, off offset:288
	scratch_load_b128 v[108:111], off, off offset:304
	;; [unrolled: 1-line block ×7, first 2 shown]
	scratch_load_b64 v[160:161], off, off offset:400
	scratch_load_b64 v[162:163], off, off offset:280
	v_mov_b32_e32 v7, 0
	ds_load_b128 v[132:135], v7 offset:752
	ds_load_b128 v[136:139], v7 offset:768
	;; [unrolled: 1-line block ×7, first 2 shown]
	ds_load_b64 v[164:165], v7 offset:816
	s_mov_b32 s0, exec_lo
	s_wait_dscnt 0x7
	v_dual_mov_b32 v166, v135 :: v_dual_mov_b32 v167, v134
	s_wait_dscnt 0x4
	v_dual_mov_b32 v168, v139 :: v_dual_mov_b32 v173, v146
	v_dual_mov_b32 v169, v138 :: v_dual_mov_b32 v170, v143
	;; [unrolled: 1-line block ×3, first 2 shown]
	s_wait_loadcnt_dscnt 0x803
	v_dual_mul_f32 v9, v148, v105 :: v_dual_mul_f32 v19, v149, v105
	v_dual_mul_f32 v21, v151, v107 :: v_dual_mul_f32 v11, v150, v107
	s_wait_loadcnt_dscnt 0x702
	v_mul_f32_e32 v13, v152, v109
	s_wait_loadcnt 0x5
	v_dual_mul_f32 v31, v133, v117 :: v_dual_fma_f32 v19, v148, v104, -v19
	v_dual_fmac_f32 v9, v149, v104 :: v_dual_mov_b32 v104, v119
	v_dual_mul_f32 v23, v153, v109 :: v_dual_mul_f32 v25, v155, v111
	v_dual_fmac_f32 v11, v151, v106 :: v_dual_fma_f32 v21, v150, v106, -v21
	s_delay_alu instid0(VALU_DEP_3) | instskip(SKIP_3) | instid1(VALU_DEP_3)
	v_dual_add_f32 v9, 0, v9 :: v_dual_add_f32 v19, 0, v19
	s_wait_dscnt 0x1
	v_dual_mul_f32 v15, v154, v111 :: v_dual_mul_f32 v17, v156, v113
	v_dual_fmac_f32 v13, v153, v108 :: v_dual_fma_f32 v23, v152, v108, -v23
	v_dual_add_f32 v9, v9, v11 :: v_dual_add_f32 v11, v19, v21
	v_dual_mul_f32 v27, v157, v113 :: v_dual_mul_f32 v29, v159, v115
	s_wait_loadcnt 0x4
	v_dual_mov_b32 v108, v123 :: v_dual_fma_f32 v19, v154, v110, -v25
	s_delay_alu instid0(VALU_DEP_3) | instskip(SKIP_2) | instid1(VALU_DEP_3)
	v_dual_fmac_f32 v15, v155, v110 :: v_dual_add_f32 v9, v9, v13
	v_dual_add_f32 v11, v11, v23 :: v_dual_fmac_f32 v17, v157, v112
	v_dual_mul_f32 v175, v158, v115 :: v_dual_mul_f32 v177, v132, v117
	v_dual_fma_f32 v13, v156, v112, -v27 :: v_dual_add_f32 v9, v9, v15
	s_delay_alu instid0(VALU_DEP_3) | instskip(NEXT) | instid1(VALU_DEP_3)
	v_dual_add_f32 v11, v11, v19 :: v_dual_fma_f32 v174, v158, v114, -v29
	v_fmac_f32_e32 v175, v159, v114
	v_pk_mul_f32 v[104:105], v[166:167], v[104:105] op_sel_hi:[1,0]
	s_delay_alu instid0(VALU_DEP_4) | instskip(NEXT) | instid1(VALU_DEP_4)
	v_add_f32_e32 v113, v9, v17
	v_dual_add_f32 v112, v11, v13 :: v_dual_fmac_f32 v177, v133, v116
	v_pk_mul_f32 v[106:107], v[136:137], v[120:121] op_sel:[1,1] op_sel_hi:[0,1]
	s_wait_loadcnt 0x3
	v_dual_mov_b32 v114, v127 :: v_dual_fma_f32 v176, v132, v116, -v31
	v_pk_fma_f32 v[116:117], v[134:135], v[118:119], v[104:105] op_sel_hi:[1,0,1]
	v_pk_add_f32 v[112:113], v[112:113], v[174:175]
	v_pk_fma_f32 v[104:105], v[134:135], v[118:119], v[104:105] neg_lo:[0,0,1] neg_hi:[0,0,1]
	v_pk_fma_f32 v[132:133], v[136:137], v[120:121], v[106:107] op_sel_hi:[1,0,1]
	v_pk_mul_f32 v[108:109], v[168:169], v[108:109] op_sel_hi:[1,0]
	v_mov_b32_e32 v105, v117
	v_pk_add_f32 v[112:113], v[112:113], v[176:177]
	v_pk_fma_f32 v[106:107], v[136:137], v[120:121], v[106:107] neg_lo:[0,0,1] neg_hi:[0,0,1]
	v_pk_mul_f32 v[110:111], v[140:141], v[124:125] op_sel:[1,1] op_sel_hi:[0,1]
	v_mov_b32_e32 v107, v133
	v_pk_fma_f32 v[118:119], v[138:139], v[122:123], v[108:109] op_sel_hi:[1,0,1]
	v_pk_add_f32 v[104:105], v[112:113], v[104:105]
	v_pk_fma_f32 v[108:109], v[138:139], v[122:123], v[108:109] neg_lo:[0,0,1] neg_hi:[0,0,1]
	v_pk_fma_f32 v[112:113], v[140:141], v[124:125], v[110:111] op_sel_hi:[1,0,1]
	v_pk_mul_f32 v[114:115], v[170:171], v[114:115] op_sel_hi:[1,0]
	v_mov_b32_e32 v109, v119
	v_pk_add_f32 v[104:105], v[104:105], v[106:107]
	v_pk_fma_f32 v[110:111], v[140:141], v[124:125], v[110:111] neg_lo:[0,0,1] neg_hi:[0,0,1]
	s_wait_loadcnt 0x2
	v_pk_mul_f32 v[116:117], v[144:145], v[128:129] op_sel:[1,1] op_sel_hi:[0,1]
	v_dual_mov_b32 v106, v131 :: v_dual_mov_b32 v111, v113
	v_pk_fma_f32 v[112:113], v[142:143], v[126:127], v[114:115] op_sel_hi:[1,0,1]
	v_pk_add_f32 v[104:105], v[104:105], v[108:109]
	v_pk_fma_f32 v[114:115], v[142:143], v[126:127], v[114:115] neg_lo:[0,0,1] neg_hi:[0,0,1]
	v_pk_fma_f32 v[108:109], v[144:145], v[128:129], v[116:117] op_sel_hi:[1,0,1]
	v_pk_mul_f32 v[106:107], v[172:173], v[106:107] op_sel_hi:[1,0]
	v_mov_b32_e32 v115, v113
	v_pk_add_f32 v[104:105], v[104:105], v[110:111]
	v_pk_fma_f32 v[110:111], v[144:145], v[128:129], v[116:117] neg_lo:[0,0,1] neg_hi:[0,0,1]
	v_mov_b32_e32 v111, v109
	v_pk_fma_f32 v[108:109], v[146:147], v[130:131], v[106:107] op_sel_hi:[1,0,1]
	s_wait_loadcnt_dscnt 0x100
	v_pk_mul_f32 v[112:113], v[164:165], v[160:161] op_sel:[1,1] op_sel_hi:[0,1]
	v_pk_add_f32 v[104:105], v[104:105], v[114:115]
	v_pk_fma_f32 v[106:107], v[146:147], v[130:131], v[106:107] neg_lo:[0,0,1] neg_hi:[0,0,1]
	v_mov_b32_e32 v107, v109
	s_delay_alu instid0(VALU_DEP_4) | instskip(NEXT) | instid1(VALU_DEP_4)
	v_pk_fma_f32 v[108:109], v[164:165], v[160:161], v[112:113] op_sel_hi:[1,0,1]
	v_pk_add_f32 v[104:105], v[104:105], v[110:111]
	v_pk_fma_f32 v[110:111], v[164:165], v[160:161], v[112:113] neg_lo:[0,0,1] neg_hi:[0,0,1]
	s_delay_alu instid0(VALU_DEP_3) | instskip(NEXT) | instid1(VALU_DEP_3)
	v_mov_b32_e32 v111, v109
	v_pk_add_f32 v[104:105], v[104:105], v[106:107]
	s_delay_alu instid0(VALU_DEP_1) | instskip(SKIP_1) | instid1(VALU_DEP_1)
	v_pk_add_f32 v[104:105], v[104:105], v[110:111]
	s_wait_loadcnt 0x0
	v_pk_add_f32 v[104:105], v[162:163], v[104:105] neg_lo:[0,1] neg_hi:[0,1]
	scratch_store_b64 off, v[104:105], off offset:280
	s_wait_xcnt 0x0
	v_cmpx_lt_u32_e32 34, v0
	s_cbranch_execz .LBB114_251
; %bb.250:
	scratch_load_b64 v[104:105], off, off offset:272
	v_mov_b64_e32 v[106:107], 0
	scratch_store_b64 off, v[106:107], off offset:272
	s_wait_loadcnt 0x0
	ds_store_b64 v1, v[104:105]
.LBB114_251:
	s_wait_xcnt 0x0
	s_or_b32 exec_lo, exec_lo, s0
	s_wait_storecnt_dscnt 0x0
	s_barrier_signal -1
	s_barrier_wait -1
	s_clause 0x8
	scratch_load_b128 v[104:107], off, off offset:280
	scratch_load_b128 v[108:111], off, off offset:296
	;; [unrolled: 1-line block ×8, first 2 shown]
	scratch_load_b64 v[168:169], off, off offset:272
	ds_load_2addr_b64 v[136:139], v7 offset0:95 offset1:96
	ds_load_2addr_b64 v[140:143], v7 offset0:97 offset1:98
	;; [unrolled: 1-line block ×8, first 2 shown]
	s_mov_b32 s0, exec_lo
	s_wait_dscnt 0x7
	v_dual_mov_b32 v170, v139 :: v_dual_mov_b32 v171, v138
	s_wait_dscnt 0x6
	v_dual_mov_b32 v172, v143 :: v_dual_mov_b32 v173, v142
	;; [unrolled: 2-line block ×4, first 2 shown]
	s_wait_loadcnt_dscnt 0x803
	v_dual_mul_f32 v7, v152, v105 :: v_dual_mul_f32 v9, v154, v107
	v_dual_mul_f32 v19, v153, v105 :: v_dual_mul_f32 v21, v155, v107
	s_wait_loadcnt_dscnt 0x702
	v_dual_mul_f32 v11, v156, v109 :: v_dual_mul_f32 v13, v158, v111
	s_delay_alu instid0(VALU_DEP_3) | instskip(SKIP_3) | instid1(VALU_DEP_3)
	v_dual_fmac_f32 v7, v153, v104 :: v_dual_fmac_f32 v9, v155, v106
	s_wait_loadcnt_dscnt 0x500
	v_dual_fma_f32 v19, v152, v104, -v19 :: v_dual_mul_f32 v31, v165, v117
	v_dual_mul_f32 v23, v157, v109 :: v_dual_mul_f32 v25, v159, v111
	v_dual_fma_f32 v21, v154, v106, -v21 :: v_dual_add_f32 v7, 0, v7
	s_delay_alu instid0(VALU_DEP_3) | instskip(SKIP_1) | instid1(VALU_DEP_4)
	v_dual_add_f32 v19, 0, v19 :: v_dual_fmac_f32 v11, v157, v108
	v_dual_mul_f32 v15, v160, v113 :: v_dual_mul_f32 v17, v162, v115
	v_dual_mul_f32 v33, v167, v119 :: v_dual_fma_f32 v23, v156, v108, -v23
	s_delay_alu instid0(VALU_DEP_4) | instskip(NEXT) | instid1(VALU_DEP_3)
	v_add_f32_e32 v7, v7, v9
	v_dual_add_f32 v9, v19, v21 :: v_dual_fmac_f32 v15, v161, v112
	v_dual_mul_f32 v27, v161, v113 :: v_dual_mul_f32 v29, v163, v115
	s_delay_alu instid0(VALU_DEP_2) | instskip(NEXT) | instid1(VALU_DEP_4)
	v_dual_fmac_f32 v13, v159, v110 :: v_dual_add_f32 v9, v9, v23
	v_dual_fma_f32 v19, v158, v110, -v25 :: v_dual_add_f32 v7, v7, v11
	s_wait_loadcnt 0x4
	s_delay_alu instid0(VALU_DEP_3) | instskip(SKIP_1) | instid1(VALU_DEP_3)
	v_dual_fma_f32 v11, v160, v112, -v27 :: v_dual_mov_b32 v106, v123
	v_dual_mul_f32 v179, v164, v117 :: v_dual_mul_f32 v181, v166, v119
	v_dual_add_f32 v7, v7, v13 :: v_dual_fma_f32 v13, v162, v114, -v29
	v_dual_add_f32 v9, v9, v19 :: v_dual_fmac_f32 v17, v163, v114
	v_pk_mul_f32 v[104:105], v[136:137], v[120:121] op_sel:[1,1] op_sel_hi:[0,1]
	s_delay_alu instid0(VALU_DEP_3) | instskip(SKIP_1) | instid1(VALU_DEP_3)
	v_dual_add_f32 v7, v7, v15 :: v_dual_fmac_f32 v179, v165, v116
	s_wait_loadcnt 0x3
	v_dual_add_f32 v9, v9, v11 :: v_dual_mov_b32 v110, v127
	s_delay_alu instid0(VALU_DEP_2) | instskip(NEXT) | instid1(VALU_DEP_2)
	v_dual_fma_f32 v178, v164, v116, -v31 :: v_dual_add_f32 v113, v7, v17
	v_dual_fma_f32 v180, v166, v118, -v33 :: v_dual_add_f32 v112, v9, v13
	v_fmac_f32_e32 v181, v167, v118
	v_pk_fma_f32 v[114:115], v[136:137], v[120:121], v[104:105] op_sel_hi:[1,0,1]
	v_pk_mul_f32 v[106:107], v[170:171], v[106:107] op_sel_hi:[1,0]
	v_pk_fma_f32 v[104:105], v[136:137], v[120:121], v[104:105] neg_lo:[0,0,1] neg_hi:[0,0,1]
	v_pk_add_f32 v[112:113], v[112:113], v[178:179]
	v_pk_mul_f32 v[108:109], v[140:141], v[124:125] op_sel:[1,1] op_sel_hi:[0,1]
	v_mov_b32_e32 v105, v115
	v_pk_fma_f32 v[114:115], v[138:139], v[122:123], v[106:107] op_sel_hi:[1,0,1]
	v_pk_fma_f32 v[106:107], v[138:139], v[122:123], v[106:107] neg_lo:[0,0,1] neg_hi:[0,0,1]
	v_pk_add_f32 v[112:113], v[112:113], v[180:181]
	v_pk_fma_f32 v[118:119], v[140:141], v[124:125], v[108:109] op_sel_hi:[1,0,1]
	v_pk_mul_f32 v[110:111], v[172:173], v[110:111] op_sel_hi:[1,0]
	v_mov_b32_e32 v107, v115
	s_wait_loadcnt 0x2
	v_pk_mul_f32 v[116:117], v[144:145], v[128:129] op_sel:[1,1] op_sel_hi:[0,1]
	v_pk_add_f32 v[104:105], v[112:113], v[104:105]
	v_mov_b32_e32 v112, v131
	v_pk_fma_f32 v[108:109], v[140:141], v[124:125], v[108:109] neg_lo:[0,0,1] neg_hi:[0,0,1]
	v_mov_b32_e32 v109, v119
	v_pk_fma_f32 v[114:115], v[142:143], v[126:127], v[110:111] op_sel_hi:[1,0,1]
	v_pk_add_f32 v[104:105], v[104:105], v[106:107]
	v_pk_fma_f32 v[106:107], v[144:145], v[128:129], v[116:117] op_sel_hi:[1,0,1]
	v_pk_mul_f32 v[112:113], v[174:175], v[112:113] op_sel_hi:[1,0]
	v_pk_fma_f32 v[110:111], v[142:143], v[126:127], v[110:111] neg_lo:[0,0,1] neg_hi:[0,0,1]
	v_mov_b32_e32 v111, v115
	v_pk_add_f32 v[104:105], v[104:105], v[108:109]
	v_pk_fma_f32 v[114:115], v[144:145], v[128:129], v[116:117] neg_lo:[0,0,1] neg_hi:[0,0,1]
	v_mov_b32_e32 v115, v107
	v_pk_fma_f32 v[106:107], v[146:147], v[130:131], v[112:113] op_sel_hi:[1,0,1]
	s_wait_loadcnt 0x1
	v_pk_mul_f32 v[108:109], v[148:149], v[132:133] op_sel:[1,1] op_sel_hi:[0,1]
	v_pk_add_f32 v[104:105], v[104:105], v[110:111]
	v_mov_b32_e32 v106, v135
	v_pk_fma_f32 v[112:113], v[146:147], v[130:131], v[112:113] neg_lo:[0,0,1] neg_hi:[0,0,1]
	v_mov_b32_e32 v113, v107
	v_pk_fma_f32 v[110:111], v[148:149], v[132:133], v[108:109] op_sel_hi:[1,0,1]
	v_pk_add_f32 v[104:105], v[104:105], v[114:115]
	v_pk_mul_f32 v[106:107], v[176:177], v[106:107] op_sel_hi:[1,0]
	v_pk_fma_f32 v[108:109], v[148:149], v[132:133], v[108:109] neg_lo:[0,0,1] neg_hi:[0,0,1]
	s_delay_alu instid0(VALU_DEP_4) | instskip(NEXT) | instid1(VALU_DEP_4)
	v_mov_b32_e32 v109, v111
	v_pk_add_f32 v[104:105], v[104:105], v[112:113]
	s_delay_alu instid0(VALU_DEP_4) | instskip(SKIP_1) | instid1(VALU_DEP_2)
	v_pk_fma_f32 v[110:111], v[150:151], v[134:135], v[106:107] op_sel_hi:[1,0,1]
	v_pk_fma_f32 v[106:107], v[150:151], v[134:135], v[106:107] neg_lo:[0,0,1] neg_hi:[0,0,1]
	v_mov_b32_e32 v107, v111
	s_delay_alu instid0(VALU_DEP_4) | instskip(NEXT) | instid1(VALU_DEP_1)
	v_pk_add_f32 v[104:105], v[104:105], v[108:109]
	v_pk_add_f32 v[104:105], v[104:105], v[106:107]
	s_wait_loadcnt 0x0
	s_delay_alu instid0(VALU_DEP_1)
	v_pk_add_f32 v[104:105], v[168:169], v[104:105] neg_lo:[0,1] neg_hi:[0,1]
	scratch_store_b64 off, v[104:105], off offset:272
	s_wait_xcnt 0x0
	v_cmpx_lt_u32_e32 33, v0
	s_cbranch_execz .LBB114_253
; %bb.252:
	scratch_load_b64 v[104:105], off, off offset:264
	v_mov_b64_e32 v[106:107], 0
	scratch_store_b64 off, v[106:107], off offset:264
	s_wait_loadcnt 0x0
	ds_store_b64 v1, v[104:105]
.LBB114_253:
	s_wait_xcnt 0x0
	s_or_b32 exec_lo, exec_lo, s0
	s_wait_storecnt_dscnt 0x0
	s_barrier_signal -1
	s_barrier_wait -1
	s_clause 0x9
	scratch_load_b128 v[104:107], off, off offset:272
	scratch_load_b128 v[108:111], off, off offset:288
	;; [unrolled: 1-line block ×8, first 2 shown]
	scratch_load_b64 v[168:169], off, off offset:400
	scratch_load_b64 v[170:171], off, off offset:264
	v_mov_b32_e32 v7, 0
	ds_load_b128 v[136:139], v7 offset:752
	ds_load_b128 v[140:143], v7 offset:768
	;; [unrolled: 1-line block ×8, first 2 shown]
	ds_load_b64 v[172:173], v7 offset:816
	s_mov_b32 s0, exec_lo
	s_wait_dscnt 0x8
	v_dual_mov_b32 v174, v139 :: v_dual_mov_b32 v175, v138
	s_wait_dscnt 0x5
	v_dual_mov_b32 v176, v143 :: v_dual_mov_b32 v181, v150
	v_dual_mov_b32 v177, v142 :: v_dual_mov_b32 v178, v147
	;; [unrolled: 1-line block ×3, first 2 shown]
	s_wait_loadcnt_dscnt 0x904
	v_dual_mul_f32 v9, v152, v105 :: v_dual_mul_f32 v23, v153, v105
	v_dual_mul_f32 v25, v155, v107 :: v_dual_mul_f32 v11, v154, v107
	s_wait_loadcnt_dscnt 0x803
	v_mul_f32_e32 v13, v156, v109
	s_wait_loadcnt_dscnt 0x601
	v_dual_mul_f32 v35, v165, v117 :: v_dual_fma_f32 v23, v152, v104, -v23
	v_dual_fmac_f32 v9, v153, v104 :: v_dual_mul_f32 v37, v167, v119
	v_dual_mul_f32 v27, v157, v109 :: v_dual_mul_f32 v29, v159, v111
	v_dual_fmac_f32 v11, v155, v106 :: v_dual_fma_f32 v25, v154, v106, -v25
	s_delay_alu instid0(VALU_DEP_3)
	v_dual_add_f32 v9, 0, v9 :: v_dual_add_f32 v23, 0, v23
	v_dual_mul_f32 v15, v158, v111 :: v_dual_mul_f32 v17, v160, v113
	s_wait_loadcnt 0x5
	v_dual_mul_f32 v39, v137, v121 :: v_dual_fma_f32 v27, v156, v108, -v27
	v_fmac_f32_e32 v13, v157, v108
	v_dual_add_f32 v9, v9, v11 :: v_dual_mov_b32 v104, v123
	v_add_f32_e32 v11, v23, v25
	v_dual_mul_f32 v31, v161, v113 :: v_dual_mul_f32 v33, v163, v115
	v_dual_fmac_f32 v15, v159, v110 :: v_dual_fma_f32 v23, v158, v110, -v29
	s_delay_alu instid0(VALU_DEP_3) | instskip(SKIP_1) | instid1(VALU_DEP_4)
	v_dual_add_f32 v9, v9, v13 :: v_dual_add_f32 v11, v11, v27
	v_dual_mul_f32 v19, v162, v115 :: v_dual_mul_f32 v21, v164, v117
	v_dual_fmac_f32 v17, v161, v112 :: v_dual_fma_f32 v13, v160, v112, -v31
	s_wait_loadcnt 0x4
	s_delay_alu instid0(VALU_DEP_3) | instskip(SKIP_1) | instid1(VALU_DEP_2)
	v_dual_add_f32 v9, v9, v15 :: v_dual_mov_b32 v108, v127
	v_dual_add_f32 v11, v11, v23 :: v_dual_fma_f32 v15, v162, v114, -v33
	v_dual_fmac_f32 v19, v163, v114 :: v_dual_add_f32 v9, v9, v17
	v_dual_mul_f32 v183, v166, v119 :: v_dual_mul_f32 v185, v136, v121
	s_delay_alu instid0(VALU_DEP_3) | instskip(NEXT) | instid1(VALU_DEP_3)
	v_dual_add_f32 v11, v11, v13 :: v_dual_fmac_f32 v21, v165, v116
	v_dual_fma_f32 v13, v164, v116, -v35 :: v_dual_add_f32 v9, v9, v19
	s_delay_alu instid0(VALU_DEP_3) | instskip(NEXT) | instid1(VALU_DEP_3)
	v_fmac_f32_e32 v183, v167, v118
	v_dual_add_f32 v11, v11, v15 :: v_dual_fma_f32 v182, v166, v118, -v37
	v_pk_mul_f32 v[104:105], v[174:175], v[104:105] op_sel_hi:[1,0]
	s_delay_alu instid0(VALU_DEP_4) | instskip(SKIP_1) | instid1(VALU_DEP_4)
	v_add_f32_e32 v113, v9, v21
	v_pk_mul_f32 v[106:107], v[140:141], v[124:125] op_sel:[1,1] op_sel_hi:[0,1]
	v_dual_add_f32 v112, v11, v13 :: v_dual_fmac_f32 v185, v137, v120
	s_wait_loadcnt 0x3
	v_dual_mov_b32 v114, v131 :: v_dual_fma_f32 v184, v136, v120, -v39
	v_pk_fma_f32 v[116:117], v[138:139], v[122:123], v[104:105] op_sel_hi:[1,0,1]
	s_delay_alu instid0(VALU_DEP_3)
	v_pk_add_f32 v[112:113], v[112:113], v[182:183]
	v_pk_fma_f32 v[104:105], v[138:139], v[122:123], v[104:105] neg_lo:[0,0,1] neg_hi:[0,0,1]
	v_pk_fma_f32 v[118:119], v[140:141], v[124:125], v[106:107] op_sel_hi:[1,0,1]
	v_pk_mul_f32 v[108:109], v[176:177], v[108:109] op_sel_hi:[1,0]
	v_mov_b32_e32 v105, v117
	v_pk_add_f32 v[112:113], v[112:113], v[184:185]
	v_pk_fma_f32 v[106:107], v[140:141], v[124:125], v[106:107] neg_lo:[0,0,1] neg_hi:[0,0,1]
	v_pk_mul_f32 v[110:111], v[144:145], v[128:129] op_sel:[1,1] op_sel_hi:[0,1]
	v_mov_b32_e32 v107, v119
	v_pk_fma_f32 v[118:119], v[142:143], v[126:127], v[108:109] op_sel_hi:[1,0,1]
	v_pk_add_f32 v[104:105], v[112:113], v[104:105]
	v_pk_fma_f32 v[108:109], v[142:143], v[126:127], v[108:109] neg_lo:[0,0,1] neg_hi:[0,0,1]
	v_pk_fma_f32 v[112:113], v[144:145], v[128:129], v[110:111] op_sel_hi:[1,0,1]
	v_pk_mul_f32 v[114:115], v[178:179], v[114:115] op_sel_hi:[1,0]
	v_mov_b32_e32 v109, v119
	v_pk_add_f32 v[104:105], v[104:105], v[106:107]
	v_pk_fma_f32 v[110:111], v[144:145], v[128:129], v[110:111] neg_lo:[0,0,1] neg_hi:[0,0,1]
	s_wait_loadcnt 0x2
	v_pk_mul_f32 v[116:117], v[148:149], v[132:133] op_sel:[1,1] op_sel_hi:[0,1]
	v_dual_mov_b32 v106, v135 :: v_dual_mov_b32 v111, v113
	v_pk_fma_f32 v[112:113], v[146:147], v[130:131], v[114:115] op_sel_hi:[1,0,1]
	v_pk_add_f32 v[104:105], v[104:105], v[108:109]
	v_pk_fma_f32 v[114:115], v[146:147], v[130:131], v[114:115] neg_lo:[0,0,1] neg_hi:[0,0,1]
	v_pk_fma_f32 v[108:109], v[148:149], v[132:133], v[116:117] op_sel_hi:[1,0,1]
	v_pk_mul_f32 v[106:107], v[180:181], v[106:107] op_sel_hi:[1,0]
	v_mov_b32_e32 v115, v113
	v_pk_add_f32 v[104:105], v[104:105], v[110:111]
	v_pk_fma_f32 v[110:111], v[148:149], v[132:133], v[116:117] neg_lo:[0,0,1] neg_hi:[0,0,1]
	v_mov_b32_e32 v111, v109
	v_pk_fma_f32 v[108:109], v[150:151], v[134:135], v[106:107] op_sel_hi:[1,0,1]
	s_wait_loadcnt_dscnt 0x100
	v_pk_mul_f32 v[112:113], v[172:173], v[168:169] op_sel:[1,1] op_sel_hi:[0,1]
	v_pk_add_f32 v[104:105], v[104:105], v[114:115]
	v_pk_fma_f32 v[106:107], v[150:151], v[134:135], v[106:107] neg_lo:[0,0,1] neg_hi:[0,0,1]
	v_mov_b32_e32 v107, v109
	s_delay_alu instid0(VALU_DEP_4) | instskip(NEXT) | instid1(VALU_DEP_4)
	v_pk_fma_f32 v[108:109], v[172:173], v[168:169], v[112:113] op_sel_hi:[1,0,1]
	v_pk_add_f32 v[104:105], v[104:105], v[110:111]
	v_pk_fma_f32 v[110:111], v[172:173], v[168:169], v[112:113] neg_lo:[0,0,1] neg_hi:[0,0,1]
	s_delay_alu instid0(VALU_DEP_3) | instskip(NEXT) | instid1(VALU_DEP_3)
	v_mov_b32_e32 v111, v109
	v_pk_add_f32 v[104:105], v[104:105], v[106:107]
	s_delay_alu instid0(VALU_DEP_1) | instskip(SKIP_1) | instid1(VALU_DEP_1)
	v_pk_add_f32 v[104:105], v[104:105], v[110:111]
	s_wait_loadcnt 0x0
	v_pk_add_f32 v[104:105], v[170:171], v[104:105] neg_lo:[0,1] neg_hi:[0,1]
	scratch_store_b64 off, v[104:105], off offset:264
	s_wait_xcnt 0x0
	v_cmpx_lt_u32_e32 32, v0
	s_cbranch_execz .LBB114_255
; %bb.254:
	scratch_load_b64 v[104:105], off, off offset:256
	v_mov_b64_e32 v[106:107], 0
	scratch_store_b64 off, v[106:107], off offset:256
	s_wait_loadcnt 0x0
	ds_store_b64 v1, v[104:105]
.LBB114_255:
	s_wait_xcnt 0x0
	s_or_b32 exec_lo, exec_lo, s0
	s_wait_storecnt_dscnt 0x0
	s_barrier_signal -1
	s_barrier_wait -1
	s_clause 0x9
	scratch_load_b128 v[104:107], off, off offset:264
	scratch_load_b128 v[108:111], off, off offset:280
	;; [unrolled: 1-line block ×9, first 2 shown]
	scratch_load_b64 v[176:177], off, off offset:256
	ds_load_2addr_b64 v[140:143], v7 offset0:95 offset1:96
	ds_load_2addr_b64 v[144:147], v7 offset0:97 offset1:98
	;; [unrolled: 1-line block ×9, first 2 shown]
	s_mov_b32 s0, exec_lo
	s_wait_dscnt 0x8
	v_dual_mov_b32 v178, v143 :: v_dual_mov_b32 v179, v142
	s_wait_dscnt 0x7
	v_dual_mov_b32 v180, v147 :: v_dual_mov_b32 v181, v146
	;; [unrolled: 2-line block ×4, first 2 shown]
	s_wait_loadcnt_dscnt 0x904
	v_dual_mul_f32 v7, v156, v105 :: v_dual_mul_f32 v9, v158, v107
	v_dual_mul_f32 v23, v157, v105 :: v_dual_mul_f32 v25, v159, v107
	s_wait_loadcnt_dscnt 0x803
	v_dual_mul_f32 v11, v160, v109 :: v_dual_mul_f32 v13, v162, v111
	s_delay_alu instid0(VALU_DEP_3) | instskip(SKIP_3) | instid1(VALU_DEP_3)
	v_dual_fmac_f32 v7, v157, v104 :: v_dual_fmac_f32 v9, v159, v106
	s_wait_loadcnt_dscnt 0x601
	v_dual_fma_f32 v23, v156, v104, -v23 :: v_dual_mul_f32 v35, v169, v117
	v_dual_mul_f32 v27, v161, v109 :: v_dual_mul_f32 v29, v163, v111
	v_dual_fma_f32 v25, v158, v106, -v25 :: v_dual_add_f32 v7, 0, v7
	s_delay_alu instid0(VALU_DEP_3) | instskip(SKIP_1) | instid1(VALU_DEP_4)
	v_dual_add_f32 v23, 0, v23 :: v_dual_fmac_f32 v11, v161, v108
	v_dual_mul_f32 v15, v164, v113 :: v_dual_mul_f32 v17, v166, v115
	v_dual_mul_f32 v37, v171, v119 :: v_dual_fma_f32 v27, v160, v108, -v27
	s_delay_alu instid0(VALU_DEP_4) | instskip(NEXT) | instid1(VALU_DEP_3)
	v_add_f32_e32 v7, v7, v9
	v_dual_add_f32 v9, v23, v25 :: v_dual_fmac_f32 v15, v165, v112
	v_dual_mul_f32 v31, v165, v113 :: v_dual_mul_f32 v33, v167, v115
	s_wait_loadcnt_dscnt 0x500
	v_dual_mul_f32 v23, v173, v121 :: v_dual_fmac_f32 v13, v163, v110
	v_dual_fma_f32 v25, v162, v110, -v29 :: v_dual_add_f32 v7, v7, v11
	s_delay_alu instid0(VALU_DEP_3) | instskip(SKIP_1) | instid1(VALU_DEP_3)
	v_dual_add_f32 v9, v9, v27 :: v_dual_fma_f32 v27, v164, v112, -v31
	v_dual_mul_f32 v19, v168, v117 :: v_dual_mul_f32 v21, v170, v119
	v_add_f32_e32 v7, v7, v13
	s_delay_alu instid0(VALU_DEP_3) | instskip(SKIP_1) | instid1(VALU_DEP_3)
	v_dual_mul_f32 v11, v175, v123 :: v_dual_add_f32 v9, v9, v25
	v_fmac_f32_e32 v17, v167, v114
	v_dual_fma_f32 v13, v166, v114, -v33 :: v_dual_add_f32 v7, v7, v15
	s_wait_loadcnt 0x4
	v_dual_mov_b32 v106, v127 :: v_dual_fmac_f32 v19, v169, v116
	v_dual_add_f32 v9, v9, v27 :: v_dual_fma_f32 v15, v168, v116, -v35
	s_delay_alu instid0(VALU_DEP_3) | instskip(SKIP_1) | instid1(VALU_DEP_3)
	v_add_f32_e32 v7, v7, v17
	v_dual_mul_f32 v187, v172, v121 :: v_dual_mul_f32 v189, v174, v123
	v_dual_add_f32 v9, v9, v13 :: v_dual_fmac_f32 v21, v171, v118
	s_delay_alu instid0(VALU_DEP_3) | instskip(SKIP_2) | instid1(VALU_DEP_3)
	v_dual_fma_f32 v13, v170, v118, -v37 :: v_dual_add_f32 v7, v7, v19
	v_pk_mul_f32 v[104:105], v[140:141], v[124:125] op_sel:[1,1] op_sel_hi:[0,1]
	s_wait_loadcnt 0x3
	v_dual_add_f32 v9, v9, v15 :: v_dual_mov_b32 v110, v131
	s_delay_alu instid0(VALU_DEP_3) | instskip(NEXT) | instid1(VALU_DEP_2)
	v_dual_fmac_f32 v187, v173, v120 :: v_dual_add_f32 v113, v7, v21
	v_dual_fma_f32 v186, v172, v120, -v23 :: v_dual_add_f32 v112, v9, v13
	v_dual_fmac_f32 v189, v175, v122 :: v_dual_fma_f32 v188, v174, v122, -v11
	v_pk_fma_f32 v[114:115], v[140:141], v[124:125], v[104:105] op_sel_hi:[1,0,1]
	v_pk_mul_f32 v[106:107], v[178:179], v[106:107] op_sel_hi:[1,0]
	s_delay_alu instid0(VALU_DEP_4)
	v_pk_add_f32 v[112:113], v[112:113], v[186:187]
	v_pk_fma_f32 v[104:105], v[140:141], v[124:125], v[104:105] neg_lo:[0,0,1] neg_hi:[0,0,1]
	v_pk_mul_f32 v[108:109], v[144:145], v[128:129] op_sel:[1,1] op_sel_hi:[0,1]
	v_mov_b32_e32 v105, v115
	v_pk_fma_f32 v[114:115], v[142:143], v[126:127], v[106:107] op_sel_hi:[1,0,1]
	v_pk_add_f32 v[112:113], v[112:113], v[188:189]
	v_pk_fma_f32 v[106:107], v[142:143], v[126:127], v[106:107] neg_lo:[0,0,1] neg_hi:[0,0,1]
	v_pk_fma_f32 v[118:119], v[144:145], v[128:129], v[108:109] op_sel_hi:[1,0,1]
	v_pk_mul_f32 v[110:111], v[180:181], v[110:111] op_sel_hi:[1,0]
	v_mov_b32_e32 v107, v115
	v_pk_add_f32 v[104:105], v[112:113], v[104:105]
	s_wait_loadcnt 0x2
	v_pk_mul_f32 v[116:117], v[148:149], v[132:133] op_sel:[1,1] op_sel_hi:[0,1]
	v_mov_b32_e32 v112, v135
	v_pk_fma_f32 v[108:109], v[144:145], v[128:129], v[108:109] neg_lo:[0,0,1] neg_hi:[0,0,1]
	v_mov_b32_e32 v109, v119
	v_pk_fma_f32 v[114:115], v[146:147], v[130:131], v[110:111] op_sel_hi:[1,0,1]
	v_pk_add_f32 v[104:105], v[104:105], v[106:107]
	v_pk_fma_f32 v[106:107], v[148:149], v[132:133], v[116:117] op_sel_hi:[1,0,1]
	v_pk_mul_f32 v[112:113], v[182:183], v[112:113] op_sel_hi:[1,0]
	v_pk_fma_f32 v[110:111], v[146:147], v[130:131], v[110:111] neg_lo:[0,0,1] neg_hi:[0,0,1]
	v_mov_b32_e32 v111, v115
	v_pk_add_f32 v[104:105], v[104:105], v[108:109]
	v_pk_fma_f32 v[114:115], v[148:149], v[132:133], v[116:117] neg_lo:[0,0,1] neg_hi:[0,0,1]
	v_mov_b32_e32 v115, v107
	v_pk_fma_f32 v[106:107], v[150:151], v[134:135], v[112:113] op_sel_hi:[1,0,1]
	s_wait_loadcnt 0x1
	v_pk_mul_f32 v[108:109], v[152:153], v[136:137] op_sel:[1,1] op_sel_hi:[0,1]
	v_pk_add_f32 v[104:105], v[104:105], v[110:111]
	v_mov_b32_e32 v106, v139
	v_pk_fma_f32 v[112:113], v[150:151], v[134:135], v[112:113] neg_lo:[0,0,1] neg_hi:[0,0,1]
	v_mov_b32_e32 v113, v107
	v_pk_fma_f32 v[110:111], v[152:153], v[136:137], v[108:109] op_sel_hi:[1,0,1]
	v_pk_add_f32 v[104:105], v[104:105], v[114:115]
	v_pk_mul_f32 v[106:107], v[184:185], v[106:107] op_sel_hi:[1,0]
	v_pk_fma_f32 v[108:109], v[152:153], v[136:137], v[108:109] neg_lo:[0,0,1] neg_hi:[0,0,1]
	s_delay_alu instid0(VALU_DEP_4) | instskip(NEXT) | instid1(VALU_DEP_4)
	v_mov_b32_e32 v109, v111
	v_pk_add_f32 v[104:105], v[104:105], v[112:113]
	s_delay_alu instid0(VALU_DEP_4) | instskip(SKIP_1) | instid1(VALU_DEP_2)
	v_pk_fma_f32 v[110:111], v[154:155], v[138:139], v[106:107] op_sel_hi:[1,0,1]
	v_pk_fma_f32 v[106:107], v[154:155], v[138:139], v[106:107] neg_lo:[0,0,1] neg_hi:[0,0,1]
	v_mov_b32_e32 v107, v111
	s_delay_alu instid0(VALU_DEP_4) | instskip(NEXT) | instid1(VALU_DEP_1)
	v_pk_add_f32 v[104:105], v[104:105], v[108:109]
	v_pk_add_f32 v[104:105], v[104:105], v[106:107]
	s_wait_loadcnt 0x0
	s_delay_alu instid0(VALU_DEP_1)
	v_pk_add_f32 v[104:105], v[176:177], v[104:105] neg_lo:[0,1] neg_hi:[0,1]
	scratch_store_b64 off, v[104:105], off offset:256
	s_wait_xcnt 0x0
	v_cmpx_lt_u32_e32 31, v0
	s_cbranch_execz .LBB114_257
; %bb.256:
	scratch_load_b64 v[104:105], off, off offset:248
	v_mov_b64_e32 v[106:107], 0
	scratch_store_b64 off, v[106:107], off offset:248
	s_wait_loadcnt 0x0
	ds_store_b64 v1, v[104:105]
.LBB114_257:
	s_wait_xcnt 0x0
	s_or_b32 exec_lo, exec_lo, s0
	s_wait_storecnt_dscnt 0x0
	s_barrier_signal -1
	s_barrier_wait -1
	s_clause 0xa
	scratch_load_b128 v[104:107], off, off offset:256
	scratch_load_b128 v[108:111], off, off offset:272
	scratch_load_b128 v[112:115], off, off offset:288
	scratch_load_b128 v[116:119], off, off offset:304
	scratch_load_b128 v[120:123], off, off offset:320
	scratch_load_b128 v[124:127], off, off offset:336
	scratch_load_b128 v[128:131], off, off offset:352
	scratch_load_b128 v[132:135], off, off offset:368
	scratch_load_b128 v[136:139], off, off offset:384
	scratch_load_b64 v[176:177], off, off offset:400
	scratch_load_b64 v[178:179], off, off offset:248
	v_mov_b32_e32 v7, 0
	ds_load_b128 v[140:143], v7 offset:752
	ds_load_b128 v[144:147], v7 offset:768
	;; [unrolled: 1-line block ×9, first 2 shown]
	ds_load_b64 v[180:181], v7 offset:816
	s_mov_b32 s0, exec_lo
	s_wait_dscnt 0x9
	v_dual_mov_b32 v182, v143 :: v_dual_mov_b32 v183, v142
	s_wait_dscnt 0x6
	v_dual_mov_b32 v184, v147 :: v_dual_mov_b32 v189, v154
	v_dual_mov_b32 v185, v146 :: v_dual_mov_b32 v186, v151
	;; [unrolled: 1-line block ×3, first 2 shown]
	s_wait_loadcnt_dscnt 0xa05
	v_dual_mul_f32 v9, v156, v105 :: v_dual_mul_f32 v27, v157, v105
	v_dual_mul_f32 v29, v159, v107 :: v_dual_mul_f32 v11, v158, v107
	s_wait_loadcnt_dscnt 0x904
	v_mul_f32_e32 v13, v160, v109
	s_wait_loadcnt_dscnt 0x702
	v_dual_mul_f32 v39, v169, v117 :: v_dual_fma_f32 v27, v156, v104, -v27
	v_dual_fmac_f32 v9, v157, v104 :: v_dual_mul_f32 v41, v171, v119
	v_dual_mul_f32 v31, v161, v109 :: v_dual_mul_f32 v33, v163, v111
	v_dual_fmac_f32 v11, v159, v106 :: v_dual_fma_f32 v29, v158, v106, -v29
	s_delay_alu instid0(VALU_DEP_3) | instskip(SKIP_4) | instid1(VALU_DEP_3)
	v_dual_add_f32 v9, 0, v9 :: v_dual_add_f32 v27, 0, v27
	v_dual_mul_f32 v15, v162, v111 :: v_dual_mul_f32 v17, v164, v113
	s_wait_loadcnt_dscnt 0x601
	v_dual_mul_f32 v43, v173, v121 :: v_dual_fma_f32 v31, v160, v108, -v31
	v_fmac_f32_e32 v13, v161, v108
	v_dual_add_f32 v9, v9, v11 :: v_dual_fmac_f32 v15, v163, v110
	v_add_f32_e32 v11, v27, v29
	v_dual_mul_f32 v35, v165, v113 :: v_dual_mul_f32 v37, v167, v115
	v_dual_mul_f32 v27, v175, v123 :: v_dual_fma_f32 v29, v162, v110, -v33
	s_delay_alu instid0(VALU_DEP_3) | instskip(SKIP_3) | instid1(VALU_DEP_3)
	v_dual_add_f32 v9, v9, v13 :: v_dual_add_f32 v11, v11, v31
	v_dual_mul_f32 v19, v166, v115 :: v_dual_mul_f32 v21, v168, v117
	s_wait_loadcnt 0x5
	v_dual_mul_f32 v13, v141, v125 :: v_dual_fma_f32 v31, v164, v112, -v35
	v_dual_fmac_f32 v17, v165, v112 :: v_dual_add_f32 v11, v11, v29
	v_dual_add_f32 v9, v9, v15 :: v_dual_mov_b32 v104, v127
	v_dual_fmac_f32 v19, v167, v114 :: v_dual_fma_f32 v15, v166, v114, -v37
	s_delay_alu instid0(VALU_DEP_2) | instskip(SKIP_3) | instid1(VALU_DEP_3)
	v_dual_add_f32 v11, v11, v31 :: v_dual_add_f32 v9, v9, v17
	v_dual_mul_f32 v23, v170, v119 :: v_dual_mul_f32 v25, v172, v121
	v_dual_fmac_f32 v21, v169, v116 :: v_dual_fma_f32 v17, v168, v116, -v39
	s_wait_loadcnt 0x4
	v_dual_add_f32 v9, v9, v19 :: v_dual_mov_b32 v108, v131
	v_dual_add_f32 v11, v11, v15 :: v_dual_fma_f32 v15, v170, v118, -v41
	s_delay_alu instid0(VALU_DEP_2) | instskip(SKIP_1) | instid1(VALU_DEP_3)
	v_dual_fmac_f32 v23, v171, v118 :: v_dual_add_f32 v9, v9, v21
	v_dual_mul_f32 v191, v174, v123 :: v_dual_mul_f32 v193, v140, v125
	v_dual_add_f32 v11, v11, v17 :: v_dual_fmac_f32 v25, v173, v120
	s_delay_alu instid0(VALU_DEP_3) | instskip(NEXT) | instid1(VALU_DEP_3)
	v_dual_fma_f32 v17, v172, v120, -v43 :: v_dual_add_f32 v9, v9, v23
	v_fmac_f32_e32 v191, v175, v122
	s_delay_alu instid0(VALU_DEP_3) | instskip(SKIP_1) | instid1(VALU_DEP_4)
	v_dual_add_f32 v11, v11, v15 :: v_dual_fma_f32 v190, v174, v122, -v27
	v_pk_mul_f32 v[104:105], v[182:183], v[104:105] op_sel_hi:[1,0]
	v_add_f32_e32 v113, v9, v25
	v_pk_mul_f32 v[106:107], v[144:145], v[128:129] op_sel:[1,1] op_sel_hi:[0,1]
	s_delay_alu instid0(VALU_DEP_4) | instskip(SKIP_3) | instid1(VALU_DEP_3)
	v_dual_add_f32 v112, v11, v17 :: v_dual_fmac_f32 v193, v141, v124
	s_wait_loadcnt 0x3
	v_dual_mov_b32 v114, v135 :: v_dual_fma_f32 v192, v140, v124, -v13
	v_pk_fma_f32 v[116:117], v[142:143], v[126:127], v[104:105] op_sel_hi:[1,0,1]
	v_pk_add_f32 v[112:113], v[112:113], v[190:191]
	v_pk_fma_f32 v[104:105], v[142:143], v[126:127], v[104:105] neg_lo:[0,0,1] neg_hi:[0,0,1]
	v_pk_fma_f32 v[118:119], v[144:145], v[128:129], v[106:107] op_sel_hi:[1,0,1]
	v_pk_mul_f32 v[108:109], v[184:185], v[108:109] op_sel_hi:[1,0]
	v_mov_b32_e32 v105, v117
	v_pk_add_f32 v[112:113], v[112:113], v[192:193]
	v_pk_fma_f32 v[106:107], v[144:145], v[128:129], v[106:107] neg_lo:[0,0,1] neg_hi:[0,0,1]
	v_pk_mul_f32 v[110:111], v[148:149], v[132:133] op_sel:[1,1] op_sel_hi:[0,1]
	v_mov_b32_e32 v107, v119
	v_pk_fma_f32 v[118:119], v[146:147], v[130:131], v[108:109] op_sel_hi:[1,0,1]
	v_pk_add_f32 v[104:105], v[112:113], v[104:105]
	v_pk_fma_f32 v[108:109], v[146:147], v[130:131], v[108:109] neg_lo:[0,0,1] neg_hi:[0,0,1]
	v_pk_fma_f32 v[112:113], v[148:149], v[132:133], v[110:111] op_sel_hi:[1,0,1]
	v_pk_mul_f32 v[114:115], v[186:187], v[114:115] op_sel_hi:[1,0]
	v_mov_b32_e32 v109, v119
	v_pk_add_f32 v[104:105], v[104:105], v[106:107]
	v_pk_fma_f32 v[110:111], v[148:149], v[132:133], v[110:111] neg_lo:[0,0,1] neg_hi:[0,0,1]
	s_wait_loadcnt 0x2
	v_pk_mul_f32 v[116:117], v[152:153], v[136:137] op_sel:[1,1] op_sel_hi:[0,1]
	v_dual_mov_b32 v106, v139 :: v_dual_mov_b32 v111, v113
	v_pk_fma_f32 v[112:113], v[150:151], v[134:135], v[114:115] op_sel_hi:[1,0,1]
	v_pk_add_f32 v[104:105], v[104:105], v[108:109]
	v_pk_fma_f32 v[114:115], v[150:151], v[134:135], v[114:115] neg_lo:[0,0,1] neg_hi:[0,0,1]
	v_pk_fma_f32 v[108:109], v[152:153], v[136:137], v[116:117] op_sel_hi:[1,0,1]
	v_pk_mul_f32 v[106:107], v[188:189], v[106:107] op_sel_hi:[1,0]
	v_mov_b32_e32 v115, v113
	v_pk_add_f32 v[104:105], v[104:105], v[110:111]
	v_pk_fma_f32 v[110:111], v[152:153], v[136:137], v[116:117] neg_lo:[0,0,1] neg_hi:[0,0,1]
	v_mov_b32_e32 v111, v109
	v_pk_fma_f32 v[108:109], v[154:155], v[138:139], v[106:107] op_sel_hi:[1,0,1]
	s_wait_loadcnt_dscnt 0x100
	v_pk_mul_f32 v[112:113], v[180:181], v[176:177] op_sel:[1,1] op_sel_hi:[0,1]
	v_pk_add_f32 v[104:105], v[104:105], v[114:115]
	v_pk_fma_f32 v[106:107], v[154:155], v[138:139], v[106:107] neg_lo:[0,0,1] neg_hi:[0,0,1]
	v_mov_b32_e32 v107, v109
	s_delay_alu instid0(VALU_DEP_4) | instskip(NEXT) | instid1(VALU_DEP_4)
	v_pk_fma_f32 v[108:109], v[180:181], v[176:177], v[112:113] op_sel_hi:[1,0,1]
	v_pk_add_f32 v[104:105], v[104:105], v[110:111]
	v_pk_fma_f32 v[110:111], v[180:181], v[176:177], v[112:113] neg_lo:[0,0,1] neg_hi:[0,0,1]
	s_delay_alu instid0(VALU_DEP_3) | instskip(NEXT) | instid1(VALU_DEP_3)
	v_mov_b32_e32 v111, v109
	v_pk_add_f32 v[104:105], v[104:105], v[106:107]
	s_delay_alu instid0(VALU_DEP_1) | instskip(SKIP_1) | instid1(VALU_DEP_1)
	v_pk_add_f32 v[104:105], v[104:105], v[110:111]
	s_wait_loadcnt 0x0
	v_pk_add_f32 v[104:105], v[178:179], v[104:105] neg_lo:[0,1] neg_hi:[0,1]
	scratch_store_b64 off, v[104:105], off offset:248
	s_wait_xcnt 0x0
	v_cmpx_lt_u32_e32 30, v0
	s_cbranch_execz .LBB114_259
; %bb.258:
	scratch_load_b64 v[104:105], off, off offset:240
	v_mov_b64_e32 v[106:107], 0
	scratch_store_b64 off, v[106:107], off offset:240
	s_wait_loadcnt 0x0
	ds_store_b64 v1, v[104:105]
.LBB114_259:
	s_wait_xcnt 0x0
	s_or_b32 exec_lo, exec_lo, s0
	s_wait_storecnt_dscnt 0x0
	s_barrier_signal -1
	s_barrier_wait -1
	s_clause 0xa
	scratch_load_b128 v[104:107], off, off offset:248
	scratch_load_b128 v[108:111], off, off offset:264
	;; [unrolled: 1-line block ×10, first 2 shown]
	scratch_load_b64 v[184:185], off, off offset:240
	ds_load_2addr_b64 v[144:147], v7 offset0:95 offset1:96
	ds_load_2addr_b64 v[148:151], v7 offset0:97 offset1:98
	;; [unrolled: 1-line block ×10, first 2 shown]
	s_mov_b32 s0, exec_lo
	s_wait_dscnt 0x9
	v_dual_mov_b32 v186, v147 :: v_dual_mov_b32 v187, v146
	s_wait_dscnt 0x8
	v_dual_mov_b32 v188, v151 :: v_dual_mov_b32 v189, v150
	;; [unrolled: 2-line block ×4, first 2 shown]
	s_wait_loadcnt_dscnt 0xa05
	v_dual_mul_f32 v7, v160, v105 :: v_dual_mul_f32 v9, v162, v107
	v_dual_mul_f32 v27, v161, v105 :: v_dual_mul_f32 v29, v163, v107
	s_wait_loadcnt_dscnt 0x904
	v_dual_mul_f32 v11, v164, v109 :: v_dual_mul_f32 v13, v166, v111
	s_delay_alu instid0(VALU_DEP_3) | instskip(SKIP_3) | instid1(VALU_DEP_3)
	v_dual_fmac_f32 v7, v161, v104 :: v_dual_fmac_f32 v9, v163, v106
	s_wait_loadcnt_dscnt 0x702
	v_dual_fma_f32 v27, v160, v104, -v27 :: v_dual_mul_f32 v39, v173, v117
	v_dual_mul_f32 v31, v165, v109 :: v_dual_mul_f32 v33, v167, v111
	v_dual_fma_f32 v29, v162, v106, -v29 :: v_dual_add_f32 v7, 0, v7
	s_delay_alu instid0(VALU_DEP_3) | instskip(SKIP_1) | instid1(VALU_DEP_4)
	v_dual_add_f32 v27, 0, v27 :: v_dual_fmac_f32 v11, v165, v108
	v_dual_mul_f32 v15, v168, v113 :: v_dual_mul_f32 v17, v170, v115
	v_dual_mul_f32 v41, v175, v119 :: v_dual_fma_f32 v31, v164, v108, -v31
	s_delay_alu instid0(VALU_DEP_4) | instskip(NEXT) | instid1(VALU_DEP_3)
	v_add_f32_e32 v7, v7, v9
	v_dual_add_f32 v9, v27, v29 :: v_dual_fmac_f32 v15, v169, v112
	v_dual_mul_f32 v35, v169, v113 :: v_dual_mul_f32 v37, v171, v115
	s_wait_loadcnt_dscnt 0x601
	v_dual_mul_f32 v27, v177, v121 :: v_dual_fmac_f32 v13, v167, v110
	v_dual_fma_f32 v29, v166, v110, -v33 :: v_dual_add_f32 v7, v7, v11
	s_delay_alu instid0(VALU_DEP_3) | instskip(SKIP_1) | instid1(VALU_DEP_3)
	v_dual_add_f32 v9, v9, v31 :: v_dual_fma_f32 v31, v168, v112, -v35
	v_dual_mul_f32 v19, v172, v117 :: v_dual_mul_f32 v21, v174, v119
	v_add_f32_e32 v7, v7, v13
	s_delay_alu instid0(VALU_DEP_3) | instskip(SKIP_2) | instid1(VALU_DEP_3)
	v_dual_mul_f32 v11, v179, v123 :: v_dual_add_f32 v9, v9, v29
	s_wait_loadcnt_dscnt 0x500
	v_dual_mul_f32 v13, v181, v125 :: v_dual_fmac_f32 v17, v171, v114
	v_dual_fma_f32 v29, v170, v114, -v37 :: v_dual_add_f32 v7, v7, v15
	s_delay_alu instid0(VALU_DEP_3) | instskip(SKIP_1) | instid1(VALU_DEP_3)
	v_dual_add_f32 v9, v9, v31 :: v_dual_fma_f32 v31, v172, v116, -v39
	v_dual_mul_f32 v15, v183, v127 :: v_dual_fmac_f32 v19, v173, v116
	v_dual_add_f32 v7, v7, v17 :: v_dual_fma_f32 v17, v174, v118, -v41
	s_delay_alu instid0(VALU_DEP_3) | instskip(SKIP_1) | instid1(VALU_DEP_3)
	v_dual_add_f32 v9, v9, v29 :: v_dual_fmac_f32 v21, v175, v118
	v_dual_mul_f32 v23, v176, v121 :: v_dual_mul_f32 v25, v178, v123
	v_add_f32_e32 v7, v7, v19
	s_wait_loadcnt 0x4
	s_delay_alu instid0(VALU_DEP_3) | instskip(NEXT) | instid1(VALU_DEP_3)
	v_dual_add_f32 v9, v9, v31 :: v_dual_mov_b32 v106, v131
	v_fmac_f32_e32 v23, v177, v120
	s_delay_alu instid0(VALU_DEP_3) | instskip(NEXT) | instid1(VALU_DEP_3)
	v_dual_fma_f32 v19, v176, v120, -v27 :: v_dual_add_f32 v7, v7, v21
	v_dual_add_f32 v9, v9, v17 :: v_dual_fmac_f32 v25, v179, v122
	v_dual_mul_f32 v195, v180, v125 :: v_dual_mul_f32 v197, v182, v127
	s_delay_alu instid0(VALU_DEP_3) | instskip(SKIP_1) | instid1(VALU_DEP_3)
	v_dual_fma_f32 v11, v178, v122, -v11 :: v_dual_add_f32 v7, v7, v23
	s_wait_loadcnt 0x3
	v_dual_add_f32 v9, v9, v19 :: v_dual_mov_b32 v110, v135
	v_pk_mul_f32 v[104:105], v[144:145], v[128:129] op_sel:[1,1] op_sel_hi:[0,1]
	v_dual_fmac_f32 v195, v181, v124 :: v_dual_fma_f32 v194, v180, v124, -v13
	s_delay_alu instid0(VALU_DEP_3) | instskip(SKIP_1) | instid1(VALU_DEP_4)
	v_dual_add_f32 v113, v7, v25 :: v_dual_add_f32 v112, v9, v11
	v_dual_fmac_f32 v197, v183, v126 :: v_dual_fma_f32 v196, v182, v126, -v15
	v_pk_fma_f32 v[114:115], v[144:145], v[128:129], v[104:105] op_sel_hi:[1,0,1]
	v_pk_mul_f32 v[106:107], v[186:187], v[106:107] op_sel_hi:[1,0]
	s_delay_alu instid0(VALU_DEP_4)
	v_pk_add_f32 v[112:113], v[112:113], v[194:195]
	v_pk_fma_f32 v[104:105], v[144:145], v[128:129], v[104:105] neg_lo:[0,0,1] neg_hi:[0,0,1]
	v_pk_mul_f32 v[108:109], v[148:149], v[132:133] op_sel:[1,1] op_sel_hi:[0,1]
	v_mov_b32_e32 v105, v115
	v_pk_fma_f32 v[114:115], v[146:147], v[130:131], v[106:107] op_sel_hi:[1,0,1]
	v_pk_add_f32 v[112:113], v[112:113], v[196:197]
	v_pk_fma_f32 v[106:107], v[146:147], v[130:131], v[106:107] neg_lo:[0,0,1] neg_hi:[0,0,1]
	v_pk_fma_f32 v[118:119], v[148:149], v[132:133], v[108:109] op_sel_hi:[1,0,1]
	v_pk_mul_f32 v[110:111], v[188:189], v[110:111] op_sel_hi:[1,0]
	v_mov_b32_e32 v107, v115
	v_pk_add_f32 v[104:105], v[112:113], v[104:105]
	s_wait_loadcnt 0x2
	v_pk_mul_f32 v[116:117], v[152:153], v[136:137] op_sel:[1,1] op_sel_hi:[0,1]
	v_mov_b32_e32 v112, v139
	v_pk_fma_f32 v[108:109], v[148:149], v[132:133], v[108:109] neg_lo:[0,0,1] neg_hi:[0,0,1]
	v_mov_b32_e32 v109, v119
	v_pk_fma_f32 v[114:115], v[150:151], v[134:135], v[110:111] op_sel_hi:[1,0,1]
	v_pk_add_f32 v[104:105], v[104:105], v[106:107]
	v_pk_fma_f32 v[106:107], v[152:153], v[136:137], v[116:117] op_sel_hi:[1,0,1]
	v_pk_mul_f32 v[112:113], v[190:191], v[112:113] op_sel_hi:[1,0]
	v_pk_fma_f32 v[110:111], v[150:151], v[134:135], v[110:111] neg_lo:[0,0,1] neg_hi:[0,0,1]
	v_mov_b32_e32 v111, v115
	v_pk_add_f32 v[104:105], v[104:105], v[108:109]
	v_pk_fma_f32 v[114:115], v[152:153], v[136:137], v[116:117] neg_lo:[0,0,1] neg_hi:[0,0,1]
	v_mov_b32_e32 v115, v107
	v_pk_fma_f32 v[106:107], v[154:155], v[138:139], v[112:113] op_sel_hi:[1,0,1]
	s_wait_loadcnt 0x1
	v_pk_mul_f32 v[108:109], v[156:157], v[140:141] op_sel:[1,1] op_sel_hi:[0,1]
	v_pk_add_f32 v[104:105], v[104:105], v[110:111]
	v_mov_b32_e32 v106, v143
	v_pk_fma_f32 v[112:113], v[154:155], v[138:139], v[112:113] neg_lo:[0,0,1] neg_hi:[0,0,1]
	v_mov_b32_e32 v113, v107
	v_pk_fma_f32 v[110:111], v[156:157], v[140:141], v[108:109] op_sel_hi:[1,0,1]
	v_pk_add_f32 v[104:105], v[104:105], v[114:115]
	v_pk_mul_f32 v[106:107], v[192:193], v[106:107] op_sel_hi:[1,0]
	v_pk_fma_f32 v[108:109], v[156:157], v[140:141], v[108:109] neg_lo:[0,0,1] neg_hi:[0,0,1]
	s_delay_alu instid0(VALU_DEP_4) | instskip(NEXT) | instid1(VALU_DEP_4)
	v_mov_b32_e32 v109, v111
	v_pk_add_f32 v[104:105], v[104:105], v[112:113]
	s_delay_alu instid0(VALU_DEP_4) | instskip(SKIP_1) | instid1(VALU_DEP_2)
	v_pk_fma_f32 v[110:111], v[158:159], v[142:143], v[106:107] op_sel_hi:[1,0,1]
	v_pk_fma_f32 v[106:107], v[158:159], v[142:143], v[106:107] neg_lo:[0,0,1] neg_hi:[0,0,1]
	v_mov_b32_e32 v107, v111
	s_delay_alu instid0(VALU_DEP_4) | instskip(NEXT) | instid1(VALU_DEP_1)
	v_pk_add_f32 v[104:105], v[104:105], v[108:109]
	v_pk_add_f32 v[104:105], v[104:105], v[106:107]
	s_wait_loadcnt 0x0
	s_delay_alu instid0(VALU_DEP_1)
	v_pk_add_f32 v[104:105], v[184:185], v[104:105] neg_lo:[0,1] neg_hi:[0,1]
	scratch_store_b64 off, v[104:105], off offset:240
	s_wait_xcnt 0x0
	v_cmpx_lt_u32_e32 29, v0
	s_cbranch_execz .LBB114_261
; %bb.260:
	scratch_load_b64 v[104:105], off, off offset:232
	v_mov_b64_e32 v[106:107], 0
	scratch_store_b64 off, v[106:107], off offset:232
	s_wait_loadcnt 0x0
	ds_store_b64 v1, v[104:105]
.LBB114_261:
	s_wait_xcnt 0x0
	s_or_b32 exec_lo, exec_lo, s0
	s_wait_storecnt_dscnt 0x0
	s_barrier_signal -1
	s_barrier_wait -1
	s_clause 0xb
	scratch_load_b128 v[104:107], off, off offset:240
	scratch_load_b128 v[108:111], off, off offset:256
	;; [unrolled: 1-line block ×10, first 2 shown]
	scratch_load_b64 v[184:185], off, off offset:400
	scratch_load_b64 v[186:187], off, off offset:232
	v_mov_b32_e32 v7, 0
	ds_load_b128 v[144:147], v7 offset:752
	ds_load_b128 v[148:151], v7 offset:768
	;; [unrolled: 1-line block ×10, first 2 shown]
	ds_load_b64 v[188:189], v7 offset:816
	s_mov_b32 s0, exec_lo
	s_wait_dscnt 0xa
	v_dual_mov_b32 v190, v147 :: v_dual_mov_b32 v191, v146
	s_wait_dscnt 0x7
	v_dual_mov_b32 v192, v151 :: v_dual_mov_b32 v197, v158
	v_dual_mov_b32 v193, v150 :: v_dual_mov_b32 v194, v155
	;; [unrolled: 1-line block ×3, first 2 shown]
	s_wait_loadcnt_dscnt 0xb06
	v_dual_mul_f32 v9, v160, v105 :: v_dual_mul_f32 v31, v161, v105
	v_dual_mul_f32 v33, v163, v107 :: v_dual_mul_f32 v11, v162, v107
	s_wait_loadcnt_dscnt 0xa05
	v_mul_f32_e32 v13, v164, v109
	s_wait_loadcnt_dscnt 0x803
	v_dual_mul_f32 v43, v173, v117 :: v_dual_fma_f32 v31, v160, v104, -v31
	v_dual_fmac_f32 v9, v161, v104 :: v_dual_mul_f32 v45, v175, v119
	v_dual_mul_f32 v35, v165, v109 :: v_dual_mul_f32 v37, v167, v111
	v_dual_fmac_f32 v11, v163, v106 :: v_dual_fma_f32 v33, v162, v106, -v33
	s_delay_alu instid0(VALU_DEP_3) | instskip(SKIP_4) | instid1(VALU_DEP_3)
	v_dual_add_f32 v9, 0, v9 :: v_dual_add_f32 v31, 0, v31
	v_dual_mul_f32 v15, v166, v111 :: v_dual_mul_f32 v17, v168, v113
	s_wait_loadcnt_dscnt 0x702
	v_dual_mul_f32 v47, v177, v121 :: v_dual_fma_f32 v35, v164, v108, -v35
	v_fmac_f32_e32 v13, v165, v108
	v_dual_add_f32 v9, v9, v11 :: v_dual_fmac_f32 v15, v167, v110
	v_add_f32_e32 v11, v31, v33
	v_dual_mul_f32 v39, v169, v113 :: v_dual_mul_f32 v41, v171, v115
	v_dual_mul_f32 v31, v179, v123 :: v_dual_fma_f32 v33, v166, v110, -v37
	s_delay_alu instid0(VALU_DEP_3) | instskip(SKIP_3) | instid1(VALU_DEP_3)
	v_dual_add_f32 v9, v9, v13 :: v_dual_add_f32 v11, v11, v35
	v_dual_mul_f32 v19, v170, v115 :: v_dual_mul_f32 v21, v172, v117
	s_wait_loadcnt_dscnt 0x601
	v_dual_mul_f32 v13, v181, v125 :: v_dual_fma_f32 v35, v168, v112, -v39
	v_dual_fmac_f32 v17, v169, v112 :: v_dual_add_f32 v11, v11, v33
	s_delay_alu instid0(VALU_DEP_3) | instskip(SKIP_1) | instid1(VALU_DEP_2)
	v_dual_add_f32 v9, v9, v15 :: v_dual_fmac_f32 v19, v171, v114
	v_dual_mul_f32 v15, v183, v127 :: v_dual_fma_f32 v33, v170, v114, -v41
	v_dual_add_f32 v11, v11, v35 :: v_dual_add_f32 v9, v9, v17
	v_dual_mul_f32 v23, v174, v119 :: v_dual_mul_f32 v25, v176, v121
	s_wait_loadcnt 0x5
	v_dual_mul_f32 v17, v145, v129 :: v_dual_fma_f32 v35, v172, v116, -v43
	s_delay_alu instid0(VALU_DEP_3) | instskip(SKIP_2) | instid1(VALU_DEP_2)
	v_dual_fmac_f32 v21, v173, v116 :: v_dual_add_f32 v11, v11, v33
	v_dual_add_f32 v9, v9, v19 :: v_dual_mov_b32 v104, v131
	v_dual_fmac_f32 v23, v175, v118 :: v_dual_fma_f32 v19, v174, v118, -v45
	v_dual_add_f32 v11, v11, v35 :: v_dual_add_f32 v9, v9, v21
	v_dual_mul_f32 v27, v178, v123 :: v_dual_mul_f32 v29, v180, v125
	v_dual_fmac_f32 v25, v177, v120 :: v_dual_fma_f32 v21, v176, v120, -v47
	s_wait_loadcnt 0x4
	s_delay_alu instid0(VALU_DEP_3) | instskip(SKIP_1) | instid1(VALU_DEP_2)
	v_dual_add_f32 v9, v9, v23 :: v_dual_mov_b32 v108, v135
	v_dual_add_f32 v11, v11, v19 :: v_dual_fma_f32 v19, v178, v122, -v31
	v_dual_fmac_f32 v27, v179, v122 :: v_dual_add_f32 v9, v9, v25
	v_dual_mul_f32 v199, v182, v127 :: v_dual_mul_f32 v201, v144, v129
	s_delay_alu instid0(VALU_DEP_3) | instskip(NEXT) | instid1(VALU_DEP_3)
	v_dual_add_f32 v11, v11, v21 :: v_dual_fmac_f32 v29, v181, v124
	v_dual_fma_f32 v13, v180, v124, -v13 :: v_dual_add_f32 v9, v9, v27
	s_delay_alu instid0(VALU_DEP_3) | instskip(NEXT) | instid1(VALU_DEP_3)
	v_fmac_f32_e32 v199, v183, v126
	v_dual_add_f32 v11, v11, v19 :: v_dual_fma_f32 v198, v182, v126, -v15
	v_pk_mul_f32 v[104:105], v[190:191], v[104:105] op_sel_hi:[1,0]
	s_delay_alu instid0(VALU_DEP_4) | instskip(SKIP_1) | instid1(VALU_DEP_4)
	v_add_f32_e32 v113, v9, v29
	v_pk_mul_f32 v[106:107], v[148:149], v[132:133] op_sel:[1,1] op_sel_hi:[0,1]
	v_dual_add_f32 v112, v11, v13 :: v_dual_fmac_f32 v201, v145, v128
	s_wait_loadcnt 0x3
	v_dual_mov_b32 v114, v139 :: v_dual_fma_f32 v200, v144, v128, -v17
	v_pk_fma_f32 v[116:117], v[146:147], v[130:131], v[104:105] op_sel_hi:[1,0,1]
	s_delay_alu instid0(VALU_DEP_3)
	v_pk_add_f32 v[112:113], v[112:113], v[198:199]
	v_pk_fma_f32 v[104:105], v[146:147], v[130:131], v[104:105] neg_lo:[0,0,1] neg_hi:[0,0,1]
	v_pk_fma_f32 v[118:119], v[148:149], v[132:133], v[106:107] op_sel_hi:[1,0,1]
	v_pk_mul_f32 v[108:109], v[192:193], v[108:109] op_sel_hi:[1,0]
	v_mov_b32_e32 v105, v117
	v_pk_add_f32 v[112:113], v[112:113], v[200:201]
	v_pk_fma_f32 v[106:107], v[148:149], v[132:133], v[106:107] neg_lo:[0,0,1] neg_hi:[0,0,1]
	v_pk_mul_f32 v[110:111], v[152:153], v[136:137] op_sel:[1,1] op_sel_hi:[0,1]
	v_mov_b32_e32 v107, v119
	v_pk_fma_f32 v[118:119], v[150:151], v[134:135], v[108:109] op_sel_hi:[1,0,1]
	v_pk_add_f32 v[104:105], v[112:113], v[104:105]
	v_pk_fma_f32 v[108:109], v[150:151], v[134:135], v[108:109] neg_lo:[0,0,1] neg_hi:[0,0,1]
	v_pk_fma_f32 v[112:113], v[152:153], v[136:137], v[110:111] op_sel_hi:[1,0,1]
	v_pk_mul_f32 v[114:115], v[194:195], v[114:115] op_sel_hi:[1,0]
	v_mov_b32_e32 v109, v119
	v_pk_add_f32 v[104:105], v[104:105], v[106:107]
	v_pk_fma_f32 v[110:111], v[152:153], v[136:137], v[110:111] neg_lo:[0,0,1] neg_hi:[0,0,1]
	s_wait_loadcnt 0x2
	v_pk_mul_f32 v[116:117], v[156:157], v[140:141] op_sel:[1,1] op_sel_hi:[0,1]
	v_dual_mov_b32 v106, v143 :: v_dual_mov_b32 v111, v113
	v_pk_fma_f32 v[112:113], v[154:155], v[138:139], v[114:115] op_sel_hi:[1,0,1]
	v_pk_add_f32 v[104:105], v[104:105], v[108:109]
	v_pk_fma_f32 v[114:115], v[154:155], v[138:139], v[114:115] neg_lo:[0,0,1] neg_hi:[0,0,1]
	v_pk_fma_f32 v[108:109], v[156:157], v[140:141], v[116:117] op_sel_hi:[1,0,1]
	v_pk_mul_f32 v[106:107], v[196:197], v[106:107] op_sel_hi:[1,0]
	v_mov_b32_e32 v115, v113
	v_pk_add_f32 v[104:105], v[104:105], v[110:111]
	v_pk_fma_f32 v[110:111], v[156:157], v[140:141], v[116:117] neg_lo:[0,0,1] neg_hi:[0,0,1]
	v_mov_b32_e32 v111, v109
	v_pk_fma_f32 v[108:109], v[158:159], v[142:143], v[106:107] op_sel_hi:[1,0,1]
	s_wait_loadcnt_dscnt 0x100
	v_pk_mul_f32 v[112:113], v[188:189], v[184:185] op_sel:[1,1] op_sel_hi:[0,1]
	v_pk_add_f32 v[104:105], v[104:105], v[114:115]
	v_pk_fma_f32 v[106:107], v[158:159], v[142:143], v[106:107] neg_lo:[0,0,1] neg_hi:[0,0,1]
	v_mov_b32_e32 v107, v109
	s_delay_alu instid0(VALU_DEP_4) | instskip(NEXT) | instid1(VALU_DEP_4)
	v_pk_fma_f32 v[108:109], v[188:189], v[184:185], v[112:113] op_sel_hi:[1,0,1]
	v_pk_add_f32 v[104:105], v[104:105], v[110:111]
	v_pk_fma_f32 v[110:111], v[188:189], v[184:185], v[112:113] neg_lo:[0,0,1] neg_hi:[0,0,1]
	s_delay_alu instid0(VALU_DEP_3) | instskip(NEXT) | instid1(VALU_DEP_3)
	v_mov_b32_e32 v111, v109
	v_pk_add_f32 v[104:105], v[104:105], v[106:107]
	s_delay_alu instid0(VALU_DEP_1) | instskip(SKIP_1) | instid1(VALU_DEP_1)
	v_pk_add_f32 v[104:105], v[104:105], v[110:111]
	s_wait_loadcnt 0x0
	v_pk_add_f32 v[104:105], v[186:187], v[104:105] neg_lo:[0,1] neg_hi:[0,1]
	scratch_store_b64 off, v[104:105], off offset:232
	s_wait_xcnt 0x0
	v_cmpx_lt_u32_e32 28, v0
	s_cbranch_execz .LBB114_263
; %bb.262:
	scratch_load_b64 v[104:105], off, off offset:224
	v_mov_b64_e32 v[106:107], 0
	scratch_store_b64 off, v[106:107], off offset:224
	s_wait_loadcnt 0x0
	ds_store_b64 v1, v[104:105]
.LBB114_263:
	s_wait_xcnt 0x0
	s_or_b32 exec_lo, exec_lo, s0
	s_wait_storecnt_dscnt 0x0
	s_barrier_signal -1
	s_barrier_wait -1
	s_clause 0xb
	scratch_load_b128 v[104:107], off, off offset:232
	scratch_load_b128 v[108:111], off, off offset:248
	;; [unrolled: 1-line block ×11, first 2 shown]
	scratch_load_b64 v[192:193], off, off offset:224
	ds_load_2addr_b64 v[148:151], v7 offset0:95 offset1:96
	ds_load_2addr_b64 v[152:155], v7 offset0:97 offset1:98
	;; [unrolled: 1-line block ×11, first 2 shown]
	s_mov_b32 s0, exec_lo
	s_wait_dscnt 0xa
	v_dual_mov_b32 v194, v151 :: v_dual_mov_b32 v195, v150
	s_wait_dscnt 0x9
	v_dual_mov_b32 v196, v155 :: v_dual_mov_b32 v197, v154
	;; [unrolled: 2-line block ×4, first 2 shown]
	s_wait_loadcnt_dscnt 0xb06
	v_dual_mul_f32 v7, v164, v105 :: v_dual_mul_f32 v9, v166, v107
	v_dual_mul_f32 v31, v165, v105 :: v_dual_mul_f32 v33, v167, v107
	s_wait_loadcnt_dscnt 0xa05
	v_dual_mul_f32 v11, v168, v109 :: v_dual_mul_f32 v13, v170, v111
	s_delay_alu instid0(VALU_DEP_3) | instskip(SKIP_3) | instid1(VALU_DEP_3)
	v_dual_fmac_f32 v7, v165, v104 :: v_dual_fmac_f32 v9, v167, v106
	s_wait_loadcnt_dscnt 0x803
	v_dual_fma_f32 v31, v164, v104, -v31 :: v_dual_mul_f32 v43, v177, v117
	v_dual_mul_f32 v35, v169, v109 :: v_dual_mul_f32 v37, v171, v111
	v_dual_fma_f32 v33, v166, v106, -v33 :: v_dual_add_f32 v7, 0, v7
	s_delay_alu instid0(VALU_DEP_3) | instskip(SKIP_1) | instid1(VALU_DEP_4)
	v_dual_add_f32 v31, 0, v31 :: v_dual_fmac_f32 v11, v169, v108
	v_dual_mul_f32 v15, v172, v113 :: v_dual_mul_f32 v17, v174, v115
	v_dual_mul_f32 v45, v179, v119 :: v_dual_fma_f32 v35, v168, v108, -v35
	s_delay_alu instid0(VALU_DEP_4) | instskip(NEXT) | instid1(VALU_DEP_3)
	v_add_f32_e32 v7, v7, v9
	v_dual_add_f32 v9, v31, v33 :: v_dual_fmac_f32 v15, v173, v112
	v_dual_mul_f32 v39, v173, v113 :: v_dual_mul_f32 v41, v175, v115
	s_wait_loadcnt_dscnt 0x702
	v_dual_mul_f32 v31, v181, v121 :: v_dual_fmac_f32 v13, v171, v110
	v_dual_fma_f32 v33, v170, v110, -v37 :: v_dual_add_f32 v7, v7, v11
	s_delay_alu instid0(VALU_DEP_3) | instskip(SKIP_1) | instid1(VALU_DEP_3)
	v_dual_add_f32 v9, v9, v35 :: v_dual_fma_f32 v35, v172, v112, -v39
	v_dual_mul_f32 v19, v176, v117 :: v_dual_mul_f32 v21, v178, v119
	v_add_f32_e32 v7, v7, v13
	s_delay_alu instid0(VALU_DEP_3) | instskip(SKIP_2) | instid1(VALU_DEP_3)
	v_dual_mul_f32 v11, v183, v123 :: v_dual_add_f32 v9, v9, v33
	s_wait_loadcnt_dscnt 0x601
	v_dual_mul_f32 v13, v185, v125 :: v_dual_fmac_f32 v17, v175, v114
	v_dual_fma_f32 v33, v174, v114, -v41 :: v_dual_add_f32 v7, v7, v15
	s_delay_alu instid0(VALU_DEP_3) | instskip(SKIP_1) | instid1(VALU_DEP_3)
	v_dual_add_f32 v9, v9, v35 :: v_dual_fma_f32 v35, v176, v116, -v43
	v_dual_mul_f32 v15, v187, v127 :: v_dual_fmac_f32 v19, v177, v116
	v_add_f32_e32 v7, v7, v17
	s_delay_alu instid0(VALU_DEP_3)
	v_dual_add_f32 v9, v9, v33 :: v_dual_fmac_f32 v21, v179, v118
	v_dual_mul_f32 v23, v180, v121 :: v_dual_mul_f32 v25, v182, v123
	s_wait_loadcnt_dscnt 0x500
	v_dual_fma_f32 v33, v178, v118, -v45 :: v_dual_mul_f32 v17, v189, v129
	v_add_f32_e32 v7, v7, v19
	v_dual_add_f32 v9, v9, v35 :: v_dual_fma_f32 v31, v180, v120, -v31
	v_dual_mul_f32 v19, v191, v131 :: v_dual_fmac_f32 v23, v181, v120
	s_delay_alu instid0(VALU_DEP_3) | instskip(NEXT) | instid1(VALU_DEP_3)
	v_dual_add_f32 v7, v7, v21 :: v_dual_fma_f32 v11, v182, v122, -v11
	v_dual_add_f32 v9, v9, v33 :: v_dual_fmac_f32 v25, v183, v122
	v_dual_mul_f32 v27, v184, v125 :: v_dual_mul_f32 v29, v186, v127
	s_delay_alu instid0(VALU_DEP_3) | instskip(SKIP_1) | instid1(VALU_DEP_3)
	v_add_f32_e32 v7, v7, v23
	s_wait_loadcnt 0x4
	v_dual_add_f32 v9, v9, v31 :: v_dual_mov_b32 v106, v135
	s_delay_alu instid0(VALU_DEP_3) | instskip(NEXT) | instid1(VALU_DEP_2)
	v_dual_fmac_f32 v27, v185, v124 :: v_dual_fma_f32 v13, v184, v124, -v13
	v_dual_add_f32 v7, v7, v25 :: v_dual_add_f32 v9, v9, v11
	v_dual_fmac_f32 v29, v187, v126 :: v_dual_mul_f32 v203, v188, v129
	v_mul_f32_e32 v205, v190, v131
	s_delay_alu instid0(VALU_DEP_3) | instskip(SKIP_4) | instid1(VALU_DEP_3)
	v_dual_fma_f32 v11, v186, v126, -v15 :: v_dual_add_f32 v7, v7, v27
	s_wait_loadcnt 0x3
	v_dual_add_f32 v9, v9, v13 :: v_dual_mov_b32 v110, v139
	v_pk_mul_f32 v[104:105], v[148:149], v[132:133] op_sel:[1,1] op_sel_hi:[0,1]
	v_dual_fmac_f32 v203, v189, v128 :: v_dual_fma_f32 v202, v188, v128, -v17
	v_dual_add_f32 v113, v7, v29 :: v_dual_add_f32 v112, v9, v11
	v_dual_fmac_f32 v205, v191, v130 :: v_dual_fma_f32 v204, v190, v130, -v19
	s_delay_alu instid0(VALU_DEP_4) | instskip(SKIP_1) | instid1(VALU_DEP_4)
	v_pk_fma_f32 v[114:115], v[148:149], v[132:133], v[104:105] op_sel_hi:[1,0,1]
	v_pk_mul_f32 v[106:107], v[194:195], v[106:107] op_sel_hi:[1,0]
	v_pk_add_f32 v[112:113], v[112:113], v[202:203]
	v_pk_fma_f32 v[104:105], v[148:149], v[132:133], v[104:105] neg_lo:[0,0,1] neg_hi:[0,0,1]
	v_pk_mul_f32 v[108:109], v[152:153], v[136:137] op_sel:[1,1] op_sel_hi:[0,1]
	v_mov_b32_e32 v105, v115
	v_pk_fma_f32 v[114:115], v[150:151], v[134:135], v[106:107] op_sel_hi:[1,0,1]
	v_pk_add_f32 v[112:113], v[112:113], v[204:205]
	v_pk_fma_f32 v[106:107], v[150:151], v[134:135], v[106:107] neg_lo:[0,0,1] neg_hi:[0,0,1]
	v_pk_fma_f32 v[118:119], v[152:153], v[136:137], v[108:109] op_sel_hi:[1,0,1]
	v_pk_mul_f32 v[110:111], v[196:197], v[110:111] op_sel_hi:[1,0]
	v_mov_b32_e32 v107, v115
	v_pk_add_f32 v[104:105], v[112:113], v[104:105]
	s_wait_loadcnt 0x2
	v_pk_mul_f32 v[116:117], v[156:157], v[140:141] op_sel:[1,1] op_sel_hi:[0,1]
	v_mov_b32_e32 v112, v143
	v_pk_fma_f32 v[108:109], v[152:153], v[136:137], v[108:109] neg_lo:[0,0,1] neg_hi:[0,0,1]
	v_mov_b32_e32 v109, v119
	v_pk_fma_f32 v[114:115], v[154:155], v[138:139], v[110:111] op_sel_hi:[1,0,1]
	v_pk_add_f32 v[104:105], v[104:105], v[106:107]
	v_pk_fma_f32 v[106:107], v[156:157], v[140:141], v[116:117] op_sel_hi:[1,0,1]
	v_pk_mul_f32 v[112:113], v[198:199], v[112:113] op_sel_hi:[1,0]
	v_pk_fma_f32 v[110:111], v[154:155], v[138:139], v[110:111] neg_lo:[0,0,1] neg_hi:[0,0,1]
	v_mov_b32_e32 v111, v115
	v_pk_add_f32 v[104:105], v[104:105], v[108:109]
	v_pk_fma_f32 v[114:115], v[156:157], v[140:141], v[116:117] neg_lo:[0,0,1] neg_hi:[0,0,1]
	v_mov_b32_e32 v115, v107
	v_pk_fma_f32 v[106:107], v[158:159], v[142:143], v[112:113] op_sel_hi:[1,0,1]
	s_wait_loadcnt 0x1
	v_pk_mul_f32 v[108:109], v[160:161], v[144:145] op_sel:[1,1] op_sel_hi:[0,1]
	v_pk_add_f32 v[104:105], v[104:105], v[110:111]
	v_mov_b32_e32 v106, v147
	v_pk_fma_f32 v[112:113], v[158:159], v[142:143], v[112:113] neg_lo:[0,0,1] neg_hi:[0,0,1]
	v_mov_b32_e32 v113, v107
	v_pk_fma_f32 v[110:111], v[160:161], v[144:145], v[108:109] op_sel_hi:[1,0,1]
	v_pk_add_f32 v[104:105], v[104:105], v[114:115]
	v_pk_mul_f32 v[106:107], v[200:201], v[106:107] op_sel_hi:[1,0]
	v_pk_fma_f32 v[108:109], v[160:161], v[144:145], v[108:109] neg_lo:[0,0,1] neg_hi:[0,0,1]
	s_delay_alu instid0(VALU_DEP_4) | instskip(NEXT) | instid1(VALU_DEP_4)
	v_mov_b32_e32 v109, v111
	v_pk_add_f32 v[104:105], v[104:105], v[112:113]
	s_delay_alu instid0(VALU_DEP_4) | instskip(SKIP_1) | instid1(VALU_DEP_2)
	v_pk_fma_f32 v[110:111], v[162:163], v[146:147], v[106:107] op_sel_hi:[1,0,1]
	v_pk_fma_f32 v[106:107], v[162:163], v[146:147], v[106:107] neg_lo:[0,0,1] neg_hi:[0,0,1]
	v_mov_b32_e32 v107, v111
	s_delay_alu instid0(VALU_DEP_4) | instskip(NEXT) | instid1(VALU_DEP_1)
	v_pk_add_f32 v[104:105], v[104:105], v[108:109]
	v_pk_add_f32 v[104:105], v[104:105], v[106:107]
	s_wait_loadcnt 0x0
	s_delay_alu instid0(VALU_DEP_1)
	v_pk_add_f32 v[104:105], v[192:193], v[104:105] neg_lo:[0,1] neg_hi:[0,1]
	scratch_store_b64 off, v[104:105], off offset:224
	s_wait_xcnt 0x0
	v_cmpx_lt_u32_e32 27, v0
	s_cbranch_execz .LBB114_265
; %bb.264:
	scratch_load_b64 v[104:105], off, off offset:216
	v_mov_b64_e32 v[106:107], 0
	scratch_store_b64 off, v[106:107], off offset:216
	s_wait_loadcnt 0x0
	ds_store_b64 v1, v[104:105]
.LBB114_265:
	s_wait_xcnt 0x0
	s_or_b32 exec_lo, exec_lo, s0
	s_wait_storecnt_dscnt 0x0
	s_barrier_signal -1
	s_barrier_wait -1
	s_clause 0xc
	scratch_load_b128 v[104:107], off, off offset:224
	scratch_load_b128 v[108:111], off, off offset:240
	;; [unrolled: 1-line block ×11, first 2 shown]
	scratch_load_b64 v[192:193], off, off offset:400
	scratch_load_b64 v[194:195], off, off offset:216
	v_mov_b32_e32 v7, 0
	ds_load_b128 v[148:151], v7 offset:752
	ds_load_b128 v[152:155], v7 offset:768
	ds_load_b128 v[156:159], v7 offset:784
	ds_load_b128 v[160:163], v7 offset:800
	ds_load_b128 v[164:167], v7 offset:640
	ds_load_b128 v[168:171], v7 offset:656
	ds_load_b128 v[172:175], v7 offset:672
	ds_load_b128 v[176:179], v7 offset:688
	ds_load_b128 v[180:183], v7 offset:704
	ds_load_b128 v[184:187], v7 offset:736
	ds_load_b128 v[188:191], v7 offset:720
	ds_load_b64 v[196:197], v7 offset:816
	s_mov_b32 s0, exec_lo
	s_wait_dscnt 0xb
	v_dual_mov_b32 v198, v151 :: v_dual_mov_b32 v199, v150
	s_wait_dscnt 0x8
	v_dual_mov_b32 v200, v155 :: v_dual_mov_b32 v205, v162
	v_dual_mov_b32 v201, v154 :: v_dual_mov_b32 v202, v159
	;; [unrolled: 1-line block ×3, first 2 shown]
	s_wait_loadcnt_dscnt 0xc07
	v_dual_mul_f32 v9, v164, v105 :: v_dual_mul_f32 v35, v165, v105
	v_dual_mul_f32 v37, v167, v107 :: v_dual_mul_f32 v11, v166, v107
	s_wait_loadcnt_dscnt 0xb06
	v_mul_f32_e32 v13, v168, v109
	s_wait_loadcnt_dscnt 0x904
	v_dual_mul_f32 v47, v177, v117 :: v_dual_fma_f32 v35, v164, v104, -v35
	v_dual_fmac_f32 v9, v165, v104 :: v_dual_mul_f32 v49, v179, v119
	v_dual_mul_f32 v39, v169, v109 :: v_dual_mul_f32 v41, v171, v111
	v_dual_fmac_f32 v11, v167, v106 :: v_dual_fma_f32 v37, v166, v106, -v37
	s_delay_alu instid0(VALU_DEP_3) | instskip(SKIP_4) | instid1(VALU_DEP_3)
	v_dual_add_f32 v9, 0, v9 :: v_dual_add_f32 v35, 0, v35
	v_dual_mul_f32 v15, v170, v111 :: v_dual_mul_f32 v17, v172, v113
	s_wait_loadcnt_dscnt 0x803
	v_dual_mul_f32 v51, v181, v121 :: v_dual_fma_f32 v39, v168, v108, -v39
	v_fmac_f32_e32 v13, v169, v108
	v_dual_add_f32 v9, v9, v11 :: v_dual_fmac_f32 v15, v171, v110
	v_add_f32_e32 v11, v35, v37
	v_dual_mul_f32 v43, v173, v113 :: v_dual_mul_f32 v45, v175, v115
	v_dual_mul_f32 v35, v183, v123 :: v_dual_fma_f32 v37, v170, v110, -v41
	s_delay_alu instid0(VALU_DEP_3) | instskip(SKIP_3) | instid1(VALU_DEP_3)
	v_dual_add_f32 v9, v9, v13 :: v_dual_add_f32 v11, v11, v39
	v_dual_mul_f32 v19, v174, v115 :: v_dual_mul_f32 v21, v176, v117
	s_wait_loadcnt_dscnt 0x701
	v_dual_mul_f32 v13, v189, v125 :: v_dual_fma_f32 v39, v172, v112, -v43
	v_dual_fmac_f32 v17, v173, v112 :: v_dual_add_f32 v11, v11, v37
	s_delay_alu instid0(VALU_DEP_3) | instskip(SKIP_1) | instid1(VALU_DEP_2)
	v_dual_add_f32 v9, v9, v15 :: v_dual_fmac_f32 v19, v175, v114
	v_dual_mul_f32 v15, v191, v127 :: v_dual_fma_f32 v37, v174, v114, -v45
	v_dual_add_f32 v11, v11, v39 :: v_dual_add_f32 v9, v9, v17
	v_dual_mul_f32 v23, v178, v119 :: v_dual_mul_f32 v25, v180, v121
	s_wait_loadcnt 0x6
	v_dual_mul_f32 v17, v185, v129 :: v_dual_fma_f32 v39, v176, v116, -v47
	s_delay_alu instid0(VALU_DEP_3) | instskip(NEXT) | instid1(VALU_DEP_3)
	v_dual_fmac_f32 v21, v177, v116 :: v_dual_add_f32 v11, v11, v37
	v_dual_add_f32 v9, v9, v19 :: v_dual_fmac_f32 v23, v179, v118
	v_dual_mul_f32 v19, v187, v131 :: v_dual_fma_f32 v37, v178, v118, -v49
	s_delay_alu instid0(VALU_DEP_2) | instskip(SKIP_3) | instid1(VALU_DEP_3)
	v_dual_add_f32 v11, v11, v39 :: v_dual_add_f32 v9, v9, v21
	v_dual_mul_f32 v27, v182, v123 :: v_dual_mul_f32 v29, v188, v125
	s_wait_loadcnt 0x5
	v_dual_mul_f32 v21, v149, v133 :: v_dual_fma_f32 v39, v180, v120, -v51
	v_dual_fmac_f32 v25, v181, v120 :: v_dual_add_f32 v11, v11, v37
	v_dual_add_f32 v9, v9, v23 :: v_dual_mov_b32 v104, v135
	v_fmac_f32_e32 v27, v183, v122
	s_delay_alu instid0(VALU_DEP_3) | instskip(NEXT) | instid1(VALU_DEP_3)
	v_dual_fma_f32 v23, v182, v122, -v35 :: v_dual_add_f32 v11, v11, v39
	v_dual_add_f32 v9, v9, v25 :: v_dual_mul_f32 v31, v190, v127
	v_dual_mul_f32 v33, v184, v129 :: v_dual_fmac_f32 v29, v189, v124
	s_delay_alu instid0(VALU_DEP_3) | instskip(SKIP_1) | instid1(VALU_DEP_3)
	v_dual_add_f32 v11, v11, v23 :: v_dual_fma_f32 v13, v188, v124, -v13
	s_wait_loadcnt 0x4
	v_dual_add_f32 v9, v9, v27 :: v_dual_mov_b32 v108, v139
	v_fma_f32 v15, v190, v126, -v15
	v_fmac_f32_e32 v31, v191, v126
	v_dual_add_f32 v11, v11, v13 :: v_dual_fmac_f32 v33, v185, v128
	s_delay_alu instid0(VALU_DEP_4) | instskip(SKIP_1) | instid1(VALU_DEP_3)
	v_dual_add_f32 v9, v9, v29 :: v_dual_mul_f32 v207, v186, v131
	v_mul_f32_e32 v209, v148, v133
	v_dual_fma_f32 v13, v184, v128, -v17 :: v_dual_add_f32 v11, v11, v15
	s_delay_alu instid0(VALU_DEP_3) | instskip(NEXT) | instid1(VALU_DEP_4)
	v_dual_fma_f32 v206, v186, v130, -v19 :: v_dual_add_f32 v9, v9, v31
	v_fmac_f32_e32 v207, v187, v130
	v_pk_mul_f32 v[104:105], v[198:199], v[104:105] op_sel_hi:[1,0]
	s_delay_alu instid0(VALU_DEP_4) | instskip(NEXT) | instid1(VALU_DEP_4)
	v_dual_add_f32 v112, v11, v13 :: v_dual_fmac_f32 v209, v149, v132
	v_add_f32_e32 v113, v9, v33
	v_pk_mul_f32 v[106:107], v[152:153], v[136:137] op_sel:[1,1] op_sel_hi:[0,1]
	s_wait_loadcnt 0x3
	v_dual_mov_b32 v114, v143 :: v_dual_fma_f32 v208, v148, v132, -v21
	v_pk_fma_f32 v[116:117], v[150:151], v[134:135], v[104:105] op_sel_hi:[1,0,1]
	v_pk_add_f32 v[112:113], v[112:113], v[206:207]
	v_pk_fma_f32 v[104:105], v[150:151], v[134:135], v[104:105] neg_lo:[0,0,1] neg_hi:[0,0,1]
	v_pk_fma_f32 v[118:119], v[152:153], v[136:137], v[106:107] op_sel_hi:[1,0,1]
	v_pk_mul_f32 v[108:109], v[200:201], v[108:109] op_sel_hi:[1,0]
	v_mov_b32_e32 v105, v117
	v_pk_add_f32 v[112:113], v[112:113], v[208:209]
	v_pk_fma_f32 v[106:107], v[152:153], v[136:137], v[106:107] neg_lo:[0,0,1] neg_hi:[0,0,1]
	v_pk_mul_f32 v[110:111], v[156:157], v[140:141] op_sel:[1,1] op_sel_hi:[0,1]
	v_mov_b32_e32 v107, v119
	v_pk_fma_f32 v[118:119], v[154:155], v[138:139], v[108:109] op_sel_hi:[1,0,1]
	v_pk_add_f32 v[104:105], v[112:113], v[104:105]
	v_pk_fma_f32 v[108:109], v[154:155], v[138:139], v[108:109] neg_lo:[0,0,1] neg_hi:[0,0,1]
	v_pk_fma_f32 v[112:113], v[156:157], v[140:141], v[110:111] op_sel_hi:[1,0,1]
	v_pk_mul_f32 v[114:115], v[202:203], v[114:115] op_sel_hi:[1,0]
	v_mov_b32_e32 v109, v119
	v_pk_add_f32 v[104:105], v[104:105], v[106:107]
	v_pk_fma_f32 v[110:111], v[156:157], v[140:141], v[110:111] neg_lo:[0,0,1] neg_hi:[0,0,1]
	s_wait_loadcnt 0x2
	v_pk_mul_f32 v[116:117], v[160:161], v[144:145] op_sel:[1,1] op_sel_hi:[0,1]
	v_dual_mov_b32 v106, v147 :: v_dual_mov_b32 v111, v113
	v_pk_fma_f32 v[112:113], v[158:159], v[142:143], v[114:115] op_sel_hi:[1,0,1]
	v_pk_add_f32 v[104:105], v[104:105], v[108:109]
	v_pk_fma_f32 v[114:115], v[158:159], v[142:143], v[114:115] neg_lo:[0,0,1] neg_hi:[0,0,1]
	v_pk_fma_f32 v[108:109], v[160:161], v[144:145], v[116:117] op_sel_hi:[1,0,1]
	v_pk_mul_f32 v[106:107], v[204:205], v[106:107] op_sel_hi:[1,0]
	v_mov_b32_e32 v115, v113
	v_pk_add_f32 v[104:105], v[104:105], v[110:111]
	v_pk_fma_f32 v[110:111], v[160:161], v[144:145], v[116:117] neg_lo:[0,0,1] neg_hi:[0,0,1]
	v_mov_b32_e32 v111, v109
	v_pk_fma_f32 v[108:109], v[162:163], v[146:147], v[106:107] op_sel_hi:[1,0,1]
	s_wait_loadcnt_dscnt 0x100
	v_pk_mul_f32 v[112:113], v[196:197], v[192:193] op_sel:[1,1] op_sel_hi:[0,1]
	v_pk_add_f32 v[104:105], v[104:105], v[114:115]
	v_pk_fma_f32 v[106:107], v[162:163], v[146:147], v[106:107] neg_lo:[0,0,1] neg_hi:[0,0,1]
	v_mov_b32_e32 v107, v109
	s_delay_alu instid0(VALU_DEP_4) | instskip(NEXT) | instid1(VALU_DEP_4)
	v_pk_fma_f32 v[108:109], v[196:197], v[192:193], v[112:113] op_sel_hi:[1,0,1]
	v_pk_add_f32 v[104:105], v[104:105], v[110:111]
	v_pk_fma_f32 v[110:111], v[196:197], v[192:193], v[112:113] neg_lo:[0,0,1] neg_hi:[0,0,1]
	s_delay_alu instid0(VALU_DEP_3) | instskip(NEXT) | instid1(VALU_DEP_3)
	v_mov_b32_e32 v111, v109
	v_pk_add_f32 v[104:105], v[104:105], v[106:107]
	s_delay_alu instid0(VALU_DEP_1) | instskip(SKIP_1) | instid1(VALU_DEP_1)
	v_pk_add_f32 v[104:105], v[104:105], v[110:111]
	s_wait_loadcnt 0x0
	v_pk_add_f32 v[104:105], v[194:195], v[104:105] neg_lo:[0,1] neg_hi:[0,1]
	scratch_store_b64 off, v[104:105], off offset:216
	s_wait_xcnt 0x0
	v_cmpx_lt_u32_e32 26, v0
	s_cbranch_execz .LBB114_267
; %bb.266:
	scratch_load_b64 v[104:105], off, off offset:208
	v_mov_b64_e32 v[106:107], 0
	scratch_store_b64 off, v[106:107], off offset:208
	s_wait_loadcnt 0x0
	ds_store_b64 v1, v[104:105]
.LBB114_267:
	s_wait_xcnt 0x0
	s_or_b32 exec_lo, exec_lo, s0
	s_wait_storecnt_dscnt 0x0
	s_barrier_signal -1
	s_barrier_wait -1
	s_clause 0xc
	scratch_load_b128 v[104:107], off, off offset:216
	scratch_load_b128 v[108:111], off, off offset:232
	;; [unrolled: 1-line block ×12, first 2 shown]
	scratch_load_b64 v[200:201], off, off offset:208
	ds_load_2addr_b64 v[152:155], v7 offset0:95 offset1:96
	ds_load_2addr_b64 v[156:159], v7 offset0:97 offset1:98
	;; [unrolled: 1-line block ×12, first 2 shown]
	s_mov_b32 s0, exec_lo
	s_wait_dscnt 0xb
	v_dual_mov_b32 v202, v155 :: v_dual_mov_b32 v203, v154
	s_wait_dscnt 0xa
	v_dual_mov_b32 v204, v159 :: v_dual_mov_b32 v205, v158
	;; [unrolled: 2-line block ×4, first 2 shown]
	s_wait_loadcnt_dscnt 0xc07
	v_dual_mul_f32 v7, v168, v105 :: v_dual_mul_f32 v9, v170, v107
	v_dual_mul_f32 v35, v169, v105 :: v_dual_mul_f32 v37, v171, v107
	s_wait_loadcnt_dscnt 0xb06
	v_dual_mul_f32 v11, v172, v109 :: v_dual_mul_f32 v13, v174, v111
	s_delay_alu instid0(VALU_DEP_3) | instskip(SKIP_3) | instid1(VALU_DEP_3)
	v_dual_fmac_f32 v7, v169, v104 :: v_dual_fmac_f32 v9, v171, v106
	s_wait_loadcnt_dscnt 0x904
	v_dual_fma_f32 v35, v168, v104, -v35 :: v_dual_mul_f32 v47, v181, v117
	v_dual_mul_f32 v39, v173, v109 :: v_dual_mul_f32 v41, v175, v111
	v_dual_fma_f32 v37, v170, v106, -v37 :: v_dual_add_f32 v7, 0, v7
	s_delay_alu instid0(VALU_DEP_3) | instskip(SKIP_1) | instid1(VALU_DEP_4)
	v_dual_add_f32 v35, 0, v35 :: v_dual_fmac_f32 v11, v173, v108
	v_dual_mul_f32 v15, v176, v113 :: v_dual_mul_f32 v17, v178, v115
	v_dual_mul_f32 v49, v183, v119 :: v_dual_fma_f32 v39, v172, v108, -v39
	s_delay_alu instid0(VALU_DEP_4) | instskip(NEXT) | instid1(VALU_DEP_3)
	v_add_f32_e32 v7, v7, v9
	v_dual_add_f32 v9, v35, v37 :: v_dual_fmac_f32 v15, v177, v112
	v_dual_mul_f32 v43, v177, v113 :: v_dual_mul_f32 v45, v179, v115
	s_wait_loadcnt_dscnt 0x803
	v_dual_mul_f32 v35, v185, v121 :: v_dual_fmac_f32 v13, v175, v110
	v_dual_fma_f32 v37, v174, v110, -v41 :: v_dual_add_f32 v7, v7, v11
	s_delay_alu instid0(VALU_DEP_3) | instskip(SKIP_1) | instid1(VALU_DEP_3)
	v_dual_add_f32 v9, v9, v39 :: v_dual_fma_f32 v39, v176, v112, -v43
	v_dual_mul_f32 v19, v180, v117 :: v_dual_mul_f32 v21, v182, v119
	v_add_f32_e32 v7, v7, v13
	s_delay_alu instid0(VALU_DEP_3) | instskip(SKIP_2) | instid1(VALU_DEP_3)
	v_dual_mul_f32 v11, v187, v123 :: v_dual_add_f32 v9, v9, v37
	s_wait_loadcnt_dscnt 0x702
	v_dual_mul_f32 v13, v189, v125 :: v_dual_fmac_f32 v17, v179, v114
	v_dual_fma_f32 v37, v178, v114, -v45 :: v_dual_add_f32 v7, v7, v15
	s_delay_alu instid0(VALU_DEP_3) | instskip(SKIP_1) | instid1(VALU_DEP_3)
	v_dual_add_f32 v9, v9, v39 :: v_dual_fma_f32 v39, v180, v116, -v47
	v_dual_mul_f32 v15, v191, v127 :: v_dual_fmac_f32 v19, v181, v116
	v_add_f32_e32 v7, v7, v17
	s_delay_alu instid0(VALU_DEP_3)
	v_dual_add_f32 v9, v9, v37 :: v_dual_fmac_f32 v21, v183, v118
	v_dual_mul_f32 v23, v184, v121 :: v_dual_mul_f32 v25, v186, v123
	s_wait_loadcnt_dscnt 0x601
	v_dual_fma_f32 v37, v182, v118, -v49 :: v_dual_mul_f32 v17, v193, v129
	v_add_f32_e32 v7, v7, v19
	v_dual_add_f32 v9, v9, v39 :: v_dual_fma_f32 v35, v184, v120, -v35
	v_dual_mul_f32 v19, v195, v131 :: v_dual_fmac_f32 v23, v185, v120
	s_delay_alu instid0(VALU_DEP_3) | instskip(NEXT) | instid1(VALU_DEP_3)
	v_dual_add_f32 v7, v7, v21 :: v_dual_fma_f32 v11, v186, v122, -v11
	v_dual_add_f32 v9, v9, v37 :: v_dual_fmac_f32 v25, v187, v122
	v_dual_mul_f32 v27, v188, v125 :: v_dual_mul_f32 v29, v190, v127
	s_wait_loadcnt_dscnt 0x500
	s_delay_alu instid0(VALU_DEP_3) | instskip(NEXT) | instid1(VALU_DEP_3)
	v_dual_mul_f32 v21, v197, v133 :: v_dual_add_f32 v7, v7, v23
	v_dual_add_f32 v9, v9, v35 :: v_dual_fma_f32 v13, v188, v124, -v13
	s_delay_alu instid0(VALU_DEP_3) | instskip(NEXT) | instid1(VALU_DEP_2)
	v_dual_mul_f32 v23, v199, v135 :: v_dual_fmac_f32 v27, v189, v124
	v_dual_add_f32 v7, v7, v25 :: v_dual_add_f32 v9, v9, v11
	v_dual_mul_f32 v31, v192, v129 :: v_dual_mul_f32 v33, v194, v131
	v_dual_fmac_f32 v29, v191, v126 :: v_dual_fma_f32 v11, v190, v126, -v15
	s_delay_alu instid0(VALU_DEP_3) | instskip(SKIP_1) | instid1(VALU_DEP_3)
	v_dual_add_f32 v7, v7, v27 :: v_dual_add_f32 v9, v9, v13
	s_wait_loadcnt 0x4
	v_dual_mov_b32 v106, v139 :: v_dual_fmac_f32 v31, v193, v128
	s_delay_alu instid0(VALU_DEP_2) | instskip(NEXT) | instid1(VALU_DEP_3)
	v_dual_fma_f32 v13, v192, v128, -v17 :: v_dual_add_f32 v7, v7, v29
	v_dual_add_f32 v9, v9, v11 :: v_dual_fmac_f32 v33, v195, v130
	v_dual_mul_f32 v211, v196, v133 :: v_dual_mul_f32 v213, v198, v135
	s_delay_alu instid0(VALU_DEP_3) | instskip(SKIP_1) | instid1(VALU_DEP_3)
	v_dual_fma_f32 v11, v194, v130, -v19 :: v_dual_add_f32 v7, v7, v31
	s_wait_loadcnt 0x3
	v_dual_add_f32 v9, v9, v13 :: v_dual_mov_b32 v110, v143
	v_pk_mul_f32 v[104:105], v[152:153], v[136:137] op_sel:[1,1] op_sel_hi:[0,1]
	v_dual_fmac_f32 v211, v197, v132 :: v_dual_fma_f32 v210, v196, v132, -v21
	s_delay_alu instid0(VALU_DEP_3) | instskip(SKIP_1) | instid1(VALU_DEP_4)
	v_dual_add_f32 v113, v7, v33 :: v_dual_add_f32 v112, v9, v11
	v_dual_fmac_f32 v213, v199, v134 :: v_dual_fma_f32 v212, v198, v134, -v23
	v_pk_fma_f32 v[114:115], v[152:153], v[136:137], v[104:105] op_sel_hi:[1,0,1]
	v_pk_mul_f32 v[106:107], v[202:203], v[106:107] op_sel_hi:[1,0]
	s_delay_alu instid0(VALU_DEP_4)
	v_pk_add_f32 v[112:113], v[112:113], v[210:211]
	v_pk_fma_f32 v[104:105], v[152:153], v[136:137], v[104:105] neg_lo:[0,0,1] neg_hi:[0,0,1]
	v_pk_mul_f32 v[108:109], v[156:157], v[140:141] op_sel:[1,1] op_sel_hi:[0,1]
	v_mov_b32_e32 v105, v115
	v_pk_fma_f32 v[114:115], v[154:155], v[138:139], v[106:107] op_sel_hi:[1,0,1]
	v_pk_add_f32 v[112:113], v[112:113], v[212:213]
	v_pk_fma_f32 v[106:107], v[154:155], v[138:139], v[106:107] neg_lo:[0,0,1] neg_hi:[0,0,1]
	v_pk_fma_f32 v[118:119], v[156:157], v[140:141], v[108:109] op_sel_hi:[1,0,1]
	v_pk_mul_f32 v[110:111], v[204:205], v[110:111] op_sel_hi:[1,0]
	v_mov_b32_e32 v107, v115
	v_pk_add_f32 v[104:105], v[112:113], v[104:105]
	s_wait_loadcnt 0x2
	v_pk_mul_f32 v[116:117], v[160:161], v[144:145] op_sel:[1,1] op_sel_hi:[0,1]
	v_mov_b32_e32 v112, v147
	v_pk_fma_f32 v[108:109], v[156:157], v[140:141], v[108:109] neg_lo:[0,0,1] neg_hi:[0,0,1]
	v_mov_b32_e32 v109, v119
	v_pk_fma_f32 v[114:115], v[158:159], v[142:143], v[110:111] op_sel_hi:[1,0,1]
	v_pk_add_f32 v[104:105], v[104:105], v[106:107]
	v_pk_fma_f32 v[106:107], v[160:161], v[144:145], v[116:117] op_sel_hi:[1,0,1]
	v_pk_mul_f32 v[112:113], v[206:207], v[112:113] op_sel_hi:[1,0]
	v_pk_fma_f32 v[110:111], v[158:159], v[142:143], v[110:111] neg_lo:[0,0,1] neg_hi:[0,0,1]
	v_mov_b32_e32 v111, v115
	v_pk_add_f32 v[104:105], v[104:105], v[108:109]
	v_pk_fma_f32 v[114:115], v[160:161], v[144:145], v[116:117] neg_lo:[0,0,1] neg_hi:[0,0,1]
	v_mov_b32_e32 v115, v107
	v_pk_fma_f32 v[106:107], v[162:163], v[146:147], v[112:113] op_sel_hi:[1,0,1]
	s_wait_loadcnt 0x1
	v_pk_mul_f32 v[108:109], v[164:165], v[148:149] op_sel:[1,1] op_sel_hi:[0,1]
	v_pk_add_f32 v[104:105], v[104:105], v[110:111]
	v_mov_b32_e32 v106, v151
	v_pk_fma_f32 v[112:113], v[162:163], v[146:147], v[112:113] neg_lo:[0,0,1] neg_hi:[0,0,1]
	v_mov_b32_e32 v113, v107
	v_pk_fma_f32 v[110:111], v[164:165], v[148:149], v[108:109] op_sel_hi:[1,0,1]
	v_pk_add_f32 v[104:105], v[104:105], v[114:115]
	v_pk_mul_f32 v[106:107], v[208:209], v[106:107] op_sel_hi:[1,0]
	v_pk_fma_f32 v[108:109], v[164:165], v[148:149], v[108:109] neg_lo:[0,0,1] neg_hi:[0,0,1]
	s_delay_alu instid0(VALU_DEP_4) | instskip(NEXT) | instid1(VALU_DEP_4)
	v_mov_b32_e32 v109, v111
	v_pk_add_f32 v[104:105], v[104:105], v[112:113]
	s_delay_alu instid0(VALU_DEP_4) | instskip(SKIP_1) | instid1(VALU_DEP_2)
	v_pk_fma_f32 v[110:111], v[166:167], v[150:151], v[106:107] op_sel_hi:[1,0,1]
	v_pk_fma_f32 v[106:107], v[166:167], v[150:151], v[106:107] neg_lo:[0,0,1] neg_hi:[0,0,1]
	v_mov_b32_e32 v107, v111
	s_delay_alu instid0(VALU_DEP_4) | instskip(NEXT) | instid1(VALU_DEP_1)
	v_pk_add_f32 v[104:105], v[104:105], v[108:109]
	v_pk_add_f32 v[104:105], v[104:105], v[106:107]
	s_wait_loadcnt 0x0
	s_delay_alu instid0(VALU_DEP_1)
	v_pk_add_f32 v[104:105], v[200:201], v[104:105] neg_lo:[0,1] neg_hi:[0,1]
	scratch_store_b64 off, v[104:105], off offset:208
	s_wait_xcnt 0x0
	v_cmpx_lt_u32_e32 25, v0
	s_cbranch_execz .LBB114_269
; %bb.268:
	scratch_load_b64 v[104:105], off, off offset:200
	v_mov_b64_e32 v[106:107], 0
	scratch_store_b64 off, v[106:107], off offset:200
	s_wait_loadcnt 0x0
	ds_store_b64 v1, v[104:105]
.LBB114_269:
	s_wait_xcnt 0x0
	s_or_b32 exec_lo, exec_lo, s0
	s_wait_storecnt_dscnt 0x0
	s_barrier_signal -1
	s_barrier_wait -1
	s_clause 0xd
	scratch_load_b128 v[104:107], off, off offset:208
	scratch_load_b128 v[108:111], off, off offset:224
	;; [unrolled: 1-line block ×12, first 2 shown]
	scratch_load_b64 v[200:201], off, off offset:400
	scratch_load_b64 v[202:203], off, off offset:200
	v_mov_b32_e32 v7, 0
	ds_load_b128 v[152:155], v7 offset:752
	ds_load_b128 v[156:159], v7 offset:768
	;; [unrolled: 1-line block ×12, first 2 shown]
	ds_load_b64 v[204:205], v7 offset:816
	s_mov_b32 s0, exec_lo
	s_wait_dscnt 0xc
	v_dual_mov_b32 v206, v155 :: v_dual_mov_b32 v207, v154
	s_wait_dscnt 0x9
	v_dual_mov_b32 v208, v159 :: v_dual_mov_b32 v213, v166
	v_dual_mov_b32 v209, v158 :: v_dual_mov_b32 v210, v163
	v_dual_mov_b32 v211, v162 :: v_dual_mov_b32 v212, v167
	s_wait_loadcnt_dscnt 0xd08
	v_dual_mul_f32 v9, v168, v105 :: v_dual_mul_f32 v39, v169, v105
	v_dual_mul_f32 v41, v171, v107 :: v_dual_mul_f32 v11, v170, v107
	s_wait_loadcnt_dscnt 0xc07
	v_mul_f32_e32 v13, v172, v109
	s_wait_loadcnt_dscnt 0xa05
	v_dual_mul_f32 v51, v181, v117 :: v_dual_fma_f32 v39, v168, v104, -v39
	v_dual_fmac_f32 v9, v169, v104 :: v_dual_mul_f32 v53, v183, v119
	v_dual_mul_f32 v43, v173, v109 :: v_dual_mul_f32 v45, v175, v111
	v_dual_fmac_f32 v11, v171, v106 :: v_dual_fma_f32 v41, v170, v106, -v41
	s_delay_alu instid0(VALU_DEP_3) | instskip(SKIP_4) | instid1(VALU_DEP_3)
	v_dual_add_f32 v9, 0, v9 :: v_dual_add_f32 v39, 0, v39
	v_dual_mul_f32 v15, v174, v111 :: v_dual_mul_f32 v17, v176, v113
	s_wait_loadcnt_dscnt 0x904
	v_dual_mul_f32 v55, v185, v121 :: v_dual_fma_f32 v43, v172, v108, -v43
	v_fmac_f32_e32 v13, v173, v108
	v_dual_add_f32 v9, v9, v11 :: v_dual_fmac_f32 v15, v175, v110
	v_add_f32_e32 v11, v39, v41
	v_dual_mul_f32 v47, v177, v113 :: v_dual_mul_f32 v49, v179, v115
	v_dual_mul_f32 v39, v187, v123 :: v_dual_fma_f32 v41, v174, v110, -v45
	s_delay_alu instid0(VALU_DEP_3) | instskip(SKIP_3) | instid1(VALU_DEP_3)
	v_dual_add_f32 v9, v9, v13 :: v_dual_add_f32 v11, v11, v43
	v_dual_mul_f32 v19, v178, v115 :: v_dual_mul_f32 v21, v180, v117
	s_wait_loadcnt_dscnt 0x803
	v_dual_mul_f32 v13, v189, v125 :: v_dual_fma_f32 v43, v176, v112, -v47
	v_dual_fmac_f32 v17, v177, v112 :: v_dual_add_f32 v11, v11, v41
	s_delay_alu instid0(VALU_DEP_3) | instskip(SKIP_1) | instid1(VALU_DEP_2)
	v_dual_add_f32 v9, v9, v15 :: v_dual_fmac_f32 v19, v179, v114
	v_dual_mul_f32 v15, v191, v127 :: v_dual_fma_f32 v41, v178, v114, -v49
	v_dual_add_f32 v11, v11, v43 :: v_dual_add_f32 v9, v9, v17
	v_dual_mul_f32 v23, v182, v119 :: v_dual_mul_f32 v25, v184, v121
	s_wait_loadcnt_dscnt 0x702
	v_dual_mul_f32 v17, v193, v129 :: v_dual_fma_f32 v43, v180, v116, -v51
	s_delay_alu instid0(VALU_DEP_3) | instskip(NEXT) | instid1(VALU_DEP_3)
	v_dual_fmac_f32 v21, v181, v116 :: v_dual_add_f32 v11, v11, v41
	v_dual_add_f32 v9, v9, v19 :: v_dual_fmac_f32 v23, v183, v118
	v_dual_mul_f32 v19, v195, v131 :: v_dual_fma_f32 v41, v182, v118, -v53
	s_delay_alu instid0(VALU_DEP_2) | instskip(SKIP_3) | instid1(VALU_DEP_3)
	v_dual_add_f32 v11, v11, v43 :: v_dual_add_f32 v9, v9, v21
	v_dual_mul_f32 v27, v186, v123 :: v_dual_mul_f32 v29, v188, v125
	s_wait_loadcnt_dscnt 0x601
	v_dual_mul_f32 v21, v197, v133 :: v_dual_fma_f32 v43, v184, v120, -v55
	v_dual_fmac_f32 v25, v185, v120 :: v_dual_add_f32 v11, v11, v41
	s_delay_alu instid0(VALU_DEP_3) | instskip(SKIP_1) | instid1(VALU_DEP_2)
	v_dual_add_f32 v9, v9, v23 :: v_dual_fmac_f32 v27, v187, v122
	v_dual_mul_f32 v23, v199, v135 :: v_dual_fma_f32 v39, v186, v122, -v39
	v_dual_add_f32 v11, v11, v43 :: v_dual_add_f32 v9, v9, v25
	v_dual_mul_f32 v31, v190, v127 :: v_dual_mul_f32 v33, v192, v129
	s_wait_loadcnt 0x5
	v_dual_mul_f32 v25, v153, v137 :: v_dual_fma_f32 v13, v188, v124, -v13
	s_delay_alu instid0(VALU_DEP_3) | instskip(SKIP_2) | instid1(VALU_DEP_3)
	v_dual_fmac_f32 v29, v189, v124 :: v_dual_add_f32 v11, v11, v39
	v_dual_add_f32 v9, v9, v27 :: v_dual_mov_b32 v104, v139
	v_fmac_f32_e32 v31, v191, v126
	v_dual_fma_f32 v15, v190, v126, -v15 :: v_dual_add_f32 v11, v11, v13
	s_delay_alu instid0(VALU_DEP_3) | instskip(SKIP_1) | instid1(VALU_DEP_3)
	v_dual_add_f32 v9, v9, v29 :: v_dual_mul_f32 v35, v194, v131
	v_dual_mul_f32 v37, v196, v133 :: v_dual_fmac_f32 v33, v193, v128
	v_dual_add_f32 v11, v11, v15 :: v_dual_fma_f32 v13, v192, v128, -v17
	s_wait_loadcnt 0x4
	s_delay_alu instid0(VALU_DEP_3) | instskip(SKIP_3) | instid1(VALU_DEP_4)
	v_dual_add_f32 v9, v9, v31 :: v_dual_mov_b32 v108, v143
	v_fma_f32 v15, v194, v130, -v19
	v_fmac_f32_e32 v35, v195, v130
	v_dual_add_f32 v11, v11, v13 :: v_dual_fmac_f32 v37, v197, v132
	v_dual_add_f32 v9, v9, v33 :: v_dual_mul_f32 v215, v198, v135
	v_mul_f32_e32 v217, v152, v137
	s_delay_alu instid0(VALU_DEP_3) | instskip(NEXT) | instid1(VALU_DEP_3)
	v_dual_fma_f32 v13, v196, v132, -v21 :: v_dual_add_f32 v11, v11, v15
	v_dual_fma_f32 v214, v198, v134, -v23 :: v_dual_add_f32 v9, v9, v35
	s_delay_alu instid0(VALU_DEP_4) | instskip(SKIP_1) | instid1(VALU_DEP_4)
	v_fmac_f32_e32 v215, v199, v134
	v_pk_mul_f32 v[104:105], v[206:207], v[104:105] op_sel_hi:[1,0]
	v_dual_add_f32 v112, v11, v13 :: v_dual_fmac_f32 v217, v153, v136
	s_delay_alu instid0(VALU_DEP_4)
	v_add_f32_e32 v113, v9, v37
	v_pk_mul_f32 v[106:107], v[156:157], v[140:141] op_sel:[1,1] op_sel_hi:[0,1]
	s_wait_loadcnt 0x3
	v_dual_mov_b32 v114, v147 :: v_dual_fma_f32 v216, v152, v136, -v25
	v_pk_fma_f32 v[116:117], v[154:155], v[138:139], v[104:105] op_sel_hi:[1,0,1]
	v_pk_add_f32 v[112:113], v[112:113], v[214:215]
	v_pk_fma_f32 v[104:105], v[154:155], v[138:139], v[104:105] neg_lo:[0,0,1] neg_hi:[0,0,1]
	v_pk_fma_f32 v[118:119], v[156:157], v[140:141], v[106:107] op_sel_hi:[1,0,1]
	v_pk_mul_f32 v[108:109], v[208:209], v[108:109] op_sel_hi:[1,0]
	v_mov_b32_e32 v105, v117
	v_pk_add_f32 v[112:113], v[112:113], v[216:217]
	v_pk_fma_f32 v[106:107], v[156:157], v[140:141], v[106:107] neg_lo:[0,0,1] neg_hi:[0,0,1]
	v_pk_mul_f32 v[110:111], v[160:161], v[144:145] op_sel:[1,1] op_sel_hi:[0,1]
	v_mov_b32_e32 v107, v119
	v_pk_fma_f32 v[118:119], v[158:159], v[142:143], v[108:109] op_sel_hi:[1,0,1]
	v_pk_add_f32 v[104:105], v[112:113], v[104:105]
	v_pk_fma_f32 v[108:109], v[158:159], v[142:143], v[108:109] neg_lo:[0,0,1] neg_hi:[0,0,1]
	v_pk_fma_f32 v[112:113], v[160:161], v[144:145], v[110:111] op_sel_hi:[1,0,1]
	v_pk_mul_f32 v[114:115], v[210:211], v[114:115] op_sel_hi:[1,0]
	v_mov_b32_e32 v109, v119
	v_pk_add_f32 v[104:105], v[104:105], v[106:107]
	v_pk_fma_f32 v[110:111], v[160:161], v[144:145], v[110:111] neg_lo:[0,0,1] neg_hi:[0,0,1]
	s_wait_loadcnt 0x2
	v_pk_mul_f32 v[116:117], v[164:165], v[148:149] op_sel:[1,1] op_sel_hi:[0,1]
	v_dual_mov_b32 v106, v151 :: v_dual_mov_b32 v111, v113
	v_pk_fma_f32 v[112:113], v[162:163], v[146:147], v[114:115] op_sel_hi:[1,0,1]
	v_pk_add_f32 v[104:105], v[104:105], v[108:109]
	v_pk_fma_f32 v[114:115], v[162:163], v[146:147], v[114:115] neg_lo:[0,0,1] neg_hi:[0,0,1]
	v_pk_fma_f32 v[108:109], v[164:165], v[148:149], v[116:117] op_sel_hi:[1,0,1]
	v_pk_mul_f32 v[106:107], v[212:213], v[106:107] op_sel_hi:[1,0]
	v_mov_b32_e32 v115, v113
	v_pk_add_f32 v[104:105], v[104:105], v[110:111]
	v_pk_fma_f32 v[110:111], v[164:165], v[148:149], v[116:117] neg_lo:[0,0,1] neg_hi:[0,0,1]
	v_mov_b32_e32 v111, v109
	v_pk_fma_f32 v[108:109], v[166:167], v[150:151], v[106:107] op_sel_hi:[1,0,1]
	s_wait_loadcnt_dscnt 0x100
	v_pk_mul_f32 v[112:113], v[204:205], v[200:201] op_sel:[1,1] op_sel_hi:[0,1]
	v_pk_add_f32 v[104:105], v[104:105], v[114:115]
	v_pk_fma_f32 v[106:107], v[166:167], v[150:151], v[106:107] neg_lo:[0,0,1] neg_hi:[0,0,1]
	v_mov_b32_e32 v107, v109
	s_delay_alu instid0(VALU_DEP_4) | instskip(NEXT) | instid1(VALU_DEP_4)
	v_pk_fma_f32 v[108:109], v[204:205], v[200:201], v[112:113] op_sel_hi:[1,0,1]
	v_pk_add_f32 v[104:105], v[104:105], v[110:111]
	v_pk_fma_f32 v[110:111], v[204:205], v[200:201], v[112:113] neg_lo:[0,0,1] neg_hi:[0,0,1]
	s_delay_alu instid0(VALU_DEP_3) | instskip(NEXT) | instid1(VALU_DEP_3)
	v_mov_b32_e32 v111, v109
	v_pk_add_f32 v[104:105], v[104:105], v[106:107]
	s_delay_alu instid0(VALU_DEP_1) | instskip(SKIP_1) | instid1(VALU_DEP_1)
	v_pk_add_f32 v[104:105], v[104:105], v[110:111]
	s_wait_loadcnt 0x0
	v_pk_add_f32 v[104:105], v[202:203], v[104:105] neg_lo:[0,1] neg_hi:[0,1]
	scratch_store_b64 off, v[104:105], off offset:200
	s_wait_xcnt 0x0
	v_cmpx_lt_u32_e32 24, v0
	s_cbranch_execz .LBB114_271
; %bb.270:
	scratch_load_b64 v[104:105], off, off offset:192
	v_mov_b64_e32 v[106:107], 0
	scratch_store_b64 off, v[106:107], off offset:192
	s_wait_loadcnt 0x0
	ds_store_b64 v1, v[104:105]
.LBB114_271:
	s_wait_xcnt 0x0
	s_or_b32 exec_lo, exec_lo, s0
	s_wait_storecnt_dscnt 0x0
	s_barrier_signal -1
	s_barrier_wait -1
	s_clause 0xd
	scratch_load_b128 v[104:107], off, off offset:200
	scratch_load_b128 v[108:111], off, off offset:216
	;; [unrolled: 1-line block ×13, first 2 shown]
	scratch_load_b64 v[208:209], off, off offset:192
	ds_load_2addr_b64 v[156:159], v7 offset0:95 offset1:96
	ds_load_2addr_b64 v[160:163], v7 offset0:97 offset1:98
	;; [unrolled: 1-line block ×13, first 2 shown]
	s_mov_b32 s0, exec_lo
	s_wait_dscnt 0xc
	v_dual_mov_b32 v210, v159 :: v_dual_mov_b32 v211, v158
	s_wait_dscnt 0xb
	v_dual_mov_b32 v212, v163 :: v_dual_mov_b32 v213, v162
	;; [unrolled: 2-line block ×4, first 2 shown]
	s_wait_loadcnt_dscnt 0xd08
	v_dual_mul_f32 v7, v172, v105 :: v_dual_mul_f32 v9, v174, v107
	v_dual_mul_f32 v39, v173, v105 :: v_dual_mul_f32 v41, v175, v107
	s_wait_loadcnt_dscnt 0xc07
	v_dual_mul_f32 v11, v176, v109 :: v_dual_mul_f32 v13, v178, v111
	s_delay_alu instid0(VALU_DEP_3) | instskip(SKIP_3) | instid1(VALU_DEP_3)
	v_dual_fmac_f32 v7, v173, v104 :: v_dual_fmac_f32 v9, v175, v106
	s_wait_loadcnt_dscnt 0xa05
	v_dual_fma_f32 v39, v172, v104, -v39 :: v_dual_mul_f32 v51, v185, v117
	v_dual_mul_f32 v43, v177, v109 :: v_dual_mul_f32 v45, v179, v111
	v_dual_fma_f32 v41, v174, v106, -v41 :: v_dual_add_f32 v7, 0, v7
	s_delay_alu instid0(VALU_DEP_3) | instskip(SKIP_1) | instid1(VALU_DEP_4)
	v_dual_add_f32 v39, 0, v39 :: v_dual_fmac_f32 v11, v177, v108
	v_dual_mul_f32 v15, v180, v113 :: v_dual_mul_f32 v17, v182, v115
	v_dual_mul_f32 v53, v187, v119 :: v_dual_fma_f32 v43, v176, v108, -v43
	s_delay_alu instid0(VALU_DEP_4) | instskip(NEXT) | instid1(VALU_DEP_3)
	v_add_f32_e32 v7, v7, v9
	v_dual_add_f32 v9, v39, v41 :: v_dual_fmac_f32 v15, v181, v112
	v_dual_mul_f32 v47, v181, v113 :: v_dual_mul_f32 v49, v183, v115
	s_wait_loadcnt_dscnt 0x903
	v_dual_mul_f32 v39, v193, v121 :: v_dual_fmac_f32 v13, v179, v110
	v_dual_fma_f32 v41, v178, v110, -v45 :: v_dual_add_f32 v7, v7, v11
	s_delay_alu instid0(VALU_DEP_3) | instskip(SKIP_1) | instid1(VALU_DEP_3)
	v_dual_add_f32 v9, v9, v43 :: v_dual_fma_f32 v43, v180, v112, -v47
	v_dual_mul_f32 v19, v184, v117 :: v_dual_mul_f32 v21, v186, v119
	v_add_f32_e32 v7, v7, v13
	s_delay_alu instid0(VALU_DEP_3) | instskip(SKIP_2) | instid1(VALU_DEP_3)
	v_dual_mul_f32 v11, v195, v123 :: v_dual_add_f32 v9, v9, v41
	s_wait_loadcnt_dscnt 0x802
	v_dual_mul_f32 v13, v197, v125 :: v_dual_fmac_f32 v17, v183, v114
	v_dual_fma_f32 v41, v182, v114, -v49 :: v_dual_add_f32 v7, v7, v15
	s_delay_alu instid0(VALU_DEP_3) | instskip(SKIP_1) | instid1(VALU_DEP_3)
	v_dual_add_f32 v9, v9, v43 :: v_dual_fma_f32 v43, v184, v116, -v51
	v_dual_mul_f32 v15, v199, v127 :: v_dual_fmac_f32 v19, v185, v116
	v_add_f32_e32 v7, v7, v17
	s_delay_alu instid0(VALU_DEP_3)
	v_dual_add_f32 v9, v9, v41 :: v_dual_fmac_f32 v21, v187, v118
	v_dual_mul_f32 v23, v192, v121 :: v_dual_mul_f32 v25, v194, v123
	s_wait_loadcnt_dscnt 0x701
	v_dual_fma_f32 v41, v186, v118, -v53 :: v_dual_mul_f32 v17, v201, v129
	v_add_f32_e32 v7, v7, v19
	v_dual_add_f32 v9, v9, v43 :: v_dual_fma_f32 v39, v192, v120, -v39
	v_dual_mul_f32 v19, v203, v131 :: v_dual_fmac_f32 v23, v193, v120
	s_delay_alu instid0(VALU_DEP_3) | instskip(NEXT) | instid1(VALU_DEP_3)
	v_dual_add_f32 v7, v7, v21 :: v_dual_fma_f32 v11, v194, v122, -v11
	v_dual_add_f32 v9, v9, v41 :: v_dual_fmac_f32 v25, v195, v122
	v_dual_mul_f32 v27, v196, v125 :: v_dual_mul_f32 v29, v198, v127
	s_wait_loadcnt_dscnt 0x600
	s_delay_alu instid0(VALU_DEP_3) | instskip(NEXT) | instid1(VALU_DEP_3)
	v_dual_mul_f32 v21, v205, v133 :: v_dual_add_f32 v7, v7, v23
	v_dual_add_f32 v9, v9, v39 :: v_dual_fma_f32 v13, v196, v124, -v13
	s_delay_alu instid0(VALU_DEP_3) | instskip(NEXT) | instid1(VALU_DEP_2)
	v_dual_mul_f32 v23, v207, v135 :: v_dual_fmac_f32 v27, v197, v124
	v_dual_add_f32 v7, v7, v25 :: v_dual_add_f32 v9, v9, v11
	v_dual_mul_f32 v31, v200, v129 :: v_dual_mul_f32 v33, v202, v131
	s_wait_loadcnt 0x5
	v_dual_mul_f32 v11, v189, v137 :: v_dual_fmac_f32 v29, v199, v126
	s_delay_alu instid0(VALU_DEP_3) | instskip(SKIP_2) | instid1(VALU_DEP_2)
	v_dual_fma_f32 v15, v198, v126, -v15 :: v_dual_add_f32 v7, v7, v27
	v_dual_add_f32 v9, v9, v13 :: v_dual_mul_f32 v13, v191, v139
	v_dual_fmac_f32 v31, v201, v128 :: v_dual_fma_f32 v17, v200, v128, -v17
	v_dual_add_f32 v7, v7, v29 :: v_dual_add_f32 v9, v9, v15
	v_dual_mul_f32 v35, v204, v133 :: v_dual_mul_f32 v37, v206, v135
	v_dual_fmac_f32 v33, v203, v130 :: v_dual_fma_f32 v15, v202, v130, -v19
	s_delay_alu instid0(VALU_DEP_3) | instskip(SKIP_1) | instid1(VALU_DEP_3)
	v_dual_add_f32 v7, v7, v31 :: v_dual_add_f32 v9, v9, v17
	s_wait_loadcnt 0x4
	v_dual_mov_b32 v106, v143 :: v_dual_fmac_f32 v35, v205, v132
	s_delay_alu instid0(VALU_DEP_2) | instskip(NEXT) | instid1(VALU_DEP_3)
	v_dual_fma_f32 v17, v204, v132, -v21 :: v_dual_add_f32 v7, v7, v33
	v_dual_add_f32 v9, v9, v15 :: v_dual_fmac_f32 v37, v207, v134
	v_dual_mul_f32 v219, v188, v137 :: v_dual_mul_f32 v221, v190, v139
	s_delay_alu instid0(VALU_DEP_3) | instskip(SKIP_1) | instid1(VALU_DEP_3)
	v_dual_fma_f32 v15, v206, v134, -v23 :: v_dual_add_f32 v7, v7, v35
	s_wait_loadcnt 0x3
	v_dual_add_f32 v9, v9, v17 :: v_dual_mov_b32 v110, v147
	v_pk_mul_f32 v[104:105], v[156:157], v[140:141] op_sel:[1,1] op_sel_hi:[0,1]
	s_delay_alu instid0(VALU_DEP_3) | instskip(NEXT) | instid1(VALU_DEP_3)
	v_dual_fmac_f32 v219, v189, v136 :: v_dual_add_f32 v113, v7, v37
	v_dual_fma_f32 v218, v188, v136, -v11 :: v_dual_add_f32 v112, v9, v15
	v_fmac_f32_e32 v221, v191, v138
	s_delay_alu instid0(VALU_DEP_4)
	v_pk_fma_f32 v[114:115], v[156:157], v[140:141], v[104:105] op_sel_hi:[1,0,1]
	v_fma_f32 v220, v190, v138, -v13
	v_pk_mul_f32 v[106:107], v[210:211], v[106:107] op_sel_hi:[1,0]
	v_pk_add_f32 v[112:113], v[112:113], v[218:219]
	v_pk_fma_f32 v[104:105], v[156:157], v[140:141], v[104:105] neg_lo:[0,0,1] neg_hi:[0,0,1]
	v_pk_mul_f32 v[108:109], v[160:161], v[144:145] op_sel:[1,1] op_sel_hi:[0,1]
	v_mov_b32_e32 v105, v115
	v_pk_fma_f32 v[114:115], v[158:159], v[142:143], v[106:107] op_sel_hi:[1,0,1]
	v_pk_add_f32 v[112:113], v[112:113], v[220:221]
	v_pk_fma_f32 v[106:107], v[158:159], v[142:143], v[106:107] neg_lo:[0,0,1] neg_hi:[0,0,1]
	v_pk_fma_f32 v[118:119], v[160:161], v[144:145], v[108:109] op_sel_hi:[1,0,1]
	v_pk_mul_f32 v[110:111], v[212:213], v[110:111] op_sel_hi:[1,0]
	v_mov_b32_e32 v107, v115
	v_pk_add_f32 v[104:105], v[112:113], v[104:105]
	s_wait_loadcnt 0x2
	v_pk_mul_f32 v[116:117], v[164:165], v[148:149] op_sel:[1,1] op_sel_hi:[0,1]
	v_mov_b32_e32 v112, v151
	v_pk_fma_f32 v[108:109], v[160:161], v[144:145], v[108:109] neg_lo:[0,0,1] neg_hi:[0,0,1]
	v_pk_fma_f32 v[114:115], v[162:163], v[146:147], v[110:111] op_sel_hi:[1,0,1]
	v_mov_b32_e32 v109, v119
	v_pk_add_f32 v[104:105], v[104:105], v[106:107]
	v_pk_fma_f32 v[106:107], v[164:165], v[148:149], v[116:117] op_sel_hi:[1,0,1]
	v_pk_mul_f32 v[112:113], v[214:215], v[112:113] op_sel_hi:[1,0]
	v_pk_fma_f32 v[110:111], v[162:163], v[146:147], v[110:111] neg_lo:[0,0,1] neg_hi:[0,0,1]
	v_mov_b32_e32 v111, v115
	v_pk_add_f32 v[104:105], v[104:105], v[108:109]
	v_pk_fma_f32 v[114:115], v[164:165], v[148:149], v[116:117] neg_lo:[0,0,1] neg_hi:[0,0,1]
	v_mov_b32_e32 v115, v107
	v_pk_fma_f32 v[106:107], v[166:167], v[150:151], v[112:113] op_sel_hi:[1,0,1]
	s_wait_loadcnt 0x1
	v_pk_mul_f32 v[108:109], v[168:169], v[152:153] op_sel:[1,1] op_sel_hi:[0,1]
	v_pk_add_f32 v[104:105], v[104:105], v[110:111]
	v_mov_b32_e32 v106, v155
	v_pk_fma_f32 v[112:113], v[166:167], v[150:151], v[112:113] neg_lo:[0,0,1] neg_hi:[0,0,1]
	s_delay_alu instid0(VALU_DEP_4)
	v_pk_fma_f32 v[110:111], v[168:169], v[152:153], v[108:109] op_sel_hi:[1,0,1]
	v_mov_b32_e32 v113, v107
	v_pk_add_f32 v[104:105], v[104:105], v[114:115]
	v_pk_mul_f32 v[106:107], v[216:217], v[106:107] op_sel_hi:[1,0]
	v_pk_fma_f32 v[108:109], v[168:169], v[152:153], v[108:109] neg_lo:[0,0,1] neg_hi:[0,0,1]
	v_mov_b32_e32 v109, v111
	s_delay_alu instid0(VALU_DEP_4) | instskip(NEXT) | instid1(VALU_DEP_4)
	v_pk_add_f32 v[104:105], v[104:105], v[112:113]
	v_pk_fma_f32 v[110:111], v[170:171], v[154:155], v[106:107] op_sel_hi:[1,0,1]
	v_pk_fma_f32 v[106:107], v[170:171], v[154:155], v[106:107] neg_lo:[0,0,1] neg_hi:[0,0,1]
	s_delay_alu instid0(VALU_DEP_3) | instskip(NEXT) | instid1(VALU_DEP_3)
	v_pk_add_f32 v[104:105], v[104:105], v[108:109]
	v_mov_b32_e32 v107, v111
	s_delay_alu instid0(VALU_DEP_1) | instskip(SKIP_1) | instid1(VALU_DEP_1)
	v_pk_add_f32 v[104:105], v[104:105], v[106:107]
	s_wait_loadcnt 0x0
	v_pk_add_f32 v[104:105], v[208:209], v[104:105] neg_lo:[0,1] neg_hi:[0,1]
	scratch_store_b64 off, v[104:105], off offset:192
	s_wait_xcnt 0x0
	v_cmpx_lt_u32_e32 23, v0
	s_cbranch_execz .LBB114_273
; %bb.272:
	scratch_load_b64 v[104:105], off, off offset:184
	v_mov_b64_e32 v[106:107], 0
	scratch_store_b64 off, v[106:107], off offset:184
	s_wait_loadcnt 0x0
	ds_store_b64 v1, v[104:105]
.LBB114_273:
	s_wait_xcnt 0x0
	s_or_b32 exec_lo, exec_lo, s0
	s_wait_storecnt_dscnt 0x0
	s_barrier_signal -1
	s_barrier_wait -1
	s_clause 0xe
	scratch_load_b128 v[104:107], off, off offset:192
	scratch_load_b128 v[108:111], off, off offset:208
	;; [unrolled: 1-line block ×13, first 2 shown]
	scratch_load_b64 v[208:209], off, off offset:400
	scratch_load_b64 v[210:211], off, off offset:184
	v_mov_b32_e32 v7, 0
	ds_load_b128 v[156:159], v7 offset:752
	ds_load_b128 v[160:163], v7 offset:768
	;; [unrolled: 1-line block ×13, first 2 shown]
	ds_load_b64 v[212:213], v7 offset:816
	s_mov_b32 s0, exec_lo
	s_wait_dscnt 0xd
	v_dual_mov_b32 v214, v159 :: v_dual_mov_b32 v215, v158
	s_wait_dscnt 0xa
	v_dual_mov_b32 v216, v163 :: v_dual_mov_b32 v221, v170
	v_dual_mov_b32 v217, v162 :: v_dual_mov_b32 v218, v167
	;; [unrolled: 1-line block ×3, first 2 shown]
	s_wait_loadcnt_dscnt 0xe09
	v_dual_mul_f32 v9, v172, v105 :: v_dual_mul_f32 v43, v173, v105
	v_dual_mul_f32 v45, v175, v107 :: v_dual_mul_f32 v11, v174, v107
	s_wait_loadcnt_dscnt 0xd08
	v_mul_f32_e32 v13, v176, v109
	s_wait_loadcnt_dscnt 0xb05
	v_dual_mul_f32 v55, v189, v117 :: v_dual_fma_f32 v43, v172, v104, -v43
	v_dual_fmac_f32 v9, v173, v104 :: v_dual_mul_f32 v57, v191, v119
	v_dual_mul_f32 v47, v177, v109 :: v_dual_mul_f32 v49, v179, v111
	v_dual_fmac_f32 v11, v175, v106 :: v_dual_fma_f32 v45, v174, v106, -v45
	s_delay_alu instid0(VALU_DEP_3) | instskip(SKIP_4) | instid1(VALU_DEP_3)
	v_dual_add_f32 v9, 0, v9 :: v_dual_add_f32 v43, 0, v43
	v_dual_mul_f32 v15, v178, v111 :: v_dual_mul_f32 v17, v180, v113
	s_wait_loadcnt_dscnt 0xa04
	v_dual_mul_f32 v59, v193, v121 :: v_dual_fma_f32 v47, v176, v108, -v47
	v_fmac_f32_e32 v13, v177, v108
	v_dual_add_f32 v9, v9, v11 :: v_dual_fmac_f32 v15, v179, v110
	v_add_f32_e32 v11, v43, v45
	v_dual_mul_f32 v51, v181, v113 :: v_dual_mul_f32 v53, v183, v115
	v_dual_mul_f32 v43, v195, v123 :: v_dual_fma_f32 v45, v178, v110, -v49
	s_delay_alu instid0(VALU_DEP_3) | instskip(SKIP_3) | instid1(VALU_DEP_3)
	v_dual_add_f32 v9, v9, v13 :: v_dual_add_f32 v11, v11, v47
	v_dual_mul_f32 v19, v182, v115 :: v_dual_mul_f32 v21, v188, v117
	s_wait_loadcnt_dscnt 0x903
	v_dual_mul_f32 v13, v197, v125 :: v_dual_fma_f32 v47, v180, v112, -v51
	v_dual_fmac_f32 v17, v181, v112 :: v_dual_add_f32 v11, v11, v45
	s_delay_alu instid0(VALU_DEP_3) | instskip(SKIP_1) | instid1(VALU_DEP_2)
	v_dual_add_f32 v9, v9, v15 :: v_dual_fmac_f32 v19, v183, v114
	v_dual_mul_f32 v15, v199, v127 :: v_dual_fma_f32 v45, v182, v114, -v53
	v_dual_add_f32 v11, v11, v47 :: v_dual_add_f32 v9, v9, v17
	v_dual_mul_f32 v23, v190, v119 :: v_dual_mul_f32 v25, v192, v121
	s_wait_loadcnt_dscnt 0x802
	v_dual_mul_f32 v17, v201, v129 :: v_dual_fma_f32 v47, v188, v116, -v55
	s_delay_alu instid0(VALU_DEP_3) | instskip(NEXT) | instid1(VALU_DEP_3)
	v_dual_fmac_f32 v21, v189, v116 :: v_dual_add_f32 v11, v11, v45
	v_dual_add_f32 v9, v9, v19 :: v_dual_fmac_f32 v23, v191, v118
	v_dual_mul_f32 v19, v203, v131 :: v_dual_fma_f32 v45, v190, v118, -v57
	s_delay_alu instid0(VALU_DEP_2) | instskip(SKIP_3) | instid1(VALU_DEP_3)
	v_dual_add_f32 v11, v11, v47 :: v_dual_add_f32 v9, v9, v21
	v_dual_mul_f32 v27, v194, v123 :: v_dual_mul_f32 v29, v196, v125
	s_wait_loadcnt_dscnt 0x701
	v_dual_mul_f32 v21, v205, v133 :: v_dual_fma_f32 v47, v192, v120, -v59
	v_dual_fmac_f32 v25, v193, v120 :: v_dual_add_f32 v11, v11, v45
	s_delay_alu instid0(VALU_DEP_3) | instskip(SKIP_1) | instid1(VALU_DEP_2)
	v_dual_add_f32 v9, v9, v23 :: v_dual_fmac_f32 v27, v195, v122
	v_dual_mul_f32 v23, v207, v135 :: v_dual_fma_f32 v43, v194, v122, -v43
	v_dual_add_f32 v11, v11, v47 :: v_dual_add_f32 v9, v9, v25
	v_dual_mul_f32 v31, v198, v127 :: v_dual_mul_f32 v33, v200, v129
	s_wait_loadcnt 0x6
	v_dual_mul_f32 v25, v185, v137 :: v_dual_fma_f32 v13, v196, v124, -v13
	s_delay_alu instid0(VALU_DEP_3) | instskip(NEXT) | instid1(VALU_DEP_3)
	v_dual_fmac_f32 v29, v197, v124 :: v_dual_add_f32 v11, v11, v43
	v_dual_add_f32 v9, v9, v27 :: v_dual_fmac_f32 v31, v199, v126
	v_dual_mul_f32 v27, v187, v139 :: v_dual_fma_f32 v15, v198, v126, -v15
	s_delay_alu instid0(VALU_DEP_3) | instskip(NEXT) | instid1(VALU_DEP_3)
	v_dual_add_f32 v11, v11, v13 :: v_dual_fmac_f32 v33, v201, v128
	v_dual_add_f32 v9, v9, v29 :: v_dual_fma_f32 v17, v200, v128, -v17
	v_dual_mul_f32 v35, v202, v131 :: v_dual_mul_f32 v37, v204, v133
	s_wait_loadcnt 0x5
	s_delay_alu instid0(VALU_DEP_3) | instskip(NEXT) | instid1(VALU_DEP_3)
	v_dual_mul_f32 v13, v157, v141 :: v_dual_add_f32 v11, v11, v15
	v_dual_add_f32 v9, v9, v31 :: v_dual_mov_b32 v104, v143
	s_delay_alu instid0(VALU_DEP_3) | instskip(NEXT) | instid1(VALU_DEP_3)
	v_fmac_f32_e32 v35, v203, v130
	v_dual_fma_f32 v15, v202, v130, -v19 :: v_dual_add_f32 v11, v11, v17
	s_delay_alu instid0(VALU_DEP_3) | instskip(SKIP_1) | instid1(VALU_DEP_3)
	v_dual_add_f32 v9, v9, v33 :: v_dual_mul_f32 v39, v206, v135
	v_dual_mul_f32 v41, v184, v137 :: v_dual_fmac_f32 v37, v205, v132
	v_dual_add_f32 v11, v11, v15 :: v_dual_fma_f32 v17, v204, v132, -v21
	s_wait_loadcnt 0x4
	s_delay_alu instid0(VALU_DEP_3) | instskip(SKIP_3) | instid1(VALU_DEP_4)
	v_dual_add_f32 v9, v9, v35 :: v_dual_mov_b32 v108, v147
	v_fma_f32 v15, v206, v134, -v23
	v_fmac_f32_e32 v39, v207, v134
	v_dual_add_f32 v11, v11, v17 :: v_dual_fmac_f32 v41, v185, v136
	v_dual_add_f32 v9, v9, v37 :: v_dual_mul_f32 v223, v186, v139
	v_mul_f32_e32 v225, v156, v141
	s_delay_alu instid0(VALU_DEP_3) | instskip(NEXT) | instid1(VALU_DEP_3)
	v_dual_fma_f32 v17, v184, v136, -v25 :: v_dual_add_f32 v11, v11, v15
	v_dual_fma_f32 v222, v186, v138, -v27 :: v_dual_add_f32 v9, v9, v39
	s_delay_alu instid0(VALU_DEP_4) | instskip(SKIP_1) | instid1(VALU_DEP_4)
	v_fmac_f32_e32 v223, v187, v138
	v_pk_mul_f32 v[104:105], v[214:215], v[104:105] op_sel_hi:[1,0]
	v_dual_add_f32 v112, v11, v17 :: v_dual_fmac_f32 v225, v157, v140
	s_delay_alu instid0(VALU_DEP_4)
	v_add_f32_e32 v113, v9, v41
	v_pk_mul_f32 v[106:107], v[160:161], v[144:145] op_sel:[1,1] op_sel_hi:[0,1]
	s_wait_loadcnt 0x3
	v_dual_mov_b32 v114, v151 :: v_dual_fma_f32 v224, v156, v140, -v13
	v_pk_fma_f32 v[116:117], v[158:159], v[142:143], v[104:105] op_sel_hi:[1,0,1]
	v_pk_add_f32 v[112:113], v[112:113], v[222:223]
	v_pk_fma_f32 v[104:105], v[158:159], v[142:143], v[104:105] neg_lo:[0,0,1] neg_hi:[0,0,1]
	v_pk_fma_f32 v[118:119], v[160:161], v[144:145], v[106:107] op_sel_hi:[1,0,1]
	v_pk_mul_f32 v[108:109], v[216:217], v[108:109] op_sel_hi:[1,0]
	v_mov_b32_e32 v105, v117
	v_pk_add_f32 v[112:113], v[112:113], v[224:225]
	v_pk_fma_f32 v[106:107], v[160:161], v[144:145], v[106:107] neg_lo:[0,0,1] neg_hi:[0,0,1]
	v_pk_mul_f32 v[110:111], v[164:165], v[148:149] op_sel:[1,1] op_sel_hi:[0,1]
	v_mov_b32_e32 v107, v119
	v_pk_fma_f32 v[118:119], v[162:163], v[146:147], v[108:109] op_sel_hi:[1,0,1]
	v_pk_add_f32 v[104:105], v[112:113], v[104:105]
	v_pk_fma_f32 v[108:109], v[162:163], v[146:147], v[108:109] neg_lo:[0,0,1] neg_hi:[0,0,1]
	v_pk_fma_f32 v[112:113], v[164:165], v[148:149], v[110:111] op_sel_hi:[1,0,1]
	v_pk_mul_f32 v[114:115], v[218:219], v[114:115] op_sel_hi:[1,0]
	v_mov_b32_e32 v109, v119
	v_pk_add_f32 v[104:105], v[104:105], v[106:107]
	v_pk_fma_f32 v[110:111], v[164:165], v[148:149], v[110:111] neg_lo:[0,0,1] neg_hi:[0,0,1]
	s_wait_loadcnt 0x2
	v_pk_mul_f32 v[116:117], v[168:169], v[152:153] op_sel:[1,1] op_sel_hi:[0,1]
	v_dual_mov_b32 v106, v155 :: v_dual_mov_b32 v111, v113
	v_pk_fma_f32 v[112:113], v[166:167], v[150:151], v[114:115] op_sel_hi:[1,0,1]
	v_pk_add_f32 v[104:105], v[104:105], v[108:109]
	v_pk_fma_f32 v[114:115], v[166:167], v[150:151], v[114:115] neg_lo:[0,0,1] neg_hi:[0,0,1]
	v_pk_fma_f32 v[108:109], v[168:169], v[152:153], v[116:117] op_sel_hi:[1,0,1]
	v_pk_mul_f32 v[106:107], v[220:221], v[106:107] op_sel_hi:[1,0]
	v_mov_b32_e32 v115, v113
	v_pk_add_f32 v[104:105], v[104:105], v[110:111]
	v_pk_fma_f32 v[110:111], v[168:169], v[152:153], v[116:117] neg_lo:[0,0,1] neg_hi:[0,0,1]
	v_mov_b32_e32 v111, v109
	v_pk_fma_f32 v[108:109], v[170:171], v[154:155], v[106:107] op_sel_hi:[1,0,1]
	s_wait_loadcnt_dscnt 0x100
	v_pk_mul_f32 v[112:113], v[212:213], v[208:209] op_sel:[1,1] op_sel_hi:[0,1]
	v_pk_add_f32 v[104:105], v[104:105], v[114:115]
	v_pk_fma_f32 v[106:107], v[170:171], v[154:155], v[106:107] neg_lo:[0,0,1] neg_hi:[0,0,1]
	v_mov_b32_e32 v107, v109
	s_delay_alu instid0(VALU_DEP_4) | instskip(NEXT) | instid1(VALU_DEP_4)
	v_pk_fma_f32 v[108:109], v[212:213], v[208:209], v[112:113] op_sel_hi:[1,0,1]
	v_pk_add_f32 v[104:105], v[104:105], v[110:111]
	v_pk_fma_f32 v[110:111], v[212:213], v[208:209], v[112:113] neg_lo:[0,0,1] neg_hi:[0,0,1]
	s_delay_alu instid0(VALU_DEP_3) | instskip(NEXT) | instid1(VALU_DEP_3)
	v_mov_b32_e32 v111, v109
	v_pk_add_f32 v[104:105], v[104:105], v[106:107]
	s_delay_alu instid0(VALU_DEP_1) | instskip(SKIP_1) | instid1(VALU_DEP_1)
	v_pk_add_f32 v[104:105], v[104:105], v[110:111]
	s_wait_loadcnt 0x0
	v_pk_add_f32 v[104:105], v[210:211], v[104:105] neg_lo:[0,1] neg_hi:[0,1]
	scratch_store_b64 off, v[104:105], off offset:184
	s_wait_xcnt 0x0
	v_cmpx_lt_u32_e32 22, v0
	s_cbranch_execz .LBB114_275
; %bb.274:
	scratch_load_b64 v[104:105], off, off offset:176
	v_mov_b64_e32 v[106:107], 0
	scratch_store_b64 off, v[106:107], off offset:176
	s_wait_loadcnt 0x0
	ds_store_b64 v1, v[104:105]
.LBB114_275:
	s_wait_xcnt 0x0
	s_or_b32 exec_lo, exec_lo, s0
	s_wait_storecnt_dscnt 0x0
	s_barrier_signal -1
	s_barrier_wait -1
	s_clause 0xe
	scratch_load_b128 v[104:107], off, off offset:184
	scratch_load_b128 v[108:111], off, off offset:200
	;; [unrolled: 1-line block ×14, first 2 shown]
	scratch_load_b64 v[216:217], off, off offset:176
	ds_load_2addr_b64 v[160:163], v7 offset0:95 offset1:96
	ds_load_2addr_b64 v[164:167], v7 offset0:97 offset1:98
	ds_load_2addr_b64 v[168:171], v7 offset0:99 offset1:100
	ds_load_2addr_b64 v[172:175], v7 offset0:101 offset1:102
	ds_load_2addr_b64 v[176:179], v7 offset0:75 offset1:76
	ds_load_2addr_b64 v[180:183], v7 offset0:77 offset1:78
	ds_load_2addr_b64 v[184:187], v7 offset0:79 offset1:80
	ds_load_2addr_b64 v[188:191], v7 offset0:81 offset1:82
	ds_load_2addr_b64 v[192:195], v7 offset0:83 offset1:84
	ds_load_2addr_b64 v[196:199], v7 offset0:85 offset1:86
	ds_load_2addr_b64 v[200:203], v7 offset0:87 offset1:88
	ds_load_2addr_b64 v[204:207], v7 offset0:89 offset1:90
	ds_load_2addr_b64 v[208:211], v7 offset0:91 offset1:92
	ds_load_2addr_b64 v[212:215], v7 offset0:93 offset1:94
	s_mov_b32 s0, exec_lo
	s_wait_dscnt 0xd
	v_dual_mov_b32 v218, v163 :: v_dual_mov_b32 v219, v162
	s_wait_dscnt 0xc
	v_dual_mov_b32 v220, v167 :: v_dual_mov_b32 v221, v166
	s_wait_dscnt 0xb
	v_dual_mov_b32 v222, v171 :: v_dual_mov_b32 v223, v170
	s_wait_dscnt 0xa
	v_dual_mov_b32 v224, v175 :: v_dual_mov_b32 v225, v174
	s_wait_loadcnt_dscnt 0xe09
	v_dual_mul_f32 v7, v176, v105 :: v_dual_mul_f32 v9, v178, v107
	v_dual_mul_f32 v43, v177, v105 :: v_dual_mul_f32 v45, v179, v107
	s_wait_loadcnt_dscnt 0xd08
	v_dual_mul_f32 v11, v180, v109 :: v_dual_mul_f32 v13, v182, v111
	s_delay_alu instid0(VALU_DEP_3) | instskip(SKIP_3) | instid1(VALU_DEP_3)
	v_dual_fmac_f32 v7, v177, v104 :: v_dual_fmac_f32 v9, v179, v106
	s_wait_loadcnt_dscnt 0xb06
	v_dual_fma_f32 v43, v176, v104, -v43 :: v_dual_mul_f32 v55, v189, v117
	v_dual_mul_f32 v47, v181, v109 :: v_dual_mul_f32 v49, v183, v111
	v_dual_fma_f32 v45, v178, v106, -v45 :: v_dual_add_f32 v7, 0, v7
	s_delay_alu instid0(VALU_DEP_3) | instskip(SKIP_1) | instid1(VALU_DEP_4)
	v_dual_add_f32 v43, 0, v43 :: v_dual_fmac_f32 v11, v181, v108
	v_dual_mul_f32 v15, v184, v113 :: v_dual_mul_f32 v17, v186, v115
	v_dual_mul_f32 v57, v191, v119 :: v_dual_fma_f32 v47, v180, v108, -v47
	s_delay_alu instid0(VALU_DEP_4) | instskip(NEXT) | instid1(VALU_DEP_3)
	v_add_f32_e32 v7, v7, v9
	v_dual_add_f32 v9, v43, v45 :: v_dual_fmac_f32 v15, v185, v112
	v_dual_mul_f32 v51, v185, v113 :: v_dual_mul_f32 v53, v187, v115
	s_wait_loadcnt_dscnt 0xa05
	v_dual_mul_f32 v43, v193, v121 :: v_dual_fmac_f32 v13, v183, v110
	v_dual_fma_f32 v45, v182, v110, -v49 :: v_dual_add_f32 v7, v7, v11
	s_delay_alu instid0(VALU_DEP_3) | instskip(SKIP_1) | instid1(VALU_DEP_3)
	v_dual_add_f32 v9, v9, v47 :: v_dual_fma_f32 v47, v184, v112, -v51
	v_dual_mul_f32 v19, v188, v117 :: v_dual_mul_f32 v21, v190, v119
	v_add_f32_e32 v7, v7, v13
	s_delay_alu instid0(VALU_DEP_3) | instskip(SKIP_2) | instid1(VALU_DEP_3)
	v_dual_mul_f32 v11, v195, v123 :: v_dual_add_f32 v9, v9, v45
	s_wait_loadcnt_dscnt 0x904
	v_dual_mul_f32 v13, v197, v125 :: v_dual_fmac_f32 v17, v187, v114
	v_dual_fma_f32 v45, v186, v114, -v53 :: v_dual_add_f32 v7, v7, v15
	s_delay_alu instid0(VALU_DEP_3) | instskip(SKIP_1) | instid1(VALU_DEP_3)
	v_dual_add_f32 v9, v9, v47 :: v_dual_fma_f32 v47, v188, v116, -v55
	v_dual_mul_f32 v15, v199, v127 :: v_dual_fmac_f32 v19, v189, v116
	v_add_f32_e32 v7, v7, v17
	s_delay_alu instid0(VALU_DEP_3)
	v_dual_add_f32 v9, v9, v45 :: v_dual_fmac_f32 v21, v191, v118
	v_dual_mul_f32 v23, v192, v121 :: v_dual_mul_f32 v25, v194, v123
	s_wait_loadcnt_dscnt 0x803
	v_dual_fma_f32 v45, v190, v118, -v57 :: v_dual_mul_f32 v17, v201, v129
	v_add_f32_e32 v7, v7, v19
	v_dual_add_f32 v9, v9, v47 :: v_dual_fma_f32 v43, v192, v120, -v43
	v_dual_mul_f32 v19, v203, v131 :: v_dual_fmac_f32 v23, v193, v120
	s_delay_alu instid0(VALU_DEP_3) | instskip(NEXT) | instid1(VALU_DEP_3)
	v_dual_add_f32 v7, v7, v21 :: v_dual_fma_f32 v11, v194, v122, -v11
	v_dual_add_f32 v9, v9, v45 :: v_dual_fmac_f32 v25, v195, v122
	v_dual_mul_f32 v27, v196, v125 :: v_dual_mul_f32 v29, v198, v127
	s_wait_loadcnt_dscnt 0x702
	s_delay_alu instid0(VALU_DEP_3) | instskip(NEXT) | instid1(VALU_DEP_3)
	v_dual_mul_f32 v21, v205, v133 :: v_dual_add_f32 v7, v7, v23
	v_dual_add_f32 v9, v9, v43 :: v_dual_fma_f32 v13, v196, v124, -v13
	s_delay_alu instid0(VALU_DEP_3) | instskip(NEXT) | instid1(VALU_DEP_2)
	v_dual_mul_f32 v23, v207, v135 :: v_dual_fmac_f32 v27, v197, v124
	v_dual_add_f32 v7, v7, v25 :: v_dual_add_f32 v9, v9, v11
	v_dual_mul_f32 v31, v200, v129 :: v_dual_mul_f32 v33, v202, v131
	s_wait_loadcnt_dscnt 0x601
	v_dual_mul_f32 v11, v209, v137 :: v_dual_fmac_f32 v29, v199, v126
	s_delay_alu instid0(VALU_DEP_3) | instskip(SKIP_2) | instid1(VALU_DEP_2)
	v_dual_fma_f32 v15, v198, v126, -v15 :: v_dual_add_f32 v7, v7, v27
	v_dual_add_f32 v9, v9, v13 :: v_dual_mul_f32 v13, v211, v139
	v_dual_fmac_f32 v31, v201, v128 :: v_dual_fma_f32 v17, v200, v128, -v17
	v_dual_add_f32 v7, v7, v29 :: v_dual_add_f32 v9, v9, v15
	v_dual_mul_f32 v35, v204, v133 :: v_dual_mul_f32 v37, v206, v135
	s_wait_loadcnt_dscnt 0x500
	v_dual_mul_f32 v15, v213, v141 :: v_dual_fmac_f32 v33, v203, v130
	s_delay_alu instid0(VALU_DEP_3) | instskip(SKIP_2) | instid1(VALU_DEP_2)
	v_dual_fma_f32 v19, v202, v130, -v19 :: v_dual_add_f32 v7, v7, v31
	v_dual_add_f32 v9, v9, v17 :: v_dual_mul_f32 v17, v215, v143
	v_dual_fmac_f32 v35, v205, v132 :: v_dual_fma_f32 v21, v204, v132, -v21
	v_dual_add_f32 v7, v7, v33 :: v_dual_add_f32 v9, v9, v19
	v_dual_mul_f32 v39, v208, v137 :: v_dual_mul_f32 v41, v210, v139
	v_dual_fmac_f32 v37, v207, v134 :: v_dual_fma_f32 v19, v206, v134, -v23
	s_delay_alu instid0(VALU_DEP_3) | instskip(SKIP_1) | instid1(VALU_DEP_3)
	v_dual_add_f32 v7, v7, v35 :: v_dual_add_f32 v9, v9, v21
	s_wait_loadcnt 0x4
	v_dual_mov_b32 v106, v147 :: v_dual_fmac_f32 v39, v209, v136
	s_delay_alu instid0(VALU_DEP_2) | instskip(NEXT) | instid1(VALU_DEP_3)
	v_dual_fma_f32 v11, v208, v136, -v11 :: v_dual_add_f32 v7, v7, v37
	v_dual_add_f32 v9, v9, v19 :: v_dual_fmac_f32 v41, v211, v138
	v_dual_mul_f32 v227, v212, v141 :: v_dual_mul_f32 v229, v214, v143
	s_delay_alu instid0(VALU_DEP_3) | instskip(SKIP_1) | instid1(VALU_DEP_3)
	v_dual_fma_f32 v13, v210, v138, -v13 :: v_dual_add_f32 v7, v7, v39
	s_wait_loadcnt 0x3
	v_dual_add_f32 v9, v9, v11 :: v_dual_mov_b32 v110, v151
	v_pk_mul_f32 v[104:105], v[160:161], v[144:145] op_sel:[1,1] op_sel_hi:[0,1]
	s_delay_alu instid0(VALU_DEP_3) | instskip(NEXT) | instid1(VALU_DEP_3)
	v_dual_fmac_f32 v227, v213, v140 :: v_dual_add_f32 v113, v7, v41
	v_dual_fma_f32 v226, v212, v140, -v15 :: v_dual_add_f32 v112, v9, v13
	v_fmac_f32_e32 v229, v215, v142
	s_delay_alu instid0(VALU_DEP_4)
	v_pk_fma_f32 v[114:115], v[160:161], v[144:145], v[104:105] op_sel_hi:[1,0,1]
	v_fma_f32 v228, v214, v142, -v17
	v_pk_mul_f32 v[106:107], v[218:219], v[106:107] op_sel_hi:[1,0]
	v_pk_add_f32 v[112:113], v[112:113], v[226:227]
	v_pk_fma_f32 v[104:105], v[160:161], v[144:145], v[104:105] neg_lo:[0,0,1] neg_hi:[0,0,1]
	v_pk_mul_f32 v[108:109], v[164:165], v[148:149] op_sel:[1,1] op_sel_hi:[0,1]
	v_mov_b32_e32 v105, v115
	v_pk_fma_f32 v[114:115], v[162:163], v[146:147], v[106:107] op_sel_hi:[1,0,1]
	v_pk_add_f32 v[112:113], v[112:113], v[228:229]
	v_pk_fma_f32 v[106:107], v[162:163], v[146:147], v[106:107] neg_lo:[0,0,1] neg_hi:[0,0,1]
	v_pk_fma_f32 v[118:119], v[164:165], v[148:149], v[108:109] op_sel_hi:[1,0,1]
	v_pk_mul_f32 v[110:111], v[220:221], v[110:111] op_sel_hi:[1,0]
	v_mov_b32_e32 v107, v115
	v_pk_add_f32 v[104:105], v[112:113], v[104:105]
	s_wait_loadcnt 0x2
	v_pk_mul_f32 v[116:117], v[168:169], v[152:153] op_sel:[1,1] op_sel_hi:[0,1]
	v_mov_b32_e32 v112, v155
	v_pk_fma_f32 v[108:109], v[164:165], v[148:149], v[108:109] neg_lo:[0,0,1] neg_hi:[0,0,1]
	v_pk_fma_f32 v[114:115], v[166:167], v[150:151], v[110:111] op_sel_hi:[1,0,1]
	v_mov_b32_e32 v109, v119
	v_pk_add_f32 v[104:105], v[104:105], v[106:107]
	v_pk_fma_f32 v[106:107], v[168:169], v[152:153], v[116:117] op_sel_hi:[1,0,1]
	v_pk_mul_f32 v[112:113], v[222:223], v[112:113] op_sel_hi:[1,0]
	v_pk_fma_f32 v[110:111], v[166:167], v[150:151], v[110:111] neg_lo:[0,0,1] neg_hi:[0,0,1]
	v_mov_b32_e32 v111, v115
	v_pk_add_f32 v[104:105], v[104:105], v[108:109]
	v_pk_fma_f32 v[114:115], v[168:169], v[152:153], v[116:117] neg_lo:[0,0,1] neg_hi:[0,0,1]
	v_mov_b32_e32 v115, v107
	v_pk_fma_f32 v[106:107], v[170:171], v[154:155], v[112:113] op_sel_hi:[1,0,1]
	s_wait_loadcnt 0x1
	v_pk_mul_f32 v[108:109], v[172:173], v[156:157] op_sel:[1,1] op_sel_hi:[0,1]
	v_pk_add_f32 v[104:105], v[104:105], v[110:111]
	v_mov_b32_e32 v106, v159
	v_pk_fma_f32 v[112:113], v[170:171], v[154:155], v[112:113] neg_lo:[0,0,1] neg_hi:[0,0,1]
	s_delay_alu instid0(VALU_DEP_4)
	v_pk_fma_f32 v[110:111], v[172:173], v[156:157], v[108:109] op_sel_hi:[1,0,1]
	v_mov_b32_e32 v113, v107
	v_pk_add_f32 v[104:105], v[104:105], v[114:115]
	v_pk_mul_f32 v[106:107], v[224:225], v[106:107] op_sel_hi:[1,0]
	v_pk_fma_f32 v[108:109], v[172:173], v[156:157], v[108:109] neg_lo:[0,0,1] neg_hi:[0,0,1]
	v_mov_b32_e32 v109, v111
	s_delay_alu instid0(VALU_DEP_4) | instskip(NEXT) | instid1(VALU_DEP_4)
	v_pk_add_f32 v[104:105], v[104:105], v[112:113]
	v_pk_fma_f32 v[110:111], v[174:175], v[158:159], v[106:107] op_sel_hi:[1,0,1]
	v_pk_fma_f32 v[106:107], v[174:175], v[158:159], v[106:107] neg_lo:[0,0,1] neg_hi:[0,0,1]
	s_delay_alu instid0(VALU_DEP_3) | instskip(NEXT) | instid1(VALU_DEP_3)
	v_pk_add_f32 v[104:105], v[104:105], v[108:109]
	v_mov_b32_e32 v107, v111
	s_delay_alu instid0(VALU_DEP_1) | instskip(SKIP_1) | instid1(VALU_DEP_1)
	v_pk_add_f32 v[104:105], v[104:105], v[106:107]
	s_wait_loadcnt 0x0
	v_pk_add_f32 v[104:105], v[216:217], v[104:105] neg_lo:[0,1] neg_hi:[0,1]
	scratch_store_b64 off, v[104:105], off offset:176
	s_wait_xcnt 0x0
	v_cmpx_lt_u32_e32 21, v0
	s_cbranch_execz .LBB114_277
; %bb.276:
	scratch_load_b64 v[104:105], off, off offset:168
	v_mov_b64_e32 v[106:107], 0
	scratch_store_b64 off, v[106:107], off offset:168
	s_wait_loadcnt 0x0
	ds_store_b64 v1, v[104:105]
.LBB114_277:
	s_wait_xcnt 0x0
	s_or_b32 exec_lo, exec_lo, s0
	s_wait_storecnt_dscnt 0x0
	s_barrier_signal -1
	s_barrier_wait -1
	s_clause 0xf
	scratch_load_b128 v[104:107], off, off offset:176
	scratch_load_b128 v[108:111], off, off offset:192
	;; [unrolled: 1-line block ×14, first 2 shown]
	scratch_load_b64 v[216:217], off, off offset:400
	scratch_load_b64 v[218:219], off, off offset:168
	v_mov_b32_e32 v7, 0
	ds_load_b128 v[160:163], v7 offset:752
	ds_load_b128 v[164:167], v7 offset:768
	;; [unrolled: 1-line block ×14, first 2 shown]
	ds_load_b64 v[220:221], v7 offset:816
	s_mov_b32 s0, exec_lo
	s_wait_dscnt 0xe
	v_dual_mov_b32 v222, v163 :: v_dual_mov_b32 v223, v162
	s_wait_dscnt 0xb
	v_dual_mov_b32 v224, v167 :: v_dual_mov_b32 v229, v174
	v_dual_mov_b32 v225, v166 :: v_dual_mov_b32 v226, v171
	;; [unrolled: 1-line block ×3, first 2 shown]
	s_wait_loadcnt_dscnt 0xf0a
	v_dual_mul_f32 v9, v176, v105 :: v_dual_mul_f32 v47, v177, v105
	v_dual_mul_f32 v49, v179, v107 :: v_dual_mul_f32 v11, v178, v107
	s_wait_loadcnt_dscnt 0xe09
	v_mul_f32_e32 v13, v180, v109
	s_wait_loadcnt_dscnt 0xc07
	v_dual_mul_f32 v59, v189, v117 :: v_dual_fma_f32 v47, v176, v104, -v47
	v_dual_fmac_f32 v9, v177, v104 :: v_dual_mul_f32 v61, v191, v119
	v_dual_mul_f32 v51, v181, v109 :: v_dual_mul_f32 v53, v183, v111
	v_dual_fmac_f32 v11, v179, v106 :: v_dual_fma_f32 v49, v178, v106, -v49
	s_delay_alu instid0(VALU_DEP_3) | instskip(SKIP_4) | instid1(VALU_DEP_3)
	v_dual_add_f32 v9, 0, v9 :: v_dual_add_f32 v47, 0, v47
	v_dual_mul_f32 v15, v182, v111 :: v_dual_mul_f32 v17, v184, v113
	s_wait_loadcnt_dscnt 0xb06
	v_dual_mul_f32 v63, v193, v121 :: v_dual_fma_f32 v51, v180, v108, -v51
	v_fmac_f32_e32 v13, v181, v108
	v_dual_add_f32 v9, v9, v11 :: v_dual_fmac_f32 v15, v183, v110
	v_add_f32_e32 v11, v47, v49
	v_dual_mul_f32 v55, v185, v113 :: v_dual_mul_f32 v57, v187, v115
	v_dual_mul_f32 v47, v195, v123 :: v_dual_fma_f32 v49, v182, v110, -v53
	s_delay_alu instid0(VALU_DEP_3) | instskip(SKIP_3) | instid1(VALU_DEP_3)
	v_dual_add_f32 v9, v9, v13 :: v_dual_add_f32 v11, v11, v51
	v_dual_mul_f32 v19, v186, v115 :: v_dual_mul_f32 v21, v188, v117
	s_wait_loadcnt_dscnt 0xa05
	v_dual_mul_f32 v13, v197, v125 :: v_dual_fma_f32 v51, v184, v112, -v55
	v_dual_fmac_f32 v17, v185, v112 :: v_dual_add_f32 v11, v11, v49
	s_delay_alu instid0(VALU_DEP_3) | instskip(SKIP_1) | instid1(VALU_DEP_2)
	v_dual_add_f32 v9, v9, v15 :: v_dual_fmac_f32 v19, v187, v114
	v_dual_mul_f32 v15, v199, v127 :: v_dual_fma_f32 v49, v186, v114, -v57
	v_dual_add_f32 v11, v11, v51 :: v_dual_add_f32 v9, v9, v17
	v_dual_mul_f32 v23, v190, v119 :: v_dual_mul_f32 v25, v192, v121
	s_wait_loadcnt_dscnt 0x904
	v_dual_mul_f32 v17, v201, v129 :: v_dual_fma_f32 v51, v188, v116, -v59
	s_delay_alu instid0(VALU_DEP_3) | instskip(NEXT) | instid1(VALU_DEP_3)
	v_dual_fmac_f32 v21, v189, v116 :: v_dual_add_f32 v11, v11, v49
	v_dual_add_f32 v9, v9, v19 :: v_dual_fmac_f32 v23, v191, v118
	v_dual_mul_f32 v19, v203, v131 :: v_dual_fma_f32 v49, v190, v118, -v61
	s_delay_alu instid0(VALU_DEP_2) | instskip(SKIP_3) | instid1(VALU_DEP_3)
	v_dual_add_f32 v11, v11, v51 :: v_dual_add_f32 v9, v9, v21
	v_dual_mul_f32 v27, v194, v123 :: v_dual_mul_f32 v29, v196, v125
	s_wait_loadcnt_dscnt 0x803
	v_dual_mul_f32 v21, v205, v133 :: v_dual_fma_f32 v51, v192, v120, -v63
	v_dual_fmac_f32 v25, v193, v120 :: v_dual_add_f32 v11, v11, v49
	s_delay_alu instid0(VALU_DEP_3) | instskip(SKIP_1) | instid1(VALU_DEP_2)
	v_dual_add_f32 v9, v9, v23 :: v_dual_fmac_f32 v27, v195, v122
	v_dual_mul_f32 v23, v207, v135 :: v_dual_fma_f32 v47, v194, v122, -v47
	v_dual_add_f32 v11, v11, v51 :: v_dual_add_f32 v9, v9, v25
	v_dual_mul_f32 v31, v198, v127 :: v_dual_mul_f32 v33, v200, v129
	s_wait_loadcnt_dscnt 0x702
	v_dual_mul_f32 v25, v209, v137 :: v_dual_fma_f32 v13, v196, v124, -v13
	s_delay_alu instid0(VALU_DEP_3) | instskip(NEXT) | instid1(VALU_DEP_3)
	v_dual_fmac_f32 v29, v197, v124 :: v_dual_add_f32 v11, v11, v47
	v_dual_add_f32 v9, v9, v27 :: v_dual_fmac_f32 v31, v199, v126
	v_dual_mul_f32 v27, v211, v139 :: v_dual_fma_f32 v15, v198, v126, -v15
	s_delay_alu instid0(VALU_DEP_3) | instskip(NEXT) | instid1(VALU_DEP_3)
	v_dual_add_f32 v11, v11, v13 :: v_dual_fmac_f32 v33, v201, v128
	v_dual_add_f32 v9, v9, v29 :: v_dual_fma_f32 v17, v200, v128, -v17
	v_dual_mul_f32 v35, v202, v131 :: v_dual_mul_f32 v37, v204, v133
	s_wait_loadcnt_dscnt 0x601
	s_delay_alu instid0(VALU_DEP_3) | instskip(NEXT) | instid1(VALU_DEP_2)
	v_dual_mul_f32 v13, v213, v141 :: v_dual_add_f32 v11, v11, v15
	v_dual_add_f32 v9, v9, v31 :: v_dual_fmac_f32 v35, v203, v130
	v_dual_mul_f32 v15, v215, v143 :: v_dual_fma_f32 v19, v202, v130, -v19
	s_delay_alu instid0(VALU_DEP_3) | instskip(NEXT) | instid1(VALU_DEP_3)
	v_dual_add_f32 v11, v11, v17 :: v_dual_fmac_f32 v37, v205, v132
	v_dual_add_f32 v9, v9, v33 :: v_dual_fma_f32 v21, v204, v132, -v21
	v_dual_mul_f32 v39, v206, v135 :: v_dual_mul_f32 v41, v208, v137
	s_wait_loadcnt 0x5
	s_delay_alu instid0(VALU_DEP_3) | instskip(NEXT) | instid1(VALU_DEP_3)
	v_dual_mul_f32 v17, v161, v145 :: v_dual_add_f32 v11, v11, v19
	v_dual_add_f32 v9, v9, v35 :: v_dual_mov_b32 v104, v147
	s_delay_alu instid0(VALU_DEP_3) | instskip(NEXT) | instid1(VALU_DEP_3)
	v_fmac_f32_e32 v39, v207, v134
	v_dual_fma_f32 v19, v206, v134, -v23 :: v_dual_add_f32 v11, v11, v21
	s_delay_alu instid0(VALU_DEP_3) | instskip(SKIP_1) | instid1(VALU_DEP_3)
	v_dual_add_f32 v9, v9, v37 :: v_dual_mul_f32 v43, v210, v139
	v_dual_mul_f32 v45, v212, v141 :: v_dual_fmac_f32 v41, v209, v136
	v_dual_add_f32 v11, v11, v19 :: v_dual_fma_f32 v21, v208, v136, -v25
	s_wait_loadcnt 0x4
	s_delay_alu instid0(VALU_DEP_3) | instskip(SKIP_3) | instid1(VALU_DEP_4)
	v_dual_add_f32 v9, v9, v39 :: v_dual_mov_b32 v108, v151
	v_fma_f32 v19, v210, v138, -v27
	v_fmac_f32_e32 v43, v211, v138
	v_dual_add_f32 v11, v11, v21 :: v_dual_fmac_f32 v45, v213, v140
	v_dual_add_f32 v9, v9, v41 :: v_dual_mul_f32 v231, v214, v143
	v_mul_f32_e32 v233, v160, v145
	s_delay_alu instid0(VALU_DEP_3) | instskip(NEXT) | instid1(VALU_DEP_3)
	v_dual_fma_f32 v13, v212, v140, -v13 :: v_dual_add_f32 v11, v11, v19
	v_dual_fma_f32 v230, v214, v142, -v15 :: v_dual_add_f32 v9, v9, v43
	s_delay_alu instid0(VALU_DEP_4) | instskip(SKIP_1) | instid1(VALU_DEP_4)
	v_fmac_f32_e32 v231, v215, v142
	v_pk_mul_f32 v[104:105], v[222:223], v[104:105] op_sel_hi:[1,0]
	v_dual_add_f32 v112, v11, v13 :: v_dual_fmac_f32 v233, v161, v144
	s_delay_alu instid0(VALU_DEP_4)
	v_add_f32_e32 v113, v9, v45
	v_pk_mul_f32 v[106:107], v[164:165], v[148:149] op_sel:[1,1] op_sel_hi:[0,1]
	s_wait_loadcnt 0x3
	v_dual_mov_b32 v114, v155 :: v_dual_fma_f32 v232, v160, v144, -v17
	v_pk_fma_f32 v[116:117], v[162:163], v[146:147], v[104:105] op_sel_hi:[1,0,1]
	v_pk_add_f32 v[112:113], v[112:113], v[230:231]
	v_pk_fma_f32 v[104:105], v[162:163], v[146:147], v[104:105] neg_lo:[0,0,1] neg_hi:[0,0,1]
	v_pk_fma_f32 v[118:119], v[164:165], v[148:149], v[106:107] op_sel_hi:[1,0,1]
	v_pk_mul_f32 v[108:109], v[224:225], v[108:109] op_sel_hi:[1,0]
	v_mov_b32_e32 v105, v117
	v_pk_add_f32 v[112:113], v[112:113], v[232:233]
	v_pk_fma_f32 v[106:107], v[164:165], v[148:149], v[106:107] neg_lo:[0,0,1] neg_hi:[0,0,1]
	v_pk_mul_f32 v[110:111], v[168:169], v[152:153] op_sel:[1,1] op_sel_hi:[0,1]
	v_mov_b32_e32 v107, v119
	v_pk_fma_f32 v[118:119], v[166:167], v[150:151], v[108:109] op_sel_hi:[1,0,1]
	v_pk_add_f32 v[104:105], v[112:113], v[104:105]
	v_pk_fma_f32 v[108:109], v[166:167], v[150:151], v[108:109] neg_lo:[0,0,1] neg_hi:[0,0,1]
	v_pk_fma_f32 v[112:113], v[168:169], v[152:153], v[110:111] op_sel_hi:[1,0,1]
	v_pk_mul_f32 v[114:115], v[226:227], v[114:115] op_sel_hi:[1,0]
	v_mov_b32_e32 v109, v119
	v_pk_add_f32 v[104:105], v[104:105], v[106:107]
	v_pk_fma_f32 v[110:111], v[168:169], v[152:153], v[110:111] neg_lo:[0,0,1] neg_hi:[0,0,1]
	s_wait_loadcnt 0x2
	v_pk_mul_f32 v[116:117], v[172:173], v[156:157] op_sel:[1,1] op_sel_hi:[0,1]
	v_dual_mov_b32 v106, v159 :: v_dual_mov_b32 v111, v113
	v_pk_fma_f32 v[112:113], v[170:171], v[154:155], v[114:115] op_sel_hi:[1,0,1]
	v_pk_add_f32 v[104:105], v[104:105], v[108:109]
	v_pk_fma_f32 v[114:115], v[170:171], v[154:155], v[114:115] neg_lo:[0,0,1] neg_hi:[0,0,1]
	v_pk_fma_f32 v[108:109], v[172:173], v[156:157], v[116:117] op_sel_hi:[1,0,1]
	v_pk_mul_f32 v[106:107], v[228:229], v[106:107] op_sel_hi:[1,0]
	v_mov_b32_e32 v115, v113
	v_pk_add_f32 v[104:105], v[104:105], v[110:111]
	v_pk_fma_f32 v[110:111], v[172:173], v[156:157], v[116:117] neg_lo:[0,0,1] neg_hi:[0,0,1]
	v_mov_b32_e32 v111, v109
	v_pk_fma_f32 v[108:109], v[174:175], v[158:159], v[106:107] op_sel_hi:[1,0,1]
	s_wait_loadcnt_dscnt 0x100
	v_pk_mul_f32 v[112:113], v[220:221], v[216:217] op_sel:[1,1] op_sel_hi:[0,1]
	v_pk_add_f32 v[104:105], v[104:105], v[114:115]
	v_pk_fma_f32 v[106:107], v[174:175], v[158:159], v[106:107] neg_lo:[0,0,1] neg_hi:[0,0,1]
	v_mov_b32_e32 v107, v109
	s_delay_alu instid0(VALU_DEP_4) | instskip(NEXT) | instid1(VALU_DEP_4)
	v_pk_fma_f32 v[108:109], v[220:221], v[216:217], v[112:113] op_sel_hi:[1,0,1]
	v_pk_add_f32 v[104:105], v[104:105], v[110:111]
	v_pk_fma_f32 v[110:111], v[220:221], v[216:217], v[112:113] neg_lo:[0,0,1] neg_hi:[0,0,1]
	s_delay_alu instid0(VALU_DEP_3) | instskip(NEXT) | instid1(VALU_DEP_3)
	v_mov_b32_e32 v111, v109
	v_pk_add_f32 v[104:105], v[104:105], v[106:107]
	s_delay_alu instid0(VALU_DEP_1) | instskip(SKIP_1) | instid1(VALU_DEP_1)
	v_pk_add_f32 v[104:105], v[104:105], v[110:111]
	s_wait_loadcnt 0x0
	v_pk_add_f32 v[104:105], v[218:219], v[104:105] neg_lo:[0,1] neg_hi:[0,1]
	scratch_store_b64 off, v[104:105], off offset:168
	s_wait_xcnt 0x0
	v_cmpx_lt_u32_e32 20, v0
	s_cbranch_execz .LBB114_279
; %bb.278:
	scratch_load_b64 v[104:105], off, off offset:160
	v_mov_b64_e32 v[106:107], 0
	scratch_store_b64 off, v[106:107], off offset:160
	s_wait_loadcnt 0x0
	ds_store_b64 v1, v[104:105]
.LBB114_279:
	s_wait_xcnt 0x0
	s_or_b32 exec_lo, exec_lo, s0
	s_wait_storecnt_dscnt 0x0
	s_barrier_signal -1
	s_barrier_wait -1
	s_clause 0xf
	scratch_load_b128 v[104:107], off, off offset:168
	scratch_load_b128 v[108:111], off, off offset:184
	;; [unrolled: 1-line block ×15, first 2 shown]
	scratch_load_b64 v[224:225], off, off offset:160
	ds_load_2addr_b64 v[164:167], v7 offset0:95 offset1:96
	ds_load_2addr_b64 v[168:171], v7 offset0:97 offset1:98
	;; [unrolled: 1-line block ×15, first 2 shown]
	s_mov_b32 s0, exec_lo
	s_wait_dscnt 0xe
	v_dual_mov_b32 v226, v167 :: v_dual_mov_b32 v227, v166
	s_wait_dscnt 0xd
	v_dual_mov_b32 v228, v171 :: v_dual_mov_b32 v229, v170
	;; [unrolled: 2-line block ×4, first 2 shown]
	s_wait_loadcnt_dscnt 0xf0a
	v_dual_mul_f32 v7, v180, v105 :: v_dual_mul_f32 v9, v182, v107
	v_dual_mul_f32 v47, v181, v105 :: v_dual_mul_f32 v49, v183, v107
	s_wait_loadcnt_dscnt 0xe09
	v_dual_mul_f32 v11, v184, v109 :: v_dual_mul_f32 v13, v186, v111
	s_delay_alu instid0(VALU_DEP_3) | instskip(SKIP_3) | instid1(VALU_DEP_3)
	v_dual_fmac_f32 v7, v181, v104 :: v_dual_fmac_f32 v9, v183, v106
	s_wait_loadcnt_dscnt 0xc06
	v_dual_fma_f32 v47, v180, v104, -v47 :: v_dual_mul_f32 v59, v197, v117
	v_dual_mul_f32 v51, v185, v109 :: v_dual_mul_f32 v53, v187, v111
	v_dual_fma_f32 v49, v182, v106, -v49 :: v_dual_add_f32 v7, 0, v7
	s_delay_alu instid0(VALU_DEP_3) | instskip(SKIP_1) | instid1(VALU_DEP_4)
	v_dual_add_f32 v47, 0, v47 :: v_dual_fmac_f32 v11, v185, v108
	v_dual_mul_f32 v15, v192, v113 :: v_dual_mul_f32 v17, v194, v115
	v_dual_mul_f32 v61, v199, v119 :: v_dual_fma_f32 v51, v184, v108, -v51
	s_delay_alu instid0(VALU_DEP_4) | instskip(NEXT) | instid1(VALU_DEP_3)
	v_add_f32_e32 v7, v7, v9
	v_dual_add_f32 v9, v47, v49 :: v_dual_fmac_f32 v15, v193, v112
	v_dual_mul_f32 v55, v193, v113 :: v_dual_mul_f32 v57, v195, v115
	s_wait_loadcnt_dscnt 0xb05
	v_dual_mul_f32 v47, v201, v121 :: v_dual_fmac_f32 v13, v187, v110
	v_dual_fma_f32 v49, v186, v110, -v53 :: v_dual_add_f32 v7, v7, v11
	s_delay_alu instid0(VALU_DEP_3) | instskip(SKIP_1) | instid1(VALU_DEP_3)
	v_dual_add_f32 v9, v9, v51 :: v_dual_fma_f32 v51, v192, v112, -v55
	v_dual_mul_f32 v19, v196, v117 :: v_dual_mul_f32 v21, v198, v119
	v_add_f32_e32 v7, v7, v13
	s_delay_alu instid0(VALU_DEP_3) | instskip(SKIP_2) | instid1(VALU_DEP_3)
	v_dual_mul_f32 v11, v203, v123 :: v_dual_add_f32 v9, v9, v49
	s_wait_loadcnt_dscnt 0xa04
	v_dual_mul_f32 v13, v205, v125 :: v_dual_fmac_f32 v17, v195, v114
	v_dual_fma_f32 v49, v194, v114, -v57 :: v_dual_add_f32 v7, v7, v15
	s_delay_alu instid0(VALU_DEP_3) | instskip(SKIP_1) | instid1(VALU_DEP_3)
	v_dual_add_f32 v9, v9, v51 :: v_dual_fma_f32 v51, v196, v116, -v59
	v_dual_mul_f32 v15, v207, v127 :: v_dual_fmac_f32 v19, v197, v116
	v_add_f32_e32 v7, v7, v17
	s_delay_alu instid0(VALU_DEP_3)
	v_dual_add_f32 v9, v9, v49 :: v_dual_fmac_f32 v21, v199, v118
	v_dual_mul_f32 v23, v200, v121 :: v_dual_mul_f32 v25, v202, v123
	s_wait_loadcnt_dscnt 0x903
	v_dual_fma_f32 v49, v198, v118, -v61 :: v_dual_mul_f32 v17, v209, v129
	v_add_f32_e32 v7, v7, v19
	v_dual_add_f32 v9, v9, v51 :: v_dual_fma_f32 v47, v200, v120, -v47
	v_dual_mul_f32 v19, v211, v131 :: v_dual_fmac_f32 v23, v201, v120
	s_delay_alu instid0(VALU_DEP_3) | instskip(NEXT) | instid1(VALU_DEP_3)
	v_dual_add_f32 v7, v7, v21 :: v_dual_fma_f32 v11, v202, v122, -v11
	v_dual_add_f32 v9, v9, v49 :: v_dual_fmac_f32 v25, v203, v122
	v_dual_mul_f32 v27, v204, v125 :: v_dual_mul_f32 v29, v206, v127
	s_wait_loadcnt_dscnt 0x802
	s_delay_alu instid0(VALU_DEP_3) | instskip(NEXT) | instid1(VALU_DEP_3)
	v_dual_mul_f32 v21, v213, v133 :: v_dual_add_f32 v7, v7, v23
	v_dual_add_f32 v9, v9, v47 :: v_dual_fma_f32 v13, v204, v124, -v13
	s_delay_alu instid0(VALU_DEP_3) | instskip(NEXT) | instid1(VALU_DEP_2)
	v_dual_mul_f32 v23, v215, v135 :: v_dual_fmac_f32 v27, v205, v124
	v_dual_add_f32 v7, v7, v25 :: v_dual_add_f32 v9, v9, v11
	v_dual_mul_f32 v31, v208, v129 :: v_dual_mul_f32 v33, v210, v131
	s_wait_loadcnt_dscnt 0x701
	v_dual_mul_f32 v11, v217, v137 :: v_dual_fmac_f32 v29, v207, v126
	s_delay_alu instid0(VALU_DEP_3) | instskip(SKIP_2) | instid1(VALU_DEP_2)
	v_dual_fma_f32 v15, v206, v126, -v15 :: v_dual_add_f32 v7, v7, v27
	v_dual_add_f32 v9, v9, v13 :: v_dual_mul_f32 v13, v219, v139
	v_dual_fmac_f32 v31, v209, v128 :: v_dual_fma_f32 v17, v208, v128, -v17
	v_dual_add_f32 v7, v7, v29 :: v_dual_add_f32 v9, v9, v15
	v_dual_mul_f32 v35, v212, v133 :: v_dual_mul_f32 v37, v214, v135
	s_wait_loadcnt_dscnt 0x600
	v_dual_mul_f32 v15, v221, v141 :: v_dual_fmac_f32 v33, v211, v130
	s_delay_alu instid0(VALU_DEP_3) | instskip(SKIP_2) | instid1(VALU_DEP_2)
	v_dual_fma_f32 v19, v210, v130, -v19 :: v_dual_add_f32 v7, v7, v31
	v_dual_add_f32 v9, v9, v17 :: v_dual_mul_f32 v17, v223, v143
	v_dual_fmac_f32 v35, v213, v132 :: v_dual_fma_f32 v21, v212, v132, -v21
	v_dual_add_f32 v7, v7, v33 :: v_dual_add_f32 v9, v9, v19
	v_dual_mul_f32 v39, v216, v137 :: v_dual_mul_f32 v41, v218, v139
	s_wait_loadcnt 0x5
	v_dual_mul_f32 v19, v189, v145 :: v_dual_fmac_f32 v37, v215, v134
	s_delay_alu instid0(VALU_DEP_3) | instskip(SKIP_2) | instid1(VALU_DEP_3)
	v_dual_fma_f32 v23, v214, v134, -v23 :: v_dual_add_f32 v7, v7, v35
	v_dual_add_f32 v9, v9, v21 :: v_dual_mul_f32 v21, v191, v147
	v_fmac_f32_e32 v39, v217, v136
	v_dual_fma_f32 v11, v216, v136, -v11 :: v_dual_add_f32 v7, v7, v37
	s_delay_alu instid0(VALU_DEP_3) | instskip(SKIP_1) | instid1(VALU_DEP_3)
	v_dual_add_f32 v9, v9, v23 :: v_dual_mul_f32 v43, v220, v141
	v_dual_mul_f32 v45, v222, v143 :: v_dual_fmac_f32 v41, v219, v138
	v_dual_fma_f32 v13, v218, v138, -v13 :: v_dual_add_f32 v7, v7, v39
	s_wait_loadcnt 0x4
	s_delay_alu instid0(VALU_DEP_3) | instskip(SKIP_1) | instid1(VALU_DEP_3)
	v_dual_add_f32 v9, v9, v11 :: v_dual_mov_b32 v106, v151
	v_fmac_f32_e32 v43, v221, v140
	v_dual_fma_f32 v11, v220, v140, -v15 :: v_dual_add_f32 v7, v7, v41
	s_delay_alu instid0(VALU_DEP_3) | instskip(SKIP_1) | instid1(VALU_DEP_3)
	v_dual_add_f32 v9, v9, v13 :: v_dual_fmac_f32 v45, v223, v142
	v_dual_mul_f32 v235, v188, v145 :: v_dual_mul_f32 v237, v190, v147
	v_dual_fma_f32 v13, v222, v142, -v17 :: v_dual_add_f32 v7, v7, v43
	s_wait_loadcnt 0x3
	s_delay_alu instid0(VALU_DEP_3) | instskip(SKIP_1) | instid1(VALU_DEP_3)
	v_dual_add_f32 v9, v9, v11 :: v_dual_mov_b32 v110, v155
	v_pk_mul_f32 v[104:105], v[164:165], v[148:149] op_sel:[1,1] op_sel_hi:[0,1]
	v_dual_fmac_f32 v235, v189, v144 :: v_dual_add_f32 v113, v7, v45
	s_delay_alu instid0(VALU_DEP_3) | instskip(SKIP_1) | instid1(VALU_DEP_4)
	v_dual_fma_f32 v234, v188, v144, -v19 :: v_dual_add_f32 v112, v9, v13
	v_fmac_f32_e32 v237, v191, v146
	v_pk_fma_f32 v[114:115], v[164:165], v[148:149], v[104:105] op_sel_hi:[1,0,1]
	v_fma_f32 v236, v190, v146, -v21
	v_pk_mul_f32 v[106:107], v[226:227], v[106:107] op_sel_hi:[1,0]
	v_pk_add_f32 v[112:113], v[112:113], v[234:235]
	v_pk_fma_f32 v[104:105], v[164:165], v[148:149], v[104:105] neg_lo:[0,0,1] neg_hi:[0,0,1]
	v_pk_mul_f32 v[108:109], v[168:169], v[152:153] op_sel:[1,1] op_sel_hi:[0,1]
	v_mov_b32_e32 v105, v115
	v_pk_fma_f32 v[114:115], v[166:167], v[150:151], v[106:107] op_sel_hi:[1,0,1]
	v_pk_add_f32 v[112:113], v[112:113], v[236:237]
	v_pk_fma_f32 v[106:107], v[166:167], v[150:151], v[106:107] neg_lo:[0,0,1] neg_hi:[0,0,1]
	v_pk_fma_f32 v[118:119], v[168:169], v[152:153], v[108:109] op_sel_hi:[1,0,1]
	v_pk_mul_f32 v[110:111], v[228:229], v[110:111] op_sel_hi:[1,0]
	v_mov_b32_e32 v107, v115
	v_pk_add_f32 v[104:105], v[112:113], v[104:105]
	s_wait_loadcnt 0x2
	v_pk_mul_f32 v[116:117], v[172:173], v[156:157] op_sel:[1,1] op_sel_hi:[0,1]
	v_mov_b32_e32 v112, v159
	v_pk_fma_f32 v[108:109], v[168:169], v[152:153], v[108:109] neg_lo:[0,0,1] neg_hi:[0,0,1]
	v_pk_fma_f32 v[114:115], v[170:171], v[154:155], v[110:111] op_sel_hi:[1,0,1]
	v_mov_b32_e32 v109, v119
	v_pk_add_f32 v[104:105], v[104:105], v[106:107]
	v_pk_fma_f32 v[106:107], v[172:173], v[156:157], v[116:117] op_sel_hi:[1,0,1]
	v_pk_mul_f32 v[112:113], v[230:231], v[112:113] op_sel_hi:[1,0]
	v_pk_fma_f32 v[110:111], v[170:171], v[154:155], v[110:111] neg_lo:[0,0,1] neg_hi:[0,0,1]
	v_mov_b32_e32 v111, v115
	v_pk_add_f32 v[104:105], v[104:105], v[108:109]
	v_pk_fma_f32 v[114:115], v[172:173], v[156:157], v[116:117] neg_lo:[0,0,1] neg_hi:[0,0,1]
	v_mov_b32_e32 v115, v107
	v_pk_fma_f32 v[106:107], v[174:175], v[158:159], v[112:113] op_sel_hi:[1,0,1]
	s_wait_loadcnt 0x1
	v_pk_mul_f32 v[108:109], v[176:177], v[160:161] op_sel:[1,1] op_sel_hi:[0,1]
	v_pk_add_f32 v[104:105], v[104:105], v[110:111]
	v_mov_b32_e32 v106, v163
	v_pk_fma_f32 v[112:113], v[174:175], v[158:159], v[112:113] neg_lo:[0,0,1] neg_hi:[0,0,1]
	s_delay_alu instid0(VALU_DEP_4)
	v_pk_fma_f32 v[110:111], v[176:177], v[160:161], v[108:109] op_sel_hi:[1,0,1]
	v_mov_b32_e32 v113, v107
	v_pk_add_f32 v[104:105], v[104:105], v[114:115]
	v_pk_mul_f32 v[106:107], v[232:233], v[106:107] op_sel_hi:[1,0]
	v_pk_fma_f32 v[108:109], v[176:177], v[160:161], v[108:109] neg_lo:[0,0,1] neg_hi:[0,0,1]
	v_mov_b32_e32 v109, v111
	s_delay_alu instid0(VALU_DEP_4) | instskip(NEXT) | instid1(VALU_DEP_4)
	v_pk_add_f32 v[104:105], v[104:105], v[112:113]
	v_pk_fma_f32 v[110:111], v[178:179], v[162:163], v[106:107] op_sel_hi:[1,0,1]
	v_pk_fma_f32 v[106:107], v[178:179], v[162:163], v[106:107] neg_lo:[0,0,1] neg_hi:[0,0,1]
	s_delay_alu instid0(VALU_DEP_3) | instskip(NEXT) | instid1(VALU_DEP_3)
	v_pk_add_f32 v[104:105], v[104:105], v[108:109]
	v_mov_b32_e32 v107, v111
	s_delay_alu instid0(VALU_DEP_1) | instskip(SKIP_1) | instid1(VALU_DEP_1)
	v_pk_add_f32 v[104:105], v[104:105], v[106:107]
	s_wait_loadcnt 0x0
	v_pk_add_f32 v[104:105], v[224:225], v[104:105] neg_lo:[0,1] neg_hi:[0,1]
	scratch_store_b64 off, v[104:105], off offset:160
	s_wait_xcnt 0x0
	v_cmpx_lt_u32_e32 19, v0
	s_cbranch_execz .LBB114_281
; %bb.280:
	scratch_load_b64 v[104:105], off, off offset:152
	v_mov_b64_e32 v[106:107], 0
	scratch_store_b64 off, v[106:107], off offset:152
	s_wait_loadcnt 0x0
	ds_store_b64 v1, v[104:105]
.LBB114_281:
	s_wait_xcnt 0x0
	s_or_b32 exec_lo, exec_lo, s0
	s_wait_storecnt_dscnt 0x0
	s_barrier_signal -1
	s_barrier_wait -1
	s_clause 0x10
	scratch_load_b128 v[104:107], off, off offset:160
	scratch_load_b128 v[108:111], off, off offset:176
	;; [unrolled: 1-line block ×15, first 2 shown]
	scratch_load_b64 v[224:225], off, off offset:400
	scratch_load_b64 v[226:227], off, off offset:152
	v_mov_b32_e32 v7, 0
	ds_load_b128 v[164:167], v7 offset:752
	ds_load_b128 v[168:171], v7 offset:768
	;; [unrolled: 1-line block ×15, first 2 shown]
	ds_load_b64 v[228:229], v7 offset:816
	s_mov_b32 s0, exec_lo
	s_wait_dscnt 0xf
	v_dual_mov_b32 v230, v167 :: v_dual_mov_b32 v231, v166
	s_wait_dscnt 0xc
	v_dual_mov_b32 v232, v171 :: v_dual_mov_b32 v237, v178
	v_dual_mov_b32 v233, v170 :: v_dual_mov_b32 v234, v175
	;; [unrolled: 1-line block ×3, first 2 shown]
	s_wait_loadcnt_dscnt 0x100b
	v_dual_mul_f32 v9, v180, v105 :: v_dual_mul_f32 v51, v181, v105
	v_dual_mul_f32 v53, v183, v107 :: v_dual_mul_f32 v11, v182, v107
	s_wait_loadcnt_dscnt 0xf09
	v_mul_f32_e32 v13, v188, v109
	s_wait_loadcnt_dscnt 0xd07
	v_dual_mul_f32 v63, v197, v117 :: v_dual_fma_f32 v51, v180, v104, -v51
	v_dual_fmac_f32 v9, v181, v104 :: v_dual_mul_f32 v65, v199, v119
	v_dual_mul_f32 v55, v189, v109 :: v_dual_mul_f32 v57, v191, v111
	v_dual_fmac_f32 v11, v183, v106 :: v_dual_fma_f32 v53, v182, v106, -v53
	s_delay_alu instid0(VALU_DEP_3) | instskip(SKIP_4) | instid1(VALU_DEP_3)
	v_dual_add_f32 v9, 0, v9 :: v_dual_add_f32 v51, 0, v51
	v_dual_mul_f32 v15, v190, v111 :: v_dual_mul_f32 v17, v192, v113
	s_wait_loadcnt_dscnt 0xc06
	v_dual_mul_f32 v67, v201, v121 :: v_dual_fma_f32 v55, v188, v108, -v55
	v_fmac_f32_e32 v13, v189, v108
	v_dual_add_f32 v9, v9, v11 :: v_dual_fmac_f32 v15, v191, v110
	v_add_f32_e32 v11, v51, v53
	v_dual_mul_f32 v59, v193, v113 :: v_dual_mul_f32 v61, v195, v115
	v_dual_mul_f32 v51, v203, v123 :: v_dual_fma_f32 v53, v190, v110, -v57
	s_delay_alu instid0(VALU_DEP_3) | instskip(SKIP_3) | instid1(VALU_DEP_3)
	v_dual_add_f32 v9, v9, v13 :: v_dual_add_f32 v11, v11, v55
	v_dual_mul_f32 v19, v194, v115 :: v_dual_mul_f32 v21, v196, v117
	s_wait_loadcnt_dscnt 0xb05
	v_dual_mul_f32 v13, v205, v125 :: v_dual_fma_f32 v55, v192, v112, -v59
	v_dual_fmac_f32 v17, v193, v112 :: v_dual_add_f32 v11, v11, v53
	s_delay_alu instid0(VALU_DEP_3) | instskip(SKIP_1) | instid1(VALU_DEP_2)
	v_dual_add_f32 v9, v9, v15 :: v_dual_fmac_f32 v19, v195, v114
	v_dual_mul_f32 v15, v207, v127 :: v_dual_fma_f32 v53, v194, v114, -v61
	v_dual_add_f32 v11, v11, v55 :: v_dual_add_f32 v9, v9, v17
	v_dual_mul_f32 v23, v198, v119 :: v_dual_mul_f32 v25, v200, v121
	s_wait_loadcnt_dscnt 0xa04
	v_dual_mul_f32 v17, v209, v129 :: v_dual_fma_f32 v55, v196, v116, -v63
	s_delay_alu instid0(VALU_DEP_3) | instskip(NEXT) | instid1(VALU_DEP_3)
	v_dual_fmac_f32 v21, v197, v116 :: v_dual_add_f32 v11, v11, v53
	v_dual_add_f32 v9, v9, v19 :: v_dual_fmac_f32 v23, v199, v118
	v_dual_mul_f32 v19, v211, v131 :: v_dual_fma_f32 v53, v198, v118, -v65
	s_delay_alu instid0(VALU_DEP_2) | instskip(SKIP_3) | instid1(VALU_DEP_3)
	v_dual_add_f32 v11, v11, v55 :: v_dual_add_f32 v9, v9, v21
	v_dual_mul_f32 v27, v202, v123 :: v_dual_mul_f32 v29, v204, v125
	s_wait_loadcnt_dscnt 0x903
	v_dual_mul_f32 v21, v213, v133 :: v_dual_fma_f32 v55, v200, v120, -v67
	v_dual_fmac_f32 v25, v201, v120 :: v_dual_add_f32 v11, v11, v53
	s_delay_alu instid0(VALU_DEP_3) | instskip(SKIP_1) | instid1(VALU_DEP_2)
	v_dual_add_f32 v9, v9, v23 :: v_dual_fmac_f32 v27, v203, v122
	v_dual_mul_f32 v23, v215, v135 :: v_dual_fma_f32 v51, v202, v122, -v51
	v_dual_add_f32 v11, v11, v55 :: v_dual_add_f32 v9, v9, v25
	v_dual_mul_f32 v31, v206, v127 :: v_dual_mul_f32 v33, v208, v129
	s_wait_loadcnt_dscnt 0x802
	v_dual_mul_f32 v25, v217, v137 :: v_dual_fma_f32 v13, v204, v124, -v13
	s_delay_alu instid0(VALU_DEP_3) | instskip(NEXT) | instid1(VALU_DEP_3)
	v_dual_fmac_f32 v29, v205, v124 :: v_dual_add_f32 v11, v11, v51
	v_dual_add_f32 v9, v9, v27 :: v_dual_fmac_f32 v31, v207, v126
	v_dual_mul_f32 v27, v219, v139 :: v_dual_fma_f32 v15, v206, v126, -v15
	s_delay_alu instid0(VALU_DEP_3) | instskip(NEXT) | instid1(VALU_DEP_3)
	v_dual_add_f32 v11, v11, v13 :: v_dual_fmac_f32 v33, v209, v128
	v_dual_add_f32 v9, v9, v29 :: v_dual_fma_f32 v17, v208, v128, -v17
	v_dual_mul_f32 v35, v210, v131 :: v_dual_mul_f32 v37, v212, v133
	s_wait_loadcnt_dscnt 0x701
	s_delay_alu instid0(VALU_DEP_3) | instskip(NEXT) | instid1(VALU_DEP_2)
	v_dual_mul_f32 v13, v221, v141 :: v_dual_add_f32 v11, v11, v15
	v_dual_add_f32 v9, v9, v31 :: v_dual_fmac_f32 v35, v211, v130
	v_dual_mul_f32 v15, v223, v143 :: v_dual_fma_f32 v19, v210, v130, -v19
	s_delay_alu instid0(VALU_DEP_3) | instskip(NEXT) | instid1(VALU_DEP_3)
	v_dual_add_f32 v11, v11, v17 :: v_dual_fmac_f32 v37, v213, v132
	v_dual_add_f32 v9, v9, v33 :: v_dual_fma_f32 v21, v212, v132, -v21
	v_dual_mul_f32 v39, v214, v135 :: v_dual_mul_f32 v41, v216, v137
	s_wait_loadcnt 0x6
	s_delay_alu instid0(VALU_DEP_3) | instskip(NEXT) | instid1(VALU_DEP_2)
	v_dual_mul_f32 v17, v185, v145 :: v_dual_add_f32 v11, v11, v19
	v_dual_add_f32 v9, v9, v35 :: v_dual_fmac_f32 v39, v215, v134
	v_dual_mul_f32 v19, v187, v147 :: v_dual_fma_f32 v23, v214, v134, -v23
	s_delay_alu instid0(VALU_DEP_3) | instskip(NEXT) | instid1(VALU_DEP_3)
	v_dual_add_f32 v11, v11, v21 :: v_dual_fmac_f32 v41, v217, v136
	v_dual_add_f32 v9, v9, v37 :: v_dual_fma_f32 v25, v216, v136, -v25
	v_dual_mul_f32 v43, v218, v139 :: v_dual_mul_f32 v45, v220, v141
	s_wait_loadcnt 0x5
	s_delay_alu instid0(VALU_DEP_3) | instskip(NEXT) | instid1(VALU_DEP_3)
	v_dual_mul_f32 v21, v165, v149 :: v_dual_add_f32 v11, v11, v23
	v_dual_add_f32 v9, v9, v39 :: v_dual_mov_b32 v104, v151
	s_delay_alu instid0(VALU_DEP_3) | instskip(NEXT) | instid1(VALU_DEP_3)
	v_fmac_f32_e32 v43, v219, v138
	v_dual_fma_f32 v23, v218, v138, -v27 :: v_dual_add_f32 v11, v11, v25
	s_delay_alu instid0(VALU_DEP_3) | instskip(SKIP_1) | instid1(VALU_DEP_3)
	v_dual_add_f32 v9, v9, v41 :: v_dual_mul_f32 v47, v222, v143
	v_dual_mul_f32 v49, v184, v145 :: v_dual_fmac_f32 v45, v221, v140
	v_dual_add_f32 v11, v11, v23 :: v_dual_fma_f32 v13, v220, v140, -v13
	s_wait_loadcnt 0x4
	s_delay_alu instid0(VALU_DEP_3) | instskip(SKIP_3) | instid1(VALU_DEP_4)
	v_dual_add_f32 v9, v9, v43 :: v_dual_mov_b32 v108, v155
	v_fma_f32 v15, v222, v142, -v15
	v_fmac_f32_e32 v47, v223, v142
	v_dual_add_f32 v11, v11, v13 :: v_dual_fmac_f32 v49, v185, v144
	v_dual_add_f32 v9, v9, v45 :: v_dual_mul_f32 v239, v186, v147
	v_mul_f32_e32 v241, v164, v149
	s_delay_alu instid0(VALU_DEP_3) | instskip(NEXT) | instid1(VALU_DEP_3)
	v_dual_fma_f32 v13, v184, v144, -v17 :: v_dual_add_f32 v11, v11, v15
	v_dual_fma_f32 v238, v186, v146, -v19 :: v_dual_add_f32 v9, v9, v47
	s_delay_alu instid0(VALU_DEP_4) | instskip(SKIP_1) | instid1(VALU_DEP_4)
	v_fmac_f32_e32 v239, v187, v146
	v_pk_mul_f32 v[104:105], v[230:231], v[104:105] op_sel_hi:[1,0]
	v_dual_add_f32 v112, v11, v13 :: v_dual_fmac_f32 v241, v165, v148
	s_delay_alu instid0(VALU_DEP_4)
	v_add_f32_e32 v113, v9, v49
	v_pk_mul_f32 v[106:107], v[168:169], v[152:153] op_sel:[1,1] op_sel_hi:[0,1]
	s_wait_loadcnt 0x3
	v_dual_mov_b32 v114, v159 :: v_dual_fma_f32 v240, v164, v148, -v21
	v_pk_fma_f32 v[116:117], v[166:167], v[150:151], v[104:105] op_sel_hi:[1,0,1]
	v_pk_add_f32 v[112:113], v[112:113], v[238:239]
	v_pk_fma_f32 v[104:105], v[166:167], v[150:151], v[104:105] neg_lo:[0,0,1] neg_hi:[0,0,1]
	v_pk_fma_f32 v[118:119], v[168:169], v[152:153], v[106:107] op_sel_hi:[1,0,1]
	v_pk_mul_f32 v[108:109], v[232:233], v[108:109] op_sel_hi:[1,0]
	v_mov_b32_e32 v105, v117
	v_pk_add_f32 v[112:113], v[112:113], v[240:241]
	v_pk_fma_f32 v[106:107], v[168:169], v[152:153], v[106:107] neg_lo:[0,0,1] neg_hi:[0,0,1]
	v_pk_mul_f32 v[110:111], v[172:173], v[156:157] op_sel:[1,1] op_sel_hi:[0,1]
	v_mov_b32_e32 v107, v119
	v_pk_fma_f32 v[118:119], v[170:171], v[154:155], v[108:109] op_sel_hi:[1,0,1]
	v_pk_add_f32 v[104:105], v[112:113], v[104:105]
	v_pk_fma_f32 v[108:109], v[170:171], v[154:155], v[108:109] neg_lo:[0,0,1] neg_hi:[0,0,1]
	v_pk_fma_f32 v[112:113], v[172:173], v[156:157], v[110:111] op_sel_hi:[1,0,1]
	v_pk_mul_f32 v[114:115], v[234:235], v[114:115] op_sel_hi:[1,0]
	v_mov_b32_e32 v109, v119
	v_pk_add_f32 v[104:105], v[104:105], v[106:107]
	v_pk_fma_f32 v[110:111], v[172:173], v[156:157], v[110:111] neg_lo:[0,0,1] neg_hi:[0,0,1]
	s_wait_loadcnt 0x2
	v_pk_mul_f32 v[116:117], v[176:177], v[160:161] op_sel:[1,1] op_sel_hi:[0,1]
	v_dual_mov_b32 v106, v163 :: v_dual_mov_b32 v111, v113
	v_pk_fma_f32 v[112:113], v[174:175], v[158:159], v[114:115] op_sel_hi:[1,0,1]
	v_pk_add_f32 v[104:105], v[104:105], v[108:109]
	v_pk_fma_f32 v[114:115], v[174:175], v[158:159], v[114:115] neg_lo:[0,0,1] neg_hi:[0,0,1]
	v_pk_fma_f32 v[108:109], v[176:177], v[160:161], v[116:117] op_sel_hi:[1,0,1]
	v_pk_mul_f32 v[106:107], v[236:237], v[106:107] op_sel_hi:[1,0]
	v_mov_b32_e32 v115, v113
	v_pk_add_f32 v[104:105], v[104:105], v[110:111]
	v_pk_fma_f32 v[110:111], v[176:177], v[160:161], v[116:117] neg_lo:[0,0,1] neg_hi:[0,0,1]
	v_mov_b32_e32 v111, v109
	v_pk_fma_f32 v[108:109], v[178:179], v[162:163], v[106:107] op_sel_hi:[1,0,1]
	s_wait_loadcnt_dscnt 0x100
	v_pk_mul_f32 v[112:113], v[228:229], v[224:225] op_sel:[1,1] op_sel_hi:[0,1]
	v_pk_add_f32 v[104:105], v[104:105], v[114:115]
	v_pk_fma_f32 v[106:107], v[178:179], v[162:163], v[106:107] neg_lo:[0,0,1] neg_hi:[0,0,1]
	v_mov_b32_e32 v107, v109
	s_delay_alu instid0(VALU_DEP_4) | instskip(NEXT) | instid1(VALU_DEP_4)
	v_pk_fma_f32 v[108:109], v[228:229], v[224:225], v[112:113] op_sel_hi:[1,0,1]
	v_pk_add_f32 v[104:105], v[104:105], v[110:111]
	v_pk_fma_f32 v[110:111], v[228:229], v[224:225], v[112:113] neg_lo:[0,0,1] neg_hi:[0,0,1]
	s_delay_alu instid0(VALU_DEP_3) | instskip(NEXT) | instid1(VALU_DEP_3)
	v_mov_b32_e32 v111, v109
	v_pk_add_f32 v[104:105], v[104:105], v[106:107]
	s_delay_alu instid0(VALU_DEP_1) | instskip(SKIP_1) | instid1(VALU_DEP_1)
	v_pk_add_f32 v[104:105], v[104:105], v[110:111]
	s_wait_loadcnt 0x0
	v_pk_add_f32 v[104:105], v[226:227], v[104:105] neg_lo:[0,1] neg_hi:[0,1]
	scratch_store_b64 off, v[104:105], off offset:152
	s_wait_xcnt 0x0
	v_cmpx_lt_u32_e32 18, v0
	s_cbranch_execz .LBB114_283
; %bb.282:
	scratch_load_b64 v[104:105], off, off offset:144
	v_mov_b64_e32 v[106:107], 0
	scratch_store_b64 off, v[106:107], off offset:144
	s_wait_loadcnt 0x0
	ds_store_b64 v1, v[104:105]
.LBB114_283:
	s_wait_xcnt 0x0
	s_or_b32 exec_lo, exec_lo, s0
	s_wait_storecnt_dscnt 0x0
	s_barrier_signal -1
	s_barrier_wait -1
	s_clause 0x10
	scratch_load_b128 v[104:107], off, off offset:152
	scratch_load_b128 v[108:111], off, off offset:168
	;; [unrolled: 1-line block ×16, first 2 shown]
	scratch_load_b64 v[232:233], off, off offset:144
	ds_load_2addr_b64 v[168:171], v7 offset0:95 offset1:96
	ds_load_2addr_b64 v[172:175], v7 offset0:97 offset1:98
	ds_load_2addr_b64 v[176:179], v7 offset0:99 offset1:100
	ds_load_2addr_b64 v[180:183], v7 offset0:101 offset1:102
	ds_load_2addr_b64 v[184:187], v7 offset0:71 offset1:72
	ds_load_2addr_b64 v[188:191], v7 offset0:73 offset1:74
	ds_load_2addr_b64 v[192:195], v7 offset0:75 offset1:76
	ds_load_2addr_b64 v[196:199], v7 offset0:77 offset1:78
	ds_load_2addr_b64 v[200:203], v7 offset0:79 offset1:80
	ds_load_2addr_b64 v[204:207], v7 offset0:81 offset1:82
	ds_load_2addr_b64 v[208:211], v7 offset0:83 offset1:84
	ds_load_2addr_b64 v[212:215], v7 offset0:85 offset1:86
	ds_load_2addr_b64 v[216:219], v7 offset0:87 offset1:88
	ds_load_2addr_b64 v[220:223], v7 offset0:89 offset1:90
	ds_load_2addr_b64 v[224:227], v7 offset0:91 offset1:92
	ds_load_2addr_b64 v[228:231], v7 offset0:93 offset1:94
	s_mov_b32 s0, exec_lo
	s_wait_dscnt 0xf
	v_dual_mov_b32 v234, v171 :: v_dual_mov_b32 v235, v170
	s_wait_dscnt 0xe
	v_dual_mov_b32 v236, v175 :: v_dual_mov_b32 v237, v174
	;; [unrolled: 2-line block ×4, first 2 shown]
	s_wait_loadcnt_dscnt 0x100b
	v_dual_mul_f32 v7, v184, v105 :: v_dual_mul_f32 v9, v186, v107
	v_dual_mul_f32 v51, v185, v105 :: v_dual_mul_f32 v53, v187, v107
	s_wait_loadcnt_dscnt 0xf0a
	v_dual_mul_f32 v11, v188, v109 :: v_dual_mul_f32 v13, v190, v111
	s_delay_alu instid0(VALU_DEP_3) | instskip(SKIP_3) | instid1(VALU_DEP_3)
	v_dual_fmac_f32 v7, v185, v104 :: v_dual_fmac_f32 v9, v187, v106
	s_wait_loadcnt_dscnt 0xd08
	v_dual_fma_f32 v51, v184, v104, -v51 :: v_dual_mul_f32 v63, v197, v117
	v_dual_mul_f32 v55, v189, v109 :: v_dual_mul_f32 v57, v191, v111
	v_dual_fma_f32 v53, v186, v106, -v53 :: v_dual_add_f32 v7, 0, v7
	s_delay_alu instid0(VALU_DEP_3) | instskip(SKIP_1) | instid1(VALU_DEP_4)
	v_dual_add_f32 v51, 0, v51 :: v_dual_fmac_f32 v11, v189, v108
	v_dual_mul_f32 v15, v192, v113 :: v_dual_mul_f32 v17, v194, v115
	v_dual_mul_f32 v65, v199, v119 :: v_dual_fma_f32 v55, v188, v108, -v55
	s_delay_alu instid0(VALU_DEP_4) | instskip(NEXT) | instid1(VALU_DEP_3)
	v_add_f32_e32 v7, v7, v9
	v_dual_add_f32 v9, v51, v53 :: v_dual_fmac_f32 v15, v193, v112
	v_dual_mul_f32 v59, v193, v113 :: v_dual_mul_f32 v61, v195, v115
	s_wait_loadcnt_dscnt 0xc07
	v_dual_mul_f32 v51, v201, v121 :: v_dual_fmac_f32 v13, v191, v110
	v_dual_fma_f32 v53, v190, v110, -v57 :: v_dual_add_f32 v7, v7, v11
	s_delay_alu instid0(VALU_DEP_3) | instskip(SKIP_1) | instid1(VALU_DEP_3)
	v_dual_add_f32 v9, v9, v55 :: v_dual_fma_f32 v55, v192, v112, -v59
	v_dual_mul_f32 v19, v196, v117 :: v_dual_mul_f32 v21, v198, v119
	v_add_f32_e32 v7, v7, v13
	s_delay_alu instid0(VALU_DEP_3) | instskip(SKIP_2) | instid1(VALU_DEP_3)
	v_dual_mul_f32 v11, v203, v123 :: v_dual_add_f32 v9, v9, v53
	s_wait_loadcnt_dscnt 0xb06
	v_dual_mul_f32 v13, v205, v125 :: v_dual_fmac_f32 v17, v195, v114
	v_dual_fma_f32 v53, v194, v114, -v61 :: v_dual_add_f32 v7, v7, v15
	s_delay_alu instid0(VALU_DEP_3) | instskip(SKIP_1) | instid1(VALU_DEP_3)
	v_dual_add_f32 v9, v9, v55 :: v_dual_fma_f32 v55, v196, v116, -v63
	v_dual_mul_f32 v15, v207, v127 :: v_dual_fmac_f32 v19, v197, v116
	v_add_f32_e32 v7, v7, v17
	s_delay_alu instid0(VALU_DEP_3)
	v_dual_add_f32 v9, v9, v53 :: v_dual_fmac_f32 v21, v199, v118
	v_dual_mul_f32 v23, v200, v121 :: v_dual_mul_f32 v25, v202, v123
	s_wait_loadcnt_dscnt 0xa05
	v_dual_fma_f32 v53, v198, v118, -v65 :: v_dual_mul_f32 v17, v209, v129
	v_add_f32_e32 v7, v7, v19
	v_dual_add_f32 v9, v9, v55 :: v_dual_fma_f32 v51, v200, v120, -v51
	v_dual_mul_f32 v19, v211, v131 :: v_dual_fmac_f32 v23, v201, v120
	s_delay_alu instid0(VALU_DEP_3) | instskip(NEXT) | instid1(VALU_DEP_3)
	v_dual_add_f32 v7, v7, v21 :: v_dual_fma_f32 v11, v202, v122, -v11
	v_dual_add_f32 v9, v9, v53 :: v_dual_fmac_f32 v25, v203, v122
	v_dual_mul_f32 v27, v204, v125 :: v_dual_mul_f32 v29, v206, v127
	s_wait_loadcnt_dscnt 0x904
	s_delay_alu instid0(VALU_DEP_3) | instskip(NEXT) | instid1(VALU_DEP_3)
	v_dual_mul_f32 v21, v213, v133 :: v_dual_add_f32 v7, v7, v23
	v_dual_add_f32 v9, v9, v51 :: v_dual_fma_f32 v13, v204, v124, -v13
	s_delay_alu instid0(VALU_DEP_3) | instskip(NEXT) | instid1(VALU_DEP_2)
	v_dual_mul_f32 v23, v215, v135 :: v_dual_fmac_f32 v27, v205, v124
	v_dual_add_f32 v7, v7, v25 :: v_dual_add_f32 v9, v9, v11
	v_dual_mul_f32 v31, v208, v129 :: v_dual_mul_f32 v33, v210, v131
	s_wait_loadcnt_dscnt 0x803
	v_dual_mul_f32 v11, v217, v137 :: v_dual_fmac_f32 v29, v207, v126
	s_delay_alu instid0(VALU_DEP_3) | instskip(SKIP_2) | instid1(VALU_DEP_2)
	v_dual_fma_f32 v15, v206, v126, -v15 :: v_dual_add_f32 v7, v7, v27
	v_dual_add_f32 v9, v9, v13 :: v_dual_mul_f32 v13, v219, v139
	v_dual_fmac_f32 v31, v209, v128 :: v_dual_fma_f32 v17, v208, v128, -v17
	v_dual_add_f32 v7, v7, v29 :: v_dual_add_f32 v9, v9, v15
	v_dual_mul_f32 v35, v212, v133 :: v_dual_mul_f32 v37, v214, v135
	s_wait_loadcnt_dscnt 0x702
	v_dual_mul_f32 v15, v221, v141 :: v_dual_fmac_f32 v33, v211, v130
	s_delay_alu instid0(VALU_DEP_3) | instskip(SKIP_2) | instid1(VALU_DEP_2)
	v_dual_fma_f32 v19, v210, v130, -v19 :: v_dual_add_f32 v7, v7, v31
	v_dual_add_f32 v9, v9, v17 :: v_dual_mul_f32 v17, v223, v143
	v_dual_fmac_f32 v35, v213, v132 :: v_dual_fma_f32 v21, v212, v132, -v21
	v_dual_add_f32 v7, v7, v33 :: v_dual_add_f32 v9, v9, v19
	v_dual_mul_f32 v39, v216, v137 :: v_dual_mul_f32 v41, v218, v139
	s_wait_loadcnt_dscnt 0x601
	v_dual_mul_f32 v19, v225, v145 :: v_dual_fmac_f32 v37, v215, v134
	s_delay_alu instid0(VALU_DEP_3) | instskip(SKIP_2) | instid1(VALU_DEP_3)
	v_dual_fma_f32 v23, v214, v134, -v23 :: v_dual_add_f32 v7, v7, v35
	v_dual_add_f32 v9, v9, v21 :: v_dual_mul_f32 v21, v227, v147
	v_fmac_f32_e32 v39, v217, v136
	v_dual_fma_f32 v11, v216, v136, -v11 :: v_dual_add_f32 v7, v7, v37
	s_delay_alu instid0(VALU_DEP_3)
	v_dual_add_f32 v9, v9, v23 :: v_dual_mul_f32 v43, v220, v141
	s_wait_loadcnt_dscnt 0x500
	v_dual_mul_f32 v45, v222, v143 :: v_dual_mul_f32 v23, v229, v149
	v_fmac_f32_e32 v41, v219, v138
	v_dual_fma_f32 v13, v218, v138, -v13 :: v_dual_add_f32 v7, v7, v39
	v_dual_add_f32 v9, v9, v11 :: v_dual_fma_f32 v15, v220, v140, -v15
	v_dual_mul_f32 v11, v231, v151 :: v_dual_fmac_f32 v43, v221, v140
	s_delay_alu instid0(VALU_DEP_3) | instskip(NEXT) | instid1(VALU_DEP_3)
	v_add_f32_e32 v7, v7, v41
	v_dual_add_f32 v9, v9, v13 :: v_dual_fmac_f32 v45, v223, v142
	v_dual_mul_f32 v47, v224, v145 :: v_dual_mul_f32 v49, v226, v147
	s_delay_alu instid0(VALU_DEP_3) | instskip(SKIP_1) | instid1(VALU_DEP_3)
	v_dual_fma_f32 v13, v222, v142, -v17 :: v_dual_add_f32 v7, v7, v43
	s_wait_loadcnt 0x4
	v_dual_add_f32 v9, v9, v15 :: v_dual_mov_b32 v106, v155
	s_delay_alu instid0(VALU_DEP_3) | instskip(NEXT) | instid1(VALU_DEP_3)
	v_fmac_f32_e32 v47, v225, v144
	v_dual_fma_f32 v15, v224, v144, -v19 :: v_dual_add_f32 v7, v7, v45
	s_delay_alu instid0(VALU_DEP_3) | instskip(SKIP_1) | instid1(VALU_DEP_3)
	v_dual_add_f32 v9, v9, v13 :: v_dual_fmac_f32 v49, v227, v146
	v_dual_mul_f32 v243, v228, v149 :: v_dual_mul_f32 v245, v230, v151
	v_dual_fma_f32 v13, v226, v146, -v21 :: v_dual_add_f32 v7, v7, v47
	s_wait_loadcnt 0x3
	s_delay_alu instid0(VALU_DEP_3) | instskip(SKIP_1) | instid1(VALU_DEP_3)
	v_dual_add_f32 v9, v9, v15 :: v_dual_mov_b32 v110, v159
	v_pk_mul_f32 v[104:105], v[168:169], v[152:153] op_sel:[1,1] op_sel_hi:[0,1]
	v_dual_fmac_f32 v243, v229, v148 :: v_dual_add_f32 v113, v7, v49
	s_delay_alu instid0(VALU_DEP_3) | instskip(SKIP_1) | instid1(VALU_DEP_4)
	v_dual_fma_f32 v242, v228, v148, -v23 :: v_dual_add_f32 v112, v9, v13
	v_dual_fmac_f32 v245, v231, v150 :: v_dual_fma_f32 v244, v230, v150, -v11
	v_pk_fma_f32 v[114:115], v[168:169], v[152:153], v[104:105] op_sel_hi:[1,0,1]
	v_pk_mul_f32 v[106:107], v[234:235], v[106:107] op_sel_hi:[1,0]
	s_delay_alu instid0(VALU_DEP_4)
	v_pk_add_f32 v[112:113], v[112:113], v[242:243]
	v_pk_fma_f32 v[104:105], v[168:169], v[152:153], v[104:105] neg_lo:[0,0,1] neg_hi:[0,0,1]
	v_pk_mul_f32 v[108:109], v[172:173], v[156:157] op_sel:[1,1] op_sel_hi:[0,1]
	v_mov_b32_e32 v105, v115
	v_pk_fma_f32 v[114:115], v[170:171], v[154:155], v[106:107] op_sel_hi:[1,0,1]
	v_pk_add_f32 v[112:113], v[112:113], v[244:245]
	v_pk_fma_f32 v[106:107], v[170:171], v[154:155], v[106:107] neg_lo:[0,0,1] neg_hi:[0,0,1]
	v_pk_fma_f32 v[118:119], v[172:173], v[156:157], v[108:109] op_sel_hi:[1,0,1]
	v_pk_mul_f32 v[110:111], v[236:237], v[110:111] op_sel_hi:[1,0]
	v_mov_b32_e32 v107, v115
	v_pk_add_f32 v[104:105], v[112:113], v[104:105]
	s_wait_loadcnt 0x2
	v_pk_mul_f32 v[116:117], v[176:177], v[160:161] op_sel:[1,1] op_sel_hi:[0,1]
	v_mov_b32_e32 v112, v163
	v_pk_fma_f32 v[108:109], v[172:173], v[156:157], v[108:109] neg_lo:[0,0,1] neg_hi:[0,0,1]
	v_mov_b32_e32 v109, v119
	v_pk_fma_f32 v[114:115], v[174:175], v[158:159], v[110:111] op_sel_hi:[1,0,1]
	v_pk_add_f32 v[104:105], v[104:105], v[106:107]
	v_pk_fma_f32 v[106:107], v[176:177], v[160:161], v[116:117] op_sel_hi:[1,0,1]
	v_pk_mul_f32 v[112:113], v[238:239], v[112:113] op_sel_hi:[1,0]
	v_pk_fma_f32 v[110:111], v[174:175], v[158:159], v[110:111] neg_lo:[0,0,1] neg_hi:[0,0,1]
	v_mov_b32_e32 v111, v115
	v_pk_add_f32 v[104:105], v[104:105], v[108:109]
	v_pk_fma_f32 v[114:115], v[176:177], v[160:161], v[116:117] neg_lo:[0,0,1] neg_hi:[0,0,1]
	v_mov_b32_e32 v115, v107
	v_pk_fma_f32 v[106:107], v[178:179], v[162:163], v[112:113] op_sel_hi:[1,0,1]
	s_wait_loadcnt 0x1
	v_pk_mul_f32 v[108:109], v[180:181], v[164:165] op_sel:[1,1] op_sel_hi:[0,1]
	v_pk_add_f32 v[104:105], v[104:105], v[110:111]
	v_mov_b32_e32 v106, v167
	v_pk_fma_f32 v[112:113], v[178:179], v[162:163], v[112:113] neg_lo:[0,0,1] neg_hi:[0,0,1]
	v_mov_b32_e32 v113, v107
	v_pk_fma_f32 v[110:111], v[180:181], v[164:165], v[108:109] op_sel_hi:[1,0,1]
	v_pk_add_f32 v[104:105], v[104:105], v[114:115]
	v_pk_mul_f32 v[106:107], v[240:241], v[106:107] op_sel_hi:[1,0]
	v_pk_fma_f32 v[108:109], v[180:181], v[164:165], v[108:109] neg_lo:[0,0,1] neg_hi:[0,0,1]
	s_delay_alu instid0(VALU_DEP_4) | instskip(NEXT) | instid1(VALU_DEP_4)
	v_mov_b32_e32 v109, v111
	v_pk_add_f32 v[104:105], v[104:105], v[112:113]
	s_delay_alu instid0(VALU_DEP_4) | instskip(SKIP_1) | instid1(VALU_DEP_2)
	v_pk_fma_f32 v[110:111], v[182:183], v[166:167], v[106:107] op_sel_hi:[1,0,1]
	v_pk_fma_f32 v[106:107], v[182:183], v[166:167], v[106:107] neg_lo:[0,0,1] neg_hi:[0,0,1]
	v_mov_b32_e32 v107, v111
	s_delay_alu instid0(VALU_DEP_4) | instskip(NEXT) | instid1(VALU_DEP_1)
	v_pk_add_f32 v[104:105], v[104:105], v[108:109]
	v_pk_add_f32 v[104:105], v[104:105], v[106:107]
	s_wait_loadcnt 0x0
	s_delay_alu instid0(VALU_DEP_1)
	v_pk_add_f32 v[104:105], v[232:233], v[104:105] neg_lo:[0,1] neg_hi:[0,1]
	scratch_store_b64 off, v[104:105], off offset:144
	s_wait_xcnt 0x0
	v_cmpx_lt_u32_e32 17, v0
	s_cbranch_execz .LBB114_285
; %bb.284:
	scratch_load_b64 v[104:105], off, off offset:136
	v_mov_b64_e32 v[106:107], 0
	scratch_store_b64 off, v[106:107], off offset:136
	s_wait_loadcnt 0x0
	ds_store_b64 v1, v[104:105]
.LBB114_285:
	s_wait_xcnt 0x0
	s_or_b32 exec_lo, exec_lo, s0
	s_wait_storecnt_dscnt 0x0
	s_barrier_signal -1
	s_barrier_wait -1
	s_clause 0x11
	scratch_load_b128 v[104:107], off, off offset:144
	scratch_load_b128 v[108:111], off, off offset:160
	;; [unrolled: 1-line block ×16, first 2 shown]
	scratch_load_b64 v[232:233], off, off offset:400
	scratch_load_b64 v[234:235], off, off offset:136
	v_mov_b32_e32 v7, 0
	ds_load_b128 v[168:171], v7 offset:752
	ds_load_b128 v[172:175], v7 offset:768
	;; [unrolled: 1-line block ×16, first 2 shown]
	ds_load_b64 v[236:237], v7 offset:816
	s_mov_b32 s0, exec_lo
	s_wait_dscnt 0x10
	v_dual_mov_b32 v238, v171 :: v_dual_mov_b32 v239, v170
	s_wait_dscnt 0xd
	v_dual_mov_b32 v240, v175 :: v_dual_mov_b32 v245, v182
	v_dual_mov_b32 v241, v174 :: v_dual_mov_b32 v242, v179
	;; [unrolled: 1-line block ×3, first 2 shown]
	s_wait_loadcnt_dscnt 0x110c
	v_dual_mul_f32 v9, v184, v105 :: v_dual_mul_f32 v55, v185, v105
	v_dual_mul_f32 v57, v187, v107 :: v_dual_mul_f32 v11, v186, v107
	s_wait_loadcnt_dscnt 0x100b
	v_mul_f32_e32 v13, v188, v109
	s_wait_loadcnt_dscnt 0xe09
	v_dual_mul_f32 v67, v197, v117 :: v_dual_fma_f32 v55, v184, v104, -v55
	v_dual_fmac_f32 v9, v185, v104 :: v_dual_mul_f32 v69, v199, v119
	v_dual_mul_f32 v59, v189, v109 :: v_dual_mul_f32 v61, v191, v111
	v_dual_fmac_f32 v11, v187, v106 :: v_dual_fma_f32 v57, v186, v106, -v57
	s_delay_alu instid0(VALU_DEP_3) | instskip(SKIP_4) | instid1(VALU_DEP_3)
	v_dual_add_f32 v9, 0, v9 :: v_dual_add_f32 v55, 0, v55
	v_dual_mul_f32 v15, v190, v111 :: v_dual_mul_f32 v17, v192, v113
	s_wait_loadcnt_dscnt 0xd08
	v_dual_mul_f32 v71, v201, v121 :: v_dual_fma_f32 v59, v188, v108, -v59
	v_fmac_f32_e32 v13, v189, v108
	v_dual_add_f32 v9, v9, v11 :: v_dual_fmac_f32 v15, v191, v110
	v_add_f32_e32 v11, v55, v57
	v_dual_mul_f32 v63, v193, v113 :: v_dual_mul_f32 v65, v195, v115
	v_dual_mul_f32 v55, v203, v123 :: v_dual_fma_f32 v57, v190, v110, -v61
	s_delay_alu instid0(VALU_DEP_3) | instskip(SKIP_3) | instid1(VALU_DEP_3)
	v_dual_add_f32 v9, v9, v13 :: v_dual_add_f32 v11, v11, v59
	v_dual_mul_f32 v19, v194, v115 :: v_dual_mul_f32 v21, v196, v117
	s_wait_loadcnt_dscnt 0xc07
	v_dual_mul_f32 v13, v205, v125 :: v_dual_fma_f32 v59, v192, v112, -v63
	v_dual_fmac_f32 v17, v193, v112 :: v_dual_add_f32 v11, v11, v57
	s_delay_alu instid0(VALU_DEP_3) | instskip(SKIP_1) | instid1(VALU_DEP_2)
	v_dual_add_f32 v9, v9, v15 :: v_dual_fmac_f32 v19, v195, v114
	v_dual_mul_f32 v15, v207, v127 :: v_dual_fma_f32 v57, v194, v114, -v65
	v_dual_add_f32 v11, v11, v59 :: v_dual_add_f32 v9, v9, v17
	v_dual_mul_f32 v23, v198, v119 :: v_dual_mul_f32 v25, v200, v121
	s_wait_loadcnt_dscnt 0xb06
	v_dual_mul_f32 v17, v209, v129 :: v_dual_fma_f32 v59, v196, v116, -v67
	s_delay_alu instid0(VALU_DEP_3) | instskip(NEXT) | instid1(VALU_DEP_3)
	v_dual_fmac_f32 v21, v197, v116 :: v_dual_add_f32 v11, v11, v57
	v_dual_add_f32 v9, v9, v19 :: v_dual_fmac_f32 v23, v199, v118
	v_dual_mul_f32 v19, v211, v131 :: v_dual_fma_f32 v57, v198, v118, -v69
	s_delay_alu instid0(VALU_DEP_2) | instskip(SKIP_3) | instid1(VALU_DEP_3)
	v_dual_add_f32 v11, v11, v59 :: v_dual_add_f32 v9, v9, v21
	v_dual_mul_f32 v27, v202, v123 :: v_dual_mul_f32 v29, v204, v125
	s_wait_loadcnt_dscnt 0xa05
	v_dual_mul_f32 v21, v213, v133 :: v_dual_fma_f32 v59, v200, v120, -v71
	v_dual_fmac_f32 v25, v201, v120 :: v_dual_add_f32 v11, v11, v57
	s_delay_alu instid0(VALU_DEP_3) | instskip(SKIP_1) | instid1(VALU_DEP_2)
	v_dual_add_f32 v9, v9, v23 :: v_dual_fmac_f32 v27, v203, v122
	v_dual_mul_f32 v23, v215, v135 :: v_dual_fma_f32 v55, v202, v122, -v55
	v_dual_add_f32 v11, v11, v59 :: v_dual_add_f32 v9, v9, v25
	v_dual_mul_f32 v31, v206, v127 :: v_dual_mul_f32 v33, v208, v129
	s_wait_loadcnt_dscnt 0x904
	v_dual_mul_f32 v25, v217, v137 :: v_dual_fma_f32 v13, v204, v124, -v13
	s_delay_alu instid0(VALU_DEP_3) | instskip(NEXT) | instid1(VALU_DEP_3)
	v_dual_fmac_f32 v29, v205, v124 :: v_dual_add_f32 v11, v11, v55
	v_dual_add_f32 v9, v9, v27 :: v_dual_fmac_f32 v31, v207, v126
	v_dual_mul_f32 v27, v219, v139 :: v_dual_fma_f32 v15, v206, v126, -v15
	s_delay_alu instid0(VALU_DEP_3) | instskip(NEXT) | instid1(VALU_DEP_3)
	v_dual_add_f32 v11, v11, v13 :: v_dual_fmac_f32 v33, v209, v128
	v_dual_add_f32 v9, v9, v29 :: v_dual_fma_f32 v17, v208, v128, -v17
	v_dual_mul_f32 v35, v210, v131 :: v_dual_mul_f32 v37, v212, v133
	s_wait_loadcnt_dscnt 0x803
	s_delay_alu instid0(VALU_DEP_3) | instskip(NEXT) | instid1(VALU_DEP_2)
	v_dual_mul_f32 v13, v221, v141 :: v_dual_add_f32 v11, v11, v15
	v_dual_add_f32 v9, v9, v31 :: v_dual_fmac_f32 v35, v211, v130
	v_dual_mul_f32 v15, v223, v143 :: v_dual_fma_f32 v19, v210, v130, -v19
	s_delay_alu instid0(VALU_DEP_3) | instskip(NEXT) | instid1(VALU_DEP_3)
	v_dual_add_f32 v11, v11, v17 :: v_dual_fmac_f32 v37, v213, v132
	v_dual_add_f32 v9, v9, v33 :: v_dual_fma_f32 v21, v212, v132, -v21
	v_dual_mul_f32 v39, v214, v135 :: v_dual_mul_f32 v41, v216, v137
	s_wait_loadcnt_dscnt 0x702
	s_delay_alu instid0(VALU_DEP_3) | instskip(NEXT) | instid1(VALU_DEP_2)
	v_dual_mul_f32 v17, v225, v145 :: v_dual_add_f32 v11, v11, v19
	;; [unrolled: 9-line block ×3, first 2 shown]
	v_dual_add_f32 v9, v9, v39 :: v_dual_fmac_f32 v43, v219, v138
	v_dual_mul_f32 v23, v231, v151 :: v_dual_fma_f32 v27, v218, v138, -v27
	s_delay_alu instid0(VALU_DEP_3) | instskip(NEXT) | instid1(VALU_DEP_3)
	v_dual_add_f32 v11, v11, v25 :: v_dual_fmac_f32 v45, v221, v140
	v_dual_add_f32 v9, v9, v41 :: v_dual_fma_f32 v13, v220, v140, -v13
	v_dual_mul_f32 v47, v222, v143 :: v_dual_mul_f32 v49, v224, v145
	s_wait_loadcnt 0x5
	s_delay_alu instid0(VALU_DEP_3) | instskip(NEXT) | instid1(VALU_DEP_3)
	v_dual_mul_f32 v25, v169, v153 :: v_dual_add_f32 v11, v11, v27
	v_dual_add_f32 v9, v9, v43 :: v_dual_mov_b32 v104, v155
	s_delay_alu instid0(VALU_DEP_3) | instskip(NEXT) | instid1(VALU_DEP_3)
	v_fmac_f32_e32 v47, v223, v142
	v_dual_fma_f32 v15, v222, v142, -v15 :: v_dual_add_f32 v11, v11, v13
	s_delay_alu instid0(VALU_DEP_3) | instskip(SKIP_1) | instid1(VALU_DEP_3)
	v_dual_add_f32 v9, v9, v45 :: v_dual_mul_f32 v51, v226, v147
	v_dual_mul_f32 v53, v228, v149 :: v_dual_fmac_f32 v49, v225, v144
	v_dual_add_f32 v11, v11, v15 :: v_dual_fma_f32 v13, v224, v144, -v17
	s_wait_loadcnt 0x4
	s_delay_alu instid0(VALU_DEP_3) | instskip(SKIP_3) | instid1(VALU_DEP_4)
	v_dual_add_f32 v9, v9, v47 :: v_dual_mov_b32 v108, v159
	v_fma_f32 v15, v226, v146, -v19
	v_fmac_f32_e32 v51, v227, v146
	v_dual_add_f32 v11, v11, v13 :: v_dual_fmac_f32 v53, v229, v148
	v_dual_add_f32 v9, v9, v49 :: v_dual_mul_f32 v247, v230, v151
	v_mul_f32_e32 v249, v168, v153
	s_delay_alu instid0(VALU_DEP_3) | instskip(NEXT) | instid1(VALU_DEP_3)
	v_dual_fma_f32 v13, v228, v148, -v21 :: v_dual_add_f32 v11, v11, v15
	v_dual_fma_f32 v246, v230, v150, -v23 :: v_dual_add_f32 v9, v9, v51
	s_delay_alu instid0(VALU_DEP_4) | instskip(SKIP_1) | instid1(VALU_DEP_4)
	v_fmac_f32_e32 v247, v231, v150
	v_pk_mul_f32 v[104:105], v[238:239], v[104:105] op_sel_hi:[1,0]
	v_dual_add_f32 v112, v11, v13 :: v_dual_fmac_f32 v249, v169, v152
	s_delay_alu instid0(VALU_DEP_4)
	v_add_f32_e32 v113, v9, v53
	v_pk_mul_f32 v[106:107], v[172:173], v[156:157] op_sel:[1,1] op_sel_hi:[0,1]
	s_wait_loadcnt 0x3
	v_dual_mov_b32 v114, v163 :: v_dual_fma_f32 v248, v168, v152, -v25
	v_pk_fma_f32 v[116:117], v[170:171], v[154:155], v[104:105] op_sel_hi:[1,0,1]
	v_pk_add_f32 v[112:113], v[112:113], v[246:247]
	v_pk_fma_f32 v[104:105], v[170:171], v[154:155], v[104:105] neg_lo:[0,0,1] neg_hi:[0,0,1]
	v_pk_fma_f32 v[118:119], v[172:173], v[156:157], v[106:107] op_sel_hi:[1,0,1]
	v_pk_mul_f32 v[108:109], v[240:241], v[108:109] op_sel_hi:[1,0]
	v_mov_b32_e32 v105, v117
	v_pk_add_f32 v[112:113], v[112:113], v[248:249]
	v_pk_fma_f32 v[106:107], v[172:173], v[156:157], v[106:107] neg_lo:[0,0,1] neg_hi:[0,0,1]
	v_pk_mul_f32 v[110:111], v[176:177], v[160:161] op_sel:[1,1] op_sel_hi:[0,1]
	v_mov_b32_e32 v107, v119
	v_pk_fma_f32 v[118:119], v[174:175], v[158:159], v[108:109] op_sel_hi:[1,0,1]
	v_pk_add_f32 v[104:105], v[112:113], v[104:105]
	v_pk_fma_f32 v[108:109], v[174:175], v[158:159], v[108:109] neg_lo:[0,0,1] neg_hi:[0,0,1]
	v_pk_fma_f32 v[112:113], v[176:177], v[160:161], v[110:111] op_sel_hi:[1,0,1]
	v_pk_mul_f32 v[114:115], v[242:243], v[114:115] op_sel_hi:[1,0]
	v_mov_b32_e32 v109, v119
	v_pk_add_f32 v[104:105], v[104:105], v[106:107]
	v_pk_fma_f32 v[110:111], v[176:177], v[160:161], v[110:111] neg_lo:[0,0,1] neg_hi:[0,0,1]
	s_wait_loadcnt 0x2
	v_pk_mul_f32 v[116:117], v[180:181], v[164:165] op_sel:[1,1] op_sel_hi:[0,1]
	v_dual_mov_b32 v106, v167 :: v_dual_mov_b32 v111, v113
	v_pk_fma_f32 v[112:113], v[178:179], v[162:163], v[114:115] op_sel_hi:[1,0,1]
	v_pk_add_f32 v[104:105], v[104:105], v[108:109]
	v_pk_fma_f32 v[114:115], v[178:179], v[162:163], v[114:115] neg_lo:[0,0,1] neg_hi:[0,0,1]
	v_pk_fma_f32 v[108:109], v[180:181], v[164:165], v[116:117] op_sel_hi:[1,0,1]
	v_pk_mul_f32 v[106:107], v[244:245], v[106:107] op_sel_hi:[1,0]
	v_mov_b32_e32 v115, v113
	v_pk_add_f32 v[104:105], v[104:105], v[110:111]
	v_pk_fma_f32 v[110:111], v[180:181], v[164:165], v[116:117] neg_lo:[0,0,1] neg_hi:[0,0,1]
	v_mov_b32_e32 v111, v109
	v_pk_fma_f32 v[108:109], v[182:183], v[166:167], v[106:107] op_sel_hi:[1,0,1]
	s_wait_loadcnt_dscnt 0x100
	v_pk_mul_f32 v[112:113], v[236:237], v[232:233] op_sel:[1,1] op_sel_hi:[0,1]
	v_pk_add_f32 v[104:105], v[104:105], v[114:115]
	v_pk_fma_f32 v[106:107], v[182:183], v[166:167], v[106:107] neg_lo:[0,0,1] neg_hi:[0,0,1]
	v_mov_b32_e32 v107, v109
	s_delay_alu instid0(VALU_DEP_4) | instskip(NEXT) | instid1(VALU_DEP_4)
	v_pk_fma_f32 v[108:109], v[236:237], v[232:233], v[112:113] op_sel_hi:[1,0,1]
	v_pk_add_f32 v[104:105], v[104:105], v[110:111]
	v_pk_fma_f32 v[110:111], v[236:237], v[232:233], v[112:113] neg_lo:[0,0,1] neg_hi:[0,0,1]
	s_delay_alu instid0(VALU_DEP_3) | instskip(NEXT) | instid1(VALU_DEP_3)
	v_mov_b32_e32 v111, v109
	v_pk_add_f32 v[104:105], v[104:105], v[106:107]
	s_delay_alu instid0(VALU_DEP_1) | instskip(SKIP_1) | instid1(VALU_DEP_1)
	v_pk_add_f32 v[104:105], v[104:105], v[110:111]
	s_wait_loadcnt 0x0
	v_pk_add_f32 v[104:105], v[234:235], v[104:105] neg_lo:[0,1] neg_hi:[0,1]
	scratch_store_b64 off, v[104:105], off offset:136
	s_wait_xcnt 0x0
	v_cmpx_lt_u32_e32 16, v0
	s_cbranch_execz .LBB114_287
; %bb.286:
	scratch_load_b64 v[104:105], off, off offset:128
	v_mov_b64_e32 v[106:107], 0
	scratch_store_b64 off, v[106:107], off offset:128
	s_wait_loadcnt 0x0
	ds_store_b64 v1, v[104:105]
.LBB114_287:
	s_wait_xcnt 0x0
	s_or_b32 exec_lo, exec_lo, s0
	s_wait_storecnt_dscnt 0x0
	s_barrier_signal -1
	s_barrier_wait -1
	s_clause 0x11
	scratch_load_b128 v[104:107], off, off offset:136
	scratch_load_b128 v[108:111], off, off offset:152
	;; [unrolled: 1-line block ×17, first 2 shown]
	scratch_load_b64 v[240:241], off, off offset:128
	ds_load_2addr_b64 v[172:175], v7 offset0:95 offset1:96
	ds_load_2addr_b64 v[176:179], v7 offset0:97 offset1:98
	;; [unrolled: 1-line block ×17, first 2 shown]
	s_mov_b32 s0, exec_lo
	s_wait_dscnt 0x10
	v_dual_mov_b32 v242, v175 :: v_dual_mov_b32 v243, v174
	s_wait_dscnt 0xf
	v_dual_mov_b32 v244, v179 :: v_dual_mov_b32 v245, v178
	;; [unrolled: 2-line block ×4, first 2 shown]
	s_wait_loadcnt_dscnt 0x110b
	v_dual_mul_f32 v7, v192, v105 :: v_dual_mul_f32 v9, v194, v107
	v_dual_mul_f32 v55, v193, v105 :: v_dual_mul_f32 v57, v195, v107
	s_wait_loadcnt_dscnt 0x100a
	v_dual_mul_f32 v11, v196, v109 :: v_dual_mul_f32 v13, v198, v111
	s_delay_alu instid0(VALU_DEP_3) | instskip(SKIP_3) | instid1(VALU_DEP_3)
	v_dual_fmac_f32 v7, v193, v104 :: v_dual_fmac_f32 v9, v195, v106
	s_wait_loadcnt_dscnt 0xe08
	v_dual_fma_f32 v55, v192, v104, -v55 :: v_dual_mul_f32 v67, v205, v117
	v_dual_mul_f32 v59, v197, v109 :: v_dual_mul_f32 v61, v199, v111
	v_dual_fma_f32 v57, v194, v106, -v57 :: v_dual_add_f32 v7, 0, v7
	s_delay_alu instid0(VALU_DEP_3) | instskip(SKIP_1) | instid1(VALU_DEP_4)
	v_dual_add_f32 v55, 0, v55 :: v_dual_fmac_f32 v11, v197, v108
	v_dual_mul_f32 v15, v200, v113 :: v_dual_mul_f32 v17, v202, v115
	v_dual_mul_f32 v69, v207, v119 :: v_dual_fma_f32 v59, v196, v108, -v59
	s_delay_alu instid0(VALU_DEP_4) | instskip(NEXT) | instid1(VALU_DEP_3)
	v_add_f32_e32 v7, v7, v9
	v_dual_add_f32 v9, v55, v57 :: v_dual_fmac_f32 v15, v201, v112
	v_dual_mul_f32 v63, v201, v113 :: v_dual_mul_f32 v65, v203, v115
	s_wait_loadcnt_dscnt 0xd07
	v_dual_mul_f32 v55, v209, v121 :: v_dual_fmac_f32 v13, v199, v110
	v_dual_fma_f32 v57, v198, v110, -v61 :: v_dual_add_f32 v7, v7, v11
	s_delay_alu instid0(VALU_DEP_3) | instskip(SKIP_1) | instid1(VALU_DEP_3)
	v_dual_add_f32 v9, v9, v59 :: v_dual_fma_f32 v59, v200, v112, -v63
	v_dual_mul_f32 v19, v204, v117 :: v_dual_mul_f32 v21, v206, v119
	v_add_f32_e32 v7, v7, v13
	s_delay_alu instid0(VALU_DEP_3) | instskip(SKIP_2) | instid1(VALU_DEP_3)
	v_dual_mul_f32 v11, v211, v123 :: v_dual_add_f32 v9, v9, v57
	s_wait_loadcnt_dscnt 0xc06
	v_dual_mul_f32 v13, v213, v125 :: v_dual_fmac_f32 v17, v203, v114
	v_dual_fma_f32 v57, v202, v114, -v65 :: v_dual_add_f32 v7, v7, v15
	s_delay_alu instid0(VALU_DEP_3) | instskip(SKIP_1) | instid1(VALU_DEP_3)
	v_dual_add_f32 v9, v9, v59 :: v_dual_fma_f32 v59, v204, v116, -v67
	v_dual_mul_f32 v15, v215, v127 :: v_dual_fmac_f32 v19, v205, v116
	v_add_f32_e32 v7, v7, v17
	s_delay_alu instid0(VALU_DEP_3)
	v_dual_add_f32 v9, v9, v57 :: v_dual_fmac_f32 v21, v207, v118
	v_dual_mul_f32 v23, v208, v121 :: v_dual_mul_f32 v25, v210, v123
	s_wait_loadcnt_dscnt 0xb05
	v_dual_fma_f32 v57, v206, v118, -v69 :: v_dual_mul_f32 v17, v217, v129
	v_add_f32_e32 v7, v7, v19
	v_dual_add_f32 v9, v9, v59 :: v_dual_fma_f32 v55, v208, v120, -v55
	v_dual_mul_f32 v19, v219, v131 :: v_dual_fmac_f32 v23, v209, v120
	s_delay_alu instid0(VALU_DEP_3) | instskip(NEXT) | instid1(VALU_DEP_3)
	v_dual_add_f32 v7, v7, v21 :: v_dual_fma_f32 v11, v210, v122, -v11
	v_dual_add_f32 v9, v9, v57 :: v_dual_fmac_f32 v25, v211, v122
	v_dual_mul_f32 v27, v212, v125 :: v_dual_mul_f32 v29, v214, v127
	s_wait_loadcnt_dscnt 0xa04
	s_delay_alu instid0(VALU_DEP_3) | instskip(NEXT) | instid1(VALU_DEP_3)
	v_dual_mul_f32 v21, v221, v133 :: v_dual_add_f32 v7, v7, v23
	v_dual_add_f32 v9, v9, v55 :: v_dual_fma_f32 v13, v212, v124, -v13
	s_delay_alu instid0(VALU_DEP_3) | instskip(NEXT) | instid1(VALU_DEP_2)
	v_dual_mul_f32 v23, v223, v135 :: v_dual_fmac_f32 v27, v213, v124
	v_dual_add_f32 v7, v7, v25 :: v_dual_add_f32 v9, v9, v11
	v_dual_mul_f32 v31, v216, v129 :: v_dual_mul_f32 v33, v218, v131
	s_wait_loadcnt_dscnt 0x903
	v_dual_mul_f32 v11, v225, v137 :: v_dual_fmac_f32 v29, v215, v126
	s_delay_alu instid0(VALU_DEP_3) | instskip(SKIP_2) | instid1(VALU_DEP_2)
	v_dual_fma_f32 v15, v214, v126, -v15 :: v_dual_add_f32 v7, v7, v27
	v_dual_add_f32 v9, v9, v13 :: v_dual_mul_f32 v13, v227, v139
	v_dual_fmac_f32 v31, v217, v128 :: v_dual_fma_f32 v17, v216, v128, -v17
	v_dual_add_f32 v7, v7, v29 :: v_dual_add_f32 v9, v9, v15
	v_dual_mul_f32 v35, v220, v133 :: v_dual_mul_f32 v37, v222, v135
	s_wait_loadcnt_dscnt 0x802
	v_dual_mul_f32 v15, v229, v141 :: v_dual_fmac_f32 v33, v219, v130
	s_delay_alu instid0(VALU_DEP_3) | instskip(SKIP_2) | instid1(VALU_DEP_2)
	v_dual_fma_f32 v19, v218, v130, -v19 :: v_dual_add_f32 v7, v7, v31
	v_dual_add_f32 v9, v9, v17 :: v_dual_mul_f32 v17, v231, v143
	v_dual_fmac_f32 v35, v221, v132 :: v_dual_fma_f32 v21, v220, v132, -v21
	v_dual_add_f32 v7, v7, v33 :: v_dual_add_f32 v9, v9, v19
	v_dual_mul_f32 v39, v224, v137 :: v_dual_mul_f32 v41, v226, v139
	s_wait_loadcnt_dscnt 0x701
	v_dual_mul_f32 v19, v233, v145 :: v_dual_fmac_f32 v37, v223, v134
	s_delay_alu instid0(VALU_DEP_3) | instskip(SKIP_2) | instid1(VALU_DEP_3)
	v_dual_fma_f32 v23, v222, v134, -v23 :: v_dual_add_f32 v7, v7, v35
	v_dual_add_f32 v9, v9, v21 :: v_dual_mul_f32 v21, v235, v147
	v_fmac_f32_e32 v39, v225, v136
	v_dual_fma_f32 v11, v224, v136, -v11 :: v_dual_add_f32 v7, v7, v37
	s_delay_alu instid0(VALU_DEP_3)
	v_dual_add_f32 v9, v9, v23 :: v_dual_mul_f32 v43, v228, v141
	s_wait_loadcnt_dscnt 0x600
	v_dual_mul_f32 v45, v230, v143 :: v_dual_mul_f32 v23, v237, v149
	v_fmac_f32_e32 v41, v227, v138
	v_dual_fma_f32 v13, v226, v138, -v13 :: v_dual_add_f32 v7, v7, v39
	v_dual_add_f32 v9, v9, v11 :: v_dual_fma_f32 v15, v228, v140, -v15
	v_dual_mul_f32 v11, v239, v151 :: v_dual_fmac_f32 v43, v229, v140
	s_delay_alu instid0(VALU_DEP_3) | instskip(NEXT) | instid1(VALU_DEP_3)
	v_dual_add_f32 v7, v7, v41 :: v_dual_fma_f32 v17, v230, v142, -v17
	v_dual_add_f32 v9, v9, v13 :: v_dual_fmac_f32 v45, v231, v142
	v_dual_mul_f32 v47, v232, v145 :: v_dual_mul_f32 v49, v234, v147
	s_wait_loadcnt 0x5
	s_delay_alu instid0(VALU_DEP_3) | instskip(NEXT) | instid1(VALU_DEP_3)
	v_dual_mul_f32 v13, v189, v153 :: v_dual_add_f32 v7, v7, v43
	v_dual_add_f32 v9, v9, v15 :: v_dual_fma_f32 v19, v232, v144, -v19
	s_delay_alu instid0(VALU_DEP_3) | instskip(NEXT) | instid1(VALU_DEP_3)
	v_dual_mul_f32 v15, v191, v155 :: v_dual_fmac_f32 v47, v233, v144
	v_add_f32_e32 v7, v7, v45
	s_delay_alu instid0(VALU_DEP_3) | instskip(SKIP_1) | instid1(VALU_DEP_3)
	v_dual_add_f32 v9, v9, v17 :: v_dual_fmac_f32 v49, v235, v146
	v_dual_mul_f32 v51, v236, v149 :: v_dual_mul_f32 v53, v238, v151
	v_dual_fma_f32 v17, v234, v146, -v21 :: v_dual_add_f32 v7, v7, v47
	s_wait_loadcnt 0x4
	s_delay_alu instid0(VALU_DEP_3) | instskip(NEXT) | instid1(VALU_DEP_3)
	v_dual_add_f32 v9, v9, v19 :: v_dual_mov_b32 v106, v159
	v_fmac_f32_e32 v51, v237, v148
	s_delay_alu instid0(VALU_DEP_3) | instskip(NEXT) | instid1(VALU_DEP_3)
	v_dual_fma_f32 v19, v236, v148, -v23 :: v_dual_add_f32 v7, v7, v49
	v_dual_add_f32 v9, v9, v17 :: v_dual_fmac_f32 v53, v239, v150
	v_dual_mul_f32 v251, v188, v153 :: v_dual_mul_f32 v253, v190, v155
	s_delay_alu instid0(VALU_DEP_3) | instskip(SKIP_1) | instid1(VALU_DEP_3)
	v_dual_fma_f32 v11, v238, v150, -v11 :: v_dual_add_f32 v7, v7, v51
	s_wait_loadcnt 0x3
	v_dual_add_f32 v9, v9, v19 :: v_dual_mov_b32 v110, v163
	v_pk_mul_f32 v[104:105], v[172:173], v[156:157] op_sel:[1,1] op_sel_hi:[0,1]
	v_dual_fmac_f32 v251, v189, v152 :: v_dual_fma_f32 v250, v188, v152, -v13
	s_delay_alu instid0(VALU_DEP_3) | instskip(SKIP_1) | instid1(VALU_DEP_4)
	v_dual_add_f32 v113, v7, v53 :: v_dual_add_f32 v112, v9, v11
	v_dual_fmac_f32 v253, v191, v154 :: v_dual_fma_f32 v252, v190, v154, -v15
	v_pk_fma_f32 v[114:115], v[172:173], v[156:157], v[104:105] op_sel_hi:[1,0,1]
	v_pk_mul_f32 v[106:107], v[242:243], v[106:107] op_sel_hi:[1,0]
	s_delay_alu instid0(VALU_DEP_4)
	v_pk_add_f32 v[112:113], v[112:113], v[250:251]
	v_pk_fma_f32 v[104:105], v[172:173], v[156:157], v[104:105] neg_lo:[0,0,1] neg_hi:[0,0,1]
	v_pk_mul_f32 v[108:109], v[176:177], v[160:161] op_sel:[1,1] op_sel_hi:[0,1]
	v_mov_b32_e32 v105, v115
	v_pk_fma_f32 v[114:115], v[174:175], v[158:159], v[106:107] op_sel_hi:[1,0,1]
	v_pk_add_f32 v[112:113], v[112:113], v[252:253]
	v_pk_fma_f32 v[106:107], v[174:175], v[158:159], v[106:107] neg_lo:[0,0,1] neg_hi:[0,0,1]
	v_pk_fma_f32 v[118:119], v[176:177], v[160:161], v[108:109] op_sel_hi:[1,0,1]
	v_pk_mul_f32 v[110:111], v[244:245], v[110:111] op_sel_hi:[1,0]
	v_mov_b32_e32 v107, v115
	v_pk_add_f32 v[104:105], v[112:113], v[104:105]
	s_wait_loadcnt 0x2
	v_pk_mul_f32 v[116:117], v[180:181], v[164:165] op_sel:[1,1] op_sel_hi:[0,1]
	v_mov_b32_e32 v112, v167
	v_pk_fma_f32 v[108:109], v[176:177], v[160:161], v[108:109] neg_lo:[0,0,1] neg_hi:[0,0,1]
	v_mov_b32_e32 v109, v119
	v_pk_fma_f32 v[114:115], v[178:179], v[162:163], v[110:111] op_sel_hi:[1,0,1]
	v_pk_add_f32 v[104:105], v[104:105], v[106:107]
	v_pk_fma_f32 v[106:107], v[180:181], v[164:165], v[116:117] op_sel_hi:[1,0,1]
	v_pk_mul_f32 v[112:113], v[246:247], v[112:113] op_sel_hi:[1,0]
	v_pk_fma_f32 v[110:111], v[178:179], v[162:163], v[110:111] neg_lo:[0,0,1] neg_hi:[0,0,1]
	v_mov_b32_e32 v111, v115
	v_pk_add_f32 v[104:105], v[104:105], v[108:109]
	v_pk_fma_f32 v[114:115], v[180:181], v[164:165], v[116:117] neg_lo:[0,0,1] neg_hi:[0,0,1]
	v_mov_b32_e32 v115, v107
	v_pk_fma_f32 v[106:107], v[182:183], v[166:167], v[112:113] op_sel_hi:[1,0,1]
	s_wait_loadcnt 0x1
	v_pk_mul_f32 v[108:109], v[184:185], v[168:169] op_sel:[1,1] op_sel_hi:[0,1]
	v_pk_add_f32 v[104:105], v[104:105], v[110:111]
	v_mov_b32_e32 v106, v171
	v_pk_fma_f32 v[112:113], v[182:183], v[166:167], v[112:113] neg_lo:[0,0,1] neg_hi:[0,0,1]
	v_mov_b32_e32 v113, v107
	v_pk_fma_f32 v[110:111], v[184:185], v[168:169], v[108:109] op_sel_hi:[1,0,1]
	v_pk_add_f32 v[104:105], v[104:105], v[114:115]
	v_pk_mul_f32 v[106:107], v[248:249], v[106:107] op_sel_hi:[1,0]
	v_pk_fma_f32 v[108:109], v[184:185], v[168:169], v[108:109] neg_lo:[0,0,1] neg_hi:[0,0,1]
	s_delay_alu instid0(VALU_DEP_4) | instskip(NEXT) | instid1(VALU_DEP_4)
	v_mov_b32_e32 v109, v111
	v_pk_add_f32 v[104:105], v[104:105], v[112:113]
	s_delay_alu instid0(VALU_DEP_4) | instskip(SKIP_1) | instid1(VALU_DEP_2)
	v_pk_fma_f32 v[110:111], v[186:187], v[170:171], v[106:107] op_sel_hi:[1,0,1]
	v_pk_fma_f32 v[106:107], v[186:187], v[170:171], v[106:107] neg_lo:[0,0,1] neg_hi:[0,0,1]
	v_mov_b32_e32 v107, v111
	s_delay_alu instid0(VALU_DEP_4) | instskip(NEXT) | instid1(VALU_DEP_1)
	v_pk_add_f32 v[104:105], v[104:105], v[108:109]
	v_pk_add_f32 v[104:105], v[104:105], v[106:107]
	s_wait_loadcnt 0x0
	s_delay_alu instid0(VALU_DEP_1)
	v_pk_add_f32 v[104:105], v[240:241], v[104:105] neg_lo:[0,1] neg_hi:[0,1]
	scratch_store_b64 off, v[104:105], off offset:128
	s_wait_xcnt 0x0
	v_cmpx_lt_u32_e32 15, v0
	s_cbranch_execz .LBB114_289
; %bb.288:
	scratch_load_b64 v[104:105], off, off offset:120
	v_mov_b64_e32 v[106:107], 0
	scratch_store_b64 off, v[106:107], off offset:120
	s_wait_loadcnt 0x0
	ds_store_b64 v1, v[104:105]
.LBB114_289:
	s_wait_xcnt 0x0
	s_or_b32 exec_lo, exec_lo, s0
	s_wait_storecnt_dscnt 0x0
	s_barrier_signal -1
	s_barrier_wait -1
	s_clause 0x12
	scratch_load_b128 v[104:107], off, off offset:128
	scratch_load_b128 v[108:111], off, off offset:144
	;; [unrolled: 1-line block ×17, first 2 shown]
	scratch_load_b64 v[240:241], off, off offset:400
	scratch_load_b64 v[242:243], off, off offset:120
	v_mov_b32_e32 v7, 0
	ds_load_b128 v[172:175], v7 offset:752
	ds_load_b128 v[176:179], v7 offset:768
	;; [unrolled: 1-line block ×17, first 2 shown]
	ds_load_b64 v[244:245], v7 offset:816
	s_mov_b32 s0, exec_lo
	s_wait_dscnt 0x11
	v_dual_mov_b32 v246, v175 :: v_dual_mov_b32 v247, v174
	s_wait_dscnt 0x10
	v_dual_mov_b32 v248, v179 :: v_dual_mov_b32 v249, v178
	s_wait_dscnt 0xd
	v_dual_mov_b32 v250, v183 :: v_dual_mov_b32 v253, v190
	v_dual_mov_b32 v251, v182 :: v_dual_mov_b32 v252, v191
	s_wait_loadcnt_dscnt 0x120c
	v_dual_mul_f32 v9, v192, v105 :: v_dual_mul_f32 v11, v194, v107
	s_wait_loadcnt_dscnt 0x110b
	v_dual_mul_f32 v13, v196, v109 :: v_dual_mul_f32 v61, v195, v107
	;; [unrolled: 2-line block ×3, first 2 shown]
	v_dual_mul_f32 v15, v198, v111 :: v_dual_mul_f32 v17, v200, v113
	v_dual_mul_f32 v59, v193, v105 :: v_dual_fmac_f32 v9, v193, v104
	v_dual_fma_f32 v61, v194, v106, -v61 :: v_dual_mul_f32 v65, v199, v111
	s_wait_loadcnt 0x6
	v_dual_mul_f32 v67, v201, v113 :: v_dual_mul_f32 v255, v186, v155
	s_delay_alu instid0(VALU_DEP_3) | instskip(SKIP_3) | instid1(VALU_DEP_3)
	v_fma_f32 v59, v192, v104, -v59
	v_dual_fmac_f32 v11, v195, v106 :: v_dual_add_f32 v9, 0, v9
	v_dual_fmac_f32 v13, v197, v108 :: v_dual_fma_f32 v63, v196, v108, -v63
	s_wait_dscnt 0x8
	v_dual_add_f32 v59, 0, v59 :: v_dual_mul_f32 v75, v209, v121
	s_delay_alu instid0(VALU_DEP_3) | instskip(SKIP_1) | instid1(VALU_DEP_3)
	v_add_f32_e32 v9, v9, v11
	v_dual_mul_f32 v19, v202, v115 :: v_dual_mul_f32 v21, v204, v117
	v_add_f32_e32 v11, v59, v61
	v_dual_mul_f32 v59, v211, v123 :: v_dual_fma_f32 v61, v198, v110, -v65
	s_delay_alu instid0(VALU_DEP_4) | instskip(SKIP_1) | instid1(VALU_DEP_3)
	v_dual_fmac_f32 v15, v199, v110 :: v_dual_add_f32 v9, v9, v13
	s_wait_dscnt 0x7
	v_dual_add_f32 v11, v11, v63 :: v_dual_mul_f32 v13, v213, v125
	v_dual_mul_f32 v69, v203, v115 :: v_dual_mul_f32 v71, v205, v117
	v_dual_fmac_f32 v17, v201, v112 :: v_dual_fma_f32 v63, v200, v112, -v67
	s_delay_alu instid0(VALU_DEP_3) | instskip(NEXT) | instid1(VALU_DEP_3)
	v_dual_add_f32 v9, v9, v15 :: v_dual_add_f32 v11, v11, v61
	v_dual_mul_f32 v15, v215, v127 :: v_dual_fma_f32 v61, v202, v114, -v69
	s_delay_alu instid0(VALU_DEP_2) | instskip(SKIP_1) | instid1(VALU_DEP_3)
	v_dual_fmac_f32 v19, v203, v114 :: v_dual_add_f32 v9, v9, v17
	s_wait_dscnt 0x6
	v_dual_add_f32 v11, v11, v63 :: v_dual_mul_f32 v17, v217, v129
	v_dual_mul_f32 v23, v206, v119 :: v_dual_mul_f32 v25, v208, v121
	v_dual_fmac_f32 v21, v205, v116 :: v_dual_fma_f32 v63, v204, v116, -v71
	s_delay_alu instid0(VALU_DEP_3) | instskip(SKIP_1) | instid1(VALU_DEP_2)
	v_dual_add_f32 v9, v9, v19 :: v_dual_add_f32 v11, v11, v61
	v_dual_mul_f32 v19, v219, v131 :: v_dual_fma_f32 v61, v206, v118, -v73
	v_dual_fmac_f32 v23, v207, v118 :: v_dual_add_f32 v9, v9, v21
	s_wait_dscnt 0x5
	s_delay_alu instid0(VALU_DEP_3) | instskip(SKIP_2) | instid1(VALU_DEP_3)
	v_dual_add_f32 v11, v11, v63 :: v_dual_mul_f32 v21, v221, v133
	v_dual_mul_f32 v27, v210, v123 :: v_dual_mul_f32 v29, v212, v125
	v_dual_fmac_f32 v25, v209, v120 :: v_dual_fma_f32 v63, v208, v120, -v75
	v_dual_add_f32 v9, v9, v23 :: v_dual_add_f32 v11, v11, v61
	v_dual_mul_f32 v23, v223, v135 :: v_dual_fma_f32 v59, v210, v122, -v59
	s_delay_alu instid0(VALU_DEP_2) | instskip(SKIP_1) | instid1(VALU_DEP_3)
	v_dual_fmac_f32 v27, v211, v122 :: v_dual_add_f32 v9, v9, v25
	s_wait_dscnt 0x4
	v_dual_add_f32 v11, v11, v63 :: v_dual_mul_f32 v25, v225, v137
	v_dual_mul_f32 v31, v214, v127 :: v_dual_mul_f32 v33, v216, v129
	s_delay_alu instid0(VALU_DEP_2) | instskip(SKIP_2) | instid1(VALU_DEP_4)
	v_dual_fmac_f32 v29, v213, v124 :: v_dual_add_f32 v11, v11, v59
	v_dual_fma_f32 v13, v212, v124, -v13 :: v_dual_add_f32 v9, v9, v27
	v_dual_mul_f32 v27, v227, v139 :: v_dual_fma_f32 v15, v214, v126, -v15
	v_fmac_f32_e32 v31, v215, v126
	s_delay_alu instid0(VALU_DEP_3) | instskip(NEXT) | instid1(VALU_DEP_4)
	v_dual_add_f32 v11, v11, v13 :: v_dual_fmac_f32 v33, v217, v128
	v_dual_add_f32 v9, v9, v29 :: v_dual_mul_f32 v35, v218, v131
	v_mul_f32_e32 v37, v220, v133
	s_wait_dscnt 0x3
	v_dual_mul_f32 v13, v229, v141 :: v_dual_fma_f32 v17, v216, v128, -v17
	s_delay_alu instid0(VALU_DEP_3) | instskip(SKIP_1) | instid1(VALU_DEP_2)
	v_dual_add_f32 v9, v9, v31 :: v_dual_fmac_f32 v35, v219, v130
	v_dual_add_f32 v11, v11, v15 :: v_dual_fma_f32 v19, v218, v130, -v19
	v_dual_mul_f32 v15, v231, v143 :: v_dual_add_f32 v9, v9, v33
	v_dual_mul_f32 v39, v222, v135 :: v_dual_mul_f32 v41, v224, v137
	s_delay_alu instid0(VALU_DEP_3) | instskip(SKIP_2) | instid1(VALU_DEP_3)
	v_dual_add_f32 v11, v11, v17 :: v_dual_fmac_f32 v37, v221, v132
	s_wait_dscnt 0x2
	v_dual_mul_f32 v17, v233, v145 :: v_dual_fma_f32 v21, v220, v132, -v21
	v_dual_add_f32 v9, v9, v35 :: v_dual_fmac_f32 v39, v223, v134
	s_delay_alu instid0(VALU_DEP_3) | instskip(NEXT) | instid1(VALU_DEP_2)
	v_dual_add_f32 v11, v11, v19 :: v_dual_fma_f32 v23, v222, v134, -v23
	v_dual_mul_f32 v19, v235, v147 :: v_dual_add_f32 v9, v9, v37
	v_dual_mul_f32 v43, v226, v139 :: v_dual_mul_f32 v45, v228, v141
	s_delay_alu instid0(VALU_DEP_3) | instskip(SKIP_2) | instid1(VALU_DEP_3)
	v_dual_add_f32 v11, v11, v21 :: v_dual_fmac_f32 v41, v225, v136
	s_wait_dscnt 0x1
	v_dual_mul_f32 v21, v237, v149 :: v_dual_fma_f32 v25, v224, v136, -v25
	v_dual_add_f32 v9, v9, v39 :: v_dual_fmac_f32 v43, v227, v138
	s_delay_alu instid0(VALU_DEP_3) | instskip(NEXT) | instid1(VALU_DEP_2)
	v_dual_add_f32 v11, v11, v23 :: v_dual_fma_f32 v27, v226, v138, -v27
	v_dual_mul_f32 v23, v239, v151 :: v_dual_add_f32 v9, v9, v41
	v_dual_mul_f32 v47, v230, v143 :: v_dual_mul_f32 v49, v232, v145
	s_delay_alu instid0(VALU_DEP_3) | instskip(SKIP_1) | instid1(VALU_DEP_3)
	v_dual_add_f32 v11, v11, v25 :: v_dual_fmac_f32 v45, v229, v140
	v_dual_mul_f32 v25, v185, v153 :: v_dual_fma_f32 v13, v228, v140, -v13
	v_dual_add_f32 v9, v9, v43 :: v_dual_fmac_f32 v47, v231, v142
	s_delay_alu instid0(VALU_DEP_3) | instskip(NEXT) | instid1(VALU_DEP_2)
	v_dual_add_f32 v11, v11, v27 :: v_dual_fma_f32 v15, v230, v142, -v15
	v_dual_mul_f32 v27, v187, v155 :: v_dual_add_f32 v9, v9, v45
	v_dual_mul_f32 v51, v234, v147 :: v_dual_mul_f32 v53, v236, v149
	s_delay_alu instid0(VALU_DEP_3) | instskip(SKIP_3) | instid1(VALU_DEP_3)
	v_dual_add_f32 v11, v11, v13 :: v_dual_fmac_f32 v49, v233, v144
	s_wait_loadcnt 0x5
	v_dual_mul_f32 v13, v173, v157 :: v_dual_fma_f32 v17, v232, v144, -v17
	v_dual_add_f32 v9, v9, v47 :: v_dual_mov_b32 v104, v159
	v_dual_add_f32 v11, v11, v15 :: v_dual_fma_f32 v15, v234, v146, -v19
	s_delay_alu instid0(VALU_DEP_2) | instskip(SKIP_1) | instid1(VALU_DEP_3)
	v_dual_fmac_f32 v51, v235, v146 :: v_dual_add_f32 v9, v9, v49
	v_dual_mul_f32 v55, v238, v151 :: v_dual_mul_f32 v57, v184, v153
	v_dual_add_f32 v11, v11, v17 :: v_dual_fmac_f32 v53, v237, v148
	s_delay_alu instid0(VALU_DEP_3) | instskip(SKIP_2) | instid1(VALU_DEP_3)
	v_dual_fma_f32 v17, v236, v148, -v21 :: v_dual_add_f32 v9, v9, v51
	s_wait_loadcnt 0x4
	v_mov_b32_e32 v108, v163
	v_dual_add_f32 v11, v11, v15 :: v_dual_fma_f32 v15, v238, v150, -v23
	v_dual_fmac_f32 v55, v239, v150 :: v_dual_fmac_f32 v57, v185, v152
	v_add_f32_e32 v9, v9, v53
	s_delay_alu instid0(VALU_DEP_3)
	v_dual_add_f32 v11, v11, v17 :: v_dual_fma_f32 v17, v184, v152, -v25
	v_pk_mul_f32 v[104:105], v[246:247], v[104:105] op_sel_hi:[1,0]
	s_set_vgpr_msb 64                       ;  msbs: dst=1 src0=0 src1=0 src2=0
	v_dual_mul_f32 v1 /*v257*/, v172, v157 :: v_dual_fma_f32 v0 /*v256*/, v172, v156, -v13
	s_set_vgpr_msb 0                        ;  msbs: dst=0 src0=0 src1=0 src2=0
	v_dual_add_f32 v9, v9, v55 :: v_dual_fmac_f32 v255, v187, v154
	v_dual_add_f32 v11, v11, v15 :: v_dual_fma_f32 v254, v186, v154, -v27
	v_pk_fma_f32 v[116:117], v[174:175], v[158:159], v[104:105] op_sel_hi:[1,0,1]
	s_wait_loadcnt 0x3
	s_delay_alu instid0(VALU_DEP_3) | instskip(NEXT) | instid1(VALU_DEP_3)
	v_dual_add_f32 v113, v9, v57 :: v_dual_mov_b32 v114, v167
	v_add_f32_e32 v112, v11, v17
	v_pk_fma_f32 v[104:105], v[174:175], v[158:159], v[104:105] neg_lo:[0,0,1] neg_hi:[0,0,1]
	v_pk_mul_f32 v[106:107], v[176:177], v[160:161] op_sel:[1,1] op_sel_hi:[0,1]
	s_set_vgpr_msb 64                       ;  msbs: dst=1 src0=0 src1=0 src2=0
	v_fmac_f32_e32 v1 /*v257*/, v173, v156
	s_set_vgpr_msb 0                        ;  msbs: dst=0 src0=0 src1=0 src2=0
	v_mov_b32_e32 v105, v117
	v_pk_add_f32 v[112:113], v[112:113], v[254:255]
	v_pk_mul_f32 v[108:109], v[248:249], v[108:109] op_sel_hi:[1,0]
	v_pk_fma_f32 v[118:119], v[176:177], v[160:161], v[106:107] op_sel_hi:[1,0,1]
	v_pk_fma_f32 v[106:107], v[176:177], v[160:161], v[106:107] neg_lo:[0,0,1] neg_hi:[0,0,1]
	v_pk_mul_f32 v[110:111], v[180:181], v[164:165] op_sel:[1,1] op_sel_hi:[0,1]
	s_set_vgpr_msb 4                        ;  msbs: dst=0 src0=0 src1=1 src2=0
	v_pk_add_f32 v[112:113], v[112:113], v[0:1] /*v[256:257]*/
	s_set_vgpr_msb 0                        ;  msbs: dst=0 src0=0 src1=0 src2=0
	v_pk_mul_f32 v[114:115], v[250:251], v[114:115] op_sel_hi:[1,0]
	v_mov_b32_e32 v107, v119
	v_pk_fma_f32 v[118:119], v[178:179], v[162:163], v[108:109] op_sel_hi:[1,0,1]
	v_pk_fma_f32 v[108:109], v[178:179], v[162:163], v[108:109] neg_lo:[0,0,1] neg_hi:[0,0,1]
	v_pk_add_f32 v[104:105], v[112:113], v[104:105]
	v_pk_fma_f32 v[112:113], v[180:181], v[164:165], v[110:111] op_sel_hi:[1,0,1]
	v_pk_fma_f32 v[110:111], v[180:181], v[164:165], v[110:111] neg_lo:[0,0,1] neg_hi:[0,0,1]
	v_mov_b32_e32 v109, v119
	s_wait_loadcnt 0x2
	v_pk_mul_f32 v[116:117], v[188:189], v[168:169] op_sel:[1,1] op_sel_hi:[0,1]
	v_pk_add_f32 v[104:105], v[104:105], v[106:107]
	v_dual_mov_b32 v106, v171 :: v_dual_mov_b32 v111, v113
	v_pk_fma_f32 v[112:113], v[182:183], v[166:167], v[114:115] op_sel_hi:[1,0,1]
	v_pk_fma_f32 v[114:115], v[182:183], v[166:167], v[114:115] neg_lo:[0,0,1] neg_hi:[0,0,1]
	s_delay_alu instid0(VALU_DEP_4)
	v_pk_add_f32 v[104:105], v[104:105], v[108:109]
	v_pk_fma_f32 v[108:109], v[188:189], v[168:169], v[116:117] op_sel_hi:[1,0,1]
	v_pk_mul_f32 v[106:107], v[252:253], v[106:107] op_sel_hi:[1,0]
	v_mov_b32_e32 v115, v113
	s_wait_loadcnt_dscnt 0x100
	v_pk_mul_f32 v[112:113], v[244:245], v[240:241] op_sel:[1,1] op_sel_hi:[0,1]
	v_pk_add_f32 v[104:105], v[104:105], v[110:111]
	v_pk_fma_f32 v[110:111], v[188:189], v[168:169], v[116:117] neg_lo:[0,0,1] neg_hi:[0,0,1]
	v_mov_b32_e32 v111, v109
	v_pk_fma_f32 v[108:109], v[190:191], v[170:171], v[106:107] op_sel_hi:[1,0,1]
	v_pk_fma_f32 v[106:107], v[190:191], v[170:171], v[106:107] neg_lo:[0,0,1] neg_hi:[0,0,1]
	v_pk_add_f32 v[104:105], v[104:105], v[114:115]
	s_delay_alu instid0(VALU_DEP_3) | instskip(SKIP_1) | instid1(VALU_DEP_3)
	v_mov_b32_e32 v107, v109
	v_pk_fma_f32 v[108:109], v[244:245], v[240:241], v[112:113] op_sel_hi:[1,0,1]
	v_pk_add_f32 v[104:105], v[104:105], v[110:111]
	v_pk_fma_f32 v[110:111], v[244:245], v[240:241], v[112:113] neg_lo:[0,0,1] neg_hi:[0,0,1]
	s_delay_alu instid0(VALU_DEP_3) | instskip(NEXT) | instid1(VALU_DEP_3)
	v_mov_b32_e32 v111, v109
	v_pk_add_f32 v[104:105], v[104:105], v[106:107]
	s_delay_alu instid0(VALU_DEP_1) | instskip(SKIP_1) | instid1(VALU_DEP_1)
	v_pk_add_f32 v[104:105], v[104:105], v[110:111]
	s_wait_loadcnt 0x0
	v_pk_add_f32 v[104:105], v[242:243], v[104:105] neg_lo:[0,1] neg_hi:[0,1]
	scratch_store_b64 off, v[104:105], off offset:120
	s_wait_xcnt 0x0
	v_cmpx_lt_u32_e32 14, v0
	s_cbranch_execz .LBB114_291
; %bb.290:
	scratch_load_b64 v[104:105], off, off offset:112
	v_mov_b64_e32 v[106:107], 0
	scratch_store_b64 off, v[106:107], off offset:112
	s_wait_loadcnt 0x0
	ds_store_b64 v1, v[104:105]
.LBB114_291:
	s_wait_xcnt 0x0
	s_or_b32 exec_lo, exec_lo, s0
	s_wait_storecnt_dscnt 0x0
	s_barrier_signal -1
	s_barrier_wait -1
	s_clause 0x12
	scratch_load_b128 v[104:107], off, off offset:120
	scratch_load_b128 v[108:111], off, off offset:136
	;; [unrolled: 1-line block ×18, first 2 shown]
	scratch_load_b64 v[248:249], off, off offset:112
	ds_load_2addr_b64 v[176:179], v7 offset0:95 offset1:96
	ds_load_2addr_b64 v[180:183], v7 offset0:97 offset1:98
	;; [unrolled: 1-line block ×18, first 2 shown]
	s_mov_b32 s0, exec_lo
	s_wait_dscnt 0x11
	v_dual_mov_b32 v250, v179 :: v_dual_mov_b32 v251, v178
	s_wait_dscnt 0x10
	v_dual_mov_b32 v252, v183 :: v_dual_mov_b32 v253, v182
	;; [unrolled: 2-line block ×3, first 2 shown]
	s_wait_dscnt 0xe
	s_set_vgpr_msb 64                       ;  msbs: dst=1 src0=0 src1=0 src2=0
	v_dual_mov_b32 v0 /*v256*/, v191 :: v_dual_mov_b32 v1 /*v257*/, v190
	s_wait_loadcnt_dscnt 0x120d
	s_set_vgpr_msb 0                        ;  msbs: dst=0 src0=0 src1=0 src2=0
	v_dual_mul_f32 v7, v192, v105 :: v_dual_mul_f32 v9, v194, v107
	v_dual_mul_f32 v59, v193, v105 :: v_dual_mul_f32 v61, v195, v107
	s_wait_loadcnt_dscnt 0x110c
	v_dual_mul_f32 v11, v196, v109 :: v_dual_mul_f32 v13, v198, v111
	s_delay_alu instid0(VALU_DEP_3) | instskip(SKIP_3) | instid1(VALU_DEP_3)
	v_dual_fmac_f32 v7, v193, v104 :: v_dual_fmac_f32 v9, v195, v106
	s_wait_loadcnt_dscnt 0xf0a
	v_dual_fma_f32 v59, v192, v104, -v59 :: v_dual_mul_f32 v71, v205, v117
	v_dual_mul_f32 v63, v197, v109 :: v_dual_mul_f32 v65, v199, v111
	v_dual_fma_f32 v61, v194, v106, -v61 :: v_dual_add_f32 v7, 0, v7
	s_delay_alu instid0(VALU_DEP_3) | instskip(SKIP_1) | instid1(VALU_DEP_4)
	v_dual_add_f32 v59, 0, v59 :: v_dual_fmac_f32 v11, v197, v108
	v_dual_mul_f32 v15, v200, v113 :: v_dual_mul_f32 v17, v202, v115
	v_dual_mul_f32 v73, v207, v119 :: v_dual_fma_f32 v63, v196, v108, -v63
	s_delay_alu instid0(VALU_DEP_4) | instskip(NEXT) | instid1(VALU_DEP_3)
	v_add_f32_e32 v7, v7, v9
	v_dual_add_f32 v9, v59, v61 :: v_dual_fmac_f32 v15, v201, v112
	v_dual_mul_f32 v67, v201, v113 :: v_dual_mul_f32 v69, v203, v115
	s_wait_loadcnt_dscnt 0xe09
	v_dual_mul_f32 v59, v209, v121 :: v_dual_fmac_f32 v13, v199, v110
	v_dual_fma_f32 v61, v198, v110, -v65 :: v_dual_add_f32 v7, v7, v11
	s_delay_alu instid0(VALU_DEP_3) | instskip(SKIP_1) | instid1(VALU_DEP_3)
	v_dual_add_f32 v9, v9, v63 :: v_dual_fma_f32 v63, v200, v112, -v67
	v_dual_mul_f32 v19, v204, v117 :: v_dual_mul_f32 v21, v206, v119
	v_add_f32_e32 v7, v7, v13
	s_delay_alu instid0(VALU_DEP_3) | instskip(SKIP_2) | instid1(VALU_DEP_3)
	v_dual_mul_f32 v11, v211, v123 :: v_dual_add_f32 v9, v9, v61
	s_wait_loadcnt_dscnt 0xd08
	v_dual_mul_f32 v13, v213, v125 :: v_dual_fmac_f32 v17, v203, v114
	v_dual_fma_f32 v61, v202, v114, -v69 :: v_dual_add_f32 v7, v7, v15
	s_delay_alu instid0(VALU_DEP_3) | instskip(SKIP_1) | instid1(VALU_DEP_3)
	v_dual_add_f32 v9, v9, v63 :: v_dual_fma_f32 v63, v204, v116, -v71
	v_dual_mul_f32 v15, v215, v127 :: v_dual_fmac_f32 v19, v205, v116
	v_add_f32_e32 v7, v7, v17
	s_delay_alu instid0(VALU_DEP_3)
	v_dual_add_f32 v9, v9, v61 :: v_dual_fmac_f32 v21, v207, v118
	v_dual_mul_f32 v23, v208, v121 :: v_dual_mul_f32 v25, v210, v123
	s_wait_loadcnt_dscnt 0xc07
	v_dual_fma_f32 v61, v206, v118, -v73 :: v_dual_mul_f32 v17, v217, v129
	v_add_f32_e32 v7, v7, v19
	v_dual_add_f32 v9, v9, v63 :: v_dual_fma_f32 v59, v208, v120, -v59
	v_dual_mul_f32 v19, v219, v131 :: v_dual_fmac_f32 v23, v209, v120
	s_delay_alu instid0(VALU_DEP_3) | instskip(NEXT) | instid1(VALU_DEP_3)
	v_dual_add_f32 v7, v7, v21 :: v_dual_fma_f32 v11, v210, v122, -v11
	v_dual_add_f32 v9, v9, v61 :: v_dual_fmac_f32 v25, v211, v122
	v_dual_mul_f32 v27, v212, v125 :: v_dual_mul_f32 v29, v214, v127
	s_wait_loadcnt_dscnt 0xb06
	s_delay_alu instid0(VALU_DEP_3) | instskip(NEXT) | instid1(VALU_DEP_3)
	v_dual_mul_f32 v21, v221, v133 :: v_dual_add_f32 v7, v7, v23
	v_dual_add_f32 v9, v9, v59 :: v_dual_fma_f32 v13, v212, v124, -v13
	s_delay_alu instid0(VALU_DEP_3) | instskip(NEXT) | instid1(VALU_DEP_2)
	v_dual_mul_f32 v23, v223, v135 :: v_dual_fmac_f32 v27, v213, v124
	v_dual_add_f32 v7, v7, v25 :: v_dual_add_f32 v9, v9, v11
	v_dual_mul_f32 v31, v216, v129 :: v_dual_mul_f32 v33, v218, v131
	s_wait_loadcnt_dscnt 0xa05
	v_dual_mul_f32 v11, v225, v137 :: v_dual_fmac_f32 v29, v215, v126
	s_delay_alu instid0(VALU_DEP_3) | instskip(SKIP_2) | instid1(VALU_DEP_2)
	v_dual_fma_f32 v15, v214, v126, -v15 :: v_dual_add_f32 v7, v7, v27
	v_dual_add_f32 v9, v9, v13 :: v_dual_mul_f32 v13, v227, v139
	v_dual_fmac_f32 v31, v217, v128 :: v_dual_fma_f32 v17, v216, v128, -v17
	v_dual_add_f32 v7, v7, v29 :: v_dual_add_f32 v9, v9, v15
	v_dual_mul_f32 v35, v220, v133 :: v_dual_mul_f32 v37, v222, v135
	s_wait_loadcnt_dscnt 0x904
	v_dual_mul_f32 v15, v229, v141 :: v_dual_fmac_f32 v33, v219, v130
	s_delay_alu instid0(VALU_DEP_3) | instskip(SKIP_2) | instid1(VALU_DEP_2)
	v_dual_fma_f32 v19, v218, v130, -v19 :: v_dual_add_f32 v7, v7, v31
	v_dual_add_f32 v9, v9, v17 :: v_dual_mul_f32 v17, v231, v143
	v_dual_fmac_f32 v35, v221, v132 :: v_dual_fma_f32 v21, v220, v132, -v21
	v_dual_add_f32 v7, v7, v33 :: v_dual_add_f32 v9, v9, v19
	v_dual_mul_f32 v39, v224, v137 :: v_dual_mul_f32 v41, v226, v139
	s_wait_loadcnt_dscnt 0x803
	v_dual_mul_f32 v19, v233, v145 :: v_dual_fmac_f32 v37, v223, v134
	s_delay_alu instid0(VALU_DEP_3) | instskip(SKIP_2) | instid1(VALU_DEP_3)
	v_dual_fma_f32 v23, v222, v134, -v23 :: v_dual_add_f32 v7, v7, v35
	v_dual_add_f32 v9, v9, v21 :: v_dual_mul_f32 v21, v235, v147
	v_fmac_f32_e32 v39, v225, v136
	v_dual_fma_f32 v11, v224, v136, -v11 :: v_dual_add_f32 v7, v7, v37
	s_delay_alu instid0(VALU_DEP_3)
	v_dual_add_f32 v9, v9, v23 :: v_dual_mul_f32 v43, v228, v141
	s_wait_loadcnt_dscnt 0x702
	v_dual_mul_f32 v45, v230, v143 :: v_dual_mul_f32 v23, v237, v149
	v_fmac_f32_e32 v41, v227, v138
	v_dual_fma_f32 v13, v226, v138, -v13 :: v_dual_add_f32 v7, v7, v39
	v_dual_add_f32 v9, v9, v11 :: v_dual_fma_f32 v15, v228, v140, -v15
	v_dual_mul_f32 v11, v239, v151 :: v_dual_fmac_f32 v43, v229, v140
	s_delay_alu instid0(VALU_DEP_3) | instskip(NEXT) | instid1(VALU_DEP_3)
	v_dual_add_f32 v7, v7, v41 :: v_dual_fma_f32 v17, v230, v142, -v17
	v_dual_add_f32 v9, v9, v13 :: v_dual_fmac_f32 v45, v231, v142
	v_dual_mul_f32 v47, v232, v145 :: v_dual_mul_f32 v49, v234, v147
	s_wait_loadcnt_dscnt 0x601
	s_delay_alu instid0(VALU_DEP_3) | instskip(NEXT) | instid1(VALU_DEP_3)
	v_dual_mul_f32 v13, v241, v153 :: v_dual_add_f32 v7, v7, v43
	v_dual_add_f32 v9, v9, v15 :: v_dual_fma_f32 v19, v232, v144, -v19
	s_delay_alu instid0(VALU_DEP_3) | instskip(NEXT) | instid1(VALU_DEP_3)
	v_dual_mul_f32 v15, v243, v155 :: v_dual_fmac_f32 v47, v233, v144
	v_dual_add_f32 v7, v7, v45 :: v_dual_fma_f32 v21, v234, v146, -v21
	s_delay_alu instid0(VALU_DEP_3) | instskip(SKIP_2) | instid1(VALU_DEP_3)
	v_dual_add_f32 v9, v9, v17 :: v_dual_fmac_f32 v49, v235, v146
	v_dual_mul_f32 v51, v236, v149 :: v_dual_mul_f32 v53, v238, v151
	s_wait_loadcnt_dscnt 0x500
	v_dual_mul_f32 v17, v245, v157 :: v_dual_add_f32 v7, v7, v47
	s_delay_alu instid0(VALU_DEP_3) | instskip(NEXT) | instid1(VALU_DEP_3)
	v_dual_add_f32 v9, v9, v19 :: v_dual_fma_f32 v23, v236, v148, -v23
	v_dual_mul_f32 v19, v247, v159 :: v_dual_fmac_f32 v51, v237, v148
	s_delay_alu instid0(VALU_DEP_3) | instskip(NEXT) | instid1(VALU_DEP_3)
	v_dual_add_f32 v7, v7, v49 :: v_dual_fma_f32 v11, v238, v150, -v11
	v_dual_add_f32 v9, v9, v21 :: v_dual_fmac_f32 v53, v239, v150
	v_dual_mul_f32 v55, v240, v153 :: v_dual_mul_f32 v57, v242, v155
	s_delay_alu instid0(VALU_DEP_3) | instskip(SKIP_1) | instid1(VALU_DEP_3)
	v_add_f32_e32 v7, v7, v51
	s_wait_loadcnt 0x4
	v_dual_add_f32 v9, v9, v23 :: v_dual_mov_b32 v106, v163
	s_delay_alu instid0(VALU_DEP_3) | instskip(NEXT) | instid1(VALU_DEP_2)
	v_dual_fmac_f32 v55, v241, v152 :: v_dual_fma_f32 v13, v240, v152, -v13
	v_dual_add_f32 v7, v7, v53 :: v_dual_add_f32 v9, v9, v11
	v_fmac_f32_e32 v57, v243, v154
	s_set_vgpr_msb 64                       ;  msbs: dst=1 src0=0 src1=0 src2=0
	v_dual_mul_f32 v3 /*v259*/, v244, v157 :: v_dual_mul_f32 v5 /*v261*/, v246, v159
	s_set_vgpr_msb 0                        ;  msbs: dst=0 src0=0 src1=0 src2=0
	v_dual_fma_f32 v11, v242, v154, -v15 :: v_dual_add_f32 v7, v7, v55
	s_wait_loadcnt 0x3
	v_dual_add_f32 v9, v9, v13 :: v_dual_mov_b32 v110, v167
	v_pk_mul_f32 v[104:105], v[176:177], v[160:161] op_sel:[1,1] op_sel_hi:[0,1]
	s_set_vgpr_msb 64                       ;  msbs: dst=1 src0=0 src1=0 src2=0
	v_dual_fmac_f32 v3 /*v259*/, v245, v156 :: v_dual_fmac_f32 v5 /*v261*/, v247, v158
	v_dual_fma_f32 v2 /*v258*/, v244, v156, -v17 :: v_dual_fma_f32 v4 /*v260*/, v246, v158, -v19
	s_set_vgpr_msb 0                        ;  msbs: dst=0 src0=0 src1=0 src2=0
	v_dual_add_f32 v113, v7, v57 :: v_dual_add_f32 v112, v9, v11
	v_pk_fma_f32 v[114:115], v[176:177], v[160:161], v[104:105] op_sel_hi:[1,0,1]
	v_pk_mul_f32 v[106:107], v[250:251], v[106:107] op_sel_hi:[1,0]
	v_pk_fma_f32 v[104:105], v[176:177], v[160:161], v[104:105] neg_lo:[0,0,1] neg_hi:[0,0,1]
	v_pk_mul_f32 v[108:109], v[180:181], v[164:165] op_sel:[1,1] op_sel_hi:[0,1]
	s_set_vgpr_msb 4                        ;  msbs: dst=0 src0=0 src1=1 src2=0
	v_pk_add_f32 v[112:113], v[112:113], v[2:3] /*v[258:259]*/
	v_mov_b32_e32 v105, v115
	s_set_vgpr_msb 0                        ;  msbs: dst=0 src0=0 src1=0 src2=0
	v_pk_fma_f32 v[114:115], v[178:179], v[162:163], v[106:107] op_sel_hi:[1,0,1]
	v_pk_fma_f32 v[106:107], v[178:179], v[162:163], v[106:107] neg_lo:[0,0,1] neg_hi:[0,0,1]
	v_pk_fma_f32 v[118:119], v[180:181], v[164:165], v[108:109] op_sel_hi:[1,0,1]
	s_set_vgpr_msb 4                        ;  msbs: dst=0 src0=0 src1=1 src2=0
	v_pk_add_f32 v[112:113], v[112:113], v[4:5] /*v[260:261]*/
	s_set_vgpr_msb 0                        ;  msbs: dst=0 src0=0 src1=0 src2=0
	v_pk_mul_f32 v[110:111], v[252:253], v[110:111] op_sel_hi:[1,0]
	v_mov_b32_e32 v107, v115
	s_wait_loadcnt 0x2
	v_pk_mul_f32 v[116:117], v[184:185], v[168:169] op_sel:[1,1] op_sel_hi:[0,1]
	v_pk_fma_f32 v[108:109], v[180:181], v[164:165], v[108:109] neg_lo:[0,0,1] neg_hi:[0,0,1]
	v_pk_add_f32 v[104:105], v[112:113], v[104:105]
	v_dual_mov_b32 v112, v171 :: v_dual_mov_b32 v109, v119
	v_pk_fma_f32 v[114:115], v[182:183], v[166:167], v[110:111] op_sel_hi:[1,0,1]
	v_pk_fma_f32 v[110:111], v[182:183], v[166:167], v[110:111] neg_lo:[0,0,1] neg_hi:[0,0,1]
	s_delay_alu instid0(VALU_DEP_4)
	v_pk_add_f32 v[104:105], v[104:105], v[106:107]
	v_pk_fma_f32 v[106:107], v[184:185], v[168:169], v[116:117] op_sel_hi:[1,0,1]
	v_pk_mul_f32 v[112:113], v[254:255], v[112:113] op_sel_hi:[1,0]
	v_mov_b32_e32 v111, v115
	v_pk_fma_f32 v[114:115], v[184:185], v[168:169], v[116:117] neg_lo:[0,0,1] neg_hi:[0,0,1]
	v_pk_add_f32 v[104:105], v[104:105], v[108:109]
	v_mov_b32_e32 v115, v107
	v_pk_fma_f32 v[106:107], v[186:187], v[170:171], v[112:113] op_sel_hi:[1,0,1]
	s_wait_loadcnt 0x1
	v_pk_mul_f32 v[108:109], v[188:189], v[172:173] op_sel:[1,1] op_sel_hi:[0,1]
	v_mov_b32_e32 v106, v175
	v_pk_add_f32 v[104:105], v[104:105], v[110:111]
	v_pk_fma_f32 v[112:113], v[186:187], v[170:171], v[112:113] neg_lo:[0,0,1] neg_hi:[0,0,1]
	v_mov_b32_e32 v113, v107
	v_pk_fma_f32 v[110:111], v[188:189], v[172:173], v[108:109] op_sel_hi:[1,0,1]
	s_set_vgpr_msb 1                        ;  msbs: dst=0 src0=1 src1=0 src2=0
	v_pk_mul_f32 v[106:107], v[0:1] /*v[256:257]*/, v[106:107] op_sel_hi:[1,0]
	s_set_vgpr_msb 0                        ;  msbs: dst=0 src0=0 src1=0 src2=0
	v_pk_add_f32 v[104:105], v[104:105], v[114:115]
	v_pk_fma_f32 v[108:109], v[188:189], v[172:173], v[108:109] neg_lo:[0,0,1] neg_hi:[0,0,1]
	v_mov_b32_e32 v109, v111
	v_pk_fma_f32 v[110:111], v[190:191], v[174:175], v[106:107] op_sel_hi:[1,0,1]
	s_delay_alu instid0(VALU_DEP_4) | instskip(SKIP_1) | instid1(VALU_DEP_3)
	v_pk_add_f32 v[104:105], v[104:105], v[112:113]
	v_pk_fma_f32 v[106:107], v[190:191], v[174:175], v[106:107] neg_lo:[0,0,1] neg_hi:[0,0,1]
	v_mov_b32_e32 v107, v111
	s_delay_alu instid0(VALU_DEP_3) | instskip(NEXT) | instid1(VALU_DEP_1)
	v_pk_add_f32 v[104:105], v[104:105], v[108:109]
	v_pk_add_f32 v[104:105], v[104:105], v[106:107]
	s_wait_loadcnt 0x0
	s_delay_alu instid0(VALU_DEP_1)
	v_pk_add_f32 v[104:105], v[248:249], v[104:105] neg_lo:[0,1] neg_hi:[0,1]
	scratch_store_b64 off, v[104:105], off offset:112
	s_wait_xcnt 0x0
	v_cmpx_lt_u32_e32 13, v0
	s_cbranch_execz .LBB114_293
; %bb.292:
	scratch_load_b64 v[104:105], off, off offset:104
	v_mov_b64_e32 v[106:107], 0
	scratch_store_b64 off, v[106:107], off offset:104
	s_wait_loadcnt 0x0
	ds_store_b64 v1, v[104:105]
.LBB114_293:
	s_wait_xcnt 0x0
	s_or_b32 exec_lo, exec_lo, s0
	s_wait_storecnt_dscnt 0x0
	s_barrier_signal -1
	s_barrier_wait -1
	s_clause 0x13
	scratch_load_b128 v[104:107], off, off offset:112
	scratch_load_b128 v[108:111], off, off offset:128
	scratch_load_b128 v[112:115], off, off offset:144
	scratch_load_b128 v[116:119], off, off offset:160
	scratch_load_b128 v[120:123], off, off offset:176
	scratch_load_b128 v[124:127], off, off offset:192
	scratch_load_b128 v[128:131], off, off offset:208
	scratch_load_b128 v[132:135], off, off offset:224
	scratch_load_b128 v[136:139], off, off offset:240
	scratch_load_b128 v[140:143], off, off offset:256
	scratch_load_b128 v[144:147], off, off offset:272
	scratch_load_b128 v[148:151], off, off offset:288
	scratch_load_b128 v[152:155], off, off offset:304
	scratch_load_b128 v[156:159], off, off offset:320
	scratch_load_b128 v[160:163], off, off offset:336
	scratch_load_b128 v[164:167], off, off offset:352
	scratch_load_b128 v[168:171], off, off offset:368
	scratch_load_b128 v[172:175], off, off offset:384
	scratch_load_b64 v[248:249], off, off offset:400
	scratch_load_b64 v[250:251], off, off offset:104
	v_mov_b32_e32 v7, 0
	ds_load_b128 v[176:179], v7 offset:752
	ds_load_b128 v[180:183], v7 offset:768
	;; [unrolled: 1-line block ×18, first 2 shown]
	ds_load_b64 v[252:253], v7 offset:816
	s_mov_b32 s0, exec_lo
	s_wait_dscnt 0x12
	v_dual_mov_b32 v255, v178 :: v_dual_mov_b32 v254, v179
	s_wait_dscnt 0x11
	s_set_vgpr_msb 64                       ;  msbs: dst=1 src0=0 src1=0 src2=0
	v_dual_mov_b32 v0 /*v256*/, v183 :: v_dual_mov_b32 v1 /*v257*/, v182
	s_wait_dscnt 0x10
	v_dual_mov_b32 v2 /*v258*/, v187 :: v_dual_mov_b32 v3 /*v259*/, v186
	s_wait_dscnt 0xd
	v_dual_mov_b32 v4 /*v260*/, v199 :: v_dual_mov_b32 v5 /*v261*/, v198
	s_wait_loadcnt 0x13
	s_set_vgpr_msb 0                        ;  msbs: dst=0 src0=0 src1=0 src2=0
	v_dual_mul_f32 v9, v188, v105 :: v_dual_mul_f32 v63, v189, v105
	v_dual_mul_f32 v65, v191, v107 :: v_dual_mul_f32 v11, v190, v107
	s_wait_loadcnt 0x12
	v_mul_f32_e32 v13, v192, v109
	s_wait_loadcnt_dscnt 0x100b
	v_dual_mul_f32 v75, v205, v117 :: v_dual_fma_f32 v63, v188, v104, -v63
	v_dual_fmac_f32 v9, v189, v104 :: v_dual_mul_f32 v77, v207, v119
	v_dual_mul_f32 v67, v193, v109 :: v_dual_mul_f32 v69, v195, v111
	v_dual_fmac_f32 v11, v191, v106 :: v_dual_fma_f32 v65, v190, v106, -v65
	s_delay_alu instid0(VALU_DEP_3) | instskip(SKIP_4) | instid1(VALU_DEP_3)
	v_dual_add_f32 v9, 0, v9 :: v_dual_add_f32 v63, 0, v63
	v_dual_mul_f32 v15, v194, v111 :: v_dual_mul_f32 v17, v200, v113
	s_wait_loadcnt_dscnt 0xf0a
	v_dual_mul_f32 v79, v209, v121 :: v_dual_fma_f32 v67, v192, v108, -v67
	v_fmac_f32_e32 v13, v193, v108
	v_dual_add_f32 v9, v9, v11 :: v_dual_fmac_f32 v15, v195, v110
	v_add_f32_e32 v11, v63, v65
	v_dual_mul_f32 v71, v201, v113 :: v_dual_mul_f32 v73, v203, v115
	v_dual_mul_f32 v63, v211, v123 :: v_dual_fma_f32 v65, v194, v110, -v69
	s_delay_alu instid0(VALU_DEP_3) | instskip(SKIP_3) | instid1(VALU_DEP_3)
	v_dual_add_f32 v9, v9, v13 :: v_dual_add_f32 v11, v11, v67
	v_dual_mul_f32 v19, v202, v115 :: v_dual_mul_f32 v21, v204, v117
	s_wait_loadcnt_dscnt 0xe09
	v_dual_mul_f32 v13, v213, v125 :: v_dual_fma_f32 v67, v200, v112, -v71
	v_dual_fmac_f32 v17, v201, v112 :: v_dual_add_f32 v11, v11, v65
	s_delay_alu instid0(VALU_DEP_3) | instskip(SKIP_1) | instid1(VALU_DEP_2)
	v_dual_add_f32 v9, v9, v15 :: v_dual_fmac_f32 v19, v203, v114
	v_dual_mul_f32 v15, v215, v127 :: v_dual_fma_f32 v65, v202, v114, -v73
	v_dual_add_f32 v11, v11, v67 :: v_dual_add_f32 v9, v9, v17
	v_dual_mul_f32 v23, v206, v119 :: v_dual_mul_f32 v25, v208, v121
	s_wait_loadcnt_dscnt 0xd08
	v_dual_mul_f32 v17, v217, v129 :: v_dual_fma_f32 v67, v204, v116, -v75
	s_delay_alu instid0(VALU_DEP_3) | instskip(NEXT) | instid1(VALU_DEP_3)
	v_dual_fmac_f32 v21, v205, v116 :: v_dual_add_f32 v11, v11, v65
	v_dual_add_f32 v9, v9, v19 :: v_dual_fmac_f32 v23, v207, v118
	v_dual_mul_f32 v19, v219, v131 :: v_dual_fma_f32 v65, v206, v118, -v77
	s_delay_alu instid0(VALU_DEP_2) | instskip(SKIP_3) | instid1(VALU_DEP_3)
	v_dual_add_f32 v11, v11, v67 :: v_dual_add_f32 v9, v9, v21
	v_dual_mul_f32 v27, v210, v123 :: v_dual_mul_f32 v29, v212, v125
	s_wait_loadcnt_dscnt 0xc07
	v_dual_mul_f32 v21, v221, v133 :: v_dual_fma_f32 v67, v208, v120, -v79
	v_dual_fmac_f32 v25, v209, v120 :: v_dual_add_f32 v11, v11, v65
	s_delay_alu instid0(VALU_DEP_3) | instskip(SKIP_1) | instid1(VALU_DEP_2)
	v_dual_add_f32 v9, v9, v23 :: v_dual_fmac_f32 v27, v211, v122
	v_dual_mul_f32 v23, v223, v135 :: v_dual_fma_f32 v63, v210, v122, -v63
	v_dual_add_f32 v11, v11, v67 :: v_dual_add_f32 v9, v9, v25
	v_dual_mul_f32 v31, v214, v127 :: v_dual_mul_f32 v33, v216, v129
	s_wait_loadcnt_dscnt 0xb06
	v_dual_mul_f32 v25, v225, v137 :: v_dual_fma_f32 v13, v212, v124, -v13
	s_delay_alu instid0(VALU_DEP_3) | instskip(NEXT) | instid1(VALU_DEP_3)
	v_dual_fmac_f32 v29, v213, v124 :: v_dual_add_f32 v11, v11, v63
	v_dual_add_f32 v9, v9, v27 :: v_dual_fmac_f32 v31, v215, v126
	v_dual_mul_f32 v27, v227, v139 :: v_dual_fma_f32 v15, v214, v126, -v15
	s_delay_alu instid0(VALU_DEP_3) | instskip(NEXT) | instid1(VALU_DEP_3)
	v_dual_add_f32 v11, v11, v13 :: v_dual_fmac_f32 v33, v217, v128
	v_dual_add_f32 v9, v9, v29 :: v_dual_fma_f32 v17, v216, v128, -v17
	v_dual_mul_f32 v35, v218, v131 :: v_dual_mul_f32 v37, v220, v133
	s_wait_loadcnt_dscnt 0xa05
	s_delay_alu instid0(VALU_DEP_3) | instskip(NEXT) | instid1(VALU_DEP_2)
	v_dual_mul_f32 v13, v229, v141 :: v_dual_add_f32 v11, v11, v15
	v_dual_add_f32 v9, v9, v31 :: v_dual_fmac_f32 v35, v219, v130
	v_dual_mul_f32 v15, v231, v143 :: v_dual_fma_f32 v19, v218, v130, -v19
	s_delay_alu instid0(VALU_DEP_3) | instskip(NEXT) | instid1(VALU_DEP_3)
	v_dual_add_f32 v11, v11, v17 :: v_dual_fmac_f32 v37, v221, v132
	v_dual_add_f32 v9, v9, v33 :: v_dual_fma_f32 v21, v220, v132, -v21
	v_dual_mul_f32 v39, v222, v135 :: v_dual_mul_f32 v41, v224, v137
	s_wait_loadcnt_dscnt 0x904
	s_delay_alu instid0(VALU_DEP_3) | instskip(NEXT) | instid1(VALU_DEP_2)
	v_dual_mul_f32 v17, v233, v145 :: v_dual_add_f32 v11, v11, v19
	;; [unrolled: 9-line block ×5, first 2 shown]
	v_dual_add_f32 v9, v9, v47 :: v_dual_fmac_f32 v51, v235, v146
	v_dual_mul_f32 v15, v247, v159 :: v_dual_fma_f32 v19, v234, v146, -v19
	s_delay_alu instid0(VALU_DEP_3) | instskip(NEXT) | instid1(VALU_DEP_3)
	v_dual_add_f32 v11, v11, v17 :: v_dual_fmac_f32 v53, v237, v148
	v_dual_add_f32 v9, v9, v49 :: v_dual_fma_f32 v21, v236, v148, -v21
	v_dual_mul_f32 v55, v238, v151 :: v_dual_mul_f32 v57, v240, v153
	s_wait_loadcnt 0x5
	s_delay_alu instid0(VALU_DEP_3) | instskip(NEXT) | instid1(VALU_DEP_3)
	v_dual_mul_f32 v17, v177, v161 :: v_dual_add_f32 v11, v11, v19
	v_dual_add_f32 v9, v9, v51 :: v_dual_mov_b32 v104, v163
	s_delay_alu instid0(VALU_DEP_3) | instskip(NEXT) | instid1(VALU_DEP_3)
	v_fmac_f32_e32 v55, v239, v150
	v_dual_fma_f32 v19, v238, v150, -v23 :: v_dual_add_f32 v11, v11, v21
	s_delay_alu instid0(VALU_DEP_3) | instskip(SKIP_1) | instid1(VALU_DEP_3)
	v_dual_add_f32 v9, v9, v53 :: v_dual_mul_f32 v59, v242, v155
	v_dual_mul_f32 v61, v244, v157 :: v_dual_fmac_f32 v57, v241, v152
	v_dual_add_f32 v11, v11, v19 :: v_dual_fma_f32 v21, v240, v152, -v25
	s_wait_loadcnt 0x4
	s_delay_alu instid0(VALU_DEP_3) | instskip(SKIP_3) | instid1(VALU_DEP_4)
	v_dual_add_f32 v9, v9, v55 :: v_dual_mov_b32 v108, v167
	v_fma_f32 v19, v242, v154, -v27
	v_fmac_f32_e32 v59, v243, v154
	v_dual_add_f32 v11, v11, v21 :: v_dual_fmac_f32 v61, v245, v156
	v_add_f32_e32 v9, v9, v57
	s_set_vgpr_msb 64                       ;  msbs: dst=1 src0=0 src1=0 src2=0
	v_dual_mul_f32 v7 /*v263*/, v246, v159 :: v_dual_mul_f32 v9 /*v265*/, v176, v161
	s_set_vgpr_msb 0                        ;  msbs: dst=0 src0=0 src1=0 src2=0
	v_fma_f32 v13, v244, v156, -v13
	v_pk_mul_f32 v[104:105], v[254:255], v[104:105] op_sel_hi:[1,0]
	v_add_f32_e32 v9, v9, v59
	v_add_f32_e32 v11, v11, v19
	s_set_vgpr_msb 64                       ;  msbs: dst=1 src0=0 src1=0 src2=0
	v_dual_fmac_f32 v7 /*v263*/, v247, v158 :: v_dual_fmac_f32 v9 /*v265*/, v177, v160
	v_dual_fma_f32 v6 /*v262*/, v246, v158, -v15 :: v_dual_fma_f32 v8 /*v264*/, v176, v160, -v17
	s_set_vgpr_msb 0                        ;  msbs: dst=0 src0=0 src1=0 src2=0
	v_add_f32_e32 v113, v9, v61
	v_pk_fma_f32 v[116:117], v[178:179], v[162:163], v[104:105] op_sel_hi:[1,0,1]
	v_add_f32_e32 v112, v11, v13
	v_pk_fma_f32 v[104:105], v[178:179], v[162:163], v[104:105] neg_lo:[0,0,1] neg_hi:[0,0,1]
	v_pk_mul_f32 v[106:107], v[180:181], v[164:165] op_sel:[1,1] op_sel_hi:[0,1]
	s_set_vgpr_msb 1                        ;  msbs: dst=0 src0=1 src1=0 src2=0
	v_pk_mul_f32 v[108:109], v[0:1] /*v[256:257]*/, v[108:109] op_sel_hi:[1,0]
	s_set_vgpr_msb 4                        ;  msbs: dst=0 src0=0 src1=1 src2=0
	v_mov_b32_e32 v105, v117
	v_pk_add_f32 v[112:113], v[112:113], v[6:7] /*v[262:263]*/
	s_wait_loadcnt 0x3
	s_set_vgpr_msb 0                        ;  msbs: dst=0 src0=0 src1=0 src2=0
	v_pk_mul_f32 v[110:111], v[184:185], v[168:169] op_sel:[1,1] op_sel_hi:[0,1]
	v_pk_fma_f32 v[118:119], v[180:181], v[164:165], v[106:107] op_sel_hi:[1,0,1]
	v_pk_fma_f32 v[106:107], v[180:181], v[164:165], v[106:107] neg_lo:[0,0,1] neg_hi:[0,0,1]
	v_mov_b32_e32 v114, v171
	s_set_vgpr_msb 4                        ;  msbs: dst=0 src0=0 src1=1 src2=0
	v_pk_add_f32 v[112:113], v[112:113], v[8:9] /*v[264:265]*/
	s_wait_loadcnt 0x2
	s_set_vgpr_msb 0                        ;  msbs: dst=0 src0=0 src1=0 src2=0
	v_pk_mul_f32 v[116:117], v[196:197], v[172:173] op_sel:[1,1] op_sel_hi:[0,1]
	v_mov_b32_e32 v107, v119
	v_pk_fma_f32 v[118:119], v[182:183], v[166:167], v[108:109] op_sel_hi:[1,0,1]
	v_pk_fma_f32 v[108:109], v[182:183], v[166:167], v[108:109] neg_lo:[0,0,1] neg_hi:[0,0,1]
	v_pk_add_f32 v[104:105], v[112:113], v[104:105]
	v_pk_fma_f32 v[112:113], v[184:185], v[168:169], v[110:111] op_sel_hi:[1,0,1]
	s_set_vgpr_msb 1                        ;  msbs: dst=0 src0=1 src1=0 src2=0
	v_pk_mul_f32 v[114:115], v[2:3] /*v[258:259]*/, v[114:115] op_sel_hi:[1,0]
	s_set_vgpr_msb 0                        ;  msbs: dst=0 src0=0 src1=0 src2=0
	v_mov_b32_e32 v109, v119
	v_pk_fma_f32 v[110:111], v[184:185], v[168:169], v[110:111] neg_lo:[0,0,1] neg_hi:[0,0,1]
	v_pk_add_f32 v[104:105], v[104:105], v[106:107]
	v_dual_mov_b32 v106, v175 :: v_dual_mov_b32 v111, v113
	v_pk_fma_f32 v[112:113], v[186:187], v[170:171], v[114:115] op_sel_hi:[1,0,1]
	v_pk_fma_f32 v[114:115], v[186:187], v[170:171], v[114:115] neg_lo:[0,0,1] neg_hi:[0,0,1]
	s_delay_alu instid0(VALU_DEP_4)
	v_pk_add_f32 v[104:105], v[104:105], v[108:109]
	v_pk_fma_f32 v[108:109], v[196:197], v[172:173], v[116:117] op_sel_hi:[1,0,1]
	s_set_vgpr_msb 1                        ;  msbs: dst=0 src0=1 src1=0 src2=0
	v_pk_mul_f32 v[106:107], v[4:5] /*v[260:261]*/, v[106:107] op_sel_hi:[1,0]
	s_set_vgpr_msb 0                        ;  msbs: dst=0 src0=0 src1=0 src2=0
	v_mov_b32_e32 v115, v113
	s_wait_loadcnt_dscnt 0x100
	v_pk_mul_f32 v[112:113], v[252:253], v[248:249] op_sel:[1,1] op_sel_hi:[0,1]
	v_pk_add_f32 v[104:105], v[104:105], v[110:111]
	v_pk_fma_f32 v[110:111], v[196:197], v[172:173], v[116:117] neg_lo:[0,0,1] neg_hi:[0,0,1]
	v_mov_b32_e32 v111, v109
	v_pk_fma_f32 v[108:109], v[198:199], v[174:175], v[106:107] op_sel_hi:[1,0,1]
	v_pk_fma_f32 v[106:107], v[198:199], v[174:175], v[106:107] neg_lo:[0,0,1] neg_hi:[0,0,1]
	v_pk_add_f32 v[104:105], v[104:105], v[114:115]
	s_delay_alu instid0(VALU_DEP_3) | instskip(SKIP_1) | instid1(VALU_DEP_3)
	v_mov_b32_e32 v107, v109
	v_pk_fma_f32 v[108:109], v[252:253], v[248:249], v[112:113] op_sel_hi:[1,0,1]
	v_pk_add_f32 v[104:105], v[104:105], v[110:111]
	v_pk_fma_f32 v[110:111], v[252:253], v[248:249], v[112:113] neg_lo:[0,0,1] neg_hi:[0,0,1]
	s_delay_alu instid0(VALU_DEP_3) | instskip(NEXT) | instid1(VALU_DEP_3)
	v_mov_b32_e32 v111, v109
	v_pk_add_f32 v[104:105], v[104:105], v[106:107]
	s_delay_alu instid0(VALU_DEP_1) | instskip(SKIP_1) | instid1(VALU_DEP_1)
	v_pk_add_f32 v[104:105], v[104:105], v[110:111]
	s_wait_loadcnt 0x0
	v_pk_add_f32 v[104:105], v[250:251], v[104:105] neg_lo:[0,1] neg_hi:[0,1]
	scratch_store_b64 off, v[104:105], off offset:104
	s_wait_xcnt 0x0
	v_cmpx_lt_u32_e32 12, v0
	s_cbranch_execz .LBB114_295
; %bb.294:
	scratch_load_b64 v[104:105], off, off offset:96
	v_mov_b64_e32 v[106:107], 0
	scratch_store_b64 off, v[106:107], off offset:96
	s_wait_loadcnt 0x0
	ds_store_b64 v1, v[104:105]
.LBB114_295:
	s_wait_xcnt 0x0
	s_or_b32 exec_lo, exec_lo, s0
	s_wait_storecnt_dscnt 0x0
	s_barrier_signal -1
	s_barrier_wait -1
	s_clause 0x14
	scratch_load_b128 v[104:107], off, off offset:104
	scratch_load_b128 v[108:111], off, off offset:120
	;; [unrolled: 1-line block ×19, first 2 shown]
	s_set_vgpr_msb 64                       ;  msbs: dst=1 src0=0 src1=0 src2=0
	scratch_load_b64 v[0:1] /*v[256:257]*/, off, off offset:96
	s_set_vgpr_msb 0                        ;  msbs: dst=0 src0=0 src1=0 src2=0
	ds_load_2addr_b64 v[180:183], v7 offset0:95 offset1:96
	ds_load_2addr_b64 v[184:187], v7 offset0:97 offset1:98
	;; [unrolled: 1-line block ×19, first 2 shown]
	s_mov_b32 s0, exec_lo
	s_wait_dscnt 0x12
	s_set_vgpr_msb 64                       ;  msbs: dst=1 src0=0 src1=0 src2=0
	v_dual_mov_b32 v2 /*v258*/, v183 :: v_dual_mov_b32 v3 /*v259*/, v182
	s_wait_dscnt 0x11
	v_dual_mov_b32 v4 /*v260*/, v187 :: v_dual_mov_b32 v5 /*v261*/, v186
	s_wait_dscnt 0xf
	;; [unrolled: 2-line block ×3, first 2 shown]
	v_dual_mov_b32 v8 /*v264*/, v199 :: v_dual_mov_b32 v9 /*v265*/, v198
	s_wait_loadcnt_dscnt 0x130d
	s_set_vgpr_msb 0                        ;  msbs: dst=0 src0=0 src1=0 src2=0
	v_dual_mul_f32 v7, v200, v105 :: v_dual_mul_f32 v9, v202, v107
	v_dual_mul_f32 v63, v201, v105 :: v_dual_mul_f32 v65, v203, v107
	s_wait_loadcnt_dscnt 0x120c
	v_dual_mul_f32 v11, v204, v109 :: v_dual_mul_f32 v13, v206, v111
	s_delay_alu instid0(VALU_DEP_3) | instskip(SKIP_3) | instid1(VALU_DEP_3)
	v_dual_fmac_f32 v7, v201, v104 :: v_dual_fmac_f32 v9, v203, v106
	s_wait_loadcnt_dscnt 0x100a
	v_dual_fma_f32 v63, v200, v104, -v63 :: v_dual_mul_f32 v75, v213, v117
	v_dual_mul_f32 v67, v205, v109 :: v_dual_mul_f32 v69, v207, v111
	v_dual_fma_f32 v65, v202, v106, -v65 :: v_dual_add_f32 v7, 0, v7
	s_delay_alu instid0(VALU_DEP_3) | instskip(SKIP_1) | instid1(VALU_DEP_4)
	v_dual_add_f32 v63, 0, v63 :: v_dual_fmac_f32 v11, v205, v108
	v_dual_mul_f32 v15, v208, v113 :: v_dual_mul_f32 v17, v210, v115
	v_dual_mul_f32 v77, v215, v119 :: v_dual_fma_f32 v67, v204, v108, -v67
	s_delay_alu instid0(VALU_DEP_4) | instskip(NEXT) | instid1(VALU_DEP_3)
	v_add_f32_e32 v7, v7, v9
	v_dual_add_f32 v9, v63, v65 :: v_dual_fmac_f32 v15, v209, v112
	v_dual_mul_f32 v71, v209, v113 :: v_dual_mul_f32 v73, v211, v115
	s_wait_loadcnt_dscnt 0xf09
	v_dual_mul_f32 v63, v217, v121 :: v_dual_fmac_f32 v13, v207, v110
	v_dual_fma_f32 v65, v206, v110, -v69 :: v_dual_add_f32 v7, v7, v11
	s_delay_alu instid0(VALU_DEP_3) | instskip(SKIP_1) | instid1(VALU_DEP_3)
	v_dual_add_f32 v9, v9, v67 :: v_dual_fma_f32 v67, v208, v112, -v71
	v_dual_mul_f32 v19, v212, v117 :: v_dual_mul_f32 v21, v214, v119
	v_add_f32_e32 v7, v7, v13
	s_delay_alu instid0(VALU_DEP_3) | instskip(SKIP_2) | instid1(VALU_DEP_3)
	v_dual_mul_f32 v11, v219, v123 :: v_dual_add_f32 v9, v9, v65
	s_wait_loadcnt_dscnt 0xe08
	v_dual_mul_f32 v13, v221, v125 :: v_dual_fmac_f32 v17, v211, v114
	v_dual_fma_f32 v65, v210, v114, -v73 :: v_dual_add_f32 v7, v7, v15
	s_delay_alu instid0(VALU_DEP_3) | instskip(SKIP_1) | instid1(VALU_DEP_3)
	v_dual_add_f32 v9, v9, v67 :: v_dual_fma_f32 v67, v212, v116, -v75
	v_dual_mul_f32 v15, v223, v127 :: v_dual_fmac_f32 v19, v213, v116
	v_add_f32_e32 v7, v7, v17
	s_delay_alu instid0(VALU_DEP_3)
	v_dual_add_f32 v9, v9, v65 :: v_dual_fmac_f32 v21, v215, v118
	v_dual_mul_f32 v23, v216, v121 :: v_dual_mul_f32 v25, v218, v123
	s_wait_loadcnt_dscnt 0xd07
	v_dual_fma_f32 v65, v214, v118, -v77 :: v_dual_mul_f32 v17, v225, v129
	v_add_f32_e32 v7, v7, v19
	v_dual_add_f32 v9, v9, v67 :: v_dual_fma_f32 v63, v216, v120, -v63
	v_dual_mul_f32 v19, v227, v131 :: v_dual_fmac_f32 v23, v217, v120
	s_delay_alu instid0(VALU_DEP_3) | instskip(NEXT) | instid1(VALU_DEP_3)
	v_dual_add_f32 v7, v7, v21 :: v_dual_fma_f32 v11, v218, v122, -v11
	v_dual_add_f32 v9, v9, v65 :: v_dual_fmac_f32 v25, v219, v122
	v_dual_mul_f32 v27, v220, v125 :: v_dual_mul_f32 v29, v222, v127
	s_wait_loadcnt_dscnt 0xc06
	s_delay_alu instid0(VALU_DEP_3) | instskip(NEXT) | instid1(VALU_DEP_3)
	v_dual_mul_f32 v21, v229, v133 :: v_dual_add_f32 v7, v7, v23
	v_dual_add_f32 v9, v9, v63 :: v_dual_fma_f32 v13, v220, v124, -v13
	s_delay_alu instid0(VALU_DEP_3) | instskip(NEXT) | instid1(VALU_DEP_2)
	v_dual_mul_f32 v23, v231, v135 :: v_dual_fmac_f32 v27, v221, v124
	v_dual_add_f32 v7, v7, v25 :: v_dual_add_f32 v9, v9, v11
	v_dual_mul_f32 v31, v224, v129 :: v_dual_mul_f32 v33, v226, v131
	s_wait_loadcnt_dscnt 0xb05
	v_dual_mul_f32 v11, v233, v137 :: v_dual_fmac_f32 v29, v223, v126
	s_delay_alu instid0(VALU_DEP_3) | instskip(SKIP_2) | instid1(VALU_DEP_2)
	v_dual_fma_f32 v15, v222, v126, -v15 :: v_dual_add_f32 v7, v7, v27
	v_dual_add_f32 v9, v9, v13 :: v_dual_mul_f32 v13, v235, v139
	v_dual_fmac_f32 v31, v225, v128 :: v_dual_fma_f32 v17, v224, v128, -v17
	v_dual_add_f32 v7, v7, v29 :: v_dual_add_f32 v9, v9, v15
	v_dual_mul_f32 v35, v228, v133 :: v_dual_mul_f32 v37, v230, v135
	s_wait_loadcnt_dscnt 0xa04
	v_dual_mul_f32 v15, v237, v141 :: v_dual_fmac_f32 v33, v227, v130
	s_delay_alu instid0(VALU_DEP_3) | instskip(SKIP_2) | instid1(VALU_DEP_2)
	v_dual_fma_f32 v19, v226, v130, -v19 :: v_dual_add_f32 v7, v7, v31
	v_dual_add_f32 v9, v9, v17 :: v_dual_mul_f32 v17, v239, v143
	v_dual_fmac_f32 v35, v229, v132 :: v_dual_fma_f32 v21, v228, v132, -v21
	v_dual_add_f32 v7, v7, v33 :: v_dual_add_f32 v9, v9, v19
	v_dual_mul_f32 v39, v232, v137 :: v_dual_mul_f32 v41, v234, v139
	s_wait_loadcnt_dscnt 0x903
	v_dual_mul_f32 v19, v241, v145 :: v_dual_fmac_f32 v37, v231, v134
	s_delay_alu instid0(VALU_DEP_3) | instskip(SKIP_2) | instid1(VALU_DEP_3)
	v_dual_fma_f32 v23, v230, v134, -v23 :: v_dual_add_f32 v7, v7, v35
	v_dual_add_f32 v9, v9, v21 :: v_dual_mul_f32 v21, v243, v147
	v_fmac_f32_e32 v39, v233, v136
	v_dual_fma_f32 v11, v232, v136, -v11 :: v_dual_add_f32 v7, v7, v37
	s_delay_alu instid0(VALU_DEP_3)
	v_dual_add_f32 v9, v9, v23 :: v_dual_mul_f32 v43, v236, v141
	s_wait_loadcnt_dscnt 0x802
	v_dual_mul_f32 v45, v238, v143 :: v_dual_mul_f32 v23, v245, v149
	v_fmac_f32_e32 v41, v235, v138
	v_dual_fma_f32 v13, v234, v138, -v13 :: v_dual_add_f32 v7, v7, v39
	v_dual_add_f32 v9, v9, v11 :: v_dual_fma_f32 v15, v236, v140, -v15
	v_dual_mul_f32 v11, v247, v151 :: v_dual_fmac_f32 v43, v237, v140
	s_delay_alu instid0(VALU_DEP_3) | instskip(NEXT) | instid1(VALU_DEP_3)
	v_dual_add_f32 v7, v7, v41 :: v_dual_fma_f32 v17, v238, v142, -v17
	v_dual_add_f32 v9, v9, v13 :: v_dual_fmac_f32 v45, v239, v142
	v_dual_mul_f32 v47, v240, v145 :: v_dual_mul_f32 v49, v242, v147
	s_wait_loadcnt_dscnt 0x701
	s_delay_alu instid0(VALU_DEP_3) | instskip(NEXT) | instid1(VALU_DEP_3)
	v_dual_mul_f32 v13, v249, v153 :: v_dual_add_f32 v7, v7, v43
	v_dual_add_f32 v9, v9, v15 :: v_dual_fma_f32 v19, v240, v144, -v19
	s_delay_alu instid0(VALU_DEP_3) | instskip(NEXT) | instid1(VALU_DEP_3)
	v_dual_mul_f32 v15, v251, v155 :: v_dual_fmac_f32 v47, v241, v144
	v_dual_add_f32 v7, v7, v45 :: v_dual_fma_f32 v21, v242, v146, -v21
	s_delay_alu instid0(VALU_DEP_3) | instskip(SKIP_2) | instid1(VALU_DEP_3)
	v_dual_add_f32 v9, v9, v17 :: v_dual_fmac_f32 v49, v243, v146
	v_dual_mul_f32 v51, v244, v149 :: v_dual_mul_f32 v53, v246, v151
	s_wait_loadcnt_dscnt 0x600
	v_dual_mul_f32 v17, v253, v157 :: v_dual_add_f32 v7, v7, v47
	s_delay_alu instid0(VALU_DEP_3) | instskip(NEXT) | instid1(VALU_DEP_3)
	v_dual_add_f32 v9, v9, v19 :: v_dual_fma_f32 v23, v244, v148, -v23
	v_dual_mul_f32 v19, v255, v159 :: v_dual_fmac_f32 v51, v245, v148
	s_delay_alu instid0(VALU_DEP_3) | instskip(NEXT) | instid1(VALU_DEP_3)
	v_dual_add_f32 v7, v7, v49 :: v_dual_fma_f32 v11, v246, v150, -v11
	v_dual_add_f32 v9, v9, v21 :: v_dual_fmac_f32 v53, v247, v150
	v_dual_mul_f32 v55, v248, v153 :: v_dual_mul_f32 v57, v250, v155
	s_wait_loadcnt 0x5
	s_delay_alu instid0(VALU_DEP_3) | instskip(NEXT) | instid1(VALU_DEP_3)
	v_dual_mul_f32 v21, v189, v161 :: v_dual_add_f32 v7, v7, v51
	v_dual_add_f32 v9, v9, v23 :: v_dual_fma_f32 v13, v248, v152, -v13
	s_delay_alu instid0(VALU_DEP_3) | instskip(NEXT) | instid1(VALU_DEP_2)
	v_dual_mul_f32 v23, v191, v163 :: v_dual_fmac_f32 v55, v249, v152
	v_dual_add_f32 v7, v7, v53 :: v_dual_add_f32 v9, v9, v11
	v_dual_mul_f32 v59, v252, v157 :: v_dual_mul_f32 v61, v254, v159
	v_dual_fmac_f32 v57, v251, v154 :: v_dual_fma_f32 v11, v250, v154, -v15
	s_delay_alu instid0(VALU_DEP_3) | instskip(SKIP_1) | instid1(VALU_DEP_3)
	v_dual_add_f32 v7, v7, v55 :: v_dual_add_f32 v9, v9, v13
	s_wait_loadcnt 0x4
	v_dual_mov_b32 v106, v167 :: v_dual_fmac_f32 v59, v253, v156
	s_delay_alu instid0(VALU_DEP_2) | instskip(NEXT) | instid1(VALU_DEP_3)
	v_dual_fma_f32 v13, v252, v156, -v17 :: v_dual_add_f32 v7, v7, v57
	v_dual_add_f32 v9, v9, v11 :: v_dual_fmac_f32 v61, v255, v158
	s_set_vgpr_msb 64                       ;  msbs: dst=1 src0=0 src1=0 src2=0
	v_dual_mul_f32 v11 /*v267*/, v188, v161 :: v_dual_mul_f32 v13 /*v269*/, v190, v163
	s_set_vgpr_msb 0                        ;  msbs: dst=0 src0=0 src1=0 src2=0
	v_dual_fma_f32 v11, v254, v158, -v19 :: v_dual_add_f32 v7, v7, v59
	s_wait_loadcnt 0x3
	v_dual_add_f32 v9, v9, v13 :: v_dual_mov_b32 v110, v171
	v_pk_mul_f32 v[104:105], v[180:181], v[164:165] op_sel:[1,1] op_sel_hi:[0,1]
	s_set_vgpr_msb 64                       ;  msbs: dst=1 src0=0 src1=0 src2=0
	v_dual_fmac_f32 v11 /*v267*/, v189, v160 :: v_dual_fmac_f32 v13 /*v269*/, v191, v162
	v_dual_fma_f32 v10 /*v266*/, v188, v160, -v21 :: v_dual_fma_f32 v12 /*v268*/, v190, v162, -v23
	s_set_vgpr_msb 0                        ;  msbs: dst=0 src0=0 src1=0 src2=0
	v_dual_add_f32 v113, v7, v61 :: v_dual_add_f32 v112, v9, v11
	v_pk_fma_f32 v[114:115], v[180:181], v[164:165], v[104:105] op_sel_hi:[1,0,1]
	s_set_vgpr_msb 1                        ;  msbs: dst=0 src0=1 src1=0 src2=0
	v_pk_mul_f32 v[106:107], v[2:3] /*v[258:259]*/, v[106:107] op_sel_hi:[1,0]
	s_set_vgpr_msb 0                        ;  msbs: dst=0 src0=0 src1=0 src2=0
	v_pk_fma_f32 v[104:105], v[180:181], v[164:165], v[104:105] neg_lo:[0,0,1] neg_hi:[0,0,1]
	v_pk_mul_f32 v[108:109], v[184:185], v[168:169] op_sel:[1,1] op_sel_hi:[0,1]
	s_set_vgpr_msb 4                        ;  msbs: dst=0 src0=0 src1=1 src2=0
	v_pk_add_f32 v[112:113], v[112:113], v[10:11] /*v[266:267]*/
	v_mov_b32_e32 v105, v115
	s_set_vgpr_msb 0                        ;  msbs: dst=0 src0=0 src1=0 src2=0
	v_pk_fma_f32 v[114:115], v[182:183], v[166:167], v[106:107] op_sel_hi:[1,0,1]
	v_pk_fma_f32 v[106:107], v[182:183], v[166:167], v[106:107] neg_lo:[0,0,1] neg_hi:[0,0,1]
	v_pk_fma_f32 v[118:119], v[184:185], v[168:169], v[108:109] op_sel_hi:[1,0,1]
	s_set_vgpr_msb 4                        ;  msbs: dst=0 src0=0 src1=1 src2=0
	v_pk_add_f32 v[112:113], v[112:113], v[12:13] /*v[268:269]*/
	s_set_vgpr_msb 1                        ;  msbs: dst=0 src0=1 src1=0 src2=0
	v_pk_mul_f32 v[110:111], v[4:5] /*v[260:261]*/, v[110:111] op_sel_hi:[1,0]
	s_set_vgpr_msb 0                        ;  msbs: dst=0 src0=0 src1=0 src2=0
	v_mov_b32_e32 v107, v115
	s_wait_loadcnt 0x2
	v_pk_mul_f32 v[116:117], v[192:193], v[172:173] op_sel:[1,1] op_sel_hi:[0,1]
	v_pk_fma_f32 v[108:109], v[184:185], v[168:169], v[108:109] neg_lo:[0,0,1] neg_hi:[0,0,1]
	v_pk_add_f32 v[104:105], v[112:113], v[104:105]
	v_dual_mov_b32 v112, v175 :: v_dual_mov_b32 v109, v119
	v_pk_fma_f32 v[114:115], v[186:187], v[170:171], v[110:111] op_sel_hi:[1,0,1]
	v_pk_fma_f32 v[110:111], v[186:187], v[170:171], v[110:111] neg_lo:[0,0,1] neg_hi:[0,0,1]
	s_delay_alu instid0(VALU_DEP_4)
	v_pk_add_f32 v[104:105], v[104:105], v[106:107]
	v_pk_fma_f32 v[106:107], v[192:193], v[172:173], v[116:117] op_sel_hi:[1,0,1]
	s_set_vgpr_msb 1                        ;  msbs: dst=0 src0=1 src1=0 src2=0
	v_pk_mul_f32 v[112:113], v[6:7] /*v[262:263]*/, v[112:113] op_sel_hi:[1,0]
	s_set_vgpr_msb 0                        ;  msbs: dst=0 src0=0 src1=0 src2=0
	v_mov_b32_e32 v111, v115
	v_pk_fma_f32 v[114:115], v[192:193], v[172:173], v[116:117] neg_lo:[0,0,1] neg_hi:[0,0,1]
	v_pk_add_f32 v[104:105], v[104:105], v[108:109]
	v_mov_b32_e32 v115, v107
	v_pk_fma_f32 v[106:107], v[194:195], v[174:175], v[112:113] op_sel_hi:[1,0,1]
	s_wait_loadcnt 0x1
	v_pk_mul_f32 v[108:109], v[196:197], v[176:177] op_sel:[1,1] op_sel_hi:[0,1]
	v_mov_b32_e32 v106, v179
	v_pk_add_f32 v[104:105], v[104:105], v[110:111]
	v_pk_fma_f32 v[112:113], v[194:195], v[174:175], v[112:113] neg_lo:[0,0,1] neg_hi:[0,0,1]
	v_mov_b32_e32 v113, v107
	v_pk_fma_f32 v[110:111], v[196:197], v[176:177], v[108:109] op_sel_hi:[1,0,1]
	s_set_vgpr_msb 1                        ;  msbs: dst=0 src0=1 src1=0 src2=0
	v_pk_mul_f32 v[106:107], v[8:9] /*v[264:265]*/, v[106:107] op_sel_hi:[1,0]
	s_set_vgpr_msb 0                        ;  msbs: dst=0 src0=0 src1=0 src2=0
	v_pk_add_f32 v[104:105], v[104:105], v[114:115]
	v_pk_fma_f32 v[108:109], v[196:197], v[176:177], v[108:109] neg_lo:[0,0,1] neg_hi:[0,0,1]
	v_mov_b32_e32 v109, v111
	v_pk_fma_f32 v[110:111], v[198:199], v[178:179], v[106:107] op_sel_hi:[1,0,1]
	s_delay_alu instid0(VALU_DEP_4) | instskip(SKIP_1) | instid1(VALU_DEP_3)
	v_pk_add_f32 v[104:105], v[104:105], v[112:113]
	v_pk_fma_f32 v[106:107], v[198:199], v[178:179], v[106:107] neg_lo:[0,0,1] neg_hi:[0,0,1]
	v_mov_b32_e32 v107, v111
	s_delay_alu instid0(VALU_DEP_3) | instskip(NEXT) | instid1(VALU_DEP_1)
	v_pk_add_f32 v[104:105], v[104:105], v[108:109]
	v_pk_add_f32 v[104:105], v[104:105], v[106:107]
	s_wait_loadcnt 0x0
	s_set_vgpr_msb 1                        ;  msbs: dst=0 src0=1 src1=0 src2=0
	s_delay_alu instid0(VALU_DEP_1)
	v_pk_add_f32 v[104:105], v[0:1] /*v[256:257]*/, v[104:105] neg_lo:[0,1] neg_hi:[0,1]
	scratch_store_b64 off, v[104:105], off offset:96
	s_wait_xcnt 0x0
	v_cmpx_lt_u32_e32 11, v0
	s_set_vgpr_msb 0                        ;  msbs: dst=0 src0=0 src1=0 src2=0
	s_cbranch_execz .LBB114_297
; %bb.296:
	scratch_load_b64 v[104:105], off, off offset:88
	v_mov_b64_e32 v[106:107], 0
	scratch_store_b64 off, v[106:107], off offset:88
	s_wait_loadcnt 0x0
	ds_store_b64 v1, v[104:105]
.LBB114_297:
	s_wait_xcnt 0x0
	s_or_b32 exec_lo, exec_lo, s0
	s_wait_storecnt_dscnt 0x0
	s_barrier_signal -1
	s_barrier_wait -1
	s_clause 0x15
	scratch_load_b128 v[104:107], off, off offset:96
	scratch_load_b128 v[108:111], off, off offset:112
	;; [unrolled: 1-line block ×19, first 2 shown]
	s_set_vgpr_msb 64                       ;  msbs: dst=1 src0=0 src1=0 src2=0
	scratch_load_b64 v[0:1] /*v[256:257]*/, off, off offset:400
	scratch_load_b64 v[2:3] /*v[258:259]*/, off, off offset:88
	s_set_vgpr_msb 0                        ;  msbs: dst=0 src0=0 src1=0 src2=0
	v_mov_b32_e32 v7, 0
	ds_load_b128 v[180:183], v7 offset:752
	ds_load_b128 v[184:187], v7 offset:736
	ds_load_b128 v[188:191], v7 offset:768
	ds_load_b128 v[192:195], v7 offset:784
	ds_load_b128 v[196:199], v7 offset:512
	ds_load_b128 v[200:203], v7 offset:528
	ds_load_b128 v[204:207], v7 offset:800
	ds_load_b128 v[208:211], v7 offset:544
	ds_load_b128 v[212:215], v7 offset:560
	ds_load_b128 v[216:219], v7 offset:576
	ds_load_b128 v[220:223], v7 offset:592
	ds_load_b128 v[224:227], v7 offset:608
	ds_load_b128 v[228:231], v7 offset:624
	ds_load_b128 v[232:235], v7 offset:640
	ds_load_b128 v[236:239], v7 offset:656
	ds_load_b128 v[240:243], v7 offset:672
	ds_load_b128 v[244:247], v7 offset:688
	ds_load_b128 v[248:251], v7 offset:704
	ds_load_b128 v[252:255], v7 offset:720
	s_set_vgpr_msb 64                       ;  msbs: dst=1 src0=0 src1=0 src2=0
	ds_load_b64 v[4:5] /*v[260:261]*/, v7 offset:816
	s_wait_dscnt 0x13
	v_dual_mov_b32 v6 /*v262*/, v183 :: v_dual_mov_b32 v7 /*v263*/, v182
	s_wait_dscnt 0x11
	v_dual_mov_b32 v8 /*v264*/, v191 :: v_dual_mov_b32 v9 /*v265*/, v190
	;; [unrolled: 2-line block ×4, first 2 shown]
	s_mov_b32 s0, exec_lo
	s_wait_loadcnt 0x14
	s_set_vgpr_msb 0                        ;  msbs: dst=0 src0=0 src1=0 src2=0
	v_dual_mul_f32 v9, v196, v105 :: v_dual_mul_f32 v67, v197, v105
	v_dual_mul_f32 v69, v199, v107 :: v_dual_mul_f32 v11, v198, v107
	s_wait_loadcnt 0x13
	v_mul_f32_e32 v13, v200, v109
	s_wait_loadcnt_dscnt 0x110b
	v_dual_mul_f32 v79, v213, v117 :: v_dual_fma_f32 v67, v196, v104, -v67
	v_dual_fmac_f32 v9, v197, v104 :: v_dual_mul_f32 v81, v215, v119
	v_dual_mul_f32 v71, v201, v109 :: v_dual_mul_f32 v73, v203, v111
	v_dual_fmac_f32 v11, v199, v106 :: v_dual_fma_f32 v69, v198, v106, -v69
	s_delay_alu instid0(VALU_DEP_3) | instskip(SKIP_4) | instid1(VALU_DEP_3)
	v_dual_add_f32 v9, 0, v9 :: v_dual_add_f32 v67, 0, v67
	v_dual_mul_f32 v15, v202, v111 :: v_dual_mul_f32 v17, v208, v113
	s_wait_loadcnt_dscnt 0x100a
	v_dual_mul_f32 v83, v217, v121 :: v_dual_fma_f32 v71, v200, v108, -v71
	v_fmac_f32_e32 v13, v201, v108
	v_dual_add_f32 v9, v9, v11 :: v_dual_fmac_f32 v15, v203, v110
	v_add_f32_e32 v11, v67, v69
	v_dual_mul_f32 v75, v209, v113 :: v_dual_mul_f32 v77, v211, v115
	v_dual_mul_f32 v67, v219, v123 :: v_dual_fma_f32 v69, v202, v110, -v73
	s_delay_alu instid0(VALU_DEP_3) | instskip(SKIP_3) | instid1(VALU_DEP_3)
	v_dual_add_f32 v9, v9, v13 :: v_dual_add_f32 v11, v11, v71
	v_dual_mul_f32 v19, v210, v115 :: v_dual_mul_f32 v21, v212, v117
	s_wait_loadcnt_dscnt 0xf09
	v_dual_mul_f32 v13, v221, v125 :: v_dual_fma_f32 v71, v208, v112, -v75
	v_dual_fmac_f32 v17, v209, v112 :: v_dual_add_f32 v11, v11, v69
	s_delay_alu instid0(VALU_DEP_3) | instskip(SKIP_1) | instid1(VALU_DEP_2)
	v_dual_add_f32 v9, v9, v15 :: v_dual_fmac_f32 v19, v211, v114
	v_dual_mul_f32 v15, v223, v127 :: v_dual_fma_f32 v69, v210, v114, -v77
	v_dual_add_f32 v11, v11, v71 :: v_dual_add_f32 v9, v9, v17
	v_dual_mul_f32 v23, v214, v119 :: v_dual_mul_f32 v25, v216, v121
	s_wait_loadcnt_dscnt 0xe08
	v_dual_mul_f32 v17, v225, v129 :: v_dual_fma_f32 v71, v212, v116, -v79
	s_delay_alu instid0(VALU_DEP_3) | instskip(NEXT) | instid1(VALU_DEP_3)
	v_dual_fmac_f32 v21, v213, v116 :: v_dual_add_f32 v11, v11, v69
	v_dual_add_f32 v9, v9, v19 :: v_dual_fmac_f32 v23, v215, v118
	v_dual_mul_f32 v19, v227, v131 :: v_dual_fma_f32 v69, v214, v118, -v81
	s_delay_alu instid0(VALU_DEP_2) | instskip(SKIP_3) | instid1(VALU_DEP_3)
	v_dual_add_f32 v11, v11, v71 :: v_dual_add_f32 v9, v9, v21
	v_dual_mul_f32 v27, v218, v123 :: v_dual_mul_f32 v29, v220, v125
	s_wait_loadcnt_dscnt 0xd07
	v_dual_mul_f32 v21, v229, v133 :: v_dual_fma_f32 v71, v216, v120, -v83
	v_dual_fmac_f32 v25, v217, v120 :: v_dual_add_f32 v11, v11, v69
	s_delay_alu instid0(VALU_DEP_3) | instskip(SKIP_1) | instid1(VALU_DEP_2)
	v_dual_add_f32 v9, v9, v23 :: v_dual_fmac_f32 v27, v219, v122
	v_dual_mul_f32 v23, v231, v135 :: v_dual_fma_f32 v67, v218, v122, -v67
	v_dual_add_f32 v11, v11, v71 :: v_dual_add_f32 v9, v9, v25
	v_dual_mul_f32 v31, v222, v127 :: v_dual_mul_f32 v33, v224, v129
	s_wait_loadcnt_dscnt 0xc06
	v_dual_mul_f32 v25, v233, v137 :: v_dual_fma_f32 v13, v220, v124, -v13
	s_delay_alu instid0(VALU_DEP_3) | instskip(NEXT) | instid1(VALU_DEP_3)
	v_dual_fmac_f32 v29, v221, v124 :: v_dual_add_f32 v11, v11, v67
	v_dual_add_f32 v9, v9, v27 :: v_dual_fmac_f32 v31, v223, v126
	v_dual_mul_f32 v27, v235, v139 :: v_dual_fma_f32 v15, v222, v126, -v15
	s_delay_alu instid0(VALU_DEP_3) | instskip(NEXT) | instid1(VALU_DEP_3)
	v_dual_add_f32 v11, v11, v13 :: v_dual_fmac_f32 v33, v225, v128
	v_dual_add_f32 v9, v9, v29 :: v_dual_fma_f32 v17, v224, v128, -v17
	v_dual_mul_f32 v35, v226, v131 :: v_dual_mul_f32 v37, v228, v133
	s_wait_loadcnt_dscnt 0xb05
	s_delay_alu instid0(VALU_DEP_3) | instskip(NEXT) | instid1(VALU_DEP_2)
	v_dual_mul_f32 v13, v237, v141 :: v_dual_add_f32 v11, v11, v15
	v_dual_add_f32 v9, v9, v31 :: v_dual_fmac_f32 v35, v227, v130
	v_dual_mul_f32 v15, v239, v143 :: v_dual_fma_f32 v19, v226, v130, -v19
	s_delay_alu instid0(VALU_DEP_3) | instskip(NEXT) | instid1(VALU_DEP_3)
	v_dual_add_f32 v11, v11, v17 :: v_dual_fmac_f32 v37, v229, v132
	v_dual_add_f32 v9, v9, v33 :: v_dual_fma_f32 v21, v228, v132, -v21
	v_dual_mul_f32 v39, v230, v135 :: v_dual_mul_f32 v41, v232, v137
	s_wait_loadcnt_dscnt 0xa04
	s_delay_alu instid0(VALU_DEP_3) | instskip(NEXT) | instid1(VALU_DEP_2)
	v_dual_mul_f32 v17, v241, v145 :: v_dual_add_f32 v11, v11, v19
	;; [unrolled: 9-line block ×5, first 2 shown]
	v_dual_add_f32 v9, v9, v47 :: v_dual_fmac_f32 v51, v243, v146
	v_dual_mul_f32 v15, v255, v159 :: v_dual_fma_f32 v19, v242, v146, -v19
	s_delay_alu instid0(VALU_DEP_3) | instskip(NEXT) | instid1(VALU_DEP_3)
	v_dual_add_f32 v11, v11, v17 :: v_dual_fmac_f32 v53, v245, v148
	v_dual_add_f32 v9, v9, v49 :: v_dual_fma_f32 v21, v244, v148, -v21
	v_dual_mul_f32 v55, v246, v151 :: v_dual_mul_f32 v57, v248, v153
	s_wait_loadcnt 0x6
	s_delay_alu instid0(VALU_DEP_3) | instskip(NEXT) | instid1(VALU_DEP_2)
	v_dual_mul_f32 v17, v185, v161 :: v_dual_add_f32 v11, v11, v19
	v_dual_add_f32 v9, v9, v51 :: v_dual_fmac_f32 v55, v247, v150
	v_dual_mul_f32 v19, v187, v163 :: v_dual_fma_f32 v23, v246, v150, -v23
	s_delay_alu instid0(VALU_DEP_3) | instskip(NEXT) | instid1(VALU_DEP_3)
	v_dual_add_f32 v11, v11, v21 :: v_dual_fmac_f32 v57, v249, v152
	v_dual_add_f32 v9, v9, v53 :: v_dual_fma_f32 v25, v248, v152, -v25
	v_dual_mul_f32 v59, v250, v155 :: v_dual_mul_f32 v61, v252, v157
	s_wait_loadcnt 0x5
	s_delay_alu instid0(VALU_DEP_3) | instskip(NEXT) | instid1(VALU_DEP_3)
	v_dual_mul_f32 v21, v181, v165 :: v_dual_add_f32 v11, v11, v23
	v_dual_add_f32 v9, v9, v55 :: v_dual_mov_b32 v104, v167
	s_delay_alu instid0(VALU_DEP_3) | instskip(NEXT) | instid1(VALU_DEP_3)
	v_fmac_f32_e32 v59, v251, v154
	v_dual_fma_f32 v23, v250, v154, -v27 :: v_dual_add_f32 v11, v11, v25
	s_delay_alu instid0(VALU_DEP_3) | instskip(SKIP_1) | instid1(VALU_DEP_3)
	v_dual_add_f32 v9, v9, v57 :: v_dual_mul_f32 v63, v254, v159
	v_dual_mul_f32 v65, v184, v161 :: v_dual_fmac_f32 v61, v253, v156
	v_dual_add_f32 v11, v11, v23 :: v_dual_fma_f32 v13, v252, v156, -v13
	s_wait_loadcnt 0x4
	s_delay_alu instid0(VALU_DEP_3) | instskip(SKIP_3) | instid1(VALU_DEP_4)
	v_dual_add_f32 v9, v9, v59 :: v_dual_mov_b32 v108, v171
	v_fma_f32 v15, v254, v158, -v15
	v_fmac_f32_e32 v63, v255, v158
	v_dual_add_f32 v11, v11, v13 :: v_dual_fmac_f32 v65, v185, v160
	v_add_f32_e32 v9, v9, v61
	s_set_vgpr_msb 64                       ;  msbs: dst=1 src0=0 src1=0 src2=0
	v_dual_mul_f32 v15 /*v271*/, v186, v163 :: v_dual_mul_f32 v17 /*v273*/, v180, v165
	s_set_vgpr_msb 0                        ;  msbs: dst=0 src0=0 src1=0 src2=0
	v_fma_f32 v13, v184, v160, -v17
	s_set_vgpr_msb 1                        ;  msbs: dst=0 src0=1 src1=0 src2=0
	v_pk_mul_f32 v[104:105], v[6:7] /*v[262:263]*/, v[104:105] op_sel_hi:[1,0]
	s_set_vgpr_msb 0                        ;  msbs: dst=0 src0=0 src1=0 src2=0
	v_add_f32_e32 v9, v9, v63
	v_add_f32_e32 v11, v11, v15
	s_set_vgpr_msb 64                       ;  msbs: dst=1 src0=0 src1=0 src2=0
	v_dual_fmac_f32 v15 /*v271*/, v187, v162 :: v_dual_fmac_f32 v17 /*v273*/, v181, v164
	v_dual_fma_f32 v14 /*v270*/, v186, v162, -v19 :: v_dual_fma_f32 v16 /*v272*/, v180, v164, -v21
	s_set_vgpr_msb 0                        ;  msbs: dst=0 src0=0 src1=0 src2=0
	v_add_f32_e32 v113, v9, v65
	v_pk_fma_f32 v[116:117], v[182:183], v[166:167], v[104:105] op_sel_hi:[1,0,1]
	v_add_f32_e32 v112, v11, v13
	v_pk_fma_f32 v[104:105], v[182:183], v[166:167], v[104:105] neg_lo:[0,0,1] neg_hi:[0,0,1]
	v_pk_mul_f32 v[106:107], v[188:189], v[168:169] op_sel:[1,1] op_sel_hi:[0,1]
	s_set_vgpr_msb 1                        ;  msbs: dst=0 src0=1 src1=0 src2=0
	v_pk_mul_f32 v[108:109], v[8:9] /*v[264:265]*/, v[108:109] op_sel_hi:[1,0]
	s_set_vgpr_msb 4                        ;  msbs: dst=0 src0=0 src1=1 src2=0
	v_mov_b32_e32 v105, v117
	v_pk_add_f32 v[112:113], v[112:113], v[14:15] /*v[270:271]*/
	s_wait_loadcnt 0x3
	s_set_vgpr_msb 0                        ;  msbs: dst=0 src0=0 src1=0 src2=0
	v_pk_mul_f32 v[110:111], v[192:193], v[172:173] op_sel:[1,1] op_sel_hi:[0,1]
	v_pk_fma_f32 v[118:119], v[188:189], v[168:169], v[106:107] op_sel_hi:[1,0,1]
	v_pk_fma_f32 v[106:107], v[188:189], v[168:169], v[106:107] neg_lo:[0,0,1] neg_hi:[0,0,1]
	v_mov_b32_e32 v114, v175
	s_set_vgpr_msb 4                        ;  msbs: dst=0 src0=0 src1=1 src2=0
	v_pk_add_f32 v[112:113], v[112:113], v[16:17] /*v[272:273]*/
	s_wait_loadcnt 0x2
	s_set_vgpr_msb 0                        ;  msbs: dst=0 src0=0 src1=0 src2=0
	v_pk_mul_f32 v[116:117], v[204:205], v[176:177] op_sel:[1,1] op_sel_hi:[0,1]
	v_mov_b32_e32 v107, v119
	v_pk_fma_f32 v[118:119], v[190:191], v[170:171], v[108:109] op_sel_hi:[1,0,1]
	v_pk_fma_f32 v[108:109], v[190:191], v[170:171], v[108:109] neg_lo:[0,0,1] neg_hi:[0,0,1]
	v_pk_add_f32 v[104:105], v[112:113], v[104:105]
	v_pk_fma_f32 v[112:113], v[192:193], v[172:173], v[110:111] op_sel_hi:[1,0,1]
	s_set_vgpr_msb 1                        ;  msbs: dst=0 src0=1 src1=0 src2=0
	v_pk_mul_f32 v[114:115], v[10:11] /*v[266:267]*/, v[114:115] op_sel_hi:[1,0]
	s_set_vgpr_msb 0                        ;  msbs: dst=0 src0=0 src1=0 src2=0
	v_mov_b32_e32 v109, v119
	v_pk_fma_f32 v[110:111], v[192:193], v[172:173], v[110:111] neg_lo:[0,0,1] neg_hi:[0,0,1]
	v_pk_add_f32 v[104:105], v[104:105], v[106:107]
	v_dual_mov_b32 v106, v179 :: v_dual_mov_b32 v111, v113
	v_pk_fma_f32 v[112:113], v[194:195], v[174:175], v[114:115] op_sel_hi:[1,0,1]
	v_pk_fma_f32 v[114:115], v[194:195], v[174:175], v[114:115] neg_lo:[0,0,1] neg_hi:[0,0,1]
	s_delay_alu instid0(VALU_DEP_4)
	v_pk_add_f32 v[104:105], v[104:105], v[108:109]
	v_pk_fma_f32 v[108:109], v[204:205], v[176:177], v[116:117] op_sel_hi:[1,0,1]
	s_set_vgpr_msb 1                        ;  msbs: dst=0 src0=1 src1=0 src2=0
	v_pk_mul_f32 v[106:107], v[12:13] /*v[268:269]*/, v[106:107] op_sel_hi:[1,0]
	s_set_vgpr_msb 0                        ;  msbs: dst=0 src0=0 src1=0 src2=0
	v_mov_b32_e32 v115, v113
	s_wait_loadcnt_dscnt 0x100
	s_set_vgpr_msb 5                        ;  msbs: dst=0 src0=1 src1=1 src2=0
	v_pk_mul_f32 v[112:113], v[4:5] /*v[260:261]*/, v[0:1] /*v[256:257]*/ op_sel:[1,1] op_sel_hi:[0,1]
	s_set_vgpr_msb 0                        ;  msbs: dst=0 src0=0 src1=0 src2=0
	v_pk_add_f32 v[104:105], v[104:105], v[110:111]
	v_pk_fma_f32 v[110:111], v[204:205], v[176:177], v[116:117] neg_lo:[0,0,1] neg_hi:[0,0,1]
	v_mov_b32_e32 v111, v109
	v_pk_fma_f32 v[108:109], v[206:207], v[178:179], v[106:107] op_sel_hi:[1,0,1]
	v_pk_fma_f32 v[106:107], v[206:207], v[178:179], v[106:107] neg_lo:[0,0,1] neg_hi:[0,0,1]
	v_pk_add_f32 v[104:105], v[104:105], v[114:115]
	s_delay_alu instid0(VALU_DEP_3)
	v_mov_b32_e32 v107, v109
	s_set_vgpr_msb 5                        ;  msbs: dst=0 src0=1 src1=1 src2=0
	v_pk_fma_f32 v[108:109], v[4:5] /*v[260:261]*/, v[0:1] /*v[256:257]*/, v[112:113] op_sel_hi:[1,0,1]
	s_set_vgpr_msb 0                        ;  msbs: dst=0 src0=0 src1=0 src2=0
	v_pk_add_f32 v[104:105], v[104:105], v[110:111]
	s_set_vgpr_msb 5                        ;  msbs: dst=0 src0=1 src1=1 src2=0
	v_pk_fma_f32 v[110:111], v[4:5] /*v[260:261]*/, v[0:1] /*v[256:257]*/, v[112:113] neg_lo:[0,0,1] neg_hi:[0,0,1]
	s_set_vgpr_msb 0                        ;  msbs: dst=0 src0=0 src1=0 src2=0
	v_mov_b32_e32 v111, v109
	v_pk_add_f32 v[104:105], v[104:105], v[106:107]
	s_delay_alu instid0(VALU_DEP_1) | instskip(SKIP_2) | instid1(VALU_DEP_1)
	v_pk_add_f32 v[104:105], v[104:105], v[110:111]
	s_wait_loadcnt 0x0
	s_set_vgpr_msb 1                        ;  msbs: dst=0 src0=1 src1=0 src2=0
	v_pk_add_f32 v[104:105], v[2:3] /*v[258:259]*/, v[104:105] neg_lo:[0,1] neg_hi:[0,1]
	scratch_store_b64 off, v[104:105], off offset:88
	s_wait_xcnt 0x0
	v_cmpx_lt_u32_e32 10, v0
	s_set_vgpr_msb 0                        ;  msbs: dst=0 src0=0 src1=0 src2=0
	s_cbranch_execz .LBB114_299
; %bb.298:
	scratch_load_b64 v[104:105], off, off offset:80
	v_mov_b64_e32 v[106:107], 0
	scratch_store_b64 off, v[106:107], off offset:80
	s_wait_loadcnt 0x0
	ds_store_b64 v1, v[104:105]
.LBB114_299:
	s_wait_xcnt 0x0
	s_or_b32 exec_lo, exec_lo, s0
	s_wait_storecnt_dscnt 0x0
	s_barrier_signal -1
	s_barrier_wait -1
	s_clause 0xf
	scratch_load_b128 v[108:111], off, off offset:88
	scratch_load_b128 v[116:119], off, off offset:104
	;; [unrolled: 1-line block ×16, first 2 shown]
	ds_load_2addr_b64 v[104:107], v7 offset0:63 offset1:64
	ds_load_2addr_b64 v[112:115], v7 offset0:65 offset1:66
	;; [unrolled: 1-line block ×16, first 2 shown]
	s_clause 0x3
	scratch_load_b128 v[232:235], off, off offset:344
	scratch_load_b128 v[236:239], off, off offset:360
	;; [unrolled: 1-line block ×4, first 2 shown]
	s_mov_b32 s0, exec_lo
	s_wait_loadcnt_dscnt 0x130f
	v_dual_mul_f32 v9, v104, v109 :: v_dual_mul_f32 v11, v106, v111
	s_wait_loadcnt_dscnt 0x100c
	v_dual_mul_f32 v251, v224, v229 :: v_dual_mul_f32 v253, v226, v231
	s_delay_alu instid0(VALU_DEP_2) | instskip(NEXT) | instid1(VALU_DEP_2)
	v_dual_fmac_f32 v9, v105, v108 :: v_dual_fmac_f32 v11, v107, v110
	v_dual_fmac_f32 v251, v225, v228 :: v_dual_fmac_f32 v253, v227, v230
	s_delay_alu instid0(VALU_DEP_2) | instskip(NEXT) | instid1(VALU_DEP_1)
	v_add_f32_e32 v9, 0, v9
	v_dual_add_f32 v9, v9, v11 :: v_dual_mul_f32 v11, v112, v117
	s_delay_alu instid0(VALU_DEP_1) | instskip(NEXT) | instid1(VALU_DEP_1)
	v_fmac_f32_e32 v11, v113, v116
	v_add_f32_e32 v9, v9, v11
	v_mul_f32_e32 v11, v114, v119
	s_delay_alu instid0(VALU_DEP_1) | instskip(SKIP_1) | instid1(VALU_DEP_1)
	v_fmac_f32_e32 v11, v115, v118
	s_wait_loadcnt_dscnt 0xf0b
	v_dual_add_f32 v9, v9, v11 :: v_dual_mul_f32 v11, v120, v125
	s_delay_alu instid0(VALU_DEP_1) | instskip(NEXT) | instid1(VALU_DEP_1)
	v_fmac_f32_e32 v11, v121, v124
	v_add_f32_e32 v9, v9, v11
	v_mul_f32_e32 v11, v122, v127
	s_delay_alu instid0(VALU_DEP_1) | instskip(SKIP_1) | instid1(VALU_DEP_1)
	v_fmac_f32_e32 v11, v123, v126
	s_wait_loadcnt_dscnt 0xe0a
	;; [unrolled: 8-line block ×12, first 2 shown]
	v_dual_add_f32 v9, v9, v11 :: v_dual_mul_f32 v11, v208, v213
	s_delay_alu instid0(VALU_DEP_1) | instskip(NEXT) | instid1(VALU_DEP_1)
	v_fmac_f32_e32 v11, v209, v212
	v_add_f32_e32 v9, v9, v11
	v_mul_f32_e32 v11, v210, v215
	s_delay_alu instid0(VALU_DEP_1) | instskip(NEXT) | instid1(VALU_DEP_1)
	v_fmac_f32_e32 v11, v211, v214
	v_dual_add_f32 v9, v9, v11 :: v_dual_mul_f32 v11, v216, v221
	s_delay_alu instid0(VALU_DEP_1) | instskip(NEXT) | instid1(VALU_DEP_1)
	v_fmac_f32_e32 v11, v217, v220
	v_add_f32_e32 v9, v9, v11
	v_mul_f32_e32 v11, v218, v223
	s_delay_alu instid0(VALU_DEP_1) | instskip(NEXT) | instid1(VALU_DEP_1)
	v_fmac_f32_e32 v11, v219, v222
	v_add_f32_e32 v249, v9, v11
	v_dual_mul_f32 v9, v105, v109 :: v_dual_mul_f32 v11, v107, v111
	s_delay_alu instid0(VALU_DEP_1) | instskip(NEXT) | instid1(VALU_DEP_1)
	v_dual_fma_f32 v9, v104, v108, -v9 :: v_dual_fma_f32 v11, v106, v110, -v11
	v_add_f32_e32 v9, 0, v9
	s_delay_alu instid0(VALU_DEP_1) | instskip(SKIP_1) | instid1(VALU_DEP_1)
	v_add_f32_e32 v9, v9, v11
	v_mul_f32_e32 v11, v113, v117
	v_fma_f32 v11, v112, v116, -v11
	s_delay_alu instid0(VALU_DEP_1) | instskip(SKIP_1) | instid1(VALU_DEP_1)
	v_add_f32_e32 v9, v9, v11
	v_mul_f32_e32 v11, v115, v119
	v_fma_f32 v11, v114, v118, -v11
	ds_load_2addr_b64 v[104:107], v7 offset0:95 offset1:96
	ds_load_2addr_b64 v[108:111], v7 offset0:97 offset1:98
	;; [unrolled: 1-line block ×4, first 2 shown]
	v_add_f32_e32 v9, v9, v11
	v_mul_f32_e32 v11, v121, v125
	s_delay_alu instid0(VALU_DEP_1) | instskip(NEXT) | instid1(VALU_DEP_1)
	v_fma_f32 v11, v120, v124, -v11
	v_add_f32_e32 v9, v9, v11
	v_mul_f32_e32 v11, v123, v127
	s_delay_alu instid0(VALU_DEP_1) | instskip(SKIP_2) | instid1(VALU_DEP_2)
	v_fma_f32 v11, v122, v126, -v11
	s_wait_loadcnt_dscnt 0x303
	v_pk_mul_f32 v[122:123], v[104:105], v[232:233] op_sel:[1,1] op_sel_hi:[0,1]
	v_add_f32_e32 v9, v9, v11
	v_mul_f32_e32 v11, v129, v133
	s_delay_alu instid0(VALU_DEP_3) | instskip(SKIP_1) | instid1(VALU_DEP_3)
	v_pk_fma_f32 v[124:125], v[104:105], v[232:233], v[122:123] neg_lo:[0,0,1] neg_hi:[0,0,1]
	v_pk_fma_f32 v[104:105], v[104:105], v[232:233], v[122:123] op_sel_hi:[1,0,1]
	v_dual_mov_b32 v122, v235 :: v_dual_fma_f32 v11, v128, v132, -v11
	s_delay_alu instid0(VALU_DEP_2) | instskip(NEXT) | instid1(VALU_DEP_2)
	v_mov_b32_e32 v125, v105
	v_add_f32_e32 v9, v9, v11
	v_mul_f32_e32 v11, v131, v135
	s_delay_alu instid0(VALU_DEP_1) | instskip(NEXT) | instid1(VALU_DEP_1)
	v_fma_f32 v11, v130, v134, -v11
	v_add_f32_e32 v9, v9, v11
	v_mul_f32_e32 v11, v137, v141
	s_delay_alu instid0(VALU_DEP_1) | instskip(NEXT) | instid1(VALU_DEP_1)
	v_fma_f32 v11, v136, v140, -v11
	;; [unrolled: 4-line block ×23, first 2 shown]
	v_add_f32_e32 v248, v9, v11
	v_mul_f32_e32 v9, v225, v229
	s_delay_alu instid0(VALU_DEP_1) | instskip(NEXT) | instid1(VALU_DEP_1)
	v_dual_fma_f32 v250, v224, v228, -v9 :: v_dual_mul_f32 v9, v227, v231
	v_pk_add_f32 v[120:121], v[248:249], v[250:251]
	s_delay_alu instid0(VALU_DEP_2) | instskip(NEXT) | instid1(VALU_DEP_1)
	v_fma_f32 v252, v226, v230, -v9
	v_pk_add_f32 v[120:121], v[120:121], v[252:253]
	s_delay_alu instid0(VALU_DEP_1) | instskip(SKIP_1) | instid1(VALU_DEP_1)
	v_pk_add_f32 v[104:105], v[120:121], v[124:125]
	v_dual_mov_b32 v120, v107 :: v_dual_mov_b32 v121, v106
	v_pk_mul_f32 v[120:121], v[120:121], v[122:123] op_sel_hi:[1,0]
	s_delay_alu instid0(VALU_DEP_1) | instskip(SKIP_1) | instid1(VALU_DEP_1)
	v_pk_fma_f32 v[122:123], v[106:107], v[234:235], v[120:121] neg_lo:[0,0,1] neg_hi:[0,0,1]
	v_pk_fma_f32 v[106:107], v[106:107], v[234:235], v[120:121] op_sel_hi:[1,0,1]
	v_mov_b32_e32 v123, v107
	s_wait_loadcnt_dscnt 0x202
	v_pk_mul_f32 v[106:107], v[108:109], v[236:237] op_sel:[1,1] op_sel_hi:[0,1]
	s_delay_alu instid0(VALU_DEP_2) | instskip(NEXT) | instid1(VALU_DEP_2)
	v_pk_add_f32 v[104:105], v[104:105], v[122:123]
	v_pk_fma_f32 v[120:121], v[108:109], v[236:237], v[106:107] neg_lo:[0,0,1] neg_hi:[0,0,1]
	v_pk_fma_f32 v[106:107], v[108:109], v[236:237], v[106:107] op_sel_hi:[1,0,1]
	v_dual_mov_b32 v106, v111 :: v_dual_mov_b32 v108, v239
	s_delay_alu instid0(VALU_DEP_2) | instskip(NEXT) | instid1(VALU_DEP_1)
	v_dual_mov_b32 v121, v107 :: v_dual_mov_b32 v107, v110
	v_pk_add_f32 v[104:105], v[104:105], v[120:121]
	s_delay_alu instid0(VALU_DEP_2) | instskip(NEXT) | instid1(VALU_DEP_1)
	v_pk_mul_f32 v[106:107], v[106:107], v[108:109] op_sel_hi:[1,0]
	v_pk_fma_f32 v[108:109], v[110:111], v[238:239], v[106:107] neg_lo:[0,0,1] neg_hi:[0,0,1]
	v_pk_fma_f32 v[106:107], v[110:111], v[238:239], v[106:107] op_sel_hi:[1,0,1]
	s_delay_alu instid0(VALU_DEP_1) | instskip(SKIP_2) | instid1(VALU_DEP_2)
	v_mov_b32_e32 v109, v107
	s_wait_loadcnt_dscnt 0x101
	v_pk_mul_f32 v[106:107], v[112:113], v[240:241] op_sel:[1,1] op_sel_hi:[0,1]
	v_pk_add_f32 v[104:105], v[104:105], v[108:109]
	s_delay_alu instid0(VALU_DEP_2) | instskip(SKIP_1) | instid1(VALU_DEP_1)
	v_pk_fma_f32 v[108:109], v[112:113], v[240:241], v[106:107] neg_lo:[0,0,1] neg_hi:[0,0,1]
	v_pk_fma_f32 v[106:107], v[112:113], v[240:241], v[106:107] op_sel_hi:[1,0,1]
	v_dual_mov_b32 v106, v115 :: v_dual_mov_b32 v109, v107
	v_mov_b32_e32 v107, v114
	s_delay_alu instid0(VALU_DEP_2) | instskip(SKIP_1) | instid1(VALU_DEP_1)
	v_pk_add_f32 v[104:105], v[104:105], v[108:109]
	v_mov_b32_e32 v108, v243
	v_pk_mul_f32 v[106:107], v[106:107], v[108:109] op_sel_hi:[1,0]
	s_delay_alu instid0(VALU_DEP_1) | instskip(SKIP_1) | instid1(VALU_DEP_1)
	v_pk_fma_f32 v[108:109], v[114:115], v[242:243], v[106:107] neg_lo:[0,0,1] neg_hi:[0,0,1]
	v_pk_fma_f32 v[106:107], v[114:115], v[242:243], v[106:107] op_sel_hi:[1,0,1]
	v_mov_b32_e32 v109, v107
	s_wait_loadcnt_dscnt 0x0
	v_pk_mul_f32 v[106:107], v[116:117], v[244:245] op_sel:[1,1] op_sel_hi:[0,1]
	s_delay_alu instid0(VALU_DEP_2) | instskip(NEXT) | instid1(VALU_DEP_2)
	v_pk_add_f32 v[104:105], v[104:105], v[108:109]
	v_pk_fma_f32 v[108:109], v[116:117], v[244:245], v[106:107] neg_lo:[0,0,1] neg_hi:[0,0,1]
	v_pk_fma_f32 v[106:107], v[116:117], v[244:245], v[106:107] op_sel_hi:[1,0,1]
	s_delay_alu instid0(VALU_DEP_1) | instskip(SKIP_1) | instid1(VALU_DEP_2)
	v_dual_mov_b32 v106, v119 :: v_dual_mov_b32 v109, v107
	v_mov_b32_e32 v107, v118
	v_pk_add_f32 v[104:105], v[104:105], v[108:109]
	v_mov_b32_e32 v108, v247
	s_delay_alu instid0(VALU_DEP_1) | instskip(NEXT) | instid1(VALU_DEP_1)
	v_pk_mul_f32 v[106:107], v[106:107], v[108:109] op_sel_hi:[1,0]
	v_pk_fma_f32 v[108:109], v[118:119], v[246:247], v[106:107] neg_lo:[0,0,1] neg_hi:[0,0,1]
	v_pk_fma_f32 v[106:107], v[118:119], v[246:247], v[106:107] op_sel_hi:[1,0,1]
	s_delay_alu instid0(VALU_DEP_1) | instskip(SKIP_3) | instid1(VALU_DEP_1)
	v_mov_b32_e32 v109, v107
	scratch_load_b64 v[106:107], off, off offset:80
	v_pk_add_f32 v[104:105], v[104:105], v[108:109]
	s_wait_loadcnt 0x0
	v_pk_add_f32 v[104:105], v[106:107], v[104:105] neg_lo:[0,1] neg_hi:[0,1]
	scratch_store_b64 off, v[104:105], off offset:80
	s_wait_xcnt 0x0
	v_cmpx_lt_u32_e32 9, v0
	s_cbranch_execz .LBB114_301
; %bb.300:
	scratch_load_b64 v[104:105], off, off offset:72
	v_mov_b64_e32 v[106:107], 0
	scratch_store_b64 off, v[106:107], off offset:72
	s_wait_loadcnt 0x0
	ds_store_b64 v1, v[104:105]
.LBB114_301:
	s_wait_xcnt 0x0
	s_or_b32 exec_lo, exec_lo, s0
	v_mov_b32_e32 v7, 0
	s_wait_storecnt_dscnt 0x0
	s_barrier_signal -1
	s_barrier_wait -1
	ds_load_b128 v[104:107], v7 offset:496
	ds_load_b128 v[108:111], v7 offset:512
	;; [unrolled: 1-line block ×4, first 2 shown]
	s_clause 0x10
	scratch_load_b128 v[120:123], off, off offset:80
	scratch_load_b128 v[124:127], off, off offset:96
	;; [unrolled: 1-line block ×17, first 2 shown]
	s_mov_b32 s0, exec_lo
	s_wait_loadcnt_dscnt 0x1003
	v_mul_f32_e32 v9, v104, v121
	ds_load_b128 v[216:219], v7 offset:720
	ds_load_b128 v[224:227], v7 offset:736
	ds_load_b128 v[136:139], v7 offset:560
	ds_load_b128 v[144:147], v7 offset:576
	v_dual_fmac_f32 v9, v105, v120 :: v_dual_mul_f32 v11, v106, v123
	ds_load_b128 v[232:235], v7 offset:752
	ds_load_b128 v[152:155], v7 offset:592
	;; [unrolled: 1-line block ×3, first 2 shown]
	v_dual_add_f32 v9, 0, v9 :: v_dual_fmac_f32 v11, v107, v122
	ds_load_b128 v[168:171], v7 offset:624
	ds_load_b128 v[176:179], v7 offset:640
	;; [unrolled: 1-line block ×4, first 2 shown]
	s_wait_loadcnt_dscnt 0xf0d
	v_dual_add_f32 v9, v9, v11 :: v_dual_mul_f32 v11, v108, v125
	ds_load_b128 v[200:203], v7 offset:688
	ds_load_b128 v[208:211], v7 offset:704
	s_clause 0x4
	scratch_load_b128 v[240:243], off, off offset:352
	scratch_load_b128 v[244:247], off, off offset:368
	;; [unrolled: 1-line block ×3, first 2 shown]
	s_set_vgpr_msb 64                       ;  msbs: dst=1 src0=0 src1=0 src2=0
	scratch_load_b64 v[2:3] /*v[258:259]*/, off, off offset:400
	s_wait_loadcnt_dscnt 0x110b
	s_set_vgpr_msb 0                        ;  msbs: dst=0 src0=0 src1=0 src2=0
	v_dual_fmac_f32 v11, v109, v124 :: v_dual_mul_f32 v255, v226, v231
	s_delay_alu instid0(VALU_DEP_1) | instskip(NEXT) | instid1(VALU_DEP_2)
	v_add_f32_e32 v9, v9, v11
	v_dual_mul_f32 v11, v110, v127 :: v_dual_fmac_f32 v255, v227, v230
	s_delay_alu instid0(VALU_DEP_1) | instskip(SKIP_1) | instid1(VALU_DEP_1)
	v_fmac_f32_e32 v11, v111, v126
	s_wait_loadcnt 0x10
	v_dual_add_f32 v9, v9, v11 :: v_dual_mul_f32 v11, v112, v129
	s_delay_alu instid0(VALU_DEP_1) | instskip(NEXT) | instid1(VALU_DEP_1)
	v_fmac_f32_e32 v11, v113, v128
	v_add_f32_e32 v9, v9, v11
	v_mul_f32_e32 v11, v114, v131
	s_delay_alu instid0(VALU_DEP_1) | instskip(SKIP_1) | instid1(VALU_DEP_1)
	v_fmac_f32_e32 v11, v115, v130
	s_wait_loadcnt 0xf
	v_dual_add_f32 v9, v9, v11 :: v_dual_mul_f32 v11, v116, v133
	s_delay_alu instid0(VALU_DEP_1) | instskip(NEXT) | instid1(VALU_DEP_1)
	v_fmac_f32_e32 v11, v117, v132
	v_add_f32_e32 v9, v9, v11
	v_mul_f32_e32 v11, v118, v135
	s_delay_alu instid0(VALU_DEP_1) | instskip(SKIP_1) | instid1(VALU_DEP_1)
	v_fmac_f32_e32 v11, v119, v134
	s_wait_loadcnt_dscnt 0xe0a
	v_dual_add_f32 v9, v9, v11 :: v_dual_mul_f32 v11, v136, v141
	s_delay_alu instid0(VALU_DEP_1) | instskip(NEXT) | instid1(VALU_DEP_1)
	v_fmac_f32_e32 v11, v137, v140
	v_add_f32_e32 v9, v9, v11
	v_mul_f32_e32 v11, v138, v143
	s_delay_alu instid0(VALU_DEP_1) | instskip(SKIP_1) | instid1(VALU_DEP_1)
	v_fmac_f32_e32 v11, v139, v142
	s_wait_loadcnt_dscnt 0xd09
	;; [unrolled: 8-line block ×10, first 2 shown]
	v_dual_add_f32 v9, v9, v11 :: v_dual_mul_f32 v11, v208, v213
	s_delay_alu instid0(VALU_DEP_1) | instskip(NEXT) | instid1(VALU_DEP_1)
	v_fmac_f32_e32 v11, v209, v212
	v_add_f32_e32 v9, v9, v11
	v_mul_f32_e32 v11, v210, v215
	s_delay_alu instid0(VALU_DEP_1) | instskip(NEXT) | instid1(VALU_DEP_1)
	v_fmac_f32_e32 v11, v211, v214
	v_dual_add_f32 v9, v9, v11 :: v_dual_mul_f32 v11, v216, v221
	s_delay_alu instid0(VALU_DEP_1) | instskip(NEXT) | instid1(VALU_DEP_1)
	v_fmac_f32_e32 v11, v217, v220
	v_add_f32_e32 v9, v9, v11
	v_mul_f32_e32 v11, v218, v223
	s_delay_alu instid0(VALU_DEP_1) | instskip(NEXT) | instid1(VALU_DEP_1)
	v_fmac_f32_e32 v11, v219, v222
	v_dual_add_f32 v9, v9, v11 :: v_dual_mul_f32 v11, v224, v229
	s_delay_alu instid0(VALU_DEP_1) | instskip(NEXT) | instid1(VALU_DEP_1)
	v_fmac_f32_e32 v11, v225, v228
	v_add_f32_e32 v253, v9, v11
	v_dual_mul_f32 v9, v105, v121 :: v_dual_mul_f32 v11, v107, v123
	s_delay_alu instid0(VALU_DEP_1) | instskip(NEXT) | instid1(VALU_DEP_2)
	v_dual_mov_b32 v121, v234 :: v_dual_fma_f32 v9, v104, v120, -v9
	v_dual_fma_f32 v11, v106, v122, -v11 :: v_dual_mov_b32 v120, v235
	s_wait_loadcnt 0x4
	s_delay_alu instid0(VALU_DEP_2) | instskip(NEXT) | instid1(VALU_DEP_1)
	v_dual_mov_b32 v122, v239 :: v_dual_add_f32 v9, 0, v9
	v_pk_mul_f32 v[120:121], v[120:121], v[122:123] op_sel_hi:[1,0]
	s_delay_alu instid0(VALU_DEP_2) | instskip(SKIP_1) | instid1(VALU_DEP_3)
	v_add_f32_e32 v9, v9, v11
	v_mul_f32_e32 v11, v109, v125
	v_pk_fma_f32 v[122:123], v[234:235], v[238:239], v[120:121] neg_lo:[0,0,1] neg_hi:[0,0,1]
	v_pk_fma_f32 v[120:121], v[234:235], v[238:239], v[120:121] op_sel_hi:[1,0,1]
	s_delay_alu instid0(VALU_DEP_1) | instskip(NEXT) | instid1(VALU_DEP_1)
	v_dual_fma_f32 v11, v108, v124, -v11 :: v_dual_mov_b32 v123, v121
	v_add_f32_e32 v9, v9, v11
	v_mul_f32_e32 v11, v111, v127
	s_delay_alu instid0(VALU_DEP_1) | instskip(NEXT) | instid1(VALU_DEP_1)
	v_fma_f32 v11, v110, v126, -v11
	v_add_f32_e32 v9, v9, v11
	v_mul_f32_e32 v11, v113, v129
	s_delay_alu instid0(VALU_DEP_1) | instskip(NEXT) | instid1(VALU_DEP_1)
	v_fma_f32 v11, v112, v128, -v11
	;; [unrolled: 4-line block ×3, first 2 shown]
	v_add_f32_e32 v9, v9, v11
	v_mul_f32_e32 v11, v117, v133
	s_delay_alu instid0(VALU_DEP_1)
	v_fma_f32 v11, v116, v132, -v11
	ds_load_b128 v[104:107], v7 offset:768
	ds_load_b128 v[108:111], v7 offset:784
	;; [unrolled: 1-line block ×3, first 2 shown]
	ds_load_b64 v[116:117], v7 offset:816
	v_add_f32_e32 v9, v9, v11
	v_mul_f32_e32 v11, v119, v135
	s_delay_alu instid0(VALU_DEP_1) | instskip(NEXT) | instid1(VALU_DEP_1)
	v_fma_f32 v11, v118, v134, -v11
	v_add_f32_e32 v9, v9, v11
	v_mul_f32_e32 v11, v137, v141
	s_wait_loadcnt_dscnt 0x303
	v_pk_mul_f32 v[120:121], v[104:105], v[240:241] op_sel:[1,1] op_sel_hi:[0,1]
	s_delay_alu instid0(VALU_DEP_2) | instskip(NEXT) | instid1(VALU_DEP_1)
	v_fma_f32 v11, v136, v140, -v11
	v_add_f32_e32 v9, v9, v11
	v_mul_f32_e32 v11, v139, v143
	s_delay_alu instid0(VALU_DEP_1) | instskip(NEXT) | instid1(VALU_DEP_1)
	v_fma_f32 v11, v138, v142, -v11
	v_add_f32_e32 v9, v9, v11
	v_mul_f32_e32 v11, v145, v149
	s_delay_alu instid0(VALU_DEP_1) | instskip(NEXT) | instid1(VALU_DEP_1)
	;; [unrolled: 4-line block ×22, first 2 shown]
	v_fma_f32 v11, v224, v228, -v11
	v_add_f32_e32 v252, v9, v11
	v_mul_f32_e32 v9, v227, v231
	s_delay_alu instid0(VALU_DEP_1) | instskip(SKIP_3) | instid1(VALU_DEP_2)
	v_dual_fma_f32 v254, v226, v230, -v9 :: v_dual_mul_f32 v9, v233, v237
	s_set_vgpr_msb 64                       ;  msbs: dst=1 src0=0 src1=0 src2=0
	v_mul_f32_e32 v1 /*v257*/, v232, v237
	s_set_vgpr_msb 0                        ;  msbs: dst=0 src0=0 src1=0 src2=0
	v_pk_add_f32 v[118:119], v[252:253], v[254:255]
	s_set_vgpr_msb 64                       ;  msbs: dst=1 src0=0 src1=0 src2=0
	v_fma_f32 v0 /*v256*/, v232, v236, -v9
	v_fmac_f32_e32 v1 /*v257*/, v233, v236
	s_set_vgpr_msb 4                        ;  msbs: dst=0 src0=0 src1=1 src2=0
	s_delay_alu instid0(VALU_DEP_1) | instskip(SKIP_1) | instid1(VALU_DEP_1)
	v_pk_add_f32 v[118:119], v[118:119], v[0:1] /*v[256:257]*/
	s_set_vgpr_msb 0                        ;  msbs: dst=0 src0=0 src1=0 src2=0
	v_pk_add_f32 v[118:119], v[118:119], v[122:123]
	v_pk_fma_f32 v[122:123], v[104:105], v[240:241], v[120:121] neg_lo:[0,0,1] neg_hi:[0,0,1]
	v_pk_fma_f32 v[104:105], v[104:105], v[240:241], v[120:121] op_sel_hi:[1,0,1]
	s_delay_alu instid0(VALU_DEP_1) | instskip(NEXT) | instid1(VALU_DEP_1)
	v_dual_mov_b32 v120, v243 :: v_dual_mov_b32 v123, v105
	v_pk_add_f32 v[104:105], v[118:119], v[122:123]
	v_dual_mov_b32 v118, v107 :: v_dual_mov_b32 v119, v106
	s_delay_alu instid0(VALU_DEP_1) | instskip(NEXT) | instid1(VALU_DEP_1)
	v_pk_mul_f32 v[118:119], v[118:119], v[120:121] op_sel_hi:[1,0]
	v_pk_fma_f32 v[120:121], v[106:107], v[242:243], v[118:119] neg_lo:[0,0,1] neg_hi:[0,0,1]
	v_pk_fma_f32 v[106:107], v[106:107], v[242:243], v[118:119] op_sel_hi:[1,0,1]
	s_delay_alu instid0(VALU_DEP_1) | instskip(SKIP_2) | instid1(VALU_DEP_2)
	v_mov_b32_e32 v121, v107
	s_wait_loadcnt_dscnt 0x202
	v_pk_mul_f32 v[106:107], v[108:109], v[244:245] op_sel:[1,1] op_sel_hi:[0,1]
	v_pk_add_f32 v[104:105], v[104:105], v[120:121]
	s_delay_alu instid0(VALU_DEP_2) | instskip(SKIP_2) | instid1(VALU_DEP_2)
	v_pk_fma_f32 v[118:119], v[108:109], v[244:245], v[106:107] neg_lo:[0,0,1] neg_hi:[0,0,1]
	v_pk_fma_f32 v[106:107], v[108:109], v[244:245], v[106:107] op_sel_hi:[1,0,1]
	v_dual_mov_b32 v106, v111 :: v_dual_mov_b32 v108, v247
	v_dual_mov_b32 v119, v107 :: v_dual_mov_b32 v107, v110
	s_delay_alu instid0(VALU_DEP_1) | instskip(NEXT) | instid1(VALU_DEP_2)
	v_pk_add_f32 v[104:105], v[104:105], v[118:119]
	v_pk_mul_f32 v[106:107], v[106:107], v[108:109] op_sel_hi:[1,0]
	s_delay_alu instid0(VALU_DEP_1) | instskip(SKIP_1) | instid1(VALU_DEP_1)
	v_pk_fma_f32 v[108:109], v[110:111], v[246:247], v[106:107] neg_lo:[0,0,1] neg_hi:[0,0,1]
	v_pk_fma_f32 v[106:107], v[110:111], v[246:247], v[106:107] op_sel_hi:[1,0,1]
	v_mov_b32_e32 v109, v107
	s_wait_loadcnt_dscnt 0x101
	v_pk_mul_f32 v[106:107], v[112:113], v[248:249] op_sel:[1,1] op_sel_hi:[0,1]
	s_delay_alu instid0(VALU_DEP_2) | instskip(NEXT) | instid1(VALU_DEP_2)
	v_pk_add_f32 v[104:105], v[104:105], v[108:109]
	v_pk_fma_f32 v[108:109], v[112:113], v[248:249], v[106:107] neg_lo:[0,0,1] neg_hi:[0,0,1]
	v_pk_fma_f32 v[106:107], v[112:113], v[248:249], v[106:107] op_sel_hi:[1,0,1]
	s_delay_alu instid0(VALU_DEP_1) | instskip(SKIP_1) | instid1(VALU_DEP_2)
	v_dual_mov_b32 v106, v115 :: v_dual_mov_b32 v109, v107
	v_mov_b32_e32 v107, v114
	v_pk_add_f32 v[104:105], v[104:105], v[108:109]
	v_mov_b32_e32 v108, v251
	s_delay_alu instid0(VALU_DEP_1) | instskip(NEXT) | instid1(VALU_DEP_1)
	v_pk_mul_f32 v[106:107], v[106:107], v[108:109] op_sel_hi:[1,0]
	v_pk_fma_f32 v[108:109], v[114:115], v[250:251], v[106:107] neg_lo:[0,0,1] neg_hi:[0,0,1]
	v_pk_fma_f32 v[106:107], v[114:115], v[250:251], v[106:107] op_sel_hi:[1,0,1]
	s_delay_alu instid0(VALU_DEP_1)
	v_mov_b32_e32 v109, v107
	s_wait_loadcnt_dscnt 0x0
	s_set_vgpr_msb 4                        ;  msbs: dst=0 src0=0 src1=1 src2=0
	v_pk_mul_f32 v[106:107], v[116:117], v[2:3] /*v[258:259]*/ op_sel:[1,1] op_sel_hi:[0,1]
	s_set_vgpr_msb 0                        ;  msbs: dst=0 src0=0 src1=0 src2=0
	v_pk_add_f32 v[104:105], v[104:105], v[108:109]
	s_set_vgpr_msb 4                        ;  msbs: dst=0 src0=0 src1=1 src2=0
	s_delay_alu instid0(VALU_DEP_2) | instskip(SKIP_1) | instid1(VALU_DEP_1)
	v_pk_fma_f32 v[108:109], v[116:117], v[2:3] /*v[258:259]*/, v[106:107] neg_lo:[0,0,1] neg_hi:[0,0,1]
	v_pk_fma_f32 v[106:107], v[116:117], v[2:3] /*v[258:259]*/, v[106:107] op_sel_hi:[1,0,1]
	v_mov_b32_e32 v109, v107
	scratch_load_b64 v[106:107], off, off offset:72
	s_set_vgpr_msb 0                        ;  msbs: dst=0 src0=0 src1=0 src2=0
	v_pk_add_f32 v[104:105], v[104:105], v[108:109]
	s_wait_loadcnt 0x0
	s_delay_alu instid0(VALU_DEP_1)
	v_pk_add_f32 v[104:105], v[106:107], v[104:105] neg_lo:[0,1] neg_hi:[0,1]
	scratch_store_b64 off, v[104:105], off offset:72
	s_wait_xcnt 0x0
	v_cmpx_lt_u32_e32 8, v0
	s_cbranch_execz .LBB114_303
; %bb.302:
	scratch_load_b64 v[104:105], off, off offset:64
	v_mov_b64_e32 v[106:107], 0
	scratch_store_b64 off, v[106:107], off offset:64
	s_wait_loadcnt 0x0
	ds_store_b64 v1, v[104:105]
.LBB114_303:
	s_wait_xcnt 0x0
	s_or_b32 exec_lo, exec_lo, s0
	s_wait_storecnt_dscnt 0x0
	s_barrier_signal -1
	s_barrier_wait -1
	s_clause 0xf
	scratch_load_b128 v[108:111], off, off offset:72
	scratch_load_b128 v[116:119], off, off offset:88
	;; [unrolled: 1-line block ×16, first 2 shown]
	ds_load_2addr_b64 v[104:107], v7 offset0:61 offset1:62
	ds_load_2addr_b64 v[112:115], v7 offset0:63 offset1:64
	;; [unrolled: 1-line block ×7, first 2 shown]
	scratch_load_b128 v[236:239], off, off offset:328
	ds_load_2addr_b64 v[152:155], v7 offset0:73 offset1:74
	ds_load_2addr_b64 v[160:163], v7 offset0:75 offset1:76
	;; [unrolled: 1-line block ×10, first 2 shown]
	s_clause 0x3
	scratch_load_b128 v[240:243], off, off offset:344
	scratch_load_b128 v[244:247], off, off offset:360
	;; [unrolled: 1-line block ×4, first 2 shown]
	s_mov_b32 s0, exec_lo
	s_wait_loadcnt_dscnt 0x1410
	v_dual_mul_f32 v9, v104, v109 :: v_dual_mul_f32 v11, v106, v111
	s_delay_alu instid0(VALU_DEP_1) | instskip(NEXT) | instid1(VALU_DEP_1)
	v_dual_fmac_f32 v9, v105, v108 :: v_dual_fmac_f32 v11, v107, v110
	v_add_f32_e32 v9, 0, v9
	s_wait_loadcnt_dscnt 0x130f
	s_delay_alu instid0(VALU_DEP_1) | instskip(NEXT) | instid1(VALU_DEP_1)
	v_dual_add_f32 v9, v9, v11 :: v_dual_mul_f32 v11, v112, v117
	v_fmac_f32_e32 v11, v113, v116
	s_wait_loadcnt_dscnt 0x40a
	s_set_vgpr_msb 64                       ;  msbs: dst=1 src0=0 src1=0 src2=0
	v_dual_mul_f32 v3 /*v259*/, v232, v237 :: v_dual_mul_f32 v5 /*v261*/, v234, v239
	s_set_vgpr_msb 0                        ;  msbs: dst=0 src0=0 src1=0 src2=0
	v_add_f32_e32 v9, v9, v11
	v_mul_f32_e32 v11, v114, v119
	s_set_vgpr_msb 64                       ;  msbs: dst=1 src0=0 src1=0 src2=0
	v_fmac_f32_e32 v3 /*v259*/, v233, v236
	s_set_vgpr_msb 0                        ;  msbs: dst=0 src0=0 src1=0 src2=0
	s_delay_alu instid0(VALU_DEP_2) | instskip(NEXT) | instid1(VALU_DEP_1)
	v_fmac_f32_e32 v11, v115, v118
	v_dual_add_f32 v9, v9, v11 :: v_dual_mul_f32 v11, v120, v125
	s_delay_alu instid0(VALU_DEP_1) | instskip(NEXT) | instid1(VALU_DEP_1)
	v_fmac_f32_e32 v11, v121, v124
	v_add_f32_e32 v9, v9, v11
	v_mul_f32_e32 v11, v122, v127
	s_delay_alu instid0(VALU_DEP_1) | instskip(NEXT) | instid1(VALU_DEP_1)
	v_fmac_f32_e32 v11, v123, v126
	v_dual_add_f32 v9, v9, v11 :: v_dual_mul_f32 v11, v128, v133
	s_delay_alu instid0(VALU_DEP_1) | instskip(NEXT) | instid1(VALU_DEP_1)
	v_fmac_f32_e32 v11, v129, v132
	v_add_f32_e32 v9, v9, v11
	v_mul_f32_e32 v11, v130, v135
	s_delay_alu instid0(VALU_DEP_1) | instskip(NEXT) | instid1(VALU_DEP_1)
	;; [unrolled: 7-line block ×3, first 2 shown]
	v_fmac_f32_e32 v11, v139, v142
	v_dual_add_f32 v9, v9, v11 :: v_dual_mul_f32 v11, v144, v149
	s_delay_alu instid0(VALU_DEP_1) | instskip(NEXT) | instid1(VALU_DEP_1)
	v_fmac_f32_e32 v11, v145, v148
	v_add_f32_e32 v9, v9, v11
	v_mul_f32_e32 v11, v146, v151
	s_delay_alu instid0(VALU_DEP_1) | instskip(SKIP_1) | instid1(VALU_DEP_1)
	v_fmac_f32_e32 v11, v147, v150
	s_wait_dscnt 0x9
	v_dual_add_f32 v9, v9, v11 :: v_dual_mul_f32 v11, v152, v157
	s_delay_alu instid0(VALU_DEP_1) | instskip(NEXT) | instid1(VALU_DEP_1)
	v_fmac_f32_e32 v11, v153, v156
	v_add_f32_e32 v9, v9, v11
	v_mul_f32_e32 v11, v154, v159
	s_delay_alu instid0(VALU_DEP_1) | instskip(SKIP_1) | instid1(VALU_DEP_1)
	v_fmac_f32_e32 v11, v155, v158
	s_wait_dscnt 0x8
	;; [unrolled: 8-line block ×10, first 2 shown]
	v_dual_add_f32 v9, v9, v11 :: v_dual_mul_f32 v11, v224, v229
	s_delay_alu instid0(VALU_DEP_1) | instskip(NEXT) | instid1(VALU_DEP_1)
	v_fmac_f32_e32 v11, v225, v228
	v_add_f32_e32 v9, v9, v11
	v_mul_f32_e32 v11, v226, v231
	s_delay_alu instid0(VALU_DEP_1) | instskip(SKIP_1) | instid1(VALU_DEP_1)
	v_fmac_f32_e32 v11, v227, v230
	s_set_vgpr_msb 64                       ;  msbs: dst=1 src0=0 src1=0 src2=0
	v_add_f32_e32 v1 /*v257*/, v9, v11
	s_set_vgpr_msb 0                        ;  msbs: dst=0 src0=0 src1=0 src2=0
	v_dual_mul_f32 v9, v105, v109 :: v_dual_mul_f32 v11, v107, v111
	s_delay_alu instid0(VALU_DEP_1) | instskip(NEXT) | instid1(VALU_DEP_1)
	v_dual_fma_f32 v9, v104, v108, -v9 :: v_dual_fma_f32 v11, v106, v110, -v11
	v_add_f32_e32 v9, 0, v9
	s_delay_alu instid0(VALU_DEP_1) | instskip(SKIP_1) | instid1(VALU_DEP_1)
	v_add_f32_e32 v9, v9, v11
	v_mul_f32_e32 v11, v113, v117
	v_fma_f32 v11, v112, v116, -v11
	s_delay_alu instid0(VALU_DEP_1) | instskip(SKIP_1) | instid1(VALU_DEP_1)
	v_add_f32_e32 v9, v9, v11
	v_mul_f32_e32 v11, v115, v119
	v_fma_f32 v11, v114, v118, -v11
	ds_load_2addr_b64 v[104:107], v7 offset0:95 offset1:96
	ds_load_2addr_b64 v[108:111], v7 offset0:97 offset1:98
	;; [unrolled: 1-line block ×4, first 2 shown]
	v_add_f32_e32 v9, v9, v11
	v_mul_f32_e32 v11, v121, v125
	s_delay_alu instid0(VALU_DEP_1) | instskip(NEXT) | instid1(VALU_DEP_1)
	v_fma_f32 v11, v120, v124, -v11
	v_add_f32_e32 v9, v9, v11
	v_mul_f32_e32 v11, v123, v127
	s_delay_alu instid0(VALU_DEP_1) | instskip(SKIP_2) | instid1(VALU_DEP_2)
	v_fma_f32 v11, v122, v126, -v11
	s_wait_loadcnt_dscnt 0x303
	v_pk_mul_f32 v[122:123], v[104:105], v[240:241] op_sel:[1,1] op_sel_hi:[0,1]
	v_add_f32_e32 v9, v9, v11
	v_mul_f32_e32 v11, v129, v133
	s_delay_alu instid0(VALU_DEP_3) | instskip(SKIP_1) | instid1(VALU_DEP_3)
	v_pk_fma_f32 v[124:125], v[104:105], v[240:241], v[122:123] neg_lo:[0,0,1] neg_hi:[0,0,1]
	v_pk_fma_f32 v[104:105], v[104:105], v[240:241], v[122:123] op_sel_hi:[1,0,1]
	v_dual_mov_b32 v122, v243 :: v_dual_fma_f32 v11, v128, v132, -v11
	s_delay_alu instid0(VALU_DEP_2) | instskip(NEXT) | instid1(VALU_DEP_2)
	v_mov_b32_e32 v125, v105
	v_add_f32_e32 v9, v9, v11
	v_mul_f32_e32 v11, v131, v135
	s_delay_alu instid0(VALU_DEP_1) | instskip(NEXT) | instid1(VALU_DEP_1)
	v_fma_f32 v11, v130, v134, -v11
	v_add_f32_e32 v9, v9, v11
	v_mul_f32_e32 v11, v137, v141
	s_delay_alu instid0(VALU_DEP_1) | instskip(NEXT) | instid1(VALU_DEP_1)
	v_fma_f32 v11, v136, v140, -v11
	;; [unrolled: 4-line block ×24, first 2 shown]
	v_add_f32_e32 v9, v9, v11
	v_mul_f32_e32 v11, v227, v231
	s_delay_alu instid0(VALU_DEP_1) | instskip(SKIP_1) | instid1(VALU_DEP_1)
	v_fma_f32 v11, v226, v230, -v11
	s_set_vgpr_msb 64                       ;  msbs: dst=1 src0=0 src1=0 src2=0
	v_dual_fmac_f32 v5 /*v261*/, v235, v238 :: v_dual_add_f32 v0 /*v256*/, v9, v11
	s_set_vgpr_msb 0                        ;  msbs: dst=0 src0=0 src1=0 src2=0
	v_mul_f32_e32 v9, v233, v237
	s_set_vgpr_msb 64                       ;  msbs: dst=1 src0=0 src1=0 src2=0
	s_delay_alu instid0(VALU_DEP_1) | instskip(SKIP_3) | instid1(VALU_DEP_1)
	v_fma_f32 v2 /*v258*/, v232, v236, -v9
	s_set_vgpr_msb 0                        ;  msbs: dst=0 src0=0 src1=0 src2=0
	v_mul_f32_e32 v9, v235, v239
	s_set_vgpr_msb 64                       ;  msbs: dst=1 src0=0 src1=0 src2=0
	v_fma_f32 v4 /*v260*/, v234, v238, -v9
	s_set_vgpr_msb 5                        ;  msbs: dst=0 src0=1 src1=1 src2=0
	v_pk_add_f32 v[120:121], v[0:1] /*v[256:257]*/, v[2:3] /*v[258:259]*/
	s_set_vgpr_msb 4                        ;  msbs: dst=0 src0=0 src1=1 src2=0
	s_delay_alu instid0(VALU_DEP_1) | instskip(SKIP_1) | instid1(VALU_DEP_1)
	v_pk_add_f32 v[120:121], v[120:121], v[4:5] /*v[260:261]*/
	s_set_vgpr_msb 0                        ;  msbs: dst=0 src0=0 src1=0 src2=0
	v_pk_add_f32 v[104:105], v[120:121], v[124:125]
	v_dual_mov_b32 v120, v107 :: v_dual_mov_b32 v121, v106
	s_delay_alu instid0(VALU_DEP_1) | instskip(NEXT) | instid1(VALU_DEP_1)
	v_pk_mul_f32 v[120:121], v[120:121], v[122:123] op_sel_hi:[1,0]
	v_pk_fma_f32 v[122:123], v[106:107], v[242:243], v[120:121] neg_lo:[0,0,1] neg_hi:[0,0,1]
	v_pk_fma_f32 v[106:107], v[106:107], v[242:243], v[120:121] op_sel_hi:[1,0,1]
	s_delay_alu instid0(VALU_DEP_1) | instskip(SKIP_2) | instid1(VALU_DEP_2)
	v_mov_b32_e32 v123, v107
	s_wait_loadcnt_dscnt 0x202
	v_pk_mul_f32 v[106:107], v[108:109], v[244:245] op_sel:[1,1] op_sel_hi:[0,1]
	v_pk_add_f32 v[104:105], v[104:105], v[122:123]
	s_delay_alu instid0(VALU_DEP_2) | instskip(SKIP_2) | instid1(VALU_DEP_2)
	v_pk_fma_f32 v[120:121], v[108:109], v[244:245], v[106:107] neg_lo:[0,0,1] neg_hi:[0,0,1]
	v_pk_fma_f32 v[106:107], v[108:109], v[244:245], v[106:107] op_sel_hi:[1,0,1]
	v_dual_mov_b32 v106, v111 :: v_dual_mov_b32 v108, v247
	v_dual_mov_b32 v121, v107 :: v_dual_mov_b32 v107, v110
	s_delay_alu instid0(VALU_DEP_1) | instskip(NEXT) | instid1(VALU_DEP_2)
	v_pk_add_f32 v[104:105], v[104:105], v[120:121]
	v_pk_mul_f32 v[106:107], v[106:107], v[108:109] op_sel_hi:[1,0]
	s_delay_alu instid0(VALU_DEP_1) | instskip(SKIP_1) | instid1(VALU_DEP_1)
	v_pk_fma_f32 v[108:109], v[110:111], v[246:247], v[106:107] neg_lo:[0,0,1] neg_hi:[0,0,1]
	v_pk_fma_f32 v[106:107], v[110:111], v[246:247], v[106:107] op_sel_hi:[1,0,1]
	v_mov_b32_e32 v109, v107
	s_wait_loadcnt_dscnt 0x101
	v_pk_mul_f32 v[106:107], v[112:113], v[248:249] op_sel:[1,1] op_sel_hi:[0,1]
	s_delay_alu instid0(VALU_DEP_2) | instskip(NEXT) | instid1(VALU_DEP_2)
	v_pk_add_f32 v[104:105], v[104:105], v[108:109]
	v_pk_fma_f32 v[108:109], v[112:113], v[248:249], v[106:107] neg_lo:[0,0,1] neg_hi:[0,0,1]
	v_pk_fma_f32 v[106:107], v[112:113], v[248:249], v[106:107] op_sel_hi:[1,0,1]
	s_delay_alu instid0(VALU_DEP_1) | instskip(SKIP_1) | instid1(VALU_DEP_2)
	v_dual_mov_b32 v106, v115 :: v_dual_mov_b32 v109, v107
	v_mov_b32_e32 v107, v114
	v_pk_add_f32 v[104:105], v[104:105], v[108:109]
	v_mov_b32_e32 v108, v251
	s_delay_alu instid0(VALU_DEP_1) | instskip(NEXT) | instid1(VALU_DEP_1)
	v_pk_mul_f32 v[106:107], v[106:107], v[108:109] op_sel_hi:[1,0]
	v_pk_fma_f32 v[108:109], v[114:115], v[250:251], v[106:107] neg_lo:[0,0,1] neg_hi:[0,0,1]
	v_pk_fma_f32 v[106:107], v[114:115], v[250:251], v[106:107] op_sel_hi:[1,0,1]
	s_delay_alu instid0(VALU_DEP_1) | instskip(SKIP_2) | instid1(VALU_DEP_2)
	v_mov_b32_e32 v109, v107
	s_wait_loadcnt_dscnt 0x0
	v_pk_mul_f32 v[106:107], v[116:117], v[252:253] op_sel:[1,1] op_sel_hi:[0,1]
	v_pk_add_f32 v[104:105], v[104:105], v[108:109]
	s_delay_alu instid0(VALU_DEP_2) | instskip(SKIP_1) | instid1(VALU_DEP_1)
	v_pk_fma_f32 v[108:109], v[116:117], v[252:253], v[106:107] neg_lo:[0,0,1] neg_hi:[0,0,1]
	v_pk_fma_f32 v[106:107], v[116:117], v[252:253], v[106:107] op_sel_hi:[1,0,1]
	v_dual_mov_b32 v106, v119 :: v_dual_mov_b32 v109, v107
	v_mov_b32_e32 v107, v118
	s_delay_alu instid0(VALU_DEP_2) | instskip(SKIP_1) | instid1(VALU_DEP_1)
	v_pk_add_f32 v[104:105], v[104:105], v[108:109]
	v_mov_b32_e32 v108, v255
	v_pk_mul_f32 v[106:107], v[106:107], v[108:109] op_sel_hi:[1,0]
	s_delay_alu instid0(VALU_DEP_1) | instskip(SKIP_1) | instid1(VALU_DEP_1)
	v_pk_fma_f32 v[108:109], v[118:119], v[254:255], v[106:107] neg_lo:[0,0,1] neg_hi:[0,0,1]
	v_pk_fma_f32 v[106:107], v[118:119], v[254:255], v[106:107] op_sel_hi:[1,0,1]
	v_mov_b32_e32 v109, v107
	scratch_load_b64 v[106:107], off, off offset:64
	v_pk_add_f32 v[104:105], v[104:105], v[108:109]
	s_wait_loadcnt 0x0
	s_delay_alu instid0(VALU_DEP_1)
	v_pk_add_f32 v[104:105], v[106:107], v[104:105] neg_lo:[0,1] neg_hi:[0,1]
	scratch_store_b64 off, v[104:105], off offset:64
	s_wait_xcnt 0x0
	v_cmpx_lt_u32_e32 7, v0
	s_cbranch_execz .LBB114_305
; %bb.304:
	scratch_load_b64 v[104:105], off, off offset:56
	v_mov_b64_e32 v[106:107], 0
	scratch_store_b64 off, v[106:107], off offset:56
	s_wait_loadcnt 0x0
	ds_store_b64 v1, v[104:105]
.LBB114_305:
	s_wait_xcnt 0x0
	s_or_b32 exec_lo, exec_lo, s0
	v_mov_b32_e32 v7, 0
	s_wait_storecnt_dscnt 0x0
	s_barrier_signal -1
	s_barrier_wait -1
	ds_load_b128 v[104:107], v7 offset:480
	ds_load_b128 v[108:111], v7 offset:496
	;; [unrolled: 1-line block ×4, first 2 shown]
	s_clause 0x11
	scratch_load_b128 v[120:123], off, off offset:64
	scratch_load_b128 v[124:127], off, off offset:80
	;; [unrolled: 1-line block ×18, first 2 shown]
	s_mov_b32 s0, exec_lo
	s_wait_loadcnt_dscnt 0x1103
	v_mul_f32_e32 v9, v104, v121
	ds_load_b128 v[232:235], v7 offset:736
	ds_load_b128 v[240:243], v7 offset:752
	;; [unrolled: 1-line block ×4, first 2 shown]
	v_dual_fmac_f32 v9, v105, v120 :: v_dual_mul_f32 v11, v106, v123
	ds_load_b128 v[152:155], v7 offset:576
	ds_load_b128 v[160:163], v7 offset:592
	;; [unrolled: 1-line block ×4, first 2 shown]
	v_dual_add_f32 v9, 0, v9 :: v_dual_fmac_f32 v11, v107, v122
	ds_load_b128 v[184:187], v7 offset:640
	ds_load_b128 v[192:195], v7 offset:656
	;; [unrolled: 1-line block ×4, first 2 shown]
	s_wait_loadcnt_dscnt 0x100e
	v_dual_add_f32 v9, v9, v11 :: v_dual_mul_f32 v11, v108, v125
	ds_load_b128 v[216:219], v7 offset:704
	ds_load_b128 v[224:227], v7 offset:720
	s_clause 0x4
	scratch_load_b128 v[248:251], off, off offset:352
	scratch_load_b128 v[252:255], off, off offset:368
	s_set_vgpr_msb 64                       ;  msbs: dst=1 src0=0 src1=0 src2=0
	scratch_load_b128 v[0:3] /*v[256:259]*/, off, off offset:384
	scratch_load_b64 v[10:11] /*v[266:267]*/, off, off offset:400
	s_wait_loadcnt_dscnt 0x40c
	v_dual_mul_f32 v7 /*v263*/, v234, v239 :: v_dual_mul_f32 v9 /*v265*/, v240, v245
	s_set_vgpr_msb 0                        ;  msbs: dst=0 src0=0 src1=0 src2=0
	v_fmac_f32_e32 v11, v109, v124
	s_set_vgpr_msb 64                       ;  msbs: dst=1 src0=0 src1=0 src2=0
	s_delay_alu instid0(VALU_DEP_2) | instskip(SKIP_1) | instid1(VALU_DEP_2)
	v_dual_fmac_f32 v7 /*v263*/, v235, v238 :: v_dual_fmac_f32 v9 /*v265*/, v241, v244
	s_set_vgpr_msb 0                        ;  msbs: dst=0 src0=0 src1=0 src2=0
	v_add_f32_e32 v9, v9, v11
	v_mul_f32_e32 v11, v110, v127
	s_delay_alu instid0(VALU_DEP_1) | instskip(NEXT) | instid1(VALU_DEP_1)
	v_fmac_f32_e32 v11, v111, v126
	v_dual_add_f32 v9, v9, v11 :: v_dual_mul_f32 v11, v112, v129
	s_delay_alu instid0(VALU_DEP_1) | instskip(NEXT) | instid1(VALU_DEP_1)
	v_fmac_f32_e32 v11, v113, v128
	v_add_f32_e32 v9, v9, v11
	v_mul_f32_e32 v11, v114, v131
	s_delay_alu instid0(VALU_DEP_1) | instskip(NEXT) | instid1(VALU_DEP_1)
	v_fmac_f32_e32 v11, v115, v130
	v_dual_add_f32 v9, v9, v11 :: v_dual_mul_f32 v11, v116, v133
	s_delay_alu instid0(VALU_DEP_1) | instskip(NEXT) | instid1(VALU_DEP_1)
	v_fmac_f32_e32 v11, v117, v132
	v_add_f32_e32 v9, v9, v11
	v_mul_f32_e32 v11, v118, v135
	s_delay_alu instid0(VALU_DEP_1) | instskip(SKIP_1) | instid1(VALU_DEP_1)
	v_fmac_f32_e32 v11, v119, v134
	s_wait_dscnt 0xb
	v_dual_add_f32 v9, v9, v11 :: v_dual_mul_f32 v11, v136, v141
	s_delay_alu instid0(VALU_DEP_1) | instskip(NEXT) | instid1(VALU_DEP_1)
	v_fmac_f32_e32 v11, v137, v140
	v_add_f32_e32 v9, v9, v11
	v_mul_f32_e32 v11, v138, v143
	s_delay_alu instid0(VALU_DEP_1) | instskip(SKIP_1) | instid1(VALU_DEP_1)
	v_fmac_f32_e32 v11, v139, v142
	s_wait_dscnt 0xa
	;; [unrolled: 8-line block ×12, first 2 shown]
	v_dual_add_f32 v9, v9, v11 :: v_dual_mul_f32 v11, v224, v229
	s_delay_alu instid0(VALU_DEP_1) | instskip(NEXT) | instid1(VALU_DEP_1)
	v_fmac_f32_e32 v11, v225, v228
	v_add_f32_e32 v9, v9, v11
	v_mul_f32_e32 v11, v226, v231
	s_delay_alu instid0(VALU_DEP_1) | instskip(NEXT) | instid1(VALU_DEP_1)
	v_fmac_f32_e32 v11, v227, v230
	v_dual_add_f32 v9, v9, v11 :: v_dual_mul_f32 v11, v232, v237
	s_delay_alu instid0(VALU_DEP_1) | instskip(SKIP_1) | instid1(VALU_DEP_1)
	v_fmac_f32_e32 v11, v233, v236
	s_set_vgpr_msb 64                       ;  msbs: dst=1 src0=0 src1=0 src2=0
	v_add_f32_e32 v5 /*v261*/, v9, v11
	s_set_vgpr_msb 0                        ;  msbs: dst=0 src0=0 src1=0 src2=0
	v_dual_mul_f32 v9, v105, v121 :: v_dual_mul_f32 v11, v107, v123
	s_delay_alu instid0(VALU_DEP_1) | instskip(NEXT) | instid1(VALU_DEP_2)
	v_dual_mov_b32 v121, v242 :: v_dual_fma_f32 v9, v104, v120, -v9
	v_dual_fma_f32 v11, v106, v122, -v11 :: v_dual_mov_b32 v120, v243
	s_delay_alu instid0(VALU_DEP_2) | instskip(NEXT) | instid1(VALU_DEP_1)
	v_dual_mov_b32 v122, v247 :: v_dual_add_f32 v9, 0, v9
	v_pk_mul_f32 v[120:121], v[120:121], v[122:123] op_sel_hi:[1,0]
	s_delay_alu instid0(VALU_DEP_2) | instskip(SKIP_1) | instid1(VALU_DEP_3)
	v_add_f32_e32 v9, v9, v11
	v_mul_f32_e32 v11, v109, v125
	v_pk_fma_f32 v[122:123], v[242:243], v[246:247], v[120:121] neg_lo:[0,0,1] neg_hi:[0,0,1]
	v_pk_fma_f32 v[120:121], v[242:243], v[246:247], v[120:121] op_sel_hi:[1,0,1]
	s_delay_alu instid0(VALU_DEP_1) | instskip(NEXT) | instid1(VALU_DEP_1)
	v_dual_fma_f32 v11, v108, v124, -v11 :: v_dual_mov_b32 v123, v121
	v_add_f32_e32 v9, v9, v11
	v_mul_f32_e32 v11, v111, v127
	s_delay_alu instid0(VALU_DEP_1) | instskip(NEXT) | instid1(VALU_DEP_1)
	v_fma_f32 v11, v110, v126, -v11
	v_add_f32_e32 v9, v9, v11
	v_mul_f32_e32 v11, v113, v129
	s_delay_alu instid0(VALU_DEP_1) | instskip(NEXT) | instid1(VALU_DEP_1)
	v_fma_f32 v11, v112, v128, -v11
	;; [unrolled: 4-line block ×3, first 2 shown]
	v_add_f32_e32 v9, v9, v11
	v_mul_f32_e32 v11, v117, v133
	s_delay_alu instid0(VALU_DEP_1)
	v_fma_f32 v11, v116, v132, -v11
	ds_load_b128 v[104:107], v7 offset:768
	ds_load_b128 v[108:111], v7 offset:784
	;; [unrolled: 1-line block ×3, first 2 shown]
	ds_load_b64 v[116:117], v7 offset:816
	v_add_f32_e32 v9, v9, v11
	v_mul_f32_e32 v11, v119, v135
	s_delay_alu instid0(VALU_DEP_1) | instskip(NEXT) | instid1(VALU_DEP_1)
	v_fma_f32 v11, v118, v134, -v11
	v_add_f32_e32 v9, v9, v11
	v_mul_f32_e32 v11, v137, v141
	s_wait_loadcnt_dscnt 0x303
	v_pk_mul_f32 v[120:121], v[104:105], v[248:249] op_sel:[1,1] op_sel_hi:[0,1]
	s_delay_alu instid0(VALU_DEP_2) | instskip(NEXT) | instid1(VALU_DEP_1)
	v_fma_f32 v11, v136, v140, -v11
	v_add_f32_e32 v9, v9, v11
	v_mul_f32_e32 v11, v139, v143
	s_delay_alu instid0(VALU_DEP_1) | instskip(NEXT) | instid1(VALU_DEP_1)
	v_fma_f32 v11, v138, v142, -v11
	v_add_f32_e32 v9, v9, v11
	v_mul_f32_e32 v11, v145, v149
	s_delay_alu instid0(VALU_DEP_1) | instskip(NEXT) | instid1(VALU_DEP_1)
	;; [unrolled: 4-line block ×23, first 2 shown]
	v_fma_f32 v11, v226, v230, -v11
	v_add_f32_e32 v9, v9, v11
	v_mul_f32_e32 v11, v233, v237
	s_delay_alu instid0(VALU_DEP_1) | instskip(SKIP_1) | instid1(VALU_DEP_1)
	v_fma_f32 v11, v232, v236, -v11
	s_set_vgpr_msb 64                       ;  msbs: dst=1 src0=0 src1=0 src2=0
	v_add_f32_e32 v4 /*v260*/, v9, v11
	s_set_vgpr_msb 0                        ;  msbs: dst=0 src0=0 src1=0 src2=0
	v_mul_f32_e32 v9, v235, v239
	s_set_vgpr_msb 64                       ;  msbs: dst=1 src0=0 src1=0 src2=0
	s_delay_alu instid0(VALU_DEP_1) | instskip(SKIP_3) | instid1(VALU_DEP_2)
	v_fma_f32 v6 /*v262*/, v234, v238, -v9
	s_set_vgpr_msb 0                        ;  msbs: dst=0 src0=0 src1=0 src2=0
	v_mul_f32_e32 v9, v241, v245
	s_set_vgpr_msb 5                        ;  msbs: dst=0 src0=1 src1=1 src2=0
	v_pk_add_f32 v[118:119], v[4:5] /*v[260:261]*/, v[6:7] /*v[262:263]*/
	s_set_vgpr_msb 64                       ;  msbs: dst=1 src0=0 src1=0 src2=0
	s_delay_alu instid0(VALU_DEP_2) | instskip(SKIP_1) | instid1(VALU_DEP_1)
	v_fma_f32 v8 /*v264*/, v240, v244, -v9
	s_set_vgpr_msb 4                        ;  msbs: dst=0 src0=0 src1=1 src2=0
	v_pk_add_f32 v[118:119], v[118:119], v[8:9] /*v[264:265]*/
	s_set_vgpr_msb 0                        ;  msbs: dst=0 src0=0 src1=0 src2=0
	s_delay_alu instid0(VALU_DEP_1) | instskip(SKIP_2) | instid1(VALU_DEP_1)
	v_pk_add_f32 v[118:119], v[118:119], v[122:123]
	v_pk_fma_f32 v[122:123], v[104:105], v[248:249], v[120:121] neg_lo:[0,0,1] neg_hi:[0,0,1]
	v_pk_fma_f32 v[104:105], v[104:105], v[248:249], v[120:121] op_sel_hi:[1,0,1]
	v_dual_mov_b32 v120, v251 :: v_dual_mov_b32 v123, v105
	s_delay_alu instid0(VALU_DEP_1) | instskip(SKIP_1) | instid1(VALU_DEP_1)
	v_pk_add_f32 v[104:105], v[118:119], v[122:123]
	v_dual_mov_b32 v118, v107 :: v_dual_mov_b32 v119, v106
	v_pk_mul_f32 v[118:119], v[118:119], v[120:121] op_sel_hi:[1,0]
	s_delay_alu instid0(VALU_DEP_1) | instskip(SKIP_1) | instid1(VALU_DEP_1)
	v_pk_fma_f32 v[120:121], v[106:107], v[250:251], v[118:119] neg_lo:[0,0,1] neg_hi:[0,0,1]
	v_pk_fma_f32 v[106:107], v[106:107], v[250:251], v[118:119] op_sel_hi:[1,0,1]
	v_mov_b32_e32 v121, v107
	s_wait_loadcnt_dscnt 0x202
	v_pk_mul_f32 v[106:107], v[108:109], v[252:253] op_sel:[1,1] op_sel_hi:[0,1]
	s_delay_alu instid0(VALU_DEP_2) | instskip(NEXT) | instid1(VALU_DEP_2)
	v_pk_add_f32 v[104:105], v[104:105], v[120:121]
	v_pk_fma_f32 v[118:119], v[108:109], v[252:253], v[106:107] neg_lo:[0,0,1] neg_hi:[0,0,1]
	v_pk_fma_f32 v[106:107], v[108:109], v[252:253], v[106:107] op_sel_hi:[1,0,1]
	v_dual_mov_b32 v106, v111 :: v_dual_mov_b32 v108, v255
	s_delay_alu instid0(VALU_DEP_2) | instskip(NEXT) | instid1(VALU_DEP_1)
	v_dual_mov_b32 v119, v107 :: v_dual_mov_b32 v107, v110
	v_pk_add_f32 v[104:105], v[104:105], v[118:119]
	s_delay_alu instid0(VALU_DEP_2) | instskip(NEXT) | instid1(VALU_DEP_1)
	v_pk_mul_f32 v[106:107], v[106:107], v[108:109] op_sel_hi:[1,0]
	v_pk_fma_f32 v[108:109], v[110:111], v[254:255], v[106:107] neg_lo:[0,0,1] neg_hi:[0,0,1]
	v_pk_fma_f32 v[106:107], v[110:111], v[254:255], v[106:107] op_sel_hi:[1,0,1]
	s_delay_alu instid0(VALU_DEP_1)
	v_mov_b32_e32 v109, v107
	s_wait_loadcnt_dscnt 0x101
	s_set_vgpr_msb 4                        ;  msbs: dst=0 src0=0 src1=1 src2=0
	v_pk_mul_f32 v[106:107], v[112:113], v[0:1] /*v[256:257]*/ op_sel:[1,1] op_sel_hi:[0,1]
	s_set_vgpr_msb 0                        ;  msbs: dst=0 src0=0 src1=0 src2=0
	v_pk_add_f32 v[104:105], v[104:105], v[108:109]
	s_set_vgpr_msb 4                        ;  msbs: dst=0 src0=0 src1=1 src2=0
	s_delay_alu instid0(VALU_DEP_2) | instskip(SKIP_1) | instid1(VALU_DEP_1)
	v_pk_fma_f32 v[108:109], v[112:113], v[0:1] /*v[256:257]*/, v[106:107] neg_lo:[0,0,1] neg_hi:[0,0,1]
	v_pk_fma_f32 v[106:107], v[112:113], v[0:1] /*v[256:257]*/, v[106:107] op_sel_hi:[1,0,1]
	v_dual_mov_b32 v106, v115 :: v_dual_mov_b32 v109, v107
	v_mov_b32_e32 v107, v114
	s_set_vgpr_msb 0                        ;  msbs: dst=0 src0=0 src1=0 src2=0
	s_delay_alu instid0(VALU_DEP_2) | instskip(SKIP_3) | instid1(VALU_DEP_1)
	v_pk_add_f32 v[104:105], v[104:105], v[108:109]
	s_set_vgpr_msb 1                        ;  msbs: dst=0 src0=1 src1=0 src2=0
	v_mov_b32_e32 v108, v3 /*v259*/
	s_set_vgpr_msb 0                        ;  msbs: dst=0 src0=0 src1=0 src2=0
	v_pk_mul_f32 v[106:107], v[106:107], v[108:109] op_sel_hi:[1,0]
	s_set_vgpr_msb 4                        ;  msbs: dst=0 src0=0 src1=1 src2=0
	s_delay_alu instid0(VALU_DEP_1) | instskip(SKIP_1) | instid1(VALU_DEP_1)
	v_pk_fma_f32 v[108:109], v[114:115], v[2:3] /*v[258:259]*/, v[106:107] neg_lo:[0,0,1] neg_hi:[0,0,1]
	v_pk_fma_f32 v[106:107], v[114:115], v[2:3] /*v[258:259]*/, v[106:107] op_sel_hi:[1,0,1]
	v_mov_b32_e32 v109, v107
	s_wait_loadcnt_dscnt 0x0
	v_pk_mul_f32 v[106:107], v[116:117], v[10:11] /*v[266:267]*/ op_sel:[1,1] op_sel_hi:[0,1]
	s_set_vgpr_msb 0                        ;  msbs: dst=0 src0=0 src1=0 src2=0
	s_delay_alu instid0(VALU_DEP_2) | instskip(SKIP_1) | instid1(VALU_DEP_2)
	v_pk_add_f32 v[104:105], v[104:105], v[108:109]
	s_set_vgpr_msb 4                        ;  msbs: dst=0 src0=0 src1=1 src2=0
	v_pk_fma_f32 v[108:109], v[116:117], v[10:11] /*v[266:267]*/, v[106:107] neg_lo:[0,0,1] neg_hi:[0,0,1]
	v_pk_fma_f32 v[106:107], v[116:117], v[10:11] /*v[266:267]*/, v[106:107] op_sel_hi:[1,0,1]
	s_delay_alu instid0(VALU_DEP_1) | instskip(SKIP_4) | instid1(VALU_DEP_1)
	v_mov_b32_e32 v109, v107
	scratch_load_b64 v[106:107], off, off offset:56
	s_set_vgpr_msb 0                        ;  msbs: dst=0 src0=0 src1=0 src2=0
	v_pk_add_f32 v[104:105], v[104:105], v[108:109]
	s_wait_loadcnt 0x0
	v_pk_add_f32 v[104:105], v[106:107], v[104:105] neg_lo:[0,1] neg_hi:[0,1]
	scratch_store_b64 off, v[104:105], off offset:56
	s_wait_xcnt 0x0
	v_cmpx_lt_u32_e32 6, v0
	s_cbranch_execz .LBB114_307
; %bb.306:
	scratch_load_b64 v[104:105], off, off offset:48
	v_mov_b64_e32 v[106:107], 0
	scratch_store_b64 off, v[106:107], off offset:48
	s_wait_loadcnt 0x0
	ds_store_b64 v1, v[104:105]
.LBB114_307:
	s_wait_xcnt 0x0
	s_or_b32 exec_lo, exec_lo, s0
	s_wait_storecnt_dscnt 0x0
	s_barrier_signal -1
	s_barrier_wait -1
	s_clause 0xf
	scratch_load_b128 v[108:111], off, off offset:56
	scratch_load_b128 v[116:119], off, off offset:72
	;; [unrolled: 1-line block ×16, first 2 shown]
	ds_load_2addr_b64 v[104:107], v7 offset0:59 offset1:60
	ds_load_2addr_b64 v[112:115], v7 offset0:61 offset1:62
	s_clause 0x1
	scratch_load_b128 v[236:239], off, off offset:312
	scratch_load_b128 v[244:247], off, off offset:328
	ds_load_2addr_b64 v[120:123], v7 offset0:63 offset1:64
	ds_load_2addr_b64 v[128:131], v7 offset0:65 offset1:66
	;; [unrolled: 1-line block ×16, first 2 shown]
	s_clause 0x4
	scratch_load_b128 v[248:251], off, off offset:344
	scratch_load_b128 v[252:255], off, off offset:360
	s_set_vgpr_msb 64                       ;  msbs: dst=1 src0=0 src1=0 src2=0
	scratch_load_b128 v[0:3] /*v[256:259]*/, off, off offset:376
	scratch_load_b128 v[4:7] /*v[260:263]*/, off, off offset:392
	s_mov_b32 s0, exec_lo
	s_wait_loadcnt_dscnt 0x1511
	s_set_vgpr_msb 0                        ;  msbs: dst=0 src0=0 src1=0 src2=0
	v_dual_mul_f32 v9, v104, v109 :: v_dual_mul_f32 v11, v106, v111
	s_delay_alu instid0(VALU_DEP_1) | instskip(NEXT) | instid1(VALU_DEP_1)
	v_dual_fmac_f32 v9, v105, v108 :: v_dual_fmac_f32 v11, v107, v110
	v_add_f32_e32 v9, 0, v9
	s_wait_loadcnt_dscnt 0x1410
	s_delay_alu instid0(VALU_DEP_1)
	v_dual_add_f32 v9, v9, v11 :: v_dual_mul_f32 v11, v112, v117
	s_wait_loadcnt_dscnt 0x40a
	s_set_vgpr_msb 64                       ;  msbs: dst=1 src0=0 src1=0 src2=0
	v_dual_mul_f32 v11 /*v267*/, v240, v245 :: v_dual_mul_f32 v13 /*v269*/, v242, v247
	s_set_vgpr_msb 0                        ;  msbs: dst=0 src0=0 src1=0 src2=0
	v_fmac_f32_e32 v11, v113, v116
	s_set_vgpr_msb 64                       ;  msbs: dst=1 src0=0 src1=0 src2=0
	s_delay_alu instid0(VALU_DEP_2) | instskip(SKIP_1) | instid1(VALU_DEP_2)
	v_fmac_f32_e32 v11 /*v267*/, v241, v244
	s_set_vgpr_msb 0                        ;  msbs: dst=0 src0=0 src1=0 src2=0
	v_add_f32_e32 v9, v9, v11
	v_mul_f32_e32 v11, v114, v119
	s_delay_alu instid0(VALU_DEP_1) | instskip(NEXT) | instid1(VALU_DEP_1)
	v_fmac_f32_e32 v11, v115, v118
	v_dual_add_f32 v9, v9, v11 :: v_dual_mul_f32 v11, v120, v125
	s_delay_alu instid0(VALU_DEP_1) | instskip(NEXT) | instid1(VALU_DEP_1)
	v_fmac_f32_e32 v11, v121, v124
	v_add_f32_e32 v9, v9, v11
	v_mul_f32_e32 v11, v122, v127
	s_delay_alu instid0(VALU_DEP_1) | instskip(NEXT) | instid1(VALU_DEP_1)
	v_fmac_f32_e32 v11, v123, v126
	v_dual_add_f32 v9, v9, v11 :: v_dual_mul_f32 v11, v128, v133
	s_delay_alu instid0(VALU_DEP_1) | instskip(NEXT) | instid1(VALU_DEP_1)
	v_fmac_f32_e32 v11, v129, v132
	;; [unrolled: 7-line block ×4, first 2 shown]
	v_add_f32_e32 v9, v9, v11
	v_mul_f32_e32 v11, v146, v151
	s_delay_alu instid0(VALU_DEP_1) | instskip(SKIP_1) | instid1(VALU_DEP_1)
	v_fmac_f32_e32 v11, v147, v150
	s_wait_dscnt 0x9
	v_dual_add_f32 v9, v9, v11 :: v_dual_mul_f32 v11, v152, v157
	s_delay_alu instid0(VALU_DEP_1) | instskip(NEXT) | instid1(VALU_DEP_1)
	v_fmac_f32_e32 v11, v153, v156
	v_add_f32_e32 v9, v9, v11
	v_mul_f32_e32 v11, v154, v159
	s_delay_alu instid0(VALU_DEP_1) | instskip(SKIP_1) | instid1(VALU_DEP_1)
	v_fmac_f32_e32 v11, v155, v158
	s_wait_dscnt 0x8
	v_dual_add_f32 v9, v9, v11 :: v_dual_mul_f32 v11, v160, v165
	s_delay_alu instid0(VALU_DEP_1) | instskip(NEXT) | instid1(VALU_DEP_1)
	v_fmac_f32_e32 v11, v161, v164
	;; [unrolled: 8-line block ×10, first 2 shown]
	v_add_f32_e32 v9, v9, v11
	v_mul_f32_e32 v11, v226, v231
	s_delay_alu instid0(VALU_DEP_1) | instskip(NEXT) | instid1(VALU_DEP_1)
	v_fmac_f32_e32 v11, v227, v230
	v_dual_add_f32 v9, v9, v11 :: v_dual_mul_f32 v11, v232, v237
	s_delay_alu instid0(VALU_DEP_1) | instskip(NEXT) | instid1(VALU_DEP_1)
	v_fmac_f32_e32 v11, v233, v236
	v_add_f32_e32 v9, v9, v11
	v_mul_f32_e32 v11, v234, v239
	s_delay_alu instid0(VALU_DEP_1) | instskip(SKIP_1) | instid1(VALU_DEP_1)
	v_fmac_f32_e32 v11, v235, v238
	s_set_vgpr_msb 64                       ;  msbs: dst=1 src0=0 src1=0 src2=0
	v_add_f32_e32 v9 /*v265*/, v9, v11
	s_set_vgpr_msb 0                        ;  msbs: dst=0 src0=0 src1=0 src2=0
	v_dual_mul_f32 v9, v105, v109 :: v_dual_mul_f32 v11, v107, v111
	s_delay_alu instid0(VALU_DEP_1) | instskip(NEXT) | instid1(VALU_DEP_1)
	v_dual_fma_f32 v9, v104, v108, -v9 :: v_dual_fma_f32 v11, v106, v110, -v11
	v_add_f32_e32 v9, 0, v9
	s_delay_alu instid0(VALU_DEP_1) | instskip(SKIP_1) | instid1(VALU_DEP_1)
	v_add_f32_e32 v9, v9, v11
	v_mul_f32_e32 v11, v113, v117
	v_fma_f32 v11, v112, v116, -v11
	s_delay_alu instid0(VALU_DEP_1) | instskip(SKIP_1) | instid1(VALU_DEP_1)
	v_add_f32_e32 v9, v9, v11
	v_mul_f32_e32 v11, v115, v119
	v_fma_f32 v11, v114, v118, -v11
	ds_load_2addr_b64 v[104:107], v7 offset0:95 offset1:96
	ds_load_2addr_b64 v[108:111], v7 offset0:97 offset1:98
	;; [unrolled: 1-line block ×4, first 2 shown]
	v_add_f32_e32 v9, v9, v11
	v_mul_f32_e32 v11, v121, v125
	s_delay_alu instid0(VALU_DEP_1) | instskip(NEXT) | instid1(VALU_DEP_1)
	v_fma_f32 v11, v120, v124, -v11
	v_add_f32_e32 v9, v9, v11
	v_mul_f32_e32 v11, v123, v127
	s_delay_alu instid0(VALU_DEP_1) | instskip(SKIP_2) | instid1(VALU_DEP_2)
	v_fma_f32 v11, v122, v126, -v11
	s_wait_loadcnt_dscnt 0x303
	v_pk_mul_f32 v[122:123], v[104:105], v[248:249] op_sel:[1,1] op_sel_hi:[0,1]
	v_add_f32_e32 v9, v9, v11
	v_mul_f32_e32 v11, v129, v133
	s_delay_alu instid0(VALU_DEP_3) | instskip(SKIP_1) | instid1(VALU_DEP_3)
	v_pk_fma_f32 v[124:125], v[104:105], v[248:249], v[122:123] neg_lo:[0,0,1] neg_hi:[0,0,1]
	v_pk_fma_f32 v[104:105], v[104:105], v[248:249], v[122:123] op_sel_hi:[1,0,1]
	v_dual_mov_b32 v122, v251 :: v_dual_fma_f32 v11, v128, v132, -v11
	s_delay_alu instid0(VALU_DEP_2) | instskip(NEXT) | instid1(VALU_DEP_2)
	v_mov_b32_e32 v125, v105
	v_add_f32_e32 v9, v9, v11
	v_mul_f32_e32 v11, v131, v135
	s_delay_alu instid0(VALU_DEP_1) | instskip(NEXT) | instid1(VALU_DEP_1)
	v_fma_f32 v11, v130, v134, -v11
	v_add_f32_e32 v9, v9, v11
	v_mul_f32_e32 v11, v137, v141
	s_delay_alu instid0(VALU_DEP_1) | instskip(NEXT) | instid1(VALU_DEP_1)
	v_fma_f32 v11, v136, v140, -v11
	;; [unrolled: 4-line block ×26, first 2 shown]
	v_add_f32_e32 v9, v9, v11
	v_mul_f32_e32 v11, v235, v239
	s_delay_alu instid0(VALU_DEP_1) | instskip(SKIP_1) | instid1(VALU_DEP_1)
	v_fma_f32 v11, v234, v238, -v11
	s_set_vgpr_msb 64                       ;  msbs: dst=1 src0=0 src1=0 src2=0
	v_dual_fmac_f32 v13 /*v269*/, v243, v246 :: v_dual_add_f32 v8 /*v264*/, v9, v11
	s_set_vgpr_msb 0                        ;  msbs: dst=0 src0=0 src1=0 src2=0
	v_mul_f32_e32 v9, v241, v245
	s_set_vgpr_msb 64                       ;  msbs: dst=1 src0=0 src1=0 src2=0
	s_delay_alu instid0(VALU_DEP_1) | instskip(SKIP_3) | instid1(VALU_DEP_1)
	v_fma_f32 v10 /*v266*/, v240, v244, -v9
	s_set_vgpr_msb 0                        ;  msbs: dst=0 src0=0 src1=0 src2=0
	v_mul_f32_e32 v9, v243, v247
	s_set_vgpr_msb 64                       ;  msbs: dst=1 src0=0 src1=0 src2=0
	v_fma_f32 v12 /*v268*/, v242, v246, -v9
	s_set_vgpr_msb 5                        ;  msbs: dst=0 src0=1 src1=1 src2=0
	v_pk_add_f32 v[120:121], v[8:9] /*v[264:265]*/, v[10:11] /*v[266:267]*/
	s_set_vgpr_msb 4                        ;  msbs: dst=0 src0=0 src1=1 src2=0
	s_delay_alu instid0(VALU_DEP_1) | instskip(SKIP_1) | instid1(VALU_DEP_1)
	v_pk_add_f32 v[120:121], v[120:121], v[12:13] /*v[268:269]*/
	s_set_vgpr_msb 0                        ;  msbs: dst=0 src0=0 src1=0 src2=0
	v_pk_add_f32 v[104:105], v[120:121], v[124:125]
	v_dual_mov_b32 v120, v107 :: v_dual_mov_b32 v121, v106
	s_delay_alu instid0(VALU_DEP_1) | instskip(NEXT) | instid1(VALU_DEP_1)
	v_pk_mul_f32 v[120:121], v[120:121], v[122:123] op_sel_hi:[1,0]
	v_pk_fma_f32 v[122:123], v[106:107], v[250:251], v[120:121] neg_lo:[0,0,1] neg_hi:[0,0,1]
	v_pk_fma_f32 v[106:107], v[106:107], v[250:251], v[120:121] op_sel_hi:[1,0,1]
	s_delay_alu instid0(VALU_DEP_1) | instskip(SKIP_2) | instid1(VALU_DEP_2)
	v_mov_b32_e32 v123, v107
	s_wait_loadcnt_dscnt 0x202
	v_pk_mul_f32 v[106:107], v[108:109], v[252:253] op_sel:[1,1] op_sel_hi:[0,1]
	v_pk_add_f32 v[104:105], v[104:105], v[122:123]
	s_delay_alu instid0(VALU_DEP_2) | instskip(SKIP_2) | instid1(VALU_DEP_2)
	v_pk_fma_f32 v[120:121], v[108:109], v[252:253], v[106:107] neg_lo:[0,0,1] neg_hi:[0,0,1]
	v_pk_fma_f32 v[106:107], v[108:109], v[252:253], v[106:107] op_sel_hi:[1,0,1]
	v_dual_mov_b32 v106, v111 :: v_dual_mov_b32 v108, v255
	v_dual_mov_b32 v121, v107 :: v_dual_mov_b32 v107, v110
	s_delay_alu instid0(VALU_DEP_1) | instskip(NEXT) | instid1(VALU_DEP_2)
	v_pk_add_f32 v[104:105], v[104:105], v[120:121]
	v_pk_mul_f32 v[106:107], v[106:107], v[108:109] op_sel_hi:[1,0]
	s_delay_alu instid0(VALU_DEP_1) | instskip(SKIP_1) | instid1(VALU_DEP_1)
	v_pk_fma_f32 v[108:109], v[110:111], v[254:255], v[106:107] neg_lo:[0,0,1] neg_hi:[0,0,1]
	v_pk_fma_f32 v[106:107], v[110:111], v[254:255], v[106:107] op_sel_hi:[1,0,1]
	v_mov_b32_e32 v109, v107
	s_wait_loadcnt_dscnt 0x101
	s_set_vgpr_msb 4                        ;  msbs: dst=0 src0=0 src1=1 src2=0
	v_pk_mul_f32 v[106:107], v[112:113], v[0:1] /*v[256:257]*/ op_sel:[1,1] op_sel_hi:[0,1]
	s_set_vgpr_msb 0                        ;  msbs: dst=0 src0=0 src1=0 src2=0
	v_pk_add_f32 v[104:105], v[104:105], v[108:109]
	s_set_vgpr_msb 4                        ;  msbs: dst=0 src0=0 src1=1 src2=0
	s_delay_alu instid0(VALU_DEP_2) | instskip(SKIP_1) | instid1(VALU_DEP_1)
	v_pk_fma_f32 v[108:109], v[112:113], v[0:1] /*v[256:257]*/, v[106:107] neg_lo:[0,0,1] neg_hi:[0,0,1]
	v_pk_fma_f32 v[106:107], v[112:113], v[0:1] /*v[256:257]*/, v[106:107] op_sel_hi:[1,0,1]
	v_dual_mov_b32 v106, v115 :: v_dual_mov_b32 v109, v107
	v_mov_b32_e32 v107, v114
	s_set_vgpr_msb 0                        ;  msbs: dst=0 src0=0 src1=0 src2=0
	s_delay_alu instid0(VALU_DEP_2) | instskip(SKIP_3) | instid1(VALU_DEP_1)
	v_pk_add_f32 v[104:105], v[104:105], v[108:109]
	s_set_vgpr_msb 1                        ;  msbs: dst=0 src0=1 src1=0 src2=0
	v_mov_b32_e32 v108, v3 /*v259*/
	s_set_vgpr_msb 0                        ;  msbs: dst=0 src0=0 src1=0 src2=0
	v_pk_mul_f32 v[106:107], v[106:107], v[108:109] op_sel_hi:[1,0]
	s_set_vgpr_msb 4                        ;  msbs: dst=0 src0=0 src1=1 src2=0
	s_delay_alu instid0(VALU_DEP_1) | instskip(SKIP_1) | instid1(VALU_DEP_1)
	v_pk_fma_f32 v[108:109], v[114:115], v[2:3] /*v[258:259]*/, v[106:107] neg_lo:[0,0,1] neg_hi:[0,0,1]
	v_pk_fma_f32 v[106:107], v[114:115], v[2:3] /*v[258:259]*/, v[106:107] op_sel_hi:[1,0,1]
	v_mov_b32_e32 v109, v107
	s_wait_loadcnt_dscnt 0x0
	v_pk_mul_f32 v[106:107], v[116:117], v[4:5] /*v[260:261]*/ op_sel:[1,1] op_sel_hi:[0,1]
	s_set_vgpr_msb 0                        ;  msbs: dst=0 src0=0 src1=0 src2=0
	s_delay_alu instid0(VALU_DEP_2) | instskip(SKIP_1) | instid1(VALU_DEP_2)
	v_pk_add_f32 v[104:105], v[104:105], v[108:109]
	s_set_vgpr_msb 4                        ;  msbs: dst=0 src0=0 src1=1 src2=0
	v_pk_fma_f32 v[108:109], v[116:117], v[4:5] /*v[260:261]*/, v[106:107] neg_lo:[0,0,1] neg_hi:[0,0,1]
	v_pk_fma_f32 v[106:107], v[116:117], v[4:5] /*v[260:261]*/, v[106:107] op_sel_hi:[1,0,1]
	s_delay_alu instid0(VALU_DEP_1) | instskip(SKIP_2) | instid1(VALU_DEP_2)
	v_dual_mov_b32 v106, v119 :: v_dual_mov_b32 v109, v107
	v_mov_b32_e32 v107, v118
	s_set_vgpr_msb 0                        ;  msbs: dst=0 src0=0 src1=0 src2=0
	v_pk_add_f32 v[104:105], v[104:105], v[108:109]
	s_set_vgpr_msb 1                        ;  msbs: dst=0 src0=1 src1=0 src2=0
	v_mov_b32_e32 v108, v7 /*v263*/
	s_set_vgpr_msb 0                        ;  msbs: dst=0 src0=0 src1=0 src2=0
	s_delay_alu instid0(VALU_DEP_1) | instskip(SKIP_1) | instid1(VALU_DEP_1)
	v_pk_mul_f32 v[106:107], v[106:107], v[108:109] op_sel_hi:[1,0]
	s_set_vgpr_msb 4                        ;  msbs: dst=0 src0=0 src1=1 src2=0
	v_pk_fma_f32 v[108:109], v[118:119], v[6:7] /*v[262:263]*/, v[106:107] neg_lo:[0,0,1] neg_hi:[0,0,1]
	v_pk_fma_f32 v[106:107], v[118:119], v[6:7] /*v[262:263]*/, v[106:107] op_sel_hi:[1,0,1]
	s_delay_alu instid0(VALU_DEP_1) | instskip(SKIP_4) | instid1(VALU_DEP_1)
	v_mov_b32_e32 v109, v107
	scratch_load_b64 v[106:107], off, off offset:48
	s_set_vgpr_msb 0                        ;  msbs: dst=0 src0=0 src1=0 src2=0
	v_pk_add_f32 v[104:105], v[104:105], v[108:109]
	s_wait_loadcnt 0x0
	v_pk_add_f32 v[104:105], v[106:107], v[104:105] neg_lo:[0,1] neg_hi:[0,1]
	scratch_store_b64 off, v[104:105], off offset:48
	s_wait_xcnt 0x0
	v_cmpx_lt_u32_e32 5, v0
	s_cbranch_execz .LBB114_309
; %bb.308:
	scratch_load_b64 v[104:105], off, off offset:40
	v_mov_b64_e32 v[106:107], 0
	scratch_store_b64 off, v[106:107], off offset:40
	s_wait_loadcnt 0x0
	ds_store_b64 v1, v[104:105]
.LBB114_309:
	s_wait_xcnt 0x0
	s_or_b32 exec_lo, exec_lo, s0
	v_mov_b32_e32 v7, 0
	s_wait_storecnt_dscnt 0x0
	s_barrier_signal -1
	s_barrier_wait -1
	ds_load_b128 v[104:107], v7 offset:464
	ds_load_b128 v[108:111], v7 offset:480
	;; [unrolled: 1-line block ×4, first 2 shown]
	s_clause 0x12
	scratch_load_b128 v[120:123], off, off offset:48
	scratch_load_b128 v[124:127], off, off offset:64
	;; [unrolled: 1-line block ×19, first 2 shown]
	s_mov_b32 s0, exec_lo
	s_wait_loadcnt_dscnt 0x1203
	v_mul_f32_e32 v9, v104, v121
	ds_load_b128 v[232:235], v7 offset:720
	ds_load_b128 v[240:243], v7 offset:736
	;; [unrolled: 1-line block ×4, first 2 shown]
	v_dual_fmac_f32 v9, v105, v120 :: v_dual_mul_f32 v11, v106, v123
	ds_load_b128 v[248:251], v7 offset:752
	ds_load_b128 v[152:155], v7 offset:560
	;; [unrolled: 1-line block ×3, first 2 shown]
	v_dual_add_f32 v9, 0, v9 :: v_dual_fmac_f32 v11, v107, v122
	ds_load_b128 v[168:171], v7 offset:592
	ds_load_b128 v[176:179], v7 offset:608
	;; [unrolled: 1-line block ×4, first 2 shown]
	s_wait_loadcnt_dscnt 0x110d
	v_dual_add_f32 v9, v9, v11 :: v_dual_mul_f32 v11, v108, v125
	ds_load_b128 v[200:203], v7 offset:656
	ds_load_b128 v[208:211], v7 offset:672
	;; [unrolled: 1-line block ×4, first 2 shown]
	v_fmac_f32_e32 v11, v109, v124
	s_wait_loadcnt_dscnt 0x10d
	s_set_vgpr_msb 64                       ;  msbs: dst=1 src0=0 src1=0 src2=0
	v_mul_f32_e32 v15 /*v271*/, v242, v247
	s_clause 0x3
	scratch_load_b128 v[0:3] /*v[256:259]*/, off, off offset:352
	scratch_load_b128 v[4:7] /*v[260:263]*/, off, off offset:368
	;; [unrolled: 1-line block ×3, first 2 shown]
	scratch_load_b64 v[18:19] /*v[274:275]*/, off, off offset:400
	s_set_vgpr_msb 0                        ;  msbs: dst=0 src0=0 src1=0 src2=0
	v_add_f32_e32 v9, v9, v11
	v_mul_f32_e32 v11, v110, v127
	s_wait_loadcnt_dscnt 0x40a
	s_set_vgpr_msb 64                       ;  msbs: dst=1 src0=0 src1=0 src2=0
	v_dual_mul_f32 v17 /*v273*/, v248, v253 :: v_dual_fmac_f32 v15 /*v271*/, v243, v246
	s_set_vgpr_msb 0                        ;  msbs: dst=0 src0=0 src1=0 src2=0
	v_fmac_f32_e32 v11, v111, v126
	s_set_vgpr_msb 64                       ;  msbs: dst=1 src0=0 src1=0 src2=0
	s_delay_alu instid0(VALU_DEP_2) | instskip(SKIP_1) | instid1(VALU_DEP_2)
	v_fmac_f32_e32 v17 /*v273*/, v249, v252
	s_set_vgpr_msb 0                        ;  msbs: dst=0 src0=0 src1=0 src2=0
	v_dual_add_f32 v9, v9, v11 :: v_dual_mul_f32 v11, v112, v129
	s_delay_alu instid0(VALU_DEP_1) | instskip(NEXT) | instid1(VALU_DEP_1)
	v_fmac_f32_e32 v11, v113, v128
	v_add_f32_e32 v9, v9, v11
	v_mul_f32_e32 v11, v114, v131
	s_delay_alu instid0(VALU_DEP_1) | instskip(NEXT) | instid1(VALU_DEP_1)
	v_fmac_f32_e32 v11, v115, v130
	v_dual_add_f32 v9, v9, v11 :: v_dual_mul_f32 v11, v116, v133
	s_delay_alu instid0(VALU_DEP_1) | instskip(NEXT) | instid1(VALU_DEP_1)
	v_fmac_f32_e32 v11, v117, v132
	v_add_f32_e32 v9, v9, v11
	v_mul_f32_e32 v11, v118, v135
	s_delay_alu instid0(VALU_DEP_1) | instskip(NEXT) | instid1(VALU_DEP_1)
	v_fmac_f32_e32 v11, v119, v134
	;; [unrolled: 7-line block ×3, first 2 shown]
	v_dual_add_f32 v9, v9, v11 :: v_dual_mul_f32 v11, v144, v149
	s_delay_alu instid0(VALU_DEP_1) | instskip(NEXT) | instid1(VALU_DEP_1)
	v_fmac_f32_e32 v11, v145, v148
	v_add_f32_e32 v9, v9, v11
	v_mul_f32_e32 v11, v146, v151
	s_delay_alu instid0(VALU_DEP_1) | instskip(SKIP_1) | instid1(VALU_DEP_1)
	v_fmac_f32_e32 v11, v147, v150
	s_wait_dscnt 0x9
	v_dual_add_f32 v9, v9, v11 :: v_dual_mul_f32 v11, v152, v157
	s_delay_alu instid0(VALU_DEP_1) | instskip(NEXT) | instid1(VALU_DEP_1)
	v_fmac_f32_e32 v11, v153, v156
	v_add_f32_e32 v9, v9, v11
	v_mul_f32_e32 v11, v154, v159
	s_delay_alu instid0(VALU_DEP_1) | instskip(SKIP_1) | instid1(VALU_DEP_1)
	v_fmac_f32_e32 v11, v155, v158
	s_wait_dscnt 0x8
	;; [unrolled: 8-line block ×10, first 2 shown]
	v_dual_add_f32 v9, v9, v11 :: v_dual_mul_f32 v11, v224, v229
	s_delay_alu instid0(VALU_DEP_1) | instskip(NEXT) | instid1(VALU_DEP_1)
	v_fmac_f32_e32 v11, v225, v228
	v_add_f32_e32 v9, v9, v11
	v_mul_f32_e32 v11, v226, v231
	s_delay_alu instid0(VALU_DEP_1) | instskip(NEXT) | instid1(VALU_DEP_1)
	v_fmac_f32_e32 v11, v227, v230
	v_dual_add_f32 v9, v9, v11 :: v_dual_mul_f32 v11, v232, v237
	s_delay_alu instid0(VALU_DEP_1) | instskip(NEXT) | instid1(VALU_DEP_1)
	v_fmac_f32_e32 v11, v233, v236
	v_add_f32_e32 v9, v9, v11
	v_mul_f32_e32 v11, v234, v239
	s_delay_alu instid0(VALU_DEP_1) | instskip(NEXT) | instid1(VALU_DEP_1)
	v_fmac_f32_e32 v11, v235, v238
	v_dual_add_f32 v9, v9, v11 :: v_dual_mul_f32 v11, v240, v245
	s_delay_alu instid0(VALU_DEP_1) | instskip(SKIP_1) | instid1(VALU_DEP_1)
	v_fmac_f32_e32 v11, v241, v244
	s_set_vgpr_msb 64                       ;  msbs: dst=1 src0=0 src1=0 src2=0
	v_add_f32_e32 v13 /*v269*/, v9, v11
	s_set_vgpr_msb 0                        ;  msbs: dst=0 src0=0 src1=0 src2=0
	v_dual_mul_f32 v9, v105, v121 :: v_dual_mul_f32 v11, v107, v123
	s_delay_alu instid0(VALU_DEP_1) | instskip(NEXT) | instid1(VALU_DEP_2)
	v_dual_mov_b32 v121, v250 :: v_dual_fma_f32 v9, v104, v120, -v9
	v_dual_fma_f32 v11, v106, v122, -v11 :: v_dual_mov_b32 v120, v251
	s_delay_alu instid0(VALU_DEP_2) | instskip(NEXT) | instid1(VALU_DEP_1)
	v_dual_mov_b32 v122, v255 :: v_dual_add_f32 v9, 0, v9
	v_pk_mul_f32 v[120:121], v[120:121], v[122:123] op_sel_hi:[1,0]
	s_delay_alu instid0(VALU_DEP_2) | instskip(SKIP_1) | instid1(VALU_DEP_3)
	v_add_f32_e32 v9, v9, v11
	v_mul_f32_e32 v11, v109, v125
	v_pk_fma_f32 v[122:123], v[250:251], v[254:255], v[120:121] neg_lo:[0,0,1] neg_hi:[0,0,1]
	v_pk_fma_f32 v[120:121], v[250:251], v[254:255], v[120:121] op_sel_hi:[1,0,1]
	s_delay_alu instid0(VALU_DEP_1) | instskip(NEXT) | instid1(VALU_DEP_1)
	v_dual_fma_f32 v11, v108, v124, -v11 :: v_dual_mov_b32 v123, v121
	v_add_f32_e32 v9, v9, v11
	v_mul_f32_e32 v11, v111, v127
	s_delay_alu instid0(VALU_DEP_1) | instskip(NEXT) | instid1(VALU_DEP_1)
	v_fma_f32 v11, v110, v126, -v11
	v_add_f32_e32 v9, v9, v11
	v_mul_f32_e32 v11, v113, v129
	s_delay_alu instid0(VALU_DEP_1) | instskip(NEXT) | instid1(VALU_DEP_1)
	v_fma_f32 v11, v112, v128, -v11
	;; [unrolled: 4-line block ×3, first 2 shown]
	v_add_f32_e32 v9, v9, v11
	v_mul_f32_e32 v11, v117, v133
	s_delay_alu instid0(VALU_DEP_1)
	v_fma_f32 v11, v116, v132, -v11
	ds_load_b128 v[104:107], v7 offset:768
	ds_load_b128 v[108:111], v7 offset:784
	;; [unrolled: 1-line block ×3, first 2 shown]
	ds_load_b64 v[116:117], v7 offset:816
	v_add_f32_e32 v9, v9, v11
	v_mul_f32_e32 v11, v119, v135
	s_delay_alu instid0(VALU_DEP_1) | instskip(NEXT) | instid1(VALU_DEP_1)
	v_fma_f32 v11, v118, v134, -v11
	v_add_f32_e32 v9, v9, v11
	v_mul_f32_e32 v11, v137, v141
	s_wait_loadcnt_dscnt 0x303
	s_set_vgpr_msb 4                        ;  msbs: dst=0 src0=0 src1=1 src2=0
	v_pk_mul_f32 v[120:121], v[104:105], v[0:1] /*v[256:257]*/ op_sel:[1,1] op_sel_hi:[0,1]
	s_set_vgpr_msb 0                        ;  msbs: dst=0 src0=0 src1=0 src2=0
	v_fma_f32 v11, v136, v140, -v11
	s_delay_alu instid0(VALU_DEP_1) | instskip(SKIP_1) | instid1(VALU_DEP_1)
	v_add_f32_e32 v9, v9, v11
	v_mul_f32_e32 v11, v139, v143
	v_fma_f32 v11, v138, v142, -v11
	s_delay_alu instid0(VALU_DEP_1) | instskip(SKIP_1) | instid1(VALU_DEP_1)
	v_add_f32_e32 v9, v9, v11
	v_mul_f32_e32 v11, v145, v149
	;; [unrolled: 4-line block ×26, first 2 shown]
	v_fma_f32 v11, v240, v244, -v11
	s_set_vgpr_msb 64                       ;  msbs: dst=1 src0=0 src1=0 src2=0
	s_delay_alu instid0(VALU_DEP_1) | instskip(SKIP_3) | instid1(VALU_DEP_1)
	v_add_f32_e32 v12 /*v268*/, v9, v11
	s_set_vgpr_msb 0                        ;  msbs: dst=0 src0=0 src1=0 src2=0
	v_mul_f32_e32 v9, v243, v247
	s_set_vgpr_msb 64                       ;  msbs: dst=1 src0=0 src1=0 src2=0
	v_fma_f32 v14 /*v270*/, v242, v246, -v9
	s_set_vgpr_msb 0                        ;  msbs: dst=0 src0=0 src1=0 src2=0
	v_mul_f32_e32 v9, v249, v253
	s_set_vgpr_msb 5                        ;  msbs: dst=0 src0=1 src1=1 src2=0
	s_delay_alu instid0(VALU_DEP_2) | instskip(SKIP_1) | instid1(VALU_DEP_2)
	v_pk_add_f32 v[118:119], v[12:13] /*v[268:269]*/, v[14:15] /*v[270:271]*/
	s_set_vgpr_msb 64                       ;  msbs: dst=1 src0=0 src1=0 src2=0
	v_fma_f32 v16 /*v272*/, v248, v252, -v9
	s_set_vgpr_msb 4                        ;  msbs: dst=0 src0=0 src1=1 src2=0
	s_delay_alu instid0(VALU_DEP_1) | instskip(SKIP_1) | instid1(VALU_DEP_1)
	v_pk_add_f32 v[118:119], v[118:119], v[16:17] /*v[272:273]*/
	s_set_vgpr_msb 0                        ;  msbs: dst=0 src0=0 src1=0 src2=0
	v_pk_add_f32 v[118:119], v[118:119], v[122:123]
	s_set_vgpr_msb 4                        ;  msbs: dst=0 src0=0 src1=1 src2=0
	v_pk_fma_f32 v[122:123], v[104:105], v[0:1] /*v[256:257]*/, v[120:121] neg_lo:[0,0,1] neg_hi:[0,0,1]
	v_pk_fma_f32 v[104:105], v[104:105], v[0:1] /*v[256:257]*/, v[120:121] op_sel_hi:[1,0,1]
	s_set_vgpr_msb 1                        ;  msbs: dst=0 src0=1 src1=0 src2=0
	v_mov_b32_e32 v120, v3 /*v259*/
	s_set_vgpr_msb 0                        ;  msbs: dst=0 src0=0 src1=0 src2=0
	s_delay_alu instid0(VALU_DEP_2) | instskip(NEXT) | instid1(VALU_DEP_1)
	v_mov_b32_e32 v123, v105
	v_pk_add_f32 v[104:105], v[118:119], v[122:123]
	v_dual_mov_b32 v118, v107 :: v_dual_mov_b32 v119, v106
	s_delay_alu instid0(VALU_DEP_1) | instskip(SKIP_1) | instid1(VALU_DEP_1)
	v_pk_mul_f32 v[118:119], v[118:119], v[120:121] op_sel_hi:[1,0]
	s_set_vgpr_msb 4                        ;  msbs: dst=0 src0=0 src1=1 src2=0
	v_pk_fma_f32 v[120:121], v[106:107], v[2:3] /*v[258:259]*/, v[118:119] neg_lo:[0,0,1] neg_hi:[0,0,1]
	v_pk_fma_f32 v[106:107], v[106:107], v[2:3] /*v[258:259]*/, v[118:119] op_sel_hi:[1,0,1]
	s_delay_alu instid0(VALU_DEP_1) | instskip(SKIP_3) | instid1(VALU_DEP_2)
	v_mov_b32_e32 v121, v107
	s_wait_loadcnt_dscnt 0x202
	v_pk_mul_f32 v[106:107], v[108:109], v[4:5] /*v[260:261]*/ op_sel:[1,1] op_sel_hi:[0,1]
	s_set_vgpr_msb 0                        ;  msbs: dst=0 src0=0 src1=0 src2=0
	v_pk_add_f32 v[104:105], v[104:105], v[120:121]
	s_set_vgpr_msb 4                        ;  msbs: dst=0 src0=0 src1=1 src2=0
	s_delay_alu instid0(VALU_DEP_2)
	v_pk_fma_f32 v[118:119], v[108:109], v[4:5] /*v[260:261]*/, v[106:107] neg_lo:[0,0,1] neg_hi:[0,0,1]
	v_pk_fma_f32 v[106:107], v[108:109], v[4:5] /*v[260:261]*/, v[106:107] op_sel_hi:[1,0,1]
	v_mov_b32_e32 v106, v111
	s_set_vgpr_msb 1                        ;  msbs: dst=0 src0=1 src1=0 src2=0
	v_mov_b32_e32 v108, v7 /*v263*/
	s_set_vgpr_msb 0                        ;  msbs: dst=0 src0=0 src1=0 src2=0
	v_dual_mov_b32 v119, v107 :: v_dual_mov_b32 v107, v110
	s_delay_alu instid0(VALU_DEP_1) | instskip(NEXT) | instid1(VALU_DEP_2)
	v_pk_add_f32 v[104:105], v[104:105], v[118:119]
	v_pk_mul_f32 v[106:107], v[106:107], v[108:109] op_sel_hi:[1,0]
	s_set_vgpr_msb 4                        ;  msbs: dst=0 src0=0 src1=1 src2=0
	s_delay_alu instid0(VALU_DEP_1) | instskip(SKIP_1) | instid1(VALU_DEP_1)
	v_pk_fma_f32 v[108:109], v[110:111], v[6:7] /*v[262:263]*/, v[106:107] neg_lo:[0,0,1] neg_hi:[0,0,1]
	v_pk_fma_f32 v[106:107], v[110:111], v[6:7] /*v[262:263]*/, v[106:107] op_sel_hi:[1,0,1]
	v_mov_b32_e32 v109, v107
	s_wait_loadcnt_dscnt 0x101
	v_pk_mul_f32 v[106:107], v[112:113], v[8:9] /*v[264:265]*/ op_sel:[1,1] op_sel_hi:[0,1]
	s_set_vgpr_msb 0                        ;  msbs: dst=0 src0=0 src1=0 src2=0
	s_delay_alu instid0(VALU_DEP_2) | instskip(SKIP_1) | instid1(VALU_DEP_2)
	v_pk_add_f32 v[104:105], v[104:105], v[108:109]
	s_set_vgpr_msb 4                        ;  msbs: dst=0 src0=0 src1=1 src2=0
	v_pk_fma_f32 v[108:109], v[112:113], v[8:9] /*v[264:265]*/, v[106:107] neg_lo:[0,0,1] neg_hi:[0,0,1]
	v_pk_fma_f32 v[106:107], v[112:113], v[8:9] /*v[264:265]*/, v[106:107] op_sel_hi:[1,0,1]
	s_delay_alu instid0(VALU_DEP_1) | instskip(SKIP_2) | instid1(VALU_DEP_2)
	v_dual_mov_b32 v106, v115 :: v_dual_mov_b32 v109, v107
	v_mov_b32_e32 v107, v114
	s_set_vgpr_msb 0                        ;  msbs: dst=0 src0=0 src1=0 src2=0
	v_pk_add_f32 v[104:105], v[104:105], v[108:109]
	s_set_vgpr_msb 1                        ;  msbs: dst=0 src0=1 src1=0 src2=0
	v_mov_b32_e32 v108, v11 /*v267*/
	s_set_vgpr_msb 0                        ;  msbs: dst=0 src0=0 src1=0 src2=0
	s_delay_alu instid0(VALU_DEP_1) | instskip(SKIP_1) | instid1(VALU_DEP_1)
	v_pk_mul_f32 v[106:107], v[106:107], v[108:109] op_sel_hi:[1,0]
	s_set_vgpr_msb 4                        ;  msbs: dst=0 src0=0 src1=1 src2=0
	v_pk_fma_f32 v[108:109], v[114:115], v[10:11] /*v[266:267]*/, v[106:107] neg_lo:[0,0,1] neg_hi:[0,0,1]
	v_pk_fma_f32 v[106:107], v[114:115], v[10:11] /*v[266:267]*/, v[106:107] op_sel_hi:[1,0,1]
	s_delay_alu instid0(VALU_DEP_1) | instskip(SKIP_3) | instid1(VALU_DEP_2)
	v_mov_b32_e32 v109, v107
	s_wait_loadcnt_dscnt 0x0
	v_pk_mul_f32 v[106:107], v[116:117], v[18:19] /*v[274:275]*/ op_sel:[1,1] op_sel_hi:[0,1]
	s_set_vgpr_msb 0                        ;  msbs: dst=0 src0=0 src1=0 src2=0
	v_pk_add_f32 v[104:105], v[104:105], v[108:109]
	s_set_vgpr_msb 4                        ;  msbs: dst=0 src0=0 src1=1 src2=0
	s_delay_alu instid0(VALU_DEP_2) | instskip(SKIP_1) | instid1(VALU_DEP_1)
	v_pk_fma_f32 v[108:109], v[116:117], v[18:19] /*v[274:275]*/, v[106:107] neg_lo:[0,0,1] neg_hi:[0,0,1]
	v_pk_fma_f32 v[106:107], v[116:117], v[18:19] /*v[274:275]*/, v[106:107] op_sel_hi:[1,0,1]
	v_mov_b32_e32 v109, v107
	scratch_load_b64 v[106:107], off, off offset:40
	s_set_vgpr_msb 0                        ;  msbs: dst=0 src0=0 src1=0 src2=0
	v_pk_add_f32 v[104:105], v[104:105], v[108:109]
	s_wait_loadcnt 0x0
	s_delay_alu instid0(VALU_DEP_1)
	v_pk_add_f32 v[104:105], v[106:107], v[104:105] neg_lo:[0,1] neg_hi:[0,1]
	scratch_store_b64 off, v[104:105], off offset:40
	s_wait_xcnt 0x0
	v_cmpx_lt_u32_e32 4, v0
	s_cbranch_execz .LBB114_311
; %bb.310:
	scratch_load_b64 v[104:105], off, off offset:32
	v_mov_b64_e32 v[106:107], 0
	scratch_store_b64 off, v[106:107], off offset:32
	s_wait_loadcnt 0x0
	ds_store_b64 v1, v[104:105]
.LBB114_311:
	s_wait_xcnt 0x0
	s_or_b32 exec_lo, exec_lo, s0
	s_wait_storecnt_dscnt 0x0
	s_barrier_signal -1
	s_barrier_wait -1
	s_clause 0xf
	scratch_load_b128 v[108:111], off, off offset:40
	scratch_load_b128 v[116:119], off, off offset:56
	;; [unrolled: 1-line block ×16, first 2 shown]
	ds_load_2addr_b64 v[104:107], v7 offset0:57 offset1:58
	ds_load_2addr_b64 v[112:115], v7 offset0:59 offset1:60
	s_clause 0x1
	scratch_load_b128 v[236:239], off, off offset:296
	scratch_load_b128 v[244:247], off, off offset:312
	ds_load_2addr_b64 v[120:123], v7 offset0:61 offset1:62
	ds_load_2addr_b64 v[128:131], v7 offset0:63 offset1:64
	;; [unrolled: 1-line block ×5, first 2 shown]
	scratch_load_b128 v[252:255], off, off offset:328
	ds_load_2addr_b64 v[152:155], v7 offset0:69 offset1:70
	ds_load_2addr_b64 v[160:163], v7 offset0:71 offset1:72
	;; [unrolled: 1-line block ×12, first 2 shown]
	s_set_vgpr_msb 64                       ;  msbs: dst=1 src0=0 src1=0 src2=0
	s_clause 0x3
	scratch_load_b128 v[0:3] /*v[256:259]*/, off, off offset:344
	scratch_load_b128 v[4:7] /*v[260:263]*/, off, off offset:360
	scratch_load_b128 v[8:11] /*v[264:267]*/, off, off offset:376
	scratch_load_b128 v[12:15] /*v[268:271]*/, off, off offset:392
	s_mov_b32 s0, exec_lo
	s_wait_loadcnt_dscnt 0x1612
	s_set_vgpr_msb 0                        ;  msbs: dst=0 src0=0 src1=0 src2=0
	v_dual_mul_f32 v9, v104, v109 :: v_dual_mul_f32 v11, v106, v111
	s_delay_alu instid0(VALU_DEP_1) | instskip(NEXT) | instid1(VALU_DEP_1)
	v_dual_fmac_f32 v9, v105, v108 :: v_dual_fmac_f32 v11, v107, v110
	v_add_f32_e32 v9, 0, v9
	s_wait_loadcnt_dscnt 0x1511
	s_delay_alu instid0(VALU_DEP_1) | instskip(NEXT) | instid1(VALU_DEP_1)
	v_dual_add_f32 v9, v9, v11 :: v_dual_mul_f32 v11, v112, v117
	v_fmac_f32_e32 v11, v113, v116
	s_wait_loadcnt_dscnt 0x40c
	s_set_vgpr_msb 64                       ;  msbs: dst=1 src0=0 src1=0 src2=0
	v_mul_f32_e32 v19 /*v275*/, v248, v253
	s_set_vgpr_msb 0                        ;  msbs: dst=0 src0=0 src1=0 src2=0
	v_add_f32_e32 v9, v9, v11
	v_mul_f32_e32 v11, v114, v119
	s_set_vgpr_msb 64                       ;  msbs: dst=1 src0=0 src1=0 src2=0
	v_dual_mul_f32 v21 /*v277*/, v250, v255 :: v_dual_fmac_f32 v19 /*v275*/, v249, v252
	s_set_vgpr_msb 0                        ;  msbs: dst=0 src0=0 src1=0 src2=0
	s_delay_alu instid0(VALU_DEP_2) | instskip(NEXT) | instid1(VALU_DEP_1)
	v_fmac_f32_e32 v11, v115, v118
	v_dual_add_f32 v9, v9, v11 :: v_dual_mul_f32 v11, v120, v125
	s_delay_alu instid0(VALU_DEP_1) | instskip(NEXT) | instid1(VALU_DEP_1)
	v_fmac_f32_e32 v11, v121, v124
	v_add_f32_e32 v9, v9, v11
	v_mul_f32_e32 v11, v122, v127
	s_delay_alu instid0(VALU_DEP_1) | instskip(NEXT) | instid1(VALU_DEP_1)
	v_fmac_f32_e32 v11, v123, v126
	v_dual_add_f32 v9, v9, v11 :: v_dual_mul_f32 v11, v128, v133
	s_delay_alu instid0(VALU_DEP_1) | instskip(NEXT) | instid1(VALU_DEP_1)
	v_fmac_f32_e32 v11, v129, v132
	v_add_f32_e32 v9, v9, v11
	v_mul_f32_e32 v11, v130, v135
	s_delay_alu instid0(VALU_DEP_1) | instskip(NEXT) | instid1(VALU_DEP_1)
	;; [unrolled: 7-line block ×3, first 2 shown]
	v_fmac_f32_e32 v11, v139, v142
	v_dual_add_f32 v9, v9, v11 :: v_dual_mul_f32 v11, v144, v149
	s_delay_alu instid0(VALU_DEP_1) | instskip(NEXT) | instid1(VALU_DEP_1)
	v_fmac_f32_e32 v11, v145, v148
	v_add_f32_e32 v9, v9, v11
	v_mul_f32_e32 v11, v146, v151
	s_delay_alu instid0(VALU_DEP_1) | instskip(SKIP_1) | instid1(VALU_DEP_1)
	v_fmac_f32_e32 v11, v147, v150
	s_wait_dscnt 0xb
	v_dual_add_f32 v9, v9, v11 :: v_dual_mul_f32 v11, v152, v157
	s_delay_alu instid0(VALU_DEP_1) | instskip(NEXT) | instid1(VALU_DEP_1)
	v_fmac_f32_e32 v11, v153, v156
	v_add_f32_e32 v9, v9, v11
	v_mul_f32_e32 v11, v154, v159
	s_delay_alu instid0(VALU_DEP_1) | instskip(SKIP_1) | instid1(VALU_DEP_1)
	v_fmac_f32_e32 v11, v155, v158
	s_wait_dscnt 0xa
	;; [unrolled: 8-line block ×12, first 2 shown]
	v_dual_add_f32 v9, v9, v11 :: v_dual_mul_f32 v11, v240, v245
	s_delay_alu instid0(VALU_DEP_1) | instskip(NEXT) | instid1(VALU_DEP_1)
	v_fmac_f32_e32 v11, v241, v244
	v_add_f32_e32 v9, v9, v11
	v_mul_f32_e32 v11, v242, v247
	s_delay_alu instid0(VALU_DEP_1) | instskip(SKIP_1) | instid1(VALU_DEP_1)
	v_fmac_f32_e32 v11, v243, v246
	s_set_vgpr_msb 64                       ;  msbs: dst=1 src0=0 src1=0 src2=0
	v_add_f32_e32 v17 /*v273*/, v9, v11
	s_set_vgpr_msb 0                        ;  msbs: dst=0 src0=0 src1=0 src2=0
	v_dual_mul_f32 v9, v105, v109 :: v_dual_mul_f32 v11, v107, v111
	s_delay_alu instid0(VALU_DEP_1) | instskip(NEXT) | instid1(VALU_DEP_1)
	v_dual_fma_f32 v9, v104, v108, -v9 :: v_dual_fma_f32 v11, v106, v110, -v11
	v_add_f32_e32 v9, 0, v9
	s_delay_alu instid0(VALU_DEP_1) | instskip(SKIP_1) | instid1(VALU_DEP_1)
	v_add_f32_e32 v9, v9, v11
	v_mul_f32_e32 v11, v113, v117
	v_fma_f32 v11, v112, v116, -v11
	s_delay_alu instid0(VALU_DEP_1) | instskip(SKIP_1) | instid1(VALU_DEP_1)
	v_add_f32_e32 v9, v9, v11
	v_mul_f32_e32 v11, v115, v119
	v_fma_f32 v11, v114, v118, -v11
	ds_load_2addr_b64 v[104:107], v7 offset0:95 offset1:96
	ds_load_2addr_b64 v[108:111], v7 offset0:97 offset1:98
	;; [unrolled: 1-line block ×4, first 2 shown]
	v_add_f32_e32 v9, v9, v11
	v_mul_f32_e32 v11, v121, v125
	s_delay_alu instid0(VALU_DEP_1) | instskip(NEXT) | instid1(VALU_DEP_1)
	v_fma_f32 v11, v120, v124, -v11
	v_add_f32_e32 v9, v9, v11
	v_mul_f32_e32 v11, v123, v127
	s_delay_alu instid0(VALU_DEP_1)
	v_fma_f32 v11, v122, v126, -v11
	s_wait_loadcnt_dscnt 0x303
	s_set_vgpr_msb 4                        ;  msbs: dst=0 src0=0 src1=1 src2=0
	v_pk_mul_f32 v[122:123], v[104:105], v[0:1] /*v[256:257]*/ op_sel:[1,1] op_sel_hi:[0,1]
	s_set_vgpr_msb 0                        ;  msbs: dst=0 src0=0 src1=0 src2=0
	v_add_f32_e32 v9, v9, v11
	v_mul_f32_e32 v11, v129, v133
	s_set_vgpr_msb 4                        ;  msbs: dst=0 src0=0 src1=1 src2=0
	v_pk_fma_f32 v[124:125], v[104:105], v[0:1] /*v[256:257]*/, v[122:123] neg_lo:[0,0,1] neg_hi:[0,0,1]
	v_pk_fma_f32 v[104:105], v[104:105], v[0:1] /*v[256:257]*/, v[122:123] op_sel_hi:[1,0,1]
	s_set_vgpr_msb 1                        ;  msbs: dst=0 src0=1 src1=0 src2=0
	v_mov_b32_e32 v122, v3 /*v259*/
	s_set_vgpr_msb 0                        ;  msbs: dst=0 src0=0 src1=0 src2=0
	s_delay_alu instid0(VALU_DEP_2) | instskip(NEXT) | instid1(VALU_DEP_1)
	v_dual_fma_f32 v11, v128, v132, -v11 :: v_dual_mov_b32 v125, v105
	v_add_f32_e32 v9, v9, v11
	v_mul_f32_e32 v11, v131, v135
	s_delay_alu instid0(VALU_DEP_1) | instskip(NEXT) | instid1(VALU_DEP_1)
	v_fma_f32 v11, v130, v134, -v11
	v_add_f32_e32 v9, v9, v11
	v_mul_f32_e32 v11, v137, v141
	s_delay_alu instid0(VALU_DEP_1) | instskip(NEXT) | instid1(VALU_DEP_1)
	v_fma_f32 v11, v136, v140, -v11
	;; [unrolled: 4-line block ×28, first 2 shown]
	v_add_f32_e32 v9, v9, v11
	v_mul_f32_e32 v11, v243, v247
	s_delay_alu instid0(VALU_DEP_1) | instskip(SKIP_1) | instid1(VALU_DEP_1)
	v_fma_f32 v11, v242, v246, -v11
	s_set_vgpr_msb 64                       ;  msbs: dst=1 src0=0 src1=0 src2=0
	v_dual_fmac_f32 v21 /*v277*/, v251, v254 :: v_dual_add_f32 v16 /*v272*/, v9, v11
	s_set_vgpr_msb 0                        ;  msbs: dst=0 src0=0 src1=0 src2=0
	v_mul_f32_e32 v9, v249, v253
	s_set_vgpr_msb 64                       ;  msbs: dst=1 src0=0 src1=0 src2=0
	s_delay_alu instid0(VALU_DEP_1) | instskip(SKIP_3) | instid1(VALU_DEP_1)
	v_fma_f32 v18 /*v274*/, v248, v252, -v9
	s_set_vgpr_msb 0                        ;  msbs: dst=0 src0=0 src1=0 src2=0
	v_mul_f32_e32 v9, v251, v255
	s_set_vgpr_msb 64                       ;  msbs: dst=1 src0=0 src1=0 src2=0
	v_fma_f32 v20 /*v276*/, v250, v254, -v9
	s_set_vgpr_msb 5                        ;  msbs: dst=0 src0=1 src1=1 src2=0
	v_pk_add_f32 v[120:121], v[16:17] /*v[272:273]*/, v[18:19] /*v[274:275]*/
	s_set_vgpr_msb 4                        ;  msbs: dst=0 src0=0 src1=1 src2=0
	s_delay_alu instid0(VALU_DEP_1) | instskip(SKIP_1) | instid1(VALU_DEP_1)
	v_pk_add_f32 v[120:121], v[120:121], v[20:21] /*v[276:277]*/
	s_set_vgpr_msb 0                        ;  msbs: dst=0 src0=0 src1=0 src2=0
	v_pk_add_f32 v[104:105], v[120:121], v[124:125]
	v_dual_mov_b32 v120, v107 :: v_dual_mov_b32 v121, v106
	s_delay_alu instid0(VALU_DEP_1) | instskip(SKIP_1) | instid1(VALU_DEP_1)
	v_pk_mul_f32 v[120:121], v[120:121], v[122:123] op_sel_hi:[1,0]
	s_set_vgpr_msb 4                        ;  msbs: dst=0 src0=0 src1=1 src2=0
	v_pk_fma_f32 v[122:123], v[106:107], v[2:3] /*v[258:259]*/, v[120:121] neg_lo:[0,0,1] neg_hi:[0,0,1]
	v_pk_fma_f32 v[106:107], v[106:107], v[2:3] /*v[258:259]*/, v[120:121] op_sel_hi:[1,0,1]
	s_delay_alu instid0(VALU_DEP_1) | instskip(SKIP_3) | instid1(VALU_DEP_2)
	v_mov_b32_e32 v123, v107
	s_wait_loadcnt_dscnt 0x202
	v_pk_mul_f32 v[106:107], v[108:109], v[4:5] /*v[260:261]*/ op_sel:[1,1] op_sel_hi:[0,1]
	s_set_vgpr_msb 0                        ;  msbs: dst=0 src0=0 src1=0 src2=0
	v_pk_add_f32 v[104:105], v[104:105], v[122:123]
	s_set_vgpr_msb 4                        ;  msbs: dst=0 src0=0 src1=1 src2=0
	s_delay_alu instid0(VALU_DEP_2)
	v_pk_fma_f32 v[120:121], v[108:109], v[4:5] /*v[260:261]*/, v[106:107] neg_lo:[0,0,1] neg_hi:[0,0,1]
	v_pk_fma_f32 v[106:107], v[108:109], v[4:5] /*v[260:261]*/, v[106:107] op_sel_hi:[1,0,1]
	v_mov_b32_e32 v106, v111
	s_set_vgpr_msb 1                        ;  msbs: dst=0 src0=1 src1=0 src2=0
	v_mov_b32_e32 v108, v7 /*v263*/
	s_set_vgpr_msb 0                        ;  msbs: dst=0 src0=0 src1=0 src2=0
	v_dual_mov_b32 v121, v107 :: v_dual_mov_b32 v107, v110
	s_delay_alu instid0(VALU_DEP_1) | instskip(NEXT) | instid1(VALU_DEP_2)
	v_pk_add_f32 v[104:105], v[104:105], v[120:121]
	v_pk_mul_f32 v[106:107], v[106:107], v[108:109] op_sel_hi:[1,0]
	s_set_vgpr_msb 4                        ;  msbs: dst=0 src0=0 src1=1 src2=0
	s_delay_alu instid0(VALU_DEP_1) | instskip(SKIP_1) | instid1(VALU_DEP_1)
	v_pk_fma_f32 v[108:109], v[110:111], v[6:7] /*v[262:263]*/, v[106:107] neg_lo:[0,0,1] neg_hi:[0,0,1]
	v_pk_fma_f32 v[106:107], v[110:111], v[6:7] /*v[262:263]*/, v[106:107] op_sel_hi:[1,0,1]
	v_mov_b32_e32 v109, v107
	s_wait_loadcnt_dscnt 0x101
	v_pk_mul_f32 v[106:107], v[112:113], v[8:9] /*v[264:265]*/ op_sel:[1,1] op_sel_hi:[0,1]
	s_set_vgpr_msb 0                        ;  msbs: dst=0 src0=0 src1=0 src2=0
	s_delay_alu instid0(VALU_DEP_2) | instskip(SKIP_1) | instid1(VALU_DEP_2)
	v_pk_add_f32 v[104:105], v[104:105], v[108:109]
	s_set_vgpr_msb 4                        ;  msbs: dst=0 src0=0 src1=1 src2=0
	v_pk_fma_f32 v[108:109], v[112:113], v[8:9] /*v[264:265]*/, v[106:107] neg_lo:[0,0,1] neg_hi:[0,0,1]
	v_pk_fma_f32 v[106:107], v[112:113], v[8:9] /*v[264:265]*/, v[106:107] op_sel_hi:[1,0,1]
	s_delay_alu instid0(VALU_DEP_1) | instskip(SKIP_2) | instid1(VALU_DEP_2)
	v_dual_mov_b32 v106, v115 :: v_dual_mov_b32 v109, v107
	v_mov_b32_e32 v107, v114
	s_set_vgpr_msb 0                        ;  msbs: dst=0 src0=0 src1=0 src2=0
	v_pk_add_f32 v[104:105], v[104:105], v[108:109]
	s_set_vgpr_msb 1                        ;  msbs: dst=0 src0=1 src1=0 src2=0
	v_mov_b32_e32 v108, v11 /*v267*/
	s_set_vgpr_msb 0                        ;  msbs: dst=0 src0=0 src1=0 src2=0
	s_delay_alu instid0(VALU_DEP_1) | instskip(SKIP_1) | instid1(VALU_DEP_1)
	v_pk_mul_f32 v[106:107], v[106:107], v[108:109] op_sel_hi:[1,0]
	s_set_vgpr_msb 4                        ;  msbs: dst=0 src0=0 src1=1 src2=0
	v_pk_fma_f32 v[108:109], v[114:115], v[10:11] /*v[266:267]*/, v[106:107] neg_lo:[0,0,1] neg_hi:[0,0,1]
	v_pk_fma_f32 v[106:107], v[114:115], v[10:11] /*v[266:267]*/, v[106:107] op_sel_hi:[1,0,1]
	s_delay_alu instid0(VALU_DEP_1) | instskip(SKIP_3) | instid1(VALU_DEP_2)
	v_mov_b32_e32 v109, v107
	s_wait_loadcnt_dscnt 0x0
	v_pk_mul_f32 v[106:107], v[116:117], v[12:13] /*v[268:269]*/ op_sel:[1,1] op_sel_hi:[0,1]
	s_set_vgpr_msb 0                        ;  msbs: dst=0 src0=0 src1=0 src2=0
	v_pk_add_f32 v[104:105], v[104:105], v[108:109]
	s_set_vgpr_msb 4                        ;  msbs: dst=0 src0=0 src1=1 src2=0
	s_delay_alu instid0(VALU_DEP_2) | instskip(SKIP_1) | instid1(VALU_DEP_1)
	v_pk_fma_f32 v[108:109], v[116:117], v[12:13] /*v[268:269]*/, v[106:107] neg_lo:[0,0,1] neg_hi:[0,0,1]
	v_pk_fma_f32 v[106:107], v[116:117], v[12:13] /*v[268:269]*/, v[106:107] op_sel_hi:[1,0,1]
	v_dual_mov_b32 v106, v119 :: v_dual_mov_b32 v109, v107
	v_mov_b32_e32 v107, v118
	s_set_vgpr_msb 0                        ;  msbs: dst=0 src0=0 src1=0 src2=0
	s_delay_alu instid0(VALU_DEP_2) | instskip(SKIP_3) | instid1(VALU_DEP_1)
	v_pk_add_f32 v[104:105], v[104:105], v[108:109]
	s_set_vgpr_msb 1                        ;  msbs: dst=0 src0=1 src1=0 src2=0
	v_mov_b32_e32 v108, v15 /*v271*/
	s_set_vgpr_msb 0                        ;  msbs: dst=0 src0=0 src1=0 src2=0
	v_pk_mul_f32 v[106:107], v[106:107], v[108:109] op_sel_hi:[1,0]
	s_set_vgpr_msb 4                        ;  msbs: dst=0 src0=0 src1=1 src2=0
	s_delay_alu instid0(VALU_DEP_1) | instskip(SKIP_1) | instid1(VALU_DEP_1)
	v_pk_fma_f32 v[108:109], v[118:119], v[14:15] /*v[270:271]*/, v[106:107] neg_lo:[0,0,1] neg_hi:[0,0,1]
	v_pk_fma_f32 v[106:107], v[118:119], v[14:15] /*v[270:271]*/, v[106:107] op_sel_hi:[1,0,1]
	v_mov_b32_e32 v109, v107
	scratch_load_b64 v[106:107], off, off offset:32
	s_set_vgpr_msb 0                        ;  msbs: dst=0 src0=0 src1=0 src2=0
	v_pk_add_f32 v[104:105], v[104:105], v[108:109]
	s_wait_loadcnt 0x0
	s_delay_alu instid0(VALU_DEP_1)
	v_pk_add_f32 v[104:105], v[106:107], v[104:105] neg_lo:[0,1] neg_hi:[0,1]
	scratch_store_b64 off, v[104:105], off offset:32
	s_wait_xcnt 0x0
	v_cmpx_lt_u32_e32 3, v0
	s_cbranch_execz .LBB114_313
; %bb.312:
	scratch_load_b64 v[104:105], off, off offset:24
	v_mov_b64_e32 v[106:107], 0
	scratch_store_b64 off, v[106:107], off offset:24
	s_wait_loadcnt 0x0
	ds_store_b64 v1, v[104:105]
.LBB114_313:
	s_wait_xcnt 0x0
	s_or_b32 exec_lo, exec_lo, s0
	v_mov_b32_e32 v7, 0
	s_wait_storecnt_dscnt 0x0
	s_barrier_signal -1
	s_barrier_wait -1
	ds_load_b128 v[104:107], v7 offset:448
	ds_load_b128 v[108:111], v7 offset:464
	;; [unrolled: 1-line block ×4, first 2 shown]
	s_clause 0x14
	scratch_load_b128 v[120:123], off, off offset:32
	scratch_load_b128 v[124:127], off, off offset:48
	;; [unrolled: 1-line block ×19, first 2 shown]
	s_set_vgpr_msb 64                       ;  msbs: dst=1 src0=0 src1=0 src2=0
	scratch_load_b128 v[4:7] /*v[260:263]*/, off, off offset:336
	s_mov_b32 s0, exec_lo
	s_wait_loadcnt_dscnt 0x1303
	s_set_vgpr_msb 0                        ;  msbs: dst=0 src0=0 src1=0 src2=0
	v_mul_f32_e32 v9, v104, v121
	ds_load_b128 v[248:251], v7 offset:736
	s_set_vgpr_msb 64                       ;  msbs: dst=1 src0=0 src1=0 src2=0
	ds_load_b128 v[0:3] /*v[256:259]*/, v7 offset:752
	s_set_vgpr_msb 0                        ;  msbs: dst=0 src0=0 src1=0 src2=0
	ds_load_b128 v[136:139], v7 offset:512
	ds_load_b128 v[144:147], v7 offset:528
	v_dual_fmac_f32 v9, v105, v120 :: v_dual_mul_f32 v11, v106, v123
	ds_load_b128 v[152:155], v7 offset:544
	ds_load_b128 v[160:163], v7 offset:560
	;; [unrolled: 1-line block ×4, first 2 shown]
	v_dual_add_f32 v9, 0, v9 :: v_dual_fmac_f32 v11, v107, v122
	ds_load_b128 v[184:187], v7 offset:608
	ds_load_b128 v[192:195], v7 offset:624
	;; [unrolled: 1-line block ×4, first 2 shown]
	s_wait_loadcnt_dscnt 0x120e
	v_dual_add_f32 v9, v9, v11 :: v_dual_mul_f32 v11, v108, v125
	ds_load_b128 v[216:219], v7 offset:672
	ds_load_b128 v[224:227], v7 offset:688
	;; [unrolled: 1-line block ×4, first 2 shown]
	v_fmac_f32_e32 v11, v109, v124
	s_wait_loadcnt_dscnt 0x10f
	s_set_vgpr_msb 64                       ;  msbs: dst=1 src0=0 src1=0 src2=0
	v_mul_f32_e32 v23 /*v279*/, v250, v255
	s_clause 0x3
	scratch_load_b128 v[8:11] /*v[264:267]*/, off, off offset:352
	scratch_load_b128 v[12:15] /*v[268:271]*/, off, off offset:368
	;; [unrolled: 1-line block ×3, first 2 shown]
	scratch_load_b64 v[26:27] /*v[282:283]*/, off, off offset:400
	s_set_vgpr_msb 0                        ;  msbs: dst=0 src0=0 src1=0 src2=0
	v_add_f32_e32 v9, v9, v11
	v_mul_f32_e32 v11, v110, v127
	s_delay_alu instid0(VALU_DEP_1) | instskip(NEXT) | instid1(VALU_DEP_1)
	v_fmac_f32_e32 v11, v111, v126
	v_dual_add_f32 v9, v9, v11 :: v_dual_mul_f32 v11, v112, v129
	s_delay_alu instid0(VALU_DEP_1) | instskip(NEXT) | instid1(VALU_DEP_1)
	v_fmac_f32_e32 v11, v113, v128
	v_add_f32_e32 v9, v9, v11
	v_mul_f32_e32 v11, v114, v131
	s_delay_alu instid0(VALU_DEP_1) | instskip(NEXT) | instid1(VALU_DEP_1)
	v_fmac_f32_e32 v11, v115, v130
	v_dual_add_f32 v9, v9, v11 :: v_dual_mul_f32 v11, v116, v133
	s_delay_alu instid0(VALU_DEP_1) | instskip(NEXT) | instid1(VALU_DEP_1)
	v_fmac_f32_e32 v11, v117, v132
	v_add_f32_e32 v9, v9, v11
	v_mul_f32_e32 v11, v118, v135
	s_delay_alu instid0(VALU_DEP_1) | instskip(SKIP_1) | instid1(VALU_DEP_1)
	v_fmac_f32_e32 v11, v119, v134
	s_wait_dscnt 0xd
	v_dual_add_f32 v9, v9, v11 :: v_dual_mul_f32 v11, v136, v141
	s_delay_alu instid0(VALU_DEP_1) | instskip(NEXT) | instid1(VALU_DEP_1)
	v_fmac_f32_e32 v11, v137, v140
	v_add_f32_e32 v9, v9, v11
	v_mul_f32_e32 v11, v138, v143
	s_delay_alu instid0(VALU_DEP_1) | instskip(SKIP_1) | instid1(VALU_DEP_1)
	v_fmac_f32_e32 v11, v139, v142
	s_wait_dscnt 0xc
	;; [unrolled: 8-line block ×14, first 2 shown]
	v_dual_add_f32 v9, v9, v11 :: v_dual_mul_f32 v11, v240, v245
	s_delay_alu instid0(VALU_DEP_1) | instskip(NEXT) | instid1(VALU_DEP_1)
	v_fmac_f32_e32 v11, v241, v244
	v_add_f32_e32 v9, v9, v11
	v_mul_f32_e32 v11, v242, v247
	s_delay_alu instid0(VALU_DEP_1) | instskip(NEXT) | instid1(VALU_DEP_1)
	v_fmac_f32_e32 v11, v243, v246
	v_dual_add_f32 v9, v9, v11 :: v_dual_mul_f32 v11, v248, v253
	s_delay_alu instid0(VALU_DEP_1) | instskip(SKIP_1) | instid1(VALU_DEP_1)
	v_fmac_f32_e32 v11, v249, v252
	s_set_vgpr_msb 64                       ;  msbs: dst=1 src0=0 src1=0 src2=0
	v_add_f32_e32 v21 /*v277*/, v9, v11
	s_set_vgpr_msb 0                        ;  msbs: dst=0 src0=0 src1=0 src2=0
	v_dual_mul_f32 v9, v105, v121 :: v_dual_mul_f32 v11, v107, v123
	s_set_vgpr_msb 1                        ;  msbs: dst=0 src0=1 src1=0 src2=0
	v_mov_b32_e32 v121, v2 /*v258*/
	s_set_vgpr_msb 0                        ;  msbs: dst=0 src0=0 src1=0 src2=0
	s_delay_alu instid0(VALU_DEP_2) | instskip(SKIP_3) | instid1(VALU_DEP_2)
	v_dual_fma_f32 v9, v104, v120, -v9 :: v_dual_fma_f32 v11, v106, v122, -v11
	s_wait_loadcnt 0x4
	s_set_vgpr_msb 1                        ;  msbs: dst=0 src0=1 src1=0 src2=0
	v_dual_mov_b32 v122, v7 /*v263*/ :: v_dual_mov_b32 v120, v3 /*v259*/
	v_add_f32_e32 v9, 0, v9
	s_set_vgpr_msb 0                        ;  msbs: dst=0 src0=0 src1=0 src2=0
	s_delay_alu instid0(VALU_DEP_2) | instskip(NEXT) | instid1(VALU_DEP_2)
	v_pk_mul_f32 v[120:121], v[120:121], v[122:123] op_sel_hi:[1,0]
	v_add_f32_e32 v9, v9, v11
	v_mul_f32_e32 v11, v109, v125
	s_set_vgpr_msb 5                        ;  msbs: dst=0 src0=1 src1=1 src2=0
	s_delay_alu instid0(VALU_DEP_3) | instskip(SKIP_2) | instid1(VALU_DEP_1)
	v_pk_fma_f32 v[122:123], v[2:3] /*v[258:259]*/, v[6:7] /*v[262:263]*/, v[120:121] neg_lo:[0,0,1] neg_hi:[0,0,1]
	v_pk_fma_f32 v[120:121], v[2:3] /*v[258:259]*/, v[6:7] /*v[262:263]*/, v[120:121] op_sel_hi:[1,0,1]
	s_set_vgpr_msb 0                        ;  msbs: dst=0 src0=0 src1=0 src2=0
	v_dual_fma_f32 v11, v108, v124, -v11 :: v_dual_mov_b32 v123, v121
	s_delay_alu instid0(VALU_DEP_1) | instskip(SKIP_1) | instid1(VALU_DEP_1)
	v_add_f32_e32 v9, v9, v11
	v_mul_f32_e32 v11, v111, v127
	v_fma_f32 v11, v110, v126, -v11
	s_delay_alu instid0(VALU_DEP_1) | instskip(SKIP_1) | instid1(VALU_DEP_1)
	v_add_f32_e32 v9, v9, v11
	v_mul_f32_e32 v11, v113, v129
	v_fma_f32 v11, v112, v128, -v11
	;; [unrolled: 4-line block ×4, first 2 shown]
	ds_load_b128 v[104:107], v7 offset:768
	ds_load_b128 v[108:111], v7 offset:784
	ds_load_b128 v[112:115], v7 offset:800
	ds_load_b64 v[116:117], v7 offset:816
	v_add_f32_e32 v9, v9, v11
	v_mul_f32_e32 v11, v119, v135
	s_delay_alu instid0(VALU_DEP_1) | instskip(NEXT) | instid1(VALU_DEP_1)
	v_fma_f32 v11, v118, v134, -v11
	v_add_f32_e32 v9, v9, v11
	v_mul_f32_e32 v11, v137, v141
	s_wait_loadcnt_dscnt 0x303
	s_set_vgpr_msb 4                        ;  msbs: dst=0 src0=0 src1=1 src2=0
	v_pk_mul_f32 v[120:121], v[104:105], v[8:9] /*v[264:265]*/ op_sel:[1,1] op_sel_hi:[0,1]
	s_set_vgpr_msb 0                        ;  msbs: dst=0 src0=0 src1=0 src2=0
	v_fma_f32 v11, v136, v140, -v11
	s_delay_alu instid0(VALU_DEP_1) | instskip(SKIP_1) | instid1(VALU_DEP_1)
	v_add_f32_e32 v9, v9, v11
	v_mul_f32_e32 v11, v139, v143
	v_fma_f32 v11, v138, v142, -v11
	s_delay_alu instid0(VALU_DEP_1) | instskip(SKIP_1) | instid1(VALU_DEP_1)
	v_add_f32_e32 v9, v9, v11
	v_mul_f32_e32 v11, v145, v149
	;; [unrolled: 4-line block ×28, first 2 shown]
	v_fma_f32 v11, v248, v252, -v11
	s_set_vgpr_msb 64                       ;  msbs: dst=1 src0=0 src1=0 src2=0
	s_delay_alu instid0(VALU_DEP_1) | instskip(SKIP_3) | instid1(VALU_DEP_1)
	v_add_f32_e32 v20 /*v276*/, v9, v11
	s_set_vgpr_msb 0                        ;  msbs: dst=0 src0=0 src1=0 src2=0
	v_mul_f32_e32 v9, v251, v255
	s_set_vgpr_msb 64                       ;  msbs: dst=1 src0=0 src1=0 src2=0
	v_fma_f32 v22 /*v278*/, v250, v254, -v9
	s_set_vgpr_msb 5                        ;  msbs: dst=0 src0=1 src1=1 src2=0
	v_mul_f32_e32 v9, v1 /*v257*/, v5 /*v261*/
	s_set_vgpr_msb 64                       ;  msbs: dst=1 src0=0 src1=0 src2=0
	v_fmac_f32_e32 v23 /*v279*/, v251, v254
	s_set_vgpr_msb 0x45                     ;  msbs: dst=1 src0=1 src1=1 src2=0
	s_delay_alu instid0(VALU_DEP_2) | instskip(SKIP_1) | instid1(VALU_DEP_2)
	v_dual_mul_f32 v25 /*v281*/, v0 /*v256*/, v5 /*v261*/ :: v_dual_fma_f32 v24 /*v280*/, v0 /*v256*/, v4 /*v260*/, -v9
	s_set_vgpr_msb 5                        ;  msbs: dst=0 src0=1 src1=1 src2=0
	v_pk_add_f32 v[118:119], v[20:21] /*v[276:277]*/, v[22:23] /*v[278:279]*/
	s_set_vgpr_msb 0x45                     ;  msbs: dst=1 src0=1 src1=1 src2=0
	s_delay_alu instid0(VALU_DEP_2) | instskip(SKIP_1) | instid1(VALU_DEP_1)
	v_fmac_f32_e32 v25 /*v281*/, v1 /*v257*/, v4 /*v260*/
	s_set_vgpr_msb 4                        ;  msbs: dst=0 src0=0 src1=1 src2=0
	v_pk_add_f32 v[118:119], v[118:119], v[24:25] /*v[280:281]*/
	s_set_vgpr_msb 0                        ;  msbs: dst=0 src0=0 src1=0 src2=0
	s_delay_alu instid0(VALU_DEP_1)
	v_pk_add_f32 v[118:119], v[118:119], v[122:123]
	s_set_vgpr_msb 4                        ;  msbs: dst=0 src0=0 src1=1 src2=0
	v_pk_fma_f32 v[122:123], v[104:105], v[8:9] /*v[264:265]*/, v[120:121] neg_lo:[0,0,1] neg_hi:[0,0,1]
	v_pk_fma_f32 v[104:105], v[104:105], v[8:9] /*v[264:265]*/, v[120:121] op_sel_hi:[1,0,1]
	s_set_vgpr_msb 1                        ;  msbs: dst=0 src0=1 src1=0 src2=0
	v_mov_b32_e32 v120, v11 /*v267*/
	s_set_vgpr_msb 0                        ;  msbs: dst=0 src0=0 src1=0 src2=0
	s_delay_alu instid0(VALU_DEP_2) | instskip(NEXT) | instid1(VALU_DEP_1)
	v_mov_b32_e32 v123, v105
	v_pk_add_f32 v[104:105], v[118:119], v[122:123]
	v_dual_mov_b32 v118, v107 :: v_dual_mov_b32 v119, v106
	s_delay_alu instid0(VALU_DEP_1) | instskip(SKIP_1) | instid1(VALU_DEP_1)
	v_pk_mul_f32 v[118:119], v[118:119], v[120:121] op_sel_hi:[1,0]
	s_set_vgpr_msb 4                        ;  msbs: dst=0 src0=0 src1=1 src2=0
	v_pk_fma_f32 v[120:121], v[106:107], v[10:11] /*v[266:267]*/, v[118:119] neg_lo:[0,0,1] neg_hi:[0,0,1]
	v_pk_fma_f32 v[106:107], v[106:107], v[10:11] /*v[266:267]*/, v[118:119] op_sel_hi:[1,0,1]
	s_delay_alu instid0(VALU_DEP_1) | instskip(SKIP_3) | instid1(VALU_DEP_2)
	v_mov_b32_e32 v121, v107
	s_wait_loadcnt_dscnt 0x202
	v_pk_mul_f32 v[106:107], v[108:109], v[12:13] /*v[268:269]*/ op_sel:[1,1] op_sel_hi:[0,1]
	s_set_vgpr_msb 0                        ;  msbs: dst=0 src0=0 src1=0 src2=0
	v_pk_add_f32 v[104:105], v[104:105], v[120:121]
	s_set_vgpr_msb 4                        ;  msbs: dst=0 src0=0 src1=1 src2=0
	s_delay_alu instid0(VALU_DEP_2)
	v_pk_fma_f32 v[118:119], v[108:109], v[12:13] /*v[268:269]*/, v[106:107] neg_lo:[0,0,1] neg_hi:[0,0,1]
	v_pk_fma_f32 v[106:107], v[108:109], v[12:13] /*v[268:269]*/, v[106:107] op_sel_hi:[1,0,1]
	v_mov_b32_e32 v106, v111
	s_set_vgpr_msb 1                        ;  msbs: dst=0 src0=1 src1=0 src2=0
	v_mov_b32_e32 v108, v15 /*v271*/
	s_set_vgpr_msb 0                        ;  msbs: dst=0 src0=0 src1=0 src2=0
	v_dual_mov_b32 v119, v107 :: v_dual_mov_b32 v107, v110
	s_delay_alu instid0(VALU_DEP_1) | instskip(NEXT) | instid1(VALU_DEP_2)
	v_pk_add_f32 v[104:105], v[104:105], v[118:119]
	v_pk_mul_f32 v[106:107], v[106:107], v[108:109] op_sel_hi:[1,0]
	s_set_vgpr_msb 4                        ;  msbs: dst=0 src0=0 src1=1 src2=0
	s_delay_alu instid0(VALU_DEP_1) | instskip(SKIP_1) | instid1(VALU_DEP_1)
	v_pk_fma_f32 v[108:109], v[110:111], v[14:15] /*v[270:271]*/, v[106:107] neg_lo:[0,0,1] neg_hi:[0,0,1]
	v_pk_fma_f32 v[106:107], v[110:111], v[14:15] /*v[270:271]*/, v[106:107] op_sel_hi:[1,0,1]
	v_mov_b32_e32 v109, v107
	s_wait_loadcnt_dscnt 0x101
	v_pk_mul_f32 v[106:107], v[112:113], v[16:17] /*v[272:273]*/ op_sel:[1,1] op_sel_hi:[0,1]
	s_set_vgpr_msb 0                        ;  msbs: dst=0 src0=0 src1=0 src2=0
	s_delay_alu instid0(VALU_DEP_2) | instskip(SKIP_1) | instid1(VALU_DEP_2)
	v_pk_add_f32 v[104:105], v[104:105], v[108:109]
	s_set_vgpr_msb 4                        ;  msbs: dst=0 src0=0 src1=1 src2=0
	v_pk_fma_f32 v[108:109], v[112:113], v[16:17] /*v[272:273]*/, v[106:107] neg_lo:[0,0,1] neg_hi:[0,0,1]
	v_pk_fma_f32 v[106:107], v[112:113], v[16:17] /*v[272:273]*/, v[106:107] op_sel_hi:[1,0,1]
	s_delay_alu instid0(VALU_DEP_1) | instskip(SKIP_2) | instid1(VALU_DEP_2)
	v_dual_mov_b32 v106, v115 :: v_dual_mov_b32 v109, v107
	v_mov_b32_e32 v107, v114
	s_set_vgpr_msb 0                        ;  msbs: dst=0 src0=0 src1=0 src2=0
	v_pk_add_f32 v[104:105], v[104:105], v[108:109]
	s_set_vgpr_msb 1                        ;  msbs: dst=0 src0=1 src1=0 src2=0
	v_mov_b32_e32 v108, v19 /*v275*/
	s_set_vgpr_msb 0                        ;  msbs: dst=0 src0=0 src1=0 src2=0
	s_delay_alu instid0(VALU_DEP_1) | instskip(SKIP_1) | instid1(VALU_DEP_1)
	v_pk_mul_f32 v[106:107], v[106:107], v[108:109] op_sel_hi:[1,0]
	s_set_vgpr_msb 4                        ;  msbs: dst=0 src0=0 src1=1 src2=0
	v_pk_fma_f32 v[108:109], v[114:115], v[18:19] /*v[274:275]*/, v[106:107] neg_lo:[0,0,1] neg_hi:[0,0,1]
	v_pk_fma_f32 v[106:107], v[114:115], v[18:19] /*v[274:275]*/, v[106:107] op_sel_hi:[1,0,1]
	s_delay_alu instid0(VALU_DEP_1) | instskip(SKIP_3) | instid1(VALU_DEP_2)
	v_mov_b32_e32 v109, v107
	s_wait_loadcnt_dscnt 0x0
	v_pk_mul_f32 v[106:107], v[116:117], v[26:27] /*v[282:283]*/ op_sel:[1,1] op_sel_hi:[0,1]
	s_set_vgpr_msb 0                        ;  msbs: dst=0 src0=0 src1=0 src2=0
	v_pk_add_f32 v[104:105], v[104:105], v[108:109]
	s_set_vgpr_msb 4                        ;  msbs: dst=0 src0=0 src1=1 src2=0
	s_delay_alu instid0(VALU_DEP_2) | instskip(SKIP_1) | instid1(VALU_DEP_1)
	v_pk_fma_f32 v[108:109], v[116:117], v[26:27] /*v[282:283]*/, v[106:107] neg_lo:[0,0,1] neg_hi:[0,0,1]
	v_pk_fma_f32 v[106:107], v[116:117], v[26:27] /*v[282:283]*/, v[106:107] op_sel_hi:[1,0,1]
	v_mov_b32_e32 v109, v107
	scratch_load_b64 v[106:107], off, off offset:24
	s_set_vgpr_msb 0                        ;  msbs: dst=0 src0=0 src1=0 src2=0
	v_pk_add_f32 v[104:105], v[104:105], v[108:109]
	s_wait_loadcnt 0x0
	s_delay_alu instid0(VALU_DEP_1)
	v_pk_add_f32 v[104:105], v[106:107], v[104:105] neg_lo:[0,1] neg_hi:[0,1]
	scratch_store_b64 off, v[104:105], off offset:24
	s_wait_xcnt 0x0
	v_cmpx_lt_u32_e32 2, v0
	s_cbranch_execz .LBB114_315
; %bb.314:
	scratch_load_b64 v[104:105], off, off offset:16
	v_mov_b64_e32 v[106:107], 0
	scratch_store_b64 off, v[106:107], off offset:16
	s_wait_loadcnt 0x0
	ds_store_b64 v1, v[104:105]
.LBB114_315:
	s_wait_xcnt 0x0
	s_or_b32 exec_lo, exec_lo, s0
	s_wait_storecnt_dscnt 0x0
	s_barrier_signal -1
	s_barrier_wait -1
	s_clause 0x17
	scratch_load_b128 v[104:107], off, off offset:24
	scratch_load_b128 v[108:111], off, off offset:40
	scratch_load_b128 v[112:115], off, off offset:56
	scratch_load_b128 v[116:119], off, off offset:72
	scratch_load_b128 v[120:123], off, off offset:88
	scratch_load_b128 v[124:127], off, off offset:104
	scratch_load_b128 v[128:131], off, off offset:120
	scratch_load_b128 v[132:135], off, off offset:136
	scratch_load_b128 v[136:139], off, off offset:152
	scratch_load_b128 v[140:143], off, off offset:168
	scratch_load_b128 v[144:147], off, off offset:184
	scratch_load_b128 v[148:151], off, off offset:200
	scratch_load_b128 v[152:155], off, off offset:216
	scratch_load_b128 v[156:159], off, off offset:232
	scratch_load_b128 v[160:163], off, off offset:248
	scratch_load_b128 v[164:167], off, off offset:264
	scratch_load_b128 v[168:171], off, off offset:280
	scratch_load_b128 v[172:175], off, off offset:296
	scratch_load_b128 v[176:179], off, off offset:312
	scratch_load_b128 v[180:183], off, off offset:328
	scratch_load_b128 v[184:187], off, off offset:344
	scratch_load_b128 v[188:191], off, off offset:360
	scratch_load_b128 v[192:195], off, off offset:376
	scratch_load_b128 v[196:199], off, off offset:392
	ds_load_2addr_b64 v[200:203], v7 offset0:55 offset1:56
	ds_load_2addr_b64 v[204:207], v7 offset0:57 offset1:58
	;; [unrolled: 1-line block ×6, first 2 shown]
	s_set_vgpr_msb 64                       ;  msbs: dst=1 src0=0 src1=0 src2=0
	scratch_load_b64 v[40:41] /*v[296:297]*/, off, off offset:16
	s_set_vgpr_msb 0                        ;  msbs: dst=0 src0=0 src1=0 src2=0
	ds_load_2addr_b64 v[224:227], v7 offset0:63 offset1:64
	ds_load_2addr_b64 v[228:231], v7 offset0:65 offset1:66
	;; [unrolled: 1-line block ×8, first 2 shown]
	s_set_vgpr_msb 64                       ;  msbs: dst=1 src0=0 src1=0 src2=0
	ds_load_2addr_b64 v[0:3] /*v[256:259]*/, v7 offset0:75 offset1:76
	ds_load_2addr_b64 v[4:7] /*v[260:263]*/, v7 offset0:77 offset1:78
	;; [unrolled: 1-line block ×10, first 2 shown]
	s_mov_b32 s0, exec_lo
	s_wait_dscnt 0xf
	v_dual_mov_b32 v46 /*v302*/, v235 :: v_dual_mov_b32 v47 /*v303*/, v234
	s_wait_dscnt 0xe
	v_dual_mov_b32 v48 /*v304*/, v239 :: v_dual_mov_b32 v49 /*v305*/, v238
	v_dual_mov_b32 v42 /*v298*/, v219 :: v_dual_mov_b32 v43 /*v299*/, v218
	;; [unrolled: 1-line block ×3, first 2 shown]
	s_wait_loadcnt 0x18
	s_set_vgpr_msb 0                        ;  msbs: dst=0 src0=0 src1=0 src2=0
	v_dual_mul_f32 v7, v200, v105 :: v_dual_mul_f32 v9, v202, v107
	v_dual_mul_f32 v83, v201, v105 :: v_dual_mul_f32 v85, v203, v107
	s_wait_loadcnt 0x17
	v_dual_mul_f32 v11, v204, v109 :: v_dual_mul_f32 v13, v206, v111
	s_delay_alu instid0(VALU_DEP_3) | instskip(SKIP_3) | instid1(VALU_DEP_3)
	v_dual_fmac_f32 v7, v201, v104 :: v_dual_fmac_f32 v9, v203, v106
	s_wait_loadcnt 0x15
	v_dual_fma_f32 v83, v200, v104, -v83 :: v_dual_mul_f32 v95, v213, v117
	v_dual_mul_f32 v87, v205, v109 :: v_dual_mul_f32 v89, v207, v111
	v_dual_fma_f32 v85, v202, v106, -v85 :: v_dual_add_f32 v7, 0, v7
	s_delay_alu instid0(VALU_DEP_3) | instskip(SKIP_1) | instid1(VALU_DEP_4)
	v_dual_add_f32 v83, 0, v83 :: v_dual_fmac_f32 v11, v205, v108
	v_dual_mul_f32 v15, v208, v113 :: v_dual_mul_f32 v17, v210, v115
	v_dual_mul_f32 v97, v215, v119 :: v_dual_fma_f32 v87, v204, v108, -v87
	s_delay_alu instid0(VALU_DEP_4) | instskip(NEXT) | instid1(VALU_DEP_3)
	v_add_f32_e32 v7, v7, v9
	v_dual_add_f32 v9, v83, v85 :: v_dual_fmac_f32 v15, v209, v112
	v_dual_mul_f32 v91, v209, v113 :: v_dual_mul_f32 v93, v211, v115
	s_wait_loadcnt 0x14
	v_dual_mul_f32 v83, v225, v121 :: v_dual_fmac_f32 v13, v207, v110
	v_dual_fma_f32 v85, v206, v110, -v89 :: v_dual_add_f32 v7, v7, v11
	s_delay_alu instid0(VALU_DEP_3) | instskip(SKIP_1) | instid1(VALU_DEP_3)
	v_dual_add_f32 v9, v9, v87 :: v_dual_fma_f32 v87, v208, v112, -v91
	v_dual_mul_f32 v19, v212, v117 :: v_dual_mul_f32 v21, v214, v119
	v_add_f32_e32 v7, v7, v13
	s_delay_alu instid0(VALU_DEP_3) | instskip(SKIP_2) | instid1(VALU_DEP_3)
	v_dual_mul_f32 v11, v227, v123 :: v_dual_add_f32 v9, v9, v85
	s_wait_loadcnt 0x13
	v_dual_mul_f32 v13, v229, v125 :: v_dual_fmac_f32 v17, v211, v114
	v_dual_fma_f32 v85, v210, v114, -v93 :: v_dual_add_f32 v7, v7, v15
	s_delay_alu instid0(VALU_DEP_3) | instskip(SKIP_1) | instid1(VALU_DEP_3)
	v_dual_add_f32 v9, v9, v87 :: v_dual_fma_f32 v87, v212, v116, -v95
	v_dual_mul_f32 v15, v231, v127 :: v_dual_fmac_f32 v19, v213, v116
	v_add_f32_e32 v7, v7, v17
	s_delay_alu instid0(VALU_DEP_3)
	v_dual_add_f32 v9, v9, v85 :: v_dual_fmac_f32 v21, v215, v118
	v_dual_mul_f32 v23, v224, v121 :: v_dual_mul_f32 v25, v226, v123
	s_wait_loadcnt_dscnt 0x120d
	v_dual_fma_f32 v85, v214, v118, -v97 :: v_dual_mul_f32 v17, v241, v129
	v_add_f32_e32 v7, v7, v19
	v_dual_add_f32 v9, v9, v87 :: v_dual_fma_f32 v83, v224, v120, -v83
	v_dual_mul_f32 v19, v243, v131 :: v_dual_fmac_f32 v23, v225, v120
	s_delay_alu instid0(VALU_DEP_3) | instskip(NEXT) | instid1(VALU_DEP_3)
	v_dual_add_f32 v7, v7, v21 :: v_dual_fma_f32 v11, v226, v122, -v11
	v_dual_add_f32 v9, v9, v85 :: v_dual_fmac_f32 v25, v227, v122
	v_dual_mul_f32 v27, v228, v125 :: v_dual_mul_f32 v29, v230, v127
	s_wait_loadcnt_dscnt 0x110c
	s_delay_alu instid0(VALU_DEP_3) | instskip(NEXT) | instid1(VALU_DEP_3)
	v_dual_mul_f32 v21, v245, v133 :: v_dual_add_f32 v7, v7, v23
	v_dual_add_f32 v9, v9, v83 :: v_dual_fma_f32 v13, v228, v124, -v13
	s_delay_alu instid0(VALU_DEP_3) | instskip(NEXT) | instid1(VALU_DEP_2)
	v_dual_mul_f32 v23, v247, v135 :: v_dual_fmac_f32 v27, v229, v124
	v_dual_add_f32 v7, v7, v25 :: v_dual_add_f32 v9, v9, v11
	v_dual_mul_f32 v31, v240, v129 :: v_dual_mul_f32 v33, v242, v131
	s_wait_loadcnt_dscnt 0x100b
	v_dual_mul_f32 v11, v249, v137 :: v_dual_fmac_f32 v29, v231, v126
	s_delay_alu instid0(VALU_DEP_3) | instskip(SKIP_2) | instid1(VALU_DEP_2)
	v_dual_fma_f32 v15, v230, v126, -v15 :: v_dual_add_f32 v7, v7, v27
	v_dual_add_f32 v9, v9, v13 :: v_dual_mul_f32 v13, v251, v139
	v_dual_fmac_f32 v31, v241, v128 :: v_dual_fma_f32 v17, v240, v128, -v17
	v_dual_add_f32 v7, v7, v29 :: v_dual_add_f32 v9, v9, v15
	v_dual_mul_f32 v35, v244, v133 :: v_dual_mul_f32 v37, v246, v135
	s_wait_loadcnt_dscnt 0xf0a
	v_dual_mul_f32 v15, v253, v141 :: v_dual_fmac_f32 v33, v243, v130
	s_delay_alu instid0(VALU_DEP_3) | instskip(SKIP_2) | instid1(VALU_DEP_2)
	v_dual_fma_f32 v19, v242, v130, -v19 :: v_dual_add_f32 v7, v7, v31
	v_dual_add_f32 v9, v9, v17 :: v_dual_mul_f32 v17, v255, v143
	v_dual_fmac_f32 v35, v245, v132 :: v_dual_fma_f32 v21, v244, v132, -v21
	v_dual_add_f32 v7, v7, v33 :: v_dual_add_f32 v9, v9, v19
	v_dual_mul_f32 v39, v248, v137 :: v_dual_mul_f32 v41, v250, v139
	v_dual_fmac_f32 v37, v247, v134 :: v_dual_fma_f32 v23, v246, v134, -v23
	s_delay_alu instid0(VALU_DEP_3) | instskip(NEXT) | instid1(VALU_DEP_3)
	v_dual_add_f32 v7, v7, v35 :: v_dual_add_f32 v9, v9, v21
	v_fmac_f32_e32 v39, v249, v136
	v_fma_f32 v11, v248, v136, -v11
	v_dual_mul_f32 v43, v252, v141 :: v_dual_mul_f32 v45, v254, v143
	s_delay_alu instid0(VALU_DEP_4)
	v_dual_add_f32 v7, v7, v37 :: v_dual_add_f32 v9, v9, v23
	v_fmac_f32_e32 v41, v251, v138
	v_fma_f32 v13, v250, v138, -v13
	s_wait_loadcnt_dscnt 0xe09
	s_set_vgpr_msb 1                        ;  msbs: dst=0 src0=1 src1=0 src2=0
	v_dual_mul_f32 v47, v0 /*v256*/, v145 :: v_dual_mul_f32 v49, v2 /*v258*/, v147
	s_set_vgpr_msb 0                        ;  msbs: dst=0 src0=0 src1=0 src2=0
	v_add_f32_e32 v7, v7, v39
	v_add_f32_e32 v9, v9, v11
	v_fmac_f32_e32 v43, v253, v140
	v_fma_f32 v15, v252, v140, -v15
	s_set_vgpr_msb 1                        ;  msbs: dst=0 src0=1 src1=0 src2=0
	v_dual_mul_f32 v19, v1 /*v257*/, v145 :: v_dual_mul_f32 v21, v3 /*v259*/, v147
	s_set_vgpr_msb 0                        ;  msbs: dst=0 src0=0 src1=0 src2=0
	v_add_f32_e32 v7, v7, v41
	v_dual_add_f32 v9, v9, v13 :: v_dual_fmac_f32 v45, v255, v142
	v_fma_f32 v17, v254, v142, -v17
	s_set_vgpr_msb 1                        ;  msbs: dst=0 src0=1 src1=0 src2=0
	v_dual_fmac_f32 v47, v1 /*v257*/, v144 :: v_dual_fmac_f32 v49, v3 /*v259*/, v146
	s_set_vgpr_msb 0                        ;  msbs: dst=0 src0=0 src1=0 src2=0
	v_add_f32_e32 v7, v7, v43
	v_add_f32_e32 v9, v9, v15
	s_set_vgpr_msb 1                        ;  msbs: dst=0 src0=1 src1=0 src2=0
	v_fma_f32 v19, v0 /*v256*/, v144, -v19
	s_wait_loadcnt_dscnt 0xd08
	v_dual_mul_f32 v51, v4 /*v260*/, v149 :: v_dual_mul_f32 v53, v6 /*v262*/, v151
	v_dual_mul_f32 v23, v5 /*v261*/, v149 :: v_dual_mul_f32 v11, v7 /*v263*/, v151
	s_set_vgpr_msb 0                        ;  msbs: dst=0 src0=0 src1=0 src2=0
	v_add_f32_e32 v9, v9, v17
	s_wait_loadcnt_dscnt 0xb06
	s_set_vgpr_msb 1                        ;  msbs: dst=0 src0=1 src1=0 src2=0
	v_mul_f32_e32 v17, v13 /*v269*/, v157
	s_set_vgpr_msb 0                        ;  msbs: dst=0 src0=0 src1=0 src2=0
	v_add_f32_e32 v7, v7, v45
	s_set_vgpr_msb 1                        ;  msbs: dst=0 src0=1 src1=0 src2=0
	v_dual_fma_f32 v21, v2 /*v258*/, v146, -v21 :: v_dual_fmac_f32 v51, v5 /*v261*/, v148
	v_fmac_f32_e32 v53, v7 /*v263*/, v150
	s_set_vgpr_msb 0                        ;  msbs: dst=0 src0=0 src1=0 src2=0
	v_add_f32_e32 v9, v9, v19
	v_add_f32_e32 v7, v7, v47
	s_set_vgpr_msb 1                        ;  msbs: dst=0 src0=1 src1=0 src2=0
	v_dual_mul_f32 v19, v15 /*v271*/, v159 :: v_dual_fma_f32 v23, v4 /*v260*/, v148, -v23
	v_dual_mul_f32 v55, v8 /*v264*/, v153 :: v_dual_mul_f32 v57, v10 /*v266*/, v155
	s_set_vgpr_msb 0                        ;  msbs: dst=0 src0=0 src1=0 src2=0
	v_add_f32_e32 v9, v9, v21
	s_wait_loadcnt_dscnt 0xa05
	s_set_vgpr_msb 1                        ;  msbs: dst=0 src0=1 src1=0 src2=0
	v_mul_f32_e32 v21, v17 /*v273*/, v161
	s_set_vgpr_msb 0                        ;  msbs: dst=0 src0=0 src1=0 src2=0
	v_add_f32_e32 v7, v7, v49
	s_set_vgpr_msb 1                        ;  msbs: dst=0 src0=1 src1=0 src2=0
	v_dual_mul_f32 v13, v9 /*v265*/, v153 :: v_dual_mul_f32 v15, v11 /*v267*/, v155
	v_fma_f32 v11, v6 /*v262*/, v150, -v11
	s_set_vgpr_msb 0                        ;  msbs: dst=0 src0=0 src1=0 src2=0
	v_add_f32_e32 v9, v9, v23
	v_add_f32_e32 v7, v7, v51
	s_set_vgpr_msb 1                        ;  msbs: dst=0 src0=1 src1=0 src2=0
	v_dual_mul_f32 v23, v19 /*v275*/, v163 :: v_dual_fmac_f32 v55, v9 /*v265*/, v152
	v_fma_f32 v13, v8 /*v264*/, v152, -v13
	s_set_vgpr_msb 0                        ;  msbs: dst=0 src0=0 src1=0 src2=0
	v_dual_add_f32 v9, v9, v11 :: v_dual_add_f32 v7, v7, v53
	s_set_vgpr_msb 1                        ;  msbs: dst=0 src0=1 src1=0 src2=0
	v_dual_mul_f32 v59, v12 /*v268*/, v157 :: v_dual_mul_f32 v61, v14 /*v270*/, v159
	s_wait_loadcnt_dscnt 0x904
	v_dual_mul_f32 v11, v21 /*v277*/, v165 :: v_dual_fmac_f32 v57, v11 /*v267*/, v154
	v_fma_f32 v15, v10 /*v266*/, v154, -v15
	s_set_vgpr_msb 0                        ;  msbs: dst=0 src0=0 src1=0 src2=0
	v_dual_add_f32 v7, v7, v55 :: v_dual_add_f32 v9, v9, v13
	s_set_vgpr_msb 1                        ;  msbs: dst=0 src0=1 src1=0 src2=0
	v_dual_mul_f32 v13, v23 /*v279*/, v167 :: v_dual_fmac_f32 v59, v13 /*v269*/, v156
	v_fma_f32 v17, v12 /*v268*/, v156, -v17
	s_set_vgpr_msb 0                        ;  msbs: dst=0 src0=0 src1=0 src2=0
	v_dual_add_f32 v7, v7, v57 :: v_dual_add_f32 v9, v9, v15
	s_set_vgpr_msb 1                        ;  msbs: dst=0 src0=1 src1=0 src2=0
	v_dual_mul_f32 v63, v16 /*v272*/, v161 :: v_dual_mul_f32 v65, v18 /*v274*/, v163
	s_wait_loadcnt_dscnt 0x803
	v_dual_mul_f32 v15, v25 /*v281*/, v169 :: v_dual_fmac_f32 v61, v15 /*v271*/, v158
	v_fma_f32 v19, v14 /*v270*/, v158, -v19
	s_set_vgpr_msb 0                        ;  msbs: dst=0 src0=0 src1=0 src2=0
	v_dual_add_f32 v7, v7, v59 :: v_dual_add_f32 v9, v9, v17
	;; [unrolled: 12-line block ×3, first 2 shown]
	s_set_vgpr_msb 1                        ;  msbs: dst=0 src0=1 src1=0 src2=0
	v_dual_mul_f32 v21, v31 /*v287*/, v175 :: v_dual_fmac_f32 v67, v21 /*v277*/, v164
	v_dual_fmac_f32 v69, v23 /*v279*/, v166 :: v_dual_fma_f32 v11, v20 /*v276*/, v164, -v11
	s_set_vgpr_msb 0                        ;  msbs: dst=0 src0=0 src1=0 src2=0
	v_dual_add_f32 v7, v7, v65 :: v_dual_add_f32 v9, v9, v23
	s_set_vgpr_msb 1                        ;  msbs: dst=0 src0=1 src1=0 src2=0
	v_dual_mul_f32 v71, v24 /*v280*/, v169 :: v_dual_mul_f32 v73, v26 /*v282*/, v171
	s_wait_loadcnt_dscnt 0x601
	v_dual_mul_f32 v23, v33 /*v289*/, v177 :: v_dual_fma_f32 v13, v22 /*v278*/, v166, -v13
	s_set_vgpr_msb 0                        ;  msbs: dst=0 src0=0 src1=0 src2=0
	v_add_f32_e32 v9, v9, v11
	s_set_vgpr_msb 1                        ;  msbs: dst=0 src0=1 src1=0 src2=0
	v_mul_f32_e32 v11, v35 /*v291*/, v179
	s_set_vgpr_msb 0                        ;  msbs: dst=0 src0=0 src1=0 src2=0
	v_add_f32_e32 v7, v7, v67
	s_set_vgpr_msb 1                        ;  msbs: dst=0 src0=1 src1=0 src2=0
	v_dual_fmac_f32 v71, v25 /*v281*/, v168 :: v_dual_fmac_f32 v73, v27 /*v283*/, v170
	v_fma_f32 v15, v24 /*v280*/, v168, -v15
	s_set_vgpr_msb 0                        ;  msbs: dst=0 src0=0 src1=0 src2=0
	v_add_f32_e32 v9, v9, v13
	v_add_f32_e32 v7, v7, v69
	s_set_vgpr_msb 1                        ;  msbs: dst=0 src0=1 src1=0 src2=0
	v_dual_mul_f32 v75, v28 /*v284*/, v173 :: v_dual_mul_f32 v77, v30 /*v286*/, v175
	s_wait_loadcnt_dscnt 0x500
	v_dual_mul_f32 v13, v37 /*v293*/, v181 :: v_dual_fma_f32 v17, v26 /*v282*/, v170, -v17
	s_set_vgpr_msb 0                        ;  msbs: dst=0 src0=0 src1=0 src2=0
	v_add_f32_e32 v9, v9, v15
	s_set_vgpr_msb 1                        ;  msbs: dst=0 src0=1 src1=0 src2=0
	v_mul_f32_e32 v15, v39 /*v295*/, v183
	s_set_vgpr_msb 0                        ;  msbs: dst=0 src0=0 src1=0 src2=0
	v_add_f32_e32 v7, v7, v71
	s_set_vgpr_msb 1                        ;  msbs: dst=0 src0=1 src1=0 src2=0
	v_dual_fmac_f32 v75, v29 /*v285*/, v172 :: v_dual_fmac_f32 v77, v31 /*v287*/, v174
	v_fma_f32 v19, v28 /*v284*/, v172, -v19
	s_set_vgpr_msb 0                        ;  msbs: dst=0 src0=0 src1=0 src2=0
	v_add_f32_e32 v9, v9, v17
	v_add_f32_e32 v7, v7, v73
	s_set_vgpr_msb 1                        ;  msbs: dst=0 src0=1 src1=0 src2=0
	v_dual_mul_f32 v79, v32 /*v288*/, v177 :: v_dual_mul_f32 v81, v34 /*v290*/, v179
	v_fma_f32 v17, v30 /*v286*/, v174, -v21
	s_wait_loadcnt 0x4
	s_set_vgpr_msb 0                        ;  msbs: dst=0 src0=0 src1=0 src2=0
	v_dual_add_f32 v9, v9, v19 :: v_dual_mov_b32 v106, v187
	v_add_f32_e32 v7, v7, v75
	s_set_vgpr_msb 1                        ;  msbs: dst=0 src0=1 src1=0 src2=0
	v_dual_fmac_f32 v79, v33 /*v289*/, v176 :: v_dual_fmac_f32 v81, v35 /*v291*/, v178
	v_fma_f32 v19, v32 /*v288*/, v176, -v23
	s_set_vgpr_msb 0                        ;  msbs: dst=0 src0=0 src1=0 src2=0
	v_add_f32_e32 v9, v9, v17
	v_add_f32_e32 v7, v7, v77
	s_set_vgpr_msb 0x41                     ;  msbs: dst=1 src0=1 src1=0 src2=0
	v_dual_mul_f32 v51 /*v307*/, v36 /*v292*/, v181 :: v_dual_mul_f32 v53 /*v309*/, v38 /*v294*/, v183
	s_set_vgpr_msb 1                        ;  msbs: dst=0 src0=1 src1=0 src2=0
	v_fma_f32 v11, v34 /*v290*/, v178, -v11
	s_set_vgpr_msb 0                        ;  msbs: dst=0 src0=0 src1=0 src2=0
	v_add_f32_e32 v9, v9, v19
	v_add_f32_e32 v7, v7, v79
	v_pk_mul_f32 v[104:105], v[216:217], v[184:185] op_sel:[1,1] op_sel_hi:[0,1]
	s_wait_loadcnt 0x3
	v_mov_b32_e32 v110, v191
	s_set_vgpr_msb 0x41                     ;  msbs: dst=1 src0=1 src1=0 src2=0
	v_dual_fmac_f32 v51 /*v307*/, v37 /*v293*/, v180 :: v_dual_fmac_f32 v53 /*v309*/, v39 /*v295*/, v182
	v_dual_fma_f32 v50 /*v306*/, v36 /*v292*/, v180, -v13 :: v_dual_fma_f32 v52 /*v308*/, v38 /*v294*/, v182, -v15
	s_set_vgpr_msb 0                        ;  msbs: dst=0 src0=0 src1=0 src2=0
	v_dual_add_f32 v113, v7, v81 :: v_dual_add_f32 v112, v9, v11
	v_pk_fma_f32 v[114:115], v[216:217], v[184:185], v[104:105] op_sel_hi:[1,0,1]
	s_set_vgpr_msb 1                        ;  msbs: dst=0 src0=1 src1=0 src2=0
	v_pk_mul_f32 v[106:107], v[42:43] /*v[298:299]*/, v[106:107] op_sel_hi:[1,0]
	s_set_vgpr_msb 0                        ;  msbs: dst=0 src0=0 src1=0 src2=0
	v_pk_fma_f32 v[104:105], v[216:217], v[184:185], v[104:105] neg_lo:[0,0,1] neg_hi:[0,0,1]
	v_pk_mul_f32 v[108:109], v[220:221], v[188:189] op_sel:[1,1] op_sel_hi:[0,1]
	s_set_vgpr_msb 4                        ;  msbs: dst=0 src0=0 src1=1 src2=0
	v_pk_add_f32 v[112:113], v[112:113], v[50:51] /*v[306:307]*/
	v_mov_b32_e32 v105, v115
	s_set_vgpr_msb 0                        ;  msbs: dst=0 src0=0 src1=0 src2=0
	v_pk_fma_f32 v[114:115], v[218:219], v[186:187], v[106:107] op_sel_hi:[1,0,1]
	v_pk_fma_f32 v[106:107], v[218:219], v[186:187], v[106:107] neg_lo:[0,0,1] neg_hi:[0,0,1]
	v_pk_fma_f32 v[118:119], v[220:221], v[188:189], v[108:109] op_sel_hi:[1,0,1]
	s_set_vgpr_msb 4                        ;  msbs: dst=0 src0=0 src1=1 src2=0
	v_pk_add_f32 v[112:113], v[112:113], v[52:53] /*v[308:309]*/
	s_set_vgpr_msb 1                        ;  msbs: dst=0 src0=1 src1=0 src2=0
	v_pk_mul_f32 v[110:111], v[44:45] /*v[300:301]*/, v[110:111] op_sel_hi:[1,0]
	s_set_vgpr_msb 0                        ;  msbs: dst=0 src0=0 src1=0 src2=0
	v_mov_b32_e32 v107, v115
	s_wait_loadcnt 0x2
	v_pk_mul_f32 v[116:117], v[232:233], v[192:193] op_sel:[1,1] op_sel_hi:[0,1]
	v_pk_fma_f32 v[108:109], v[220:221], v[188:189], v[108:109] neg_lo:[0,0,1] neg_hi:[0,0,1]
	v_pk_add_f32 v[104:105], v[112:113], v[104:105]
	v_dual_mov_b32 v112, v195 :: v_dual_mov_b32 v109, v119
	v_pk_fma_f32 v[114:115], v[222:223], v[190:191], v[110:111] op_sel_hi:[1,0,1]
	v_pk_fma_f32 v[110:111], v[222:223], v[190:191], v[110:111] neg_lo:[0,0,1] neg_hi:[0,0,1]
	s_delay_alu instid0(VALU_DEP_4)
	v_pk_add_f32 v[104:105], v[104:105], v[106:107]
	v_pk_fma_f32 v[106:107], v[232:233], v[192:193], v[116:117] op_sel_hi:[1,0,1]
	s_set_vgpr_msb 1                        ;  msbs: dst=0 src0=1 src1=0 src2=0
	v_pk_mul_f32 v[112:113], v[46:47] /*v[302:303]*/, v[112:113] op_sel_hi:[1,0]
	s_set_vgpr_msb 0                        ;  msbs: dst=0 src0=0 src1=0 src2=0
	v_mov_b32_e32 v111, v115
	v_pk_fma_f32 v[114:115], v[232:233], v[192:193], v[116:117] neg_lo:[0,0,1] neg_hi:[0,0,1]
	v_pk_add_f32 v[104:105], v[104:105], v[108:109]
	v_mov_b32_e32 v115, v107
	v_pk_fma_f32 v[106:107], v[234:235], v[194:195], v[112:113] op_sel_hi:[1,0,1]
	s_wait_loadcnt 0x1
	v_pk_mul_f32 v[108:109], v[236:237], v[196:197] op_sel:[1,1] op_sel_hi:[0,1]
	v_mov_b32_e32 v106, v199
	v_pk_add_f32 v[104:105], v[104:105], v[110:111]
	v_pk_fma_f32 v[112:113], v[234:235], v[194:195], v[112:113] neg_lo:[0,0,1] neg_hi:[0,0,1]
	v_mov_b32_e32 v113, v107
	v_pk_fma_f32 v[110:111], v[236:237], v[196:197], v[108:109] op_sel_hi:[1,0,1]
	s_set_vgpr_msb 1                        ;  msbs: dst=0 src0=1 src1=0 src2=0
	v_pk_mul_f32 v[106:107], v[48:49] /*v[304:305]*/, v[106:107] op_sel_hi:[1,0]
	s_set_vgpr_msb 0                        ;  msbs: dst=0 src0=0 src1=0 src2=0
	v_pk_add_f32 v[104:105], v[104:105], v[114:115]
	v_pk_fma_f32 v[108:109], v[236:237], v[196:197], v[108:109] neg_lo:[0,0,1] neg_hi:[0,0,1]
	v_mov_b32_e32 v109, v111
	v_pk_fma_f32 v[110:111], v[238:239], v[198:199], v[106:107] op_sel_hi:[1,0,1]
	s_delay_alu instid0(VALU_DEP_4) | instskip(SKIP_1) | instid1(VALU_DEP_3)
	v_pk_add_f32 v[104:105], v[104:105], v[112:113]
	v_pk_fma_f32 v[106:107], v[238:239], v[198:199], v[106:107] neg_lo:[0,0,1] neg_hi:[0,0,1]
	v_mov_b32_e32 v107, v111
	s_delay_alu instid0(VALU_DEP_3) | instskip(NEXT) | instid1(VALU_DEP_1)
	v_pk_add_f32 v[104:105], v[104:105], v[108:109]
	v_pk_add_f32 v[104:105], v[104:105], v[106:107]
	s_wait_loadcnt 0x0
	s_set_vgpr_msb 1                        ;  msbs: dst=0 src0=1 src1=0 src2=0
	s_delay_alu instid0(VALU_DEP_1)
	v_pk_add_f32 v[104:105], v[40:41] /*v[296:297]*/, v[104:105] neg_lo:[0,1] neg_hi:[0,1]
	scratch_store_b64 off, v[104:105], off offset:16
	s_wait_xcnt 0x0
	v_cmpx_lt_u32_e32 1, v0
	s_set_vgpr_msb 0                        ;  msbs: dst=0 src0=0 src1=0 src2=0
	s_cbranch_execz .LBB114_317
; %bb.316:
	scratch_load_b64 v[104:105], off, off offset:8
	v_mov_b64_e32 v[106:107], 0
	scratch_store_b64 off, v[106:107], off offset:8
	s_wait_loadcnt 0x0
	ds_store_b64 v1, v[104:105]
.LBB114_317:
	s_wait_xcnt 0x0
	s_or_b32 exec_lo, exec_lo, s0
	s_wait_storecnt_dscnt 0x0
	s_barrier_signal -1
	s_barrier_wait -1
	s_clause 0x1a
	scratch_load_b128 v[106:109], off, off offset:16
	scratch_load_b128 v[110:113], off, off offset:32
	scratch_load_b128 v[114:117], off, off offset:48
	scratch_load_b128 v[118:121], off, off offset:64
	scratch_load_b128 v[122:125], off, off offset:80
	scratch_load_b128 v[126:129], off, off offset:96
	scratch_load_b128 v[130:133], off, off offset:112
	scratch_load_b128 v[134:137], off, off offset:128
	scratch_load_b128 v[138:141], off, off offset:144
	scratch_load_b128 v[142:145], off, off offset:160
	scratch_load_b128 v[146:149], off, off offset:176
	scratch_load_b128 v[150:153], off, off offset:192
	scratch_load_b128 v[154:157], off, off offset:208
	scratch_load_b128 v[158:161], off, off offset:224
	scratch_load_b128 v[162:165], off, off offset:240
	scratch_load_b128 v[166:169], off, off offset:256
	scratch_load_b128 v[170:173], off, off offset:272
	scratch_load_b128 v[174:177], off, off offset:288
	scratch_load_b128 v[178:181], off, off offset:304
	scratch_load_b128 v[182:185], off, off offset:320
	scratch_load_b128 v[186:189], off, off offset:336
	scratch_load_b128 v[190:193], off, off offset:352
	scratch_load_b128 v[194:197], off, off offset:368
	scratch_load_b128 v[198:201], off, off offset:384
	s_set_vgpr_msb 64                       ;  msbs: dst=1 src0=0 src1=0 src2=0
	scratch_load_b64 v[44:45] /*v[300:301]*/, off, off offset:8
	scratch_load_b64 v[42:43] /*v[298:299]*/, off, off offset:400
	s_set_vgpr_msb 0                        ;  msbs: dst=0 src0=0 src1=0 src2=0
	v_dual_mov_b32 v104, 0 :: v_dual_ashrrev_i32 v55, 31, v54
	ds_load_b128 v[202:205], v104 offset:432
	ds_load_b128 v[206:209], v104 offset:448
	;; [unrolled: 1-line block ×14, first 2 shown]
	s_set_vgpr_msb 64                       ;  msbs: dst=1 src0=0 src1=0 src2=0
	ds_load_b128 v[2:5] /*v[258:261]*/, v104 offset:592
	ds_load_b128 v[6:9] /*v[262:265]*/, v104 offset:608
	;; [unrolled: 1-line block ×10, first 2 shown]
	ds_load_b64 v[46:47] /*v[302:303]*/, v104 offset:816
	s_wait_dscnt 0x14
	v_dual_mov_b32 v48 /*v304*/, v221 :: v_dual_mov_b32 v49 /*v305*/, v220
	s_wait_dscnt 0x11
	v_dual_mov_b32 v50 /*v306*/, v233 :: v_dual_mov_b32 v51 /*v307*/, v232
	;; [unrolled: 2-line block ×4, first 2 shown]
	s_set_vgpr_msb 0                        ;  msbs: dst=0 src0=0 src1=0 src2=0
	v_dual_ashrrev_i32 v7, 31, v6 :: v_dual_ashrrev_i32 v9, 31, v8
	v_dual_ashrrev_i32 v11, 31, v10 :: v_dual_ashrrev_i32 v13, 31, v12
	;; [unrolled: 1-line block ×18, first 2 shown]
	s_mov_b32 s0, exec_lo
	s_wait_loadcnt 0x19
	v_dual_mul_f32 v81, v202, v107 :: v_dual_mul_f32 v83, v204, v109
	v_dual_mul_f32 v85, v203, v107 :: v_dual_mul_f32 v87, v205, v109
	s_wait_loadcnt 0x18
	v_dual_mul_f32 v89, v206, v111 :: v_dual_mul_f32 v91, v208, v113
	s_wait_loadcnt 0x17
	v_dual_mul_f32 v93, v210, v115 :: v_dual_mul_f32 v95, v212, v117
	v_dual_mul_f32 v97, v207, v111 :: v_dual_mul_f32 v99, v209, v113
	;; [unrolled: 1-line block ×3, first 2 shown]
	s_wait_loadcnt 0x16
	v_dual_mul_f32 v105, v214, v119 :: v_dual_mul_f32 v107, v216, v121
	s_wait_loadcnt 0x15
	v_dual_mul_f32 v109, v222, v123 :: v_dual_mul_f32 v111, v224, v125
	;; [unrolled: 2-line block ×3, first 2 shown]
	v_dual_mul_f32 v115, v215, v119 :: v_dual_mul_f32 v119, v228, v129
	v_dual_mul_f32 v121, v223, v123 :: v_dual_mul_f32 v123, v225, v125
	;; [unrolled: 1-line block ×3, first 2 shown]
	s_wait_loadcnt 0x13
	v_dual_mul_f32 v129, v238, v131 :: v_dual_fmac_f32 v81, v203, v106
	v_dual_fmac_f32 v83, v205, v108 :: v_dual_fma_f32 v85, v202, v106, -v85
	s_wait_loadcnt 0x12
	v_dual_fma_f32 v87, v204, v108, -v87 :: v_dual_mul_f32 v106, v242, v135
	s_delay_alu instid0(VALU_DEP_3) | instskip(NEXT) | instid1(VALU_DEP_3)
	v_dual_fmac_f32 v93, v211, v114 :: v_dual_add_f32 v81, 0, v81
	v_dual_fma_f32 v101, v210, v114, -v101 :: v_dual_add_f32 v85, 0, v85
	s_wait_loadcnt_dscnt 0x110c
	v_dual_mul_f32 v203, v252, v141 :: v_dual_fmac_f32 v89, v207, v110
	v_dual_fmac_f32 v91, v209, v112 :: v_dual_fma_f32 v97, v206, v110, -v97
	v_dual_fma_f32 v103, v212, v116, -v103 :: v_dual_add_f32 v81, v81, v83
	v_dual_add_f32 v83, v85, v87 :: v_dual_fmac_f32 v105, v215, v118
	v_dual_fma_f32 v99, v208, v112, -v99 :: v_dual_mul_f32 v110, v251, v139
	s_set_vgpr_msb 64                       ;  msbs: dst=1 src0=0 src1=0 src2=0
	v_mul_f32_e32 v56 /*v312*/, v240, v133
	s_set_vgpr_msb 0                        ;  msbs: dst=0 src0=0 src1=0 src2=0
	v_add_f32_e32 v83, v83, v97
	v_dual_add_f32 v81, v81, v89 :: v_dual_mul_f32 v108, v239, v131
	v_mul_f32_e32 v131, v241, v133
	v_dual_mul_f32 v133, v244, v137 :: v_dual_mul_f32 v135, v243, v135
	s_delay_alu instid0(VALU_DEP_4) | instskip(NEXT) | instid1(VALU_DEP_4)
	v_add_f32_e32 v83, v83, v99
	v_add_f32_e32 v81, v81, v91
	v_dual_mul_f32 v137, v245, v137 :: v_dual_mul_f32 v202, v250, v139
	s_wait_loadcnt_dscnt 0x100b
	v_dual_mul_f32 v112, v253, v141 :: v_dual_mul_f32 v139, v254, v143
	v_dual_mul_f32 v143, v255, v143 :: v_dual_fmac_f32 v95, v213, v116
	v_add_f32_e32 v81, v81, v93
	v_dual_add_f32 v83, v83, v101 :: v_dual_fma_f32 v101, v214, v118, -v115
	v_fmac_f32_e32 v107, v217, v120
	v_fmac_f32_e32 v111, v225, v124
	s_delay_alu instid0(VALU_DEP_4) | instskip(NEXT) | instid1(VALU_DEP_4)
	v_add_f32_e32 v81, v81, v95
	v_dual_add_f32 v83, v83, v103 :: v_dual_fma_f32 v103, v216, v120, -v117
	v_dual_fmac_f32 v119, v229, v128 :: v_dual_fma_f32 v108, v238, v130, -v108
	s_delay_alu instid0(VALU_DEP_3) | instskip(NEXT) | instid1(VALU_DEP_3)
	v_add_f32_e32 v81, v81, v105
	v_dual_add_f32 v83, v83, v101 :: v_dual_fma_f32 v105, v222, v122, -v121
	v_fmac_f32_e32 v109, v223, v122
	s_set_vgpr_msb 64                       ;  msbs: dst=1 src0=0 src1=0 src2=0
	v_fmac_f32_e32 v56 /*v312*/, v241, v132
	s_set_vgpr_msb 0                        ;  msbs: dst=0 src0=0 src1=0 src2=0
	v_add_f32_e32 v81, v81, v107
	v_dual_add_f32 v83, v83, v103 :: v_dual_fma_f32 v107, v224, v124, -v123
	v_dual_fmac_f32 v106, v243, v134 :: v_dual_fmac_f32 v133, v245, v136
	s_delay_alu instid0(VALU_DEP_3) | instskip(NEXT) | instid1(VALU_DEP_3)
	v_dual_fmac_f32 v202, v251, v138 :: v_dual_add_f32 v81, v81, v109
	v_dual_add_f32 v83, v83, v105 :: v_dual_fma_f32 v109, v226, v126, -v125
	v_dual_fmac_f32 v113, v227, v126 :: v_dual_fmac_f32 v203, v253, v140
	s_delay_alu instid0(VALU_DEP_3) | instskip(NEXT) | instid1(VALU_DEP_3)
	v_add_f32_e32 v81, v81, v111
	v_dual_add_f32 v83, v83, v107 :: v_dual_fma_f32 v107, v228, v128, -v127
	s_set_vgpr_msb 1                        ;  msbs: dst=0 src0=1 src1=0 src2=0
	v_dual_mul_f32 v141, v0 /*v256*/, v145 :: v_dual_mul_f32 v145, v1 /*v257*/, v145
	s_set_vgpr_msb 0                        ;  msbs: dst=0 src0=0 src1=0 src2=0
	v_add_f32_e32 v81, v81, v113
	v_add_f32_e32 v83, v83, v109
	v_dual_fmac_f32 v129, v239, v130 :: v_dual_fma_f32 v109, v240, v132, -v131
	s_wait_loadcnt_dscnt 0xf0a
	s_set_vgpr_msb 1                        ;  msbs: dst=0 src0=1 src1=0 src2=0
	v_dual_mul_f32 v204, v2 /*v258*/, v147 :: v_dual_mul_f32 v205, v4 /*v260*/, v149
	s_set_vgpr_msb 0                        ;  msbs: dst=0 src0=0 src1=0 src2=0
	v_add_f32_e32 v81, v81, v119
	v_add_f32_e32 v83, v83, v107
	s_wait_loadcnt_dscnt 0x803
	s_set_vgpr_msb 1                        ;  msbs: dst=0 src0=1 src1=0 src2=0
	v_dual_mul_f32 v101, v3 /*v259*/, v147 :: v_dual_mul_f32 v105, v32 /*v288*/, v177
	v_dual_fma_f32 v117, v0 /*v256*/, v144, -v145 :: v_dual_fmac_f32 v204, v3 /*v259*/, v146
	s_set_vgpr_msb 0                        ;  msbs: dst=0 src0=0 src1=0 src2=0
	v_dual_add_f32 v81, v81, v129 :: v_dual_add_f32 v83, v83, v108
	v_fma_f32 v108, v242, v134, -v135
	s_set_vgpr_msb 1                        ;  msbs: dst=0 src0=1 src1=0 src2=0
	v_dual_mul_f32 v114, v6 /*v262*/, v151 :: v_dual_mul_f32 v116, v8 /*v264*/, v153
	s_set_vgpr_msb 4                        ;  msbs: dst=0 src0=0 src1=1 src2=0
	v_add_f32_e32 v81, v81, v56 /*v312*/
	s_wait_loadcnt 0x5
	s_set_vgpr_msb 0                        ;  msbs: dst=0 src0=0 src1=0 src2=0
	v_dual_add_f32 v83, v83, v109 :: v_dual_mul_f32 v109, v218, v187
	v_fma_f32 v111, v244, v136, -v137
	s_set_vgpr_msb 1                        ;  msbs: dst=0 src0=1 src1=0 src2=0
	v_dual_mul_f32 v95, v30 /*v286*/, v175 :: v_dual_mul_f32 v103, v5 /*v261*/, v149
	s_set_vgpr_msb 0                        ;  msbs: dst=0 src0=0 src1=0 src2=0
	v_dual_add_f32 v81, v81, v106 :: v_dual_add_f32 v83, v83, v108
	v_fma_f32 v108, v250, v138, -v110
	s_set_vgpr_msb 1                        ;  msbs: dst=0 src0=1 src1=0 src2=0
	v_fmac_f32_e32 v141, v1 /*v257*/, v144
	v_fma_f32 v101, v2 /*v258*/, v146, -v101
	s_set_vgpr_msb 0                        ;  msbs: dst=0 src0=0 src1=0 src2=0
	v_dual_add_f32 v81, v81, v133 :: v_dual_add_f32 v83, v83, v111
	v_fma_f32 v111, v252, v140, -v112
	s_set_vgpr_msb 1                        ;  msbs: dst=0 src0=1 src1=0 src2=0
	v_dual_fmac_f32 v205, v5 /*v261*/, v148 :: v_dual_fma_f32 v103, v4 /*v260*/, v148, -v103
	s_set_vgpr_msb 0                        ;  msbs: dst=0 src0=0 src1=0 src2=0
	v_dual_add_f32 v81, v81, v202 :: v_dual_add_f32 v83, v83, v108
	v_fmac_f32_e32 v139, v255, v142
	v_fma_f32 v112, v254, v142, -v143
	s_set_vgpr_msb 1                        ;  msbs: dst=0 src0=1 src1=0 src2=0
	v_fmac_f32_e32 v114, v7 /*v263*/, v150
	s_set_vgpr_msb 0                        ;  msbs: dst=0 src0=0 src1=0 src2=0
	v_add_f32_e32 v81, v81, v203
	v_add_f32_e32 v83, v83, v111
	s_set_vgpr_msb 1                        ;  msbs: dst=0 src0=1 src1=0 src2=0
	v_dual_mul_f32 v106, v7 /*v263*/, v151 :: v_dual_mul_f32 v110, v9 /*v265*/, v153
	v_dual_mul_f32 v85, v10 /*v266*/, v155 :: v_dual_mul_f32 v87, v12 /*v268*/, v157
	s_set_vgpr_msb 0                        ;  msbs: dst=0 src0=0 src1=0 src2=0
	v_dual_add_f32 v81, v81, v139 :: v_dual_add_f32 v83, v83, v112
	s_set_vgpr_msb 1                        ;  msbs: dst=0 src0=1 src1=0 src2=0
	v_dual_mul_f32 v112, v15 /*v271*/, v159 :: v_dual_fma_f32 v106, v6 /*v262*/, v150, -v106
	v_dual_mul_f32 v108, v11 /*v267*/, v155 :: v_dual_mul_f32 v111, v13 /*v269*/, v157
	s_set_vgpr_msb 0                        ;  msbs: dst=0 src0=0 src1=0 src2=0
	v_add_f32_e32 v83, v83, v117
	s_set_vgpr_msb 1                        ;  msbs: dst=0 src0=1 src1=0 src2=0
	v_mul_f32_e32 v117, v17 /*v273*/, v161
	v_dual_fmac_f32 v116, v9 /*v265*/, v152 :: v_dual_fma_f32 v110, v8 /*v264*/, v152, -v110
	v_fmac_f32_e32 v85, v11 /*v267*/, v154
	s_set_vgpr_msb 0                        ;  msbs: dst=0 src0=0 src1=0 src2=0
	v_add_f32_e32 v83, v83, v101
	v_add_f32_e32 v81, v81, v141
	s_set_vgpr_msb 1                        ;  msbs: dst=0 src0=1 src1=0 src2=0
	v_dual_mul_f32 v101, v19 /*v275*/, v163 :: v_dual_fma_f32 v108, v10 /*v266*/, v154, -v108
	v_dual_mul_f32 v206, v14 /*v270*/, v159 :: v_dual_mul_f32 v89, v16 /*v272*/, v161
	s_set_vgpr_msb 0                        ;  msbs: dst=0 src0=0 src1=0 src2=0
	v_dual_add_f32 v83, v83, v103 :: v_dual_add_f32 v81, v81, v204
	s_set_vgpr_msb 1                        ;  msbs: dst=0 src0=1 src1=0 src2=0
	v_mul_f32_e32 v103, v21 /*v277*/, v165
	v_fmac_f32_e32 v87, v13 /*v269*/, v156
	v_dual_fma_f32 v111, v12 /*v268*/, v156, -v111 :: v_dual_fmac_f32 v206, v15 /*v271*/, v158
	s_set_vgpr_msb 0                        ;  msbs: dst=0 src0=0 src1=0 src2=0
	v_dual_add_f32 v81, v81, v205 :: v_dual_add_f32 v83, v83, v106
	s_set_vgpr_msb 1                        ;  msbs: dst=0 src0=1 src1=0 src2=0
	v_mul_f32_e32 v106, v23 /*v279*/, v167
	v_dual_mul_f32 v97, v18 /*v274*/, v163 :: v_dual_mul_f32 v207, v20 /*v276*/, v165
	s_set_vgpr_msb 0                        ;  msbs: dst=0 src0=0 src1=0 src2=0
	v_add_f32_e32 v81, v81, v114
	v_add_f32_e32 v83, v83, v110
	s_set_vgpr_msb 1                        ;  msbs: dst=0 src0=1 src1=0 src2=0
	v_mul_f32_e32 v110, v25 /*v281*/, v169
	v_fmac_f32_e32 v89, v17 /*v273*/, v160
	v_dual_fmac_f32 v97, v19 /*v275*/, v162 :: v_dual_fmac_f32 v207, v21 /*v277*/, v164
	s_set_vgpr_msb 0                        ;  msbs: dst=0 src0=0 src1=0 src2=0
	v_add_f32_e32 v81, v81, v116
	v_add_f32_e32 v83, v83, v108
	s_set_vgpr_msb 1                        ;  msbs: dst=0 src0=1 src1=0 src2=0
	v_fma_f32 v108, v14 /*v270*/, v158, -v112
	v_dual_fma_f32 v101, v18 /*v274*/, v162, -v101 :: v_dual_fma_f32 v103, v20 /*v276*/, v164, -v103
	s_set_vgpr_msb 0                        ;  msbs: dst=0 src0=0 src1=0 src2=0
	v_add_f32_e32 v81, v81, v85
	s_set_vgpr_msb 1                        ;  msbs: dst=0 src0=1 src1=0 src2=0
	v_mul_f32_e32 v85, v27 /*v283*/, v171
	s_set_vgpr_msb 0                        ;  msbs: dst=0 src0=0 src1=0 src2=0
	v_add_f32_e32 v83, v83, v111
	s_set_vgpr_msb 1                        ;  msbs: dst=0 src0=1 src1=0 src2=0
	v_dual_fma_f32 v111, v16 /*v272*/, v160, -v117 :: v_dual_mul_f32 v91, v22 /*v278*/, v167
	v_mul_f32_e32 v99, v24 /*v280*/, v169
	s_set_vgpr_msb 0                        ;  msbs: dst=0 src0=0 src1=0 src2=0
	v_add_f32_e32 v81, v81, v87
	s_set_vgpr_msb 1                        ;  msbs: dst=0 src0=1 src1=0 src2=0
	v_mul_f32_e32 v87, v29 /*v285*/, v173
	s_set_vgpr_msb 0                        ;  msbs: dst=0 src0=0 src1=0 src2=0
	v_add_f32_e32 v83, v83, v108
	s_set_vgpr_msb 1                        ;  msbs: dst=0 src0=1 src1=0 src2=0
	v_mul_f32_e32 v108, v31 /*v287*/, v175
	v_fmac_f32_e32 v91, v23 /*v279*/, v166
	s_set_vgpr_msb 0                        ;  msbs: dst=0 src0=0 src1=0 src2=0
	v_add_f32_e32 v81, v81, v206
	s_set_vgpr_msb 1                        ;  msbs: dst=0 src0=1 src1=0 src2=0
	v_dual_mul_f32 v208, v26 /*v282*/, v171 :: v_dual_mul_f32 v93, v28 /*v284*/, v173
	v_dual_fmac_f32 v99, v25 /*v281*/, v168 :: v_dual_fma_f32 v85, v26 /*v282*/, v170, -v85
	s_set_vgpr_msb 0                        ;  msbs: dst=0 src0=0 src1=0 src2=0
	v_add_f32_e32 v81, v81, v89
	s_set_vgpr_msb 1                        ;  msbs: dst=0 src0=1 src1=0 src2=0
	v_mul_f32_e32 v89, v33 /*v289*/, v177
	s_set_vgpr_msb 0                        ;  msbs: dst=0 src0=0 src1=0 src2=0
	v_add_f32_e32 v83, v83, v111
	s_set_vgpr_msb 1                        ;  msbs: dst=0 src0=1 src1=0 src2=0
	v_dual_fmac_f32 v208, v27 /*v283*/, v170 :: v_dual_fmac_f32 v93, v29 /*v285*/, v172
	v_fma_f32 v87, v28 /*v284*/, v172, -v87
	v_fmac_f32_e32 v95, v31 /*v287*/, v174
	s_set_vgpr_msb 0                        ;  msbs: dst=0 src0=0 src1=0 src2=0
	v_add_f32_e32 v83, v83, v101
	v_add_f32_e32 v81, v81, v97
	s_wait_dscnt 0x2
	s_set_vgpr_msb 1                        ;  msbs: dst=0 src0=1 src1=0 src2=0
	v_dual_mul_f32 v97, v35 /*v291*/, v179 :: v_dual_fma_f32 v101, v22 /*v278*/, v166, -v106
	v_fma_f32 v106, v24 /*v280*/, v168, -v110
	s_set_vgpr_msb 0                        ;  msbs: dst=0 src0=0 src1=0 src2=0
	v_add_f32_e32 v83, v83, v103
	v_add_f32_e32 v81, v81, v207
	s_set_vgpr_msb 1                        ;  msbs: dst=0 src0=1 src1=0 src2=0
	v_dual_mul_f32 v103, v37 /*v293*/, v181 :: v_dual_mul_f32 v115, v34 /*v290*/, v179
	v_mul_f32_e32 v113, v36 /*v292*/, v181
	s_set_vgpr_msb 0                        ;  msbs: dst=0 src0=0 src1=0 src2=0
	v_dual_add_f32 v83, v83, v101 :: v_dual_add_f32 v81, v81, v91
	s_wait_dscnt 0x1
	s_set_vgpr_msb 1                        ;  msbs: dst=0 src0=1 src1=0 src2=0
	v_dual_mul_f32 v91, v39 /*v295*/, v183 :: v_dual_fma_f32 v101, v30 /*v286*/, v174, -v108
	v_dual_mul_f32 v118, v38 /*v294*/, v183 :: v_dual_mul_f32 v107, v40 /*v296*/, v185
	s_set_vgpr_msb 0                        ;  msbs: dst=0 src0=0 src1=0 src2=0
	v_dual_add_f32 v81, v81, v99 :: v_dual_add_f32 v83, v83, v106
	s_set_vgpr_msb 1                        ;  msbs: dst=0 src0=1 src1=0 src2=0
	v_mul_f32_e32 v99, v41 /*v297*/, v185
	s_set_vgpr_msb 0                        ;  msbs: dst=0 src0=0 src1=0 src2=0
	v_mov_b32_e32 v108, v189
	s_set_vgpr_msb 1                        ;  msbs: dst=0 src0=1 src1=0 src2=0
	v_dual_fmac_f32 v105, v33 /*v289*/, v176 :: v_dual_fmac_f32 v115, v35 /*v291*/, v178
	s_set_vgpr_msb 0                        ;  msbs: dst=0 src0=0 src1=0 src2=0
	v_dual_add_f32 v81, v81, v208 :: v_dual_add_f32 v83, v83, v85
	v_mul_f32_e32 v85, v219, v187
	s_set_vgpr_msb 1                        ;  msbs: dst=0 src0=1 src1=0 src2=0
	v_dual_fmac_f32 v118, v39 /*v295*/, v182 :: v_dual_fmac_f32 v113, v37 /*v293*/, v180
	s_set_vgpr_msb 0                        ;  msbs: dst=0 src0=0 src1=0 src2=0
	v_dual_add_f32 v81, v81, v93 :: v_dual_add_f32 v83, v83, v87
	s_set_vgpr_msb 1                        ;  msbs: dst=0 src0=1 src1=0 src2=0
	v_fma_f32 v87, v32 /*v288*/, v176, -v89
	v_dual_fma_f32 v89, v34 /*v290*/, v178, -v97 :: v_dual_fmac_f32 v107, v41 /*v297*/, v184
	s_set_vgpr_msb 0                        ;  msbs: dst=0 src0=0 src1=0 src2=0
	v_dual_add_f32 v81, v81, v95 :: v_dual_add_f32 v83, v83, v101
	s_set_vgpr_msb 1                        ;  msbs: dst=0 src0=1 src1=0 src2=0
	v_fma_f32 v106, v40 /*v296*/, v184, -v99
	v_pk_mul_f32 v[116:117], v[48:49] /*v[304:305]*/, v[108:109] op_sel_hi:[1,0]
	s_set_vgpr_msb 0                        ;  msbs: dst=0 src0=0 src1=0 src2=0
	v_dual_fmac_f32 v109, v219, v186 :: v_dual_add_f32 v81, v81, v105
	v_add_f32_e32 v83, v83, v87
	s_set_vgpr_msb 1                        ;  msbs: dst=0 src0=1 src1=0 src2=0
	v_fma_f32 v87, v36 /*v292*/, v180, -v103
	s_wait_loadcnt 0x4
	s_set_vgpr_msb 0                        ;  msbs: dst=0 src0=0 src1=0 src2=0
	v_mov_b32_e32 v112, v193
	v_pk_mul_f32 v[110:111], v[230:231], v[190:191] op_sel:[1,1] op_sel_hi:[0,1]
	s_wait_loadcnt 0x3
	v_dual_mov_b32 v120, v197 :: v_dual_fma_f32 v108, v218, v186, -v85
	v_add_f32_e32 v83, v83, v89
	s_set_vgpr_msb 1                        ;  msbs: dst=0 src0=1 src1=0 src2=0
	v_fma_f32 v89, v38 /*v294*/, v182, -v91
	s_set_vgpr_msb 0                        ;  msbs: dst=0 src0=0 src1=0 src2=0
	v_pk_fma_f32 v[122:123], v[220:221], v[188:189], v[116:117] op_sel_hi:[1,0,1]
	v_pk_fma_f32 v[116:117], v[220:221], v[188:189], v[116:117] neg_lo:[0,0,1] neg_hi:[0,0,1]
	s_set_vgpr_msb 1                        ;  msbs: dst=0 src0=1 src1=0 src2=0
	v_pk_mul_f32 v[120:121], v[52:53] /*v[308:309]*/, v[120:121] op_sel_hi:[1,0]
	s_set_vgpr_msb 0                        ;  msbs: dst=0 src0=0 src1=0 src2=0
	v_add_f32_e32 v83, v83, v87
	v_dual_add_f32 v81, v81, v115 :: v_dual_ashrrev_i32 v87, 31, v86
	v_mov_b32_e32 v117, v123
	v_pk_mul_f32 v[114:115], v[234:235], v[194:195] op_sel:[1,1] op_sel_hi:[0,1]
	s_delay_alu instid0(VALU_DEP_3)
	v_dual_ashrrev_i32 v91, 31, v90 :: v_dual_add_f32 v81, v81, v113
	s_set_vgpr_msb 1                        ;  msbs: dst=0 src0=1 src1=0 src2=0
	v_pk_mul_f32 v[112:113], v[50:51] /*v[306:307]*/, v[112:113] op_sel_hi:[1,0]
	v_dual_ashrrev_i32 v93, 31, v92 :: v_dual_ashrrev_i32 v95, 31, v94
	v_dual_ashrrev_i32 v97, 31, v96 :: v_dual_ashrrev_i32 v99, 31, v98
	s_set_vgpr_msb 0                        ;  msbs: dst=0 src0=0 src1=0 src2=0
	v_dual_add_f32 v119, v81, v118 :: v_dual_add_f32 v118, v83, v89
	v_dual_ashrrev_i32 v83, 31, v82 :: v_dual_ashrrev_i32 v81, 31, v80
	v_ashrrev_i32_e32 v89, 31, v88
	v_dual_ashrrev_i32 v101, 31, v100 :: v_dual_ashrrev_i32 v103, 31, v102
	s_delay_alu instid0(VALU_DEP_4) | instskip(SKIP_2) | instid1(VALU_DEP_3)
	v_pk_add_f32 v[106:107], v[118:119], v[106:107]
	v_pk_fma_f32 v[118:119], v[230:231], v[190:191], v[110:111] op_sel_hi:[1,0,1]
	v_pk_fma_f32 v[110:111], v[230:231], v[190:191], v[110:111] neg_lo:[0,0,1] neg_hi:[0,0,1]
	v_pk_add_f32 v[106:107], v[106:107], v[108:109]
	s_delay_alu instid0(VALU_DEP_3)
	v_mov_b32_e32 v111, v119
	v_pk_fma_f32 v[118:119], v[232:233], v[192:193], v[112:113] op_sel_hi:[1,0,1]
	v_pk_fma_f32 v[112:113], v[232:233], v[192:193], v[112:113] neg_lo:[0,0,1] neg_hi:[0,0,1]
	s_wait_loadcnt 0x2
	v_pk_mul_f32 v[108:109], v[246:247], v[198:199] op_sel:[1,1] op_sel_hi:[0,1]
	v_pk_add_f32 v[106:107], v[106:107], v[116:117]
	v_pk_fma_f32 v[116:117], v[234:235], v[194:195], v[114:115] op_sel_hi:[1,0,1]
	v_mov_b32_e32 v113, v119
	v_pk_fma_f32 v[114:115], v[234:235], v[194:195], v[114:115] neg_lo:[0,0,1] neg_hi:[0,0,1]
	v_pk_fma_f32 v[118:119], v[236:237], v[196:197], v[120:121] neg_lo:[0,0,1] neg_hi:[0,0,1]
	v_pk_add_f32 v[106:107], v[106:107], v[110:111]
	v_dual_mov_b32 v110, v201 :: v_dual_mov_b32 v115, v117
	v_pk_fma_f32 v[116:117], v[236:237], v[196:197], v[120:121] op_sel_hi:[1,0,1]
	s_delay_alu instid0(VALU_DEP_3)
	v_pk_add_f32 v[106:107], v[106:107], v[112:113]
	v_pk_fma_f32 v[112:113], v[246:247], v[198:199], v[108:109] op_sel_hi:[1,0,1]
	s_set_vgpr_msb 1                        ;  msbs: dst=0 src0=1 src1=0 src2=0
	v_pk_mul_f32 v[110:111], v[54:55] /*v[310:311]*/, v[110:111] op_sel_hi:[1,0]
	s_set_vgpr_msb 0                        ;  msbs: dst=0 src0=0 src1=0 src2=0
	v_mov_b32_e32 v119, v117
	v_pk_fma_f32 v[108:109], v[246:247], v[198:199], v[108:109] neg_lo:[0,0,1] neg_hi:[0,0,1]
	v_pk_add_f32 v[106:107], v[106:107], v[114:115]
	v_mov_b32_e32 v109, v113
	v_pk_fma_f32 v[112:113], v[248:249], v[200:201], v[110:111] op_sel_hi:[1,0,1]
	s_wait_loadcnt_dscnt 0x0
	s_set_vgpr_msb 5                        ;  msbs: dst=0 src0=1 src1=1 src2=0
	v_pk_mul_f32 v[114:115], v[46:47] /*v[302:303]*/, v[42:43] /*v[298:299]*/ op_sel:[1,1] op_sel_hi:[0,1]
	s_set_vgpr_msb 0                        ;  msbs: dst=0 src0=0 src1=0 src2=0
	v_pk_fma_f32 v[110:111], v[248:249], v[200:201], v[110:111] neg_lo:[0,0,1] neg_hi:[0,0,1]
	v_pk_add_f32 v[106:107], v[106:107], v[118:119]
	v_mov_b32_e32 v111, v113
	s_set_vgpr_msb 5                        ;  msbs: dst=0 src0=1 src1=1 src2=0
	v_pk_fma_f32 v[112:113], v[46:47] /*v[302:303]*/, v[42:43] /*v[298:299]*/, v[114:115] neg_lo:[0,0,1] neg_hi:[0,0,1]
	s_set_vgpr_msb 0                        ;  msbs: dst=0 src0=0 src1=0 src2=0
	v_pk_add_f32 v[106:107], v[106:107], v[108:109]
	s_set_vgpr_msb 5                        ;  msbs: dst=0 src0=1 src1=1 src2=0
	v_pk_fma_f32 v[108:109], v[46:47] /*v[302:303]*/, v[42:43] /*v[298:299]*/, v[114:115] op_sel_hi:[1,0,1]
	s_set_vgpr_msb 0                        ;  msbs: dst=0 src0=0 src1=0 src2=0
	v_ashrrev_i32_e32 v85, 31, v84
	v_pk_add_f32 v[106:107], v[106:107], v[110:111]
	s_delay_alu instid0(VALU_DEP_3) | instskip(NEXT) | instid1(VALU_DEP_1)
	v_mov_b32_e32 v113, v109
	v_pk_add_f32 v[106:107], v[106:107], v[112:113]
	s_set_vgpr_msb 1                        ;  msbs: dst=0 src0=1 src1=0 src2=0
	s_delay_alu instid0(VALU_DEP_1)
	v_pk_add_f32 v[106:107], v[44:45] /*v[300:301]*/, v[106:107] neg_lo:[0,1] neg_hi:[0,1]
	scratch_store_b64 off, v[106:107], off offset:8
	s_wait_xcnt 0x0
	v_cmpx_ne_u32_e32 0, v0
	s_set_vgpr_msb 0                        ;  msbs: dst=0 src0=0 src1=0 src2=0
	s_cbranch_execz .LBB114_319
; %bb.318:
	scratch_load_b64 v[106:107], off, off
	v_mov_b64_e32 v[108:109], 0
	scratch_store_b64 off, v[108:109], off
	s_wait_loadcnt 0x0
	ds_store_b64 v1, v[106:107]
.LBB114_319:
	s_wait_xcnt 0x0
	s_or_b32 exec_lo, exec_lo, s0
	s_wait_storecnt_dscnt 0x0
	s_barrier_signal -1
	s_barrier_wait -1
	s_clause 0xf
	scratch_load_b128 v[110:113], off, off offset:8
	scratch_load_b128 v[118:121], off, off offset:24
	;; [unrolled: 1-line block ×16, first 2 shown]
	ds_load_2addr_b64 v[106:109], v104 offset0:53 offset1:54
	ds_load_2addr_b64 v[114:117], v104 offset0:55 offset1:56
	s_clause 0x1
	scratch_load_b128 v[238:241], off, off offset:264
	scratch_load_b128 v[246:249], off, off offset:280
	ds_load_2addr_b64 v[122:125], v104 offset0:57 offset1:58
	ds_load_2addr_b64 v[130:133], v104 offset0:59 offset1:60
	s_clause 0x2
	scratch_load_b128 v[254:257], off, off offset:296
	s_set_vgpr_msb 64                       ;  msbs: dst=1 src0=0 src1=0 src2=0
	scratch_load_b128 v[6:9] /*v[262:265]*/, off, off offset:312
	s_set_vgpr_msb 0                        ;  msbs: dst=0 src0=0 src1=0 src2=0
	ds_load_2addr_b64 v[138:141], v104 offset0:61 offset1:62
	ds_load_2addr_b64 v[146:149], v104 offset0:63 offset1:64
	;; [unrolled: 1-line block ×15, first 2 shown]
	s_set_vgpr_msb 64                       ;  msbs: dst=1 src0=0 src1=0 src2=0
	ds_load_2addr_b64 v[2:5] /*v[258:261]*/, v104 offset0:91 offset1:92
	ds_load_2addr_b64 v[10:13] /*v[266:269]*/, v104 offset0:93 offset1:94
	s_clause 0x4
	scratch_load_b128 v[14:17] /*v[270:273]*/, off, off offset:328
	scratch_load_b128 v[18:21] /*v[274:277]*/, off, off offset:344
	;; [unrolled: 1-line block ×5, first 2 shown]
	s_and_b32 vcc_lo, exec_lo, s12
	s_wait_loadcnt_dscnt 0x1814
	s_set_vgpr_msb 0                        ;  msbs: dst=0 src0=0 src1=0 src2=0
	v_dual_mul_f32 v0, v106, v111 :: v_dual_mul_f32 v1, v108, v113
	s_delay_alu instid0(VALU_DEP_1) | instskip(NEXT) | instid1(VALU_DEP_2)
	v_dual_mul_f32 v105, v109, v113 :: v_dual_fmac_f32 v0, v107, v110
	v_fmac_f32_e32 v1, v109, v112
	s_delay_alu instid0(VALU_DEP_2) | instskip(NEXT) | instid1(VALU_DEP_3)
	v_fma_f32 v105, v108, v112, -v105
	v_add_f32_e32 v0, 0, v0
	s_wait_loadcnt_dscnt 0x1713
	s_delay_alu instid0(VALU_DEP_1) | instskip(NEXT) | instid1(VALU_DEP_1)
	v_dual_add_f32 v0, v0, v1 :: v_dual_mul_f32 v1, v114, v119
	v_fmac_f32_e32 v1, v115, v118
	s_delay_alu instid0(VALU_DEP_1) | instskip(SKIP_1) | instid1(VALU_DEP_1)
	v_add_f32_e32 v0, v0, v1
	v_mul_f32_e32 v1, v116, v121
	v_fmac_f32_e32 v1, v117, v120
	s_wait_loadcnt_dscnt 0x1612
	s_delay_alu instid0(VALU_DEP_1)
	v_dual_add_f32 v0, v0, v1 :: v_dual_mul_f32 v1, v122, v127
	s_wait_loadcnt_dscnt 0x400
	s_set_vgpr_msb 0x45                     ;  msbs: dst=1 src0=1 src1=1 src2=0
	v_dual_mul_f32 v35 /*v291*/, v10 /*v266*/, v15 /*v271*/ :: v_dual_mul_f32 v37 /*v293*/, v12 /*v268*/, v17 /*v273*/
	s_set_vgpr_msb 0                        ;  msbs: dst=0 src0=0 src1=0 src2=0
	v_fmac_f32_e32 v1, v123, v126
	s_set_vgpr_msb 0x45                     ;  msbs: dst=1 src0=1 src1=1 src2=0
	s_delay_alu instid0(VALU_DEP_2) | instskip(SKIP_1) | instid1(VALU_DEP_2)
	v_dual_fmac_f32 v35 /*v291*/, v11 /*v267*/, v14 /*v270*/ :: v_dual_fmac_f32 v37 /*v293*/, v13 /*v269*/, v16 /*v272*/
	s_set_vgpr_msb 0                        ;  msbs: dst=0 src0=0 src1=0 src2=0
	v_add_f32_e32 v0, v0, v1
	v_mul_f32_e32 v1, v124, v129
	s_delay_alu instid0(VALU_DEP_1) | instskip(NEXT) | instid1(VALU_DEP_1)
	v_fmac_f32_e32 v1, v125, v128
	v_dual_add_f32 v0, v0, v1 :: v_dual_mul_f32 v1, v130, v135
	s_delay_alu instid0(VALU_DEP_1) | instskip(NEXT) | instid1(VALU_DEP_1)
	v_fmac_f32_e32 v1, v131, v134
	v_add_f32_e32 v0, v0, v1
	v_mul_f32_e32 v1, v132, v137
	s_delay_alu instid0(VALU_DEP_1) | instskip(NEXT) | instid1(VALU_DEP_1)
	v_fmac_f32_e32 v1, v133, v136
	v_dual_add_f32 v0, v0, v1 :: v_dual_mul_f32 v1, v138, v143
	s_delay_alu instid0(VALU_DEP_1) | instskip(NEXT) | instid1(VALU_DEP_1)
	v_fmac_f32_e32 v1, v139, v142
	;; [unrolled: 7-line block ×16, first 2 shown]
	v_add_f32_e32 v0, v0, v1
	s_set_vgpr_msb 4                        ;  msbs: dst=0 src0=0 src1=1 src2=0
	v_mul_f32_e32 v1, v252, v1 /*v257*/
	s_delay_alu instid0(VALU_DEP_1) | instskip(SKIP_1) | instid1(VALU_DEP_1)
	v_fmac_f32_e32 v1, v253, v0 /*v256*/
	s_set_vgpr_msb 0                        ;  msbs: dst=0 src0=0 src1=0 src2=0
	v_add_f32_e32 v0, v0, v1
	s_set_vgpr_msb 5                        ;  msbs: dst=0 src0=1 src1=1 src2=0
	v_mul_f32_e32 v1, v2 /*v258*/, v7 /*v263*/
	s_delay_alu instid0(VALU_DEP_1) | instskip(SKIP_1) | instid1(VALU_DEP_1)
	v_fmac_f32_e32 v1, v3 /*v259*/, v6 /*v262*/
	s_set_vgpr_msb 0                        ;  msbs: dst=0 src0=0 src1=0 src2=0
	v_add_f32_e32 v0, v0, v1
	s_set_vgpr_msb 5                        ;  msbs: dst=0 src0=1 src1=1 src2=0
	v_mul_f32_e32 v1, v4 /*v260*/, v9 /*v265*/
	s_delay_alu instid0(VALU_DEP_1) | instskip(SKIP_1) | instid1(VALU_DEP_1)
	v_fmac_f32_e32 v1, v5 /*v261*/, v8 /*v264*/
	s_set_vgpr_msb 0                        ;  msbs: dst=0 src0=0 src1=0 src2=0
	v_dual_add_f32 v1, v0, v1 :: v_dual_mul_f32 v0, v107, v111
	s_delay_alu instid0(VALU_DEP_1) | instskip(NEXT) | instid1(VALU_DEP_1)
	v_fma_f32 v0, v106, v110, -v0
	v_add_f32_e32 v0, 0, v0
	s_delay_alu instid0(VALU_DEP_1) | instskip(NEXT) | instid1(VALU_DEP_1)
	v_dual_add_f32 v0, v0, v105 :: v_dual_mul_f32 v105, v115, v119
	v_fma_f32 v105, v114, v118, -v105
	s_delay_alu instid0(VALU_DEP_1) | instskip(SKIP_1) | instid1(VALU_DEP_1)
	v_add_f32_e32 v0, v0, v105
	v_mul_f32_e32 v105, v117, v121
	v_fma_f32 v105, v116, v120, -v105
	ds_load_2addr_b64 v[106:109], v104 offset0:95 offset1:96
	ds_load_2addr_b64 v[110:113], v104 offset0:97 offset1:98
	ds_load_2addr_b64 v[114:117], v104 offset0:99 offset1:100
	ds_load_2addr_b64 v[118:121], v104 offset0:101 offset1:102
	v_dual_add_f32 v0, v0, v105 :: v_dual_mul_f32 v105, v123, v127
	s_delay_alu instid0(VALU_DEP_1) | instskip(NEXT) | instid1(VALU_DEP_1)
	v_fma_f32 v105, v122, v126, -v105
	v_add_f32_e32 v0, v0, v105
	v_mul_f32_e32 v105, v125, v129
	s_delay_alu instid0(VALU_DEP_1) | instskip(NEXT) | instid1(VALU_DEP_1)
	v_fma_f32 v105, v124, v128, -v105
	v_dual_add_f32 v0, v0, v105 :: v_dual_mul_f32 v105, v131, v135
	s_delay_alu instid0(VALU_DEP_1) | instskip(NEXT) | instid1(VALU_DEP_1)
	v_fma_f32 v105, v130, v134, -v105
	v_add_f32_e32 v0, v0, v105
	v_mul_f32_e32 v105, v133, v137
	s_delay_alu instid0(VALU_DEP_1) | instskip(NEXT) | instid1(VALU_DEP_1)
	v_fma_f32 v105, v132, v136, -v105
	v_dual_add_f32 v0, v0, v105 :: v_dual_mul_f32 v105, v139, v143
	s_delay_alu instid0(VALU_DEP_1) | instskip(NEXT) | instid1(VALU_DEP_1)
	v_fma_f32 v105, v138, v142, -v105
	v_add_f32_e32 v0, v0, v105
	v_mul_f32_e32 v105, v141, v145
	s_delay_alu instid0(VALU_DEP_1) | instskip(NEXT) | instid1(VALU_DEP_1)
	v_fma_f32 v105, v140, v144, -v105
	v_dual_add_f32 v0, v0, v105 :: v_dual_mul_f32 v105, v147, v151
	s_delay_alu instid0(VALU_DEP_1) | instskip(NEXT) | instid1(VALU_DEP_1)
	v_fma_f32 v105, v146, v150, -v105
	v_add_f32_e32 v0, v0, v105
	v_mul_f32_e32 v105, v149, v153
	s_delay_alu instid0(VALU_DEP_1) | instskip(NEXT) | instid1(VALU_DEP_1)
	v_fma_f32 v105, v148, v152, -v105
	v_dual_add_f32 v0, v0, v105 :: v_dual_mul_f32 v105, v155, v159
	s_delay_alu instid0(VALU_DEP_1) | instskip(NEXT) | instid1(VALU_DEP_1)
	v_fma_f32 v105, v154, v158, -v105
	v_add_f32_e32 v0, v0, v105
	v_mul_f32_e32 v105, v157, v161
	s_delay_alu instid0(VALU_DEP_1) | instskip(NEXT) | instid1(VALU_DEP_1)
	v_fma_f32 v105, v156, v160, -v105
	v_dual_add_f32 v0, v0, v105 :: v_dual_mul_f32 v105, v163, v167
	s_delay_alu instid0(VALU_DEP_1) | instskip(NEXT) | instid1(VALU_DEP_1)
	v_fma_f32 v105, v162, v166, -v105
	v_add_f32_e32 v0, v0, v105
	v_mul_f32_e32 v105, v165, v169
	s_delay_alu instid0(VALU_DEP_1) | instskip(NEXT) | instid1(VALU_DEP_1)
	v_fma_f32 v105, v164, v168, -v105
	v_dual_add_f32 v0, v0, v105 :: v_dual_mul_f32 v105, v171, v175
	s_delay_alu instid0(VALU_DEP_1) | instskip(NEXT) | instid1(VALU_DEP_1)
	v_fma_f32 v105, v170, v174, -v105
	v_add_f32_e32 v0, v0, v105
	v_mul_f32_e32 v105, v173, v177
	s_delay_alu instid0(VALU_DEP_1) | instskip(NEXT) | instid1(VALU_DEP_1)
	v_fma_f32 v105, v172, v176, -v105
	v_dual_add_f32 v0, v0, v105 :: v_dual_mul_f32 v105, v179, v183
	s_delay_alu instid0(VALU_DEP_1) | instskip(NEXT) | instid1(VALU_DEP_1)
	v_fma_f32 v105, v178, v182, -v105
	v_add_f32_e32 v0, v0, v105
	v_mul_f32_e32 v105, v181, v185
	s_delay_alu instid0(VALU_DEP_1) | instskip(NEXT) | instid1(VALU_DEP_1)
	v_fma_f32 v105, v180, v184, -v105
	v_dual_add_f32 v0, v0, v105 :: v_dual_mul_f32 v105, v187, v191
	s_delay_alu instid0(VALU_DEP_1) | instskip(NEXT) | instid1(VALU_DEP_1)
	v_fma_f32 v105, v186, v190, -v105
	v_add_f32_e32 v0, v0, v105
	v_mul_f32_e32 v105, v189, v193
	s_delay_alu instid0(VALU_DEP_1) | instskip(NEXT) | instid1(VALU_DEP_1)
	v_fma_f32 v105, v188, v192, -v105
	v_dual_add_f32 v0, v0, v105 :: v_dual_mul_f32 v105, v195, v199
	s_delay_alu instid0(VALU_DEP_1) | instskip(NEXT) | instid1(VALU_DEP_1)
	v_fma_f32 v105, v194, v198, -v105
	v_add_f32_e32 v0, v0, v105
	v_mul_f32_e32 v105, v197, v201
	s_delay_alu instid0(VALU_DEP_1) | instskip(NEXT) | instid1(VALU_DEP_1)
	v_fma_f32 v105, v196, v200, -v105
	v_dual_add_f32 v0, v0, v105 :: v_dual_mul_f32 v105, v203, v207
	s_delay_alu instid0(VALU_DEP_1) | instskip(NEXT) | instid1(VALU_DEP_1)
	v_fma_f32 v105, v202, v206, -v105
	v_add_f32_e32 v0, v0, v105
	v_mul_f32_e32 v105, v205, v209
	s_delay_alu instid0(VALU_DEP_1) | instskip(NEXT) | instid1(VALU_DEP_1)
	v_fma_f32 v105, v204, v208, -v105
	v_dual_add_f32 v0, v0, v105 :: v_dual_mul_f32 v105, v211, v215
	s_delay_alu instid0(VALU_DEP_1) | instskip(NEXT) | instid1(VALU_DEP_1)
	v_fma_f32 v105, v210, v214, -v105
	v_add_f32_e32 v0, v0, v105
	v_mul_f32_e32 v105, v213, v217
	s_delay_alu instid0(VALU_DEP_1) | instskip(NEXT) | instid1(VALU_DEP_1)
	v_fma_f32 v105, v212, v216, -v105
	v_dual_add_f32 v0, v0, v105 :: v_dual_mul_f32 v105, v219, v223
	s_delay_alu instid0(VALU_DEP_1) | instskip(NEXT) | instid1(VALU_DEP_1)
	v_fma_f32 v105, v218, v222, -v105
	v_add_f32_e32 v0, v0, v105
	v_mul_f32_e32 v105, v221, v225
	s_delay_alu instid0(VALU_DEP_1) | instskip(NEXT) | instid1(VALU_DEP_1)
	v_fma_f32 v105, v220, v224, -v105
	v_dual_add_f32 v0, v0, v105 :: v_dual_mul_f32 v105, v227, v231
	s_delay_alu instid0(VALU_DEP_1) | instskip(NEXT) | instid1(VALU_DEP_1)
	v_fma_f32 v105, v226, v230, -v105
	v_add_f32_e32 v0, v0, v105
	v_mul_f32_e32 v105, v229, v233
	s_delay_alu instid0(VALU_DEP_1) | instskip(NEXT) | instid1(VALU_DEP_1)
	v_fma_f32 v105, v228, v232, -v105
	v_dual_add_f32 v0, v0, v105 :: v_dual_mul_f32 v105, v235, v239
	s_delay_alu instid0(VALU_DEP_1) | instskip(NEXT) | instid1(VALU_DEP_1)
	v_fma_f32 v105, v234, v238, -v105
	v_add_f32_e32 v0, v0, v105
	v_mul_f32_e32 v105, v237, v241
	s_delay_alu instid0(VALU_DEP_1) | instskip(NEXT) | instid1(VALU_DEP_1)
	v_fma_f32 v105, v236, v240, -v105
	v_dual_add_f32 v0, v0, v105 :: v_dual_mul_f32 v105, v243, v247
	s_delay_alu instid0(VALU_DEP_1) | instskip(NEXT) | instid1(VALU_DEP_1)
	v_fma_f32 v105, v242, v246, -v105
	v_add_f32_e32 v0, v0, v105
	v_mul_f32_e32 v105, v245, v249
	s_delay_alu instid0(VALU_DEP_1) | instskip(NEXT) | instid1(VALU_DEP_1)
	v_fma_f32 v105, v244, v248, -v105
	v_dual_add_f32 v0, v0, v105 :: v_dual_mul_f32 v105, v251, v255
	s_delay_alu instid0(VALU_DEP_1) | instskip(NEXT) | instid1(VALU_DEP_1)
	v_fma_f32 v105, v250, v254, -v105
	v_add_f32_e32 v0, v0, v105
	s_set_vgpr_msb 4                        ;  msbs: dst=0 src0=0 src1=1 src2=0
	v_mul_f32_e32 v105, v253, v1 /*v257*/
	s_delay_alu instid0(VALU_DEP_1) | instskip(SKIP_1) | instid1(VALU_DEP_1)
	v_fma_f32 v105, v252, v0 /*v256*/, -v105
	s_set_vgpr_msb 0                        ;  msbs: dst=0 src0=0 src1=0 src2=0
	v_add_f32_e32 v0, v0, v105
	s_set_vgpr_msb 5                        ;  msbs: dst=0 src0=1 src1=1 src2=0
	v_mul_f32_e32 v105, v3 /*v259*/, v7 /*v263*/
	s_delay_alu instid0(VALU_DEP_1) | instskip(SKIP_1) | instid1(VALU_DEP_1)
	v_fma_f32 v105, v2 /*v258*/, v6 /*v262*/, -v105
	s_set_vgpr_msb 0                        ;  msbs: dst=0 src0=0 src1=0 src2=0
	v_add_f32_e32 v0, v0, v105
	s_set_vgpr_msb 5                        ;  msbs: dst=0 src0=1 src1=1 src2=0
	v_mul_f32_e32 v105, v5 /*v261*/, v9 /*v265*/
	s_delay_alu instid0(VALU_DEP_1) | instskip(SKIP_1) | instid1(VALU_DEP_1)
	v_fma_f32 v105, v4 /*v260*/, v8 /*v264*/, -v105
	s_set_vgpr_msb 0                        ;  msbs: dst=0 src0=0 src1=0 src2=0
	v_add_f32_e32 v0, v0, v105
	s_set_vgpr_msb 5                        ;  msbs: dst=0 src0=1 src1=1 src2=0
	v_mul_f32_e32 v105, v11 /*v267*/, v15 /*v271*/
	s_set_vgpr_msb 0x45                     ;  msbs: dst=1 src0=1 src1=1 src2=0
	s_delay_alu instid0(VALU_DEP_1) | instskip(SKIP_3) | instid1(VALU_DEP_1)
	v_fma_f32 v34 /*v290*/, v10 /*v266*/, v14 /*v270*/, -v105
	s_set_vgpr_msb 5                        ;  msbs: dst=0 src0=1 src1=1 src2=0
	v_mul_f32_e32 v105, v13 /*v269*/, v17 /*v273*/
	s_set_vgpr_msb 0x45                     ;  msbs: dst=1 src0=1 src1=1 src2=0
	v_fma_f32 v36 /*v292*/, v12 /*v268*/, v16 /*v272*/, -v105
	s_wait_loadcnt_dscnt 0x303
	s_set_vgpr_msb 4                        ;  msbs: dst=0 src0=0 src1=1 src2=0
	v_pk_mul_f32 v[104:105], v[106:107], v[18:19] /*v[274:275]*/ op_sel:[1,1] op_sel_hi:[0,1]
	v_pk_add_f32 v[0:1], v[0:1], v[34:35] /*v[290:291]*/
	s_delay_alu instid0(VALU_DEP_2)
	v_pk_fma_f32 v[122:123], v[106:107], v[18:19] /*v[274:275]*/, v[104:105] neg_lo:[0,0,1] neg_hi:[0,0,1]
	v_pk_fma_f32 v[104:105], v[106:107], v[18:19] /*v[274:275]*/, v[104:105] op_sel_hi:[1,0,1]
	v_mov_b32_e32 v104, v109
	s_set_vgpr_msb 1                        ;  msbs: dst=0 src0=1 src1=0 src2=0
	v_mov_b32_e32 v106, v21 /*v277*/
	s_set_vgpr_msb 4                        ;  msbs: dst=0 src0=0 src1=1 src2=0
	v_pk_add_f32 v[0:1], v[0:1], v[36:37] /*v[292:293]*/
	v_dual_mov_b32 v123, v105 :: v_dual_mov_b32 v105, v108
	s_set_vgpr_msb 0                        ;  msbs: dst=0 src0=0 src1=0 src2=0
	s_delay_alu instid0(VALU_DEP_1) | instskip(NEXT) | instid1(VALU_DEP_2)
	v_pk_add_f32 v[0:1], v[0:1], v[122:123]
	v_pk_mul_f32 v[104:105], v[104:105], v[106:107] op_sel_hi:[1,0]
	s_set_vgpr_msb 4                        ;  msbs: dst=0 src0=0 src1=1 src2=0
	s_delay_alu instid0(VALU_DEP_1) | instskip(SKIP_1) | instid1(VALU_DEP_1)
	v_pk_fma_f32 v[106:107], v[108:109], v[20:21] /*v[276:277]*/, v[104:105] neg_lo:[0,0,1] neg_hi:[0,0,1]
	v_pk_fma_f32 v[104:105], v[108:109], v[20:21] /*v[276:277]*/, v[104:105] op_sel_hi:[1,0,1]
	v_mov_b32_e32 v107, v105
	s_wait_loadcnt_dscnt 0x202
	v_pk_mul_f32 v[104:105], v[110:111], v[22:23] /*v[278:279]*/ op_sel:[1,1] op_sel_hi:[0,1]
	s_set_vgpr_msb 0                        ;  msbs: dst=0 src0=0 src1=0 src2=0
	s_delay_alu instid0(VALU_DEP_2) | instskip(SKIP_1) | instid1(VALU_DEP_2)
	v_pk_add_f32 v[0:1], v[0:1], v[106:107]
	s_set_vgpr_msb 4                        ;  msbs: dst=0 src0=0 src1=1 src2=0
	v_pk_fma_f32 v[106:107], v[110:111], v[22:23] /*v[278:279]*/, v[104:105] neg_lo:[0,0,1] neg_hi:[0,0,1]
	v_pk_fma_f32 v[104:105], v[110:111], v[22:23] /*v[278:279]*/, v[104:105] op_sel_hi:[1,0,1]
	s_delay_alu instid0(VALU_DEP_1) | instskip(SKIP_2) | instid1(VALU_DEP_2)
	v_dual_mov_b32 v104, v113 :: v_dual_mov_b32 v107, v105
	v_mov_b32_e32 v105, v112
	s_set_vgpr_msb 0                        ;  msbs: dst=0 src0=0 src1=0 src2=0
	v_pk_add_f32 v[0:1], v[0:1], v[106:107]
	s_set_vgpr_msb 1                        ;  msbs: dst=0 src0=1 src1=0 src2=0
	v_mov_b32_e32 v106, v25 /*v281*/
	s_set_vgpr_msb 0                        ;  msbs: dst=0 src0=0 src1=0 src2=0
	s_delay_alu instid0(VALU_DEP_1) | instskip(SKIP_1) | instid1(VALU_DEP_1)
	v_pk_mul_f32 v[104:105], v[104:105], v[106:107] op_sel_hi:[1,0]
	s_set_vgpr_msb 4                        ;  msbs: dst=0 src0=0 src1=1 src2=0
	v_pk_fma_f32 v[106:107], v[112:113], v[24:25] /*v[280:281]*/, v[104:105] neg_lo:[0,0,1] neg_hi:[0,0,1]
	v_pk_fma_f32 v[104:105], v[112:113], v[24:25] /*v[280:281]*/, v[104:105] op_sel_hi:[1,0,1]
	s_delay_alu instid0(VALU_DEP_1) | instskip(SKIP_3) | instid1(VALU_DEP_2)
	v_mov_b32_e32 v107, v105
	s_wait_loadcnt_dscnt 0x101
	v_pk_mul_f32 v[104:105], v[114:115], v[26:27] /*v[282:283]*/ op_sel:[1,1] op_sel_hi:[0,1]
	s_set_vgpr_msb 0                        ;  msbs: dst=0 src0=0 src1=0 src2=0
	v_pk_add_f32 v[0:1], v[0:1], v[106:107]
	s_set_vgpr_msb 4                        ;  msbs: dst=0 src0=0 src1=1 src2=0
	s_delay_alu instid0(VALU_DEP_2) | instskip(SKIP_1) | instid1(VALU_DEP_1)
	v_pk_fma_f32 v[106:107], v[114:115], v[26:27] /*v[282:283]*/, v[104:105] neg_lo:[0,0,1] neg_hi:[0,0,1]
	v_pk_fma_f32 v[104:105], v[114:115], v[26:27] /*v[282:283]*/, v[104:105] op_sel_hi:[1,0,1]
	v_dual_mov_b32 v104, v117 :: v_dual_mov_b32 v107, v105
	v_mov_b32_e32 v105, v116
	s_set_vgpr_msb 0                        ;  msbs: dst=0 src0=0 src1=0 src2=0
	s_delay_alu instid0(VALU_DEP_2) | instskip(SKIP_3) | instid1(VALU_DEP_1)
	v_pk_add_f32 v[0:1], v[0:1], v[106:107]
	s_set_vgpr_msb 1                        ;  msbs: dst=0 src0=1 src1=0 src2=0
	v_mov_b32_e32 v106, v29 /*v285*/
	s_set_vgpr_msb 0                        ;  msbs: dst=0 src0=0 src1=0 src2=0
	v_pk_mul_f32 v[104:105], v[104:105], v[106:107] op_sel_hi:[1,0]
	s_set_vgpr_msb 4                        ;  msbs: dst=0 src0=0 src1=1 src2=0
	s_delay_alu instid0(VALU_DEP_1) | instskip(SKIP_1) | instid1(VALU_DEP_1)
	v_pk_fma_f32 v[106:107], v[116:117], v[28:29] /*v[284:285]*/, v[104:105] neg_lo:[0,0,1] neg_hi:[0,0,1]
	v_pk_fma_f32 v[104:105], v[116:117], v[28:29] /*v[284:285]*/, v[104:105] op_sel_hi:[1,0,1]
	v_mov_b32_e32 v107, v105
	s_wait_loadcnt_dscnt 0x0
	v_pk_mul_f32 v[104:105], v[118:119], v[30:31] /*v[286:287]*/ op_sel:[1,1] op_sel_hi:[0,1]
	s_set_vgpr_msb 0                        ;  msbs: dst=0 src0=0 src1=0 src2=0
	s_delay_alu instid0(VALU_DEP_2) | instskip(SKIP_1) | instid1(VALU_DEP_2)
	v_pk_add_f32 v[0:1], v[0:1], v[106:107]
	s_set_vgpr_msb 4                        ;  msbs: dst=0 src0=0 src1=1 src2=0
	v_pk_fma_f32 v[106:107], v[118:119], v[30:31] /*v[286:287]*/, v[104:105] neg_lo:[0,0,1] neg_hi:[0,0,1]
	v_pk_fma_f32 v[104:105], v[118:119], v[30:31] /*v[286:287]*/, v[104:105] op_sel_hi:[1,0,1]
	s_delay_alu instid0(VALU_DEP_1) | instskip(SKIP_2) | instid1(VALU_DEP_2)
	v_dual_mov_b32 v104, v121 :: v_dual_mov_b32 v107, v105
	v_mov_b32_e32 v105, v120
	s_set_vgpr_msb 0                        ;  msbs: dst=0 src0=0 src1=0 src2=0
	v_pk_add_f32 v[0:1], v[0:1], v[106:107]
	s_set_vgpr_msb 1                        ;  msbs: dst=0 src0=1 src1=0 src2=0
	v_mov_b32_e32 v106, v33 /*v289*/
	s_set_vgpr_msb 0                        ;  msbs: dst=0 src0=0 src1=0 src2=0
	s_delay_alu instid0(VALU_DEP_1) | instskip(SKIP_1) | instid1(VALU_DEP_1)
	v_pk_mul_f32 v[104:105], v[104:105], v[106:107] op_sel_hi:[1,0]
	s_set_vgpr_msb 4                        ;  msbs: dst=0 src0=0 src1=1 src2=0
	v_pk_fma_f32 v[106:107], v[120:121], v[32:33] /*v[288:289]*/, v[104:105] neg_lo:[0,0,1] neg_hi:[0,0,1]
	v_pk_fma_f32 v[104:105], v[120:121], v[32:33] /*v[288:289]*/, v[104:105] op_sel_hi:[1,0,1]
	s_delay_alu instid0(VALU_DEP_1) | instskip(SKIP_4) | instid1(VALU_DEP_1)
	v_mov_b32_e32 v107, v105
	scratch_load_b64 v[104:105], off, off
	s_set_vgpr_msb 0                        ;  msbs: dst=0 src0=0 src1=0 src2=0
	v_pk_add_f32 v[0:1], v[0:1], v[106:107]
	s_wait_loadcnt 0x0
	v_pk_add_f32 v[104:105], v[104:105], v[0:1] neg_lo:[0,1] neg_hi:[0,1]
	scratch_store_b64 off, v[104:105], off
	s_cbranch_vccz .LBB114_420
; %bb.320:
	v_mov_b32_e32 v0, 0
	global_load_b32 v1, v0, s[8:9] offset:196
	s_wait_loadcnt 0x0
	v_cmp_ne_u32_e32 vcc_lo, 50, v1
	s_cbranch_vccz .LBB114_322
; %bb.321:
	v_lshlrev_b32_e32 v1, 3, v1
	scratch_load_b64 v[104:105], v1, off offset:-8
	scratch_load_b64 v[106:107], off, off offset:392
	s_wait_loadcnt 0x1
	scratch_store_b64 off, v[104:105], off offset:392
	s_wait_loadcnt 0x0
	scratch_store_b64 v1, v[106:107], off offset:-8
.LBB114_322:
	global_load_b32 v0, v0, s[8:9] offset:192
	s_wait_loadcnt 0x0
	v_cmp_eq_u32_e32 vcc_lo, 49, v0
	s_cbranch_vccnz .LBB114_324
; %bb.323:
	s_wait_xcnt 0x0
	v_lshlrev_b32_e32 v0, 3, v0
	s_delay_alu instid0(VALU_DEP_1)
	v_mov_b32_e32 v106, v0
	scratch_load_b64 v[0:1], v106, off offset:-8
	scratch_load_b64 v[104:105], off, off offset:384
	s_wait_loadcnt 0x1
	scratch_store_b64 off, v[0:1], off offset:384
	s_wait_loadcnt 0x0
	scratch_store_b64 v106, v[104:105], off offset:-8
.LBB114_324:
	s_wait_xcnt 0x0
	v_mov_b32_e32 v0, 0
	global_load_b32 v1, v0, s[8:9] offset:188
	s_wait_loadcnt 0x0
	v_cmp_eq_u32_e32 vcc_lo, 48, v1
	s_cbranch_vccnz .LBB114_326
; %bb.325:
	v_lshlrev_b32_e32 v1, 3, v1
	scratch_load_b64 v[104:105], v1, off offset:-8
	scratch_load_b64 v[106:107], off, off offset:376
	s_wait_loadcnt 0x1
	scratch_store_b64 off, v[104:105], off offset:376
	s_wait_loadcnt 0x0
	scratch_store_b64 v1, v[106:107], off offset:-8
.LBB114_326:
	global_load_b32 v0, v0, s[8:9] offset:184
	s_wait_loadcnt 0x0
	v_cmp_eq_u32_e32 vcc_lo, 47, v0
	s_cbranch_vccnz .LBB114_328
; %bb.327:
	s_wait_xcnt 0x0
	v_lshlrev_b32_e32 v0, 3, v0
	s_delay_alu instid0(VALU_DEP_1)
	v_mov_b32_e32 v106, v0
	scratch_load_b64 v[0:1], v106, off offset:-8
	scratch_load_b64 v[104:105], off, off offset:368
	s_wait_loadcnt 0x1
	scratch_store_b64 off, v[0:1], off offset:368
	s_wait_loadcnt 0x0
	scratch_store_b64 v106, v[104:105], off offset:-8
.LBB114_328:
	s_wait_xcnt 0x0
	v_mov_b32_e32 v0, 0
	global_load_b32 v1, v0, s[8:9] offset:180
	s_wait_loadcnt 0x0
	v_cmp_eq_u32_e32 vcc_lo, 46, v1
	s_cbranch_vccnz .LBB114_330
; %bb.329:
	v_lshlrev_b32_e32 v1, 3, v1
	scratch_load_b64 v[104:105], v1, off offset:-8
	scratch_load_b64 v[106:107], off, off offset:360
	s_wait_loadcnt 0x1
	scratch_store_b64 off, v[104:105], off offset:360
	s_wait_loadcnt 0x0
	scratch_store_b64 v1, v[106:107], off offset:-8
.LBB114_330:
	;; [unrolled: 31-line block ×24, first 2 shown]
	global_load_b32 v0, v0, s[8:9]
	scratch_load_b64 v[104:105], off, off
	s_wait_loadcnt 0x1
	v_cmp_eq_u32_e32 vcc_lo, 1, v0
	s_cbranch_vccnz .LBB114_420
; %bb.419:
	s_wait_xcnt 0x1
	v_lshlrev_b32_e32 v0, 3, v0
	s_delay_alu instid0(VALU_DEP_1)
	v_mov_b32_e32 v106, v0
	scratch_load_b64 v[0:1], v106, off offset:-8
	s_wait_loadcnt 0x0
	scratch_store_b64 off, v[0:1], off
	scratch_store_b64 v106, v[104:105], off offset:-8
	scratch_load_b64 v[104:105], off, off
.LBB114_420:
	s_wait_loadcnt 0x0
	flat_store_b64 v[2:3], v[104:105]
	scratch_load_b64 v[2:3], off, off offset:8
	v_lshl_add_u64 v[152:153], v[6:7], 3, s[2:3]
	v_lshl_add_u64 v[150:151], v[8:9], 3, s[2:3]
	;; [unrolled: 1-line block ×49, first 2 shown]
	s_wait_loadcnt 0x0
	flat_store_b64 v[4:5], v[2:3]
	scratch_load_b64 v[2:3], off, off offset:16
	s_wait_loadcnt 0x0
	flat_store_b64 v[152:153], v[2:3]
	scratch_load_b64 v[2:3], off, off offset:24
	;; [unrolled: 3-line block ×49, first 2 shown]
	s_wait_loadcnt 0x0
	flat_store_b64 v[0:1], v[2:3]
	s_sendmsg sendmsg(MSG_DEALLOC_VGPRS)
	s_endpgm
	.section	.rodata,"a",@progbits
	.p2align	6, 0x0
	.amdhsa_kernel _ZN9rocsolver6v33100L18getri_kernel_smallILi51E19rocblas_complex_numIfEPKPS3_EEvT1_iilPiilS8_bb
		.amdhsa_group_segment_fixed_size 824
		.amdhsa_private_segment_fixed_size 416
		.amdhsa_kernarg_size 60
		.amdhsa_user_sgpr_count 2
		.amdhsa_user_sgpr_dispatch_ptr 0
		.amdhsa_user_sgpr_queue_ptr 0
		.amdhsa_user_sgpr_kernarg_segment_ptr 1
		.amdhsa_user_sgpr_dispatch_id 0
		.amdhsa_user_sgpr_kernarg_preload_length 0
		.amdhsa_user_sgpr_kernarg_preload_offset 0
		.amdhsa_user_sgpr_private_segment_size 0
		.amdhsa_wavefront_size32 1
		.amdhsa_uses_dynamic_stack 0
		.amdhsa_enable_private_segment 1
		.amdhsa_system_sgpr_workgroup_id_x 1
		.amdhsa_system_sgpr_workgroup_id_y 0
		.amdhsa_system_sgpr_workgroup_id_z 0
		.amdhsa_system_sgpr_workgroup_info 0
		.amdhsa_system_vgpr_workitem_id 0
		.amdhsa_next_free_vgpr 313
		.amdhsa_next_free_sgpr 19
		.amdhsa_named_barrier_count 0
		.amdhsa_reserve_vcc 1
		.amdhsa_float_round_mode_32 0
		.amdhsa_float_round_mode_16_64 0
		.amdhsa_float_denorm_mode_32 3
		.amdhsa_float_denorm_mode_16_64 3
		.amdhsa_fp16_overflow 0
		.amdhsa_memory_ordered 1
		.amdhsa_forward_progress 1
		.amdhsa_inst_pref_size 255
		.amdhsa_round_robin_scheduling 0
		.amdhsa_exception_fp_ieee_invalid_op 0
		.amdhsa_exception_fp_denorm_src 0
		.amdhsa_exception_fp_ieee_div_zero 0
		.amdhsa_exception_fp_ieee_overflow 0
		.amdhsa_exception_fp_ieee_underflow 0
		.amdhsa_exception_fp_ieee_inexact 0
		.amdhsa_exception_int_div_zero 0
	.end_amdhsa_kernel
	.section	.text._ZN9rocsolver6v33100L18getri_kernel_smallILi51E19rocblas_complex_numIfEPKPS3_EEvT1_iilPiilS8_bb,"axG",@progbits,_ZN9rocsolver6v33100L18getri_kernel_smallILi51E19rocblas_complex_numIfEPKPS3_EEvT1_iilPiilS8_bb,comdat
.Lfunc_end114:
	.size	_ZN9rocsolver6v33100L18getri_kernel_smallILi51E19rocblas_complex_numIfEPKPS3_EEvT1_iilPiilS8_bb, .Lfunc_end114-_ZN9rocsolver6v33100L18getri_kernel_smallILi51E19rocblas_complex_numIfEPKPS3_EEvT1_iilPiilS8_bb
                                        ; -- End function
	.set _ZN9rocsolver6v33100L18getri_kernel_smallILi51E19rocblas_complex_numIfEPKPS3_EEvT1_iilPiilS8_bb.num_vgpr, 313
	.set _ZN9rocsolver6v33100L18getri_kernel_smallILi51E19rocblas_complex_numIfEPKPS3_EEvT1_iilPiilS8_bb.num_agpr, 0
	.set _ZN9rocsolver6v33100L18getri_kernel_smallILi51E19rocblas_complex_numIfEPKPS3_EEvT1_iilPiilS8_bb.numbered_sgpr, 19
	.set _ZN9rocsolver6v33100L18getri_kernel_smallILi51E19rocblas_complex_numIfEPKPS3_EEvT1_iilPiilS8_bb.num_named_barrier, 0
	.set _ZN9rocsolver6v33100L18getri_kernel_smallILi51E19rocblas_complex_numIfEPKPS3_EEvT1_iilPiilS8_bb.private_seg_size, 416
	.set _ZN9rocsolver6v33100L18getri_kernel_smallILi51E19rocblas_complex_numIfEPKPS3_EEvT1_iilPiilS8_bb.uses_vcc, 1
	.set _ZN9rocsolver6v33100L18getri_kernel_smallILi51E19rocblas_complex_numIfEPKPS3_EEvT1_iilPiilS8_bb.uses_flat_scratch, 1
	.set _ZN9rocsolver6v33100L18getri_kernel_smallILi51E19rocblas_complex_numIfEPKPS3_EEvT1_iilPiilS8_bb.has_dyn_sized_stack, 0
	.set _ZN9rocsolver6v33100L18getri_kernel_smallILi51E19rocblas_complex_numIfEPKPS3_EEvT1_iilPiilS8_bb.has_recursion, 0
	.set _ZN9rocsolver6v33100L18getri_kernel_smallILi51E19rocblas_complex_numIfEPKPS3_EEvT1_iilPiilS8_bb.has_indirect_call, 0
	.section	.AMDGPU.csdata,"",@progbits
; Kernel info:
; codeLenInByte = 97524
; TotalNumSgprs: 21
; NumVgprs: 313
; ScratchSize: 416
; MemoryBound: 0
; FloatMode: 240
; IeeeMode: 1
; LDSByteSize: 824 bytes/workgroup (compile time only)
; SGPRBlocks: 0
; VGPRBlocks: 19
; NumSGPRsForWavesPerEU: 21
; NumVGPRsForWavesPerEU: 313
; NamedBarCnt: 0
; Occupancy: 3
; WaveLimiterHint : 1
; COMPUTE_PGM_RSRC2:SCRATCH_EN: 1
; COMPUTE_PGM_RSRC2:USER_SGPR: 2
; COMPUTE_PGM_RSRC2:TRAP_HANDLER: 0
; COMPUTE_PGM_RSRC2:TGID_X_EN: 1
; COMPUTE_PGM_RSRC2:TGID_Y_EN: 0
; COMPUTE_PGM_RSRC2:TGID_Z_EN: 0
; COMPUTE_PGM_RSRC2:TIDIG_COMP_CNT: 0
	.section	.text._ZN9rocsolver6v33100L18getri_kernel_smallILi52E19rocblas_complex_numIfEPKPS3_EEvT1_iilPiilS8_bb,"axG",@progbits,_ZN9rocsolver6v33100L18getri_kernel_smallILi52E19rocblas_complex_numIfEPKPS3_EEvT1_iilPiilS8_bb,comdat
	.globl	_ZN9rocsolver6v33100L18getri_kernel_smallILi52E19rocblas_complex_numIfEPKPS3_EEvT1_iilPiilS8_bb ; -- Begin function _ZN9rocsolver6v33100L18getri_kernel_smallILi52E19rocblas_complex_numIfEPKPS3_EEvT1_iilPiilS8_bb
	.p2align	8
	.type	_ZN9rocsolver6v33100L18getri_kernel_smallILi52E19rocblas_complex_numIfEPKPS3_EEvT1_iilPiilS8_bb,@function
_ZN9rocsolver6v33100L18getri_kernel_smallILi52E19rocblas_complex_numIfEPKPS3_EEvT1_iilPiilS8_bb: ; @_ZN9rocsolver6v33100L18getri_kernel_smallILi52E19rocblas_complex_numIfEPKPS3_EEvT1_iilPiilS8_bb
; %bb.0:
	s_mov_b32 s2, exec_lo
	v_cmpx_gt_u32_e32 52, v0
	s_cbranch_execz .LBB115_222
; %bb.1:
	s_clause 0x1
	s_load_b32 s13, s[0:1], 0x38
	s_load_b64 s[2:3], s[0:1], 0x0
	s_getreg_b32 s6, hwreg(HW_REG_IB_STS2, 6, 4)
	s_wait_kmcnt 0x0
	s_bitcmp1_b32 s13, 8
	s_cselect_b32 s12, -1, 0
	s_bfe_u32 s4, ttmp6, 0x4000c
	s_and_b32 s5, ttmp6, 15
	s_add_co_i32 s4, s4, 1
	s_delay_alu instid0(SALU_CYCLE_1) | instskip(NEXT) | instid1(SALU_CYCLE_1)
	s_mul_i32 s4, ttmp9, s4
	s_add_co_i32 s5, s5, s4
	s_cmp_eq_u32 s6, 0
	s_cselect_b32 s10, ttmp9, s5
	s_load_b128 s[4:7], s[0:1], 0x28
	s_ashr_i32 s11, s10, 31
	s_delay_alu instid0(SALU_CYCLE_1) | instskip(NEXT) | instid1(SALU_CYCLE_1)
	s_lshl_b64 s[8:9], s[10:11], 3
	s_add_nc_u64 s[2:3], s[2:3], s[8:9]
	s_bfe_u32 s8, s13, 0x10008
	s_load_b64 s[2:3], s[2:3], 0x0
	s_cmp_eq_u32 s8, 0
                                        ; implicit-def: $sgpr8_sgpr9
	s_cbranch_scc1 .LBB115_3
; %bb.2:
	s_load_b96 s[16:18], s[0:1], 0x18
	s_wait_kmcnt 0x0
	s_mul_u64 s[4:5], s[4:5], s[10:11]
	s_delay_alu instid0(SALU_CYCLE_1) | instskip(SKIP_4) | instid1(SALU_CYCLE_1)
	s_lshl_b64 s[4:5], s[4:5], 2
	s_ashr_i32 s9, s18, 31
	s_mov_b32 s8, s18
	s_add_nc_u64 s[4:5], s[16:17], s[4:5]
	s_lshl_b64 s[8:9], s[8:9], 2
	s_add_nc_u64 s[8:9], s[4:5], s[8:9]
.LBB115_3:
	s_wait_kmcnt 0x0
	s_clause 0x1
	s_load_b64 s[4:5], s[0:1], 0x8
	s_load_b32 s13, s[0:1], 0x38
	v_dual_mov_b32 v107, 0 :: v_dual_lshlrev_b32 v106, 3, v0
	s_wait_kmcnt 0x0
	s_ashr_i32 s1, s4, 31
	s_mov_b32 s0, s4
	s_delay_alu instid0(SALU_CYCLE_1) | instskip(NEXT) | instid1(SALU_CYCLE_1)
	s_lshl_b64 s[0:1], s[0:1], 3
	s_add_nc_u64 s[2:3], s[2:3], s[0:1]
	s_ashr_i32 s1, s5, 31
	flat_load_b64 v[6:7], v0, s[2:3] scale_offset
	v_add_nc_u64_e32 v[2:3], s[2:3], v[106:107]
	s_mov_b32 s0, s5
	s_bitcmp0_b32 s13, 0
	s_delay_alu instid0(VALU_DEP_1)
	v_lshl_add_u64 v[4:5], s[0:1], 3, v[2:3]
	s_mov_b32 s1, -1
	s_wait_loadcnt_dscnt 0x0
	scratch_store_b64 off, v[6:7], off
	flat_load_b64 v[8:9], v[4:5]
	s_wait_xcnt 0x1
	v_add3_u32 v6, s5, s5, v0
	s_wait_loadcnt_dscnt 0x0
	scratch_store_b64 off, v[8:9], off offset:8
	flat_load_b64 v[10:11], v6, s[2:3] scale_offset
	s_wait_xcnt 0x1
	v_add_nc_u32_e32 v8, s5, v6
	s_wait_loadcnt_dscnt 0x0
	scratch_store_b64 off, v[10:11], off offset:16
	flat_load_b64 v[12:13], v8, s[2:3] scale_offset
	s_wait_xcnt 0x1
	v_add_nc_u32_e32 v10, s5, v8
	;; [unrolled: 5-line block ×49, first 2 shown]
	s_wait_loadcnt_dscnt 0x0
	scratch_store_b64 off, v[108:109], off offset:400
	flat_load_b64 v[108:109], v104, s[2:3] scale_offset
	s_wait_loadcnt_dscnt 0x0
	scratch_store_b64 off, v[108:109], off offset:408
	s_cbranch_scc1 .LBB115_220
; %bb.4:
	v_cmp_eq_u32_e64 s0, 0, v0
	s_wait_xcnt 0x0
	s_and_saveexec_b32 s1, s0
; %bb.5:
	v_mov_b32_e32 v1, 0
	ds_store_b32 v1, v1 offset:832
; %bb.6:
	s_or_b32 exec_lo, exec_lo, s1
	s_wait_storecnt_dscnt 0x0
	s_barrier_signal -1
	s_barrier_wait -1
	scratch_load_b64 v[108:109], v0, off scale_offset
	s_wait_loadcnt 0x0
	v_cmp_eq_f32_e32 vcc_lo, 0, v108
	v_cmp_eq_f32_e64 s1, 0, v109
	s_and_b32 s1, vcc_lo, s1
	s_delay_alu instid0(SALU_CYCLE_1)
	s_and_saveexec_b32 s4, s1
	s_cbranch_execz .LBB115_10
; %bb.7:
	v_mov_b32_e32 v1, 0
	s_mov_b32 s5, 0
	ds_load_b32 v7, v1 offset:832
	s_wait_dscnt 0x0
	v_readfirstlane_b32 s1, v7
	v_add_nc_u32_e32 v7, 1, v0
	s_cmp_eq_u32 s1, 0
	s_delay_alu instid0(VALU_DEP_1) | instskip(SKIP_1) | instid1(SALU_CYCLE_1)
	v_cmp_gt_i32_e32 vcc_lo, s1, v7
	s_cselect_b32 s13, -1, 0
	s_or_b32 s13, s13, vcc_lo
	s_delay_alu instid0(SALU_CYCLE_1)
	s_and_b32 exec_lo, exec_lo, s13
	s_cbranch_execz .LBB115_10
; %bb.8:
	v_mov_b32_e32 v9, s1
.LBB115_9:                              ; =>This Inner Loop Header: Depth=1
	ds_cmpstore_rtn_b32 v9, v1, v7, v9 offset:832
	s_wait_dscnt 0x0
	v_cmp_ne_u32_e32 vcc_lo, 0, v9
	v_cmp_le_i32_e64 s1, v9, v7
	s_and_b32 s1, vcc_lo, s1
	s_delay_alu instid0(SALU_CYCLE_1) | instskip(NEXT) | instid1(SALU_CYCLE_1)
	s_and_b32 s1, exec_lo, s1
	s_or_b32 s5, s1, s5
	s_delay_alu instid0(SALU_CYCLE_1)
	s_and_not1_b32 exec_lo, exec_lo, s5
	s_cbranch_execnz .LBB115_9
.LBB115_10:
	s_or_b32 exec_lo, exec_lo, s4
	v_mov_b32_e32 v1, 0
	s_barrier_signal -1
	s_barrier_wait -1
	ds_load_b32 v7, v1 offset:832
	s_and_saveexec_b32 s1, s0
	s_cbranch_execz .LBB115_12
; %bb.11:
	s_lshl_b64 s[4:5], s[10:11], 2
	s_delay_alu instid0(SALU_CYCLE_1)
	s_add_nc_u64 s[4:5], s[6:7], s[4:5]
	s_wait_dscnt 0x0
	global_store_b32 v1, v7, s[4:5]
.LBB115_12:
	s_wait_xcnt 0x0
	s_or_b32 exec_lo, exec_lo, s1
	s_wait_dscnt 0x0
	v_cmp_ne_u32_e32 vcc_lo, 0, v7
	s_mov_b32 s1, 0
	s_cbranch_vccnz .LBB115_220
; %bb.13:
	v_lshl_add_u32 v7, v0, 3, 0
                                        ; implicit-def: $vgpr111
                                        ; implicit-def: $vgpr112
	scratch_load_b64 v[108:109], v7, off
	s_wait_loadcnt 0x0
	v_cmp_ngt_f32_e64 s1, |v108|, |v109|
	s_wait_xcnt 0x0
	s_and_saveexec_b32 s4, s1
	s_delay_alu instid0(SALU_CYCLE_1)
	s_xor_b32 s1, exec_lo, s4
	s_cbranch_execz .LBB115_15
; %bb.14:
	v_div_scale_f32 v1, null, v109, v109, v108
	v_div_scale_f32 v13, vcc_lo, v108, v109, v108
	s_delay_alu instid0(VALU_DEP_2) | instskip(SKIP_1) | instid1(TRANS32_DEP_1)
	v_rcp_f32_e32 v9, v1
	v_nop
	v_fma_f32 v11, -v1, v9, 1.0
	s_delay_alu instid0(VALU_DEP_1) | instskip(NEXT) | instid1(VALU_DEP_1)
	v_fmac_f32_e32 v9, v11, v9
	v_mul_f32_e32 v11, v13, v9
	s_delay_alu instid0(VALU_DEP_1) | instskip(NEXT) | instid1(VALU_DEP_1)
	v_fma_f32 v15, -v1, v11, v13
	v_fmac_f32_e32 v11, v15, v9
	s_delay_alu instid0(VALU_DEP_1) | instskip(NEXT) | instid1(VALU_DEP_1)
	v_fma_f32 v1, -v1, v11, v13
	v_div_fmas_f32 v1, v1, v9, v11
	s_delay_alu instid0(VALU_DEP_1) | instskip(NEXT) | instid1(VALU_DEP_1)
	v_div_fixup_f32 v1, v1, v109, v108
	v_fmac_f32_e32 v109, v108, v1
	s_delay_alu instid0(VALU_DEP_1) | instskip(NEXT) | instid1(VALU_DEP_1)
	v_div_scale_f32 v9, null, v109, v109, -1.0
	v_rcp_f32_e32 v11, v9
	v_nop
	s_delay_alu instid0(TRANS32_DEP_1) | instskip(NEXT) | instid1(VALU_DEP_1)
	v_fma_f32 v13, -v9, v11, 1.0
	v_fmac_f32_e32 v11, v13, v11
	v_div_scale_f32 v13, vcc_lo, -1.0, v109, -1.0
	s_delay_alu instid0(VALU_DEP_1) | instskip(NEXT) | instid1(VALU_DEP_1)
	v_mul_f32_e32 v15, v13, v11
	v_fma_f32 v17, -v9, v15, v13
	s_delay_alu instid0(VALU_DEP_1) | instskip(NEXT) | instid1(VALU_DEP_1)
	v_fmac_f32_e32 v15, v17, v11
	v_fma_f32 v9, -v9, v15, v13
	s_delay_alu instid0(VALU_DEP_1) | instskip(NEXT) | instid1(VALU_DEP_1)
	v_div_fmas_f32 v9, v9, v11, v15
	v_div_fixup_f32 v111, v9, v109, -1.0
                                        ; implicit-def: $vgpr108_vgpr109
	s_delay_alu instid0(VALU_DEP_1) | instskip(NEXT) | instid1(VALU_DEP_1)
	v_mul_f32_e32 v112, v1, v111
	v_xor_b32_e32 v110, 0x80000000, v112
.LBB115_15:
	s_and_not1_saveexec_b32 s1, s1
	s_cbranch_execz .LBB115_17
; %bb.16:
	v_div_scale_f32 v1, null, v108, v108, v109
	v_div_scale_f32 v13, vcc_lo, v109, v108, v109
	s_delay_alu instid0(VALU_DEP_2) | instskip(SKIP_1) | instid1(TRANS32_DEP_1)
	v_rcp_f32_e32 v9, v1
	v_nop
	v_fma_f32 v11, -v1, v9, 1.0
	s_delay_alu instid0(VALU_DEP_1) | instskip(NEXT) | instid1(VALU_DEP_1)
	v_fmac_f32_e32 v9, v11, v9
	v_mul_f32_e32 v11, v13, v9
	s_delay_alu instid0(VALU_DEP_1) | instskip(NEXT) | instid1(VALU_DEP_1)
	v_fma_f32 v15, -v1, v11, v13
	v_fmac_f32_e32 v11, v15, v9
	s_delay_alu instid0(VALU_DEP_1) | instskip(NEXT) | instid1(VALU_DEP_1)
	v_fma_f32 v1, -v1, v11, v13
	v_div_fmas_f32 v1, v1, v9, v11
	s_delay_alu instid0(VALU_DEP_1) | instskip(NEXT) | instid1(VALU_DEP_1)
	v_div_fixup_f32 v1, v1, v108, v109
	v_fmac_f32_e32 v108, v109, v1
	s_delay_alu instid0(VALU_DEP_1) | instskip(SKIP_1) | instid1(VALU_DEP_2)
	v_div_scale_f32 v9, null, v108, v108, 1.0
	v_div_scale_f32 v15, vcc_lo, 1.0, v108, 1.0
	v_rcp_f32_e32 v11, v9
	v_nop
	s_delay_alu instid0(TRANS32_DEP_1) | instskip(NEXT) | instid1(VALU_DEP_1)
	v_fma_f32 v13, -v9, v11, 1.0
	v_fmac_f32_e32 v11, v13, v11
	s_delay_alu instid0(VALU_DEP_1) | instskip(NEXT) | instid1(VALU_DEP_1)
	v_mul_f32_e32 v13, v15, v11
	v_fma_f32 v17, -v9, v13, v15
	s_delay_alu instid0(VALU_DEP_1) | instskip(NEXT) | instid1(VALU_DEP_1)
	v_fmac_f32_e32 v13, v17, v11
	v_fma_f32 v9, -v9, v13, v15
	s_delay_alu instid0(VALU_DEP_1) | instskip(NEXT) | instid1(VALU_DEP_1)
	v_div_fmas_f32 v9, v9, v11, v13
	v_div_fixup_f32 v110, v9, v108, 1.0
	s_delay_alu instid0(VALU_DEP_1)
	v_xor_b32_e32 v112, 0x80000000, v110
	v_mul_f32_e64 v111, v1, -v110
.LBB115_17:
	s_or_b32 exec_lo, exec_lo, s1
	scratch_store_b64 v7, v[110:111], off
	scratch_load_b64 v[108:109], off, off offset:8
	v_xor_b32_e32 v113, 0x80000000, v111
	v_add_nc_u32_e32 v1, 0x1a0, v106
	s_wait_loadcnt 0x0
	ds_store_2addr_b64 v106, v[112:113], v[108:109] offset1:52
	s_wait_storecnt_dscnt 0x0
	s_barrier_signal -1
	s_barrier_wait -1
	s_wait_xcnt 0x0
	s_and_saveexec_b32 s1, s0
	s_cbranch_execz .LBB115_19
; %bb.18:
	scratch_load_b64 v[108:109], v7, off
	ds_load_b64 v[110:111], v1
	s_wait_loadcnt_dscnt 0x0
	v_pk_mul_f32 v[114:115], v[110:111], v[108:109] op_sel:[1,1] op_sel_hi:[0,1]
	s_delay_alu instid0(VALU_DEP_1) | instskip(SKIP_2) | instid1(VALU_DEP_3)
	v_pk_fma_f32 v[116:117], v[110:111], v[108:109], v[114:115] op_sel_hi:[1,0,1]
	v_mov_b32_e32 v9, 0
	v_pk_fma_f32 v[108:109], v[110:111], v[108:109], v[114:115] neg_lo:[0,0,1] neg_hi:[0,0,1]
	v_mov_b32_e32 v109, v117
	ds_load_b64 v[112:113], v9 offset:8
	v_pk_add_f32 v[108:109], v[108:109], 0 op_sel_hi:[1,0]
	s_wait_dscnt 0x0
	s_delay_alu instid0(VALU_DEP_1) | instskip(NEXT) | instid1(VALU_DEP_1)
	v_pk_mul_f32 v[110:111], v[108:109], v[112:113] op_sel:[1,1] op_sel_hi:[0,1]
	v_pk_fma_f32 v[114:115], v[108:109], v[112:113], v[110:111] op_sel_hi:[1,0,1]
	v_pk_fma_f32 v[108:109], v[108:109], v[112:113], v[110:111] neg_lo:[0,0,1] neg_hi:[0,0,1]
	s_delay_alu instid0(VALU_DEP_2)
	v_mov_b32_e32 v109, v115
	scratch_store_b64 off, v[108:109], off offset:8
.LBB115_19:
	s_wait_xcnt 0x0
	s_or_b32 exec_lo, exec_lo, s1
	s_wait_storecnt 0x0
	s_barrier_signal -1
	s_barrier_wait -1
	scratch_load_b64 v[108:109], off, off offset:16
	s_mov_b32 s1, exec_lo
	s_wait_loadcnt 0x0
	ds_store_b64 v1, v[108:109]
	s_wait_dscnt 0x0
	s_barrier_signal -1
	s_barrier_wait -1
	v_cmpx_gt_u32_e32 2, v0
	s_cbranch_execz .LBB115_23
; %bb.20:
	scratch_load_b64 v[108:109], v7, off
	ds_load_b64 v[110:111], v1
	s_wait_loadcnt_dscnt 0x0
	v_pk_mul_f32 v[112:113], v[110:111], v[108:109] op_sel:[1,1] op_sel_hi:[0,1]
	s_delay_alu instid0(VALU_DEP_1) | instskip(SKIP_1) | instid1(VALU_DEP_2)
	v_pk_fma_f32 v[114:115], v[110:111], v[108:109], v[112:113] op_sel_hi:[1,0,1]
	v_pk_fma_f32 v[108:109], v[110:111], v[108:109], v[112:113] neg_lo:[0,0,1] neg_hi:[0,0,1]
	v_mov_b32_e32 v109, v115
	s_delay_alu instid0(VALU_DEP_1)
	v_pk_add_f32 v[108:109], v[108:109], 0 op_sel_hi:[1,0]
	s_and_saveexec_b32 s4, s0
	s_cbranch_execz .LBB115_22
; %bb.21:
	scratch_load_b64 v[110:111], off, off offset:8
	v_mov_b32_e32 v7, 0
	ds_load_b64 v[112:113], v7 offset:424
	s_wait_loadcnt_dscnt 0x0
	v_pk_mul_f32 v[114:115], v[112:113], v[110:111] op_sel:[1,1] op_sel_hi:[0,1]
	s_delay_alu instid0(VALU_DEP_1) | instskip(SKIP_1) | instid1(VALU_DEP_2)
	v_pk_fma_f32 v[116:117], v[112:113], v[110:111], v[114:115] op_sel_hi:[1,0,1]
	v_pk_fma_f32 v[110:111], v[112:113], v[110:111], v[114:115] neg_lo:[0,0,1] neg_hi:[0,0,1]
	v_mov_b32_e32 v111, v117
	s_delay_alu instid0(VALU_DEP_1)
	v_pk_add_f32 v[108:109], v[108:109], v[110:111]
.LBB115_22:
	s_or_b32 exec_lo, exec_lo, s4
	v_mov_b32_e32 v7, 0
	ds_load_b64 v[110:111], v7 offset:16
	s_wait_dscnt 0x0
	v_pk_mul_f32 v[112:113], v[108:109], v[110:111] op_sel:[1,1] op_sel_hi:[0,1]
	s_delay_alu instid0(VALU_DEP_1) | instskip(SKIP_1) | instid1(VALU_DEP_2)
	v_pk_fma_f32 v[114:115], v[108:109], v[110:111], v[112:113] op_sel_hi:[1,0,1]
	v_pk_fma_f32 v[108:109], v[108:109], v[110:111], v[112:113] neg_lo:[0,0,1] neg_hi:[0,0,1]
	v_mov_b32_e32 v109, v115
	scratch_store_b64 off, v[108:109], off offset:16
.LBB115_23:
	s_wait_xcnt 0x0
	s_or_b32 exec_lo, exec_lo, s1
	s_wait_storecnt 0x0
	s_barrier_signal -1
	s_barrier_wait -1
	scratch_load_b64 v[108:109], off, off offset:24
	v_add_nc_u32_e32 v7, -1, v0
	s_mov_b32 s0, exec_lo
	s_wait_loadcnt 0x0
	ds_store_b64 v1, v[108:109]
	s_wait_dscnt 0x0
	s_barrier_signal -1
	s_barrier_wait -1
	v_cmpx_gt_u32_e32 3, v0
	s_cbranch_execz .LBB115_27
; %bb.24:
	v_dual_mov_b32 v108, 0 :: v_dual_add_nc_u32 v9, -1, v0
	v_add_nc_u32_e32 v11, 0x1a0, v106
	v_mov_b32_e32 v13, v106
	s_mov_b32 s1, 0
	s_delay_alu instid0(VALU_DEP_3)
	v_mov_b32_e32 v109, v108
.LBB115_25:                             ; =>This Inner Loop Header: Depth=1
	scratch_load_b64 v[110:111], v13, off
	ds_load_b64 v[112:113], v11
	s_wait_xcnt 0x0
	v_dual_add_nc_u32 v11, 8, v11 :: v_dual_add_nc_u32 v13, 8, v13
	s_wait_loadcnt_dscnt 0x0
	v_pk_mul_f32 v[114:115], v[112:113], v[110:111] op_sel:[1,1] op_sel_hi:[0,1]
	s_delay_alu instid0(VALU_DEP_1) | instskip(SKIP_2) | instid1(VALU_DEP_3)
	v_pk_fma_f32 v[116:117], v[112:113], v[110:111], v[114:115] op_sel_hi:[1,0,1]
	v_add_nc_u32_e32 v9, 1, v9
	v_pk_fma_f32 v[110:111], v[112:113], v[110:111], v[114:115] neg_lo:[0,0,1] neg_hi:[0,0,1]
	v_mov_b32_e32 v111, v117
	s_delay_alu instid0(VALU_DEP_3) | instskip(NEXT) | instid1(VALU_DEP_2)
	v_cmp_lt_u32_e32 vcc_lo, 1, v9
	v_pk_add_f32 v[108:109], v[108:109], v[110:111]
	s_or_b32 s1, vcc_lo, s1
	s_delay_alu instid0(SALU_CYCLE_1)
	s_and_not1_b32 exec_lo, exec_lo, s1
	s_cbranch_execnz .LBB115_25
; %bb.26:
	s_or_b32 exec_lo, exec_lo, s1
	v_mov_b32_e32 v9, 0
	ds_load_b64 v[110:111], v9 offset:24
	s_wait_dscnt 0x0
	v_pk_mul_f32 v[112:113], v[108:109], v[110:111] op_sel:[1,1] op_sel_hi:[0,1]
	s_delay_alu instid0(VALU_DEP_1) | instskip(SKIP_1) | instid1(VALU_DEP_2)
	v_pk_fma_f32 v[114:115], v[108:109], v[110:111], v[112:113] op_sel_hi:[1,0,1]
	v_pk_fma_f32 v[108:109], v[108:109], v[110:111], v[112:113] neg_lo:[0,0,1] neg_hi:[0,0,1]
	v_mov_b32_e32 v109, v115
	scratch_store_b64 off, v[108:109], off offset:24
.LBB115_27:
	s_wait_xcnt 0x0
	s_or_b32 exec_lo, exec_lo, s0
	s_wait_storecnt 0x0
	s_barrier_signal -1
	s_barrier_wait -1
	scratch_load_b64 v[108:109], off, off offset:32
	s_mov_b32 s0, exec_lo
	s_wait_loadcnt 0x0
	ds_store_b64 v1, v[108:109]
	s_wait_dscnt 0x0
	s_barrier_signal -1
	s_barrier_wait -1
	v_cmpx_gt_u32_e32 4, v0
	s_cbranch_execz .LBB115_31
; %bb.28:
	v_dual_mov_b32 v108, 0 :: v_dual_add_nc_u32 v9, -1, v0
	v_add_nc_u32_e32 v11, 0x1a0, v106
	v_mov_b32_e32 v13, v106
	s_mov_b32 s1, 0
	s_delay_alu instid0(VALU_DEP_3)
	v_mov_b32_e32 v109, v108
.LBB115_29:                             ; =>This Inner Loop Header: Depth=1
	scratch_load_b64 v[110:111], v13, off
	ds_load_b64 v[112:113], v11
	s_wait_xcnt 0x0
	v_dual_add_nc_u32 v11, 8, v11 :: v_dual_add_nc_u32 v13, 8, v13
	s_wait_loadcnt_dscnt 0x0
	v_pk_mul_f32 v[114:115], v[112:113], v[110:111] op_sel:[1,1] op_sel_hi:[0,1]
	s_delay_alu instid0(VALU_DEP_1) | instskip(SKIP_2) | instid1(VALU_DEP_3)
	v_pk_fma_f32 v[116:117], v[112:113], v[110:111], v[114:115] op_sel_hi:[1,0,1]
	v_add_nc_u32_e32 v9, 1, v9
	v_pk_fma_f32 v[110:111], v[112:113], v[110:111], v[114:115] neg_lo:[0,0,1] neg_hi:[0,0,1]
	v_mov_b32_e32 v111, v117
	s_delay_alu instid0(VALU_DEP_3) | instskip(NEXT) | instid1(VALU_DEP_2)
	v_cmp_lt_u32_e32 vcc_lo, 2, v9
	v_pk_add_f32 v[108:109], v[108:109], v[110:111]
	s_or_b32 s1, vcc_lo, s1
	s_delay_alu instid0(SALU_CYCLE_1)
	s_and_not1_b32 exec_lo, exec_lo, s1
	s_cbranch_execnz .LBB115_29
; %bb.30:
	s_or_b32 exec_lo, exec_lo, s1
	v_mov_b32_e32 v9, 0
	ds_load_b64 v[110:111], v9 offset:32
	s_wait_dscnt 0x0
	v_pk_mul_f32 v[112:113], v[108:109], v[110:111] op_sel:[1,1] op_sel_hi:[0,1]
	s_delay_alu instid0(VALU_DEP_1) | instskip(SKIP_1) | instid1(VALU_DEP_2)
	v_pk_fma_f32 v[114:115], v[108:109], v[110:111], v[112:113] op_sel_hi:[1,0,1]
	v_pk_fma_f32 v[108:109], v[108:109], v[110:111], v[112:113] neg_lo:[0,0,1] neg_hi:[0,0,1]
	v_mov_b32_e32 v109, v115
	scratch_store_b64 off, v[108:109], off offset:32
.LBB115_31:
	s_wait_xcnt 0x0
	s_or_b32 exec_lo, exec_lo, s0
	s_wait_storecnt 0x0
	s_barrier_signal -1
	s_barrier_wait -1
	scratch_load_b64 v[108:109], off, off offset:40
	s_mov_b32 s0, exec_lo
	s_wait_loadcnt 0x0
	ds_store_b64 v1, v[108:109]
	s_wait_dscnt 0x0
	s_barrier_signal -1
	s_barrier_wait -1
	v_cmpx_gt_u32_e32 5, v0
	s_cbranch_execz .LBB115_35
; %bb.32:
	v_dual_mov_b32 v108, 0 :: v_dual_add_nc_u32 v9, -1, v0
	v_add_nc_u32_e32 v11, 0x1a0, v106
	v_mov_b32_e32 v13, v106
	s_mov_b32 s1, 0
	s_delay_alu instid0(VALU_DEP_3)
	v_mov_b32_e32 v109, v108
.LBB115_33:                             ; =>This Inner Loop Header: Depth=1
	scratch_load_b64 v[110:111], v13, off
	ds_load_b64 v[112:113], v11
	s_wait_xcnt 0x0
	v_dual_add_nc_u32 v11, 8, v11 :: v_dual_add_nc_u32 v13, 8, v13
	s_wait_loadcnt_dscnt 0x0
	v_pk_mul_f32 v[114:115], v[112:113], v[110:111] op_sel:[1,1] op_sel_hi:[0,1]
	s_delay_alu instid0(VALU_DEP_1) | instskip(SKIP_2) | instid1(VALU_DEP_3)
	v_pk_fma_f32 v[116:117], v[112:113], v[110:111], v[114:115] op_sel_hi:[1,0,1]
	v_add_nc_u32_e32 v9, 1, v9
	v_pk_fma_f32 v[110:111], v[112:113], v[110:111], v[114:115] neg_lo:[0,0,1] neg_hi:[0,0,1]
	v_mov_b32_e32 v111, v117
	s_delay_alu instid0(VALU_DEP_3) | instskip(NEXT) | instid1(VALU_DEP_2)
	v_cmp_lt_u32_e32 vcc_lo, 3, v9
	v_pk_add_f32 v[108:109], v[108:109], v[110:111]
	s_or_b32 s1, vcc_lo, s1
	s_delay_alu instid0(SALU_CYCLE_1)
	s_and_not1_b32 exec_lo, exec_lo, s1
	s_cbranch_execnz .LBB115_33
; %bb.34:
	s_or_b32 exec_lo, exec_lo, s1
	v_mov_b32_e32 v9, 0
	ds_load_b64 v[110:111], v9 offset:40
	s_wait_dscnt 0x0
	v_pk_mul_f32 v[112:113], v[108:109], v[110:111] op_sel:[1,1] op_sel_hi:[0,1]
	s_delay_alu instid0(VALU_DEP_1) | instskip(SKIP_1) | instid1(VALU_DEP_2)
	v_pk_fma_f32 v[114:115], v[108:109], v[110:111], v[112:113] op_sel_hi:[1,0,1]
	v_pk_fma_f32 v[108:109], v[108:109], v[110:111], v[112:113] neg_lo:[0,0,1] neg_hi:[0,0,1]
	v_mov_b32_e32 v109, v115
	scratch_store_b64 off, v[108:109], off offset:40
.LBB115_35:
	s_wait_xcnt 0x0
	s_or_b32 exec_lo, exec_lo, s0
	s_wait_storecnt 0x0
	s_barrier_signal -1
	s_barrier_wait -1
	scratch_load_b64 v[108:109], off, off offset:48
	s_mov_b32 s0, exec_lo
	s_wait_loadcnt 0x0
	ds_store_b64 v1, v[108:109]
	s_wait_dscnt 0x0
	s_barrier_signal -1
	s_barrier_wait -1
	v_cmpx_gt_u32_e32 6, v0
	s_cbranch_execz .LBB115_39
; %bb.36:
	v_dual_mov_b32 v108, 0 :: v_dual_add_nc_u32 v9, -1, v0
	v_add_nc_u32_e32 v11, 0x1a0, v106
	v_mov_b32_e32 v13, v106
	s_mov_b32 s1, 0
	s_delay_alu instid0(VALU_DEP_3)
	v_mov_b32_e32 v109, v108
.LBB115_37:                             ; =>This Inner Loop Header: Depth=1
	scratch_load_b64 v[110:111], v13, off
	ds_load_b64 v[112:113], v11
	s_wait_xcnt 0x0
	v_dual_add_nc_u32 v11, 8, v11 :: v_dual_add_nc_u32 v13, 8, v13
	s_wait_loadcnt_dscnt 0x0
	v_pk_mul_f32 v[114:115], v[112:113], v[110:111] op_sel:[1,1] op_sel_hi:[0,1]
	s_delay_alu instid0(VALU_DEP_1) | instskip(SKIP_2) | instid1(VALU_DEP_3)
	v_pk_fma_f32 v[116:117], v[112:113], v[110:111], v[114:115] op_sel_hi:[1,0,1]
	v_add_nc_u32_e32 v9, 1, v9
	v_pk_fma_f32 v[110:111], v[112:113], v[110:111], v[114:115] neg_lo:[0,0,1] neg_hi:[0,0,1]
	v_mov_b32_e32 v111, v117
	s_delay_alu instid0(VALU_DEP_3) | instskip(NEXT) | instid1(VALU_DEP_2)
	v_cmp_lt_u32_e32 vcc_lo, 4, v9
	v_pk_add_f32 v[108:109], v[108:109], v[110:111]
	s_or_b32 s1, vcc_lo, s1
	s_delay_alu instid0(SALU_CYCLE_1)
	s_and_not1_b32 exec_lo, exec_lo, s1
	s_cbranch_execnz .LBB115_37
; %bb.38:
	s_or_b32 exec_lo, exec_lo, s1
	v_mov_b32_e32 v9, 0
	ds_load_b64 v[110:111], v9 offset:48
	s_wait_dscnt 0x0
	v_pk_mul_f32 v[112:113], v[108:109], v[110:111] op_sel:[1,1] op_sel_hi:[0,1]
	s_delay_alu instid0(VALU_DEP_1) | instskip(SKIP_1) | instid1(VALU_DEP_2)
	v_pk_fma_f32 v[114:115], v[108:109], v[110:111], v[112:113] op_sel_hi:[1,0,1]
	v_pk_fma_f32 v[108:109], v[108:109], v[110:111], v[112:113] neg_lo:[0,0,1] neg_hi:[0,0,1]
	v_mov_b32_e32 v109, v115
	scratch_store_b64 off, v[108:109], off offset:48
.LBB115_39:
	s_wait_xcnt 0x0
	s_or_b32 exec_lo, exec_lo, s0
	s_wait_storecnt 0x0
	s_barrier_signal -1
	s_barrier_wait -1
	scratch_load_b64 v[108:109], off, off offset:56
	s_mov_b32 s0, exec_lo
	s_wait_loadcnt 0x0
	ds_store_b64 v1, v[108:109]
	s_wait_dscnt 0x0
	s_barrier_signal -1
	s_barrier_wait -1
	v_cmpx_gt_u32_e32 7, v0
	s_cbranch_execz .LBB115_43
; %bb.40:
	v_dual_mov_b32 v108, 0 :: v_dual_add_nc_u32 v9, -1, v0
	v_add_nc_u32_e32 v11, 0x1a0, v106
	v_mov_b32_e32 v13, v106
	s_mov_b32 s1, 0
	s_delay_alu instid0(VALU_DEP_3)
	v_mov_b32_e32 v109, v108
.LBB115_41:                             ; =>This Inner Loop Header: Depth=1
	scratch_load_b64 v[110:111], v13, off
	ds_load_b64 v[112:113], v11
	s_wait_xcnt 0x0
	v_dual_add_nc_u32 v11, 8, v11 :: v_dual_add_nc_u32 v13, 8, v13
	s_wait_loadcnt_dscnt 0x0
	v_pk_mul_f32 v[114:115], v[112:113], v[110:111] op_sel:[1,1] op_sel_hi:[0,1]
	s_delay_alu instid0(VALU_DEP_1) | instskip(SKIP_2) | instid1(VALU_DEP_3)
	v_pk_fma_f32 v[116:117], v[112:113], v[110:111], v[114:115] op_sel_hi:[1,0,1]
	v_add_nc_u32_e32 v9, 1, v9
	v_pk_fma_f32 v[110:111], v[112:113], v[110:111], v[114:115] neg_lo:[0,0,1] neg_hi:[0,0,1]
	v_mov_b32_e32 v111, v117
	s_delay_alu instid0(VALU_DEP_3) | instskip(NEXT) | instid1(VALU_DEP_2)
	v_cmp_lt_u32_e32 vcc_lo, 5, v9
	v_pk_add_f32 v[108:109], v[108:109], v[110:111]
	s_or_b32 s1, vcc_lo, s1
	s_delay_alu instid0(SALU_CYCLE_1)
	s_and_not1_b32 exec_lo, exec_lo, s1
	s_cbranch_execnz .LBB115_41
; %bb.42:
	s_or_b32 exec_lo, exec_lo, s1
	v_mov_b32_e32 v9, 0
	ds_load_b64 v[110:111], v9 offset:56
	s_wait_dscnt 0x0
	v_pk_mul_f32 v[112:113], v[108:109], v[110:111] op_sel:[1,1] op_sel_hi:[0,1]
	s_delay_alu instid0(VALU_DEP_1) | instskip(SKIP_1) | instid1(VALU_DEP_2)
	v_pk_fma_f32 v[114:115], v[108:109], v[110:111], v[112:113] op_sel_hi:[1,0,1]
	v_pk_fma_f32 v[108:109], v[108:109], v[110:111], v[112:113] neg_lo:[0,0,1] neg_hi:[0,0,1]
	v_mov_b32_e32 v109, v115
	scratch_store_b64 off, v[108:109], off offset:56
.LBB115_43:
	s_wait_xcnt 0x0
	s_or_b32 exec_lo, exec_lo, s0
	s_wait_storecnt 0x0
	s_barrier_signal -1
	s_barrier_wait -1
	scratch_load_b64 v[108:109], off, off offset:64
	s_mov_b32 s0, exec_lo
	s_wait_loadcnt 0x0
	ds_store_b64 v1, v[108:109]
	s_wait_dscnt 0x0
	s_barrier_signal -1
	s_barrier_wait -1
	v_cmpx_gt_u32_e32 8, v0
	s_cbranch_execz .LBB115_47
; %bb.44:
	v_dual_mov_b32 v108, 0 :: v_dual_add_nc_u32 v9, -1, v0
	v_add_nc_u32_e32 v11, 0x1a0, v106
	v_mov_b32_e32 v13, v106
	s_mov_b32 s1, 0
	s_delay_alu instid0(VALU_DEP_3)
	v_mov_b32_e32 v109, v108
.LBB115_45:                             ; =>This Inner Loop Header: Depth=1
	scratch_load_b64 v[110:111], v13, off
	ds_load_b64 v[112:113], v11
	s_wait_xcnt 0x0
	v_dual_add_nc_u32 v11, 8, v11 :: v_dual_add_nc_u32 v13, 8, v13
	s_wait_loadcnt_dscnt 0x0
	v_pk_mul_f32 v[114:115], v[112:113], v[110:111] op_sel:[1,1] op_sel_hi:[0,1]
	s_delay_alu instid0(VALU_DEP_1) | instskip(SKIP_2) | instid1(VALU_DEP_3)
	v_pk_fma_f32 v[116:117], v[112:113], v[110:111], v[114:115] op_sel_hi:[1,0,1]
	v_add_nc_u32_e32 v9, 1, v9
	v_pk_fma_f32 v[110:111], v[112:113], v[110:111], v[114:115] neg_lo:[0,0,1] neg_hi:[0,0,1]
	v_mov_b32_e32 v111, v117
	s_delay_alu instid0(VALU_DEP_3) | instskip(NEXT) | instid1(VALU_DEP_2)
	v_cmp_lt_u32_e32 vcc_lo, 6, v9
	v_pk_add_f32 v[108:109], v[108:109], v[110:111]
	s_or_b32 s1, vcc_lo, s1
	s_delay_alu instid0(SALU_CYCLE_1)
	s_and_not1_b32 exec_lo, exec_lo, s1
	s_cbranch_execnz .LBB115_45
; %bb.46:
	s_or_b32 exec_lo, exec_lo, s1
	v_mov_b32_e32 v9, 0
	ds_load_b64 v[110:111], v9 offset:64
	s_wait_dscnt 0x0
	v_pk_mul_f32 v[112:113], v[108:109], v[110:111] op_sel:[1,1] op_sel_hi:[0,1]
	s_delay_alu instid0(VALU_DEP_1) | instskip(SKIP_1) | instid1(VALU_DEP_2)
	v_pk_fma_f32 v[114:115], v[108:109], v[110:111], v[112:113] op_sel_hi:[1,0,1]
	v_pk_fma_f32 v[108:109], v[108:109], v[110:111], v[112:113] neg_lo:[0,0,1] neg_hi:[0,0,1]
	v_mov_b32_e32 v109, v115
	scratch_store_b64 off, v[108:109], off offset:64
.LBB115_47:
	s_wait_xcnt 0x0
	s_or_b32 exec_lo, exec_lo, s0
	s_wait_storecnt 0x0
	s_barrier_signal -1
	s_barrier_wait -1
	scratch_load_b64 v[108:109], off, off offset:72
	s_mov_b32 s0, exec_lo
	s_wait_loadcnt 0x0
	ds_store_b64 v1, v[108:109]
	s_wait_dscnt 0x0
	s_barrier_signal -1
	s_barrier_wait -1
	v_cmpx_gt_u32_e32 9, v0
	s_cbranch_execz .LBB115_51
; %bb.48:
	v_dual_mov_b32 v108, 0 :: v_dual_add_nc_u32 v9, -1, v0
	v_add_nc_u32_e32 v11, 0x1a0, v106
	v_mov_b32_e32 v13, v106
	s_mov_b32 s1, 0
	s_delay_alu instid0(VALU_DEP_3)
	v_mov_b32_e32 v109, v108
.LBB115_49:                             ; =>This Inner Loop Header: Depth=1
	scratch_load_b64 v[110:111], v13, off
	ds_load_b64 v[112:113], v11
	s_wait_xcnt 0x0
	v_dual_add_nc_u32 v11, 8, v11 :: v_dual_add_nc_u32 v13, 8, v13
	s_wait_loadcnt_dscnt 0x0
	v_pk_mul_f32 v[114:115], v[112:113], v[110:111] op_sel:[1,1] op_sel_hi:[0,1]
	s_delay_alu instid0(VALU_DEP_1) | instskip(SKIP_2) | instid1(VALU_DEP_3)
	v_pk_fma_f32 v[116:117], v[112:113], v[110:111], v[114:115] op_sel_hi:[1,0,1]
	v_add_nc_u32_e32 v9, 1, v9
	v_pk_fma_f32 v[110:111], v[112:113], v[110:111], v[114:115] neg_lo:[0,0,1] neg_hi:[0,0,1]
	v_mov_b32_e32 v111, v117
	s_delay_alu instid0(VALU_DEP_3) | instskip(NEXT) | instid1(VALU_DEP_2)
	v_cmp_lt_u32_e32 vcc_lo, 7, v9
	v_pk_add_f32 v[108:109], v[108:109], v[110:111]
	s_or_b32 s1, vcc_lo, s1
	s_delay_alu instid0(SALU_CYCLE_1)
	s_and_not1_b32 exec_lo, exec_lo, s1
	s_cbranch_execnz .LBB115_49
; %bb.50:
	s_or_b32 exec_lo, exec_lo, s1
	v_mov_b32_e32 v9, 0
	ds_load_b64 v[110:111], v9 offset:72
	s_wait_dscnt 0x0
	v_pk_mul_f32 v[112:113], v[108:109], v[110:111] op_sel:[1,1] op_sel_hi:[0,1]
	s_delay_alu instid0(VALU_DEP_1) | instskip(SKIP_1) | instid1(VALU_DEP_2)
	v_pk_fma_f32 v[114:115], v[108:109], v[110:111], v[112:113] op_sel_hi:[1,0,1]
	v_pk_fma_f32 v[108:109], v[108:109], v[110:111], v[112:113] neg_lo:[0,0,1] neg_hi:[0,0,1]
	v_mov_b32_e32 v109, v115
	scratch_store_b64 off, v[108:109], off offset:72
.LBB115_51:
	s_wait_xcnt 0x0
	s_or_b32 exec_lo, exec_lo, s0
	s_wait_storecnt 0x0
	s_barrier_signal -1
	s_barrier_wait -1
	scratch_load_b64 v[108:109], off, off offset:80
	s_mov_b32 s0, exec_lo
	s_wait_loadcnt 0x0
	ds_store_b64 v1, v[108:109]
	s_wait_dscnt 0x0
	s_barrier_signal -1
	s_barrier_wait -1
	v_cmpx_gt_u32_e32 10, v0
	s_cbranch_execz .LBB115_55
; %bb.52:
	v_dual_mov_b32 v108, 0 :: v_dual_add_nc_u32 v9, -1, v0
	v_add_nc_u32_e32 v11, 0x1a0, v106
	v_mov_b32_e32 v13, v106
	s_mov_b32 s1, 0
	s_delay_alu instid0(VALU_DEP_3)
	v_mov_b32_e32 v109, v108
.LBB115_53:                             ; =>This Inner Loop Header: Depth=1
	scratch_load_b64 v[110:111], v13, off
	ds_load_b64 v[112:113], v11
	s_wait_xcnt 0x0
	v_dual_add_nc_u32 v11, 8, v11 :: v_dual_add_nc_u32 v13, 8, v13
	s_wait_loadcnt_dscnt 0x0
	v_pk_mul_f32 v[114:115], v[112:113], v[110:111] op_sel:[1,1] op_sel_hi:[0,1]
	s_delay_alu instid0(VALU_DEP_1) | instskip(SKIP_2) | instid1(VALU_DEP_3)
	v_pk_fma_f32 v[116:117], v[112:113], v[110:111], v[114:115] op_sel_hi:[1,0,1]
	v_add_nc_u32_e32 v9, 1, v9
	v_pk_fma_f32 v[110:111], v[112:113], v[110:111], v[114:115] neg_lo:[0,0,1] neg_hi:[0,0,1]
	v_mov_b32_e32 v111, v117
	s_delay_alu instid0(VALU_DEP_3) | instskip(NEXT) | instid1(VALU_DEP_2)
	v_cmp_lt_u32_e32 vcc_lo, 8, v9
	v_pk_add_f32 v[108:109], v[108:109], v[110:111]
	s_or_b32 s1, vcc_lo, s1
	s_delay_alu instid0(SALU_CYCLE_1)
	s_and_not1_b32 exec_lo, exec_lo, s1
	s_cbranch_execnz .LBB115_53
; %bb.54:
	s_or_b32 exec_lo, exec_lo, s1
	v_mov_b32_e32 v9, 0
	ds_load_b64 v[110:111], v9 offset:80
	s_wait_dscnt 0x0
	v_pk_mul_f32 v[112:113], v[108:109], v[110:111] op_sel:[1,1] op_sel_hi:[0,1]
	s_delay_alu instid0(VALU_DEP_1) | instskip(SKIP_1) | instid1(VALU_DEP_2)
	v_pk_fma_f32 v[114:115], v[108:109], v[110:111], v[112:113] op_sel_hi:[1,0,1]
	v_pk_fma_f32 v[108:109], v[108:109], v[110:111], v[112:113] neg_lo:[0,0,1] neg_hi:[0,0,1]
	v_mov_b32_e32 v109, v115
	scratch_store_b64 off, v[108:109], off offset:80
.LBB115_55:
	s_wait_xcnt 0x0
	s_or_b32 exec_lo, exec_lo, s0
	s_wait_storecnt 0x0
	s_barrier_signal -1
	s_barrier_wait -1
	scratch_load_b64 v[108:109], off, off offset:88
	s_mov_b32 s0, exec_lo
	s_wait_loadcnt 0x0
	ds_store_b64 v1, v[108:109]
	s_wait_dscnt 0x0
	s_barrier_signal -1
	s_barrier_wait -1
	v_cmpx_gt_u32_e32 11, v0
	s_cbranch_execz .LBB115_59
; %bb.56:
	v_dual_mov_b32 v108, 0 :: v_dual_add_nc_u32 v9, -1, v0
	v_add_nc_u32_e32 v11, 0x1a0, v106
	v_mov_b32_e32 v13, v106
	s_mov_b32 s1, 0
	s_delay_alu instid0(VALU_DEP_3)
	v_mov_b32_e32 v109, v108
.LBB115_57:                             ; =>This Inner Loop Header: Depth=1
	scratch_load_b64 v[110:111], v13, off
	ds_load_b64 v[112:113], v11
	s_wait_xcnt 0x0
	v_dual_add_nc_u32 v11, 8, v11 :: v_dual_add_nc_u32 v13, 8, v13
	s_wait_loadcnt_dscnt 0x0
	v_pk_mul_f32 v[114:115], v[112:113], v[110:111] op_sel:[1,1] op_sel_hi:[0,1]
	s_delay_alu instid0(VALU_DEP_1) | instskip(SKIP_2) | instid1(VALU_DEP_3)
	v_pk_fma_f32 v[116:117], v[112:113], v[110:111], v[114:115] op_sel_hi:[1,0,1]
	v_add_nc_u32_e32 v9, 1, v9
	v_pk_fma_f32 v[110:111], v[112:113], v[110:111], v[114:115] neg_lo:[0,0,1] neg_hi:[0,0,1]
	v_mov_b32_e32 v111, v117
	s_delay_alu instid0(VALU_DEP_3) | instskip(NEXT) | instid1(VALU_DEP_2)
	v_cmp_lt_u32_e32 vcc_lo, 9, v9
	v_pk_add_f32 v[108:109], v[108:109], v[110:111]
	s_or_b32 s1, vcc_lo, s1
	s_delay_alu instid0(SALU_CYCLE_1)
	s_and_not1_b32 exec_lo, exec_lo, s1
	s_cbranch_execnz .LBB115_57
; %bb.58:
	s_or_b32 exec_lo, exec_lo, s1
	v_mov_b32_e32 v9, 0
	ds_load_b64 v[110:111], v9 offset:88
	s_wait_dscnt 0x0
	v_pk_mul_f32 v[112:113], v[108:109], v[110:111] op_sel:[1,1] op_sel_hi:[0,1]
	s_delay_alu instid0(VALU_DEP_1) | instskip(SKIP_1) | instid1(VALU_DEP_2)
	v_pk_fma_f32 v[114:115], v[108:109], v[110:111], v[112:113] op_sel_hi:[1,0,1]
	v_pk_fma_f32 v[108:109], v[108:109], v[110:111], v[112:113] neg_lo:[0,0,1] neg_hi:[0,0,1]
	v_mov_b32_e32 v109, v115
	scratch_store_b64 off, v[108:109], off offset:88
.LBB115_59:
	s_wait_xcnt 0x0
	s_or_b32 exec_lo, exec_lo, s0
	s_wait_storecnt 0x0
	s_barrier_signal -1
	s_barrier_wait -1
	scratch_load_b64 v[108:109], off, off offset:96
	s_mov_b32 s0, exec_lo
	s_wait_loadcnt 0x0
	ds_store_b64 v1, v[108:109]
	s_wait_dscnt 0x0
	s_barrier_signal -1
	s_barrier_wait -1
	v_cmpx_gt_u32_e32 12, v0
	s_cbranch_execz .LBB115_63
; %bb.60:
	v_dual_mov_b32 v108, 0 :: v_dual_add_nc_u32 v9, -1, v0
	v_add_nc_u32_e32 v11, 0x1a0, v106
	v_mov_b32_e32 v13, v106
	s_mov_b32 s1, 0
	s_delay_alu instid0(VALU_DEP_3)
	v_mov_b32_e32 v109, v108
.LBB115_61:                             ; =>This Inner Loop Header: Depth=1
	scratch_load_b64 v[110:111], v13, off
	ds_load_b64 v[112:113], v11
	s_wait_xcnt 0x0
	v_dual_add_nc_u32 v11, 8, v11 :: v_dual_add_nc_u32 v13, 8, v13
	s_wait_loadcnt_dscnt 0x0
	v_pk_mul_f32 v[114:115], v[112:113], v[110:111] op_sel:[1,1] op_sel_hi:[0,1]
	s_delay_alu instid0(VALU_DEP_1) | instskip(SKIP_2) | instid1(VALU_DEP_3)
	v_pk_fma_f32 v[116:117], v[112:113], v[110:111], v[114:115] op_sel_hi:[1,0,1]
	v_add_nc_u32_e32 v9, 1, v9
	v_pk_fma_f32 v[110:111], v[112:113], v[110:111], v[114:115] neg_lo:[0,0,1] neg_hi:[0,0,1]
	v_mov_b32_e32 v111, v117
	s_delay_alu instid0(VALU_DEP_3) | instskip(NEXT) | instid1(VALU_DEP_2)
	v_cmp_lt_u32_e32 vcc_lo, 10, v9
	v_pk_add_f32 v[108:109], v[108:109], v[110:111]
	s_or_b32 s1, vcc_lo, s1
	s_delay_alu instid0(SALU_CYCLE_1)
	s_and_not1_b32 exec_lo, exec_lo, s1
	s_cbranch_execnz .LBB115_61
; %bb.62:
	s_or_b32 exec_lo, exec_lo, s1
	v_mov_b32_e32 v9, 0
	ds_load_b64 v[110:111], v9 offset:96
	s_wait_dscnt 0x0
	v_pk_mul_f32 v[112:113], v[108:109], v[110:111] op_sel:[1,1] op_sel_hi:[0,1]
	s_delay_alu instid0(VALU_DEP_1) | instskip(SKIP_1) | instid1(VALU_DEP_2)
	v_pk_fma_f32 v[114:115], v[108:109], v[110:111], v[112:113] op_sel_hi:[1,0,1]
	v_pk_fma_f32 v[108:109], v[108:109], v[110:111], v[112:113] neg_lo:[0,0,1] neg_hi:[0,0,1]
	v_mov_b32_e32 v109, v115
	scratch_store_b64 off, v[108:109], off offset:96
.LBB115_63:
	s_wait_xcnt 0x0
	s_or_b32 exec_lo, exec_lo, s0
	s_wait_storecnt 0x0
	s_barrier_signal -1
	s_barrier_wait -1
	scratch_load_b64 v[108:109], off, off offset:104
	s_mov_b32 s0, exec_lo
	s_wait_loadcnt 0x0
	ds_store_b64 v1, v[108:109]
	s_wait_dscnt 0x0
	s_barrier_signal -1
	s_barrier_wait -1
	v_cmpx_gt_u32_e32 13, v0
	s_cbranch_execz .LBB115_67
; %bb.64:
	v_dual_mov_b32 v108, 0 :: v_dual_add_nc_u32 v9, -1, v0
	v_add_nc_u32_e32 v11, 0x1a0, v106
	v_mov_b32_e32 v13, v106
	s_mov_b32 s1, 0
	s_delay_alu instid0(VALU_DEP_3)
	v_mov_b32_e32 v109, v108
.LBB115_65:                             ; =>This Inner Loop Header: Depth=1
	scratch_load_b64 v[110:111], v13, off
	ds_load_b64 v[112:113], v11
	s_wait_xcnt 0x0
	v_dual_add_nc_u32 v11, 8, v11 :: v_dual_add_nc_u32 v13, 8, v13
	s_wait_loadcnt_dscnt 0x0
	v_pk_mul_f32 v[114:115], v[112:113], v[110:111] op_sel:[1,1] op_sel_hi:[0,1]
	s_delay_alu instid0(VALU_DEP_1) | instskip(SKIP_2) | instid1(VALU_DEP_3)
	v_pk_fma_f32 v[116:117], v[112:113], v[110:111], v[114:115] op_sel_hi:[1,0,1]
	v_add_nc_u32_e32 v9, 1, v9
	v_pk_fma_f32 v[110:111], v[112:113], v[110:111], v[114:115] neg_lo:[0,0,1] neg_hi:[0,0,1]
	v_mov_b32_e32 v111, v117
	s_delay_alu instid0(VALU_DEP_3) | instskip(NEXT) | instid1(VALU_DEP_2)
	v_cmp_lt_u32_e32 vcc_lo, 11, v9
	v_pk_add_f32 v[108:109], v[108:109], v[110:111]
	s_or_b32 s1, vcc_lo, s1
	s_delay_alu instid0(SALU_CYCLE_1)
	s_and_not1_b32 exec_lo, exec_lo, s1
	s_cbranch_execnz .LBB115_65
; %bb.66:
	s_or_b32 exec_lo, exec_lo, s1
	v_mov_b32_e32 v9, 0
	ds_load_b64 v[110:111], v9 offset:104
	s_wait_dscnt 0x0
	v_pk_mul_f32 v[112:113], v[108:109], v[110:111] op_sel:[1,1] op_sel_hi:[0,1]
	s_delay_alu instid0(VALU_DEP_1) | instskip(SKIP_1) | instid1(VALU_DEP_2)
	v_pk_fma_f32 v[114:115], v[108:109], v[110:111], v[112:113] op_sel_hi:[1,0,1]
	v_pk_fma_f32 v[108:109], v[108:109], v[110:111], v[112:113] neg_lo:[0,0,1] neg_hi:[0,0,1]
	v_mov_b32_e32 v109, v115
	scratch_store_b64 off, v[108:109], off offset:104
.LBB115_67:
	s_wait_xcnt 0x0
	s_or_b32 exec_lo, exec_lo, s0
	s_wait_storecnt 0x0
	s_barrier_signal -1
	s_barrier_wait -1
	scratch_load_b64 v[108:109], off, off offset:112
	s_mov_b32 s0, exec_lo
	s_wait_loadcnt 0x0
	ds_store_b64 v1, v[108:109]
	s_wait_dscnt 0x0
	s_barrier_signal -1
	s_barrier_wait -1
	v_cmpx_gt_u32_e32 14, v0
	s_cbranch_execz .LBB115_71
; %bb.68:
	v_dual_mov_b32 v108, 0 :: v_dual_add_nc_u32 v9, -1, v0
	v_add_nc_u32_e32 v11, 0x1a0, v106
	v_mov_b32_e32 v13, v106
	s_mov_b32 s1, 0
	s_delay_alu instid0(VALU_DEP_3)
	v_mov_b32_e32 v109, v108
.LBB115_69:                             ; =>This Inner Loop Header: Depth=1
	scratch_load_b64 v[110:111], v13, off
	ds_load_b64 v[112:113], v11
	s_wait_xcnt 0x0
	v_dual_add_nc_u32 v11, 8, v11 :: v_dual_add_nc_u32 v13, 8, v13
	s_wait_loadcnt_dscnt 0x0
	v_pk_mul_f32 v[114:115], v[112:113], v[110:111] op_sel:[1,1] op_sel_hi:[0,1]
	s_delay_alu instid0(VALU_DEP_1) | instskip(SKIP_2) | instid1(VALU_DEP_3)
	v_pk_fma_f32 v[116:117], v[112:113], v[110:111], v[114:115] op_sel_hi:[1,0,1]
	v_add_nc_u32_e32 v9, 1, v9
	v_pk_fma_f32 v[110:111], v[112:113], v[110:111], v[114:115] neg_lo:[0,0,1] neg_hi:[0,0,1]
	v_mov_b32_e32 v111, v117
	s_delay_alu instid0(VALU_DEP_3) | instskip(NEXT) | instid1(VALU_DEP_2)
	v_cmp_lt_u32_e32 vcc_lo, 12, v9
	v_pk_add_f32 v[108:109], v[108:109], v[110:111]
	s_or_b32 s1, vcc_lo, s1
	s_delay_alu instid0(SALU_CYCLE_1)
	s_and_not1_b32 exec_lo, exec_lo, s1
	s_cbranch_execnz .LBB115_69
; %bb.70:
	s_or_b32 exec_lo, exec_lo, s1
	v_mov_b32_e32 v9, 0
	ds_load_b64 v[110:111], v9 offset:112
	s_wait_dscnt 0x0
	v_pk_mul_f32 v[112:113], v[108:109], v[110:111] op_sel:[1,1] op_sel_hi:[0,1]
	s_delay_alu instid0(VALU_DEP_1) | instskip(SKIP_1) | instid1(VALU_DEP_2)
	v_pk_fma_f32 v[114:115], v[108:109], v[110:111], v[112:113] op_sel_hi:[1,0,1]
	v_pk_fma_f32 v[108:109], v[108:109], v[110:111], v[112:113] neg_lo:[0,0,1] neg_hi:[0,0,1]
	v_mov_b32_e32 v109, v115
	scratch_store_b64 off, v[108:109], off offset:112
.LBB115_71:
	s_wait_xcnt 0x0
	s_or_b32 exec_lo, exec_lo, s0
	s_wait_storecnt 0x0
	s_barrier_signal -1
	s_barrier_wait -1
	scratch_load_b64 v[108:109], off, off offset:120
	s_mov_b32 s0, exec_lo
	s_wait_loadcnt 0x0
	ds_store_b64 v1, v[108:109]
	s_wait_dscnt 0x0
	s_barrier_signal -1
	s_barrier_wait -1
	v_cmpx_gt_u32_e32 15, v0
	s_cbranch_execz .LBB115_75
; %bb.72:
	v_dual_mov_b32 v108, 0 :: v_dual_add_nc_u32 v9, -1, v0
	v_add_nc_u32_e32 v11, 0x1a0, v106
	v_mov_b32_e32 v13, v106
	s_mov_b32 s1, 0
	s_delay_alu instid0(VALU_DEP_3)
	v_mov_b32_e32 v109, v108
.LBB115_73:                             ; =>This Inner Loop Header: Depth=1
	scratch_load_b64 v[110:111], v13, off
	ds_load_b64 v[112:113], v11
	s_wait_xcnt 0x0
	v_dual_add_nc_u32 v11, 8, v11 :: v_dual_add_nc_u32 v13, 8, v13
	s_wait_loadcnt_dscnt 0x0
	v_pk_mul_f32 v[114:115], v[112:113], v[110:111] op_sel:[1,1] op_sel_hi:[0,1]
	s_delay_alu instid0(VALU_DEP_1) | instskip(SKIP_2) | instid1(VALU_DEP_3)
	v_pk_fma_f32 v[116:117], v[112:113], v[110:111], v[114:115] op_sel_hi:[1,0,1]
	v_add_nc_u32_e32 v9, 1, v9
	v_pk_fma_f32 v[110:111], v[112:113], v[110:111], v[114:115] neg_lo:[0,0,1] neg_hi:[0,0,1]
	v_mov_b32_e32 v111, v117
	s_delay_alu instid0(VALU_DEP_3) | instskip(NEXT) | instid1(VALU_DEP_2)
	v_cmp_lt_u32_e32 vcc_lo, 13, v9
	v_pk_add_f32 v[108:109], v[108:109], v[110:111]
	s_or_b32 s1, vcc_lo, s1
	s_delay_alu instid0(SALU_CYCLE_1)
	s_and_not1_b32 exec_lo, exec_lo, s1
	s_cbranch_execnz .LBB115_73
; %bb.74:
	s_or_b32 exec_lo, exec_lo, s1
	v_mov_b32_e32 v9, 0
	ds_load_b64 v[110:111], v9 offset:120
	s_wait_dscnt 0x0
	v_pk_mul_f32 v[112:113], v[108:109], v[110:111] op_sel:[1,1] op_sel_hi:[0,1]
	s_delay_alu instid0(VALU_DEP_1) | instskip(SKIP_1) | instid1(VALU_DEP_2)
	v_pk_fma_f32 v[114:115], v[108:109], v[110:111], v[112:113] op_sel_hi:[1,0,1]
	v_pk_fma_f32 v[108:109], v[108:109], v[110:111], v[112:113] neg_lo:[0,0,1] neg_hi:[0,0,1]
	v_mov_b32_e32 v109, v115
	scratch_store_b64 off, v[108:109], off offset:120
.LBB115_75:
	s_wait_xcnt 0x0
	s_or_b32 exec_lo, exec_lo, s0
	s_wait_storecnt 0x0
	s_barrier_signal -1
	s_barrier_wait -1
	scratch_load_b64 v[108:109], off, off offset:128
	s_mov_b32 s0, exec_lo
	s_wait_loadcnt 0x0
	ds_store_b64 v1, v[108:109]
	s_wait_dscnt 0x0
	s_barrier_signal -1
	s_barrier_wait -1
	v_cmpx_gt_u32_e32 16, v0
	s_cbranch_execz .LBB115_79
; %bb.76:
	v_dual_mov_b32 v108, 0 :: v_dual_add_nc_u32 v9, -1, v0
	v_add_nc_u32_e32 v11, 0x1a0, v106
	v_mov_b32_e32 v13, v106
	s_mov_b32 s1, 0
	s_delay_alu instid0(VALU_DEP_3)
	v_mov_b32_e32 v109, v108
.LBB115_77:                             ; =>This Inner Loop Header: Depth=1
	scratch_load_b64 v[110:111], v13, off
	ds_load_b64 v[112:113], v11
	s_wait_xcnt 0x0
	v_dual_add_nc_u32 v11, 8, v11 :: v_dual_add_nc_u32 v13, 8, v13
	s_wait_loadcnt_dscnt 0x0
	v_pk_mul_f32 v[114:115], v[112:113], v[110:111] op_sel:[1,1] op_sel_hi:[0,1]
	s_delay_alu instid0(VALU_DEP_1) | instskip(SKIP_2) | instid1(VALU_DEP_3)
	v_pk_fma_f32 v[116:117], v[112:113], v[110:111], v[114:115] op_sel_hi:[1,0,1]
	v_add_nc_u32_e32 v9, 1, v9
	v_pk_fma_f32 v[110:111], v[112:113], v[110:111], v[114:115] neg_lo:[0,0,1] neg_hi:[0,0,1]
	v_mov_b32_e32 v111, v117
	s_delay_alu instid0(VALU_DEP_3) | instskip(NEXT) | instid1(VALU_DEP_2)
	v_cmp_lt_u32_e32 vcc_lo, 14, v9
	v_pk_add_f32 v[108:109], v[108:109], v[110:111]
	s_or_b32 s1, vcc_lo, s1
	s_delay_alu instid0(SALU_CYCLE_1)
	s_and_not1_b32 exec_lo, exec_lo, s1
	s_cbranch_execnz .LBB115_77
; %bb.78:
	s_or_b32 exec_lo, exec_lo, s1
	v_mov_b32_e32 v9, 0
	ds_load_b64 v[110:111], v9 offset:128
	s_wait_dscnt 0x0
	v_pk_mul_f32 v[112:113], v[108:109], v[110:111] op_sel:[1,1] op_sel_hi:[0,1]
	s_delay_alu instid0(VALU_DEP_1) | instskip(SKIP_1) | instid1(VALU_DEP_2)
	v_pk_fma_f32 v[114:115], v[108:109], v[110:111], v[112:113] op_sel_hi:[1,0,1]
	v_pk_fma_f32 v[108:109], v[108:109], v[110:111], v[112:113] neg_lo:[0,0,1] neg_hi:[0,0,1]
	v_mov_b32_e32 v109, v115
	scratch_store_b64 off, v[108:109], off offset:128
.LBB115_79:
	s_wait_xcnt 0x0
	s_or_b32 exec_lo, exec_lo, s0
	s_wait_storecnt 0x0
	s_barrier_signal -1
	s_barrier_wait -1
	scratch_load_b64 v[108:109], off, off offset:136
	s_mov_b32 s0, exec_lo
	s_wait_loadcnt 0x0
	ds_store_b64 v1, v[108:109]
	s_wait_dscnt 0x0
	s_barrier_signal -1
	s_barrier_wait -1
	v_cmpx_gt_u32_e32 17, v0
	s_cbranch_execz .LBB115_83
; %bb.80:
	v_dual_mov_b32 v108, 0 :: v_dual_add_nc_u32 v9, -1, v0
	v_add_nc_u32_e32 v11, 0x1a0, v106
	v_mov_b32_e32 v13, v106
	s_mov_b32 s1, 0
	s_delay_alu instid0(VALU_DEP_3)
	v_mov_b32_e32 v109, v108
.LBB115_81:                             ; =>This Inner Loop Header: Depth=1
	scratch_load_b64 v[110:111], v13, off
	ds_load_b64 v[112:113], v11
	s_wait_xcnt 0x0
	v_dual_add_nc_u32 v11, 8, v11 :: v_dual_add_nc_u32 v13, 8, v13
	s_wait_loadcnt_dscnt 0x0
	v_pk_mul_f32 v[114:115], v[112:113], v[110:111] op_sel:[1,1] op_sel_hi:[0,1]
	s_delay_alu instid0(VALU_DEP_1) | instskip(SKIP_2) | instid1(VALU_DEP_3)
	v_pk_fma_f32 v[116:117], v[112:113], v[110:111], v[114:115] op_sel_hi:[1,0,1]
	v_add_nc_u32_e32 v9, 1, v9
	v_pk_fma_f32 v[110:111], v[112:113], v[110:111], v[114:115] neg_lo:[0,0,1] neg_hi:[0,0,1]
	v_mov_b32_e32 v111, v117
	s_delay_alu instid0(VALU_DEP_3) | instskip(NEXT) | instid1(VALU_DEP_2)
	v_cmp_lt_u32_e32 vcc_lo, 15, v9
	v_pk_add_f32 v[108:109], v[108:109], v[110:111]
	s_or_b32 s1, vcc_lo, s1
	s_delay_alu instid0(SALU_CYCLE_1)
	s_and_not1_b32 exec_lo, exec_lo, s1
	s_cbranch_execnz .LBB115_81
; %bb.82:
	s_or_b32 exec_lo, exec_lo, s1
	v_mov_b32_e32 v9, 0
	ds_load_b64 v[110:111], v9 offset:136
	s_wait_dscnt 0x0
	v_pk_mul_f32 v[112:113], v[108:109], v[110:111] op_sel:[1,1] op_sel_hi:[0,1]
	s_delay_alu instid0(VALU_DEP_1) | instskip(SKIP_1) | instid1(VALU_DEP_2)
	v_pk_fma_f32 v[114:115], v[108:109], v[110:111], v[112:113] op_sel_hi:[1,0,1]
	v_pk_fma_f32 v[108:109], v[108:109], v[110:111], v[112:113] neg_lo:[0,0,1] neg_hi:[0,0,1]
	v_mov_b32_e32 v109, v115
	scratch_store_b64 off, v[108:109], off offset:136
.LBB115_83:
	s_wait_xcnt 0x0
	s_or_b32 exec_lo, exec_lo, s0
	s_wait_storecnt 0x0
	s_barrier_signal -1
	s_barrier_wait -1
	scratch_load_b64 v[108:109], off, off offset:144
	s_mov_b32 s0, exec_lo
	s_wait_loadcnt 0x0
	ds_store_b64 v1, v[108:109]
	s_wait_dscnt 0x0
	s_barrier_signal -1
	s_barrier_wait -1
	v_cmpx_gt_u32_e32 18, v0
	s_cbranch_execz .LBB115_87
; %bb.84:
	v_dual_mov_b32 v108, 0 :: v_dual_add_nc_u32 v9, -1, v0
	v_add_nc_u32_e32 v11, 0x1a0, v106
	v_mov_b32_e32 v13, v106
	s_mov_b32 s1, 0
	s_delay_alu instid0(VALU_DEP_3)
	v_mov_b32_e32 v109, v108
.LBB115_85:                             ; =>This Inner Loop Header: Depth=1
	scratch_load_b64 v[110:111], v13, off
	ds_load_b64 v[112:113], v11
	s_wait_xcnt 0x0
	v_dual_add_nc_u32 v11, 8, v11 :: v_dual_add_nc_u32 v13, 8, v13
	s_wait_loadcnt_dscnt 0x0
	v_pk_mul_f32 v[114:115], v[112:113], v[110:111] op_sel:[1,1] op_sel_hi:[0,1]
	s_delay_alu instid0(VALU_DEP_1) | instskip(SKIP_2) | instid1(VALU_DEP_3)
	v_pk_fma_f32 v[116:117], v[112:113], v[110:111], v[114:115] op_sel_hi:[1,0,1]
	v_add_nc_u32_e32 v9, 1, v9
	v_pk_fma_f32 v[110:111], v[112:113], v[110:111], v[114:115] neg_lo:[0,0,1] neg_hi:[0,0,1]
	v_mov_b32_e32 v111, v117
	s_delay_alu instid0(VALU_DEP_3) | instskip(NEXT) | instid1(VALU_DEP_2)
	v_cmp_lt_u32_e32 vcc_lo, 16, v9
	v_pk_add_f32 v[108:109], v[108:109], v[110:111]
	s_or_b32 s1, vcc_lo, s1
	s_delay_alu instid0(SALU_CYCLE_1)
	s_and_not1_b32 exec_lo, exec_lo, s1
	s_cbranch_execnz .LBB115_85
; %bb.86:
	s_or_b32 exec_lo, exec_lo, s1
	v_mov_b32_e32 v9, 0
	ds_load_b64 v[110:111], v9 offset:144
	s_wait_dscnt 0x0
	v_pk_mul_f32 v[112:113], v[108:109], v[110:111] op_sel:[1,1] op_sel_hi:[0,1]
	s_delay_alu instid0(VALU_DEP_1) | instskip(SKIP_1) | instid1(VALU_DEP_2)
	v_pk_fma_f32 v[114:115], v[108:109], v[110:111], v[112:113] op_sel_hi:[1,0,1]
	v_pk_fma_f32 v[108:109], v[108:109], v[110:111], v[112:113] neg_lo:[0,0,1] neg_hi:[0,0,1]
	v_mov_b32_e32 v109, v115
	scratch_store_b64 off, v[108:109], off offset:144
.LBB115_87:
	s_wait_xcnt 0x0
	s_or_b32 exec_lo, exec_lo, s0
	s_wait_storecnt 0x0
	s_barrier_signal -1
	s_barrier_wait -1
	scratch_load_b64 v[108:109], off, off offset:152
	s_mov_b32 s0, exec_lo
	s_wait_loadcnt 0x0
	ds_store_b64 v1, v[108:109]
	s_wait_dscnt 0x0
	s_barrier_signal -1
	s_barrier_wait -1
	v_cmpx_gt_u32_e32 19, v0
	s_cbranch_execz .LBB115_91
; %bb.88:
	v_dual_mov_b32 v108, 0 :: v_dual_add_nc_u32 v9, -1, v0
	v_add_nc_u32_e32 v11, 0x1a0, v106
	v_mov_b32_e32 v13, v106
	s_mov_b32 s1, 0
	s_delay_alu instid0(VALU_DEP_3)
	v_mov_b32_e32 v109, v108
.LBB115_89:                             ; =>This Inner Loop Header: Depth=1
	scratch_load_b64 v[110:111], v13, off
	ds_load_b64 v[112:113], v11
	s_wait_xcnt 0x0
	v_dual_add_nc_u32 v11, 8, v11 :: v_dual_add_nc_u32 v13, 8, v13
	s_wait_loadcnt_dscnt 0x0
	v_pk_mul_f32 v[114:115], v[112:113], v[110:111] op_sel:[1,1] op_sel_hi:[0,1]
	s_delay_alu instid0(VALU_DEP_1) | instskip(SKIP_2) | instid1(VALU_DEP_3)
	v_pk_fma_f32 v[116:117], v[112:113], v[110:111], v[114:115] op_sel_hi:[1,0,1]
	v_add_nc_u32_e32 v9, 1, v9
	v_pk_fma_f32 v[110:111], v[112:113], v[110:111], v[114:115] neg_lo:[0,0,1] neg_hi:[0,0,1]
	v_mov_b32_e32 v111, v117
	s_delay_alu instid0(VALU_DEP_3) | instskip(NEXT) | instid1(VALU_DEP_2)
	v_cmp_lt_u32_e32 vcc_lo, 17, v9
	v_pk_add_f32 v[108:109], v[108:109], v[110:111]
	s_or_b32 s1, vcc_lo, s1
	s_delay_alu instid0(SALU_CYCLE_1)
	s_and_not1_b32 exec_lo, exec_lo, s1
	s_cbranch_execnz .LBB115_89
; %bb.90:
	s_or_b32 exec_lo, exec_lo, s1
	v_mov_b32_e32 v9, 0
	ds_load_b64 v[110:111], v9 offset:152
	s_wait_dscnt 0x0
	v_pk_mul_f32 v[112:113], v[108:109], v[110:111] op_sel:[1,1] op_sel_hi:[0,1]
	s_delay_alu instid0(VALU_DEP_1) | instskip(SKIP_1) | instid1(VALU_DEP_2)
	v_pk_fma_f32 v[114:115], v[108:109], v[110:111], v[112:113] op_sel_hi:[1,0,1]
	v_pk_fma_f32 v[108:109], v[108:109], v[110:111], v[112:113] neg_lo:[0,0,1] neg_hi:[0,0,1]
	v_mov_b32_e32 v109, v115
	scratch_store_b64 off, v[108:109], off offset:152
.LBB115_91:
	s_wait_xcnt 0x0
	s_or_b32 exec_lo, exec_lo, s0
	s_wait_storecnt 0x0
	s_barrier_signal -1
	s_barrier_wait -1
	scratch_load_b64 v[108:109], off, off offset:160
	s_mov_b32 s0, exec_lo
	s_wait_loadcnt 0x0
	ds_store_b64 v1, v[108:109]
	s_wait_dscnt 0x0
	s_barrier_signal -1
	s_barrier_wait -1
	v_cmpx_gt_u32_e32 20, v0
	s_cbranch_execz .LBB115_95
; %bb.92:
	v_dual_mov_b32 v108, 0 :: v_dual_add_nc_u32 v9, -1, v0
	v_add_nc_u32_e32 v11, 0x1a0, v106
	v_mov_b32_e32 v13, v106
	s_mov_b32 s1, 0
	s_delay_alu instid0(VALU_DEP_3)
	v_mov_b32_e32 v109, v108
.LBB115_93:                             ; =>This Inner Loop Header: Depth=1
	scratch_load_b64 v[110:111], v13, off
	ds_load_b64 v[112:113], v11
	s_wait_xcnt 0x0
	v_dual_add_nc_u32 v11, 8, v11 :: v_dual_add_nc_u32 v13, 8, v13
	s_wait_loadcnt_dscnt 0x0
	v_pk_mul_f32 v[114:115], v[112:113], v[110:111] op_sel:[1,1] op_sel_hi:[0,1]
	s_delay_alu instid0(VALU_DEP_1) | instskip(SKIP_2) | instid1(VALU_DEP_3)
	v_pk_fma_f32 v[116:117], v[112:113], v[110:111], v[114:115] op_sel_hi:[1,0,1]
	v_add_nc_u32_e32 v9, 1, v9
	v_pk_fma_f32 v[110:111], v[112:113], v[110:111], v[114:115] neg_lo:[0,0,1] neg_hi:[0,0,1]
	v_mov_b32_e32 v111, v117
	s_delay_alu instid0(VALU_DEP_3) | instskip(NEXT) | instid1(VALU_DEP_2)
	v_cmp_lt_u32_e32 vcc_lo, 18, v9
	v_pk_add_f32 v[108:109], v[108:109], v[110:111]
	s_or_b32 s1, vcc_lo, s1
	s_delay_alu instid0(SALU_CYCLE_1)
	s_and_not1_b32 exec_lo, exec_lo, s1
	s_cbranch_execnz .LBB115_93
; %bb.94:
	s_or_b32 exec_lo, exec_lo, s1
	v_mov_b32_e32 v9, 0
	ds_load_b64 v[110:111], v9 offset:160
	s_wait_dscnt 0x0
	v_pk_mul_f32 v[112:113], v[108:109], v[110:111] op_sel:[1,1] op_sel_hi:[0,1]
	s_delay_alu instid0(VALU_DEP_1) | instskip(SKIP_1) | instid1(VALU_DEP_2)
	v_pk_fma_f32 v[114:115], v[108:109], v[110:111], v[112:113] op_sel_hi:[1,0,1]
	v_pk_fma_f32 v[108:109], v[108:109], v[110:111], v[112:113] neg_lo:[0,0,1] neg_hi:[0,0,1]
	v_mov_b32_e32 v109, v115
	scratch_store_b64 off, v[108:109], off offset:160
.LBB115_95:
	s_wait_xcnt 0x0
	s_or_b32 exec_lo, exec_lo, s0
	s_wait_storecnt 0x0
	s_barrier_signal -1
	s_barrier_wait -1
	scratch_load_b64 v[108:109], off, off offset:168
	s_mov_b32 s0, exec_lo
	s_wait_loadcnt 0x0
	ds_store_b64 v1, v[108:109]
	s_wait_dscnt 0x0
	s_barrier_signal -1
	s_barrier_wait -1
	v_cmpx_gt_u32_e32 21, v0
	s_cbranch_execz .LBB115_99
; %bb.96:
	v_dual_mov_b32 v108, 0 :: v_dual_add_nc_u32 v9, -1, v0
	v_add_nc_u32_e32 v11, 0x1a0, v106
	v_mov_b32_e32 v13, v106
	s_mov_b32 s1, 0
	s_delay_alu instid0(VALU_DEP_3)
	v_mov_b32_e32 v109, v108
.LBB115_97:                             ; =>This Inner Loop Header: Depth=1
	scratch_load_b64 v[110:111], v13, off
	ds_load_b64 v[112:113], v11
	s_wait_xcnt 0x0
	v_dual_add_nc_u32 v11, 8, v11 :: v_dual_add_nc_u32 v13, 8, v13
	s_wait_loadcnt_dscnt 0x0
	v_pk_mul_f32 v[114:115], v[112:113], v[110:111] op_sel:[1,1] op_sel_hi:[0,1]
	s_delay_alu instid0(VALU_DEP_1) | instskip(SKIP_2) | instid1(VALU_DEP_3)
	v_pk_fma_f32 v[116:117], v[112:113], v[110:111], v[114:115] op_sel_hi:[1,0,1]
	v_add_nc_u32_e32 v9, 1, v9
	v_pk_fma_f32 v[110:111], v[112:113], v[110:111], v[114:115] neg_lo:[0,0,1] neg_hi:[0,0,1]
	v_mov_b32_e32 v111, v117
	s_delay_alu instid0(VALU_DEP_3) | instskip(NEXT) | instid1(VALU_DEP_2)
	v_cmp_lt_u32_e32 vcc_lo, 19, v9
	v_pk_add_f32 v[108:109], v[108:109], v[110:111]
	s_or_b32 s1, vcc_lo, s1
	s_delay_alu instid0(SALU_CYCLE_1)
	s_and_not1_b32 exec_lo, exec_lo, s1
	s_cbranch_execnz .LBB115_97
; %bb.98:
	s_or_b32 exec_lo, exec_lo, s1
	v_mov_b32_e32 v9, 0
	ds_load_b64 v[110:111], v9 offset:168
	s_wait_dscnt 0x0
	v_pk_mul_f32 v[112:113], v[108:109], v[110:111] op_sel:[1,1] op_sel_hi:[0,1]
	s_delay_alu instid0(VALU_DEP_1) | instskip(SKIP_1) | instid1(VALU_DEP_2)
	v_pk_fma_f32 v[114:115], v[108:109], v[110:111], v[112:113] op_sel_hi:[1,0,1]
	v_pk_fma_f32 v[108:109], v[108:109], v[110:111], v[112:113] neg_lo:[0,0,1] neg_hi:[0,0,1]
	v_mov_b32_e32 v109, v115
	scratch_store_b64 off, v[108:109], off offset:168
.LBB115_99:
	s_wait_xcnt 0x0
	s_or_b32 exec_lo, exec_lo, s0
	s_wait_storecnt 0x0
	s_barrier_signal -1
	s_barrier_wait -1
	scratch_load_b64 v[108:109], off, off offset:176
	s_mov_b32 s0, exec_lo
	s_wait_loadcnt 0x0
	ds_store_b64 v1, v[108:109]
	s_wait_dscnt 0x0
	s_barrier_signal -1
	s_barrier_wait -1
	v_cmpx_gt_u32_e32 22, v0
	s_cbranch_execz .LBB115_103
; %bb.100:
	v_dual_mov_b32 v108, 0 :: v_dual_add_nc_u32 v9, -1, v0
	v_add_nc_u32_e32 v11, 0x1a0, v106
	v_mov_b32_e32 v13, v106
	s_mov_b32 s1, 0
	s_delay_alu instid0(VALU_DEP_3)
	v_mov_b32_e32 v109, v108
.LBB115_101:                            ; =>This Inner Loop Header: Depth=1
	scratch_load_b64 v[110:111], v13, off
	ds_load_b64 v[112:113], v11
	s_wait_xcnt 0x0
	v_dual_add_nc_u32 v11, 8, v11 :: v_dual_add_nc_u32 v13, 8, v13
	s_wait_loadcnt_dscnt 0x0
	v_pk_mul_f32 v[114:115], v[112:113], v[110:111] op_sel:[1,1] op_sel_hi:[0,1]
	s_delay_alu instid0(VALU_DEP_1) | instskip(SKIP_2) | instid1(VALU_DEP_3)
	v_pk_fma_f32 v[116:117], v[112:113], v[110:111], v[114:115] op_sel_hi:[1,0,1]
	v_add_nc_u32_e32 v9, 1, v9
	v_pk_fma_f32 v[110:111], v[112:113], v[110:111], v[114:115] neg_lo:[0,0,1] neg_hi:[0,0,1]
	v_mov_b32_e32 v111, v117
	s_delay_alu instid0(VALU_DEP_3) | instskip(NEXT) | instid1(VALU_DEP_2)
	v_cmp_lt_u32_e32 vcc_lo, 20, v9
	v_pk_add_f32 v[108:109], v[108:109], v[110:111]
	s_or_b32 s1, vcc_lo, s1
	s_delay_alu instid0(SALU_CYCLE_1)
	s_and_not1_b32 exec_lo, exec_lo, s1
	s_cbranch_execnz .LBB115_101
; %bb.102:
	s_or_b32 exec_lo, exec_lo, s1
	v_mov_b32_e32 v9, 0
	ds_load_b64 v[110:111], v9 offset:176
	s_wait_dscnt 0x0
	v_pk_mul_f32 v[112:113], v[108:109], v[110:111] op_sel:[1,1] op_sel_hi:[0,1]
	s_delay_alu instid0(VALU_DEP_1) | instskip(SKIP_1) | instid1(VALU_DEP_2)
	v_pk_fma_f32 v[114:115], v[108:109], v[110:111], v[112:113] op_sel_hi:[1,0,1]
	v_pk_fma_f32 v[108:109], v[108:109], v[110:111], v[112:113] neg_lo:[0,0,1] neg_hi:[0,0,1]
	v_mov_b32_e32 v109, v115
	scratch_store_b64 off, v[108:109], off offset:176
.LBB115_103:
	s_wait_xcnt 0x0
	s_or_b32 exec_lo, exec_lo, s0
	s_wait_storecnt 0x0
	s_barrier_signal -1
	s_barrier_wait -1
	scratch_load_b64 v[108:109], off, off offset:184
	s_mov_b32 s0, exec_lo
	s_wait_loadcnt 0x0
	ds_store_b64 v1, v[108:109]
	s_wait_dscnt 0x0
	s_barrier_signal -1
	s_barrier_wait -1
	v_cmpx_gt_u32_e32 23, v0
	s_cbranch_execz .LBB115_107
; %bb.104:
	v_dual_mov_b32 v108, 0 :: v_dual_add_nc_u32 v9, -1, v0
	v_add_nc_u32_e32 v11, 0x1a0, v106
	v_mov_b32_e32 v13, v106
	s_mov_b32 s1, 0
	s_delay_alu instid0(VALU_DEP_3)
	v_mov_b32_e32 v109, v108
.LBB115_105:                            ; =>This Inner Loop Header: Depth=1
	scratch_load_b64 v[110:111], v13, off
	ds_load_b64 v[112:113], v11
	s_wait_xcnt 0x0
	v_dual_add_nc_u32 v11, 8, v11 :: v_dual_add_nc_u32 v13, 8, v13
	s_wait_loadcnt_dscnt 0x0
	v_pk_mul_f32 v[114:115], v[112:113], v[110:111] op_sel:[1,1] op_sel_hi:[0,1]
	s_delay_alu instid0(VALU_DEP_1) | instskip(SKIP_2) | instid1(VALU_DEP_3)
	v_pk_fma_f32 v[116:117], v[112:113], v[110:111], v[114:115] op_sel_hi:[1,0,1]
	v_add_nc_u32_e32 v9, 1, v9
	v_pk_fma_f32 v[110:111], v[112:113], v[110:111], v[114:115] neg_lo:[0,0,1] neg_hi:[0,0,1]
	v_mov_b32_e32 v111, v117
	s_delay_alu instid0(VALU_DEP_3) | instskip(NEXT) | instid1(VALU_DEP_2)
	v_cmp_lt_u32_e32 vcc_lo, 21, v9
	v_pk_add_f32 v[108:109], v[108:109], v[110:111]
	s_or_b32 s1, vcc_lo, s1
	s_delay_alu instid0(SALU_CYCLE_1)
	s_and_not1_b32 exec_lo, exec_lo, s1
	s_cbranch_execnz .LBB115_105
; %bb.106:
	s_or_b32 exec_lo, exec_lo, s1
	v_mov_b32_e32 v9, 0
	ds_load_b64 v[110:111], v9 offset:184
	s_wait_dscnt 0x0
	v_pk_mul_f32 v[112:113], v[108:109], v[110:111] op_sel:[1,1] op_sel_hi:[0,1]
	s_delay_alu instid0(VALU_DEP_1) | instskip(SKIP_1) | instid1(VALU_DEP_2)
	v_pk_fma_f32 v[114:115], v[108:109], v[110:111], v[112:113] op_sel_hi:[1,0,1]
	v_pk_fma_f32 v[108:109], v[108:109], v[110:111], v[112:113] neg_lo:[0,0,1] neg_hi:[0,0,1]
	v_mov_b32_e32 v109, v115
	scratch_store_b64 off, v[108:109], off offset:184
.LBB115_107:
	s_wait_xcnt 0x0
	s_or_b32 exec_lo, exec_lo, s0
	s_wait_storecnt 0x0
	s_barrier_signal -1
	s_barrier_wait -1
	scratch_load_b64 v[108:109], off, off offset:192
	;; [unrolled: 52-line block ×29, first 2 shown]
	s_mov_b32 s0, exec_lo
	s_wait_loadcnt 0x0
	ds_store_b64 v1, v[108:109]
	s_wait_dscnt 0x0
	s_barrier_signal -1
	s_barrier_wait -1
	v_cmpx_ne_u32_e32 51, v0
	s_cbranch_execz .LBB115_219
; %bb.216:
	v_dual_mov_b32 v108, 0 :: v_dual_mov_b32 v9, v106
	s_mov_b32 s1, 0
	s_delay_alu instid0(VALU_DEP_1)
	v_mov_b32_e32 v109, v108
.LBB115_217:                            ; =>This Inner Loop Header: Depth=1
	scratch_load_b64 v[106:107], v9, off
	ds_load_b64 v[110:111], v1
	v_add_nc_u32_e32 v1, 8, v1
	s_wait_xcnt 0x0
	v_add_nc_u32_e32 v9, 8, v9
	s_wait_loadcnt_dscnt 0x0
	v_pk_mul_f32 v[112:113], v[110:111], v[106:107] op_sel:[1,1] op_sel_hi:[0,1]
	s_delay_alu instid0(VALU_DEP_1) | instskip(SKIP_2) | instid1(VALU_DEP_3)
	v_pk_fma_f32 v[114:115], v[110:111], v[106:107], v[112:113] op_sel_hi:[1,0,1]
	v_add_nc_u32_e32 v7, 1, v7
	v_pk_fma_f32 v[106:107], v[110:111], v[106:107], v[112:113] neg_lo:[0,0,1] neg_hi:[0,0,1]
	v_mov_b32_e32 v107, v115
	s_delay_alu instid0(VALU_DEP_3) | instskip(NEXT) | instid1(VALU_DEP_2)
	v_cmp_lt_u32_e32 vcc_lo, 49, v7
	v_pk_add_f32 v[108:109], v[108:109], v[106:107]
	s_or_b32 s1, vcc_lo, s1
	s_delay_alu instid0(SALU_CYCLE_1)
	s_and_not1_b32 exec_lo, exec_lo, s1
	s_cbranch_execnz .LBB115_217
; %bb.218:
	s_or_b32 exec_lo, exec_lo, s1
	v_mov_b32_e32 v1, 0
	ds_load_b64 v[106:107], v1 offset:408
	s_wait_dscnt 0x0
	v_pk_mul_f32 v[110:111], v[108:109], v[106:107] op_sel:[1,1] op_sel_hi:[0,1]
	s_delay_alu instid0(VALU_DEP_1) | instskip(SKIP_1) | instid1(VALU_DEP_2)
	v_pk_fma_f32 v[112:113], v[108:109], v[106:107], v[110:111] op_sel_hi:[1,0,1]
	v_pk_fma_f32 v[106:107], v[108:109], v[106:107], v[110:111] neg_lo:[0,0,1] neg_hi:[0,0,1]
	v_mov_b32_e32 v107, v113
	scratch_store_b64 off, v[106:107], off offset:408
.LBB115_219:
	s_wait_xcnt 0x0
	s_or_b32 exec_lo, exec_lo, s0
	s_mov_b32 s1, -1
	s_wait_storecnt 0x0
	s_barrier_signal -1
	s_barrier_wait -1
.LBB115_220:
	s_and_b32 vcc_lo, exec_lo, s1
	s_cbranch_vccz .LBB115_222
; %bb.221:
	v_mov_b32_e32 v1, 0
	s_lshl_b64 s[0:1], s[10:11], 2
	s_delay_alu instid0(SALU_CYCLE_1)
	s_add_nc_u64 s[0:1], s[6:7], s[0:1]
	global_load_b32 v1, v1, s[0:1]
	s_wait_loadcnt 0x0
	v_cmp_ne_u32_e32 vcc_lo, 0, v1
	s_cbranch_vccz .LBB115_223
.LBB115_222:
	s_sendmsg sendmsg(MSG_DEALLOC_VGPRS)
	s_endpgm
.LBB115_223:
	s_wait_xcnt 0x0
	v_lshl_add_u32 v1, v0, 3, 0x1a0
	s_mov_b32 s0, exec_lo
	v_cmpx_eq_u32_e32 51, v0
	s_cbranch_execz .LBB115_225
; %bb.224:
	scratch_load_b64 v[106:107], off, off offset:400
	v_mov_b64_e32 v[108:109], 0
	scratch_store_b64 off, v[108:109], off offset:400
	s_wait_loadcnt 0x0
	ds_store_b64 v1, v[106:107]
.LBB115_225:
	s_wait_xcnt 0x0
	s_or_b32 exec_lo, exec_lo, s0
	s_wait_storecnt_dscnt 0x0
	s_barrier_signal -1
	s_barrier_wait -1
	s_clause 0x1
	scratch_load_b64 v[106:107], off, off offset:408
	scratch_load_b64 v[108:109], off, off offset:400
	v_mov_b32_e32 v7, 0
	s_mov_b32 s0, exec_lo
	ds_load_b64 v[110:111], v7 offset:824
	s_wait_loadcnt_dscnt 0x100
	v_pk_mul_f32 v[112:113], v[110:111], v[106:107] op_sel:[1,1] op_sel_hi:[0,1]
	s_delay_alu instid0(VALU_DEP_1) | instskip(SKIP_1) | instid1(VALU_DEP_2)
	v_pk_fma_f32 v[114:115], v[110:111], v[106:107], v[112:113] op_sel_hi:[1,0,1]
	v_pk_fma_f32 v[106:107], v[110:111], v[106:107], v[112:113] neg_lo:[0,0,1] neg_hi:[0,0,1]
	v_mov_b32_e32 v107, v115
	s_delay_alu instid0(VALU_DEP_1) | instskip(SKIP_1) | instid1(VALU_DEP_1)
	v_pk_add_f32 v[106:107], v[106:107], 0 op_sel_hi:[1,0]
	s_wait_loadcnt 0x0
	v_pk_add_f32 v[106:107], v[108:109], v[106:107] neg_lo:[0,1] neg_hi:[0,1]
	scratch_store_b64 off, v[106:107], off offset:400
	s_wait_xcnt 0x0
	v_cmpx_lt_u32_e32 49, v0
	s_cbranch_execz .LBB115_227
; %bb.226:
	scratch_load_b64 v[106:107], off, off offset:392
	v_mov_b64_e32 v[108:109], 0
	scratch_store_b64 off, v[108:109], off offset:392
	s_wait_loadcnt 0x0
	ds_store_b64 v1, v[106:107]
.LBB115_227:
	s_wait_xcnt 0x0
	s_or_b32 exec_lo, exec_lo, s0
	s_wait_storecnt_dscnt 0x0
	s_barrier_signal -1
	s_barrier_wait -1
	s_clause 0x1
	scratch_load_b128 v[106:109], off, off offset:400
	scratch_load_b64 v[114:115], off, off offset:392
	ds_load_b128 v[110:113], v7 offset:816
	s_mov_b32 s0, exec_lo
	s_wait_dscnt 0x0
	v_dual_mov_b32 v116, v113 :: v_dual_mov_b32 v117, v112
	s_wait_loadcnt 0x1
	v_pk_mul_f32 v[118:119], v[110:111], v[106:107] op_sel:[1,1] op_sel_hi:[0,1]
	s_delay_alu instid0(VALU_DEP_1) | instskip(SKIP_2) | instid1(VALU_DEP_3)
	v_pk_fma_f32 v[122:123], v[110:111], v[106:107], v[118:119] op_sel_hi:[1,0,1]
	v_mov_b32_e32 v120, v109
	v_pk_fma_f32 v[106:107], v[110:111], v[106:107], v[118:119] neg_lo:[0,0,1] neg_hi:[0,0,1]
	v_mov_b32_e32 v107, v123
	s_delay_alu instid0(VALU_DEP_3) | instskip(NEXT) | instid1(VALU_DEP_2)
	v_pk_mul_f32 v[116:117], v[116:117], v[120:121] op_sel_hi:[1,0]
	v_pk_add_f32 v[106:107], v[106:107], 0 op_sel_hi:[1,0]
	s_delay_alu instid0(VALU_DEP_2) | instskip(SKIP_1) | instid1(VALU_DEP_2)
	v_pk_fma_f32 v[110:111], v[112:113], v[108:109], v[116:117] op_sel_hi:[1,0,1]
	v_pk_fma_f32 v[108:109], v[112:113], v[108:109], v[116:117] neg_lo:[0,0,1] neg_hi:[0,0,1]
	v_mov_b32_e32 v109, v111
	s_delay_alu instid0(VALU_DEP_1) | instskip(SKIP_1) | instid1(VALU_DEP_1)
	v_pk_add_f32 v[106:107], v[106:107], v[108:109]
	s_wait_loadcnt 0x0
	v_pk_add_f32 v[106:107], v[114:115], v[106:107] neg_lo:[0,1] neg_hi:[0,1]
	scratch_store_b64 off, v[106:107], off offset:392
	s_wait_xcnt 0x0
	v_cmpx_lt_u32_e32 48, v0
	s_cbranch_execz .LBB115_229
; %bb.228:
	scratch_load_b64 v[106:107], off, off offset:384
	v_mov_b64_e32 v[108:109], 0
	scratch_store_b64 off, v[108:109], off offset:384
	s_wait_loadcnt 0x0
	ds_store_b64 v1, v[106:107]
.LBB115_229:
	s_wait_xcnt 0x0
	s_or_b32 exec_lo, exec_lo, s0
	s_wait_storecnt_dscnt 0x0
	s_barrier_signal -1
	s_barrier_wait -1
	s_clause 0x2
	scratch_load_b128 v[106:109], off, off offset:392
	scratch_load_b64 v[114:115], off, off offset:408
	scratch_load_b64 v[116:117], off, off offset:384
	v_mov_b32_e32 v7, 0
	ds_load_2addr_b64 v[110:113], v7 offset0:101 offset1:102
	ds_load_b64 v[118:119], v7 offset:824
	s_mov_b32 s0, exec_lo
	s_wait_dscnt 0x1
	v_dual_mov_b32 v120, v113 :: v_dual_mov_b32 v121, v112
	s_wait_loadcnt 0x2
	v_mov_b32_e32 v124, v109
	v_pk_mul_f32 v[122:123], v[110:111], v[106:107] op_sel:[1,1] op_sel_hi:[0,1]
	s_delay_alu instid0(VALU_DEP_2) | instskip(NEXT) | instid1(VALU_DEP_2)
	v_pk_mul_f32 v[120:121], v[120:121], v[124:125] op_sel_hi:[1,0]
	v_pk_fma_f32 v[126:127], v[110:111], v[106:107], v[122:123] op_sel_hi:[1,0,1]
	v_pk_fma_f32 v[106:107], v[110:111], v[106:107], v[122:123] neg_lo:[0,0,1] neg_hi:[0,0,1]
	s_wait_loadcnt_dscnt 0x100
	v_pk_mul_f32 v[122:123], v[118:119], v[114:115] op_sel:[1,1] op_sel_hi:[0,1]
	v_pk_fma_f32 v[110:111], v[112:113], v[108:109], v[120:121] op_sel_hi:[1,0,1]
	v_mov_b32_e32 v107, v127
	v_pk_fma_f32 v[108:109], v[112:113], v[108:109], v[120:121] neg_lo:[0,0,1] neg_hi:[0,0,1]
	s_delay_alu instid0(VALU_DEP_4) | instskip(NEXT) | instid1(VALU_DEP_4)
	v_pk_fma_f32 v[112:113], v[118:119], v[114:115], v[122:123] neg_lo:[0,0,1] neg_hi:[0,0,1]
	v_mov_b32_e32 v109, v111
	s_delay_alu instid0(VALU_DEP_4) | instskip(SKIP_1) | instid1(VALU_DEP_2)
	v_pk_add_f32 v[106:107], v[106:107], 0 op_sel_hi:[1,0]
	v_pk_fma_f32 v[110:111], v[118:119], v[114:115], v[122:123] op_sel_hi:[1,0,1]
	v_pk_add_f32 v[106:107], v[106:107], v[108:109]
	s_delay_alu instid0(VALU_DEP_2) | instskip(NEXT) | instid1(VALU_DEP_1)
	v_mov_b32_e32 v113, v111
	v_pk_add_f32 v[106:107], v[106:107], v[112:113]
	s_wait_loadcnt 0x0
	s_delay_alu instid0(VALU_DEP_1)
	v_pk_add_f32 v[106:107], v[116:117], v[106:107] neg_lo:[0,1] neg_hi:[0,1]
	scratch_store_b64 off, v[106:107], off offset:384
	s_wait_xcnt 0x0
	v_cmpx_lt_u32_e32 47, v0
	s_cbranch_execz .LBB115_231
; %bb.230:
	scratch_load_b64 v[106:107], off, off offset:376
	v_mov_b64_e32 v[108:109], 0
	scratch_store_b64 off, v[108:109], off offset:376
	s_wait_loadcnt 0x0
	ds_store_b64 v1, v[106:107]
.LBB115_231:
	s_wait_xcnt 0x0
	s_or_b32 exec_lo, exec_lo, s0
	s_wait_storecnt_dscnt 0x0
	s_barrier_signal -1
	s_barrier_wait -1
	s_clause 0x2
	scratch_load_b128 v[106:109], off, off offset:384
	scratch_load_b128 v[110:113], off, off offset:400
	scratch_load_b64 v[122:123], off, off offset:376
	ds_load_b128 v[114:117], v7 offset:800
	ds_load_b128 v[118:121], v7 offset:816
	s_mov_b32 s0, exec_lo
	s_wait_dscnt 0x1
	v_dual_mov_b32 v124, v117 :: v_dual_mov_b32 v125, v116
	s_wait_loadcnt_dscnt 0x200
	v_dual_mov_b32 v130, v121 :: v_dual_mov_b32 v128, v109
	v_pk_mul_f32 v[126:127], v[114:115], v[106:107] op_sel:[1,1] op_sel_hi:[0,1]
	s_delay_alu instid0(VALU_DEP_2) | instskip(NEXT) | instid1(VALU_DEP_2)
	v_pk_mul_f32 v[124:125], v[124:125], v[128:129] op_sel_hi:[1,0]
	v_pk_fma_f32 v[132:133], v[114:115], v[106:107], v[126:127] op_sel_hi:[1,0,1]
	v_pk_fma_f32 v[106:107], v[114:115], v[106:107], v[126:127] neg_lo:[0,0,1] neg_hi:[0,0,1]
	v_mov_b32_e32 v131, v120
	s_wait_loadcnt 0x1
	v_pk_mul_f32 v[128:129], v[118:119], v[110:111] op_sel:[1,1] op_sel_hi:[0,1]
	v_pk_fma_f32 v[114:115], v[116:117], v[108:109], v[124:125] op_sel_hi:[1,0,1]
	v_dual_mov_b32 v107, v133 :: v_dual_mov_b32 v114, v113
	v_pk_fma_f32 v[108:109], v[116:117], v[108:109], v[124:125] neg_lo:[0,0,1] neg_hi:[0,0,1]
	s_delay_alu instid0(VALU_DEP_4) | instskip(NEXT) | instid1(VALU_DEP_4)
	v_pk_fma_f32 v[126:127], v[118:119], v[110:111], v[128:129] op_sel_hi:[1,0,1]
	v_mov_b32_e32 v109, v115
	s_delay_alu instid0(VALU_DEP_4) | instskip(SKIP_2) | instid1(VALU_DEP_3)
	v_pk_add_f32 v[106:107], v[106:107], 0 op_sel_hi:[1,0]
	v_pk_mul_f32 v[114:115], v[130:131], v[114:115] op_sel_hi:[1,0]
	v_pk_fma_f32 v[110:111], v[118:119], v[110:111], v[128:129] neg_lo:[0,0,1] neg_hi:[0,0,1]
	v_pk_add_f32 v[106:107], v[106:107], v[108:109]
	s_delay_alu instid0(VALU_DEP_3) | instskip(SKIP_2) | instid1(VALU_DEP_3)
	v_pk_fma_f32 v[108:109], v[120:121], v[112:113], v[114:115] op_sel_hi:[1,0,1]
	v_mov_b32_e32 v111, v127
	v_pk_fma_f32 v[112:113], v[120:121], v[112:113], v[114:115] neg_lo:[0,0,1] neg_hi:[0,0,1]
	v_mov_b32_e32 v113, v109
	s_delay_alu instid0(VALU_DEP_3) | instskip(NEXT) | instid1(VALU_DEP_1)
	v_pk_add_f32 v[106:107], v[106:107], v[110:111]
	v_pk_add_f32 v[106:107], v[106:107], v[112:113]
	s_wait_loadcnt 0x0
	s_delay_alu instid0(VALU_DEP_1)
	v_pk_add_f32 v[106:107], v[122:123], v[106:107] neg_lo:[0,1] neg_hi:[0,1]
	scratch_store_b64 off, v[106:107], off offset:376
	s_wait_xcnt 0x0
	v_cmpx_lt_u32_e32 46, v0
	s_cbranch_execz .LBB115_233
; %bb.232:
	scratch_load_b64 v[106:107], off, off offset:368
	v_mov_b64_e32 v[108:109], 0
	scratch_store_b64 off, v[108:109], off offset:368
	s_wait_loadcnt 0x0
	ds_store_b64 v1, v[106:107]
.LBB115_233:
	s_wait_xcnt 0x0
	s_or_b32 exec_lo, exec_lo, s0
	s_wait_storecnt_dscnt 0x0
	s_barrier_signal -1
	s_barrier_wait -1
	s_clause 0x3
	scratch_load_b128 v[106:109], off, off offset:376
	scratch_load_b128 v[110:113], off, off offset:392
	scratch_load_b64 v[122:123], off, off offset:408
	scratch_load_b64 v[124:125], off, off offset:368
	v_mov_b32_e32 v7, 0
	ds_load_2addr_b64 v[114:117], v7 offset0:99 offset1:100
	ds_load_2addr_b64 v[118:121], v7 offset0:101 offset1:102
	s_mov_b32 s0, exec_lo
	s_wait_dscnt 0x1
	v_dual_mov_b32 v126, v117 :: v_dual_mov_b32 v127, v116
	ds_load_b64 v[132:133], v7 offset:824
	s_wait_dscnt 0x1
	v_dual_mov_b32 v134, v121 :: v_dual_mov_b32 v135, v120
	s_wait_loadcnt 0x3
	v_pk_mul_f32 v[128:129], v[114:115], v[106:107] op_sel:[1,1] op_sel_hi:[0,1]
	v_mov_b32_e32 v130, v109
	s_delay_alu instid0(VALU_DEP_2) | instskip(NEXT) | instid1(VALU_DEP_2)
	v_pk_fma_f32 v[136:137], v[114:115], v[106:107], v[128:129] op_sel_hi:[1,0,1]
	v_pk_mul_f32 v[126:127], v[126:127], v[130:131] op_sel_hi:[1,0]
	v_pk_fma_f32 v[106:107], v[114:115], v[106:107], v[128:129] neg_lo:[0,0,1] neg_hi:[0,0,1]
	s_wait_loadcnt 0x2
	v_pk_mul_f32 v[130:131], v[118:119], v[110:111] op_sel:[1,1] op_sel_hi:[0,1]
	v_dual_mov_b32 v136, v113 :: v_dual_mov_b32 v107, v137
	v_pk_fma_f32 v[114:115], v[116:117], v[108:109], v[126:127] op_sel_hi:[1,0,1]
	v_pk_fma_f32 v[108:109], v[116:117], v[108:109], v[126:127] neg_lo:[0,0,1] neg_hi:[0,0,1]
	s_delay_alu instid0(VALU_DEP_4) | instskip(NEXT) | instid1(VALU_DEP_4)
	v_pk_fma_f32 v[128:129], v[118:119], v[110:111], v[130:131] op_sel_hi:[1,0,1]
	v_pk_mul_f32 v[134:135], v[134:135], v[136:137] op_sel_hi:[1,0]
	v_pk_add_f32 v[106:107], v[106:107], 0 op_sel_hi:[1,0]
	v_mov_b32_e32 v109, v115
	v_pk_fma_f32 v[110:111], v[118:119], v[110:111], v[130:131] neg_lo:[0,0,1] neg_hi:[0,0,1]
	v_mov_b32_e32 v111, v129
	v_pk_fma_f32 v[114:115], v[120:121], v[112:113], v[134:135] op_sel_hi:[1,0,1]
	v_pk_fma_f32 v[112:113], v[120:121], v[112:113], v[134:135] neg_lo:[0,0,1] neg_hi:[0,0,1]
	v_pk_add_f32 v[106:107], v[106:107], v[108:109]
	s_wait_loadcnt_dscnt 0x100
	v_pk_mul_f32 v[108:109], v[132:133], v[122:123] op_sel:[1,1] op_sel_hi:[0,1]
	s_delay_alu instid0(VALU_DEP_2) | instskip(NEXT) | instid1(VALU_DEP_2)
	v_pk_add_f32 v[106:107], v[106:107], v[110:111]
	v_pk_fma_f32 v[110:111], v[132:133], v[122:123], v[108:109] op_sel_hi:[1,0,1]
	v_mov_b32_e32 v113, v115
	v_pk_fma_f32 v[108:109], v[132:133], v[122:123], v[108:109] neg_lo:[0,0,1] neg_hi:[0,0,1]
	s_delay_alu instid0(VALU_DEP_3) | instskip(NEXT) | instid1(VALU_DEP_3)
	v_mov_b32_e32 v109, v111
	v_pk_add_f32 v[106:107], v[106:107], v[112:113]
	s_delay_alu instid0(VALU_DEP_1) | instskip(SKIP_1) | instid1(VALU_DEP_1)
	v_pk_add_f32 v[106:107], v[106:107], v[108:109]
	s_wait_loadcnt 0x0
	v_pk_add_f32 v[106:107], v[124:125], v[106:107] neg_lo:[0,1] neg_hi:[0,1]
	scratch_store_b64 off, v[106:107], off offset:368
	s_wait_xcnt 0x0
	v_cmpx_lt_u32_e32 45, v0
	s_cbranch_execz .LBB115_235
; %bb.234:
	scratch_load_b64 v[106:107], off, off offset:360
	v_mov_b64_e32 v[108:109], 0
	scratch_store_b64 off, v[108:109], off offset:360
	s_wait_loadcnt 0x0
	ds_store_b64 v1, v[106:107]
.LBB115_235:
	s_wait_xcnt 0x0
	s_or_b32 exec_lo, exec_lo, s0
	s_wait_storecnt_dscnt 0x0
	s_barrier_signal -1
	s_barrier_wait -1
	s_clause 0x3
	scratch_load_b128 v[106:109], off, off offset:368
	scratch_load_b128 v[110:113], off, off offset:384
	;; [unrolled: 1-line block ×3, first 2 shown]
	scratch_load_b64 v[130:131], off, off offset:360
	ds_load_b128 v[118:121], v7 offset:784
	ds_load_b128 v[122:125], v7 offset:800
	;; [unrolled: 1-line block ×3, first 2 shown]
	s_mov_b32 s0, exec_lo
	s_wait_dscnt 0x2
	v_dual_mov_b32 v132, v121 :: v_dual_mov_b32 v133, v120
	s_wait_dscnt 0x1
	v_dual_mov_b32 v134, v125 :: v_dual_mov_b32 v135, v124
	;; [unrolled: 2-line block ×3, first 2 shown]
	s_wait_loadcnt 0x3
	v_pk_mul_f32 v[136:137], v[118:119], v[106:107] op_sel:[1,1] op_sel_hi:[0,1]
	v_mov_b32_e32 v138, v109
	s_delay_alu instid0(VALU_DEP_2) | instskip(NEXT) | instid1(VALU_DEP_2)
	v_pk_fma_f32 v[142:143], v[118:119], v[106:107], v[136:137] op_sel_hi:[1,0,1]
	v_pk_mul_f32 v[132:133], v[132:133], v[138:139] op_sel_hi:[1,0]
	v_pk_fma_f32 v[106:107], v[118:119], v[106:107], v[136:137] neg_lo:[0,0,1] neg_hi:[0,0,1]
	s_wait_loadcnt 0x2
	v_pk_mul_f32 v[138:139], v[122:123], v[110:111] op_sel:[1,1] op_sel_hi:[0,1]
	v_mov_b32_e32 v142, v113
	v_pk_fma_f32 v[118:119], v[120:121], v[108:109], v[132:133] op_sel_hi:[1,0,1]
	v_mov_b32_e32 v107, v143
	v_pk_fma_f32 v[108:109], v[120:121], v[108:109], v[132:133] neg_lo:[0,0,1] neg_hi:[0,0,1]
	v_pk_fma_f32 v[136:137], v[122:123], v[110:111], v[138:139] op_sel_hi:[1,0,1]
	v_pk_mul_f32 v[134:135], v[134:135], v[142:143] op_sel_hi:[1,0]
	v_mov_b32_e32 v109, v119
	v_pk_add_f32 v[106:107], v[106:107], 0 op_sel_hi:[1,0]
	v_pk_fma_f32 v[110:111], v[122:123], v[110:111], v[138:139] neg_lo:[0,0,1] neg_hi:[0,0,1]
	s_wait_loadcnt 0x1
	v_pk_mul_f32 v[118:119], v[126:127], v[114:115] op_sel:[1,1] op_sel_hi:[0,1]
	v_mov_b32_e32 v111, v137
	v_pk_fma_f32 v[120:121], v[124:125], v[112:113], v[134:135] op_sel_hi:[1,0,1]
	v_pk_add_f32 v[106:107], v[106:107], v[108:109]
	v_mov_b32_e32 v108, v117
	v_pk_fma_f32 v[112:113], v[124:125], v[112:113], v[134:135] neg_lo:[0,0,1] neg_hi:[0,0,1]
	v_pk_fma_f32 v[122:123], v[126:127], v[114:115], v[118:119] op_sel_hi:[1,0,1]
	v_mov_b32_e32 v113, v121
	v_pk_add_f32 v[106:107], v[106:107], v[110:111]
	v_pk_mul_f32 v[108:109], v[140:141], v[108:109] op_sel_hi:[1,0]
	v_pk_fma_f32 v[110:111], v[126:127], v[114:115], v[118:119] neg_lo:[0,0,1] neg_hi:[0,0,1]
	v_mov_b32_e32 v111, v123
	s_delay_alu instid0(VALU_DEP_4) | instskip(NEXT) | instid1(VALU_DEP_4)
	v_pk_add_f32 v[106:107], v[106:107], v[112:113]
	v_pk_fma_f32 v[112:113], v[128:129], v[116:117], v[108:109] op_sel_hi:[1,0,1]
	v_pk_fma_f32 v[108:109], v[128:129], v[116:117], v[108:109] neg_lo:[0,0,1] neg_hi:[0,0,1]
	s_delay_alu instid0(VALU_DEP_3) | instskip(NEXT) | instid1(VALU_DEP_3)
	v_pk_add_f32 v[106:107], v[106:107], v[110:111]
	v_mov_b32_e32 v109, v113
	s_delay_alu instid0(VALU_DEP_1) | instskip(SKIP_1) | instid1(VALU_DEP_1)
	v_pk_add_f32 v[106:107], v[106:107], v[108:109]
	s_wait_loadcnt 0x0
	v_pk_add_f32 v[106:107], v[130:131], v[106:107] neg_lo:[0,1] neg_hi:[0,1]
	scratch_store_b64 off, v[106:107], off offset:360
	s_wait_xcnt 0x0
	v_cmpx_lt_u32_e32 44, v0
	s_cbranch_execz .LBB115_237
; %bb.236:
	scratch_load_b64 v[106:107], off, off offset:352
	v_mov_b64_e32 v[108:109], 0
	scratch_store_b64 off, v[108:109], off offset:352
	s_wait_loadcnt 0x0
	ds_store_b64 v1, v[106:107]
.LBB115_237:
	s_wait_xcnt 0x0
	s_or_b32 exec_lo, exec_lo, s0
	s_wait_storecnt_dscnt 0x0
	s_barrier_signal -1
	s_barrier_wait -1
	s_clause 0x4
	scratch_load_b128 v[106:109], off, off offset:360
	scratch_load_b128 v[110:113], off, off offset:376
	;; [unrolled: 1-line block ×3, first 2 shown]
	scratch_load_b64 v[130:131], off, off offset:408
	scratch_load_b64 v[132:133], off, off offset:352
	v_mov_b32_e32 v7, 0
	ds_load_2addr_b64 v[118:121], v7 offset0:97 offset1:98
	ds_load_2addr_b64 v[122:125], v7 offset0:99 offset1:100
	;; [unrolled: 1-line block ×3, first 2 shown]
	ds_load_b64 v[134:135], v7 offset:824
	s_mov_b32 s0, exec_lo
	s_wait_dscnt 0x3
	v_dual_mov_b32 v136, v121 :: v_dual_mov_b32 v137, v120
	s_wait_dscnt 0x2
	v_dual_mov_b32 v138, v125 :: v_dual_mov_b32 v139, v124
	s_wait_dscnt 0x1
	v_dual_mov_b32 v144, v129 :: v_dual_mov_b32 v145, v128
	s_wait_loadcnt 0x4
	v_pk_mul_f32 v[140:141], v[118:119], v[106:107] op_sel:[1,1] op_sel_hi:[0,1]
	v_mov_b32_e32 v142, v109
	s_wait_loadcnt 0x3
	v_pk_mul_f32 v[146:147], v[122:123], v[110:111] op_sel:[1,1] op_sel_hi:[0,1]
	s_wait_loadcnt 0x2
	v_pk_mul_f32 v[150:151], v[126:127], v[114:115] op_sel:[1,1] op_sel_hi:[0,1]
	v_pk_fma_f32 v[148:149], v[118:119], v[106:107], v[140:141] op_sel_hi:[1,0,1]
	v_pk_mul_f32 v[136:137], v[136:137], v[142:143] op_sel_hi:[1,0]
	v_pk_fma_f32 v[106:107], v[118:119], v[106:107], v[140:141] neg_lo:[0,0,1] neg_hi:[0,0,1]
	v_mov_b32_e32 v142, v113
	v_pk_fma_f32 v[140:141], v[122:123], v[110:111], v[146:147] op_sel_hi:[1,0,1]
	v_mov_b32_e32 v107, v149
	v_pk_fma_f32 v[118:119], v[120:121], v[108:109], v[136:137] op_sel_hi:[1,0,1]
	v_pk_fma_f32 v[108:109], v[120:121], v[108:109], v[136:137] neg_lo:[0,0,1] neg_hi:[0,0,1]
	v_pk_mul_f32 v[138:139], v[138:139], v[142:143] op_sel_hi:[1,0]
	v_pk_fma_f32 v[110:111], v[122:123], v[110:111], v[146:147] neg_lo:[0,0,1] neg_hi:[0,0,1]
	v_pk_add_f32 v[106:107], v[106:107], 0 op_sel_hi:[1,0]
	v_dual_mov_b32 v109, v119 :: v_dual_mov_b32 v118, v117
	s_delay_alu instid0(VALU_DEP_4) | instskip(SKIP_2) | instid1(VALU_DEP_4)
	v_pk_fma_f32 v[120:121], v[124:125], v[112:113], v[138:139] op_sel_hi:[1,0,1]
	v_mov_b32_e32 v111, v141
	v_pk_fma_f32 v[112:113], v[124:125], v[112:113], v[138:139] neg_lo:[0,0,1] neg_hi:[0,0,1]
	v_pk_add_f32 v[106:107], v[106:107], v[108:109]
	v_pk_fma_f32 v[108:109], v[126:127], v[114:115], v[150:151] op_sel_hi:[1,0,1]
	v_pk_mul_f32 v[118:119], v[144:145], v[118:119] op_sel_hi:[1,0]
	v_mov_b32_e32 v113, v121
	s_delay_alu instid0(VALU_DEP_4)
	v_pk_add_f32 v[106:107], v[106:107], v[110:111]
	v_pk_fma_f32 v[110:111], v[126:127], v[114:115], v[150:151] neg_lo:[0,0,1] neg_hi:[0,0,1]
	v_mov_b32_e32 v111, v109
	v_pk_fma_f32 v[108:109], v[128:129], v[116:117], v[118:119] op_sel_hi:[1,0,1]
	v_pk_fma_f32 v[114:115], v[128:129], v[116:117], v[118:119] neg_lo:[0,0,1] neg_hi:[0,0,1]
	v_pk_add_f32 v[106:107], v[106:107], v[112:113]
	s_wait_loadcnt_dscnt 0x100
	v_pk_mul_f32 v[112:113], v[134:135], v[130:131] op_sel:[1,1] op_sel_hi:[0,1]
	v_mov_b32_e32 v115, v109
	s_delay_alu instid0(VALU_DEP_3) | instskip(NEXT) | instid1(VALU_DEP_3)
	v_pk_add_f32 v[106:107], v[106:107], v[110:111]
	v_pk_fma_f32 v[108:109], v[134:135], v[130:131], v[112:113] op_sel_hi:[1,0,1]
	v_pk_fma_f32 v[110:111], v[134:135], v[130:131], v[112:113] neg_lo:[0,0,1] neg_hi:[0,0,1]
	s_delay_alu instid0(VALU_DEP_3) | instskip(NEXT) | instid1(VALU_DEP_3)
	v_pk_add_f32 v[106:107], v[106:107], v[114:115]
	v_mov_b32_e32 v111, v109
	s_delay_alu instid0(VALU_DEP_1) | instskip(SKIP_1) | instid1(VALU_DEP_1)
	v_pk_add_f32 v[106:107], v[106:107], v[110:111]
	s_wait_loadcnt 0x0
	v_pk_add_f32 v[106:107], v[132:133], v[106:107] neg_lo:[0,1] neg_hi:[0,1]
	scratch_store_b64 off, v[106:107], off offset:352
	s_wait_xcnt 0x0
	v_cmpx_lt_u32_e32 43, v0
	s_cbranch_execz .LBB115_239
; %bb.238:
	scratch_load_b64 v[106:107], off, off offset:344
	v_mov_b64_e32 v[108:109], 0
	scratch_store_b64 off, v[108:109], off offset:344
	s_wait_loadcnt 0x0
	ds_store_b64 v1, v[106:107]
.LBB115_239:
	s_wait_xcnt 0x0
	s_or_b32 exec_lo, exec_lo, s0
	s_wait_storecnt_dscnt 0x0
	s_barrier_signal -1
	s_barrier_wait -1
	s_clause 0x4
	scratch_load_b128 v[106:109], off, off offset:352
	scratch_load_b128 v[110:113], off, off offset:368
	;; [unrolled: 1-line block ×4, first 2 shown]
	scratch_load_b64 v[138:139], off, off offset:344
	ds_load_b128 v[122:125], v7 offset:768
	ds_load_b128 v[126:129], v7 offset:784
	;; [unrolled: 1-line block ×4, first 2 shown]
	s_mov_b32 s0, exec_lo
	s_wait_dscnt 0x3
	v_dual_mov_b32 v140, v125 :: v_dual_mov_b32 v141, v124
	s_wait_dscnt 0x2
	v_dual_mov_b32 v142, v129 :: v_dual_mov_b32 v143, v128
	;; [unrolled: 2-line block ×3, first 2 shown]
	v_dual_mov_b32 v145, v132 :: v_dual_mov_b32 v150, v137
	s_wait_loadcnt 0x4
	v_mov_b32_e32 v148, v109
	v_pk_mul_f32 v[146:147], v[122:123], v[106:107] op_sel:[1,1] op_sel_hi:[0,1]
	s_wait_loadcnt 0x3
	v_pk_mul_f32 v[152:153], v[126:127], v[110:111] op_sel:[1,1] op_sel_hi:[0,1]
	s_wait_loadcnt 0x2
	v_pk_mul_f32 v[156:157], v[130:131], v[114:115] op_sel:[1,1] op_sel_hi:[0,1]
	v_pk_mul_f32 v[140:141], v[140:141], v[148:149] op_sel_hi:[1,0]
	v_pk_fma_f32 v[154:155], v[122:123], v[106:107], v[146:147] op_sel_hi:[1,0,1]
	v_pk_fma_f32 v[106:107], v[122:123], v[106:107], v[146:147] neg_lo:[0,0,1] neg_hi:[0,0,1]
	v_mov_b32_e32 v148, v113
	v_pk_fma_f32 v[146:147], v[126:127], v[110:111], v[152:153] op_sel_hi:[1,0,1]
	v_pk_fma_f32 v[122:123], v[124:125], v[108:109], v[140:141] op_sel_hi:[1,0,1]
	v_mov_b32_e32 v107, v155
	v_pk_fma_f32 v[108:109], v[124:125], v[108:109], v[140:141] neg_lo:[0,0,1] neg_hi:[0,0,1]
	v_pk_mul_f32 v[142:143], v[142:143], v[148:149] op_sel_hi:[1,0]
	s_delay_alu instid0(VALU_DEP_4) | instskip(NEXT) | instid1(VALU_DEP_4)
	v_dual_mov_b32 v122, v117 :: v_dual_mov_b32 v109, v123
	v_pk_add_f32 v[106:107], v[106:107], 0 op_sel_hi:[1,0]
	v_pk_fma_f32 v[110:111], v[126:127], v[110:111], v[152:153] neg_lo:[0,0,1] neg_hi:[0,0,1]
	v_mov_b32_e32 v111, v147
	v_pk_fma_f32 v[124:125], v[128:129], v[112:113], v[142:143] op_sel_hi:[1,0,1]
	v_pk_mul_f32 v[122:123], v[144:145], v[122:123] op_sel_hi:[1,0]
	v_pk_add_f32 v[106:107], v[106:107], v[108:109]
	v_pk_fma_f32 v[108:109], v[130:131], v[114:115], v[156:157] op_sel_hi:[1,0,1]
	v_pk_fma_f32 v[112:113], v[128:129], v[112:113], v[142:143] neg_lo:[0,0,1] neg_hi:[0,0,1]
	v_mov_b32_e32 v113, v125
	v_pk_fma_f32 v[114:115], v[130:131], v[114:115], v[156:157] neg_lo:[0,0,1] neg_hi:[0,0,1]
	v_pk_add_f32 v[106:107], v[106:107], v[110:111]
	v_mov_b32_e32 v115, v109
	v_pk_fma_f32 v[108:109], v[132:133], v[116:117], v[122:123] op_sel_hi:[1,0,1]
	s_wait_loadcnt 0x1
	v_pk_mul_f32 v[110:111], v[134:135], v[118:119] op_sel:[1,1] op_sel_hi:[0,1]
	v_mov_b32_e32 v108, v121
	v_pk_add_f32 v[106:107], v[106:107], v[112:113]
	v_pk_fma_f32 v[116:117], v[132:133], v[116:117], v[122:123] neg_lo:[0,0,1] neg_hi:[0,0,1]
	v_mov_b32_e32 v117, v109
	v_pk_fma_f32 v[112:113], v[134:135], v[118:119], v[110:111] op_sel_hi:[1,0,1]
	v_pk_mul_f32 v[108:109], v[150:151], v[108:109] op_sel_hi:[1,0]
	v_pk_add_f32 v[106:107], v[106:107], v[114:115]
	v_pk_fma_f32 v[110:111], v[134:135], v[118:119], v[110:111] neg_lo:[0,0,1] neg_hi:[0,0,1]
	s_delay_alu instid0(VALU_DEP_4) | instskip(NEXT) | instid1(VALU_DEP_4)
	v_mov_b32_e32 v111, v113
	v_pk_fma_f32 v[112:113], v[136:137], v[120:121], v[108:109] op_sel_hi:[1,0,1]
	s_delay_alu instid0(VALU_DEP_4) | instskip(SKIP_1) | instid1(VALU_DEP_3)
	v_pk_add_f32 v[106:107], v[106:107], v[116:117]
	v_pk_fma_f32 v[108:109], v[136:137], v[120:121], v[108:109] neg_lo:[0,0,1] neg_hi:[0,0,1]
	v_mov_b32_e32 v109, v113
	s_delay_alu instid0(VALU_DEP_3) | instskip(NEXT) | instid1(VALU_DEP_1)
	v_pk_add_f32 v[106:107], v[106:107], v[110:111]
	v_pk_add_f32 v[106:107], v[106:107], v[108:109]
	s_wait_loadcnt 0x0
	s_delay_alu instid0(VALU_DEP_1)
	v_pk_add_f32 v[106:107], v[138:139], v[106:107] neg_lo:[0,1] neg_hi:[0,1]
	scratch_store_b64 off, v[106:107], off offset:344
	s_wait_xcnt 0x0
	v_cmpx_lt_u32_e32 42, v0
	s_cbranch_execz .LBB115_241
; %bb.240:
	scratch_load_b64 v[106:107], off, off offset:336
	v_mov_b64_e32 v[108:109], 0
	scratch_store_b64 off, v[108:109], off offset:336
	s_wait_loadcnt 0x0
	ds_store_b64 v1, v[106:107]
.LBB115_241:
	s_wait_xcnt 0x0
	s_or_b32 exec_lo, exec_lo, s0
	s_wait_storecnt_dscnt 0x0
	s_barrier_signal -1
	s_barrier_wait -1
	s_clause 0x5
	scratch_load_b128 v[106:109], off, off offset:344
	scratch_load_b128 v[110:113], off, off offset:360
	;; [unrolled: 1-line block ×4, first 2 shown]
	scratch_load_b64 v[138:139], off, off offset:408
	scratch_load_b64 v[140:141], off, off offset:336
	v_mov_b32_e32 v7, 0
	ds_load_2addr_b64 v[122:125], v7 offset0:95 offset1:96
	ds_load_2addr_b64 v[126:129], v7 offset0:97 offset1:98
	;; [unrolled: 1-line block ×4, first 2 shown]
	ds_load_b64 v[142:143], v7 offset:824
	s_mov_b32 s0, exec_lo
	s_wait_dscnt 0x4
	v_dual_mov_b32 v144, v125 :: v_dual_mov_b32 v145, v124
	s_wait_dscnt 0x1
	v_dual_mov_b32 v146, v129 :: v_dual_mov_b32 v151, v136
	v_dual_mov_b32 v147, v128 :: v_dual_mov_b32 v148, v133
	;; [unrolled: 1-line block ×3, first 2 shown]
	s_wait_loadcnt 0x5
	v_dual_mov_b32 v152, v109 :: v_dual_mul_f32 v153, v122, v107
	v_mul_f32_e32 v9, v123, v107
	s_wait_loadcnt 0x4
	v_pk_mul_f32 v[154:155], v[126:127], v[110:111] op_sel:[1,1] op_sel_hi:[0,1]
	v_mov_b32_e32 v156, v113
	s_wait_loadcnt 0x3
	v_pk_mul_f32 v[158:159], v[130:131], v[114:115] op_sel:[1,1] op_sel_hi:[0,1]
	v_pk_mul_f32 v[144:145], v[144:145], v[152:153] op_sel_hi:[1,0]
	v_fmac_f32_e32 v153, v123, v106
	v_dual_fma_f32 v152, v122, v106, -v9 :: v_dual_mov_b32 v106, v117
	v_pk_fma_f32 v[160:161], v[126:127], v[110:111], v[154:155] op_sel_hi:[1,0,1]
	s_delay_alu instid0(VALU_DEP_4)
	v_pk_fma_f32 v[122:123], v[124:125], v[108:109], v[144:145] op_sel_hi:[1,0,1]
	v_pk_fma_f32 v[108:109], v[124:125], v[108:109], v[144:145] neg_lo:[0,0,1] neg_hi:[0,0,1]
	v_pk_mul_f32 v[146:147], v[146:147], v[156:157] op_sel_hi:[1,0]
	v_pk_add_f32 v[152:153], v[152:153], 0 op_sel_hi:[1,0]
	v_pk_fma_f32 v[110:111], v[126:127], v[110:111], v[154:155] neg_lo:[0,0,1] neg_hi:[0,0,1]
	v_dual_mov_b32 v109, v123 :: v_dual_mov_b32 v111, v161
	s_delay_alu instid0(VALU_DEP_4) | instskip(SKIP_2) | instid1(VALU_DEP_4)
	v_pk_fma_f32 v[124:125], v[128:129], v[112:113], v[146:147] op_sel_hi:[1,0,1]
	v_pk_fma_f32 v[112:113], v[128:129], v[112:113], v[146:147] neg_lo:[0,0,1] neg_hi:[0,0,1]
	v_pk_fma_f32 v[126:127], v[130:131], v[114:115], v[158:159] op_sel_hi:[1,0,1]
	v_pk_add_f32 v[108:109], v[152:153], v[108:109]
	v_pk_mul_f32 v[106:107], v[148:149], v[106:107] op_sel_hi:[1,0]
	v_mov_b32_e32 v113, v125
	v_pk_fma_f32 v[114:115], v[130:131], v[114:115], v[158:159] neg_lo:[0,0,1] neg_hi:[0,0,1]
	s_wait_loadcnt 0x2
	v_pk_mul_f32 v[122:123], v[134:135], v[118:119] op_sel:[1,1] op_sel_hi:[0,1]
	v_pk_add_f32 v[108:109], v[108:109], v[110:111]
	v_mov_b32_e32 v110, v121
	v_pk_fma_f32 v[124:125], v[132:133], v[116:117], v[106:107] op_sel_hi:[1,0,1]
	v_mov_b32_e32 v115, v127
	v_pk_fma_f32 v[106:107], v[132:133], v[116:117], v[106:107] neg_lo:[0,0,1] neg_hi:[0,0,1]
	v_pk_add_f32 v[108:109], v[108:109], v[112:113]
	v_pk_fma_f32 v[112:113], v[134:135], v[118:119], v[122:123] op_sel_hi:[1,0,1]
	v_pk_mul_f32 v[110:111], v[150:151], v[110:111] op_sel_hi:[1,0]
	v_mov_b32_e32 v107, v125
	s_delay_alu instid0(VALU_DEP_4)
	v_pk_add_f32 v[108:109], v[108:109], v[114:115]
	v_pk_fma_f32 v[114:115], v[134:135], v[118:119], v[122:123] neg_lo:[0,0,1] neg_hi:[0,0,1]
	v_mov_b32_e32 v115, v113
	v_pk_fma_f32 v[112:113], v[136:137], v[120:121], v[110:111] op_sel_hi:[1,0,1]
	v_pk_fma_f32 v[110:111], v[136:137], v[120:121], v[110:111] neg_lo:[0,0,1] neg_hi:[0,0,1]
	v_pk_add_f32 v[106:107], v[108:109], v[106:107]
	s_wait_loadcnt_dscnt 0x100
	v_pk_mul_f32 v[108:109], v[142:143], v[138:139] op_sel:[1,1] op_sel_hi:[0,1]
	v_mov_b32_e32 v111, v113
	s_delay_alu instid0(VALU_DEP_3) | instskip(NEXT) | instid1(VALU_DEP_3)
	v_pk_add_f32 v[106:107], v[106:107], v[114:115]
	v_pk_fma_f32 v[112:113], v[142:143], v[138:139], v[108:109] op_sel_hi:[1,0,1]
	v_pk_fma_f32 v[108:109], v[142:143], v[138:139], v[108:109] neg_lo:[0,0,1] neg_hi:[0,0,1]
	s_delay_alu instid0(VALU_DEP_3) | instskip(NEXT) | instid1(VALU_DEP_3)
	v_pk_add_f32 v[106:107], v[106:107], v[110:111]
	v_mov_b32_e32 v109, v113
	s_delay_alu instid0(VALU_DEP_1) | instskip(SKIP_1) | instid1(VALU_DEP_1)
	v_pk_add_f32 v[106:107], v[106:107], v[108:109]
	s_wait_loadcnt 0x0
	v_pk_add_f32 v[106:107], v[140:141], v[106:107] neg_lo:[0,1] neg_hi:[0,1]
	scratch_store_b64 off, v[106:107], off offset:336
	s_wait_xcnt 0x0
	v_cmpx_lt_u32_e32 41, v0
	s_cbranch_execz .LBB115_243
; %bb.242:
	scratch_load_b64 v[106:107], off, off offset:328
	v_mov_b64_e32 v[108:109], 0
	scratch_store_b64 off, v[108:109], off offset:328
	s_wait_loadcnt 0x0
	ds_store_b64 v1, v[106:107]
.LBB115_243:
	s_wait_xcnt 0x0
	s_or_b32 exec_lo, exec_lo, s0
	s_wait_storecnt_dscnt 0x0
	s_barrier_signal -1
	s_barrier_wait -1
	s_clause 0x5
	scratch_load_b128 v[106:109], off, off offset:336
	scratch_load_b128 v[110:113], off, off offset:352
	;; [unrolled: 1-line block ×5, first 2 shown]
	scratch_load_b64 v[146:147], off, off offset:328
	ds_load_b128 v[126:129], v7 offset:768
	ds_load_b128 v[130:133], v7 offset:784
	;; [unrolled: 1-line block ×5, first 2 shown]
	s_mov_b32 s0, exec_lo
	s_wait_dscnt 0x4
	v_dual_mov_b32 v148, v129 :: v_dual_mov_b32 v149, v128
	s_wait_dscnt 0x3
	v_dual_mov_b32 v150, v133 :: v_dual_mov_b32 v151, v132
	;; [unrolled: 2-line block ×4, first 2 shown]
	s_wait_loadcnt_dscnt 0x500
	v_dual_mul_f32 v157, v142, v107 :: v_dual_mul_f32 v159, v144, v109
	v_dual_mul_f32 v7, v143, v107 :: v_dual_mul_f32 v9, v145, v109
	s_wait_loadcnt 0x4
	v_pk_mul_f32 v[160:161], v[126:127], v[110:111] op_sel:[1,1] op_sel_hi:[0,1]
	s_wait_loadcnt 0x3
	v_dual_mov_b32 v162, v113 :: v_dual_mov_b32 v166, v117
	v_dual_fmac_f32 v157, v143, v106 :: v_dual_fma_f32 v156, v142, v106, -v7
	v_dual_fmac_f32 v159, v145, v108 :: v_dual_fma_f32 v158, v144, v108, -v9
	v_pk_fma_f32 v[106:107], v[126:127], v[110:111], v[160:161] op_sel_hi:[1,0,1]
	s_delay_alu instid0(VALU_DEP_4) | instskip(NEXT) | instid1(VALU_DEP_4)
	v_pk_mul_f32 v[108:109], v[148:149], v[162:163] op_sel_hi:[1,0]
	v_pk_add_f32 v[142:143], v[156:157], 0 op_sel_hi:[1,0]
	v_pk_fma_f32 v[110:111], v[126:127], v[110:111], v[160:161] neg_lo:[0,0,1] neg_hi:[0,0,1]
	v_pk_mul_f32 v[164:165], v[130:131], v[114:115] op_sel:[1,1] op_sel_hi:[0,1]
	v_mov_b32_e32 v111, v107
	v_pk_fma_f32 v[106:107], v[128:129], v[112:113], v[108:109] op_sel_hi:[1,0,1]
	v_pk_add_f32 v[126:127], v[142:143], v[158:159]
	v_pk_fma_f32 v[108:109], v[128:129], v[112:113], v[108:109] neg_lo:[0,0,1] neg_hi:[0,0,1]
	v_pk_fma_f32 v[142:143], v[130:131], v[114:115], v[164:165] op_sel_hi:[1,0,1]
	v_pk_mul_f32 v[148:149], v[150:151], v[166:167] op_sel_hi:[1,0]
	v_mov_b32_e32 v109, v107
	v_pk_add_f32 v[106:107], v[126:127], v[110:111]
	s_wait_loadcnt 0x2
	v_pk_mul_f32 v[144:145], v[134:135], v[118:119] op_sel:[1,1] op_sel_hi:[0,1]
	v_mov_b32_e32 v110, v121
	v_pk_fma_f32 v[112:113], v[130:131], v[114:115], v[164:165] neg_lo:[0,0,1] neg_hi:[0,0,1]
	v_mov_b32_e32 v113, v143
	v_pk_fma_f32 v[114:115], v[132:133], v[116:117], v[148:149] op_sel_hi:[1,0,1]
	v_pk_add_f32 v[106:107], v[106:107], v[108:109]
	v_pk_fma_f32 v[108:109], v[134:135], v[118:119], v[144:145] op_sel_hi:[1,0,1]
	v_pk_mul_f32 v[110:111], v[152:153], v[110:111] op_sel_hi:[1,0]
	v_pk_fma_f32 v[116:117], v[132:133], v[116:117], v[148:149] neg_lo:[0,0,1] neg_hi:[0,0,1]
	v_mov_b32_e32 v117, v115
	v_pk_add_f32 v[106:107], v[106:107], v[112:113]
	v_pk_fma_f32 v[114:115], v[134:135], v[118:119], v[144:145] neg_lo:[0,0,1] neg_hi:[0,0,1]
	v_mov_b32_e32 v115, v109
	v_pk_fma_f32 v[108:109], v[136:137], v[120:121], v[110:111] op_sel_hi:[1,0,1]
	s_wait_loadcnt 0x1
	v_pk_mul_f32 v[112:113], v[138:139], v[122:123] op_sel:[1,1] op_sel_hi:[0,1]
	v_pk_add_f32 v[106:107], v[106:107], v[116:117]
	v_mov_b32_e32 v108, v125
	v_pk_fma_f32 v[110:111], v[136:137], v[120:121], v[110:111] neg_lo:[0,0,1] neg_hi:[0,0,1]
	v_mov_b32_e32 v111, v109
	v_pk_fma_f32 v[116:117], v[138:139], v[122:123], v[112:113] op_sel_hi:[1,0,1]
	v_pk_add_f32 v[106:107], v[106:107], v[114:115]
	v_pk_mul_f32 v[108:109], v[154:155], v[108:109] op_sel_hi:[1,0]
	v_pk_fma_f32 v[112:113], v[138:139], v[122:123], v[112:113] neg_lo:[0,0,1] neg_hi:[0,0,1]
	s_delay_alu instid0(VALU_DEP_3) | instskip(NEXT) | instid1(VALU_DEP_3)
	v_pk_add_f32 v[106:107], v[106:107], v[110:111]
	v_pk_fma_f32 v[110:111], v[140:141], v[124:125], v[108:109] op_sel_hi:[1,0,1]
	v_mov_b32_e32 v113, v117
	v_pk_fma_f32 v[108:109], v[140:141], v[124:125], v[108:109] neg_lo:[0,0,1] neg_hi:[0,0,1]
	s_delay_alu instid0(VALU_DEP_3) | instskip(NEXT) | instid1(VALU_DEP_3)
	v_mov_b32_e32 v109, v111
	v_pk_add_f32 v[106:107], v[106:107], v[112:113]
	s_delay_alu instid0(VALU_DEP_1) | instskip(SKIP_1) | instid1(VALU_DEP_1)
	v_pk_add_f32 v[106:107], v[106:107], v[108:109]
	s_wait_loadcnt 0x0
	v_pk_add_f32 v[106:107], v[146:147], v[106:107] neg_lo:[0,1] neg_hi:[0,1]
	scratch_store_b64 off, v[106:107], off offset:328
	s_wait_xcnt 0x0
	v_cmpx_lt_u32_e32 40, v0
	s_cbranch_execz .LBB115_245
; %bb.244:
	scratch_load_b64 v[106:107], off, off offset:320
	v_mov_b64_e32 v[108:109], 0
	scratch_store_b64 off, v[108:109], off offset:320
	s_wait_loadcnt 0x0
	ds_store_b64 v1, v[106:107]
.LBB115_245:
	s_wait_xcnt 0x0
	s_or_b32 exec_lo, exec_lo, s0
	s_wait_storecnt_dscnt 0x0
	s_barrier_signal -1
	s_barrier_wait -1
	s_clause 0x6
	scratch_load_b128 v[106:109], off, off offset:328
	scratch_load_b128 v[110:113], off, off offset:344
	;; [unrolled: 1-line block ×5, first 2 shown]
	scratch_load_b64 v[146:147], off, off offset:408
	scratch_load_b64 v[148:149], off, off offset:320
	v_mov_b32_e32 v7, 0
	ds_load_2addr_b64 v[126:129], v7 offset0:95 offset1:96
	ds_load_2addr_b64 v[130:133], v7 offset0:97 offset1:98
	;; [unrolled: 1-line block ×5, first 2 shown]
	ds_load_b64 v[150:151], v7 offset:824
	s_mov_b32 s0, exec_lo
	s_wait_dscnt 0x5
	v_dual_mov_b32 v152, v129 :: v_dual_mov_b32 v153, v128
	s_wait_dscnt 0x2
	v_dual_mov_b32 v154, v133 :: v_dual_mov_b32 v159, v140
	v_dual_mov_b32 v155, v132 :: v_dual_mov_b32 v156, v137
	;; [unrolled: 1-line block ×3, first 2 shown]
	s_wait_loadcnt_dscnt 0x601
	v_dual_mul_f32 v9, v142, v107 :: v_dual_mul_f32 v11, v143, v107
	v_dual_mul_f32 v13, v145, v109 :: v_dual_mul_f32 v161, v144, v109
	s_wait_loadcnt 0x5
	v_dual_mul_f32 v163, v126, v111 :: v_dual_mul_f32 v15, v127, v111
	s_wait_loadcnt 0x4
	v_dual_mov_b32 v162, v113 :: v_dual_mov_b32 v166, v117
	v_dual_fmac_f32 v9, v143, v106 :: v_dual_fma_f32 v11, v142, v106, -v11
	v_fmac_f32_e32 v161, v145, v108
	v_pk_mul_f32 v[164:165], v[130:131], v[114:115] op_sel:[1,1] op_sel_hi:[0,1]
	s_delay_alu instid0(VALU_DEP_3)
	v_dual_fma_f32 v160, v144, v108, -v13 :: v_dual_add_f32 v109, 0, v9
	v_pk_mul_f32 v[106:107], v[152:153], v[162:163] op_sel_hi:[1,0]
	s_wait_loadcnt 0x3
	v_dual_add_f32 v108, 0, v11 :: v_dual_mov_b32 v142, v121
	v_fmac_f32_e32 v163, v127, v110
	v_fma_f32 v162, v126, v110, -v15
	v_pk_fma_f32 v[110:111], v[128:129], v[112:113], v[106:107] op_sel_hi:[1,0,1]
	s_delay_alu instid0(VALU_DEP_4) | instskip(SKIP_4) | instid1(VALU_DEP_4)
	v_pk_add_f32 v[108:109], v[108:109], v[160:161]
	v_pk_fma_f32 v[126:127], v[130:131], v[114:115], v[164:165] op_sel_hi:[1,0,1]
	v_pk_fma_f32 v[106:107], v[128:129], v[112:113], v[106:107] neg_lo:[0,0,1] neg_hi:[0,0,1]
	v_pk_fma_f32 v[112:113], v[130:131], v[114:115], v[164:165] neg_lo:[0,0,1] neg_hi:[0,0,1]
	v_pk_mul_f32 v[144:145], v[154:155], v[166:167] op_sel_hi:[1,0]
	v_dual_mov_b32 v107, v111 :: v_dual_mov_b32 v113, v127
	v_pk_add_f32 v[108:109], v[108:109], v[162:163]
	v_pk_mul_f32 v[168:169], v[134:135], v[118:119] op_sel:[1,1] op_sel_hi:[0,1]
	s_delay_alu instid0(VALU_DEP_4)
	v_pk_fma_f32 v[114:115], v[132:133], v[116:117], v[144:145] op_sel_hi:[1,0,1]
	v_pk_fma_f32 v[116:117], v[132:133], v[116:117], v[144:145] neg_lo:[0,0,1] neg_hi:[0,0,1]
	v_pk_mul_f32 v[126:127], v[156:157], v[142:143] op_sel_hi:[1,0]
	v_pk_add_f32 v[106:107], v[108:109], v[106:107]
	v_pk_fma_f32 v[108:109], v[134:135], v[118:119], v[168:169] op_sel_hi:[1,0,1]
	s_wait_loadcnt 0x2
	v_dual_mov_b32 v117, v115 :: v_dual_mov_b32 v108, v125
	v_pk_mul_f32 v[110:111], v[138:139], v[122:123] op_sel:[1,1] op_sel_hi:[0,1]
	v_pk_add_f32 v[106:107], v[106:107], v[112:113]
	v_pk_fma_f32 v[112:113], v[134:135], v[118:119], v[168:169] neg_lo:[0,0,1] neg_hi:[0,0,1]
	v_pk_fma_f32 v[114:115], v[136:137], v[120:121], v[126:127] op_sel_hi:[1,0,1]
	v_mov_b32_e32 v113, v109
	v_pk_fma_f32 v[118:119], v[136:137], v[120:121], v[126:127] neg_lo:[0,0,1] neg_hi:[0,0,1]
	v_pk_add_f32 v[106:107], v[106:107], v[116:117]
	v_pk_fma_f32 v[116:117], v[138:139], v[122:123], v[110:111] op_sel_hi:[1,0,1]
	v_pk_mul_f32 v[108:109], v[158:159], v[108:109] op_sel_hi:[1,0]
	v_mov_b32_e32 v119, v115
	v_pk_fma_f32 v[110:111], v[138:139], v[122:123], v[110:111] neg_lo:[0,0,1] neg_hi:[0,0,1]
	v_pk_add_f32 v[106:107], v[106:107], v[112:113]
	s_wait_loadcnt_dscnt 0x100
	v_pk_mul_f32 v[114:115], v[150:151], v[146:147] op_sel:[1,1] op_sel_hi:[0,1]
	v_pk_fma_f32 v[112:113], v[140:141], v[124:125], v[108:109] op_sel_hi:[1,0,1]
	v_mov_b32_e32 v111, v117
	v_pk_fma_f32 v[108:109], v[140:141], v[124:125], v[108:109] neg_lo:[0,0,1] neg_hi:[0,0,1]
	v_pk_add_f32 v[106:107], v[106:107], v[118:119]
	s_delay_alu instid0(VALU_DEP_4) | instskip(SKIP_1) | instid1(VALU_DEP_3)
	v_mov_b32_e32 v109, v113
	v_pk_fma_f32 v[112:113], v[150:151], v[146:147], v[114:115] neg_lo:[0,0,1] neg_hi:[0,0,1]
	v_pk_add_f32 v[106:107], v[106:107], v[110:111]
	v_pk_fma_f32 v[110:111], v[150:151], v[146:147], v[114:115] op_sel_hi:[1,0,1]
	s_delay_alu instid0(VALU_DEP_2) | instskip(NEXT) | instid1(VALU_DEP_2)
	v_pk_add_f32 v[106:107], v[106:107], v[108:109]
	v_mov_b32_e32 v113, v111
	s_delay_alu instid0(VALU_DEP_1) | instskip(SKIP_1) | instid1(VALU_DEP_1)
	v_pk_add_f32 v[106:107], v[106:107], v[112:113]
	s_wait_loadcnt 0x0
	v_pk_add_f32 v[106:107], v[148:149], v[106:107] neg_lo:[0,1] neg_hi:[0,1]
	scratch_store_b64 off, v[106:107], off offset:320
	s_wait_xcnt 0x0
	v_cmpx_lt_u32_e32 39, v0
	s_cbranch_execz .LBB115_247
; %bb.246:
	scratch_load_b64 v[106:107], off, off offset:312
	v_mov_b64_e32 v[108:109], 0
	scratch_store_b64 off, v[108:109], off offset:312
	s_wait_loadcnt 0x0
	ds_store_b64 v1, v[106:107]
.LBB115_247:
	s_wait_xcnt 0x0
	s_or_b32 exec_lo, exec_lo, s0
	s_wait_storecnt_dscnt 0x0
	s_barrier_signal -1
	s_barrier_wait -1
	s_clause 0x6
	scratch_load_b128 v[106:109], off, off offset:320
	scratch_load_b128 v[110:113], off, off offset:336
	;; [unrolled: 1-line block ×6, first 2 shown]
	scratch_load_b64 v[154:155], off, off offset:312
	ds_load_b128 v[130:133], v7 offset:768
	ds_load_b128 v[134:137], v7 offset:784
	;; [unrolled: 1-line block ×6, first 2 shown]
	s_mov_b32 s0, exec_lo
	s_wait_dscnt 0x5
	v_dual_mov_b32 v156, v133 :: v_dual_mov_b32 v157, v132
	s_wait_dscnt 0x4
	v_dual_mov_b32 v158, v137 :: v_dual_mov_b32 v159, v136
	;; [unrolled: 2-line block ×4, first 2 shown]
	s_wait_loadcnt_dscnt 0x601
	v_dual_mul_f32 v7, v146, v107 :: v_dual_mul_f32 v9, v148, v109
	v_dual_mul_f32 v11, v147, v107 :: v_dual_mul_f32 v13, v149, v109
	s_wait_loadcnt 0x4
	s_delay_alu instid0(VALU_DEP_2)
	v_dual_mov_b32 v170, v117 :: v_dual_fmac_f32 v7, v147, v106
	s_wait_dscnt 0x0
	v_dual_mul_f32 v165, v150, v111 :: v_dual_mul_f32 v167, v152, v113
	v_dual_fma_f32 v11, v146, v106, -v11 :: v_dual_fmac_f32 v9, v149, v108
	v_dual_mul_f32 v15, v151, v111 :: v_dual_mul_f32 v17, v153, v113
	v_dual_fma_f32 v13, v148, v108, -v13 :: v_dual_add_f32 v7, 0, v7
	s_wait_loadcnt 0x3
	s_delay_alu instid0(VALU_DEP_3) | instskip(SKIP_3) | instid1(VALU_DEP_4)
	v_dual_add_f32 v11, 0, v11 :: v_dual_mov_b32 v108, v121
	v_pk_mul_f32 v[168:169], v[130:131], v[114:115] op_sel:[1,1] op_sel_hi:[0,1]
	v_dual_fmac_f32 v165, v151, v110 :: v_dual_fma_f32 v164, v150, v110, -v15
	v_dual_add_f32 v111, v7, v9 :: v_dual_fmac_f32 v167, v153, v112
	v_dual_add_f32 v110, v11, v13 :: v_dual_fma_f32 v166, v152, v112, -v17
	s_delay_alu instid0(VALU_DEP_4) | instskip(SKIP_2) | instid1(VALU_DEP_4)
	v_pk_fma_f32 v[112:113], v[130:131], v[114:115], v[168:169] op_sel_hi:[1,0,1]
	v_pk_mul_f32 v[146:147], v[156:157], v[170:171] op_sel_hi:[1,0]
	v_pk_fma_f32 v[114:115], v[130:131], v[114:115], v[168:169] neg_lo:[0,0,1] neg_hi:[0,0,1]
	v_pk_add_f32 v[110:111], v[110:111], v[164:165]
	v_pk_mul_f32 v[106:107], v[134:135], v[118:119] op_sel:[1,1] op_sel_hi:[0,1]
	v_mov_b32_e32 v115, v113
	v_pk_fma_f32 v[112:113], v[132:133], v[116:117], v[146:147] op_sel_hi:[1,0,1]
	v_pk_fma_f32 v[116:117], v[132:133], v[116:117], v[146:147] neg_lo:[0,0,1] neg_hi:[0,0,1]
	v_pk_add_f32 v[110:111], v[110:111], v[166:167]
	v_pk_fma_f32 v[130:131], v[134:135], v[118:119], v[106:107] op_sel_hi:[1,0,1]
	v_pk_mul_f32 v[108:109], v[158:159], v[108:109] op_sel_hi:[1,0]
	v_mov_b32_e32 v117, v113
	v_pk_fma_f32 v[106:107], v[134:135], v[118:119], v[106:107] neg_lo:[0,0,1] neg_hi:[0,0,1]
	v_pk_add_f32 v[110:111], v[110:111], v[114:115]
	s_wait_loadcnt 0x2
	v_pk_mul_f32 v[148:149], v[138:139], v[122:123] op_sel:[1,1] op_sel_hi:[0,1]
	v_dual_mov_b32 v112, v125 :: v_dual_mov_b32 v107, v131
	v_pk_fma_f32 v[114:115], v[136:137], v[120:121], v[108:109] op_sel_hi:[1,0,1]
	v_pk_add_f32 v[110:111], v[110:111], v[116:117]
	v_pk_fma_f32 v[108:109], v[136:137], v[120:121], v[108:109] neg_lo:[0,0,1] neg_hi:[0,0,1]
	v_pk_fma_f32 v[116:117], v[138:139], v[122:123], v[148:149] op_sel_hi:[1,0,1]
	v_pk_mul_f32 v[112:113], v[160:161], v[112:113] op_sel_hi:[1,0]
	v_mov_b32_e32 v109, v115
	v_pk_add_f32 v[106:107], v[110:111], v[106:107]
	v_pk_fma_f32 v[114:115], v[138:139], v[122:123], v[148:149] neg_lo:[0,0,1] neg_hi:[0,0,1]
	s_wait_loadcnt 0x1
	v_pk_mul_f32 v[110:111], v[142:143], v[126:127] op_sel:[1,1] op_sel_hi:[0,1]
	v_mov_b32_e32 v115, v117
	v_pk_fma_f32 v[116:117], v[140:141], v[124:125], v[112:113] op_sel_hi:[1,0,1]
	v_pk_add_f32 v[106:107], v[106:107], v[108:109]
	v_mov_b32_e32 v108, v129
	v_pk_fma_f32 v[112:113], v[140:141], v[124:125], v[112:113] neg_lo:[0,0,1] neg_hi:[0,0,1]
	v_pk_fma_f32 v[118:119], v[142:143], v[126:127], v[110:111] op_sel_hi:[1,0,1]
	v_mov_b32_e32 v113, v117
	v_pk_add_f32 v[106:107], v[106:107], v[114:115]
	v_pk_mul_f32 v[108:109], v[162:163], v[108:109] op_sel_hi:[1,0]
	v_pk_fma_f32 v[110:111], v[142:143], v[126:127], v[110:111] neg_lo:[0,0,1] neg_hi:[0,0,1]
	s_delay_alu instid0(VALU_DEP_3) | instskip(NEXT) | instid1(VALU_DEP_3)
	v_pk_add_f32 v[106:107], v[106:107], v[112:113]
	v_pk_fma_f32 v[112:113], v[144:145], v[128:129], v[108:109] op_sel_hi:[1,0,1]
	v_mov_b32_e32 v111, v119
	v_pk_fma_f32 v[108:109], v[144:145], v[128:129], v[108:109] neg_lo:[0,0,1] neg_hi:[0,0,1]
	s_delay_alu instid0(VALU_DEP_3) | instskip(NEXT) | instid1(VALU_DEP_3)
	v_mov_b32_e32 v109, v113
	v_pk_add_f32 v[106:107], v[106:107], v[110:111]
	s_delay_alu instid0(VALU_DEP_1) | instskip(SKIP_1) | instid1(VALU_DEP_1)
	v_pk_add_f32 v[106:107], v[106:107], v[108:109]
	s_wait_loadcnt 0x0
	v_pk_add_f32 v[106:107], v[154:155], v[106:107] neg_lo:[0,1] neg_hi:[0,1]
	scratch_store_b64 off, v[106:107], off offset:312
	s_wait_xcnt 0x0
	v_cmpx_lt_u32_e32 38, v0
	s_cbranch_execz .LBB115_249
; %bb.248:
	scratch_load_b64 v[106:107], off, off offset:304
	v_mov_b64_e32 v[108:109], 0
	scratch_store_b64 off, v[108:109], off offset:304
	s_wait_loadcnt 0x0
	ds_store_b64 v1, v[106:107]
.LBB115_249:
	s_wait_xcnt 0x0
	s_or_b32 exec_lo, exec_lo, s0
	s_wait_storecnt_dscnt 0x0
	s_barrier_signal -1
	s_barrier_wait -1
	s_clause 0x7
	scratch_load_b128 v[106:109], off, off offset:312
	scratch_load_b128 v[110:113], off, off offset:328
	;; [unrolled: 1-line block ×6, first 2 shown]
	scratch_load_b64 v[154:155], off, off offset:408
	scratch_load_b64 v[156:157], off, off offset:304
	v_mov_b32_e32 v7, 0
	ds_load_2addr_b64 v[130:133], v7 offset0:95 offset1:96
	ds_load_2addr_b64 v[134:137], v7 offset0:97 offset1:98
	;; [unrolled: 1-line block ×6, first 2 shown]
	ds_load_b64 v[158:159], v7 offset:824
	s_mov_b32 s0, exec_lo
	s_wait_dscnt 0x6
	v_dual_mov_b32 v160, v133 :: v_dual_mov_b32 v161, v132
	s_wait_dscnt 0x3
	v_dual_mov_b32 v162, v137 :: v_dual_mov_b32 v167, v144
	v_dual_mov_b32 v163, v136 :: v_dual_mov_b32 v164, v141
	;; [unrolled: 1-line block ×3, first 2 shown]
	s_wait_loadcnt_dscnt 0x702
	v_dual_mul_f32 v9, v146, v107 :: v_dual_mul_f32 v15, v147, v107
	v_dual_mul_f32 v17, v149, v109 :: v_dual_mul_f32 v11, v148, v109
	s_wait_loadcnt_dscnt 0x601
	s_delay_alu instid0(VALU_DEP_2) | instskip(NEXT) | instid1(VALU_DEP_3)
	v_dual_mul_f32 v13, v150, v111 :: v_dual_fmac_f32 v9, v147, v106
	v_dual_fma_f32 v15, v146, v106, -v15 :: v_dual_mul_f32 v19, v151, v111
	v_mul_f32_e32 v21, v153, v113
	s_wait_loadcnt 0x4
	v_dual_mov_b32 v106, v121 :: v_dual_fma_f32 v17, v148, v108, -v17
	v_dual_fmac_f32 v11, v149, v108 :: v_dual_add_f32 v9, 0, v9
	v_dual_add_f32 v15, 0, v15 :: v_dual_fmac_f32 v13, v151, v110
	v_dual_mul_f32 v169, v152, v113 :: v_dual_mul_f32 v171, v130, v115
	v_dual_mul_f32 v23, v131, v115 :: v_dual_mov_b32 v170, v117
	s_delay_alu instid0(VALU_DEP_4) | instskip(NEXT) | instid1(VALU_DEP_3)
	v_dual_fma_f32 v19, v150, v110, -v19 :: v_dual_add_f32 v9, v9, v11
	v_dual_add_f32 v11, v15, v17 :: v_dual_fmac_f32 v169, v153, v112
	v_pk_mul_f32 v[172:173], v[134:135], v[118:119] op_sel:[1,1] op_sel_hi:[0,1]
	s_delay_alu instid0(VALU_DEP_3)
	v_dual_fma_f32 v168, v152, v112, -v21 :: v_dual_add_f32 v113, v9, v13
	v_pk_mul_f32 v[110:111], v[160:161], v[170:171] op_sel_hi:[1,0]
	s_wait_loadcnt 0x3
	v_dual_add_f32 v112, v11, v19 :: v_dual_mov_b32 v146, v125
	v_fmac_f32_e32 v171, v131, v114
	v_fma_f32 v170, v130, v114, -v23
	v_pk_fma_f32 v[114:115], v[132:133], v[116:117], v[110:111] op_sel_hi:[1,0,1]
	s_delay_alu instid0(VALU_DEP_4) | instskip(SKIP_4) | instid1(VALU_DEP_4)
	v_pk_add_f32 v[112:113], v[112:113], v[168:169]
	v_pk_fma_f32 v[130:131], v[134:135], v[118:119], v[172:173] op_sel_hi:[1,0,1]
	v_pk_fma_f32 v[110:111], v[132:133], v[116:117], v[110:111] neg_lo:[0,0,1] neg_hi:[0,0,1]
	v_pk_fma_f32 v[116:117], v[134:135], v[118:119], v[172:173] neg_lo:[0,0,1] neg_hi:[0,0,1]
	v_pk_mul_f32 v[106:107], v[162:163], v[106:107] op_sel_hi:[1,0]
	v_dual_mov_b32 v111, v115 :: v_dual_mov_b32 v117, v131
	v_pk_add_f32 v[112:113], v[112:113], v[170:171]
	v_pk_mul_f32 v[108:109], v[138:139], v[122:123] op_sel:[1,1] op_sel_hi:[0,1]
	s_delay_alu instid0(VALU_DEP_4)
	v_pk_fma_f32 v[118:119], v[136:137], v[120:121], v[106:107] op_sel_hi:[1,0,1]
	v_pk_fma_f32 v[106:107], v[136:137], v[120:121], v[106:107] neg_lo:[0,0,1] neg_hi:[0,0,1]
	v_pk_mul_f32 v[130:131], v[164:165], v[146:147] op_sel_hi:[1,0]
	v_pk_add_f32 v[110:111], v[112:113], v[110:111]
	v_pk_fma_f32 v[112:113], v[138:139], v[122:123], v[108:109] op_sel_hi:[1,0,1]
	s_wait_loadcnt 0x2
	v_dual_mov_b32 v107, v119 :: v_dual_mov_b32 v112, v129
	v_pk_fma_f32 v[108:109], v[138:139], v[122:123], v[108:109] neg_lo:[0,0,1] neg_hi:[0,0,1]
	v_pk_add_f32 v[110:111], v[110:111], v[116:117]
	v_pk_mul_f32 v[114:115], v[142:143], v[126:127] op_sel:[1,1] op_sel_hi:[0,1]
	v_pk_fma_f32 v[116:117], v[140:141], v[124:125], v[130:131] op_sel_hi:[1,0,1]
	v_mov_b32_e32 v109, v113
	v_pk_fma_f32 v[118:119], v[140:141], v[124:125], v[130:131] neg_lo:[0,0,1] neg_hi:[0,0,1]
	v_pk_add_f32 v[106:107], v[110:111], v[106:107]
	v_pk_fma_f32 v[110:111], v[142:143], v[126:127], v[114:115] op_sel_hi:[1,0,1]
	v_pk_mul_f32 v[112:113], v[166:167], v[112:113] op_sel_hi:[1,0]
	v_mov_b32_e32 v119, v117
	s_delay_alu instid0(VALU_DEP_4)
	v_pk_add_f32 v[106:107], v[106:107], v[108:109]
	v_pk_fma_f32 v[108:109], v[142:143], v[126:127], v[114:115] neg_lo:[0,0,1] neg_hi:[0,0,1]
	v_mov_b32_e32 v109, v111
	v_pk_fma_f32 v[110:111], v[144:145], v[128:129], v[112:113] op_sel_hi:[1,0,1]
	s_wait_loadcnt_dscnt 0x100
	v_pk_mul_f32 v[114:115], v[158:159], v[154:155] op_sel:[1,1] op_sel_hi:[0,1]
	v_pk_add_f32 v[106:107], v[106:107], v[118:119]
	v_pk_fma_f32 v[112:113], v[144:145], v[128:129], v[112:113] neg_lo:[0,0,1] neg_hi:[0,0,1]
	v_mov_b32_e32 v113, v111
	s_delay_alu instid0(VALU_DEP_4) | instskip(NEXT) | instid1(VALU_DEP_4)
	v_pk_fma_f32 v[110:111], v[158:159], v[154:155], v[114:115] neg_lo:[0,0,1] neg_hi:[0,0,1]
	v_pk_add_f32 v[106:107], v[106:107], v[108:109]
	v_pk_fma_f32 v[108:109], v[158:159], v[154:155], v[114:115] op_sel_hi:[1,0,1]
	s_delay_alu instid0(VALU_DEP_2) | instskip(NEXT) | instid1(VALU_DEP_2)
	v_pk_add_f32 v[106:107], v[106:107], v[112:113]
	v_mov_b32_e32 v111, v109
	s_delay_alu instid0(VALU_DEP_1) | instskip(SKIP_1) | instid1(VALU_DEP_1)
	v_pk_add_f32 v[106:107], v[106:107], v[110:111]
	s_wait_loadcnt 0x0
	v_pk_add_f32 v[106:107], v[156:157], v[106:107] neg_lo:[0,1] neg_hi:[0,1]
	scratch_store_b64 off, v[106:107], off offset:304
	s_wait_xcnt 0x0
	v_cmpx_lt_u32_e32 37, v0
	s_cbranch_execz .LBB115_251
; %bb.250:
	scratch_load_b64 v[106:107], off, off offset:296
	v_mov_b64_e32 v[108:109], 0
	scratch_store_b64 off, v[108:109], off offset:296
	s_wait_loadcnt 0x0
	ds_store_b64 v1, v[106:107]
.LBB115_251:
	s_wait_xcnt 0x0
	s_or_b32 exec_lo, exec_lo, s0
	s_wait_storecnt_dscnt 0x0
	s_barrier_signal -1
	s_barrier_wait -1
	s_clause 0x7
	scratch_load_b128 v[106:109], off, off offset:304
	scratch_load_b128 v[110:113], off, off offset:320
	;; [unrolled: 1-line block ×7, first 2 shown]
	scratch_load_b64 v[162:163], off, off offset:296
	ds_load_b128 v[134:137], v7 offset:768
	ds_load_b128 v[138:141], v7 offset:784
	;; [unrolled: 1-line block ×7, first 2 shown]
	s_mov_b32 s0, exec_lo
	s_wait_dscnt 0x6
	v_dual_mov_b32 v164, v137 :: v_dual_mov_b32 v165, v136
	s_wait_dscnt 0x5
	v_dual_mov_b32 v166, v141 :: v_dual_mov_b32 v167, v140
	;; [unrolled: 2-line block ×4, first 2 shown]
	s_wait_loadcnt_dscnt 0x702
	v_dual_mul_f32 v7, v150, v107 :: v_dual_mul_f32 v9, v152, v109
	v_dual_mul_f32 v15, v151, v107 :: v_dual_mul_f32 v17, v153, v109
	s_wait_loadcnt_dscnt 0x601
	v_dual_mul_f32 v11, v154, v111 :: v_dual_mul_f32 v13, v156, v113
	s_delay_alu instid0(VALU_DEP_3) | instskip(NEXT) | instid1(VALU_DEP_3)
	v_dual_fmac_f32 v7, v151, v106 :: v_dual_fmac_f32 v9, v153, v108
	v_dual_fma_f32 v15, v150, v106, -v15 :: v_dual_fma_f32 v17, v152, v108, -v17
	v_dual_mul_f32 v19, v155, v111 :: v_dual_mul_f32 v21, v157, v113
	s_wait_loadcnt 0x4
	s_delay_alu instid0(VALU_DEP_3) | instskip(NEXT) | instid1(VALU_DEP_3)
	v_dual_add_f32 v7, 0, v7 :: v_dual_mov_b32 v108, v121
	v_dual_add_f32 v15, 0, v15 :: v_dual_fmac_f32 v11, v155, v110
	s_delay_alu instid0(VALU_DEP_2) | instskip(SKIP_2) | instid1(VALU_DEP_3)
	v_dual_fma_f32 v19, v154, v110, -v19 :: v_dual_add_f32 v7, v7, v9
	s_wait_dscnt 0x0
	v_dual_mul_f32 v173, v158, v115 :: v_dual_mul_f32 v175, v160, v117
	v_dual_add_f32 v9, v15, v17 :: v_dual_fmac_f32 v13, v157, v112
	v_dual_mul_f32 v23, v159, v115 :: v_dual_mul_f32 v25, v161, v117
	v_dual_fma_f32 v15, v156, v112, -v21 :: v_dual_add_f32 v7, v7, v11
	s_delay_alu instid0(VALU_DEP_3) | instskip(SKIP_3) | instid1(VALU_DEP_3)
	v_dual_add_f32 v9, v9, v19 :: v_dual_fmac_f32 v173, v159, v114
	v_pk_mul_f32 v[106:107], v[134:135], v[118:119] op_sel:[1,1] op_sel_hi:[0,1]
	s_wait_loadcnt 0x3
	v_dual_mov_b32 v112, v125 :: v_dual_fma_f32 v172, v158, v114, -v23
	v_dual_add_f32 v115, v7, v13 :: v_dual_add_f32 v114, v9, v15
	v_dual_fmac_f32 v175, v161, v116 :: v_dual_fma_f32 v174, v160, v116, -v25
	v_pk_fma_f32 v[116:117], v[134:135], v[118:119], v[106:107] op_sel_hi:[1,0,1]
	v_pk_mul_f32 v[108:109], v[164:165], v[108:109] op_sel_hi:[1,0]
	s_delay_alu instid0(VALU_DEP_4)
	v_pk_add_f32 v[114:115], v[114:115], v[172:173]
	v_pk_fma_f32 v[106:107], v[134:135], v[118:119], v[106:107] neg_lo:[0,0,1] neg_hi:[0,0,1]
	v_pk_mul_f32 v[110:111], v[138:139], v[122:123] op_sel:[1,1] op_sel_hi:[0,1]
	v_mov_b32_e32 v107, v117
	v_pk_fma_f32 v[116:117], v[136:137], v[120:121], v[108:109] op_sel_hi:[1,0,1]
	v_pk_add_f32 v[114:115], v[114:115], v[174:175]
	v_pk_fma_f32 v[108:109], v[136:137], v[120:121], v[108:109] neg_lo:[0,0,1] neg_hi:[0,0,1]
	v_pk_fma_f32 v[118:119], v[138:139], v[122:123], v[110:111] op_sel_hi:[1,0,1]
	v_pk_mul_f32 v[112:113], v[166:167], v[112:113] op_sel_hi:[1,0]
	v_mov_b32_e32 v109, v117
	v_pk_add_f32 v[106:107], v[114:115], v[106:107]
	s_wait_loadcnt 0x2
	v_pk_mul_f32 v[150:151], v[142:143], v[126:127] op_sel:[1,1] op_sel_hi:[0,1]
	v_mov_b32_e32 v114, v129
	v_pk_fma_f32 v[110:111], v[138:139], v[122:123], v[110:111] neg_lo:[0,0,1] neg_hi:[0,0,1]
	v_mov_b32_e32 v111, v119
	v_pk_fma_f32 v[116:117], v[140:141], v[124:125], v[112:113] op_sel_hi:[1,0,1]
	v_pk_add_f32 v[106:107], v[106:107], v[108:109]
	v_pk_fma_f32 v[108:109], v[142:143], v[126:127], v[150:151] op_sel_hi:[1,0,1]
	v_pk_mul_f32 v[114:115], v[168:169], v[114:115] op_sel_hi:[1,0]
	v_pk_fma_f32 v[112:113], v[140:141], v[124:125], v[112:113] neg_lo:[0,0,1] neg_hi:[0,0,1]
	v_mov_b32_e32 v113, v117
	v_pk_add_f32 v[106:107], v[106:107], v[110:111]
	v_pk_fma_f32 v[116:117], v[142:143], v[126:127], v[150:151] neg_lo:[0,0,1] neg_hi:[0,0,1]
	v_mov_b32_e32 v117, v109
	v_pk_fma_f32 v[108:109], v[144:145], v[128:129], v[114:115] op_sel_hi:[1,0,1]
	s_wait_loadcnt 0x1
	v_pk_mul_f32 v[110:111], v[146:147], v[130:131] op_sel:[1,1] op_sel_hi:[0,1]
	v_pk_add_f32 v[106:107], v[106:107], v[112:113]
	v_mov_b32_e32 v108, v133
	v_pk_fma_f32 v[114:115], v[144:145], v[128:129], v[114:115] neg_lo:[0,0,1] neg_hi:[0,0,1]
	v_mov_b32_e32 v115, v109
	v_pk_fma_f32 v[112:113], v[146:147], v[130:131], v[110:111] op_sel_hi:[1,0,1]
	v_pk_add_f32 v[106:107], v[106:107], v[116:117]
	v_pk_mul_f32 v[108:109], v[170:171], v[108:109] op_sel_hi:[1,0]
	v_pk_fma_f32 v[110:111], v[146:147], v[130:131], v[110:111] neg_lo:[0,0,1] neg_hi:[0,0,1]
	s_delay_alu instid0(VALU_DEP_4) | instskip(NEXT) | instid1(VALU_DEP_4)
	v_mov_b32_e32 v111, v113
	v_pk_add_f32 v[106:107], v[106:107], v[114:115]
	s_delay_alu instid0(VALU_DEP_4) | instskip(SKIP_1) | instid1(VALU_DEP_2)
	v_pk_fma_f32 v[112:113], v[148:149], v[132:133], v[108:109] op_sel_hi:[1,0,1]
	v_pk_fma_f32 v[108:109], v[148:149], v[132:133], v[108:109] neg_lo:[0,0,1] neg_hi:[0,0,1]
	v_mov_b32_e32 v109, v113
	s_delay_alu instid0(VALU_DEP_4) | instskip(NEXT) | instid1(VALU_DEP_1)
	v_pk_add_f32 v[106:107], v[106:107], v[110:111]
	v_pk_add_f32 v[106:107], v[106:107], v[108:109]
	s_wait_loadcnt 0x0
	s_delay_alu instid0(VALU_DEP_1)
	v_pk_add_f32 v[106:107], v[162:163], v[106:107] neg_lo:[0,1] neg_hi:[0,1]
	scratch_store_b64 off, v[106:107], off offset:296
	s_wait_xcnt 0x0
	v_cmpx_lt_u32_e32 36, v0
	s_cbranch_execz .LBB115_253
; %bb.252:
	scratch_load_b64 v[106:107], off, off offset:288
	v_mov_b64_e32 v[108:109], 0
	scratch_store_b64 off, v[108:109], off offset:288
	s_wait_loadcnt 0x0
	ds_store_b64 v1, v[106:107]
.LBB115_253:
	s_wait_xcnt 0x0
	s_or_b32 exec_lo, exec_lo, s0
	s_wait_storecnt_dscnt 0x0
	s_barrier_signal -1
	s_barrier_wait -1
	s_clause 0x8
	scratch_load_b128 v[106:109], off, off offset:296
	scratch_load_b128 v[110:113], off, off offset:312
	;; [unrolled: 1-line block ×7, first 2 shown]
	scratch_load_b64 v[162:163], off, off offset:408
	scratch_load_b64 v[164:165], off, off offset:288
	v_mov_b32_e32 v7, 0
	ds_load_2addr_b64 v[134:137], v7 offset0:95 offset1:96
	ds_load_2addr_b64 v[138:141], v7 offset0:97 offset1:98
	ds_load_2addr_b64 v[142:145], v7 offset0:99 offset1:100
	ds_load_2addr_b64 v[146:149], v7 offset0:101 offset1:102
	ds_load_2addr_b64 v[150:153], v7 offset0:89 offset1:90
	ds_load_2addr_b64 v[154:157], v7 offset0:91 offset1:92
	ds_load_2addr_b64 v[158:161], v7 offset0:93 offset1:94
	ds_load_b64 v[166:167], v7 offset:824
	s_mov_b32 s0, exec_lo
	s_wait_dscnt 0x7
	v_dual_mov_b32 v168, v137 :: v_dual_mov_b32 v169, v136
	s_wait_dscnt 0x4
	v_dual_mov_b32 v170, v141 :: v_dual_mov_b32 v175, v148
	v_dual_mov_b32 v171, v140 :: v_dual_mov_b32 v172, v145
	;; [unrolled: 1-line block ×3, first 2 shown]
	s_wait_loadcnt_dscnt 0x803
	v_dual_mul_f32 v9, v150, v107 :: v_dual_mul_f32 v19, v151, v107
	v_dual_mul_f32 v21, v153, v109 :: v_dual_mul_f32 v11, v152, v109
	s_wait_loadcnt_dscnt 0x702
	v_mul_f32_e32 v13, v154, v111
	s_wait_loadcnt 0x5
	v_dual_mul_f32 v31, v135, v119 :: v_dual_fma_f32 v19, v150, v106, -v19
	v_dual_fmac_f32 v9, v151, v106 :: v_dual_mov_b32 v106, v121
	v_dual_mul_f32 v23, v155, v111 :: v_dual_mul_f32 v25, v157, v113
	v_dual_fmac_f32 v11, v153, v108 :: v_dual_fma_f32 v21, v152, v108, -v21
	s_delay_alu instid0(VALU_DEP_3) | instskip(SKIP_3) | instid1(VALU_DEP_3)
	v_dual_add_f32 v9, 0, v9 :: v_dual_add_f32 v19, 0, v19
	s_wait_dscnt 0x1
	v_dual_mul_f32 v15, v156, v113 :: v_dual_mul_f32 v17, v158, v115
	v_dual_fmac_f32 v13, v155, v110 :: v_dual_fma_f32 v23, v154, v110, -v23
	v_dual_add_f32 v9, v9, v11 :: v_dual_add_f32 v11, v19, v21
	v_dual_mul_f32 v27, v159, v115 :: v_dual_mul_f32 v29, v161, v117
	s_wait_loadcnt 0x4
	v_dual_mov_b32 v110, v125 :: v_dual_fma_f32 v19, v156, v112, -v25
	s_delay_alu instid0(VALU_DEP_3) | instskip(SKIP_2) | instid1(VALU_DEP_2)
	v_dual_fmac_f32 v15, v157, v112 :: v_dual_add_f32 v11, v11, v23
	v_dual_add_f32 v9, v9, v13 :: v_dual_fmac_f32 v17, v159, v114
	v_dual_mul_f32 v177, v160, v117 :: v_dual_mul_f32 v179, v134, v119
	v_dual_fma_f32 v13, v158, v114, -v27 :: v_dual_add_f32 v9, v9, v15
	s_delay_alu instid0(VALU_DEP_2) | instskip(SKIP_1) | instid1(VALU_DEP_3)
	v_dual_add_f32 v11, v11, v19 :: v_dual_fmac_f32 v177, v161, v116
	v_pk_mul_f32 v[108:109], v[138:139], v[122:123] op_sel:[1,1] op_sel_hi:[0,1]
	v_dual_fma_f32 v176, v160, v116, -v29 :: v_dual_add_f32 v115, v9, v17
	v_pk_mul_f32 v[106:107], v[168:169], v[106:107] op_sel_hi:[1,0]
	s_wait_loadcnt 0x3
	v_dual_add_f32 v114, v11, v13 :: v_dual_mov_b32 v116, v129
	v_fmac_f32_e32 v179, v135, v118
	v_fma_f32 v178, v134, v118, -v31
	v_pk_fma_f32 v[118:119], v[136:137], v[120:121], v[106:107] op_sel_hi:[1,0,1]
	s_delay_alu instid0(VALU_DEP_4) | instskip(SKIP_4) | instid1(VALU_DEP_4)
	v_pk_add_f32 v[114:115], v[114:115], v[176:177]
	v_pk_fma_f32 v[134:135], v[138:139], v[122:123], v[108:109] op_sel_hi:[1,0,1]
	v_pk_fma_f32 v[106:107], v[136:137], v[120:121], v[106:107] neg_lo:[0,0,1] neg_hi:[0,0,1]
	v_pk_fma_f32 v[108:109], v[138:139], v[122:123], v[108:109] neg_lo:[0,0,1] neg_hi:[0,0,1]
	v_pk_mul_f32 v[110:111], v[170:171], v[110:111] op_sel_hi:[1,0]
	v_dual_mov_b32 v107, v119 :: v_dual_mov_b32 v109, v135
	v_pk_add_f32 v[114:115], v[114:115], v[178:179]
	v_pk_mul_f32 v[112:113], v[142:143], v[126:127] op_sel:[1,1] op_sel_hi:[0,1]
	s_delay_alu instid0(VALU_DEP_4)
	v_pk_fma_f32 v[120:121], v[140:141], v[124:125], v[110:111] op_sel_hi:[1,0,1]
	v_pk_fma_f32 v[110:111], v[140:141], v[124:125], v[110:111] neg_lo:[0,0,1] neg_hi:[0,0,1]
	v_pk_mul_f32 v[116:117], v[172:173], v[116:117] op_sel_hi:[1,0]
	v_pk_add_f32 v[106:107], v[114:115], v[106:107]
	v_pk_fma_f32 v[114:115], v[142:143], v[126:127], v[112:113] op_sel_hi:[1,0,1]
	v_mov_b32_e32 v111, v121
	v_pk_fma_f32 v[112:113], v[142:143], v[126:127], v[112:113] neg_lo:[0,0,1] neg_hi:[0,0,1]
	s_wait_loadcnt 0x2
	v_pk_mul_f32 v[118:119], v[146:147], v[130:131] op_sel:[1,1] op_sel_hi:[0,1]
	v_pk_add_f32 v[106:107], v[106:107], v[108:109]
	v_dual_mov_b32 v108, v133 :: v_dual_mov_b32 v113, v115
	v_pk_fma_f32 v[114:115], v[144:145], v[128:129], v[116:117] op_sel_hi:[1,0,1]
	v_pk_fma_f32 v[116:117], v[144:145], v[128:129], v[116:117] neg_lo:[0,0,1] neg_hi:[0,0,1]
	s_delay_alu instid0(VALU_DEP_4)
	v_pk_add_f32 v[106:107], v[106:107], v[110:111]
	v_pk_fma_f32 v[110:111], v[146:147], v[130:131], v[118:119] op_sel_hi:[1,0,1]
	v_pk_mul_f32 v[108:109], v[174:175], v[108:109] op_sel_hi:[1,0]
	v_mov_b32_e32 v117, v115
	s_wait_loadcnt_dscnt 0x100
	v_pk_mul_f32 v[114:115], v[166:167], v[162:163] op_sel:[1,1] op_sel_hi:[0,1]
	v_pk_add_f32 v[106:107], v[106:107], v[112:113]
	v_pk_fma_f32 v[112:113], v[146:147], v[130:131], v[118:119] neg_lo:[0,0,1] neg_hi:[0,0,1]
	v_mov_b32_e32 v113, v111
	v_pk_fma_f32 v[110:111], v[148:149], v[132:133], v[108:109] op_sel_hi:[1,0,1]
	v_pk_fma_f32 v[108:109], v[148:149], v[132:133], v[108:109] neg_lo:[0,0,1] neg_hi:[0,0,1]
	v_pk_add_f32 v[106:107], v[106:107], v[116:117]
	s_delay_alu instid0(VALU_DEP_3) | instskip(SKIP_1) | instid1(VALU_DEP_3)
	v_mov_b32_e32 v109, v111
	v_pk_fma_f32 v[110:111], v[166:167], v[162:163], v[114:115] op_sel_hi:[1,0,1]
	v_pk_add_f32 v[106:107], v[106:107], v[112:113]
	v_pk_fma_f32 v[112:113], v[166:167], v[162:163], v[114:115] neg_lo:[0,0,1] neg_hi:[0,0,1]
	s_delay_alu instid0(VALU_DEP_3) | instskip(NEXT) | instid1(VALU_DEP_3)
	v_mov_b32_e32 v113, v111
	v_pk_add_f32 v[106:107], v[106:107], v[108:109]
	s_delay_alu instid0(VALU_DEP_1) | instskip(SKIP_1) | instid1(VALU_DEP_1)
	v_pk_add_f32 v[106:107], v[106:107], v[112:113]
	s_wait_loadcnt 0x0
	v_pk_add_f32 v[106:107], v[164:165], v[106:107] neg_lo:[0,1] neg_hi:[0,1]
	scratch_store_b64 off, v[106:107], off offset:288
	s_wait_xcnt 0x0
	v_cmpx_lt_u32_e32 35, v0
	s_cbranch_execz .LBB115_255
; %bb.254:
	scratch_load_b64 v[106:107], off, off offset:280
	v_mov_b64_e32 v[108:109], 0
	scratch_store_b64 off, v[108:109], off offset:280
	s_wait_loadcnt 0x0
	ds_store_b64 v1, v[106:107]
.LBB115_255:
	s_wait_xcnt 0x0
	s_or_b32 exec_lo, exec_lo, s0
	s_wait_storecnt_dscnt 0x0
	s_barrier_signal -1
	s_barrier_wait -1
	s_clause 0x8
	scratch_load_b128 v[106:109], off, off offset:288
	scratch_load_b128 v[110:113], off, off offset:304
	;; [unrolled: 1-line block ×8, first 2 shown]
	scratch_load_b64 v[170:171], off, off offset:280
	ds_load_b128 v[138:141], v7 offset:768
	ds_load_b128 v[142:145], v7 offset:784
	;; [unrolled: 1-line block ×8, first 2 shown]
	s_mov_b32 s0, exec_lo
	s_wait_dscnt 0x7
	v_dual_mov_b32 v172, v141 :: v_dual_mov_b32 v173, v140
	s_wait_dscnt 0x6
	v_dual_mov_b32 v174, v145 :: v_dual_mov_b32 v175, v144
	;; [unrolled: 2-line block ×4, first 2 shown]
	s_wait_loadcnt_dscnt 0x803
	v_dual_mul_f32 v7, v154, v107 :: v_dual_mul_f32 v9, v156, v109
	v_dual_mul_f32 v19, v155, v107 :: v_dual_mul_f32 v21, v157, v109
	s_wait_loadcnt_dscnt 0x702
	v_dual_mul_f32 v11, v158, v111 :: v_dual_mul_f32 v13, v160, v113
	s_delay_alu instid0(VALU_DEP_3) | instskip(SKIP_3) | instid1(VALU_DEP_3)
	v_dual_fmac_f32 v7, v155, v106 :: v_dual_fmac_f32 v9, v157, v108
	s_wait_loadcnt_dscnt 0x500
	v_dual_fma_f32 v19, v154, v106, -v19 :: v_dual_mul_f32 v31, v167, v119
	v_dual_mul_f32 v23, v159, v111 :: v_dual_mul_f32 v25, v161, v113
	v_dual_fma_f32 v21, v156, v108, -v21 :: v_dual_add_f32 v7, 0, v7
	s_delay_alu instid0(VALU_DEP_3) | instskip(SKIP_1) | instid1(VALU_DEP_3)
	v_dual_add_f32 v19, 0, v19 :: v_dual_mul_f32 v33, v169, v121
	v_dual_fmac_f32 v11, v159, v110 :: v_dual_fmac_f32 v13, v161, v112
	v_dual_fma_f32 v23, v158, v110, -v23 :: v_dual_add_f32 v7, v7, v9
	s_delay_alu instid0(VALU_DEP_3) | instskip(SKIP_4) | instid1(VALU_DEP_3)
	v_dual_add_f32 v9, v19, v21 :: v_dual_fma_f32 v19, v160, v112, -v25
	v_dual_mul_f32 v15, v162, v115 :: v_dual_mul_f32 v17, v164, v117
	v_dual_mul_f32 v27, v163, v115 :: v_dual_mul_f32 v29, v165, v117
	s_wait_loadcnt 0x4
	v_dual_add_f32 v7, v7, v11 :: v_dual_mov_b32 v108, v125
	v_dual_add_f32 v9, v9, v23 :: v_dual_fmac_f32 v15, v163, v114
	s_delay_alu instid0(VALU_DEP_2) | instskip(SKIP_1) | instid1(VALU_DEP_3)
	v_dual_fma_f32 v11, v162, v114, -v27 :: v_dual_add_f32 v7, v7, v13
	v_dual_mul_f32 v181, v166, v119 :: v_dual_mul_f32 v183, v168, v121
	v_dual_add_f32 v9, v9, v19 :: v_dual_fma_f32 v13, v164, v116, -v29
	s_delay_alu instid0(VALU_DEP_3) | instskip(SKIP_1) | instid1(VALU_DEP_3)
	v_dual_fmac_f32 v17, v165, v116 :: v_dual_add_f32 v7, v7, v15
	v_pk_mul_f32 v[106:107], v[138:139], v[122:123] op_sel:[1,1] op_sel_hi:[0,1]
	v_dual_add_f32 v9, v9, v11 :: v_dual_fmac_f32 v181, v167, v118
	s_wait_loadcnt 0x3
	v_dual_mov_b32 v112, v129 :: v_dual_fma_f32 v180, v166, v118, -v31
	v_dual_add_f32 v115, v7, v17 :: v_dual_fmac_f32 v183, v169, v120
	s_delay_alu instid0(VALU_DEP_3) | instskip(SKIP_3) | instid1(VALU_DEP_4)
	v_dual_add_f32 v114, v9, v13 :: v_dual_fma_f32 v182, v168, v120, -v33
	v_pk_fma_f32 v[116:117], v[138:139], v[122:123], v[106:107] op_sel_hi:[1,0,1]
	v_pk_mul_f32 v[108:109], v[172:173], v[108:109] op_sel_hi:[1,0]
	v_pk_fma_f32 v[106:107], v[138:139], v[122:123], v[106:107] neg_lo:[0,0,1] neg_hi:[0,0,1]
	v_pk_add_f32 v[114:115], v[114:115], v[180:181]
	v_pk_mul_f32 v[110:111], v[142:143], v[126:127] op_sel:[1,1] op_sel_hi:[0,1]
	v_mov_b32_e32 v107, v117
	v_pk_fma_f32 v[116:117], v[140:141], v[124:125], v[108:109] op_sel_hi:[1,0,1]
	v_pk_fma_f32 v[108:109], v[140:141], v[124:125], v[108:109] neg_lo:[0,0,1] neg_hi:[0,0,1]
	v_pk_add_f32 v[114:115], v[114:115], v[182:183]
	v_pk_fma_f32 v[120:121], v[142:143], v[126:127], v[110:111] op_sel_hi:[1,0,1]
	v_pk_mul_f32 v[112:113], v[174:175], v[112:113] op_sel_hi:[1,0]
	v_mov_b32_e32 v109, v117
	s_wait_loadcnt 0x2
	v_pk_mul_f32 v[118:119], v[146:147], v[130:131] op_sel:[1,1] op_sel_hi:[0,1]
	v_pk_add_f32 v[106:107], v[114:115], v[106:107]
	v_mov_b32_e32 v114, v133
	v_pk_fma_f32 v[110:111], v[142:143], v[126:127], v[110:111] neg_lo:[0,0,1] neg_hi:[0,0,1]
	v_mov_b32_e32 v111, v121
	v_pk_fma_f32 v[116:117], v[144:145], v[128:129], v[112:113] op_sel_hi:[1,0,1]
	v_pk_add_f32 v[106:107], v[106:107], v[108:109]
	v_pk_fma_f32 v[108:109], v[146:147], v[130:131], v[118:119] op_sel_hi:[1,0,1]
	v_pk_mul_f32 v[114:115], v[176:177], v[114:115] op_sel_hi:[1,0]
	v_pk_fma_f32 v[112:113], v[144:145], v[128:129], v[112:113] neg_lo:[0,0,1] neg_hi:[0,0,1]
	v_mov_b32_e32 v113, v117
	v_pk_add_f32 v[106:107], v[106:107], v[110:111]
	v_pk_fma_f32 v[116:117], v[146:147], v[130:131], v[118:119] neg_lo:[0,0,1] neg_hi:[0,0,1]
	v_mov_b32_e32 v117, v109
	v_pk_fma_f32 v[108:109], v[148:149], v[132:133], v[114:115] op_sel_hi:[1,0,1]
	s_wait_loadcnt 0x1
	v_pk_mul_f32 v[110:111], v[150:151], v[134:135] op_sel:[1,1] op_sel_hi:[0,1]
	v_pk_add_f32 v[106:107], v[106:107], v[112:113]
	v_mov_b32_e32 v108, v137
	v_pk_fma_f32 v[114:115], v[148:149], v[132:133], v[114:115] neg_lo:[0,0,1] neg_hi:[0,0,1]
	v_mov_b32_e32 v115, v109
	v_pk_fma_f32 v[112:113], v[150:151], v[134:135], v[110:111] op_sel_hi:[1,0,1]
	v_pk_add_f32 v[106:107], v[106:107], v[116:117]
	v_pk_mul_f32 v[108:109], v[178:179], v[108:109] op_sel_hi:[1,0]
	v_pk_fma_f32 v[110:111], v[150:151], v[134:135], v[110:111] neg_lo:[0,0,1] neg_hi:[0,0,1]
	s_delay_alu instid0(VALU_DEP_4) | instskip(NEXT) | instid1(VALU_DEP_4)
	v_mov_b32_e32 v111, v113
	v_pk_add_f32 v[106:107], v[106:107], v[114:115]
	s_delay_alu instid0(VALU_DEP_4) | instskip(SKIP_1) | instid1(VALU_DEP_2)
	v_pk_fma_f32 v[112:113], v[152:153], v[136:137], v[108:109] op_sel_hi:[1,0,1]
	v_pk_fma_f32 v[108:109], v[152:153], v[136:137], v[108:109] neg_lo:[0,0,1] neg_hi:[0,0,1]
	v_mov_b32_e32 v109, v113
	s_delay_alu instid0(VALU_DEP_4) | instskip(NEXT) | instid1(VALU_DEP_1)
	v_pk_add_f32 v[106:107], v[106:107], v[110:111]
	v_pk_add_f32 v[106:107], v[106:107], v[108:109]
	s_wait_loadcnt 0x0
	s_delay_alu instid0(VALU_DEP_1)
	v_pk_add_f32 v[106:107], v[170:171], v[106:107] neg_lo:[0,1] neg_hi:[0,1]
	scratch_store_b64 off, v[106:107], off offset:280
	s_wait_xcnt 0x0
	v_cmpx_lt_u32_e32 34, v0
	s_cbranch_execz .LBB115_257
; %bb.256:
	scratch_load_b64 v[106:107], off, off offset:272
	v_mov_b64_e32 v[108:109], 0
	scratch_store_b64 off, v[108:109], off offset:272
	s_wait_loadcnt 0x0
	ds_store_b64 v1, v[106:107]
.LBB115_257:
	s_wait_xcnt 0x0
	s_or_b32 exec_lo, exec_lo, s0
	s_wait_storecnt_dscnt 0x0
	s_barrier_signal -1
	s_barrier_wait -1
	s_clause 0x9
	scratch_load_b128 v[106:109], off, off offset:280
	scratch_load_b128 v[110:113], off, off offset:296
	;; [unrolled: 1-line block ×8, first 2 shown]
	scratch_load_b64 v[170:171], off, off offset:408
	scratch_load_b64 v[172:173], off, off offset:272
	v_mov_b32_e32 v7, 0
	ds_load_2addr_b64 v[138:141], v7 offset0:95 offset1:96
	ds_load_2addr_b64 v[142:145], v7 offset0:97 offset1:98
	;; [unrolled: 1-line block ×8, first 2 shown]
	ds_load_b64 v[174:175], v7 offset:824
	s_mov_b32 s0, exec_lo
	s_wait_dscnt 0x8
	v_dual_mov_b32 v176, v141 :: v_dual_mov_b32 v177, v140
	s_wait_dscnt 0x5
	v_dual_mov_b32 v178, v145 :: v_dual_mov_b32 v183, v152
	v_dual_mov_b32 v179, v144 :: v_dual_mov_b32 v180, v149
	v_dual_mov_b32 v181, v148 :: v_dual_mov_b32 v182, v153
	s_wait_loadcnt_dscnt 0x904
	v_dual_mul_f32 v9, v154, v107 :: v_dual_mul_f32 v23, v155, v107
	v_dual_mul_f32 v25, v157, v109 :: v_dual_mul_f32 v11, v156, v109
	s_wait_loadcnt_dscnt 0x803
	v_mul_f32_e32 v13, v158, v111
	s_wait_loadcnt_dscnt 0x601
	v_dual_mul_f32 v35, v167, v119 :: v_dual_fma_f32 v23, v154, v106, -v23
	v_dual_fmac_f32 v9, v155, v106 :: v_dual_mul_f32 v37, v169, v121
	v_dual_mul_f32 v27, v159, v111 :: v_dual_mul_f32 v29, v161, v113
	v_dual_fmac_f32 v11, v157, v108 :: v_dual_fma_f32 v25, v156, v108, -v25
	s_delay_alu instid0(VALU_DEP_3) | instskip(SKIP_3) | instid1(VALU_DEP_3)
	v_dual_add_f32 v9, 0, v9 :: v_dual_add_f32 v23, 0, v23
	v_dual_mul_f32 v15, v160, v113 :: v_dual_mul_f32 v17, v162, v115
	s_wait_loadcnt 0x5
	v_dual_mul_f32 v39, v139, v123 :: v_dual_fma_f32 v27, v158, v110, -v27
	v_dual_fmac_f32 v13, v159, v110 :: v_dual_add_f32 v9, v9, v11
	v_dual_add_f32 v11, v23, v25 :: v_dual_mov_b32 v106, v125
	v_dual_mul_f32 v31, v163, v115 :: v_dual_mul_f32 v33, v165, v117
	v_dual_fmac_f32 v15, v161, v112 :: v_dual_fma_f32 v23, v160, v112, -v29
	s_delay_alu instid0(VALU_DEP_3) | instskip(SKIP_1) | instid1(VALU_DEP_4)
	v_dual_add_f32 v9, v9, v13 :: v_dual_add_f32 v11, v11, v27
	v_dual_mul_f32 v19, v164, v117 :: v_dual_mul_f32 v21, v166, v119
	v_dual_fmac_f32 v17, v163, v114 :: v_dual_fma_f32 v13, v162, v114, -v31
	s_delay_alu instid0(VALU_DEP_3) | instskip(SKIP_3) | instid1(VALU_DEP_3)
	v_dual_add_f32 v9, v9, v15 :: v_dual_fma_f32 v15, v164, v116, -v33
	s_wait_loadcnt 0x4
	v_dual_add_f32 v11, v11, v23 :: v_dual_mov_b32 v110, v129
	v_fmac_f32_e32 v19, v165, v116
	v_dual_add_f32 v9, v9, v17 :: v_dual_fmac_f32 v21, v167, v118
	s_delay_alu instid0(VALU_DEP_3) | instskip(SKIP_1) | instid1(VALU_DEP_3)
	v_add_f32_e32 v11, v11, v13
	v_dual_mul_f32 v185, v168, v121 :: v_dual_mul_f32 v187, v138, v123
	v_dual_fma_f32 v13, v166, v118, -v35 :: v_dual_add_f32 v9, v9, v19
	s_delay_alu instid0(VALU_DEP_2) | instskip(SKIP_1) | instid1(VALU_DEP_3)
	v_dual_add_f32 v11, v11, v15 :: v_dual_fmac_f32 v185, v169, v120
	v_pk_mul_f32 v[108:109], v[142:143], v[126:127] op_sel:[1,1] op_sel_hi:[0,1]
	v_dual_fma_f32 v184, v168, v120, -v37 :: v_dual_add_f32 v115, v9, v21
	v_pk_mul_f32 v[106:107], v[176:177], v[106:107] op_sel_hi:[1,0]
	s_wait_loadcnt 0x3
	v_dual_add_f32 v114, v11, v13 :: v_dual_mov_b32 v116, v133
	v_pk_fma_f32 v[120:121], v[142:143], v[126:127], v[108:109] op_sel_hi:[1,0,1]
	v_fmac_f32_e32 v187, v139, v122
	v_pk_fma_f32 v[118:119], v[140:141], v[124:125], v[106:107] op_sel_hi:[1,0,1]
	v_fma_f32 v186, v138, v122, -v39
	v_pk_add_f32 v[114:115], v[114:115], v[184:185]
	v_pk_fma_f32 v[106:107], v[140:141], v[124:125], v[106:107] neg_lo:[0,0,1] neg_hi:[0,0,1]
	v_pk_fma_f32 v[108:109], v[142:143], v[126:127], v[108:109] neg_lo:[0,0,1] neg_hi:[0,0,1]
	v_pk_mul_f32 v[110:111], v[178:179], v[110:111] op_sel_hi:[1,0]
	v_dual_mov_b32 v107, v119 :: v_dual_mov_b32 v109, v121
	v_pk_add_f32 v[114:115], v[114:115], v[186:187]
	v_pk_mul_f32 v[112:113], v[146:147], v[130:131] op_sel:[1,1] op_sel_hi:[0,1]
	s_delay_alu instid0(VALU_DEP_4)
	v_pk_fma_f32 v[120:121], v[144:145], v[128:129], v[110:111] op_sel_hi:[1,0,1]
	v_pk_fma_f32 v[110:111], v[144:145], v[128:129], v[110:111] neg_lo:[0,0,1] neg_hi:[0,0,1]
	v_pk_mul_f32 v[116:117], v[180:181], v[116:117] op_sel_hi:[1,0]
	v_pk_add_f32 v[106:107], v[114:115], v[106:107]
	v_pk_fma_f32 v[114:115], v[146:147], v[130:131], v[112:113] op_sel_hi:[1,0,1]
	v_mov_b32_e32 v111, v121
	v_pk_fma_f32 v[112:113], v[146:147], v[130:131], v[112:113] neg_lo:[0,0,1] neg_hi:[0,0,1]
	s_wait_loadcnt 0x2
	v_pk_mul_f32 v[118:119], v[150:151], v[134:135] op_sel:[1,1] op_sel_hi:[0,1]
	v_pk_add_f32 v[106:107], v[106:107], v[108:109]
	v_dual_mov_b32 v108, v137 :: v_dual_mov_b32 v113, v115
	v_pk_fma_f32 v[114:115], v[148:149], v[132:133], v[116:117] op_sel_hi:[1,0,1]
	v_pk_fma_f32 v[116:117], v[148:149], v[132:133], v[116:117] neg_lo:[0,0,1] neg_hi:[0,0,1]
	s_delay_alu instid0(VALU_DEP_4)
	v_pk_add_f32 v[106:107], v[106:107], v[110:111]
	v_pk_fma_f32 v[110:111], v[150:151], v[134:135], v[118:119] op_sel_hi:[1,0,1]
	v_pk_mul_f32 v[108:109], v[182:183], v[108:109] op_sel_hi:[1,0]
	v_mov_b32_e32 v117, v115
	s_wait_loadcnt_dscnt 0x100
	v_pk_mul_f32 v[114:115], v[174:175], v[170:171] op_sel:[1,1] op_sel_hi:[0,1]
	v_pk_add_f32 v[106:107], v[106:107], v[112:113]
	v_pk_fma_f32 v[112:113], v[150:151], v[134:135], v[118:119] neg_lo:[0,0,1] neg_hi:[0,0,1]
	v_mov_b32_e32 v113, v111
	v_pk_fma_f32 v[110:111], v[152:153], v[136:137], v[108:109] op_sel_hi:[1,0,1]
	v_pk_fma_f32 v[108:109], v[152:153], v[136:137], v[108:109] neg_lo:[0,0,1] neg_hi:[0,0,1]
	v_pk_add_f32 v[106:107], v[106:107], v[116:117]
	s_delay_alu instid0(VALU_DEP_3) | instskip(SKIP_1) | instid1(VALU_DEP_3)
	v_mov_b32_e32 v109, v111
	v_pk_fma_f32 v[110:111], v[174:175], v[170:171], v[114:115] op_sel_hi:[1,0,1]
	v_pk_add_f32 v[106:107], v[106:107], v[112:113]
	v_pk_fma_f32 v[112:113], v[174:175], v[170:171], v[114:115] neg_lo:[0,0,1] neg_hi:[0,0,1]
	s_delay_alu instid0(VALU_DEP_3) | instskip(NEXT) | instid1(VALU_DEP_3)
	v_mov_b32_e32 v113, v111
	v_pk_add_f32 v[106:107], v[106:107], v[108:109]
	s_delay_alu instid0(VALU_DEP_1) | instskip(SKIP_1) | instid1(VALU_DEP_1)
	v_pk_add_f32 v[106:107], v[106:107], v[112:113]
	s_wait_loadcnt 0x0
	v_pk_add_f32 v[106:107], v[172:173], v[106:107] neg_lo:[0,1] neg_hi:[0,1]
	scratch_store_b64 off, v[106:107], off offset:272
	s_wait_xcnt 0x0
	v_cmpx_lt_u32_e32 33, v0
	s_cbranch_execz .LBB115_259
; %bb.258:
	scratch_load_b64 v[106:107], off, off offset:264
	v_mov_b64_e32 v[108:109], 0
	scratch_store_b64 off, v[108:109], off offset:264
	s_wait_loadcnt 0x0
	ds_store_b64 v1, v[106:107]
.LBB115_259:
	s_wait_xcnt 0x0
	s_or_b32 exec_lo, exec_lo, s0
	s_wait_storecnt_dscnt 0x0
	s_barrier_signal -1
	s_barrier_wait -1
	s_clause 0x9
	scratch_load_b128 v[106:109], off, off offset:272
	scratch_load_b128 v[110:113], off, off offset:288
	;; [unrolled: 1-line block ×9, first 2 shown]
	scratch_load_b64 v[178:179], off, off offset:264
	ds_load_b128 v[142:145], v7 offset:768
	ds_load_b128 v[146:149], v7 offset:784
	;; [unrolled: 1-line block ×9, first 2 shown]
	s_mov_b32 s0, exec_lo
	s_wait_dscnt 0x8
	v_dual_mov_b32 v180, v145 :: v_dual_mov_b32 v181, v144
	s_wait_dscnt 0x7
	v_dual_mov_b32 v182, v149 :: v_dual_mov_b32 v183, v148
	;; [unrolled: 2-line block ×4, first 2 shown]
	s_wait_loadcnt_dscnt 0x904
	v_dual_mul_f32 v7, v158, v107 :: v_dual_mul_f32 v9, v160, v109
	v_dual_mul_f32 v23, v159, v107 :: v_dual_mul_f32 v25, v161, v109
	s_wait_loadcnt_dscnt 0x803
	v_dual_mul_f32 v11, v162, v111 :: v_dual_mul_f32 v13, v164, v113
	s_delay_alu instid0(VALU_DEP_3) | instskip(SKIP_3) | instid1(VALU_DEP_3)
	v_dual_fmac_f32 v7, v159, v106 :: v_dual_fmac_f32 v9, v161, v108
	s_wait_loadcnt_dscnt 0x601
	v_dual_fma_f32 v23, v158, v106, -v23 :: v_dual_mul_f32 v35, v171, v119
	v_dual_mul_f32 v27, v163, v111 :: v_dual_mul_f32 v29, v165, v113
	v_dual_fma_f32 v25, v160, v108, -v25 :: v_dual_add_f32 v7, 0, v7
	s_delay_alu instid0(VALU_DEP_3) | instskip(SKIP_1) | instid1(VALU_DEP_3)
	v_dual_add_f32 v23, 0, v23 :: v_dual_mul_f32 v37, v173, v121
	v_dual_fmac_f32 v11, v163, v110 :: v_dual_fmac_f32 v13, v165, v112
	v_dual_fma_f32 v27, v162, v110, -v27 :: v_dual_add_f32 v7, v7, v9
	s_delay_alu instid0(VALU_DEP_3) | instskip(SKIP_2) | instid1(VALU_DEP_4)
	v_dual_add_f32 v9, v23, v25 :: v_dual_fma_f32 v25, v164, v112, -v29
	v_dual_mul_f32 v15, v166, v115 :: v_dual_mul_f32 v17, v168, v117
	v_dual_mul_f32 v31, v167, v115 :: v_dual_mul_f32 v33, v169, v117
	v_add_f32_e32 v7, v7, v11
	s_delay_alu instid0(VALU_DEP_3) | instskip(NEXT) | instid1(VALU_DEP_3)
	v_dual_add_f32 v9, v9, v27 :: v_dual_fmac_f32 v15, v167, v114
	v_fma_f32 v27, v166, v114, -v31
	v_dual_mul_f32 v19, v170, v119 :: v_dual_mul_f32 v21, v172, v121
	s_delay_alu instid0(VALU_DEP_4) | instskip(NEXT) | instid1(VALU_DEP_4)
	v_dual_add_f32 v7, v7, v13 :: v_dual_fmac_f32 v17, v169, v116
	v_dual_add_f32 v9, v9, v25 :: v_dual_fma_f32 v13, v168, v116, -v33
	s_wait_loadcnt 0x4
	s_delay_alu instid0(VALU_DEP_2) | instskip(NEXT) | instid1(VALU_DEP_2)
	v_dual_mov_b32 v108, v129 :: v_dual_add_f32 v7, v7, v15
	v_dual_fmac_f32 v19, v171, v118 :: v_dual_add_f32 v9, v9, v27
	v_fma_f32 v15, v170, v118, -v35
	s_wait_dscnt 0x0
	v_dual_mul_f32 v189, v174, v123 :: v_dual_mul_f32 v191, v176, v125
	v_add_f32_e32 v7, v7, v17
	v_dual_add_f32 v9, v9, v13 :: v_dual_fma_f32 v13, v172, v120, -v37
	v_dual_mul_f32 v23, v175, v123 :: v_dual_mul_f32 v11, v177, v125
	s_delay_alu instid0(VALU_DEP_3) | instskip(NEXT) | instid1(VALU_DEP_3)
	v_dual_fmac_f32 v21, v173, v120 :: v_dual_add_f32 v7, v7, v19
	v_dual_add_f32 v9, v9, v15 :: v_dual_fmac_f32 v189, v175, v122
	v_pk_mul_f32 v[106:107], v[142:143], v[126:127] op_sel:[1,1] op_sel_hi:[0,1]
	s_wait_loadcnt 0x3
	v_dual_mov_b32 v112, v133 :: v_dual_fma_f32 v188, v174, v122, -v23
	v_dual_add_f32 v115, v7, v21 :: v_dual_fmac_f32 v191, v177, v124
	v_dual_add_f32 v114, v9, v13 :: v_dual_fma_f32 v190, v176, v124, -v11
	v_pk_fma_f32 v[116:117], v[142:143], v[126:127], v[106:107] op_sel_hi:[1,0,1]
	v_pk_mul_f32 v[108:109], v[180:181], v[108:109] op_sel_hi:[1,0]
	v_pk_fma_f32 v[106:107], v[142:143], v[126:127], v[106:107] neg_lo:[0,0,1] neg_hi:[0,0,1]
	s_delay_alu instid0(VALU_DEP_4)
	v_pk_add_f32 v[114:115], v[114:115], v[188:189]
	v_pk_mul_f32 v[110:111], v[146:147], v[130:131] op_sel:[1,1] op_sel_hi:[0,1]
	v_mov_b32_e32 v107, v117
	v_pk_fma_f32 v[116:117], v[144:145], v[128:129], v[108:109] op_sel_hi:[1,0,1]
	v_pk_fma_f32 v[108:109], v[144:145], v[128:129], v[108:109] neg_lo:[0,0,1] neg_hi:[0,0,1]
	v_pk_add_f32 v[114:115], v[114:115], v[190:191]
	v_pk_fma_f32 v[120:121], v[146:147], v[130:131], v[110:111] op_sel_hi:[1,0,1]
	v_pk_mul_f32 v[112:113], v[182:183], v[112:113] op_sel_hi:[1,0]
	v_mov_b32_e32 v109, v117
	s_wait_loadcnt 0x2
	v_pk_mul_f32 v[118:119], v[150:151], v[134:135] op_sel:[1,1] op_sel_hi:[0,1]
	v_pk_add_f32 v[106:107], v[114:115], v[106:107]
	v_mov_b32_e32 v114, v137
	v_pk_fma_f32 v[110:111], v[146:147], v[130:131], v[110:111] neg_lo:[0,0,1] neg_hi:[0,0,1]
	v_mov_b32_e32 v111, v121
	v_pk_fma_f32 v[116:117], v[148:149], v[132:133], v[112:113] op_sel_hi:[1,0,1]
	v_pk_add_f32 v[106:107], v[106:107], v[108:109]
	v_pk_fma_f32 v[108:109], v[150:151], v[134:135], v[118:119] op_sel_hi:[1,0,1]
	v_pk_mul_f32 v[114:115], v[184:185], v[114:115] op_sel_hi:[1,0]
	v_pk_fma_f32 v[112:113], v[148:149], v[132:133], v[112:113] neg_lo:[0,0,1] neg_hi:[0,0,1]
	v_mov_b32_e32 v113, v117
	v_pk_add_f32 v[106:107], v[106:107], v[110:111]
	v_pk_fma_f32 v[116:117], v[150:151], v[134:135], v[118:119] neg_lo:[0,0,1] neg_hi:[0,0,1]
	v_mov_b32_e32 v117, v109
	v_pk_fma_f32 v[108:109], v[152:153], v[136:137], v[114:115] op_sel_hi:[1,0,1]
	s_wait_loadcnt 0x1
	v_pk_mul_f32 v[110:111], v[154:155], v[138:139] op_sel:[1,1] op_sel_hi:[0,1]
	v_pk_add_f32 v[106:107], v[106:107], v[112:113]
	v_mov_b32_e32 v108, v141
	v_pk_fma_f32 v[114:115], v[152:153], v[136:137], v[114:115] neg_lo:[0,0,1] neg_hi:[0,0,1]
	v_mov_b32_e32 v115, v109
	v_pk_fma_f32 v[112:113], v[154:155], v[138:139], v[110:111] op_sel_hi:[1,0,1]
	v_pk_add_f32 v[106:107], v[106:107], v[116:117]
	v_pk_mul_f32 v[108:109], v[186:187], v[108:109] op_sel_hi:[1,0]
	v_pk_fma_f32 v[110:111], v[154:155], v[138:139], v[110:111] neg_lo:[0,0,1] neg_hi:[0,0,1]
	s_delay_alu instid0(VALU_DEP_4) | instskip(NEXT) | instid1(VALU_DEP_4)
	v_mov_b32_e32 v111, v113
	v_pk_add_f32 v[106:107], v[106:107], v[114:115]
	s_delay_alu instid0(VALU_DEP_4) | instskip(SKIP_1) | instid1(VALU_DEP_2)
	v_pk_fma_f32 v[112:113], v[156:157], v[140:141], v[108:109] op_sel_hi:[1,0,1]
	v_pk_fma_f32 v[108:109], v[156:157], v[140:141], v[108:109] neg_lo:[0,0,1] neg_hi:[0,0,1]
	v_mov_b32_e32 v109, v113
	s_delay_alu instid0(VALU_DEP_4) | instskip(NEXT) | instid1(VALU_DEP_1)
	v_pk_add_f32 v[106:107], v[106:107], v[110:111]
	v_pk_add_f32 v[106:107], v[106:107], v[108:109]
	s_wait_loadcnt 0x0
	s_delay_alu instid0(VALU_DEP_1)
	v_pk_add_f32 v[106:107], v[178:179], v[106:107] neg_lo:[0,1] neg_hi:[0,1]
	scratch_store_b64 off, v[106:107], off offset:264
	s_wait_xcnt 0x0
	v_cmpx_lt_u32_e32 32, v0
	s_cbranch_execz .LBB115_261
; %bb.260:
	scratch_load_b64 v[106:107], off, off offset:256
	v_mov_b64_e32 v[108:109], 0
	scratch_store_b64 off, v[108:109], off offset:256
	s_wait_loadcnt 0x0
	ds_store_b64 v1, v[106:107]
.LBB115_261:
	s_wait_xcnt 0x0
	s_or_b32 exec_lo, exec_lo, s0
	s_wait_storecnt_dscnt 0x0
	s_barrier_signal -1
	s_barrier_wait -1
	s_clause 0xa
	scratch_load_b128 v[106:109], off, off offset:264
	scratch_load_b128 v[110:113], off, off offset:280
	;; [unrolled: 1-line block ×9, first 2 shown]
	scratch_load_b64 v[178:179], off, off offset:408
	scratch_load_b64 v[180:181], off, off offset:256
	v_mov_b32_e32 v7, 0
	ds_load_2addr_b64 v[142:145], v7 offset0:95 offset1:96
	ds_load_2addr_b64 v[146:149], v7 offset0:97 offset1:98
	;; [unrolled: 1-line block ×9, first 2 shown]
	ds_load_b64 v[182:183], v7 offset:824
	s_mov_b32 s0, exec_lo
	s_wait_dscnt 0x9
	v_dual_mov_b32 v184, v145 :: v_dual_mov_b32 v185, v144
	s_wait_dscnt 0x6
	v_dual_mov_b32 v186, v149 :: v_dual_mov_b32 v191, v156
	v_dual_mov_b32 v187, v148 :: v_dual_mov_b32 v188, v153
	v_dual_mov_b32 v189, v152 :: v_dual_mov_b32 v190, v157
	s_wait_loadcnt_dscnt 0xa05
	v_dual_mul_f32 v9, v158, v107 :: v_dual_mul_f32 v27, v159, v107
	v_dual_mul_f32 v29, v161, v109 :: v_dual_mul_f32 v11, v160, v109
	s_wait_loadcnt_dscnt 0x904
	v_mul_f32_e32 v13, v162, v111
	s_wait_loadcnt_dscnt 0x702
	v_dual_mul_f32 v39, v171, v119 :: v_dual_fma_f32 v27, v158, v106, -v27
	v_dual_fmac_f32 v9, v159, v106 :: v_dual_mul_f32 v41, v173, v121
	v_dual_mul_f32 v31, v163, v111 :: v_dual_mul_f32 v33, v165, v113
	v_dual_fmac_f32 v11, v161, v108 :: v_dual_fma_f32 v29, v160, v108, -v29
	s_delay_alu instid0(VALU_DEP_3) | instskip(SKIP_3) | instid1(VALU_DEP_3)
	v_dual_add_f32 v9, 0, v9 :: v_dual_add_f32 v27, 0, v27
	v_dual_mul_f32 v15, v164, v113 :: v_dual_mul_f32 v17, v166, v115
	s_wait_loadcnt_dscnt 0x601
	v_dual_mul_f32 v43, v175, v123 :: v_dual_fma_f32 v31, v162, v110, -v31
	v_dual_fmac_f32 v13, v163, v110 :: v_dual_add_f32 v9, v9, v11
	s_delay_alu instid0(VALU_DEP_3) | instskip(SKIP_2) | instid1(VALU_DEP_3)
	v_dual_add_f32 v11, v27, v29 :: v_dual_fmac_f32 v15, v165, v112
	v_dual_mul_f32 v35, v167, v115 :: v_dual_mul_f32 v37, v169, v117
	v_dual_mul_f32 v27, v177, v125 :: v_dual_fma_f32 v29, v164, v112, -v33
	v_dual_add_f32 v9, v9, v13 :: v_dual_add_f32 v11, v11, v31
	v_dual_mul_f32 v19, v168, v117 :: v_dual_mul_f32 v21, v170, v119
	s_wait_loadcnt 0x5
	v_dual_mul_f32 v13, v143, v127 :: v_dual_fma_f32 v31, v166, v114, -v35
	s_delay_alu instid0(VALU_DEP_3) | instskip(SKIP_2) | instid1(VALU_DEP_2)
	v_dual_fmac_f32 v17, v167, v114 :: v_dual_add_f32 v9, v9, v15
	v_dual_add_f32 v11, v11, v29 :: v_dual_mov_b32 v106, v129
	v_dual_fmac_f32 v19, v169, v116 :: v_dual_fma_f32 v15, v168, v116, -v37
	v_dual_add_f32 v9, v9, v17 :: v_dual_add_f32 v11, v11, v31
	v_dual_mul_f32 v23, v172, v121 :: v_dual_mul_f32 v25, v174, v123
	v_dual_fmac_f32 v21, v171, v118 :: v_dual_fma_f32 v17, v170, v118, -v39
	s_delay_alu instid0(VALU_DEP_3) | instskip(SKIP_3) | instid1(VALU_DEP_3)
	v_add_f32_e32 v9, v9, v19
	s_wait_loadcnt 0x4
	v_dual_add_f32 v11, v11, v15 :: v_dual_mov_b32 v110, v133
	v_dual_fmac_f32 v23, v173, v120 :: v_dual_fma_f32 v15, v172, v120, -v41
	v_dual_add_f32 v9, v9, v21 :: v_dual_fmac_f32 v25, v175, v122
	s_delay_alu instid0(VALU_DEP_3) | instskip(SKIP_1) | instid1(VALU_DEP_3)
	v_add_f32_e32 v11, v11, v17
	v_dual_mul_f32 v193, v176, v125 :: v_dual_mul_f32 v195, v142, v127
	v_dual_fma_f32 v17, v174, v122, -v43 :: v_dual_add_f32 v9, v9, v23
	s_delay_alu instid0(VALU_DEP_2) | instskip(SKIP_2) | instid1(VALU_DEP_4)
	v_dual_add_f32 v11, v11, v15 :: v_dual_fmac_f32 v193, v177, v124
	v_fma_f32 v192, v176, v124, -v27
	v_pk_mul_f32 v[106:107], v[184:185], v[106:107] op_sel_hi:[1,0]
	v_add_f32_e32 v115, v9, v25
	s_wait_loadcnt 0x3
	v_dual_add_f32 v114, v11, v17 :: v_dual_mov_b32 v116, v137
	v_pk_mul_f32 v[108:109], v[146:147], v[130:131] op_sel:[1,1] op_sel_hi:[0,1]
	v_dual_fmac_f32 v195, v143, v126 :: v_dual_fma_f32 v194, v142, v126, -v13
	v_pk_fma_f32 v[118:119], v[144:145], v[128:129], v[106:107] op_sel_hi:[1,0,1]
	s_delay_alu instid0(VALU_DEP_4)
	v_pk_add_f32 v[114:115], v[114:115], v[192:193]
	v_pk_fma_f32 v[106:107], v[144:145], v[128:129], v[106:107] neg_lo:[0,0,1] neg_hi:[0,0,1]
	v_pk_fma_f32 v[120:121], v[146:147], v[130:131], v[108:109] op_sel_hi:[1,0,1]
	v_pk_mul_f32 v[110:111], v[186:187], v[110:111] op_sel_hi:[1,0]
	v_mov_b32_e32 v107, v119
	v_pk_add_f32 v[114:115], v[114:115], v[194:195]
	v_pk_fma_f32 v[108:109], v[146:147], v[130:131], v[108:109] neg_lo:[0,0,1] neg_hi:[0,0,1]
	v_pk_mul_f32 v[112:113], v[150:151], v[134:135] op_sel:[1,1] op_sel_hi:[0,1]
	v_mov_b32_e32 v109, v121
	v_pk_fma_f32 v[120:121], v[148:149], v[132:133], v[110:111] op_sel_hi:[1,0,1]
	v_pk_add_f32 v[106:107], v[114:115], v[106:107]
	v_pk_fma_f32 v[110:111], v[148:149], v[132:133], v[110:111] neg_lo:[0,0,1] neg_hi:[0,0,1]
	v_pk_fma_f32 v[114:115], v[150:151], v[134:135], v[112:113] op_sel_hi:[1,0,1]
	v_pk_mul_f32 v[116:117], v[188:189], v[116:117] op_sel_hi:[1,0]
	v_mov_b32_e32 v111, v121
	v_pk_add_f32 v[106:107], v[106:107], v[108:109]
	v_pk_fma_f32 v[112:113], v[150:151], v[134:135], v[112:113] neg_lo:[0,0,1] neg_hi:[0,0,1]
	s_wait_loadcnt 0x2
	v_pk_mul_f32 v[118:119], v[154:155], v[138:139] op_sel:[1,1] op_sel_hi:[0,1]
	v_dual_mov_b32 v108, v141 :: v_dual_mov_b32 v113, v115
	v_pk_fma_f32 v[114:115], v[152:153], v[136:137], v[116:117] op_sel_hi:[1,0,1]
	v_pk_add_f32 v[106:107], v[106:107], v[110:111]
	v_pk_fma_f32 v[116:117], v[152:153], v[136:137], v[116:117] neg_lo:[0,0,1] neg_hi:[0,0,1]
	v_pk_fma_f32 v[110:111], v[154:155], v[138:139], v[118:119] op_sel_hi:[1,0,1]
	v_pk_mul_f32 v[108:109], v[190:191], v[108:109] op_sel_hi:[1,0]
	v_mov_b32_e32 v117, v115
	v_pk_add_f32 v[106:107], v[106:107], v[112:113]
	v_pk_fma_f32 v[112:113], v[154:155], v[138:139], v[118:119] neg_lo:[0,0,1] neg_hi:[0,0,1]
	v_mov_b32_e32 v113, v111
	v_pk_fma_f32 v[110:111], v[156:157], v[140:141], v[108:109] op_sel_hi:[1,0,1]
	s_wait_loadcnt_dscnt 0x100
	v_pk_mul_f32 v[114:115], v[182:183], v[178:179] op_sel:[1,1] op_sel_hi:[0,1]
	v_pk_add_f32 v[106:107], v[106:107], v[116:117]
	v_pk_fma_f32 v[108:109], v[156:157], v[140:141], v[108:109] neg_lo:[0,0,1] neg_hi:[0,0,1]
	v_mov_b32_e32 v109, v111
	s_delay_alu instid0(VALU_DEP_4) | instskip(NEXT) | instid1(VALU_DEP_4)
	v_pk_fma_f32 v[110:111], v[182:183], v[178:179], v[114:115] op_sel_hi:[1,0,1]
	v_pk_add_f32 v[106:107], v[106:107], v[112:113]
	v_pk_fma_f32 v[112:113], v[182:183], v[178:179], v[114:115] neg_lo:[0,0,1] neg_hi:[0,0,1]
	s_delay_alu instid0(VALU_DEP_3) | instskip(NEXT) | instid1(VALU_DEP_3)
	v_mov_b32_e32 v113, v111
	v_pk_add_f32 v[106:107], v[106:107], v[108:109]
	s_delay_alu instid0(VALU_DEP_1) | instskip(SKIP_1) | instid1(VALU_DEP_1)
	v_pk_add_f32 v[106:107], v[106:107], v[112:113]
	s_wait_loadcnt 0x0
	v_pk_add_f32 v[106:107], v[180:181], v[106:107] neg_lo:[0,1] neg_hi:[0,1]
	scratch_store_b64 off, v[106:107], off offset:256
	s_wait_xcnt 0x0
	v_cmpx_lt_u32_e32 31, v0
	s_cbranch_execz .LBB115_263
; %bb.262:
	scratch_load_b64 v[106:107], off, off offset:248
	v_mov_b64_e32 v[108:109], 0
	scratch_store_b64 off, v[108:109], off offset:248
	s_wait_loadcnt 0x0
	ds_store_b64 v1, v[106:107]
.LBB115_263:
	s_wait_xcnt 0x0
	s_or_b32 exec_lo, exec_lo, s0
	s_wait_storecnt_dscnt 0x0
	s_barrier_signal -1
	s_barrier_wait -1
	s_clause 0xa
	scratch_load_b128 v[106:109], off, off offset:256
	scratch_load_b128 v[110:113], off, off offset:272
	;; [unrolled: 1-line block ×10, first 2 shown]
	scratch_load_b64 v[186:187], off, off offset:248
	ds_load_b128 v[146:149], v7 offset:768
	ds_load_b128 v[150:153], v7 offset:784
	;; [unrolled: 1-line block ×10, first 2 shown]
	s_mov_b32 s0, exec_lo
	s_wait_dscnt 0x9
	v_dual_mov_b32 v188, v149 :: v_dual_mov_b32 v189, v148
	s_wait_dscnt 0x8
	v_dual_mov_b32 v190, v153 :: v_dual_mov_b32 v191, v152
	;; [unrolled: 2-line block ×4, first 2 shown]
	s_wait_loadcnt_dscnt 0xa05
	v_dual_mul_f32 v7, v162, v107 :: v_dual_mul_f32 v9, v164, v109
	v_dual_mul_f32 v27, v163, v107 :: v_dual_mul_f32 v29, v165, v109
	s_wait_loadcnt_dscnt 0x904
	v_dual_mul_f32 v11, v166, v111 :: v_dual_mul_f32 v13, v168, v113
	s_delay_alu instid0(VALU_DEP_3) | instskip(SKIP_3) | instid1(VALU_DEP_3)
	v_dual_fmac_f32 v7, v163, v106 :: v_dual_fmac_f32 v9, v165, v108
	s_wait_loadcnt_dscnt 0x702
	v_dual_fma_f32 v27, v162, v106, -v27 :: v_dual_mul_f32 v39, v175, v119
	v_dual_mul_f32 v31, v167, v111 :: v_dual_mul_f32 v33, v169, v113
	v_dual_fma_f32 v29, v164, v108, -v29 :: v_dual_add_f32 v7, 0, v7
	s_delay_alu instid0(VALU_DEP_3) | instskip(SKIP_1) | instid1(VALU_DEP_3)
	v_dual_add_f32 v27, 0, v27 :: v_dual_mul_f32 v41, v177, v121
	v_dual_fmac_f32 v11, v167, v110 :: v_dual_fmac_f32 v13, v169, v112
	v_dual_fma_f32 v31, v166, v110, -v31 :: v_dual_add_f32 v7, v7, v9
	s_delay_alu instid0(VALU_DEP_3) | instskip(SKIP_2) | instid1(VALU_DEP_4)
	v_dual_add_f32 v9, v27, v29 :: v_dual_fma_f32 v29, v168, v112, -v33
	v_dual_mul_f32 v15, v170, v115 :: v_dual_mul_f32 v17, v172, v117
	v_dual_mul_f32 v35, v171, v115 :: v_dual_mul_f32 v37, v173, v117
	v_add_f32_e32 v7, v7, v11
	s_delay_alu instid0(VALU_DEP_3) | instskip(NEXT) | instid1(VALU_DEP_3)
	v_dual_add_f32 v9, v9, v31 :: v_dual_fmac_f32 v15, v171, v114
	v_fma_f32 v31, v170, v114, -v35
	v_dual_mul_f32 v19, v174, v119 :: v_dual_mul_f32 v21, v176, v121
	s_delay_alu instid0(VALU_DEP_4) | instskip(SKIP_2) | instid1(VALU_DEP_2)
	v_dual_add_f32 v7, v7, v13 :: v_dual_fmac_f32 v17, v173, v116
	s_wait_loadcnt_dscnt 0x500
	v_dual_add_f32 v9, v9, v29 :: v_dual_mul_f32 v13, v183, v127
	v_dual_fma_f32 v29, v172, v116, -v37 :: v_dual_add_f32 v7, v7, v15
	v_mul_f32_e32 v15, v185, v129
	s_delay_alu instid0(VALU_DEP_3) | instskip(NEXT) | instid1(VALU_DEP_3)
	v_dual_add_f32 v9, v9, v31 :: v_dual_fmac_f32 v19, v175, v118
	v_dual_fma_f32 v31, v174, v118, -v39 :: v_dual_add_f32 v7, v7, v17
	v_fmac_f32_e32 v21, v177, v120
	s_delay_alu instid0(VALU_DEP_3) | instskip(SKIP_4) | instid1(VALU_DEP_3)
	v_dual_add_f32 v9, v9, v29 :: v_dual_fma_f32 v17, v176, v120, -v41
	v_dual_mul_f32 v23, v178, v123 :: v_dual_mul_f32 v25, v180, v125
	v_dual_mul_f32 v27, v179, v123 :: v_dual_mul_f32 v11, v181, v125
	s_wait_loadcnt 0x4
	v_dual_add_f32 v7, v7, v19 :: v_dual_mov_b32 v108, v133
	v_dual_add_f32 v9, v9, v31 :: v_dual_fmac_f32 v23, v179, v122
	s_delay_alu instid0(VALU_DEP_2) | instskip(SKIP_1) | instid1(VALU_DEP_3)
	v_dual_fma_f32 v19, v178, v122, -v27 :: v_dual_add_f32 v7, v7, v21
	v_dual_mul_f32 v197, v182, v127 :: v_dual_mul_f32 v199, v184, v129
	v_dual_add_f32 v9, v9, v17 :: v_dual_fma_f32 v11, v180, v124, -v11
	s_delay_alu instid0(VALU_DEP_3) | instskip(SKIP_1) | instid1(VALU_DEP_3)
	v_dual_fmac_f32 v25, v181, v124 :: v_dual_add_f32 v7, v7, v23
	v_pk_mul_f32 v[106:107], v[146:147], v[130:131] op_sel:[1,1] op_sel_hi:[0,1]
	v_dual_add_f32 v9, v9, v19 :: v_dual_fmac_f32 v197, v183, v126
	s_wait_loadcnt 0x3
	v_dual_mov_b32 v112, v137 :: v_dual_fma_f32 v196, v182, v126, -v13
	s_delay_alu instid0(VALU_DEP_2)
	v_dual_add_f32 v115, v7, v25 :: v_dual_add_f32 v114, v9, v11
	v_fmac_f32_e32 v199, v185, v128
	v_pk_fma_f32 v[116:117], v[146:147], v[130:131], v[106:107] op_sel_hi:[1,0,1]
	v_fma_f32 v198, v184, v128, -v15
	v_pk_mul_f32 v[108:109], v[188:189], v[108:109] op_sel_hi:[1,0]
	v_pk_add_f32 v[114:115], v[114:115], v[196:197]
	v_pk_fma_f32 v[106:107], v[146:147], v[130:131], v[106:107] neg_lo:[0,0,1] neg_hi:[0,0,1]
	v_pk_mul_f32 v[110:111], v[150:151], v[134:135] op_sel:[1,1] op_sel_hi:[0,1]
	v_mov_b32_e32 v107, v117
	v_pk_fma_f32 v[116:117], v[148:149], v[132:133], v[108:109] op_sel_hi:[1,0,1]
	v_pk_add_f32 v[114:115], v[114:115], v[198:199]
	v_pk_fma_f32 v[108:109], v[148:149], v[132:133], v[108:109] neg_lo:[0,0,1] neg_hi:[0,0,1]
	v_pk_fma_f32 v[120:121], v[150:151], v[134:135], v[110:111] op_sel_hi:[1,0,1]
	v_pk_mul_f32 v[112:113], v[190:191], v[112:113] op_sel_hi:[1,0]
	v_mov_b32_e32 v109, v117
	v_pk_add_f32 v[106:107], v[114:115], v[106:107]
	s_wait_loadcnt 0x2
	v_pk_mul_f32 v[118:119], v[154:155], v[138:139] op_sel:[1,1] op_sel_hi:[0,1]
	v_mov_b32_e32 v114, v141
	v_pk_fma_f32 v[110:111], v[150:151], v[134:135], v[110:111] neg_lo:[0,0,1] neg_hi:[0,0,1]
	v_pk_fma_f32 v[116:117], v[152:153], v[136:137], v[112:113] op_sel_hi:[1,0,1]
	v_mov_b32_e32 v111, v121
	v_pk_add_f32 v[106:107], v[106:107], v[108:109]
	v_pk_fma_f32 v[108:109], v[154:155], v[138:139], v[118:119] op_sel_hi:[1,0,1]
	v_pk_mul_f32 v[114:115], v[192:193], v[114:115] op_sel_hi:[1,0]
	v_pk_fma_f32 v[112:113], v[152:153], v[136:137], v[112:113] neg_lo:[0,0,1] neg_hi:[0,0,1]
	v_mov_b32_e32 v113, v117
	v_pk_add_f32 v[106:107], v[106:107], v[110:111]
	v_pk_fma_f32 v[116:117], v[154:155], v[138:139], v[118:119] neg_lo:[0,0,1] neg_hi:[0,0,1]
	v_mov_b32_e32 v117, v109
	v_pk_fma_f32 v[108:109], v[156:157], v[140:141], v[114:115] op_sel_hi:[1,0,1]
	s_wait_loadcnt 0x1
	v_pk_mul_f32 v[110:111], v[158:159], v[142:143] op_sel:[1,1] op_sel_hi:[0,1]
	v_pk_add_f32 v[106:107], v[106:107], v[112:113]
	v_mov_b32_e32 v108, v145
	v_pk_fma_f32 v[114:115], v[156:157], v[140:141], v[114:115] neg_lo:[0,0,1] neg_hi:[0,0,1]
	s_delay_alu instid0(VALU_DEP_4)
	v_pk_fma_f32 v[112:113], v[158:159], v[142:143], v[110:111] op_sel_hi:[1,0,1]
	v_mov_b32_e32 v115, v109
	v_pk_add_f32 v[106:107], v[106:107], v[116:117]
	v_pk_mul_f32 v[108:109], v[194:195], v[108:109] op_sel_hi:[1,0]
	v_pk_fma_f32 v[110:111], v[158:159], v[142:143], v[110:111] neg_lo:[0,0,1] neg_hi:[0,0,1]
	v_mov_b32_e32 v111, v113
	s_delay_alu instid0(VALU_DEP_4) | instskip(NEXT) | instid1(VALU_DEP_4)
	v_pk_add_f32 v[106:107], v[106:107], v[114:115]
	v_pk_fma_f32 v[112:113], v[160:161], v[144:145], v[108:109] op_sel_hi:[1,0,1]
	v_pk_fma_f32 v[108:109], v[160:161], v[144:145], v[108:109] neg_lo:[0,0,1] neg_hi:[0,0,1]
	s_delay_alu instid0(VALU_DEP_3) | instskip(NEXT) | instid1(VALU_DEP_3)
	v_pk_add_f32 v[106:107], v[106:107], v[110:111]
	v_mov_b32_e32 v109, v113
	s_delay_alu instid0(VALU_DEP_1) | instskip(SKIP_1) | instid1(VALU_DEP_1)
	v_pk_add_f32 v[106:107], v[106:107], v[108:109]
	s_wait_loadcnt 0x0
	v_pk_add_f32 v[106:107], v[186:187], v[106:107] neg_lo:[0,1] neg_hi:[0,1]
	scratch_store_b64 off, v[106:107], off offset:248
	s_wait_xcnt 0x0
	v_cmpx_lt_u32_e32 30, v0
	s_cbranch_execz .LBB115_265
; %bb.264:
	scratch_load_b64 v[106:107], off, off offset:240
	v_mov_b64_e32 v[108:109], 0
	scratch_store_b64 off, v[108:109], off offset:240
	s_wait_loadcnt 0x0
	ds_store_b64 v1, v[106:107]
.LBB115_265:
	s_wait_xcnt 0x0
	s_or_b32 exec_lo, exec_lo, s0
	s_wait_storecnt_dscnt 0x0
	s_barrier_signal -1
	s_barrier_wait -1
	s_clause 0xb
	scratch_load_b128 v[106:109], off, off offset:248
	scratch_load_b128 v[110:113], off, off offset:264
	;; [unrolled: 1-line block ×10, first 2 shown]
	scratch_load_b64 v[186:187], off, off offset:408
	scratch_load_b64 v[188:189], off, off offset:240
	v_mov_b32_e32 v7, 0
	ds_load_2addr_b64 v[146:149], v7 offset0:95 offset1:96
	ds_load_2addr_b64 v[150:153], v7 offset0:97 offset1:98
	;; [unrolled: 1-line block ×10, first 2 shown]
	ds_load_b64 v[190:191], v7 offset:824
	s_mov_b32 s0, exec_lo
	s_wait_dscnt 0xa
	v_dual_mov_b32 v192, v149 :: v_dual_mov_b32 v193, v148
	s_wait_dscnt 0x7
	v_dual_mov_b32 v194, v153 :: v_dual_mov_b32 v199, v160
	v_dual_mov_b32 v195, v152 :: v_dual_mov_b32 v196, v157
	;; [unrolled: 1-line block ×3, first 2 shown]
	s_wait_loadcnt_dscnt 0xb06
	v_dual_mul_f32 v9, v162, v107 :: v_dual_mul_f32 v31, v163, v107
	v_dual_mul_f32 v33, v165, v109 :: v_dual_mul_f32 v11, v164, v109
	s_wait_loadcnt_dscnt 0xa05
	v_mul_f32_e32 v13, v166, v111
	s_wait_loadcnt_dscnt 0x803
	v_dual_mul_f32 v43, v175, v119 :: v_dual_fma_f32 v31, v162, v106, -v31
	v_dual_fmac_f32 v9, v163, v106 :: v_dual_mul_f32 v45, v177, v121
	v_dual_mul_f32 v35, v167, v111 :: v_dual_mul_f32 v37, v169, v113
	v_dual_fmac_f32 v11, v165, v108 :: v_dual_fma_f32 v33, v164, v108, -v33
	s_delay_alu instid0(VALU_DEP_3) | instskip(SKIP_3) | instid1(VALU_DEP_3)
	v_dual_add_f32 v9, 0, v9 :: v_dual_add_f32 v31, 0, v31
	v_dual_mul_f32 v15, v168, v113 :: v_dual_mul_f32 v17, v170, v115
	s_wait_loadcnt_dscnt 0x702
	v_dual_mul_f32 v47, v179, v123 :: v_dual_fma_f32 v35, v166, v110, -v35
	v_dual_fmac_f32 v13, v167, v110 :: v_dual_add_f32 v9, v9, v11
	s_delay_alu instid0(VALU_DEP_3) | instskip(SKIP_2) | instid1(VALU_DEP_3)
	v_dual_add_f32 v11, v31, v33 :: v_dual_fmac_f32 v15, v169, v112
	v_dual_mul_f32 v39, v171, v115 :: v_dual_mul_f32 v41, v173, v117
	v_dual_mul_f32 v31, v181, v125 :: v_dual_fma_f32 v33, v168, v112, -v37
	v_dual_add_f32 v9, v9, v13 :: v_dual_add_f32 v11, v11, v35
	v_dual_mul_f32 v19, v172, v117 :: v_dual_mul_f32 v21, v174, v119
	s_wait_loadcnt_dscnt 0x601
	v_dual_mul_f32 v13, v183, v127 :: v_dual_fma_f32 v35, v170, v114, -v39
	s_delay_alu instid0(VALU_DEP_3) | instskip(NEXT) | instid1(VALU_DEP_3)
	v_dual_fmac_f32 v17, v171, v114 :: v_dual_add_f32 v9, v9, v15
	v_dual_add_f32 v11, v11, v33 :: v_dual_fmac_f32 v19, v173, v116
	v_dual_mul_f32 v15, v185, v129 :: v_dual_fma_f32 v33, v172, v116, -v41
	s_delay_alu instid0(VALU_DEP_2) | instskip(SKIP_3) | instid1(VALU_DEP_3)
	v_dual_add_f32 v9, v9, v17 :: v_dual_add_f32 v11, v11, v35
	v_dual_mul_f32 v23, v176, v121 :: v_dual_mul_f32 v25, v178, v123
	s_wait_loadcnt 0x5
	v_dual_mul_f32 v17, v147, v131 :: v_dual_fma_f32 v35, v174, v118, -v43
	v_dual_fmac_f32 v21, v175, v118 :: v_dual_add_f32 v9, v9, v19
	v_dual_add_f32 v11, v11, v33 :: v_dual_mov_b32 v106, v133
	v_dual_fmac_f32 v23, v177, v120 :: v_dual_fma_f32 v19, v176, v120, -v45
	s_delay_alu instid0(VALU_DEP_2) | instskip(SKIP_2) | instid1(VALU_DEP_3)
	v_dual_add_f32 v9, v9, v21 :: v_dual_add_f32 v11, v11, v35
	v_dual_mul_f32 v27, v180, v125 :: v_dual_mul_f32 v29, v182, v127
	v_dual_fmac_f32 v25, v179, v122 :: v_dual_fma_f32 v21, v178, v122, -v47
	v_add_f32_e32 v9, v9, v23
	s_wait_loadcnt 0x4
	v_dual_add_f32 v11, v11, v19 :: v_dual_mov_b32 v110, v137
	v_fmac_f32_e32 v27, v181, v124
	s_delay_alu instid0(VALU_DEP_3) | instskip(SKIP_1) | instid1(VALU_DEP_4)
	v_dual_fma_f32 v19, v180, v124, -v31 :: v_dual_add_f32 v9, v9, v25
	v_fmac_f32_e32 v29, v183, v126
	v_add_f32_e32 v11, v11, v21
	v_dual_mul_f32 v201, v184, v129 :: v_dual_mul_f32 v203, v146, v131
	s_delay_alu instid0(VALU_DEP_4) | instskip(NEXT) | instid1(VALU_DEP_2)
	v_dual_fma_f32 v13, v182, v126, -v13 :: v_dual_add_f32 v9, v9, v27
	v_dual_add_f32 v11, v11, v19 :: v_dual_fmac_f32 v201, v185, v128
	v_fma_f32 v200, v184, v128, -v15
	v_pk_mul_f32 v[106:107], v[192:193], v[106:107] op_sel_hi:[1,0]
	s_delay_alu instid0(VALU_DEP_4)
	v_add_f32_e32 v115, v9, v29
	s_wait_loadcnt 0x3
	v_dual_add_f32 v114, v11, v13 :: v_dual_mov_b32 v116, v141
	v_pk_mul_f32 v[108:109], v[150:151], v[134:135] op_sel:[1,1] op_sel_hi:[0,1]
	v_dual_fmac_f32 v203, v147, v130 :: v_dual_fma_f32 v202, v146, v130, -v17
	v_pk_fma_f32 v[118:119], v[148:149], v[132:133], v[106:107] op_sel_hi:[1,0,1]
	s_delay_alu instid0(VALU_DEP_4)
	v_pk_add_f32 v[114:115], v[114:115], v[200:201]
	v_pk_fma_f32 v[106:107], v[148:149], v[132:133], v[106:107] neg_lo:[0,0,1] neg_hi:[0,0,1]
	v_pk_fma_f32 v[120:121], v[150:151], v[134:135], v[108:109] op_sel_hi:[1,0,1]
	v_pk_mul_f32 v[110:111], v[194:195], v[110:111] op_sel_hi:[1,0]
	v_mov_b32_e32 v107, v119
	v_pk_add_f32 v[114:115], v[114:115], v[202:203]
	v_pk_fma_f32 v[108:109], v[150:151], v[134:135], v[108:109] neg_lo:[0,0,1] neg_hi:[0,0,1]
	v_pk_mul_f32 v[112:113], v[154:155], v[138:139] op_sel:[1,1] op_sel_hi:[0,1]
	v_mov_b32_e32 v109, v121
	v_pk_fma_f32 v[120:121], v[152:153], v[136:137], v[110:111] op_sel_hi:[1,0,1]
	v_pk_add_f32 v[106:107], v[114:115], v[106:107]
	v_pk_fma_f32 v[110:111], v[152:153], v[136:137], v[110:111] neg_lo:[0,0,1] neg_hi:[0,0,1]
	v_pk_fma_f32 v[114:115], v[154:155], v[138:139], v[112:113] op_sel_hi:[1,0,1]
	v_pk_mul_f32 v[116:117], v[196:197], v[116:117] op_sel_hi:[1,0]
	v_mov_b32_e32 v111, v121
	v_pk_add_f32 v[106:107], v[106:107], v[108:109]
	v_pk_fma_f32 v[112:113], v[154:155], v[138:139], v[112:113] neg_lo:[0,0,1] neg_hi:[0,0,1]
	s_wait_loadcnt 0x2
	v_pk_mul_f32 v[118:119], v[158:159], v[142:143] op_sel:[1,1] op_sel_hi:[0,1]
	v_dual_mov_b32 v108, v145 :: v_dual_mov_b32 v113, v115
	v_pk_fma_f32 v[114:115], v[156:157], v[140:141], v[116:117] op_sel_hi:[1,0,1]
	v_pk_add_f32 v[106:107], v[106:107], v[110:111]
	v_pk_fma_f32 v[116:117], v[156:157], v[140:141], v[116:117] neg_lo:[0,0,1] neg_hi:[0,0,1]
	v_pk_fma_f32 v[110:111], v[158:159], v[142:143], v[118:119] op_sel_hi:[1,0,1]
	v_pk_mul_f32 v[108:109], v[198:199], v[108:109] op_sel_hi:[1,0]
	v_mov_b32_e32 v117, v115
	v_pk_add_f32 v[106:107], v[106:107], v[112:113]
	v_pk_fma_f32 v[112:113], v[158:159], v[142:143], v[118:119] neg_lo:[0,0,1] neg_hi:[0,0,1]
	v_mov_b32_e32 v113, v111
	v_pk_fma_f32 v[110:111], v[160:161], v[144:145], v[108:109] op_sel_hi:[1,0,1]
	s_wait_loadcnt_dscnt 0x100
	v_pk_mul_f32 v[114:115], v[190:191], v[186:187] op_sel:[1,1] op_sel_hi:[0,1]
	v_pk_add_f32 v[106:107], v[106:107], v[116:117]
	v_pk_fma_f32 v[108:109], v[160:161], v[144:145], v[108:109] neg_lo:[0,0,1] neg_hi:[0,0,1]
	v_mov_b32_e32 v109, v111
	s_delay_alu instid0(VALU_DEP_4) | instskip(NEXT) | instid1(VALU_DEP_4)
	v_pk_fma_f32 v[110:111], v[190:191], v[186:187], v[114:115] op_sel_hi:[1,0,1]
	v_pk_add_f32 v[106:107], v[106:107], v[112:113]
	v_pk_fma_f32 v[112:113], v[190:191], v[186:187], v[114:115] neg_lo:[0,0,1] neg_hi:[0,0,1]
	s_delay_alu instid0(VALU_DEP_3) | instskip(NEXT) | instid1(VALU_DEP_3)
	v_mov_b32_e32 v113, v111
	v_pk_add_f32 v[106:107], v[106:107], v[108:109]
	s_delay_alu instid0(VALU_DEP_1) | instskip(SKIP_1) | instid1(VALU_DEP_1)
	v_pk_add_f32 v[106:107], v[106:107], v[112:113]
	s_wait_loadcnt 0x0
	v_pk_add_f32 v[106:107], v[188:189], v[106:107] neg_lo:[0,1] neg_hi:[0,1]
	scratch_store_b64 off, v[106:107], off offset:240
	s_wait_xcnt 0x0
	v_cmpx_lt_u32_e32 29, v0
	s_cbranch_execz .LBB115_267
; %bb.266:
	scratch_load_b64 v[106:107], off, off offset:232
	v_mov_b64_e32 v[108:109], 0
	scratch_store_b64 off, v[108:109], off offset:232
	s_wait_loadcnt 0x0
	ds_store_b64 v1, v[106:107]
.LBB115_267:
	s_wait_xcnt 0x0
	s_or_b32 exec_lo, exec_lo, s0
	s_wait_storecnt_dscnt 0x0
	s_barrier_signal -1
	s_barrier_wait -1
	s_clause 0xb
	scratch_load_b128 v[106:109], off, off offset:240
	scratch_load_b128 v[110:113], off, off offset:256
	;; [unrolled: 1-line block ×11, first 2 shown]
	scratch_load_b64 v[194:195], off, off offset:232
	ds_load_b128 v[150:153], v7 offset:768
	ds_load_b128 v[154:157], v7 offset:784
	;; [unrolled: 1-line block ×11, first 2 shown]
	s_mov_b32 s0, exec_lo
	s_wait_dscnt 0xa
	v_dual_mov_b32 v196, v153 :: v_dual_mov_b32 v197, v152
	s_wait_dscnt 0x9
	v_dual_mov_b32 v198, v157 :: v_dual_mov_b32 v199, v156
	;; [unrolled: 2-line block ×4, first 2 shown]
	s_wait_loadcnt_dscnt 0xb06
	v_dual_mul_f32 v7, v166, v107 :: v_dual_mul_f32 v9, v168, v109
	v_dual_mul_f32 v31, v167, v107 :: v_dual_mul_f32 v33, v169, v109
	s_wait_loadcnt_dscnt 0xa05
	v_dual_mul_f32 v11, v170, v111 :: v_dual_mul_f32 v13, v172, v113
	s_delay_alu instid0(VALU_DEP_3) | instskip(SKIP_3) | instid1(VALU_DEP_3)
	v_dual_fmac_f32 v7, v167, v106 :: v_dual_fmac_f32 v9, v169, v108
	s_wait_loadcnt_dscnt 0x803
	v_dual_fma_f32 v31, v166, v106, -v31 :: v_dual_mul_f32 v43, v179, v119
	v_dual_mul_f32 v35, v171, v111 :: v_dual_mul_f32 v37, v173, v113
	v_dual_fma_f32 v33, v168, v108, -v33 :: v_dual_add_f32 v7, 0, v7
	s_delay_alu instid0(VALU_DEP_3) | instskip(SKIP_1) | instid1(VALU_DEP_3)
	v_dual_add_f32 v31, 0, v31 :: v_dual_mul_f32 v45, v181, v121
	v_dual_fmac_f32 v11, v171, v110 :: v_dual_fmac_f32 v13, v173, v112
	v_dual_fma_f32 v35, v170, v110, -v35 :: v_dual_add_f32 v7, v7, v9
	s_delay_alu instid0(VALU_DEP_3) | instskip(SKIP_2) | instid1(VALU_DEP_4)
	v_dual_add_f32 v9, v31, v33 :: v_dual_fma_f32 v33, v172, v112, -v37
	v_dual_mul_f32 v15, v174, v115 :: v_dual_mul_f32 v17, v176, v117
	v_dual_mul_f32 v39, v175, v115 :: v_dual_mul_f32 v41, v177, v117
	v_add_f32_e32 v7, v7, v11
	s_delay_alu instid0(VALU_DEP_3) | instskip(NEXT) | instid1(VALU_DEP_3)
	v_dual_add_f32 v9, v9, v35 :: v_dual_fmac_f32 v15, v175, v114
	v_fma_f32 v35, v174, v114, -v39
	v_dual_mul_f32 v19, v178, v119 :: v_dual_mul_f32 v21, v180, v121
	s_delay_alu instid0(VALU_DEP_4) | instskip(SKIP_2) | instid1(VALU_DEP_2)
	v_dual_add_f32 v7, v7, v13 :: v_dual_fmac_f32 v17, v177, v116
	s_wait_loadcnt_dscnt 0x601
	v_dual_add_f32 v9, v9, v33 :: v_dual_mul_f32 v13, v187, v127
	v_dual_fma_f32 v33, v176, v116, -v41 :: v_dual_add_f32 v7, v7, v15
	v_mul_f32_e32 v15, v189, v129
	s_delay_alu instid0(VALU_DEP_3) | instskip(NEXT) | instid1(VALU_DEP_3)
	v_dual_add_f32 v9, v9, v35 :: v_dual_fmac_f32 v19, v179, v118
	v_dual_fma_f32 v35, v178, v118, -v43 :: v_dual_add_f32 v7, v7, v17
	v_fmac_f32_e32 v21, v181, v120
	s_wait_loadcnt_dscnt 0x500
	s_delay_alu instid0(VALU_DEP_3) | instskip(SKIP_3) | instid1(VALU_DEP_3)
	v_dual_add_f32 v9, v9, v33 :: v_dual_mul_f32 v17, v191, v131
	v_dual_mul_f32 v23, v182, v123 :: v_dual_mul_f32 v25, v184, v125
	v_dual_mul_f32 v31, v183, v123 :: v_dual_mul_f32 v11, v185, v125
	v_dual_fma_f32 v33, v180, v120, -v45 :: v_dual_add_f32 v7, v7, v19
	v_dual_add_f32 v9, v9, v35 :: v_dual_fmac_f32 v23, v183, v122
	s_delay_alu instid0(VALU_DEP_3) | instskip(NEXT) | instid1(VALU_DEP_3)
	v_dual_mul_f32 v19, v193, v133 :: v_dual_fma_f32 v31, v182, v122, -v31
	v_dual_add_f32 v7, v7, v21 :: v_dual_fmac_f32 v25, v185, v124
	s_delay_alu instid0(VALU_DEP_3) | instskip(SKIP_2) | instid1(VALU_DEP_3)
	v_dual_add_f32 v9, v9, v33 :: v_dual_fma_f32 v11, v184, v124, -v11
	v_dual_mul_f32 v27, v186, v127 :: v_dual_mul_f32 v29, v188, v129
	s_wait_loadcnt 0x4
	v_dual_add_f32 v7, v7, v23 :: v_dual_mov_b32 v108, v137
	s_delay_alu instid0(VALU_DEP_2) | instskip(NEXT) | instid1(VALU_DEP_2)
	v_dual_add_f32 v9, v9, v31 :: v_dual_fmac_f32 v27, v187, v126
	v_dual_fma_f32 v13, v186, v126, -v13 :: v_dual_add_f32 v7, v7, v25
	v_dual_mul_f32 v205, v190, v131 :: v_dual_mul_f32 v207, v192, v133
	s_delay_alu instid0(VALU_DEP_3) | instskip(NEXT) | instid1(VALU_DEP_3)
	v_dual_add_f32 v9, v9, v11 :: v_dual_fma_f32 v11, v188, v128, -v15
	v_dual_fmac_f32 v29, v189, v128 :: v_dual_add_f32 v7, v7, v27
	v_pk_mul_f32 v[106:107], v[150:151], v[134:135] op_sel:[1,1] op_sel_hi:[0,1]
	s_delay_alu instid0(VALU_DEP_3) | instskip(SKIP_2) | instid1(VALU_DEP_2)
	v_dual_add_f32 v9, v9, v13 :: v_dual_fmac_f32 v205, v191, v130
	s_wait_loadcnt 0x3
	v_dual_mov_b32 v112, v141 :: v_dual_fma_f32 v204, v190, v130, -v17
	v_dual_add_f32 v115, v7, v29 :: v_dual_add_f32 v114, v9, v11
	v_fmac_f32_e32 v207, v193, v132
	v_pk_fma_f32 v[116:117], v[150:151], v[134:135], v[106:107] op_sel_hi:[1,0,1]
	v_fma_f32 v206, v192, v132, -v19
	v_pk_mul_f32 v[108:109], v[196:197], v[108:109] op_sel_hi:[1,0]
	v_pk_add_f32 v[114:115], v[114:115], v[204:205]
	v_pk_fma_f32 v[106:107], v[150:151], v[134:135], v[106:107] neg_lo:[0,0,1] neg_hi:[0,0,1]
	v_pk_mul_f32 v[110:111], v[154:155], v[138:139] op_sel:[1,1] op_sel_hi:[0,1]
	v_mov_b32_e32 v107, v117
	v_pk_fma_f32 v[116:117], v[152:153], v[136:137], v[108:109] op_sel_hi:[1,0,1]
	v_pk_add_f32 v[114:115], v[114:115], v[206:207]
	v_pk_fma_f32 v[108:109], v[152:153], v[136:137], v[108:109] neg_lo:[0,0,1] neg_hi:[0,0,1]
	v_pk_fma_f32 v[120:121], v[154:155], v[138:139], v[110:111] op_sel_hi:[1,0,1]
	v_pk_mul_f32 v[112:113], v[198:199], v[112:113] op_sel_hi:[1,0]
	v_mov_b32_e32 v109, v117
	v_pk_add_f32 v[106:107], v[114:115], v[106:107]
	s_wait_loadcnt 0x2
	v_pk_mul_f32 v[118:119], v[158:159], v[142:143] op_sel:[1,1] op_sel_hi:[0,1]
	v_mov_b32_e32 v114, v145
	v_pk_fma_f32 v[110:111], v[154:155], v[138:139], v[110:111] neg_lo:[0,0,1] neg_hi:[0,0,1]
	v_pk_fma_f32 v[116:117], v[156:157], v[140:141], v[112:113] op_sel_hi:[1,0,1]
	v_mov_b32_e32 v111, v121
	v_pk_add_f32 v[106:107], v[106:107], v[108:109]
	v_pk_fma_f32 v[108:109], v[158:159], v[142:143], v[118:119] op_sel_hi:[1,0,1]
	v_pk_mul_f32 v[114:115], v[200:201], v[114:115] op_sel_hi:[1,0]
	v_pk_fma_f32 v[112:113], v[156:157], v[140:141], v[112:113] neg_lo:[0,0,1] neg_hi:[0,0,1]
	v_mov_b32_e32 v113, v117
	v_pk_add_f32 v[106:107], v[106:107], v[110:111]
	v_pk_fma_f32 v[116:117], v[158:159], v[142:143], v[118:119] neg_lo:[0,0,1] neg_hi:[0,0,1]
	v_mov_b32_e32 v117, v109
	v_pk_fma_f32 v[108:109], v[160:161], v[144:145], v[114:115] op_sel_hi:[1,0,1]
	s_wait_loadcnt 0x1
	v_pk_mul_f32 v[110:111], v[162:163], v[146:147] op_sel:[1,1] op_sel_hi:[0,1]
	v_pk_add_f32 v[106:107], v[106:107], v[112:113]
	v_mov_b32_e32 v108, v149
	v_pk_fma_f32 v[114:115], v[160:161], v[144:145], v[114:115] neg_lo:[0,0,1] neg_hi:[0,0,1]
	s_delay_alu instid0(VALU_DEP_4)
	v_pk_fma_f32 v[112:113], v[162:163], v[146:147], v[110:111] op_sel_hi:[1,0,1]
	v_mov_b32_e32 v115, v109
	v_pk_add_f32 v[106:107], v[106:107], v[116:117]
	v_pk_mul_f32 v[108:109], v[202:203], v[108:109] op_sel_hi:[1,0]
	v_pk_fma_f32 v[110:111], v[162:163], v[146:147], v[110:111] neg_lo:[0,0,1] neg_hi:[0,0,1]
	v_mov_b32_e32 v111, v113
	s_delay_alu instid0(VALU_DEP_4) | instskip(NEXT) | instid1(VALU_DEP_4)
	v_pk_add_f32 v[106:107], v[106:107], v[114:115]
	v_pk_fma_f32 v[112:113], v[164:165], v[148:149], v[108:109] op_sel_hi:[1,0,1]
	v_pk_fma_f32 v[108:109], v[164:165], v[148:149], v[108:109] neg_lo:[0,0,1] neg_hi:[0,0,1]
	s_delay_alu instid0(VALU_DEP_3) | instskip(NEXT) | instid1(VALU_DEP_3)
	v_pk_add_f32 v[106:107], v[106:107], v[110:111]
	v_mov_b32_e32 v109, v113
	s_delay_alu instid0(VALU_DEP_1) | instskip(SKIP_1) | instid1(VALU_DEP_1)
	v_pk_add_f32 v[106:107], v[106:107], v[108:109]
	s_wait_loadcnt 0x0
	v_pk_add_f32 v[106:107], v[194:195], v[106:107] neg_lo:[0,1] neg_hi:[0,1]
	scratch_store_b64 off, v[106:107], off offset:232
	s_wait_xcnt 0x0
	v_cmpx_lt_u32_e32 28, v0
	s_cbranch_execz .LBB115_269
; %bb.268:
	scratch_load_b64 v[106:107], off, off offset:224
	v_mov_b64_e32 v[108:109], 0
	scratch_store_b64 off, v[108:109], off offset:224
	s_wait_loadcnt 0x0
	ds_store_b64 v1, v[106:107]
.LBB115_269:
	s_wait_xcnt 0x0
	s_or_b32 exec_lo, exec_lo, s0
	s_wait_storecnt_dscnt 0x0
	s_barrier_signal -1
	s_barrier_wait -1
	s_clause 0xc
	scratch_load_b128 v[106:109], off, off offset:232
	scratch_load_b128 v[110:113], off, off offset:248
	;; [unrolled: 1-line block ×11, first 2 shown]
	scratch_load_b64 v[194:195], off, off offset:408
	scratch_load_b64 v[196:197], off, off offset:224
	v_mov_b32_e32 v7, 0
	ds_load_2addr_b64 v[150:153], v7 offset0:95 offset1:96
	ds_load_2addr_b64 v[154:157], v7 offset0:97 offset1:98
	;; [unrolled: 1-line block ×11, first 2 shown]
	ds_load_b64 v[198:199], v7 offset:824
	s_mov_b32 s0, exec_lo
	s_wait_dscnt 0xb
	v_dual_mov_b32 v200, v153 :: v_dual_mov_b32 v201, v152
	s_wait_dscnt 0x8
	v_dual_mov_b32 v202, v157 :: v_dual_mov_b32 v207, v164
	v_dual_mov_b32 v203, v156 :: v_dual_mov_b32 v204, v161
	;; [unrolled: 1-line block ×3, first 2 shown]
	s_wait_loadcnt_dscnt 0xc07
	v_dual_mul_f32 v9, v166, v107 :: v_dual_mul_f32 v35, v167, v107
	v_dual_mul_f32 v37, v169, v109 :: v_dual_mul_f32 v11, v168, v109
	s_wait_loadcnt_dscnt 0xb06
	v_mul_f32_e32 v13, v170, v111
	s_wait_loadcnt_dscnt 0x904
	v_dual_mul_f32 v47, v179, v119 :: v_dual_fma_f32 v35, v166, v106, -v35
	v_dual_fmac_f32 v9, v167, v106 :: v_dual_mul_f32 v49, v181, v121
	v_dual_mul_f32 v39, v171, v111 :: v_dual_mul_f32 v41, v173, v113
	v_dual_fmac_f32 v11, v169, v108 :: v_dual_fma_f32 v37, v168, v108, -v37
	s_delay_alu instid0(VALU_DEP_3) | instskip(SKIP_3) | instid1(VALU_DEP_3)
	v_dual_add_f32 v9, 0, v9 :: v_dual_add_f32 v35, 0, v35
	v_dual_mul_f32 v15, v172, v113 :: v_dual_mul_f32 v17, v174, v115
	s_wait_loadcnt_dscnt 0x803
	v_dual_mul_f32 v51, v183, v123 :: v_dual_fma_f32 v39, v170, v110, -v39
	v_dual_fmac_f32 v13, v171, v110 :: v_dual_add_f32 v9, v9, v11
	s_delay_alu instid0(VALU_DEP_3) | instskip(SKIP_2) | instid1(VALU_DEP_3)
	v_dual_add_f32 v11, v35, v37 :: v_dual_fmac_f32 v15, v173, v112
	v_dual_mul_f32 v43, v175, v115 :: v_dual_mul_f32 v45, v177, v117
	v_dual_mul_f32 v35, v185, v125 :: v_dual_fma_f32 v37, v172, v112, -v41
	v_dual_add_f32 v9, v9, v13 :: v_dual_add_f32 v11, v11, v39
	v_dual_mul_f32 v19, v176, v117 :: v_dual_mul_f32 v21, v178, v119
	s_wait_loadcnt_dscnt 0x701
	v_dual_mul_f32 v13, v191, v127 :: v_dual_fma_f32 v39, v174, v114, -v43
	s_delay_alu instid0(VALU_DEP_3) | instskip(NEXT) | instid1(VALU_DEP_3)
	v_dual_fmac_f32 v17, v175, v114 :: v_dual_add_f32 v9, v9, v15
	v_dual_add_f32 v11, v11, v37 :: v_dual_fmac_f32 v19, v177, v116
	v_dual_mul_f32 v15, v193, v129 :: v_dual_fma_f32 v37, v176, v116, -v45
	s_delay_alu instid0(VALU_DEP_2) | instskip(SKIP_3) | instid1(VALU_DEP_3)
	v_dual_add_f32 v9, v9, v17 :: v_dual_add_f32 v11, v11, v39
	v_dual_mul_f32 v23, v180, v121 :: v_dual_mul_f32 v25, v182, v123
	s_wait_loadcnt 0x6
	v_dual_mul_f32 v17, v187, v131 :: v_dual_fma_f32 v39, v178, v118, -v47
	v_dual_fmac_f32 v21, v179, v118 :: v_dual_add_f32 v9, v9, v19
	s_delay_alu instid0(VALU_DEP_3) | instskip(SKIP_1) | instid1(VALU_DEP_2)
	v_dual_add_f32 v11, v11, v37 :: v_dual_fmac_f32 v23, v181, v120
	v_dual_mul_f32 v19, v189, v133 :: v_dual_fma_f32 v37, v180, v120, -v49
	v_dual_add_f32 v9, v9, v21 :: v_dual_add_f32 v11, v11, v39
	v_dual_mul_f32 v27, v184, v125 :: v_dual_mul_f32 v29, v190, v127
	s_wait_loadcnt 0x5
	v_dual_mul_f32 v21, v151, v135 :: v_dual_fma_f32 v39, v182, v122, -v51
	s_delay_alu instid0(VALU_DEP_3) | instskip(SKIP_2) | instid1(VALU_DEP_3)
	v_dual_fmac_f32 v25, v183, v122 :: v_dual_add_f32 v9, v9, v23
	v_dual_add_f32 v11, v11, v37 :: v_dual_mov_b32 v106, v137
	v_fmac_f32_e32 v27, v185, v124
	v_dual_fma_f32 v23, v184, v124, -v35 :: v_dual_add_f32 v9, v9, v25
	s_delay_alu instid0(VALU_DEP_3) | instskip(SKIP_1) | instid1(VALU_DEP_3)
	v_dual_add_f32 v11, v11, v39 :: v_dual_mul_f32 v31, v192, v129
	v_dual_mul_f32 v33, v186, v131 :: v_dual_fmac_f32 v29, v191, v126
	v_dual_add_f32 v9, v9, v27 :: v_dual_fma_f32 v13, v190, v126, -v13
	s_wait_loadcnt 0x4
	s_delay_alu instid0(VALU_DEP_3) | instskip(SKIP_3) | instid1(VALU_DEP_4)
	v_dual_add_f32 v11, v11, v23 :: v_dual_mov_b32 v110, v141
	v_fma_f32 v15, v192, v128, -v15
	v_fmac_f32_e32 v31, v193, v128
	v_dual_add_f32 v9, v9, v29 :: v_dual_fmac_f32 v33, v187, v130
	v_add_f32_e32 v11, v11, v13
	v_dual_mul_f32 v209, v188, v133 :: v_dual_mul_f32 v211, v150, v135
	s_delay_alu instid0(VALU_DEP_3) | instskip(NEXT) | instid1(VALU_DEP_2)
	v_dual_fma_f32 v13, v186, v130, -v17 :: v_dual_add_f32 v9, v9, v31
	v_dual_add_f32 v11, v11, v15 :: v_dual_fmac_f32 v209, v189, v132
	v_fma_f32 v208, v188, v132, -v19
	v_pk_mul_f32 v[106:107], v[200:201], v[106:107] op_sel_hi:[1,0]
	s_delay_alu instid0(VALU_DEP_4)
	v_add_f32_e32 v115, v9, v33
	s_wait_loadcnt 0x3
	v_dual_add_f32 v114, v11, v13 :: v_dual_mov_b32 v116, v145
	v_pk_mul_f32 v[108:109], v[154:155], v[138:139] op_sel:[1,1] op_sel_hi:[0,1]
	v_dual_fmac_f32 v211, v151, v134 :: v_dual_fma_f32 v210, v150, v134, -v21
	v_pk_fma_f32 v[118:119], v[152:153], v[136:137], v[106:107] op_sel_hi:[1,0,1]
	s_delay_alu instid0(VALU_DEP_4)
	v_pk_add_f32 v[114:115], v[114:115], v[208:209]
	v_pk_fma_f32 v[106:107], v[152:153], v[136:137], v[106:107] neg_lo:[0,0,1] neg_hi:[0,0,1]
	v_pk_fma_f32 v[120:121], v[154:155], v[138:139], v[108:109] op_sel_hi:[1,0,1]
	v_pk_mul_f32 v[110:111], v[202:203], v[110:111] op_sel_hi:[1,0]
	v_mov_b32_e32 v107, v119
	v_pk_add_f32 v[114:115], v[114:115], v[210:211]
	v_pk_fma_f32 v[108:109], v[154:155], v[138:139], v[108:109] neg_lo:[0,0,1] neg_hi:[0,0,1]
	v_pk_mul_f32 v[112:113], v[158:159], v[142:143] op_sel:[1,1] op_sel_hi:[0,1]
	v_mov_b32_e32 v109, v121
	v_pk_fma_f32 v[120:121], v[156:157], v[140:141], v[110:111] op_sel_hi:[1,0,1]
	v_pk_add_f32 v[106:107], v[114:115], v[106:107]
	v_pk_fma_f32 v[110:111], v[156:157], v[140:141], v[110:111] neg_lo:[0,0,1] neg_hi:[0,0,1]
	v_pk_fma_f32 v[114:115], v[158:159], v[142:143], v[112:113] op_sel_hi:[1,0,1]
	v_pk_mul_f32 v[116:117], v[204:205], v[116:117] op_sel_hi:[1,0]
	v_mov_b32_e32 v111, v121
	v_pk_add_f32 v[106:107], v[106:107], v[108:109]
	v_pk_fma_f32 v[112:113], v[158:159], v[142:143], v[112:113] neg_lo:[0,0,1] neg_hi:[0,0,1]
	s_wait_loadcnt 0x2
	v_pk_mul_f32 v[118:119], v[162:163], v[146:147] op_sel:[1,1] op_sel_hi:[0,1]
	v_dual_mov_b32 v108, v149 :: v_dual_mov_b32 v113, v115
	v_pk_fma_f32 v[114:115], v[160:161], v[144:145], v[116:117] op_sel_hi:[1,0,1]
	v_pk_add_f32 v[106:107], v[106:107], v[110:111]
	v_pk_fma_f32 v[116:117], v[160:161], v[144:145], v[116:117] neg_lo:[0,0,1] neg_hi:[0,0,1]
	v_pk_fma_f32 v[110:111], v[162:163], v[146:147], v[118:119] op_sel_hi:[1,0,1]
	v_pk_mul_f32 v[108:109], v[206:207], v[108:109] op_sel_hi:[1,0]
	v_mov_b32_e32 v117, v115
	v_pk_add_f32 v[106:107], v[106:107], v[112:113]
	v_pk_fma_f32 v[112:113], v[162:163], v[146:147], v[118:119] neg_lo:[0,0,1] neg_hi:[0,0,1]
	v_mov_b32_e32 v113, v111
	v_pk_fma_f32 v[110:111], v[164:165], v[148:149], v[108:109] op_sel_hi:[1,0,1]
	s_wait_loadcnt_dscnt 0x100
	v_pk_mul_f32 v[114:115], v[198:199], v[194:195] op_sel:[1,1] op_sel_hi:[0,1]
	v_pk_add_f32 v[106:107], v[106:107], v[116:117]
	v_pk_fma_f32 v[108:109], v[164:165], v[148:149], v[108:109] neg_lo:[0,0,1] neg_hi:[0,0,1]
	v_mov_b32_e32 v109, v111
	s_delay_alu instid0(VALU_DEP_4) | instskip(NEXT) | instid1(VALU_DEP_4)
	v_pk_fma_f32 v[110:111], v[198:199], v[194:195], v[114:115] op_sel_hi:[1,0,1]
	v_pk_add_f32 v[106:107], v[106:107], v[112:113]
	v_pk_fma_f32 v[112:113], v[198:199], v[194:195], v[114:115] neg_lo:[0,0,1] neg_hi:[0,0,1]
	s_delay_alu instid0(VALU_DEP_3) | instskip(NEXT) | instid1(VALU_DEP_3)
	v_mov_b32_e32 v113, v111
	v_pk_add_f32 v[106:107], v[106:107], v[108:109]
	s_delay_alu instid0(VALU_DEP_1) | instskip(SKIP_1) | instid1(VALU_DEP_1)
	v_pk_add_f32 v[106:107], v[106:107], v[112:113]
	s_wait_loadcnt 0x0
	v_pk_add_f32 v[106:107], v[196:197], v[106:107] neg_lo:[0,1] neg_hi:[0,1]
	scratch_store_b64 off, v[106:107], off offset:224
	s_wait_xcnt 0x0
	v_cmpx_lt_u32_e32 27, v0
	s_cbranch_execz .LBB115_271
; %bb.270:
	scratch_load_b64 v[106:107], off, off offset:216
	v_mov_b64_e32 v[108:109], 0
	scratch_store_b64 off, v[108:109], off offset:216
	s_wait_loadcnt 0x0
	ds_store_b64 v1, v[106:107]
.LBB115_271:
	s_wait_xcnt 0x0
	s_or_b32 exec_lo, exec_lo, s0
	s_wait_storecnt_dscnt 0x0
	s_barrier_signal -1
	s_barrier_wait -1
	s_clause 0xc
	scratch_load_b128 v[106:109], off, off offset:224
	scratch_load_b128 v[110:113], off, off offset:240
	;; [unrolled: 1-line block ×12, first 2 shown]
	scratch_load_b64 v[202:203], off, off offset:216
	ds_load_b128 v[154:157], v7 offset:768
	ds_load_b128 v[158:161], v7 offset:784
	ds_load_b128 v[162:165], v7 offset:800
	ds_load_b128 v[166:169], v7 offset:816
	ds_load_b128 v[170:173], v7 offset:640
	ds_load_b128 v[174:177], v7 offset:656
	ds_load_b128 v[178:181], v7 offset:672
	ds_load_b128 v[182:185], v7 offset:688
	ds_load_b128 v[186:189], v7 offset:704
	ds_load_b128 v[190:193], v7 offset:720
	ds_load_b128 v[194:197], v7 offset:736
	ds_load_b128 v[198:201], v7 offset:752
	s_mov_b32 s0, exec_lo
	s_wait_dscnt 0xb
	v_dual_mov_b32 v204, v157 :: v_dual_mov_b32 v205, v156
	s_wait_dscnt 0xa
	v_dual_mov_b32 v206, v161 :: v_dual_mov_b32 v207, v160
	;; [unrolled: 2-line block ×4, first 2 shown]
	s_wait_loadcnt_dscnt 0xc07
	v_dual_mul_f32 v7, v170, v107 :: v_dual_mul_f32 v9, v172, v109
	v_dual_mul_f32 v35, v171, v107 :: v_dual_mul_f32 v37, v173, v109
	s_wait_loadcnt_dscnt 0xb06
	v_dual_mul_f32 v11, v174, v111 :: v_dual_mul_f32 v13, v176, v113
	s_delay_alu instid0(VALU_DEP_3) | instskip(SKIP_3) | instid1(VALU_DEP_3)
	v_dual_fmac_f32 v7, v171, v106 :: v_dual_fmac_f32 v9, v173, v108
	s_wait_loadcnt_dscnt 0x904
	v_dual_fma_f32 v35, v170, v106, -v35 :: v_dual_mul_f32 v47, v183, v119
	v_dual_mul_f32 v39, v175, v111 :: v_dual_mul_f32 v41, v177, v113
	v_dual_fma_f32 v37, v172, v108, -v37 :: v_dual_add_f32 v7, 0, v7
	s_delay_alu instid0(VALU_DEP_3) | instskip(SKIP_1) | instid1(VALU_DEP_3)
	v_dual_add_f32 v35, 0, v35 :: v_dual_mul_f32 v49, v185, v121
	v_dual_fmac_f32 v11, v175, v110 :: v_dual_fmac_f32 v13, v177, v112
	v_dual_fma_f32 v39, v174, v110, -v39 :: v_dual_add_f32 v7, v7, v9
	s_delay_alu instid0(VALU_DEP_3) | instskip(SKIP_2) | instid1(VALU_DEP_4)
	v_dual_add_f32 v9, v35, v37 :: v_dual_fma_f32 v37, v176, v112, -v41
	v_dual_mul_f32 v15, v178, v115 :: v_dual_mul_f32 v17, v180, v117
	v_dual_mul_f32 v43, v179, v115 :: v_dual_mul_f32 v45, v181, v117
	v_add_f32_e32 v7, v7, v11
	s_delay_alu instid0(VALU_DEP_3) | instskip(NEXT) | instid1(VALU_DEP_3)
	v_dual_add_f32 v9, v9, v39 :: v_dual_fmac_f32 v15, v179, v114
	v_fma_f32 v39, v178, v114, -v43
	v_dual_mul_f32 v19, v182, v119 :: v_dual_mul_f32 v21, v184, v121
	s_delay_alu instid0(VALU_DEP_4) | instskip(SKIP_2) | instid1(VALU_DEP_2)
	v_dual_add_f32 v7, v7, v13 :: v_dual_fmac_f32 v17, v181, v116
	s_wait_loadcnt_dscnt 0x702
	v_dual_add_f32 v9, v9, v37 :: v_dual_mul_f32 v13, v191, v127
	v_dual_fma_f32 v37, v180, v116, -v45 :: v_dual_add_f32 v7, v7, v15
	v_mul_f32_e32 v15, v193, v129
	s_delay_alu instid0(VALU_DEP_3) | instskip(NEXT) | instid1(VALU_DEP_3)
	v_dual_add_f32 v9, v9, v39 :: v_dual_fmac_f32 v19, v183, v118
	v_dual_fma_f32 v39, v182, v118, -v47 :: v_dual_add_f32 v7, v7, v17
	v_fmac_f32_e32 v21, v185, v120
	s_wait_loadcnt_dscnt 0x601
	s_delay_alu instid0(VALU_DEP_3) | instskip(SKIP_3) | instid1(VALU_DEP_3)
	v_dual_add_f32 v9, v9, v37 :: v_dual_mul_f32 v17, v195, v131
	v_dual_mul_f32 v23, v186, v123 :: v_dual_mul_f32 v25, v188, v125
	v_dual_mul_f32 v35, v187, v123 :: v_dual_mul_f32 v11, v189, v125
	v_dual_fma_f32 v37, v184, v120, -v49 :: v_dual_add_f32 v7, v7, v19
	v_dual_add_f32 v9, v9, v39 :: v_dual_fmac_f32 v23, v187, v122
	s_delay_alu instid0(VALU_DEP_3) | instskip(NEXT) | instid1(VALU_DEP_3)
	v_dual_mul_f32 v19, v197, v133 :: v_dual_fma_f32 v35, v186, v122, -v35
	v_dual_add_f32 v7, v7, v21 :: v_dual_fmac_f32 v25, v189, v124
	s_wait_loadcnt_dscnt 0x500
	s_delay_alu instid0(VALU_DEP_3) | instskip(SKIP_1) | instid1(VALU_DEP_3)
	v_dual_add_f32 v9, v9, v37 :: v_dual_mul_f32 v21, v199, v135
	v_dual_mul_f32 v27, v190, v127 :: v_dual_mul_f32 v29, v192, v129
	v_dual_fma_f32 v11, v188, v124, -v11 :: v_dual_add_f32 v7, v7, v23
	s_delay_alu instid0(VALU_DEP_2) | instskip(SKIP_1) | instid1(VALU_DEP_2)
	v_dual_add_f32 v9, v9, v35 :: v_dual_fmac_f32 v27, v191, v126
	v_dual_mul_f32 v23, v201, v137 :: v_dual_fma_f32 v13, v190, v126, -v13
	v_dual_add_f32 v7, v7, v25 :: v_dual_add_f32 v9, v9, v11
	v_dual_mul_f32 v31, v194, v131 :: v_dual_mul_f32 v33, v196, v133
	v_dual_fmac_f32 v29, v193, v128 :: v_dual_fma_f32 v11, v192, v128, -v15
	s_delay_alu instid0(VALU_DEP_3) | instskip(SKIP_1) | instid1(VALU_DEP_3)
	v_dual_add_f32 v7, v7, v27 :: v_dual_add_f32 v9, v9, v13
	s_wait_loadcnt 0x4
	v_dual_mov_b32 v108, v141 :: v_dual_fmac_f32 v31, v195, v130
	s_delay_alu instid0(VALU_DEP_2) | instskip(NEXT) | instid1(VALU_DEP_3)
	v_dual_fma_f32 v13, v194, v130, -v17 :: v_dual_add_f32 v7, v7, v29
	v_dual_add_f32 v9, v9, v11 :: v_dual_fma_f32 v11, v196, v132, -v19
	v_dual_mul_f32 v213, v198, v135 :: v_dual_mul_f32 v215, v200, v137
	s_delay_alu instid0(VALU_DEP_3) | instskip(NEXT) | instid1(VALU_DEP_2)
	v_dual_fmac_f32 v33, v197, v132 :: v_dual_add_f32 v7, v7, v31
	v_dual_add_f32 v9, v9, v13 :: v_dual_fmac_f32 v213, v199, v134
	v_pk_mul_f32 v[106:107], v[154:155], v[138:139] op_sel:[1,1] op_sel_hi:[0,1]
	s_wait_loadcnt 0x3
	v_dual_mov_b32 v112, v145 :: v_dual_fma_f32 v212, v198, v134, -v21
	s_delay_alu instid0(VALU_DEP_3)
	v_dual_add_f32 v115, v7, v33 :: v_dual_add_f32 v114, v9, v11
	v_fmac_f32_e32 v215, v201, v136
	v_pk_fma_f32 v[116:117], v[154:155], v[138:139], v[106:107] op_sel_hi:[1,0,1]
	v_fma_f32 v214, v200, v136, -v23
	v_pk_mul_f32 v[108:109], v[204:205], v[108:109] op_sel_hi:[1,0]
	v_pk_add_f32 v[114:115], v[114:115], v[212:213]
	v_pk_fma_f32 v[106:107], v[154:155], v[138:139], v[106:107] neg_lo:[0,0,1] neg_hi:[0,0,1]
	v_pk_mul_f32 v[110:111], v[158:159], v[142:143] op_sel:[1,1] op_sel_hi:[0,1]
	v_mov_b32_e32 v107, v117
	v_pk_fma_f32 v[116:117], v[156:157], v[140:141], v[108:109] op_sel_hi:[1,0,1]
	v_pk_add_f32 v[114:115], v[114:115], v[214:215]
	v_pk_fma_f32 v[108:109], v[156:157], v[140:141], v[108:109] neg_lo:[0,0,1] neg_hi:[0,0,1]
	v_pk_fma_f32 v[120:121], v[158:159], v[142:143], v[110:111] op_sel_hi:[1,0,1]
	v_pk_mul_f32 v[112:113], v[206:207], v[112:113] op_sel_hi:[1,0]
	v_mov_b32_e32 v109, v117
	v_pk_add_f32 v[106:107], v[114:115], v[106:107]
	s_wait_loadcnt 0x2
	v_pk_mul_f32 v[118:119], v[162:163], v[146:147] op_sel:[1,1] op_sel_hi:[0,1]
	v_mov_b32_e32 v114, v149
	v_pk_fma_f32 v[110:111], v[158:159], v[142:143], v[110:111] neg_lo:[0,0,1] neg_hi:[0,0,1]
	v_pk_fma_f32 v[116:117], v[160:161], v[144:145], v[112:113] op_sel_hi:[1,0,1]
	v_mov_b32_e32 v111, v121
	v_pk_add_f32 v[106:107], v[106:107], v[108:109]
	v_pk_fma_f32 v[108:109], v[162:163], v[146:147], v[118:119] op_sel_hi:[1,0,1]
	v_pk_mul_f32 v[114:115], v[208:209], v[114:115] op_sel_hi:[1,0]
	v_pk_fma_f32 v[112:113], v[160:161], v[144:145], v[112:113] neg_lo:[0,0,1] neg_hi:[0,0,1]
	v_mov_b32_e32 v113, v117
	v_pk_add_f32 v[106:107], v[106:107], v[110:111]
	v_pk_fma_f32 v[116:117], v[162:163], v[146:147], v[118:119] neg_lo:[0,0,1] neg_hi:[0,0,1]
	v_mov_b32_e32 v117, v109
	v_pk_fma_f32 v[108:109], v[164:165], v[148:149], v[114:115] op_sel_hi:[1,0,1]
	s_wait_loadcnt 0x1
	v_pk_mul_f32 v[110:111], v[166:167], v[150:151] op_sel:[1,1] op_sel_hi:[0,1]
	v_pk_add_f32 v[106:107], v[106:107], v[112:113]
	v_mov_b32_e32 v108, v153
	v_pk_fma_f32 v[114:115], v[164:165], v[148:149], v[114:115] neg_lo:[0,0,1] neg_hi:[0,0,1]
	s_delay_alu instid0(VALU_DEP_4)
	v_pk_fma_f32 v[112:113], v[166:167], v[150:151], v[110:111] op_sel_hi:[1,0,1]
	v_mov_b32_e32 v115, v109
	v_pk_add_f32 v[106:107], v[106:107], v[116:117]
	v_pk_mul_f32 v[108:109], v[210:211], v[108:109] op_sel_hi:[1,0]
	v_pk_fma_f32 v[110:111], v[166:167], v[150:151], v[110:111] neg_lo:[0,0,1] neg_hi:[0,0,1]
	v_mov_b32_e32 v111, v113
	s_delay_alu instid0(VALU_DEP_4) | instskip(NEXT) | instid1(VALU_DEP_4)
	v_pk_add_f32 v[106:107], v[106:107], v[114:115]
	v_pk_fma_f32 v[112:113], v[168:169], v[152:153], v[108:109] op_sel_hi:[1,0,1]
	v_pk_fma_f32 v[108:109], v[168:169], v[152:153], v[108:109] neg_lo:[0,0,1] neg_hi:[0,0,1]
	s_delay_alu instid0(VALU_DEP_3) | instskip(NEXT) | instid1(VALU_DEP_3)
	v_pk_add_f32 v[106:107], v[106:107], v[110:111]
	v_mov_b32_e32 v109, v113
	s_delay_alu instid0(VALU_DEP_1) | instskip(SKIP_1) | instid1(VALU_DEP_1)
	v_pk_add_f32 v[106:107], v[106:107], v[108:109]
	s_wait_loadcnt 0x0
	v_pk_add_f32 v[106:107], v[202:203], v[106:107] neg_lo:[0,1] neg_hi:[0,1]
	scratch_store_b64 off, v[106:107], off offset:216
	s_wait_xcnt 0x0
	v_cmpx_lt_u32_e32 26, v0
	s_cbranch_execz .LBB115_273
; %bb.272:
	scratch_load_b64 v[106:107], off, off offset:208
	v_mov_b64_e32 v[108:109], 0
	scratch_store_b64 off, v[108:109], off offset:208
	s_wait_loadcnt 0x0
	ds_store_b64 v1, v[106:107]
.LBB115_273:
	s_wait_xcnt 0x0
	s_or_b32 exec_lo, exec_lo, s0
	s_wait_storecnt_dscnt 0x0
	s_barrier_signal -1
	s_barrier_wait -1
	s_clause 0xd
	scratch_load_b128 v[106:109], off, off offset:216
	scratch_load_b128 v[110:113], off, off offset:232
	;; [unrolled: 1-line block ×12, first 2 shown]
	scratch_load_b64 v[202:203], off, off offset:408
	scratch_load_b64 v[204:205], off, off offset:208
	v_mov_b32_e32 v7, 0
	ds_load_2addr_b64 v[154:157], v7 offset0:95 offset1:96
	ds_load_2addr_b64 v[158:161], v7 offset0:97 offset1:98
	;; [unrolled: 1-line block ×12, first 2 shown]
	ds_load_b64 v[206:207], v7 offset:824
	s_mov_b32 s0, exec_lo
	s_wait_dscnt 0xc
	v_dual_mov_b32 v208, v157 :: v_dual_mov_b32 v209, v156
	s_wait_dscnt 0x9
	v_dual_mov_b32 v210, v161 :: v_dual_mov_b32 v215, v168
	v_dual_mov_b32 v211, v160 :: v_dual_mov_b32 v212, v165
	;; [unrolled: 1-line block ×3, first 2 shown]
	s_wait_loadcnt_dscnt 0xd08
	v_dual_mul_f32 v9, v170, v107 :: v_dual_mul_f32 v39, v171, v107
	v_dual_mul_f32 v41, v173, v109 :: v_dual_mul_f32 v11, v172, v109
	s_wait_loadcnt_dscnt 0xc07
	v_mul_f32_e32 v13, v174, v111
	s_wait_loadcnt_dscnt 0xa05
	v_dual_mul_f32 v51, v183, v119 :: v_dual_fma_f32 v39, v170, v106, -v39
	v_dual_fmac_f32 v9, v171, v106 :: v_dual_mul_f32 v53, v185, v121
	v_dual_mul_f32 v43, v175, v111 :: v_dual_mul_f32 v45, v177, v113
	v_dual_fmac_f32 v11, v173, v108 :: v_dual_fma_f32 v41, v172, v108, -v41
	s_delay_alu instid0(VALU_DEP_3) | instskip(SKIP_3) | instid1(VALU_DEP_3)
	v_dual_add_f32 v9, 0, v9 :: v_dual_add_f32 v39, 0, v39
	v_dual_mul_f32 v15, v176, v113 :: v_dual_mul_f32 v17, v178, v115
	s_wait_loadcnt_dscnt 0x904
	v_dual_mul_f32 v55, v187, v123 :: v_dual_fma_f32 v43, v174, v110, -v43
	v_dual_fmac_f32 v13, v175, v110 :: v_dual_add_f32 v9, v9, v11
	s_delay_alu instid0(VALU_DEP_3) | instskip(SKIP_2) | instid1(VALU_DEP_3)
	v_dual_add_f32 v11, v39, v41 :: v_dual_fmac_f32 v15, v177, v112
	v_dual_mul_f32 v47, v179, v115 :: v_dual_mul_f32 v49, v181, v117
	v_dual_mul_f32 v39, v189, v125 :: v_dual_fma_f32 v41, v176, v112, -v45
	v_dual_add_f32 v9, v9, v13 :: v_dual_add_f32 v11, v11, v43
	v_dual_mul_f32 v19, v180, v117 :: v_dual_mul_f32 v21, v182, v119
	s_wait_loadcnt_dscnt 0x803
	v_dual_mul_f32 v13, v191, v127 :: v_dual_fma_f32 v43, v178, v114, -v47
	s_delay_alu instid0(VALU_DEP_3) | instskip(NEXT) | instid1(VALU_DEP_3)
	v_dual_fmac_f32 v17, v179, v114 :: v_dual_add_f32 v9, v9, v15
	v_dual_add_f32 v11, v11, v41 :: v_dual_fmac_f32 v19, v181, v116
	v_dual_mul_f32 v15, v193, v129 :: v_dual_fma_f32 v41, v180, v116, -v49
	s_delay_alu instid0(VALU_DEP_2) | instskip(SKIP_3) | instid1(VALU_DEP_3)
	v_dual_add_f32 v9, v9, v17 :: v_dual_add_f32 v11, v11, v43
	v_dual_mul_f32 v23, v184, v121 :: v_dual_mul_f32 v25, v186, v123
	s_wait_loadcnt_dscnt 0x702
	v_dual_mul_f32 v17, v195, v131 :: v_dual_fma_f32 v43, v182, v118, -v51
	v_dual_fmac_f32 v21, v183, v118 :: v_dual_add_f32 v9, v9, v19
	s_delay_alu instid0(VALU_DEP_3) | instskip(SKIP_1) | instid1(VALU_DEP_2)
	v_dual_add_f32 v11, v11, v41 :: v_dual_fmac_f32 v23, v185, v120
	v_dual_mul_f32 v19, v197, v133 :: v_dual_fma_f32 v41, v184, v120, -v53
	v_dual_add_f32 v9, v9, v21 :: v_dual_add_f32 v11, v11, v43
	v_dual_mul_f32 v27, v188, v125 :: v_dual_mul_f32 v29, v190, v127
	s_wait_loadcnt_dscnt 0x601
	v_dual_mul_f32 v21, v199, v135 :: v_dual_fma_f32 v43, v186, v122, -v55
	s_delay_alu instid0(VALU_DEP_3) | instskip(NEXT) | instid1(VALU_DEP_3)
	v_dual_fmac_f32 v25, v187, v122 :: v_dual_add_f32 v9, v9, v23
	v_dual_add_f32 v11, v11, v41 :: v_dual_fmac_f32 v27, v189, v124
	v_dual_mul_f32 v23, v201, v137 :: v_dual_fma_f32 v39, v188, v124, -v39
	s_delay_alu instid0(VALU_DEP_2) | instskip(SKIP_3) | instid1(VALU_DEP_3)
	v_dual_add_f32 v9, v9, v25 :: v_dual_add_f32 v11, v11, v43
	v_dual_mul_f32 v31, v192, v129 :: v_dual_mul_f32 v33, v194, v131
	s_wait_loadcnt 0x5
	v_dual_mul_f32 v25, v155, v139 :: v_dual_fma_f32 v13, v190, v126, -v13
	v_dual_fmac_f32 v29, v191, v126 :: v_dual_add_f32 v9, v9, v27
	v_dual_add_f32 v11, v11, v39 :: v_dual_mov_b32 v106, v141
	v_fmac_f32_e32 v31, v193, v128
	s_delay_alu instid0(VALU_DEP_3) | instskip(NEXT) | instid1(VALU_DEP_3)
	v_dual_fma_f32 v15, v192, v128, -v15 :: v_dual_add_f32 v9, v9, v29
	v_add_f32_e32 v11, v11, v13
	v_dual_mul_f32 v35, v196, v133 :: v_dual_mul_f32 v37, v198, v135
	s_delay_alu instid0(VALU_DEP_3) | instskip(NEXT) | instid1(VALU_DEP_3)
	v_dual_fmac_f32 v33, v195, v130 :: v_dual_add_f32 v9, v9, v31
	v_dual_fma_f32 v13, v194, v130, -v17 :: v_dual_add_f32 v11, v11, v15
	s_wait_loadcnt 0x4
	v_dual_mov_b32 v110, v145 :: v_dual_fma_f32 v15, v196, v132, -v19
	v_fmac_f32_e32 v35, v197, v132
	v_dual_add_f32 v9, v9, v33 :: v_dual_fmac_f32 v37, v199, v134
	v_add_f32_e32 v11, v11, v13
	v_dual_mul_f32 v217, v200, v137 :: v_dual_mul_f32 v219, v154, v139
	s_delay_alu instid0(VALU_DEP_3) | instskip(NEXT) | instid1(VALU_DEP_2)
	v_dual_fma_f32 v13, v198, v134, -v21 :: v_dual_add_f32 v9, v9, v35
	v_dual_add_f32 v11, v11, v15 :: v_dual_fmac_f32 v217, v201, v136
	v_fma_f32 v216, v200, v136, -v23
	v_pk_mul_f32 v[106:107], v[208:209], v[106:107] op_sel_hi:[1,0]
	s_delay_alu instid0(VALU_DEP_4)
	v_add_f32_e32 v115, v9, v37
	s_wait_loadcnt 0x3
	v_dual_add_f32 v114, v11, v13 :: v_dual_mov_b32 v116, v149
	v_pk_mul_f32 v[108:109], v[158:159], v[142:143] op_sel:[1,1] op_sel_hi:[0,1]
	v_dual_fmac_f32 v219, v155, v138 :: v_dual_fma_f32 v218, v154, v138, -v25
	v_pk_fma_f32 v[118:119], v[156:157], v[140:141], v[106:107] op_sel_hi:[1,0,1]
	s_delay_alu instid0(VALU_DEP_4)
	v_pk_add_f32 v[114:115], v[114:115], v[216:217]
	v_pk_fma_f32 v[106:107], v[156:157], v[140:141], v[106:107] neg_lo:[0,0,1] neg_hi:[0,0,1]
	v_pk_fma_f32 v[120:121], v[158:159], v[142:143], v[108:109] op_sel_hi:[1,0,1]
	v_pk_mul_f32 v[110:111], v[210:211], v[110:111] op_sel_hi:[1,0]
	v_mov_b32_e32 v107, v119
	v_pk_add_f32 v[114:115], v[114:115], v[218:219]
	v_pk_fma_f32 v[108:109], v[158:159], v[142:143], v[108:109] neg_lo:[0,0,1] neg_hi:[0,0,1]
	v_pk_mul_f32 v[112:113], v[162:163], v[146:147] op_sel:[1,1] op_sel_hi:[0,1]
	v_mov_b32_e32 v109, v121
	v_pk_fma_f32 v[120:121], v[160:161], v[144:145], v[110:111] op_sel_hi:[1,0,1]
	v_pk_add_f32 v[106:107], v[114:115], v[106:107]
	v_pk_fma_f32 v[110:111], v[160:161], v[144:145], v[110:111] neg_lo:[0,0,1] neg_hi:[0,0,1]
	v_pk_fma_f32 v[114:115], v[162:163], v[146:147], v[112:113] op_sel_hi:[1,0,1]
	v_pk_mul_f32 v[116:117], v[212:213], v[116:117] op_sel_hi:[1,0]
	v_mov_b32_e32 v111, v121
	v_pk_add_f32 v[106:107], v[106:107], v[108:109]
	v_pk_fma_f32 v[112:113], v[162:163], v[146:147], v[112:113] neg_lo:[0,0,1] neg_hi:[0,0,1]
	s_wait_loadcnt 0x2
	v_pk_mul_f32 v[118:119], v[166:167], v[150:151] op_sel:[1,1] op_sel_hi:[0,1]
	v_dual_mov_b32 v108, v153 :: v_dual_mov_b32 v113, v115
	v_pk_fma_f32 v[114:115], v[164:165], v[148:149], v[116:117] op_sel_hi:[1,0,1]
	v_pk_add_f32 v[106:107], v[106:107], v[110:111]
	v_pk_fma_f32 v[116:117], v[164:165], v[148:149], v[116:117] neg_lo:[0,0,1] neg_hi:[0,0,1]
	v_pk_fma_f32 v[110:111], v[166:167], v[150:151], v[118:119] op_sel_hi:[1,0,1]
	v_pk_mul_f32 v[108:109], v[214:215], v[108:109] op_sel_hi:[1,0]
	v_mov_b32_e32 v117, v115
	v_pk_add_f32 v[106:107], v[106:107], v[112:113]
	v_pk_fma_f32 v[112:113], v[166:167], v[150:151], v[118:119] neg_lo:[0,0,1] neg_hi:[0,0,1]
	v_mov_b32_e32 v113, v111
	v_pk_fma_f32 v[110:111], v[168:169], v[152:153], v[108:109] op_sel_hi:[1,0,1]
	s_wait_loadcnt_dscnt 0x100
	v_pk_mul_f32 v[114:115], v[206:207], v[202:203] op_sel:[1,1] op_sel_hi:[0,1]
	v_pk_add_f32 v[106:107], v[106:107], v[116:117]
	v_pk_fma_f32 v[108:109], v[168:169], v[152:153], v[108:109] neg_lo:[0,0,1] neg_hi:[0,0,1]
	v_mov_b32_e32 v109, v111
	s_delay_alu instid0(VALU_DEP_4) | instskip(NEXT) | instid1(VALU_DEP_4)
	v_pk_fma_f32 v[110:111], v[206:207], v[202:203], v[114:115] op_sel_hi:[1,0,1]
	v_pk_add_f32 v[106:107], v[106:107], v[112:113]
	v_pk_fma_f32 v[112:113], v[206:207], v[202:203], v[114:115] neg_lo:[0,0,1] neg_hi:[0,0,1]
	s_delay_alu instid0(VALU_DEP_3) | instskip(NEXT) | instid1(VALU_DEP_3)
	v_mov_b32_e32 v113, v111
	v_pk_add_f32 v[106:107], v[106:107], v[108:109]
	s_delay_alu instid0(VALU_DEP_1) | instskip(SKIP_1) | instid1(VALU_DEP_1)
	v_pk_add_f32 v[106:107], v[106:107], v[112:113]
	s_wait_loadcnt 0x0
	v_pk_add_f32 v[106:107], v[204:205], v[106:107] neg_lo:[0,1] neg_hi:[0,1]
	scratch_store_b64 off, v[106:107], off offset:208
	s_wait_xcnt 0x0
	v_cmpx_lt_u32_e32 25, v0
	s_cbranch_execz .LBB115_275
; %bb.274:
	scratch_load_b64 v[106:107], off, off offset:200
	v_mov_b64_e32 v[108:109], 0
	scratch_store_b64 off, v[108:109], off offset:200
	s_wait_loadcnt 0x0
	ds_store_b64 v1, v[106:107]
.LBB115_275:
	s_wait_xcnt 0x0
	s_or_b32 exec_lo, exec_lo, s0
	s_wait_storecnt_dscnt 0x0
	s_barrier_signal -1
	s_barrier_wait -1
	s_clause 0xd
	scratch_load_b128 v[106:109], off, off offset:208
	scratch_load_b128 v[110:113], off, off offset:224
	scratch_load_b128 v[114:117], off, off offset:240
	scratch_load_b128 v[118:121], off, off offset:256
	scratch_load_b128 v[122:125], off, off offset:272
	scratch_load_b128 v[126:129], off, off offset:288
	scratch_load_b128 v[130:133], off, off offset:304
	scratch_load_b128 v[134:137], off, off offset:320
	scratch_load_b128 v[138:141], off, off offset:336
	scratch_load_b128 v[142:145], off, off offset:352
	scratch_load_b128 v[146:149], off, off offset:368
	scratch_load_b128 v[150:153], off, off offset:384
	scratch_load_b128 v[154:157], off, off offset:400
	scratch_load_b64 v[210:211], off, off offset:200
	ds_load_b128 v[158:161], v7 offset:768
	ds_load_b128 v[162:165], v7 offset:784
	;; [unrolled: 1-line block ×13, first 2 shown]
	s_mov_b32 s0, exec_lo
	s_wait_dscnt 0xc
	v_dual_mov_b32 v212, v161 :: v_dual_mov_b32 v213, v160
	s_wait_dscnt 0xb
	v_dual_mov_b32 v214, v165 :: v_dual_mov_b32 v215, v164
	;; [unrolled: 2-line block ×4, first 2 shown]
	s_wait_loadcnt_dscnt 0xd08
	v_dual_mul_f32 v7, v174, v107 :: v_dual_mul_f32 v9, v176, v109
	v_dual_mul_f32 v39, v175, v107 :: v_dual_mul_f32 v41, v177, v109
	s_wait_loadcnt_dscnt 0xc07
	v_dual_mul_f32 v11, v178, v111 :: v_dual_mul_f32 v13, v180, v113
	s_delay_alu instid0(VALU_DEP_3) | instskip(SKIP_3) | instid1(VALU_DEP_3)
	v_dual_fmac_f32 v7, v175, v106 :: v_dual_fmac_f32 v9, v177, v108
	s_wait_loadcnt_dscnt 0xa05
	v_dual_fma_f32 v39, v174, v106, -v39 :: v_dual_mul_f32 v51, v187, v119
	v_dual_mul_f32 v43, v179, v111 :: v_dual_mul_f32 v45, v181, v113
	v_dual_fma_f32 v41, v176, v108, -v41 :: v_dual_add_f32 v7, 0, v7
	s_delay_alu instid0(VALU_DEP_3) | instskip(SKIP_1) | instid1(VALU_DEP_3)
	v_dual_add_f32 v39, 0, v39 :: v_dual_mul_f32 v53, v189, v121
	v_dual_fmac_f32 v11, v179, v110 :: v_dual_fmac_f32 v13, v181, v112
	v_dual_fma_f32 v43, v178, v110, -v43 :: v_dual_add_f32 v7, v7, v9
	s_delay_alu instid0(VALU_DEP_3) | instskip(SKIP_2) | instid1(VALU_DEP_4)
	v_dual_add_f32 v9, v39, v41 :: v_dual_fma_f32 v41, v180, v112, -v45
	v_dual_mul_f32 v15, v182, v115 :: v_dual_mul_f32 v17, v184, v117
	v_dual_mul_f32 v47, v183, v115 :: v_dual_mul_f32 v49, v185, v117
	v_add_f32_e32 v7, v7, v11
	s_delay_alu instid0(VALU_DEP_3) | instskip(NEXT) | instid1(VALU_DEP_3)
	v_dual_add_f32 v9, v9, v43 :: v_dual_fmac_f32 v15, v183, v114
	v_fma_f32 v43, v182, v114, -v47
	v_dual_mul_f32 v19, v186, v119 :: v_dual_mul_f32 v21, v188, v121
	s_delay_alu instid0(VALU_DEP_4) | instskip(SKIP_2) | instid1(VALU_DEP_2)
	v_dual_add_f32 v7, v7, v13 :: v_dual_fmac_f32 v17, v185, v116
	s_wait_loadcnt_dscnt 0x802
	v_dual_add_f32 v9, v9, v41 :: v_dual_mul_f32 v13, v199, v127
	v_dual_fma_f32 v41, v184, v116, -v49 :: v_dual_add_f32 v7, v7, v15
	v_mul_f32_e32 v15, v201, v129
	s_delay_alu instid0(VALU_DEP_3) | instskip(NEXT) | instid1(VALU_DEP_3)
	v_dual_add_f32 v9, v9, v43 :: v_dual_fmac_f32 v19, v187, v118
	v_dual_fma_f32 v43, v186, v118, -v51 :: v_dual_add_f32 v7, v7, v17
	v_fmac_f32_e32 v21, v189, v120
	s_wait_loadcnt_dscnt 0x701
	s_delay_alu instid0(VALU_DEP_3) | instskip(SKIP_3) | instid1(VALU_DEP_3)
	v_dual_add_f32 v9, v9, v41 :: v_dual_mul_f32 v17, v203, v131
	v_dual_mul_f32 v23, v194, v123 :: v_dual_mul_f32 v25, v196, v125
	v_dual_mul_f32 v39, v195, v123 :: v_dual_mul_f32 v11, v197, v125
	v_dual_fma_f32 v41, v188, v120, -v53 :: v_dual_add_f32 v7, v7, v19
	v_dual_add_f32 v9, v9, v43 :: v_dual_fmac_f32 v23, v195, v122
	s_delay_alu instid0(VALU_DEP_3) | instskip(NEXT) | instid1(VALU_DEP_3)
	v_dual_mul_f32 v19, v205, v133 :: v_dual_fma_f32 v39, v194, v122, -v39
	v_dual_add_f32 v7, v7, v21 :: v_dual_fmac_f32 v25, v197, v124
	s_wait_loadcnt_dscnt 0x600
	s_delay_alu instid0(VALU_DEP_3) | instskip(SKIP_1) | instid1(VALU_DEP_3)
	v_dual_add_f32 v9, v9, v41 :: v_dual_mul_f32 v21, v207, v135
	v_dual_mul_f32 v27, v198, v127 :: v_dual_mul_f32 v29, v200, v129
	v_dual_fma_f32 v11, v196, v124, -v11 :: v_dual_add_f32 v7, v7, v23
	s_delay_alu instid0(VALU_DEP_2) | instskip(SKIP_1) | instid1(VALU_DEP_2)
	v_dual_add_f32 v9, v9, v39 :: v_dual_fmac_f32 v27, v199, v126
	v_dual_mul_f32 v23, v209, v137 :: v_dual_fma_f32 v13, v198, v126, -v13
	v_dual_add_f32 v7, v7, v25 :: v_dual_add_f32 v9, v9, v11
	v_dual_mul_f32 v31, v202, v131 :: v_dual_mul_f32 v33, v204, v133
	s_wait_loadcnt 0x5
	v_dual_mul_f32 v11, v191, v139 :: v_dual_fmac_f32 v29, v201, v128
	s_delay_alu instid0(VALU_DEP_3) | instskip(NEXT) | instid1(VALU_DEP_3)
	v_dual_fma_f32 v15, v200, v128, -v15 :: v_dual_add_f32 v7, v7, v27
	v_dual_add_f32 v9, v9, v13 :: v_dual_fmac_f32 v31, v203, v130
	v_dual_mul_f32 v13, v193, v141 :: v_dual_fma_f32 v17, v202, v130, -v17
	s_delay_alu instid0(VALU_DEP_2) | instskip(SKIP_2) | instid1(VALU_DEP_3)
	v_dual_add_f32 v7, v7, v29 :: v_dual_add_f32 v9, v9, v15
	v_dual_mul_f32 v35, v206, v135 :: v_dual_mul_f32 v37, v208, v137
	v_dual_fmac_f32 v33, v205, v132 :: v_dual_fma_f32 v15, v204, v132, -v19
	v_dual_add_f32 v7, v7, v31 :: v_dual_add_f32 v9, v9, v17
	s_wait_loadcnt 0x4
	s_delay_alu instid0(VALU_DEP_3) | instskip(NEXT) | instid1(VALU_DEP_2)
	v_dual_mov_b32 v108, v145 :: v_dual_fmac_f32 v35, v207, v134
	v_dual_fma_f32 v17, v206, v134, -v21 :: v_dual_add_f32 v7, v7, v33
	s_delay_alu instid0(VALU_DEP_3) | instskip(SKIP_1) | instid1(VALU_DEP_3)
	v_dual_add_f32 v9, v9, v15 :: v_dual_fma_f32 v15, v208, v136, -v23
	v_dual_mul_f32 v221, v190, v139 :: v_dual_mul_f32 v223, v192, v141
	v_dual_fmac_f32 v37, v209, v136 :: v_dual_add_f32 v7, v7, v35
	s_delay_alu instid0(VALU_DEP_2) | instskip(SKIP_3) | instid1(VALU_DEP_3)
	v_dual_add_f32 v9, v9, v17 :: v_dual_fmac_f32 v221, v191, v138
	v_pk_mul_f32 v[106:107], v[158:159], v[142:143] op_sel:[1,1] op_sel_hi:[0,1]
	s_wait_loadcnt 0x3
	v_dual_mov_b32 v112, v149 :: v_dual_fma_f32 v220, v190, v138, -v11
	v_dual_add_f32 v115, v7, v37 :: v_dual_add_f32 v114, v9, v15
	v_dual_fmac_f32 v223, v193, v140 :: v_dual_fma_f32 v222, v192, v140, -v13
	v_pk_fma_f32 v[116:117], v[158:159], v[142:143], v[106:107] op_sel_hi:[1,0,1]
	v_pk_mul_f32 v[108:109], v[212:213], v[108:109] op_sel_hi:[1,0]
	s_delay_alu instid0(VALU_DEP_4)
	v_pk_add_f32 v[114:115], v[114:115], v[220:221]
	v_pk_fma_f32 v[106:107], v[158:159], v[142:143], v[106:107] neg_lo:[0,0,1] neg_hi:[0,0,1]
	v_pk_mul_f32 v[110:111], v[162:163], v[146:147] op_sel:[1,1] op_sel_hi:[0,1]
	v_mov_b32_e32 v107, v117
	v_pk_fma_f32 v[116:117], v[160:161], v[144:145], v[108:109] op_sel_hi:[1,0,1]
	v_pk_add_f32 v[114:115], v[114:115], v[222:223]
	v_pk_fma_f32 v[108:109], v[160:161], v[144:145], v[108:109] neg_lo:[0,0,1] neg_hi:[0,0,1]
	v_pk_fma_f32 v[120:121], v[162:163], v[146:147], v[110:111] op_sel_hi:[1,0,1]
	v_pk_mul_f32 v[112:113], v[214:215], v[112:113] op_sel_hi:[1,0]
	v_mov_b32_e32 v109, v117
	v_pk_add_f32 v[106:107], v[114:115], v[106:107]
	s_wait_loadcnt 0x2
	v_pk_mul_f32 v[118:119], v[166:167], v[150:151] op_sel:[1,1] op_sel_hi:[0,1]
	v_mov_b32_e32 v114, v153
	v_pk_fma_f32 v[110:111], v[162:163], v[146:147], v[110:111] neg_lo:[0,0,1] neg_hi:[0,0,1]
	v_mov_b32_e32 v111, v121
	v_pk_fma_f32 v[116:117], v[164:165], v[148:149], v[112:113] op_sel_hi:[1,0,1]
	v_pk_add_f32 v[106:107], v[106:107], v[108:109]
	v_pk_fma_f32 v[108:109], v[166:167], v[150:151], v[118:119] op_sel_hi:[1,0,1]
	v_pk_mul_f32 v[114:115], v[216:217], v[114:115] op_sel_hi:[1,0]
	v_pk_fma_f32 v[112:113], v[164:165], v[148:149], v[112:113] neg_lo:[0,0,1] neg_hi:[0,0,1]
	v_mov_b32_e32 v113, v117
	v_pk_add_f32 v[106:107], v[106:107], v[110:111]
	v_pk_fma_f32 v[116:117], v[166:167], v[150:151], v[118:119] neg_lo:[0,0,1] neg_hi:[0,0,1]
	v_mov_b32_e32 v117, v109
	v_pk_fma_f32 v[108:109], v[168:169], v[152:153], v[114:115] op_sel_hi:[1,0,1]
	s_wait_loadcnt 0x1
	v_pk_mul_f32 v[110:111], v[170:171], v[154:155] op_sel:[1,1] op_sel_hi:[0,1]
	v_pk_add_f32 v[106:107], v[106:107], v[112:113]
	v_mov_b32_e32 v108, v157
	v_pk_fma_f32 v[114:115], v[168:169], v[152:153], v[114:115] neg_lo:[0,0,1] neg_hi:[0,0,1]
	v_mov_b32_e32 v115, v109
	v_pk_fma_f32 v[112:113], v[170:171], v[154:155], v[110:111] op_sel_hi:[1,0,1]
	v_pk_add_f32 v[106:107], v[106:107], v[116:117]
	v_pk_mul_f32 v[108:109], v[218:219], v[108:109] op_sel_hi:[1,0]
	v_pk_fma_f32 v[110:111], v[170:171], v[154:155], v[110:111] neg_lo:[0,0,1] neg_hi:[0,0,1]
	s_delay_alu instid0(VALU_DEP_4) | instskip(NEXT) | instid1(VALU_DEP_4)
	v_mov_b32_e32 v111, v113
	v_pk_add_f32 v[106:107], v[106:107], v[114:115]
	s_delay_alu instid0(VALU_DEP_4) | instskip(SKIP_1) | instid1(VALU_DEP_2)
	v_pk_fma_f32 v[112:113], v[172:173], v[156:157], v[108:109] op_sel_hi:[1,0,1]
	v_pk_fma_f32 v[108:109], v[172:173], v[156:157], v[108:109] neg_lo:[0,0,1] neg_hi:[0,0,1]
	v_mov_b32_e32 v109, v113
	s_delay_alu instid0(VALU_DEP_4) | instskip(NEXT) | instid1(VALU_DEP_1)
	v_pk_add_f32 v[106:107], v[106:107], v[110:111]
	v_pk_add_f32 v[106:107], v[106:107], v[108:109]
	s_wait_loadcnt 0x0
	s_delay_alu instid0(VALU_DEP_1)
	v_pk_add_f32 v[106:107], v[210:211], v[106:107] neg_lo:[0,1] neg_hi:[0,1]
	scratch_store_b64 off, v[106:107], off offset:200
	s_wait_xcnt 0x0
	v_cmpx_lt_u32_e32 24, v0
	s_cbranch_execz .LBB115_277
; %bb.276:
	scratch_load_b64 v[106:107], off, off offset:192
	v_mov_b64_e32 v[108:109], 0
	scratch_store_b64 off, v[108:109], off offset:192
	s_wait_loadcnt 0x0
	ds_store_b64 v1, v[106:107]
.LBB115_277:
	s_wait_xcnt 0x0
	s_or_b32 exec_lo, exec_lo, s0
	s_wait_storecnt_dscnt 0x0
	s_barrier_signal -1
	s_barrier_wait -1
	s_clause 0xe
	scratch_load_b128 v[106:109], off, off offset:200
	scratch_load_b128 v[110:113], off, off offset:216
	;; [unrolled: 1-line block ×13, first 2 shown]
	scratch_load_b64 v[210:211], off, off offset:408
	scratch_load_b64 v[212:213], off, off offset:192
	v_mov_b32_e32 v7, 0
	ds_load_2addr_b64 v[158:161], v7 offset0:95 offset1:96
	ds_load_2addr_b64 v[162:165], v7 offset0:97 offset1:98
	;; [unrolled: 1-line block ×13, first 2 shown]
	ds_load_b64 v[214:215], v7 offset:824
	s_mov_b32 s0, exec_lo
	s_wait_dscnt 0xd
	v_dual_mov_b32 v216, v161 :: v_dual_mov_b32 v217, v160
	s_wait_dscnt 0xa
	v_dual_mov_b32 v218, v165 :: v_dual_mov_b32 v223, v172
	v_dual_mov_b32 v219, v164 :: v_dual_mov_b32 v220, v169
	;; [unrolled: 1-line block ×3, first 2 shown]
	s_wait_loadcnt_dscnt 0xe09
	v_dual_mul_f32 v9, v174, v107 :: v_dual_mul_f32 v43, v175, v107
	v_dual_mul_f32 v45, v177, v109 :: v_dual_mul_f32 v11, v176, v109
	s_wait_loadcnt_dscnt 0xd08
	v_mul_f32_e32 v13, v178, v111
	s_wait_loadcnt_dscnt 0xb05
	v_dual_mul_f32 v55, v191, v119 :: v_dual_fma_f32 v43, v174, v106, -v43
	v_dual_fmac_f32 v9, v175, v106 :: v_dual_mul_f32 v57, v193, v121
	v_dual_mul_f32 v47, v179, v111 :: v_dual_mul_f32 v49, v181, v113
	v_dual_fmac_f32 v11, v177, v108 :: v_dual_fma_f32 v45, v176, v108, -v45
	s_delay_alu instid0(VALU_DEP_3) | instskip(SKIP_3) | instid1(VALU_DEP_3)
	v_dual_add_f32 v9, 0, v9 :: v_dual_add_f32 v43, 0, v43
	v_dual_mul_f32 v15, v180, v113 :: v_dual_mul_f32 v17, v182, v115
	s_wait_loadcnt_dscnt 0xa04
	v_dual_mul_f32 v59, v195, v123 :: v_dual_fma_f32 v47, v178, v110, -v47
	v_dual_fmac_f32 v13, v179, v110 :: v_dual_add_f32 v9, v9, v11
	s_delay_alu instid0(VALU_DEP_3) | instskip(SKIP_2) | instid1(VALU_DEP_3)
	v_dual_add_f32 v11, v43, v45 :: v_dual_fmac_f32 v15, v181, v112
	v_dual_mul_f32 v51, v183, v115 :: v_dual_mul_f32 v53, v185, v117
	v_dual_mul_f32 v43, v197, v125 :: v_dual_fma_f32 v45, v180, v112, -v49
	v_dual_add_f32 v9, v9, v13 :: v_dual_add_f32 v11, v11, v47
	v_dual_mul_f32 v19, v184, v117 :: v_dual_mul_f32 v21, v190, v119
	s_wait_loadcnt_dscnt 0x903
	v_dual_mul_f32 v13, v199, v127 :: v_dual_fma_f32 v47, v182, v114, -v51
	s_delay_alu instid0(VALU_DEP_3) | instskip(NEXT) | instid1(VALU_DEP_3)
	v_dual_fmac_f32 v17, v183, v114 :: v_dual_add_f32 v9, v9, v15
	v_dual_add_f32 v11, v11, v45 :: v_dual_fmac_f32 v19, v185, v116
	v_dual_mul_f32 v15, v201, v129 :: v_dual_fma_f32 v45, v184, v116, -v53
	s_delay_alu instid0(VALU_DEP_2) | instskip(SKIP_3) | instid1(VALU_DEP_3)
	v_dual_add_f32 v9, v9, v17 :: v_dual_add_f32 v11, v11, v47
	v_dual_mul_f32 v23, v192, v121 :: v_dual_mul_f32 v25, v194, v123
	s_wait_loadcnt_dscnt 0x802
	v_dual_mul_f32 v17, v203, v131 :: v_dual_fma_f32 v47, v190, v118, -v55
	v_dual_fmac_f32 v21, v191, v118 :: v_dual_add_f32 v9, v9, v19
	s_delay_alu instid0(VALU_DEP_3) | instskip(SKIP_1) | instid1(VALU_DEP_2)
	v_dual_add_f32 v11, v11, v45 :: v_dual_fmac_f32 v23, v193, v120
	v_dual_mul_f32 v19, v205, v133 :: v_dual_fma_f32 v45, v192, v120, -v57
	v_dual_add_f32 v9, v9, v21 :: v_dual_add_f32 v11, v11, v47
	v_dual_mul_f32 v27, v196, v125 :: v_dual_mul_f32 v29, v198, v127
	s_wait_loadcnt_dscnt 0x701
	v_dual_mul_f32 v21, v207, v135 :: v_dual_fma_f32 v47, v194, v122, -v59
	s_delay_alu instid0(VALU_DEP_3) | instskip(NEXT) | instid1(VALU_DEP_3)
	v_dual_fmac_f32 v25, v195, v122 :: v_dual_add_f32 v9, v9, v23
	v_dual_add_f32 v11, v11, v45 :: v_dual_fmac_f32 v27, v197, v124
	v_dual_mul_f32 v23, v209, v137 :: v_dual_fma_f32 v43, v196, v124, -v43
	s_delay_alu instid0(VALU_DEP_2) | instskip(SKIP_3) | instid1(VALU_DEP_3)
	v_dual_add_f32 v9, v9, v25 :: v_dual_add_f32 v11, v11, v47
	v_dual_mul_f32 v31, v200, v129 :: v_dual_mul_f32 v33, v202, v131
	s_wait_loadcnt 0x6
	v_dual_mul_f32 v25, v187, v139 :: v_dual_fma_f32 v13, v198, v126, -v13
	v_dual_fmac_f32 v29, v199, v126 :: v_dual_add_f32 v9, v9, v27
	v_dual_add_f32 v11, v11, v43 :: v_dual_mul_f32 v27, v189, v141
	v_fmac_f32_e32 v31, v201, v128
	s_delay_alu instid0(VALU_DEP_3) | instskip(NEXT) | instid1(VALU_DEP_3)
	v_dual_fma_f32 v15, v200, v128, -v15 :: v_dual_add_f32 v9, v9, v29
	v_add_f32_e32 v11, v11, v13
	v_dual_mul_f32 v35, v204, v133 :: v_dual_mul_f32 v37, v206, v135
	s_wait_loadcnt 0x5
	v_dual_mul_f32 v13, v159, v143 :: v_dual_fma_f32 v17, v202, v130, -v17
	v_dual_fmac_f32 v33, v203, v130 :: v_dual_add_f32 v9, v9, v31
	v_dual_add_f32 v11, v11, v15 :: v_dual_mov_b32 v106, v145
	v_fmac_f32_e32 v35, v205, v132
	s_delay_alu instid0(VALU_DEP_3) | instskip(NEXT) | instid1(VALU_DEP_3)
	v_dual_fma_f32 v15, v204, v132, -v19 :: v_dual_add_f32 v9, v9, v33
	v_add_f32_e32 v11, v11, v17
	v_dual_mul_f32 v39, v208, v137 :: v_dual_mul_f32 v41, v186, v139
	s_delay_alu instid0(VALU_DEP_3) | instskip(NEXT) | instid1(VALU_DEP_3)
	v_dual_fmac_f32 v37, v207, v134 :: v_dual_add_f32 v9, v9, v35
	v_dual_fma_f32 v17, v206, v134, -v21 :: v_dual_add_f32 v11, v11, v15
	s_wait_loadcnt 0x4
	v_dual_mov_b32 v110, v149 :: v_dual_fma_f32 v15, v208, v136, -v23
	v_fmac_f32_e32 v39, v209, v136
	v_dual_add_f32 v9, v9, v37 :: v_dual_fmac_f32 v41, v187, v138
	v_add_f32_e32 v11, v11, v17
	v_dual_mul_f32 v225, v188, v141 :: v_dual_mul_f32 v227, v158, v143
	s_delay_alu instid0(VALU_DEP_3) | instskip(NEXT) | instid1(VALU_DEP_2)
	v_dual_fma_f32 v17, v186, v138, -v25 :: v_dual_add_f32 v9, v9, v39
	v_dual_add_f32 v11, v11, v15 :: v_dual_fmac_f32 v225, v189, v140
	v_fma_f32 v224, v188, v140, -v27
	v_pk_mul_f32 v[106:107], v[216:217], v[106:107] op_sel_hi:[1,0]
	s_delay_alu instid0(VALU_DEP_4)
	v_add_f32_e32 v115, v9, v41
	s_wait_loadcnt 0x3
	v_dual_add_f32 v114, v11, v17 :: v_dual_mov_b32 v116, v153
	v_pk_mul_f32 v[108:109], v[162:163], v[146:147] op_sel:[1,1] op_sel_hi:[0,1]
	v_dual_fmac_f32 v227, v159, v142 :: v_dual_fma_f32 v226, v158, v142, -v13
	v_pk_fma_f32 v[118:119], v[160:161], v[144:145], v[106:107] op_sel_hi:[1,0,1]
	s_delay_alu instid0(VALU_DEP_4)
	v_pk_add_f32 v[114:115], v[114:115], v[224:225]
	v_pk_fma_f32 v[106:107], v[160:161], v[144:145], v[106:107] neg_lo:[0,0,1] neg_hi:[0,0,1]
	v_pk_fma_f32 v[120:121], v[162:163], v[146:147], v[108:109] op_sel_hi:[1,0,1]
	v_pk_mul_f32 v[110:111], v[218:219], v[110:111] op_sel_hi:[1,0]
	v_mov_b32_e32 v107, v119
	v_pk_add_f32 v[114:115], v[114:115], v[226:227]
	v_pk_fma_f32 v[108:109], v[162:163], v[146:147], v[108:109] neg_lo:[0,0,1] neg_hi:[0,0,1]
	v_pk_mul_f32 v[112:113], v[166:167], v[150:151] op_sel:[1,1] op_sel_hi:[0,1]
	v_mov_b32_e32 v109, v121
	v_pk_fma_f32 v[120:121], v[164:165], v[148:149], v[110:111] op_sel_hi:[1,0,1]
	v_pk_add_f32 v[106:107], v[114:115], v[106:107]
	v_pk_fma_f32 v[110:111], v[164:165], v[148:149], v[110:111] neg_lo:[0,0,1] neg_hi:[0,0,1]
	v_pk_fma_f32 v[114:115], v[166:167], v[150:151], v[112:113] op_sel_hi:[1,0,1]
	v_pk_mul_f32 v[116:117], v[220:221], v[116:117] op_sel_hi:[1,0]
	v_mov_b32_e32 v111, v121
	v_pk_add_f32 v[106:107], v[106:107], v[108:109]
	v_pk_fma_f32 v[112:113], v[166:167], v[150:151], v[112:113] neg_lo:[0,0,1] neg_hi:[0,0,1]
	s_wait_loadcnt 0x2
	v_pk_mul_f32 v[118:119], v[170:171], v[154:155] op_sel:[1,1] op_sel_hi:[0,1]
	v_dual_mov_b32 v108, v157 :: v_dual_mov_b32 v113, v115
	v_pk_fma_f32 v[114:115], v[168:169], v[152:153], v[116:117] op_sel_hi:[1,0,1]
	v_pk_add_f32 v[106:107], v[106:107], v[110:111]
	v_pk_fma_f32 v[116:117], v[168:169], v[152:153], v[116:117] neg_lo:[0,0,1] neg_hi:[0,0,1]
	v_pk_fma_f32 v[110:111], v[170:171], v[154:155], v[118:119] op_sel_hi:[1,0,1]
	v_pk_mul_f32 v[108:109], v[222:223], v[108:109] op_sel_hi:[1,0]
	v_mov_b32_e32 v117, v115
	v_pk_add_f32 v[106:107], v[106:107], v[112:113]
	v_pk_fma_f32 v[112:113], v[170:171], v[154:155], v[118:119] neg_lo:[0,0,1] neg_hi:[0,0,1]
	v_mov_b32_e32 v113, v111
	v_pk_fma_f32 v[110:111], v[172:173], v[156:157], v[108:109] op_sel_hi:[1,0,1]
	s_wait_loadcnt_dscnt 0x100
	v_pk_mul_f32 v[114:115], v[214:215], v[210:211] op_sel:[1,1] op_sel_hi:[0,1]
	v_pk_add_f32 v[106:107], v[106:107], v[116:117]
	v_pk_fma_f32 v[108:109], v[172:173], v[156:157], v[108:109] neg_lo:[0,0,1] neg_hi:[0,0,1]
	v_mov_b32_e32 v109, v111
	s_delay_alu instid0(VALU_DEP_4) | instskip(NEXT) | instid1(VALU_DEP_4)
	v_pk_fma_f32 v[110:111], v[214:215], v[210:211], v[114:115] op_sel_hi:[1,0,1]
	v_pk_add_f32 v[106:107], v[106:107], v[112:113]
	v_pk_fma_f32 v[112:113], v[214:215], v[210:211], v[114:115] neg_lo:[0,0,1] neg_hi:[0,0,1]
	s_delay_alu instid0(VALU_DEP_3) | instskip(NEXT) | instid1(VALU_DEP_3)
	v_mov_b32_e32 v113, v111
	v_pk_add_f32 v[106:107], v[106:107], v[108:109]
	s_delay_alu instid0(VALU_DEP_1) | instskip(SKIP_1) | instid1(VALU_DEP_1)
	v_pk_add_f32 v[106:107], v[106:107], v[112:113]
	s_wait_loadcnt 0x0
	v_pk_add_f32 v[106:107], v[212:213], v[106:107] neg_lo:[0,1] neg_hi:[0,1]
	scratch_store_b64 off, v[106:107], off offset:192
	s_wait_xcnt 0x0
	v_cmpx_lt_u32_e32 23, v0
	s_cbranch_execz .LBB115_279
; %bb.278:
	scratch_load_b64 v[106:107], off, off offset:184
	v_mov_b64_e32 v[108:109], 0
	scratch_store_b64 off, v[108:109], off offset:184
	s_wait_loadcnt 0x0
	ds_store_b64 v1, v[106:107]
.LBB115_279:
	s_wait_xcnt 0x0
	s_or_b32 exec_lo, exec_lo, s0
	s_wait_storecnt_dscnt 0x0
	s_barrier_signal -1
	s_barrier_wait -1
	s_clause 0xe
	scratch_load_b128 v[106:109], off, off offset:192
	scratch_load_b128 v[110:113], off, off offset:208
	;; [unrolled: 1-line block ×14, first 2 shown]
	scratch_load_b64 v[218:219], off, off offset:184
	ds_load_b128 v[162:165], v7 offset:768
	ds_load_b128 v[166:169], v7 offset:784
	;; [unrolled: 1-line block ×14, first 2 shown]
	s_mov_b32 s0, exec_lo
	s_wait_dscnt 0xd
	v_dual_mov_b32 v220, v165 :: v_dual_mov_b32 v221, v164
	s_wait_dscnt 0xc
	v_dual_mov_b32 v222, v169 :: v_dual_mov_b32 v223, v168
	;; [unrolled: 2-line block ×4, first 2 shown]
	s_wait_loadcnt_dscnt 0xe09
	v_dual_mul_f32 v7, v178, v107 :: v_dual_mul_f32 v9, v180, v109
	v_dual_mul_f32 v43, v179, v107 :: v_dual_mul_f32 v45, v181, v109
	s_wait_loadcnt_dscnt 0xd08
	v_dual_mul_f32 v11, v182, v111 :: v_dual_mul_f32 v13, v184, v113
	s_delay_alu instid0(VALU_DEP_3) | instskip(SKIP_3) | instid1(VALU_DEP_3)
	v_dual_fmac_f32 v7, v179, v106 :: v_dual_fmac_f32 v9, v181, v108
	s_wait_loadcnt_dscnt 0xb06
	v_dual_fma_f32 v43, v178, v106, -v43 :: v_dual_mul_f32 v55, v191, v119
	v_dual_mul_f32 v47, v183, v111 :: v_dual_mul_f32 v49, v185, v113
	v_dual_fma_f32 v45, v180, v108, -v45 :: v_dual_add_f32 v7, 0, v7
	s_delay_alu instid0(VALU_DEP_3) | instskip(SKIP_1) | instid1(VALU_DEP_3)
	v_dual_add_f32 v43, 0, v43 :: v_dual_mul_f32 v57, v193, v121
	v_dual_fmac_f32 v11, v183, v110 :: v_dual_fmac_f32 v13, v185, v112
	v_dual_fma_f32 v47, v182, v110, -v47 :: v_dual_add_f32 v7, v7, v9
	s_delay_alu instid0(VALU_DEP_3) | instskip(SKIP_2) | instid1(VALU_DEP_4)
	v_dual_add_f32 v9, v43, v45 :: v_dual_fma_f32 v45, v184, v112, -v49
	v_dual_mul_f32 v15, v186, v115 :: v_dual_mul_f32 v17, v188, v117
	v_dual_mul_f32 v51, v187, v115 :: v_dual_mul_f32 v53, v189, v117
	v_add_f32_e32 v7, v7, v11
	s_delay_alu instid0(VALU_DEP_3) | instskip(NEXT) | instid1(VALU_DEP_3)
	v_dual_add_f32 v9, v9, v47 :: v_dual_fmac_f32 v15, v187, v114
	v_fma_f32 v47, v186, v114, -v51
	v_dual_mul_f32 v19, v190, v119 :: v_dual_mul_f32 v21, v192, v121
	s_delay_alu instid0(VALU_DEP_4) | instskip(SKIP_2) | instid1(VALU_DEP_2)
	v_dual_add_f32 v7, v7, v13 :: v_dual_fmac_f32 v17, v189, v116
	s_wait_loadcnt_dscnt 0x904
	v_dual_add_f32 v9, v9, v45 :: v_dual_mul_f32 v13, v199, v127
	v_dual_fma_f32 v45, v188, v116, -v53 :: v_dual_add_f32 v7, v7, v15
	v_mul_f32_e32 v15, v201, v129
	s_delay_alu instid0(VALU_DEP_3) | instskip(NEXT) | instid1(VALU_DEP_3)
	v_dual_add_f32 v9, v9, v47 :: v_dual_fmac_f32 v19, v191, v118
	v_dual_fma_f32 v47, v190, v118, -v55 :: v_dual_add_f32 v7, v7, v17
	v_fmac_f32_e32 v21, v193, v120
	s_wait_loadcnt_dscnt 0x803
	s_delay_alu instid0(VALU_DEP_3) | instskip(SKIP_3) | instid1(VALU_DEP_3)
	v_dual_add_f32 v9, v9, v45 :: v_dual_mul_f32 v17, v203, v131
	v_dual_mul_f32 v23, v194, v123 :: v_dual_mul_f32 v25, v196, v125
	v_dual_mul_f32 v43, v195, v123 :: v_dual_mul_f32 v11, v197, v125
	v_dual_fma_f32 v45, v192, v120, -v57 :: v_dual_add_f32 v7, v7, v19
	v_dual_add_f32 v9, v9, v47 :: v_dual_fmac_f32 v23, v195, v122
	s_delay_alu instid0(VALU_DEP_3) | instskip(NEXT) | instid1(VALU_DEP_3)
	v_dual_mul_f32 v19, v205, v133 :: v_dual_fma_f32 v43, v194, v122, -v43
	v_dual_add_f32 v7, v7, v21 :: v_dual_fmac_f32 v25, v197, v124
	s_wait_loadcnt_dscnt 0x702
	s_delay_alu instid0(VALU_DEP_3) | instskip(SKIP_1) | instid1(VALU_DEP_3)
	v_dual_add_f32 v9, v9, v45 :: v_dual_mul_f32 v21, v207, v135
	v_dual_mul_f32 v27, v198, v127 :: v_dual_mul_f32 v29, v200, v129
	v_dual_fma_f32 v11, v196, v124, -v11 :: v_dual_add_f32 v7, v7, v23
	s_delay_alu instid0(VALU_DEP_2) | instskip(SKIP_1) | instid1(VALU_DEP_2)
	v_dual_add_f32 v9, v9, v43 :: v_dual_fmac_f32 v27, v199, v126
	v_dual_mul_f32 v23, v209, v137 :: v_dual_fma_f32 v13, v198, v126, -v13
	v_dual_add_f32 v7, v7, v25 :: v_dual_add_f32 v9, v9, v11
	v_dual_mul_f32 v31, v202, v131 :: v_dual_mul_f32 v33, v204, v133
	s_wait_loadcnt_dscnt 0x601
	v_dual_mul_f32 v11, v211, v139 :: v_dual_fmac_f32 v29, v201, v128
	s_delay_alu instid0(VALU_DEP_3) | instskip(NEXT) | instid1(VALU_DEP_3)
	v_dual_fma_f32 v15, v200, v128, -v15 :: v_dual_add_f32 v7, v7, v27
	v_dual_add_f32 v9, v9, v13 :: v_dual_fmac_f32 v31, v203, v130
	v_dual_mul_f32 v13, v213, v141 :: v_dual_fma_f32 v17, v202, v130, -v17
	s_delay_alu instid0(VALU_DEP_2) | instskip(SKIP_3) | instid1(VALU_DEP_3)
	v_dual_add_f32 v7, v7, v29 :: v_dual_add_f32 v9, v9, v15
	v_dual_mul_f32 v35, v206, v135 :: v_dual_mul_f32 v37, v208, v137
	s_wait_loadcnt_dscnt 0x500
	v_dual_mul_f32 v15, v215, v143 :: v_dual_fmac_f32 v33, v205, v132
	v_dual_fma_f32 v19, v204, v132, -v19 :: v_dual_add_f32 v7, v7, v31
	s_delay_alu instid0(VALU_DEP_3) | instskip(SKIP_1) | instid1(VALU_DEP_2)
	v_dual_add_f32 v9, v9, v17 :: v_dual_fmac_f32 v35, v207, v134
	v_dual_mul_f32 v17, v217, v145 :: v_dual_fma_f32 v21, v206, v134, -v21
	v_dual_add_f32 v7, v7, v33 :: v_dual_add_f32 v9, v9, v19
	v_dual_mul_f32 v39, v210, v139 :: v_dual_mul_f32 v41, v212, v141
	v_dual_fmac_f32 v37, v209, v136 :: v_dual_fma_f32 v19, v208, v136, -v23
	s_delay_alu instid0(VALU_DEP_3) | instskip(SKIP_1) | instid1(VALU_DEP_3)
	v_dual_add_f32 v7, v7, v35 :: v_dual_add_f32 v9, v9, v21
	s_wait_loadcnt 0x4
	v_dual_mov_b32 v108, v149 :: v_dual_fmac_f32 v39, v211, v138
	s_delay_alu instid0(VALU_DEP_2) | instskip(NEXT) | instid1(VALU_DEP_3)
	v_dual_fma_f32 v11, v210, v138, -v11 :: v_dual_add_f32 v7, v7, v37
	v_dual_add_f32 v9, v9, v19 :: v_dual_fma_f32 v13, v212, v140, -v13
	v_dual_mul_f32 v229, v214, v143 :: v_dual_mul_f32 v231, v216, v145
	s_delay_alu instid0(VALU_DEP_3) | instskip(NEXT) | instid1(VALU_DEP_2)
	v_dual_fmac_f32 v41, v213, v140 :: v_dual_add_f32 v7, v7, v39
	v_dual_add_f32 v9, v9, v11 :: v_dual_fmac_f32 v229, v215, v142
	v_pk_mul_f32 v[106:107], v[162:163], v[146:147] op_sel:[1,1] op_sel_hi:[0,1]
	s_wait_loadcnt 0x3
	v_dual_mov_b32 v112, v153 :: v_dual_fma_f32 v228, v214, v142, -v15
	v_dual_add_f32 v115, v7, v41 :: v_dual_fmac_f32 v231, v217, v144
	v_dual_add_f32 v114, v9, v13 :: v_dual_fma_f32 v230, v216, v144, -v17
	v_pk_fma_f32 v[116:117], v[162:163], v[146:147], v[106:107] op_sel_hi:[1,0,1]
	v_pk_mul_f32 v[108:109], v[220:221], v[108:109] op_sel_hi:[1,0]
	v_pk_fma_f32 v[106:107], v[162:163], v[146:147], v[106:107] neg_lo:[0,0,1] neg_hi:[0,0,1]
	s_delay_alu instid0(VALU_DEP_4)
	v_pk_add_f32 v[114:115], v[114:115], v[228:229]
	v_pk_mul_f32 v[110:111], v[166:167], v[150:151] op_sel:[1,1] op_sel_hi:[0,1]
	v_mov_b32_e32 v107, v117
	v_pk_fma_f32 v[116:117], v[164:165], v[148:149], v[108:109] op_sel_hi:[1,0,1]
	v_pk_fma_f32 v[108:109], v[164:165], v[148:149], v[108:109] neg_lo:[0,0,1] neg_hi:[0,0,1]
	v_pk_add_f32 v[114:115], v[114:115], v[230:231]
	v_pk_fma_f32 v[120:121], v[166:167], v[150:151], v[110:111] op_sel_hi:[1,0,1]
	v_pk_mul_f32 v[112:113], v[222:223], v[112:113] op_sel_hi:[1,0]
	v_mov_b32_e32 v109, v117
	s_wait_loadcnt 0x2
	v_pk_mul_f32 v[118:119], v[170:171], v[154:155] op_sel:[1,1] op_sel_hi:[0,1]
	v_pk_add_f32 v[106:107], v[114:115], v[106:107]
	v_mov_b32_e32 v114, v157
	v_pk_fma_f32 v[110:111], v[166:167], v[150:151], v[110:111] neg_lo:[0,0,1] neg_hi:[0,0,1]
	v_mov_b32_e32 v111, v121
	v_pk_fma_f32 v[116:117], v[168:169], v[152:153], v[112:113] op_sel_hi:[1,0,1]
	v_pk_add_f32 v[106:107], v[106:107], v[108:109]
	v_pk_fma_f32 v[108:109], v[170:171], v[154:155], v[118:119] op_sel_hi:[1,0,1]
	v_pk_mul_f32 v[114:115], v[224:225], v[114:115] op_sel_hi:[1,0]
	v_pk_fma_f32 v[112:113], v[168:169], v[152:153], v[112:113] neg_lo:[0,0,1] neg_hi:[0,0,1]
	v_mov_b32_e32 v113, v117
	v_pk_add_f32 v[106:107], v[106:107], v[110:111]
	v_pk_fma_f32 v[116:117], v[170:171], v[154:155], v[118:119] neg_lo:[0,0,1] neg_hi:[0,0,1]
	v_mov_b32_e32 v117, v109
	v_pk_fma_f32 v[108:109], v[172:173], v[156:157], v[114:115] op_sel_hi:[1,0,1]
	s_wait_loadcnt 0x1
	v_pk_mul_f32 v[110:111], v[174:175], v[158:159] op_sel:[1,1] op_sel_hi:[0,1]
	v_pk_add_f32 v[106:107], v[106:107], v[112:113]
	v_mov_b32_e32 v108, v161
	v_pk_fma_f32 v[114:115], v[172:173], v[156:157], v[114:115] neg_lo:[0,0,1] neg_hi:[0,0,1]
	v_mov_b32_e32 v115, v109
	v_pk_fma_f32 v[112:113], v[174:175], v[158:159], v[110:111] op_sel_hi:[1,0,1]
	v_pk_add_f32 v[106:107], v[106:107], v[116:117]
	v_pk_mul_f32 v[108:109], v[226:227], v[108:109] op_sel_hi:[1,0]
	v_pk_fma_f32 v[110:111], v[174:175], v[158:159], v[110:111] neg_lo:[0,0,1] neg_hi:[0,0,1]
	s_delay_alu instid0(VALU_DEP_4) | instskip(NEXT) | instid1(VALU_DEP_4)
	v_mov_b32_e32 v111, v113
	v_pk_add_f32 v[106:107], v[106:107], v[114:115]
	s_delay_alu instid0(VALU_DEP_4) | instskip(SKIP_1) | instid1(VALU_DEP_2)
	v_pk_fma_f32 v[112:113], v[176:177], v[160:161], v[108:109] op_sel_hi:[1,0,1]
	v_pk_fma_f32 v[108:109], v[176:177], v[160:161], v[108:109] neg_lo:[0,0,1] neg_hi:[0,0,1]
	v_mov_b32_e32 v109, v113
	s_delay_alu instid0(VALU_DEP_4) | instskip(NEXT) | instid1(VALU_DEP_1)
	v_pk_add_f32 v[106:107], v[106:107], v[110:111]
	v_pk_add_f32 v[106:107], v[106:107], v[108:109]
	s_wait_loadcnt 0x0
	s_delay_alu instid0(VALU_DEP_1)
	v_pk_add_f32 v[106:107], v[218:219], v[106:107] neg_lo:[0,1] neg_hi:[0,1]
	scratch_store_b64 off, v[106:107], off offset:184
	s_wait_xcnt 0x0
	v_cmpx_lt_u32_e32 22, v0
	s_cbranch_execz .LBB115_281
; %bb.280:
	scratch_load_b64 v[106:107], off, off offset:176
	v_mov_b64_e32 v[108:109], 0
	scratch_store_b64 off, v[108:109], off offset:176
	s_wait_loadcnt 0x0
	ds_store_b64 v1, v[106:107]
.LBB115_281:
	s_wait_xcnt 0x0
	s_or_b32 exec_lo, exec_lo, s0
	s_wait_storecnt_dscnt 0x0
	s_barrier_signal -1
	s_barrier_wait -1
	s_clause 0xf
	scratch_load_b128 v[106:109], off, off offset:184
	scratch_load_b128 v[110:113], off, off offset:200
	;; [unrolled: 1-line block ×14, first 2 shown]
	scratch_load_b64 v[218:219], off, off offset:408
	scratch_load_b64 v[220:221], off, off offset:176
	v_mov_b32_e32 v7, 0
	ds_load_2addr_b64 v[162:165], v7 offset0:95 offset1:96
	ds_load_2addr_b64 v[166:169], v7 offset0:97 offset1:98
	;; [unrolled: 1-line block ×14, first 2 shown]
	ds_load_b64 v[222:223], v7 offset:824
	s_mov_b32 s0, exec_lo
	s_wait_dscnt 0xe
	v_dual_mov_b32 v224, v165 :: v_dual_mov_b32 v225, v164
	s_wait_dscnt 0xb
	v_dual_mov_b32 v226, v169 :: v_dual_mov_b32 v231, v176
	v_dual_mov_b32 v227, v168 :: v_dual_mov_b32 v228, v173
	;; [unrolled: 1-line block ×3, first 2 shown]
	s_wait_loadcnt_dscnt 0xf0a
	v_dual_mul_f32 v9, v178, v107 :: v_dual_mul_f32 v47, v179, v107
	v_dual_mul_f32 v49, v181, v109 :: v_dual_mul_f32 v11, v180, v109
	s_wait_loadcnt_dscnt 0xe09
	v_mul_f32_e32 v13, v182, v111
	s_wait_loadcnt_dscnt 0xc07
	v_dual_mul_f32 v59, v191, v119 :: v_dual_fma_f32 v47, v178, v106, -v47
	v_dual_fmac_f32 v9, v179, v106 :: v_dual_mul_f32 v61, v193, v121
	v_dual_mul_f32 v51, v183, v111 :: v_dual_mul_f32 v53, v185, v113
	v_dual_fmac_f32 v11, v181, v108 :: v_dual_fma_f32 v49, v180, v108, -v49
	s_delay_alu instid0(VALU_DEP_3) | instskip(SKIP_3) | instid1(VALU_DEP_3)
	v_dual_add_f32 v9, 0, v9 :: v_dual_add_f32 v47, 0, v47
	v_dual_mul_f32 v15, v184, v113 :: v_dual_mul_f32 v17, v186, v115
	s_wait_loadcnt_dscnt 0xb06
	v_dual_mul_f32 v63, v195, v123 :: v_dual_fma_f32 v51, v182, v110, -v51
	v_dual_fmac_f32 v13, v183, v110 :: v_dual_add_f32 v9, v9, v11
	s_delay_alu instid0(VALU_DEP_3) | instskip(SKIP_2) | instid1(VALU_DEP_3)
	v_dual_add_f32 v11, v47, v49 :: v_dual_fmac_f32 v15, v185, v112
	v_dual_mul_f32 v55, v187, v115 :: v_dual_mul_f32 v57, v189, v117
	v_dual_mul_f32 v47, v197, v125 :: v_dual_fma_f32 v49, v184, v112, -v53
	v_dual_add_f32 v9, v9, v13 :: v_dual_add_f32 v11, v11, v51
	v_dual_mul_f32 v19, v188, v117 :: v_dual_mul_f32 v21, v190, v119
	s_wait_loadcnt_dscnt 0xa05
	v_dual_mul_f32 v13, v199, v127 :: v_dual_fma_f32 v51, v186, v114, -v55
	s_delay_alu instid0(VALU_DEP_3) | instskip(NEXT) | instid1(VALU_DEP_3)
	v_dual_fmac_f32 v17, v187, v114 :: v_dual_add_f32 v9, v9, v15
	v_dual_add_f32 v11, v11, v49 :: v_dual_fmac_f32 v19, v189, v116
	v_dual_mul_f32 v15, v201, v129 :: v_dual_fma_f32 v49, v188, v116, -v57
	s_delay_alu instid0(VALU_DEP_2) | instskip(SKIP_3) | instid1(VALU_DEP_3)
	v_dual_add_f32 v9, v9, v17 :: v_dual_add_f32 v11, v11, v51
	v_dual_mul_f32 v23, v192, v121 :: v_dual_mul_f32 v25, v194, v123
	s_wait_loadcnt_dscnt 0x904
	v_dual_mul_f32 v17, v203, v131 :: v_dual_fma_f32 v51, v190, v118, -v59
	v_dual_fmac_f32 v21, v191, v118 :: v_dual_add_f32 v9, v9, v19
	s_delay_alu instid0(VALU_DEP_3) | instskip(SKIP_1) | instid1(VALU_DEP_2)
	v_dual_add_f32 v11, v11, v49 :: v_dual_fmac_f32 v23, v193, v120
	v_dual_mul_f32 v19, v205, v133 :: v_dual_fma_f32 v49, v192, v120, -v61
	v_dual_add_f32 v9, v9, v21 :: v_dual_add_f32 v11, v11, v51
	v_dual_mul_f32 v27, v196, v125 :: v_dual_mul_f32 v29, v198, v127
	s_wait_loadcnt_dscnt 0x803
	v_dual_mul_f32 v21, v207, v135 :: v_dual_fma_f32 v51, v194, v122, -v63
	s_delay_alu instid0(VALU_DEP_3) | instskip(NEXT) | instid1(VALU_DEP_3)
	v_dual_fmac_f32 v25, v195, v122 :: v_dual_add_f32 v9, v9, v23
	v_dual_add_f32 v11, v11, v49 :: v_dual_fmac_f32 v27, v197, v124
	v_dual_mul_f32 v23, v209, v137 :: v_dual_fma_f32 v47, v196, v124, -v47
	s_delay_alu instid0(VALU_DEP_2) | instskip(SKIP_3) | instid1(VALU_DEP_3)
	v_dual_add_f32 v9, v9, v25 :: v_dual_add_f32 v11, v11, v51
	v_dual_mul_f32 v31, v200, v129 :: v_dual_mul_f32 v33, v202, v131
	s_wait_loadcnt_dscnt 0x702
	v_dual_mul_f32 v25, v211, v139 :: v_dual_fma_f32 v13, v198, v126, -v13
	v_dual_fmac_f32 v29, v199, v126 :: v_dual_add_f32 v9, v9, v27
	v_dual_add_f32 v11, v11, v47 :: v_dual_mul_f32 v27, v213, v141
	v_fmac_f32_e32 v31, v201, v128
	s_delay_alu instid0(VALU_DEP_3) | instskip(NEXT) | instid1(VALU_DEP_3)
	v_dual_fma_f32 v15, v200, v128, -v15 :: v_dual_add_f32 v9, v9, v29
	v_add_f32_e32 v11, v11, v13
	v_dual_mul_f32 v35, v204, v133 :: v_dual_mul_f32 v37, v206, v135
	s_wait_loadcnt_dscnt 0x601
	v_dual_mul_f32 v13, v215, v143 :: v_dual_fma_f32 v17, v202, v130, -v17
	v_dual_fmac_f32 v33, v203, v130 :: v_dual_add_f32 v9, v9, v31
	v_dual_add_f32 v11, v11, v15 :: v_dual_mul_f32 v15, v217, v145
	v_fmac_f32_e32 v35, v205, v132
	s_delay_alu instid0(VALU_DEP_3) | instskip(NEXT) | instid1(VALU_DEP_3)
	v_dual_fma_f32 v19, v204, v132, -v19 :: v_dual_add_f32 v9, v9, v33
	v_add_f32_e32 v11, v11, v17
	v_dual_mul_f32 v39, v208, v137 :: v_dual_mul_f32 v41, v210, v139
	s_wait_loadcnt 0x5
	v_dual_mul_f32 v17, v163, v147 :: v_dual_fma_f32 v21, v206, v134, -v21
	v_dual_fmac_f32 v37, v207, v134 :: v_dual_add_f32 v9, v9, v35
	v_dual_add_f32 v11, v11, v19 :: v_dual_mov_b32 v106, v149
	v_fmac_f32_e32 v39, v209, v136
	s_delay_alu instid0(VALU_DEP_3) | instskip(NEXT) | instid1(VALU_DEP_3)
	v_dual_fma_f32 v19, v208, v136, -v23 :: v_dual_add_f32 v9, v9, v37
	v_add_f32_e32 v11, v11, v21
	v_dual_mul_f32 v43, v212, v141 :: v_dual_mul_f32 v45, v214, v143
	s_delay_alu instid0(VALU_DEP_3) | instskip(NEXT) | instid1(VALU_DEP_3)
	v_dual_fmac_f32 v41, v211, v138 :: v_dual_add_f32 v9, v9, v39
	v_dual_fma_f32 v21, v210, v138, -v25 :: v_dual_add_f32 v11, v11, v19
	s_wait_loadcnt 0x4
	v_dual_mov_b32 v110, v153 :: v_dual_fma_f32 v19, v212, v140, -v27
	v_fmac_f32_e32 v43, v213, v140
	v_dual_add_f32 v9, v9, v41 :: v_dual_fmac_f32 v45, v215, v142
	v_add_f32_e32 v11, v11, v21
	v_dual_mul_f32 v233, v216, v145 :: v_dual_mul_f32 v235, v162, v147
	s_delay_alu instid0(VALU_DEP_3) | instskip(NEXT) | instid1(VALU_DEP_2)
	v_dual_fma_f32 v13, v214, v142, -v13 :: v_dual_add_f32 v9, v9, v43
	v_dual_add_f32 v11, v11, v19 :: v_dual_fmac_f32 v233, v217, v144
	v_fma_f32 v232, v216, v144, -v15
	v_pk_mul_f32 v[106:107], v[224:225], v[106:107] op_sel_hi:[1,0]
	s_delay_alu instid0(VALU_DEP_4)
	v_add_f32_e32 v115, v9, v45
	s_wait_loadcnt 0x3
	v_dual_add_f32 v114, v11, v13 :: v_dual_mov_b32 v116, v157
	v_pk_mul_f32 v[108:109], v[166:167], v[150:151] op_sel:[1,1] op_sel_hi:[0,1]
	v_dual_fmac_f32 v235, v163, v146 :: v_dual_fma_f32 v234, v162, v146, -v17
	v_pk_fma_f32 v[118:119], v[164:165], v[148:149], v[106:107] op_sel_hi:[1,0,1]
	s_delay_alu instid0(VALU_DEP_4)
	v_pk_add_f32 v[114:115], v[114:115], v[232:233]
	v_pk_fma_f32 v[106:107], v[164:165], v[148:149], v[106:107] neg_lo:[0,0,1] neg_hi:[0,0,1]
	v_pk_fma_f32 v[120:121], v[166:167], v[150:151], v[108:109] op_sel_hi:[1,0,1]
	v_pk_mul_f32 v[110:111], v[226:227], v[110:111] op_sel_hi:[1,0]
	v_mov_b32_e32 v107, v119
	v_pk_add_f32 v[114:115], v[114:115], v[234:235]
	v_pk_fma_f32 v[108:109], v[166:167], v[150:151], v[108:109] neg_lo:[0,0,1] neg_hi:[0,0,1]
	v_pk_mul_f32 v[112:113], v[170:171], v[154:155] op_sel:[1,1] op_sel_hi:[0,1]
	v_mov_b32_e32 v109, v121
	v_pk_fma_f32 v[120:121], v[168:169], v[152:153], v[110:111] op_sel_hi:[1,0,1]
	v_pk_add_f32 v[106:107], v[114:115], v[106:107]
	v_pk_fma_f32 v[110:111], v[168:169], v[152:153], v[110:111] neg_lo:[0,0,1] neg_hi:[0,0,1]
	v_pk_fma_f32 v[114:115], v[170:171], v[154:155], v[112:113] op_sel_hi:[1,0,1]
	v_pk_mul_f32 v[116:117], v[228:229], v[116:117] op_sel_hi:[1,0]
	v_mov_b32_e32 v111, v121
	v_pk_add_f32 v[106:107], v[106:107], v[108:109]
	v_pk_fma_f32 v[112:113], v[170:171], v[154:155], v[112:113] neg_lo:[0,0,1] neg_hi:[0,0,1]
	s_wait_loadcnt 0x2
	v_pk_mul_f32 v[118:119], v[174:175], v[158:159] op_sel:[1,1] op_sel_hi:[0,1]
	v_dual_mov_b32 v108, v161 :: v_dual_mov_b32 v113, v115
	v_pk_fma_f32 v[114:115], v[172:173], v[156:157], v[116:117] op_sel_hi:[1,0,1]
	v_pk_add_f32 v[106:107], v[106:107], v[110:111]
	v_pk_fma_f32 v[116:117], v[172:173], v[156:157], v[116:117] neg_lo:[0,0,1] neg_hi:[0,0,1]
	v_pk_fma_f32 v[110:111], v[174:175], v[158:159], v[118:119] op_sel_hi:[1,0,1]
	v_pk_mul_f32 v[108:109], v[230:231], v[108:109] op_sel_hi:[1,0]
	v_mov_b32_e32 v117, v115
	v_pk_add_f32 v[106:107], v[106:107], v[112:113]
	v_pk_fma_f32 v[112:113], v[174:175], v[158:159], v[118:119] neg_lo:[0,0,1] neg_hi:[0,0,1]
	v_mov_b32_e32 v113, v111
	v_pk_fma_f32 v[110:111], v[176:177], v[160:161], v[108:109] op_sel_hi:[1,0,1]
	s_wait_loadcnt_dscnt 0x100
	v_pk_mul_f32 v[114:115], v[222:223], v[218:219] op_sel:[1,1] op_sel_hi:[0,1]
	v_pk_add_f32 v[106:107], v[106:107], v[116:117]
	v_pk_fma_f32 v[108:109], v[176:177], v[160:161], v[108:109] neg_lo:[0,0,1] neg_hi:[0,0,1]
	v_mov_b32_e32 v109, v111
	s_delay_alu instid0(VALU_DEP_4) | instskip(NEXT) | instid1(VALU_DEP_4)
	v_pk_fma_f32 v[110:111], v[222:223], v[218:219], v[114:115] op_sel_hi:[1,0,1]
	v_pk_add_f32 v[106:107], v[106:107], v[112:113]
	v_pk_fma_f32 v[112:113], v[222:223], v[218:219], v[114:115] neg_lo:[0,0,1] neg_hi:[0,0,1]
	s_delay_alu instid0(VALU_DEP_3) | instskip(NEXT) | instid1(VALU_DEP_3)
	v_mov_b32_e32 v113, v111
	v_pk_add_f32 v[106:107], v[106:107], v[108:109]
	s_delay_alu instid0(VALU_DEP_1) | instskip(SKIP_1) | instid1(VALU_DEP_1)
	v_pk_add_f32 v[106:107], v[106:107], v[112:113]
	s_wait_loadcnt 0x0
	v_pk_add_f32 v[106:107], v[220:221], v[106:107] neg_lo:[0,1] neg_hi:[0,1]
	scratch_store_b64 off, v[106:107], off offset:176
	s_wait_xcnt 0x0
	v_cmpx_lt_u32_e32 21, v0
	s_cbranch_execz .LBB115_283
; %bb.282:
	scratch_load_b64 v[106:107], off, off offset:168
	v_mov_b64_e32 v[108:109], 0
	scratch_store_b64 off, v[108:109], off offset:168
	s_wait_loadcnt 0x0
	ds_store_b64 v1, v[106:107]
.LBB115_283:
	s_wait_xcnt 0x0
	s_or_b32 exec_lo, exec_lo, s0
	s_wait_storecnt_dscnt 0x0
	s_barrier_signal -1
	s_barrier_wait -1
	s_clause 0xf
	scratch_load_b128 v[106:109], off, off offset:176
	scratch_load_b128 v[110:113], off, off offset:192
	;; [unrolled: 1-line block ×15, first 2 shown]
	scratch_load_b64 v[226:227], off, off offset:168
	ds_load_b128 v[166:169], v7 offset:768
	ds_load_b128 v[170:173], v7 offset:784
	;; [unrolled: 1-line block ×15, first 2 shown]
	s_mov_b32 s0, exec_lo
	s_wait_dscnt 0xe
	v_dual_mov_b32 v228, v169 :: v_dual_mov_b32 v229, v168
	s_wait_dscnt 0xd
	v_dual_mov_b32 v230, v173 :: v_dual_mov_b32 v231, v172
	s_wait_dscnt 0xc
	v_dual_mov_b32 v232, v177 :: v_dual_mov_b32 v233, v176
	s_wait_dscnt 0xb
	v_dual_mov_b32 v234, v181 :: v_dual_mov_b32 v235, v180
	s_wait_loadcnt_dscnt 0xf0a
	v_dual_mul_f32 v7, v182, v107 :: v_dual_mul_f32 v9, v184, v109
	v_dual_mul_f32 v47, v183, v107 :: v_dual_mul_f32 v49, v185, v109
	s_wait_loadcnt_dscnt 0xe09
	v_dual_mul_f32 v11, v186, v111 :: v_dual_mul_f32 v13, v188, v113
	s_delay_alu instid0(VALU_DEP_3) | instskip(SKIP_3) | instid1(VALU_DEP_3)
	v_dual_fmac_f32 v7, v183, v106 :: v_dual_fmac_f32 v9, v185, v108
	s_wait_loadcnt_dscnt 0xc06
	v_dual_fma_f32 v47, v182, v106, -v47 :: v_dual_mul_f32 v59, v199, v119
	v_dual_mul_f32 v51, v187, v111 :: v_dual_mul_f32 v53, v189, v113
	v_dual_fma_f32 v49, v184, v108, -v49 :: v_dual_add_f32 v7, 0, v7
	s_delay_alu instid0(VALU_DEP_3) | instskip(SKIP_1) | instid1(VALU_DEP_3)
	v_dual_add_f32 v47, 0, v47 :: v_dual_mul_f32 v61, v201, v121
	v_dual_fmac_f32 v11, v187, v110 :: v_dual_fmac_f32 v13, v189, v112
	v_dual_fma_f32 v51, v186, v110, -v51 :: v_dual_add_f32 v7, v7, v9
	s_delay_alu instid0(VALU_DEP_3) | instskip(SKIP_2) | instid1(VALU_DEP_4)
	v_dual_add_f32 v9, v47, v49 :: v_dual_fma_f32 v49, v188, v112, -v53
	v_dual_mul_f32 v15, v194, v115 :: v_dual_mul_f32 v17, v196, v117
	v_dual_mul_f32 v55, v195, v115 :: v_dual_mul_f32 v57, v197, v117
	v_add_f32_e32 v7, v7, v11
	s_delay_alu instid0(VALU_DEP_3) | instskip(NEXT) | instid1(VALU_DEP_3)
	v_dual_add_f32 v9, v9, v51 :: v_dual_fmac_f32 v15, v195, v114
	v_fma_f32 v51, v194, v114, -v55
	v_dual_mul_f32 v19, v198, v119 :: v_dual_mul_f32 v21, v200, v121
	s_delay_alu instid0(VALU_DEP_4) | instskip(SKIP_2) | instid1(VALU_DEP_2)
	v_dual_add_f32 v7, v7, v13 :: v_dual_fmac_f32 v17, v197, v116
	s_wait_loadcnt_dscnt 0xa04
	v_dual_add_f32 v9, v9, v49 :: v_dual_mul_f32 v13, v207, v127
	v_dual_fma_f32 v49, v196, v116, -v57 :: v_dual_add_f32 v7, v7, v15
	v_mul_f32_e32 v15, v209, v129
	s_delay_alu instid0(VALU_DEP_3) | instskip(NEXT) | instid1(VALU_DEP_3)
	v_dual_add_f32 v9, v9, v51 :: v_dual_fmac_f32 v19, v199, v118
	v_dual_fma_f32 v51, v198, v118, -v59 :: v_dual_add_f32 v7, v7, v17
	v_fmac_f32_e32 v21, v201, v120
	s_wait_loadcnt_dscnt 0x903
	s_delay_alu instid0(VALU_DEP_3) | instskip(SKIP_3) | instid1(VALU_DEP_3)
	v_dual_add_f32 v9, v9, v49 :: v_dual_mul_f32 v17, v211, v131
	v_dual_mul_f32 v23, v202, v123 :: v_dual_mul_f32 v25, v204, v125
	v_dual_mul_f32 v47, v203, v123 :: v_dual_mul_f32 v11, v205, v125
	v_dual_fma_f32 v49, v200, v120, -v61 :: v_dual_add_f32 v7, v7, v19
	v_dual_add_f32 v9, v9, v51 :: v_dual_fmac_f32 v23, v203, v122
	s_delay_alu instid0(VALU_DEP_3) | instskip(NEXT) | instid1(VALU_DEP_3)
	v_dual_mul_f32 v19, v213, v133 :: v_dual_fma_f32 v47, v202, v122, -v47
	v_dual_add_f32 v7, v7, v21 :: v_dual_fmac_f32 v25, v205, v124
	s_wait_loadcnt_dscnt 0x802
	s_delay_alu instid0(VALU_DEP_3) | instskip(SKIP_1) | instid1(VALU_DEP_3)
	v_dual_add_f32 v9, v9, v49 :: v_dual_mul_f32 v21, v215, v135
	v_dual_mul_f32 v27, v206, v127 :: v_dual_mul_f32 v29, v208, v129
	v_dual_fma_f32 v11, v204, v124, -v11 :: v_dual_add_f32 v7, v7, v23
	s_delay_alu instid0(VALU_DEP_2) | instskip(SKIP_1) | instid1(VALU_DEP_2)
	v_dual_add_f32 v9, v9, v47 :: v_dual_fmac_f32 v27, v207, v126
	v_dual_mul_f32 v23, v217, v137 :: v_dual_fma_f32 v13, v206, v126, -v13
	v_dual_add_f32 v7, v7, v25 :: v_dual_add_f32 v9, v9, v11
	v_dual_mul_f32 v31, v210, v131 :: v_dual_mul_f32 v33, v212, v133
	s_wait_loadcnt_dscnt 0x701
	v_dual_mul_f32 v11, v219, v139 :: v_dual_fmac_f32 v29, v209, v128
	s_delay_alu instid0(VALU_DEP_3) | instskip(NEXT) | instid1(VALU_DEP_3)
	v_dual_fma_f32 v15, v208, v128, -v15 :: v_dual_add_f32 v7, v7, v27
	v_dual_add_f32 v9, v9, v13 :: v_dual_fmac_f32 v31, v211, v130
	v_dual_mul_f32 v13, v221, v141 :: v_dual_fma_f32 v17, v210, v130, -v17
	s_delay_alu instid0(VALU_DEP_2) | instskip(SKIP_3) | instid1(VALU_DEP_3)
	v_dual_add_f32 v7, v7, v29 :: v_dual_add_f32 v9, v9, v15
	v_dual_mul_f32 v35, v214, v135 :: v_dual_mul_f32 v37, v216, v137
	s_wait_loadcnt_dscnt 0x600
	v_dual_mul_f32 v15, v223, v143 :: v_dual_fmac_f32 v33, v213, v132
	v_dual_fma_f32 v19, v212, v132, -v19 :: v_dual_add_f32 v7, v7, v31
	s_delay_alu instid0(VALU_DEP_3) | instskip(SKIP_1) | instid1(VALU_DEP_2)
	v_dual_add_f32 v9, v9, v17 :: v_dual_fmac_f32 v35, v215, v134
	v_dual_mul_f32 v17, v225, v145 :: v_dual_fma_f32 v21, v214, v134, -v21
	v_dual_add_f32 v7, v7, v33 :: v_dual_add_f32 v9, v9, v19
	v_dual_mul_f32 v39, v218, v139 :: v_dual_mul_f32 v41, v220, v141
	s_wait_loadcnt 0x5
	v_dual_mul_f32 v19, v191, v147 :: v_dual_fmac_f32 v37, v217, v136
	s_delay_alu instid0(VALU_DEP_3) | instskip(NEXT) | instid1(VALU_DEP_3)
	v_dual_fma_f32 v23, v216, v136, -v23 :: v_dual_add_f32 v7, v7, v35
	v_dual_add_f32 v9, v9, v21 :: v_dual_fmac_f32 v39, v219, v138
	v_dual_mul_f32 v21, v193, v149 :: v_dual_fma_f32 v11, v218, v138, -v11
	s_delay_alu instid0(VALU_DEP_2) | instskip(SKIP_1) | instid1(VALU_DEP_2)
	v_dual_add_f32 v7, v7, v37 :: v_dual_add_f32 v9, v9, v23
	v_dual_mul_f32 v43, v222, v143 :: v_dual_mul_f32 v45, v224, v145
	v_dual_fmac_f32 v41, v221, v140 :: v_dual_add_f32 v7, v7, v39
	s_delay_alu instid0(VALU_DEP_3) | instskip(SKIP_1) | instid1(VALU_DEP_3)
	v_dual_fma_f32 v13, v220, v140, -v13 :: v_dual_add_f32 v9, v9, v11
	s_wait_loadcnt 0x4
	v_dual_mov_b32 v108, v153 :: v_dual_fmac_f32 v43, v223, v142
	s_delay_alu instid0(VALU_DEP_3) | instskip(NEXT) | instid1(VALU_DEP_3)
	v_dual_fma_f32 v11, v222, v142, -v15 :: v_dual_add_f32 v7, v7, v41
	v_dual_add_f32 v9, v9, v13 :: v_dual_fma_f32 v13, v224, v144, -v17
	v_dual_mul_f32 v237, v190, v147 :: v_dual_mul_f32 v239, v192, v149
	s_delay_alu instid0(VALU_DEP_3) | instskip(NEXT) | instid1(VALU_DEP_2)
	v_dual_fmac_f32 v45, v225, v144 :: v_dual_add_f32 v7, v7, v43
	v_dual_add_f32 v9, v9, v11 :: v_dual_fmac_f32 v237, v191, v146
	v_pk_mul_f32 v[106:107], v[166:167], v[150:151] op_sel:[1,1] op_sel_hi:[0,1]
	s_wait_loadcnt 0x3
	v_dual_mov_b32 v112, v157 :: v_dual_fma_f32 v236, v190, v146, -v19
	v_dual_add_f32 v115, v7, v45 :: v_dual_fmac_f32 v239, v193, v148
	v_dual_add_f32 v114, v9, v13 :: v_dual_fma_f32 v238, v192, v148, -v21
	v_pk_fma_f32 v[116:117], v[166:167], v[150:151], v[106:107] op_sel_hi:[1,0,1]
	v_pk_mul_f32 v[108:109], v[228:229], v[108:109] op_sel_hi:[1,0]
	v_pk_fma_f32 v[106:107], v[166:167], v[150:151], v[106:107] neg_lo:[0,0,1] neg_hi:[0,0,1]
	s_delay_alu instid0(VALU_DEP_4)
	v_pk_add_f32 v[114:115], v[114:115], v[236:237]
	v_pk_mul_f32 v[110:111], v[170:171], v[154:155] op_sel:[1,1] op_sel_hi:[0,1]
	v_mov_b32_e32 v107, v117
	v_pk_fma_f32 v[116:117], v[168:169], v[152:153], v[108:109] op_sel_hi:[1,0,1]
	v_pk_fma_f32 v[108:109], v[168:169], v[152:153], v[108:109] neg_lo:[0,0,1] neg_hi:[0,0,1]
	v_pk_add_f32 v[114:115], v[114:115], v[238:239]
	v_pk_fma_f32 v[120:121], v[170:171], v[154:155], v[110:111] op_sel_hi:[1,0,1]
	v_pk_mul_f32 v[112:113], v[230:231], v[112:113] op_sel_hi:[1,0]
	v_mov_b32_e32 v109, v117
	s_wait_loadcnt 0x2
	v_pk_mul_f32 v[118:119], v[174:175], v[158:159] op_sel:[1,1] op_sel_hi:[0,1]
	v_pk_add_f32 v[106:107], v[114:115], v[106:107]
	v_mov_b32_e32 v114, v161
	v_pk_fma_f32 v[110:111], v[170:171], v[154:155], v[110:111] neg_lo:[0,0,1] neg_hi:[0,0,1]
	v_mov_b32_e32 v111, v121
	v_pk_fma_f32 v[116:117], v[172:173], v[156:157], v[112:113] op_sel_hi:[1,0,1]
	v_pk_add_f32 v[106:107], v[106:107], v[108:109]
	v_pk_fma_f32 v[108:109], v[174:175], v[158:159], v[118:119] op_sel_hi:[1,0,1]
	v_pk_mul_f32 v[114:115], v[232:233], v[114:115] op_sel_hi:[1,0]
	v_pk_fma_f32 v[112:113], v[172:173], v[156:157], v[112:113] neg_lo:[0,0,1] neg_hi:[0,0,1]
	v_mov_b32_e32 v113, v117
	v_pk_add_f32 v[106:107], v[106:107], v[110:111]
	v_pk_fma_f32 v[116:117], v[174:175], v[158:159], v[118:119] neg_lo:[0,0,1] neg_hi:[0,0,1]
	v_mov_b32_e32 v117, v109
	v_pk_fma_f32 v[108:109], v[176:177], v[160:161], v[114:115] op_sel_hi:[1,0,1]
	s_wait_loadcnt 0x1
	v_pk_mul_f32 v[110:111], v[178:179], v[162:163] op_sel:[1,1] op_sel_hi:[0,1]
	v_pk_add_f32 v[106:107], v[106:107], v[112:113]
	v_mov_b32_e32 v108, v165
	v_pk_fma_f32 v[114:115], v[176:177], v[160:161], v[114:115] neg_lo:[0,0,1] neg_hi:[0,0,1]
	v_mov_b32_e32 v115, v109
	v_pk_fma_f32 v[112:113], v[178:179], v[162:163], v[110:111] op_sel_hi:[1,0,1]
	v_pk_add_f32 v[106:107], v[106:107], v[116:117]
	v_pk_mul_f32 v[108:109], v[234:235], v[108:109] op_sel_hi:[1,0]
	v_pk_fma_f32 v[110:111], v[178:179], v[162:163], v[110:111] neg_lo:[0,0,1] neg_hi:[0,0,1]
	s_delay_alu instid0(VALU_DEP_4) | instskip(NEXT) | instid1(VALU_DEP_4)
	v_mov_b32_e32 v111, v113
	v_pk_add_f32 v[106:107], v[106:107], v[114:115]
	s_delay_alu instid0(VALU_DEP_4) | instskip(SKIP_1) | instid1(VALU_DEP_2)
	v_pk_fma_f32 v[112:113], v[180:181], v[164:165], v[108:109] op_sel_hi:[1,0,1]
	v_pk_fma_f32 v[108:109], v[180:181], v[164:165], v[108:109] neg_lo:[0,0,1] neg_hi:[0,0,1]
	v_mov_b32_e32 v109, v113
	s_delay_alu instid0(VALU_DEP_4) | instskip(NEXT) | instid1(VALU_DEP_1)
	v_pk_add_f32 v[106:107], v[106:107], v[110:111]
	v_pk_add_f32 v[106:107], v[106:107], v[108:109]
	s_wait_loadcnt 0x0
	s_delay_alu instid0(VALU_DEP_1)
	v_pk_add_f32 v[106:107], v[226:227], v[106:107] neg_lo:[0,1] neg_hi:[0,1]
	scratch_store_b64 off, v[106:107], off offset:168
	s_wait_xcnt 0x0
	v_cmpx_lt_u32_e32 20, v0
	s_cbranch_execz .LBB115_285
; %bb.284:
	scratch_load_b64 v[106:107], off, off offset:160
	v_mov_b64_e32 v[108:109], 0
	scratch_store_b64 off, v[108:109], off offset:160
	s_wait_loadcnt 0x0
	ds_store_b64 v1, v[106:107]
.LBB115_285:
	s_wait_xcnt 0x0
	s_or_b32 exec_lo, exec_lo, s0
	s_wait_storecnt_dscnt 0x0
	s_barrier_signal -1
	s_barrier_wait -1
	s_clause 0x10
	scratch_load_b128 v[106:109], off, off offset:168
	scratch_load_b128 v[110:113], off, off offset:184
	;; [unrolled: 1-line block ×15, first 2 shown]
	scratch_load_b64 v[226:227], off, off offset:408
	scratch_load_b64 v[228:229], off, off offset:160
	v_mov_b32_e32 v7, 0
	ds_load_2addr_b64 v[166:169], v7 offset0:95 offset1:96
	ds_load_2addr_b64 v[170:173], v7 offset0:97 offset1:98
	ds_load_2addr_b64 v[174:177], v7 offset0:99 offset1:100
	ds_load_2addr_b64 v[178:181], v7 offset0:101 offset1:102
	ds_load_2addr_b64 v[182:185], v7 offset0:73 offset1:74
	ds_load_2addr_b64 v[186:189], v7 offset0:93 offset1:94
	ds_load_2addr_b64 v[190:193], v7 offset0:75 offset1:76
	ds_load_2addr_b64 v[194:197], v7 offset0:77 offset1:78
	ds_load_2addr_b64 v[198:201], v7 offset0:79 offset1:80
	ds_load_2addr_b64 v[202:205], v7 offset0:81 offset1:82
	ds_load_2addr_b64 v[206:209], v7 offset0:83 offset1:84
	ds_load_2addr_b64 v[210:213], v7 offset0:85 offset1:86
	ds_load_2addr_b64 v[214:217], v7 offset0:87 offset1:88
	ds_load_2addr_b64 v[218:221], v7 offset0:89 offset1:90
	ds_load_2addr_b64 v[222:225], v7 offset0:91 offset1:92
	ds_load_b64 v[230:231], v7 offset:824
	s_mov_b32 s0, exec_lo
	s_wait_dscnt 0xf
	v_dual_mov_b32 v232, v169 :: v_dual_mov_b32 v233, v168
	s_wait_dscnt 0xc
	v_dual_mov_b32 v234, v173 :: v_dual_mov_b32 v239, v180
	v_dual_mov_b32 v235, v172 :: v_dual_mov_b32 v236, v177
	;; [unrolled: 1-line block ×3, first 2 shown]
	s_wait_loadcnt_dscnt 0x100b
	v_dual_mul_f32 v9, v182, v107 :: v_dual_mul_f32 v51, v183, v107
	v_dual_mul_f32 v53, v185, v109 :: v_dual_mul_f32 v11, v184, v109
	s_wait_loadcnt_dscnt 0xf09
	v_mul_f32_e32 v13, v190, v111
	s_wait_loadcnt_dscnt 0xd07
	v_dual_mul_f32 v63, v199, v119 :: v_dual_fma_f32 v51, v182, v106, -v51
	v_dual_fmac_f32 v9, v183, v106 :: v_dual_mul_f32 v65, v201, v121
	v_dual_mul_f32 v55, v191, v111 :: v_dual_mul_f32 v57, v193, v113
	v_dual_fmac_f32 v11, v185, v108 :: v_dual_fma_f32 v53, v184, v108, -v53
	s_delay_alu instid0(VALU_DEP_3) | instskip(SKIP_3) | instid1(VALU_DEP_3)
	v_dual_add_f32 v9, 0, v9 :: v_dual_add_f32 v51, 0, v51
	v_dual_mul_f32 v15, v192, v113 :: v_dual_mul_f32 v17, v194, v115
	s_wait_loadcnt_dscnt 0xc06
	v_dual_mul_f32 v67, v203, v123 :: v_dual_fma_f32 v55, v190, v110, -v55
	v_dual_fmac_f32 v13, v191, v110 :: v_dual_add_f32 v9, v9, v11
	s_delay_alu instid0(VALU_DEP_3) | instskip(SKIP_2) | instid1(VALU_DEP_3)
	v_dual_add_f32 v11, v51, v53 :: v_dual_fmac_f32 v15, v193, v112
	v_dual_mul_f32 v59, v195, v115 :: v_dual_mul_f32 v61, v197, v117
	v_dual_mul_f32 v51, v205, v125 :: v_dual_fma_f32 v53, v192, v112, -v57
	v_dual_add_f32 v9, v9, v13 :: v_dual_add_f32 v11, v11, v55
	v_dual_mul_f32 v19, v196, v117 :: v_dual_mul_f32 v21, v198, v119
	s_wait_loadcnt_dscnt 0xb05
	v_dual_mul_f32 v13, v207, v127 :: v_dual_fma_f32 v55, v194, v114, -v59
	s_delay_alu instid0(VALU_DEP_3) | instskip(NEXT) | instid1(VALU_DEP_3)
	v_dual_fmac_f32 v17, v195, v114 :: v_dual_add_f32 v9, v9, v15
	v_dual_add_f32 v11, v11, v53 :: v_dual_fmac_f32 v19, v197, v116
	v_dual_mul_f32 v15, v209, v129 :: v_dual_fma_f32 v53, v196, v116, -v61
	s_delay_alu instid0(VALU_DEP_2) | instskip(SKIP_3) | instid1(VALU_DEP_3)
	v_dual_add_f32 v9, v9, v17 :: v_dual_add_f32 v11, v11, v55
	v_dual_mul_f32 v23, v200, v121 :: v_dual_mul_f32 v25, v202, v123
	s_wait_loadcnt_dscnt 0xa04
	v_dual_mul_f32 v17, v211, v131 :: v_dual_fma_f32 v55, v198, v118, -v63
	v_dual_fmac_f32 v21, v199, v118 :: v_dual_add_f32 v9, v9, v19
	s_delay_alu instid0(VALU_DEP_3) | instskip(SKIP_1) | instid1(VALU_DEP_2)
	v_dual_add_f32 v11, v11, v53 :: v_dual_fmac_f32 v23, v201, v120
	v_dual_mul_f32 v19, v213, v133 :: v_dual_fma_f32 v53, v200, v120, -v65
	v_dual_add_f32 v9, v9, v21 :: v_dual_add_f32 v11, v11, v55
	v_dual_mul_f32 v27, v204, v125 :: v_dual_mul_f32 v29, v206, v127
	s_wait_loadcnt_dscnt 0x903
	v_dual_mul_f32 v21, v215, v135 :: v_dual_fma_f32 v55, v202, v122, -v67
	s_delay_alu instid0(VALU_DEP_3) | instskip(NEXT) | instid1(VALU_DEP_3)
	v_dual_fmac_f32 v25, v203, v122 :: v_dual_add_f32 v9, v9, v23
	v_dual_add_f32 v11, v11, v53 :: v_dual_fmac_f32 v27, v205, v124
	v_dual_mul_f32 v23, v217, v137 :: v_dual_fma_f32 v51, v204, v124, -v51
	s_delay_alu instid0(VALU_DEP_2) | instskip(SKIP_3) | instid1(VALU_DEP_3)
	v_dual_add_f32 v9, v9, v25 :: v_dual_add_f32 v11, v11, v55
	v_dual_mul_f32 v31, v208, v129 :: v_dual_mul_f32 v33, v210, v131
	s_wait_loadcnt_dscnt 0x802
	v_dual_mul_f32 v25, v219, v139 :: v_dual_fma_f32 v13, v206, v126, -v13
	v_dual_fmac_f32 v29, v207, v126 :: v_dual_add_f32 v9, v9, v27
	v_dual_add_f32 v11, v11, v51 :: v_dual_mul_f32 v27, v221, v141
	v_fmac_f32_e32 v31, v209, v128
	s_delay_alu instid0(VALU_DEP_3) | instskip(NEXT) | instid1(VALU_DEP_3)
	v_dual_fma_f32 v15, v208, v128, -v15 :: v_dual_add_f32 v9, v9, v29
	v_add_f32_e32 v11, v11, v13
	v_dual_mul_f32 v35, v212, v133 :: v_dual_mul_f32 v37, v214, v135
	s_wait_loadcnt_dscnt 0x701
	v_dual_mul_f32 v13, v223, v143 :: v_dual_fma_f32 v17, v210, v130, -v17
	v_dual_fmac_f32 v33, v211, v130 :: v_dual_add_f32 v9, v9, v31
	v_dual_add_f32 v11, v11, v15 :: v_dual_mul_f32 v15, v225, v145
	v_fmac_f32_e32 v35, v213, v132
	s_delay_alu instid0(VALU_DEP_3) | instskip(NEXT) | instid1(VALU_DEP_3)
	v_dual_fma_f32 v19, v212, v132, -v19 :: v_dual_add_f32 v9, v9, v33
	v_add_f32_e32 v11, v11, v17
	v_dual_mul_f32 v39, v216, v137 :: v_dual_mul_f32 v41, v218, v139
	s_wait_loadcnt 0x6
	v_dual_mul_f32 v17, v187, v147 :: v_dual_fma_f32 v21, v214, v134, -v21
	v_dual_fmac_f32 v37, v215, v134 :: v_dual_add_f32 v9, v9, v35
	v_dual_add_f32 v11, v11, v19 :: v_dual_mul_f32 v19, v189, v149
	v_fmac_f32_e32 v39, v217, v136
	s_delay_alu instid0(VALU_DEP_3) | instskip(NEXT) | instid1(VALU_DEP_3)
	v_dual_fma_f32 v23, v216, v136, -v23 :: v_dual_add_f32 v9, v9, v37
	v_add_f32_e32 v11, v11, v21
	v_dual_mul_f32 v43, v220, v141 :: v_dual_mul_f32 v45, v222, v143
	s_wait_loadcnt 0x5
	v_dual_mul_f32 v21, v167, v151 :: v_dual_fma_f32 v25, v218, v138, -v25
	v_dual_fmac_f32 v41, v219, v138 :: v_dual_add_f32 v9, v9, v39
	v_dual_add_f32 v11, v11, v23 :: v_dual_mov_b32 v106, v153
	v_fmac_f32_e32 v43, v221, v140
	s_delay_alu instid0(VALU_DEP_3) | instskip(NEXT) | instid1(VALU_DEP_3)
	v_dual_fma_f32 v23, v220, v140, -v27 :: v_dual_add_f32 v9, v9, v41
	v_add_f32_e32 v11, v11, v25
	v_dual_mul_f32 v47, v224, v145 :: v_dual_mul_f32 v49, v186, v147
	s_delay_alu instid0(VALU_DEP_3) | instskip(NEXT) | instid1(VALU_DEP_3)
	v_dual_fmac_f32 v45, v223, v142 :: v_dual_add_f32 v9, v9, v43
	v_dual_fma_f32 v13, v222, v142, -v13 :: v_dual_add_f32 v11, v11, v23
	s_wait_loadcnt 0x4
	v_dual_mov_b32 v110, v157 :: v_dual_fma_f32 v15, v224, v144, -v15
	v_fmac_f32_e32 v47, v225, v144
	v_dual_add_f32 v9, v9, v45 :: v_dual_fmac_f32 v49, v187, v146
	v_add_f32_e32 v11, v11, v13
	v_dual_mul_f32 v241, v188, v149 :: v_dual_mul_f32 v243, v166, v151
	s_delay_alu instid0(VALU_DEP_3) | instskip(NEXT) | instid1(VALU_DEP_2)
	v_dual_fma_f32 v13, v186, v146, -v17 :: v_dual_add_f32 v9, v9, v47
	v_dual_add_f32 v11, v11, v15 :: v_dual_fmac_f32 v241, v189, v148
	v_fma_f32 v240, v188, v148, -v19
	v_pk_mul_f32 v[106:107], v[232:233], v[106:107] op_sel_hi:[1,0]
	s_delay_alu instid0(VALU_DEP_4)
	v_add_f32_e32 v115, v9, v49
	s_wait_loadcnt 0x3
	v_dual_add_f32 v114, v11, v13 :: v_dual_mov_b32 v116, v161
	v_pk_mul_f32 v[108:109], v[170:171], v[154:155] op_sel:[1,1] op_sel_hi:[0,1]
	v_dual_fmac_f32 v243, v167, v150 :: v_dual_fma_f32 v242, v166, v150, -v21
	v_pk_fma_f32 v[118:119], v[168:169], v[152:153], v[106:107] op_sel_hi:[1,0,1]
	s_delay_alu instid0(VALU_DEP_4)
	v_pk_add_f32 v[114:115], v[114:115], v[240:241]
	v_pk_fma_f32 v[106:107], v[168:169], v[152:153], v[106:107] neg_lo:[0,0,1] neg_hi:[0,0,1]
	v_pk_fma_f32 v[120:121], v[170:171], v[154:155], v[108:109] op_sel_hi:[1,0,1]
	v_pk_mul_f32 v[110:111], v[234:235], v[110:111] op_sel_hi:[1,0]
	v_mov_b32_e32 v107, v119
	v_pk_add_f32 v[114:115], v[114:115], v[242:243]
	v_pk_fma_f32 v[108:109], v[170:171], v[154:155], v[108:109] neg_lo:[0,0,1] neg_hi:[0,0,1]
	v_pk_mul_f32 v[112:113], v[174:175], v[158:159] op_sel:[1,1] op_sel_hi:[0,1]
	v_mov_b32_e32 v109, v121
	v_pk_fma_f32 v[120:121], v[172:173], v[156:157], v[110:111] op_sel_hi:[1,0,1]
	v_pk_add_f32 v[106:107], v[114:115], v[106:107]
	v_pk_fma_f32 v[110:111], v[172:173], v[156:157], v[110:111] neg_lo:[0,0,1] neg_hi:[0,0,1]
	v_pk_fma_f32 v[114:115], v[174:175], v[158:159], v[112:113] op_sel_hi:[1,0,1]
	v_pk_mul_f32 v[116:117], v[236:237], v[116:117] op_sel_hi:[1,0]
	v_mov_b32_e32 v111, v121
	v_pk_add_f32 v[106:107], v[106:107], v[108:109]
	v_pk_fma_f32 v[112:113], v[174:175], v[158:159], v[112:113] neg_lo:[0,0,1] neg_hi:[0,0,1]
	s_wait_loadcnt 0x2
	v_pk_mul_f32 v[118:119], v[178:179], v[162:163] op_sel:[1,1] op_sel_hi:[0,1]
	v_dual_mov_b32 v108, v165 :: v_dual_mov_b32 v113, v115
	v_pk_fma_f32 v[114:115], v[176:177], v[160:161], v[116:117] op_sel_hi:[1,0,1]
	v_pk_add_f32 v[106:107], v[106:107], v[110:111]
	v_pk_fma_f32 v[116:117], v[176:177], v[160:161], v[116:117] neg_lo:[0,0,1] neg_hi:[0,0,1]
	v_pk_fma_f32 v[110:111], v[178:179], v[162:163], v[118:119] op_sel_hi:[1,0,1]
	v_pk_mul_f32 v[108:109], v[238:239], v[108:109] op_sel_hi:[1,0]
	v_mov_b32_e32 v117, v115
	v_pk_add_f32 v[106:107], v[106:107], v[112:113]
	v_pk_fma_f32 v[112:113], v[178:179], v[162:163], v[118:119] neg_lo:[0,0,1] neg_hi:[0,0,1]
	v_mov_b32_e32 v113, v111
	v_pk_fma_f32 v[110:111], v[180:181], v[164:165], v[108:109] op_sel_hi:[1,0,1]
	s_wait_loadcnt_dscnt 0x100
	v_pk_mul_f32 v[114:115], v[230:231], v[226:227] op_sel:[1,1] op_sel_hi:[0,1]
	v_pk_add_f32 v[106:107], v[106:107], v[116:117]
	v_pk_fma_f32 v[108:109], v[180:181], v[164:165], v[108:109] neg_lo:[0,0,1] neg_hi:[0,0,1]
	v_mov_b32_e32 v109, v111
	s_delay_alu instid0(VALU_DEP_4) | instskip(NEXT) | instid1(VALU_DEP_4)
	v_pk_fma_f32 v[110:111], v[230:231], v[226:227], v[114:115] op_sel_hi:[1,0,1]
	v_pk_add_f32 v[106:107], v[106:107], v[112:113]
	v_pk_fma_f32 v[112:113], v[230:231], v[226:227], v[114:115] neg_lo:[0,0,1] neg_hi:[0,0,1]
	s_delay_alu instid0(VALU_DEP_3) | instskip(NEXT) | instid1(VALU_DEP_3)
	v_mov_b32_e32 v113, v111
	v_pk_add_f32 v[106:107], v[106:107], v[108:109]
	s_delay_alu instid0(VALU_DEP_1) | instskip(SKIP_1) | instid1(VALU_DEP_1)
	v_pk_add_f32 v[106:107], v[106:107], v[112:113]
	s_wait_loadcnt 0x0
	v_pk_add_f32 v[106:107], v[228:229], v[106:107] neg_lo:[0,1] neg_hi:[0,1]
	scratch_store_b64 off, v[106:107], off offset:160
	s_wait_xcnt 0x0
	v_cmpx_lt_u32_e32 19, v0
	s_cbranch_execz .LBB115_287
; %bb.286:
	scratch_load_b64 v[106:107], off, off offset:152
	v_mov_b64_e32 v[108:109], 0
	scratch_store_b64 off, v[108:109], off offset:152
	s_wait_loadcnt 0x0
	ds_store_b64 v1, v[106:107]
.LBB115_287:
	s_wait_xcnt 0x0
	s_or_b32 exec_lo, exec_lo, s0
	s_wait_storecnt_dscnt 0x0
	s_barrier_signal -1
	s_barrier_wait -1
	s_clause 0x10
	scratch_load_b128 v[106:109], off, off offset:160
	scratch_load_b128 v[110:113], off, off offset:176
	;; [unrolled: 1-line block ×16, first 2 shown]
	scratch_load_b64 v[234:235], off, off offset:152
	ds_load_b128 v[170:173], v7 offset:768
	ds_load_b128 v[174:177], v7 offset:784
	;; [unrolled: 1-line block ×16, first 2 shown]
	s_mov_b32 s0, exec_lo
	s_wait_dscnt 0xf
	v_dual_mov_b32 v236, v173 :: v_dual_mov_b32 v237, v172
	s_wait_dscnt 0xe
	v_dual_mov_b32 v238, v177 :: v_dual_mov_b32 v239, v176
	;; [unrolled: 2-line block ×4, first 2 shown]
	s_wait_loadcnt_dscnt 0x100b
	v_dual_mul_f32 v7, v186, v107 :: v_dual_mul_f32 v9, v188, v109
	v_dual_mul_f32 v51, v187, v107 :: v_dual_mul_f32 v53, v189, v109
	s_wait_loadcnt_dscnt 0xf0a
	v_dual_mul_f32 v11, v190, v111 :: v_dual_mul_f32 v13, v192, v113
	s_delay_alu instid0(VALU_DEP_3) | instskip(SKIP_3) | instid1(VALU_DEP_3)
	v_dual_fmac_f32 v7, v187, v106 :: v_dual_fmac_f32 v9, v189, v108
	s_wait_loadcnt_dscnt 0xd08
	v_dual_fma_f32 v51, v186, v106, -v51 :: v_dual_mul_f32 v63, v199, v119
	v_dual_mul_f32 v55, v191, v111 :: v_dual_mul_f32 v57, v193, v113
	v_dual_fma_f32 v53, v188, v108, -v53 :: v_dual_add_f32 v7, 0, v7
	s_delay_alu instid0(VALU_DEP_3) | instskip(SKIP_1) | instid1(VALU_DEP_3)
	v_dual_add_f32 v51, 0, v51 :: v_dual_mul_f32 v65, v201, v121
	v_dual_fmac_f32 v11, v191, v110 :: v_dual_fmac_f32 v13, v193, v112
	v_dual_fma_f32 v55, v190, v110, -v55 :: v_dual_add_f32 v7, v7, v9
	s_delay_alu instid0(VALU_DEP_3) | instskip(SKIP_2) | instid1(VALU_DEP_4)
	v_dual_add_f32 v9, v51, v53 :: v_dual_fma_f32 v53, v192, v112, -v57
	v_dual_mul_f32 v15, v194, v115 :: v_dual_mul_f32 v17, v196, v117
	v_dual_mul_f32 v59, v195, v115 :: v_dual_mul_f32 v61, v197, v117
	v_add_f32_e32 v7, v7, v11
	s_delay_alu instid0(VALU_DEP_3) | instskip(NEXT) | instid1(VALU_DEP_3)
	v_dual_add_f32 v9, v9, v55 :: v_dual_fmac_f32 v15, v195, v114
	v_fma_f32 v55, v194, v114, -v59
	v_dual_mul_f32 v19, v198, v119 :: v_dual_mul_f32 v21, v200, v121
	s_delay_alu instid0(VALU_DEP_4) | instskip(SKIP_2) | instid1(VALU_DEP_2)
	v_dual_add_f32 v7, v7, v13 :: v_dual_fmac_f32 v17, v197, v116
	s_wait_loadcnt_dscnt 0xb06
	v_dual_add_f32 v9, v9, v53 :: v_dual_mul_f32 v13, v207, v127
	v_dual_fma_f32 v53, v196, v116, -v61 :: v_dual_add_f32 v7, v7, v15
	v_mul_f32_e32 v15, v209, v129
	s_delay_alu instid0(VALU_DEP_3) | instskip(NEXT) | instid1(VALU_DEP_3)
	v_dual_add_f32 v9, v9, v55 :: v_dual_fmac_f32 v19, v199, v118
	v_dual_fma_f32 v55, v198, v118, -v63 :: v_dual_add_f32 v7, v7, v17
	v_fmac_f32_e32 v21, v201, v120
	s_wait_loadcnt_dscnt 0xa05
	s_delay_alu instid0(VALU_DEP_3) | instskip(SKIP_3) | instid1(VALU_DEP_3)
	v_dual_add_f32 v9, v9, v53 :: v_dual_mul_f32 v17, v211, v131
	v_dual_mul_f32 v23, v202, v123 :: v_dual_mul_f32 v25, v204, v125
	v_dual_mul_f32 v51, v203, v123 :: v_dual_mul_f32 v11, v205, v125
	v_dual_fma_f32 v53, v200, v120, -v65 :: v_dual_add_f32 v7, v7, v19
	v_dual_add_f32 v9, v9, v55 :: v_dual_fmac_f32 v23, v203, v122
	s_delay_alu instid0(VALU_DEP_3) | instskip(NEXT) | instid1(VALU_DEP_3)
	v_dual_mul_f32 v19, v213, v133 :: v_dual_fma_f32 v51, v202, v122, -v51
	v_dual_add_f32 v7, v7, v21 :: v_dual_fmac_f32 v25, v205, v124
	s_wait_loadcnt_dscnt 0x904
	s_delay_alu instid0(VALU_DEP_3) | instskip(SKIP_1) | instid1(VALU_DEP_3)
	v_dual_add_f32 v9, v9, v53 :: v_dual_mul_f32 v21, v215, v135
	v_dual_mul_f32 v27, v206, v127 :: v_dual_mul_f32 v29, v208, v129
	v_dual_fma_f32 v11, v204, v124, -v11 :: v_dual_add_f32 v7, v7, v23
	s_delay_alu instid0(VALU_DEP_2) | instskip(SKIP_1) | instid1(VALU_DEP_2)
	v_dual_add_f32 v9, v9, v51 :: v_dual_fmac_f32 v27, v207, v126
	v_dual_mul_f32 v23, v217, v137 :: v_dual_fma_f32 v13, v206, v126, -v13
	v_dual_add_f32 v7, v7, v25 :: v_dual_add_f32 v9, v9, v11
	v_dual_mul_f32 v31, v210, v131 :: v_dual_mul_f32 v33, v212, v133
	s_wait_loadcnt_dscnt 0x803
	v_dual_mul_f32 v11, v219, v139 :: v_dual_fmac_f32 v29, v209, v128
	s_delay_alu instid0(VALU_DEP_3) | instskip(NEXT) | instid1(VALU_DEP_3)
	v_dual_fma_f32 v15, v208, v128, -v15 :: v_dual_add_f32 v7, v7, v27
	v_dual_add_f32 v9, v9, v13 :: v_dual_fmac_f32 v31, v211, v130
	v_dual_mul_f32 v13, v221, v141 :: v_dual_fma_f32 v17, v210, v130, -v17
	s_delay_alu instid0(VALU_DEP_2) | instskip(SKIP_3) | instid1(VALU_DEP_3)
	v_dual_add_f32 v7, v7, v29 :: v_dual_add_f32 v9, v9, v15
	v_dual_mul_f32 v35, v214, v135 :: v_dual_mul_f32 v37, v216, v137
	s_wait_loadcnt_dscnt 0x702
	v_dual_mul_f32 v15, v223, v143 :: v_dual_fmac_f32 v33, v213, v132
	v_dual_fma_f32 v19, v212, v132, -v19 :: v_dual_add_f32 v7, v7, v31
	s_delay_alu instid0(VALU_DEP_3) | instskip(SKIP_1) | instid1(VALU_DEP_2)
	v_dual_add_f32 v9, v9, v17 :: v_dual_fmac_f32 v35, v215, v134
	v_dual_mul_f32 v17, v225, v145 :: v_dual_fma_f32 v21, v214, v134, -v21
	v_dual_add_f32 v7, v7, v33 :: v_dual_add_f32 v9, v9, v19
	v_dual_mul_f32 v39, v218, v139 :: v_dual_mul_f32 v41, v220, v141
	s_wait_loadcnt_dscnt 0x601
	v_dual_mul_f32 v19, v227, v147 :: v_dual_fmac_f32 v37, v217, v136
	s_delay_alu instid0(VALU_DEP_3) | instskip(NEXT) | instid1(VALU_DEP_3)
	v_dual_fma_f32 v23, v216, v136, -v23 :: v_dual_add_f32 v7, v7, v35
	v_dual_add_f32 v9, v9, v21 :: v_dual_fmac_f32 v39, v219, v138
	v_dual_mul_f32 v21, v229, v149 :: v_dual_fma_f32 v11, v218, v138, -v11
	s_delay_alu instid0(VALU_DEP_2) | instskip(SKIP_3) | instid1(VALU_DEP_3)
	v_dual_add_f32 v7, v7, v37 :: v_dual_add_f32 v9, v9, v23
	v_dual_mul_f32 v43, v222, v143 :: v_dual_mul_f32 v45, v224, v145
	s_wait_loadcnt_dscnt 0x500
	v_dual_mul_f32 v23, v231, v151 :: v_dual_fmac_f32 v41, v221, v140
	v_dual_fma_f32 v13, v220, v140, -v13 :: v_dual_add_f32 v7, v7, v39
	s_delay_alu instid0(VALU_DEP_3) | instskip(SKIP_1) | instid1(VALU_DEP_3)
	v_dual_add_f32 v9, v9, v11 :: v_dual_fmac_f32 v43, v223, v142
	v_dual_mul_f32 v11, v233, v153 :: v_dual_fma_f32 v15, v222, v142, -v15
	v_dual_add_f32 v7, v7, v41 :: v_dual_fmac_f32 v45, v225, v144
	s_delay_alu instid0(VALU_DEP_3) | instskip(SKIP_2) | instid1(VALU_DEP_3)
	v_dual_add_f32 v9, v9, v13 :: v_dual_fma_f32 v13, v224, v144, -v17
	v_dual_mul_f32 v47, v226, v147 :: v_dual_mul_f32 v49, v228, v149
	s_wait_loadcnt 0x4
	v_dual_add_f32 v7, v7, v43 :: v_dual_mov_b32 v108, v157
	s_delay_alu instid0(VALU_DEP_2) | instskip(NEXT) | instid1(VALU_DEP_2)
	v_dual_add_f32 v9, v9, v15 :: v_dual_fmac_f32 v47, v227, v146
	v_dual_fma_f32 v15, v226, v146, -v19 :: v_dual_add_f32 v7, v7, v45
	v_dual_mul_f32 v245, v230, v151 :: v_dual_mul_f32 v247, v232, v153
	s_delay_alu instid0(VALU_DEP_3) | instskip(NEXT) | instid1(VALU_DEP_3)
	v_dual_add_f32 v9, v9, v13 :: v_dual_fma_f32 v13, v228, v148, -v21
	v_dual_fmac_f32 v49, v229, v148 :: v_dual_add_f32 v7, v7, v47
	v_pk_mul_f32 v[106:107], v[170:171], v[154:155] op_sel:[1,1] op_sel_hi:[0,1]
	s_delay_alu instid0(VALU_DEP_3) | instskip(SKIP_3) | instid1(VALU_DEP_3)
	v_dual_add_f32 v9, v9, v15 :: v_dual_fmac_f32 v245, v231, v150
	s_wait_loadcnt 0x3
	v_dual_mov_b32 v112, v161 :: v_dual_fma_f32 v244, v230, v150, -v23
	v_dual_add_f32 v115, v7, v49 :: v_dual_fmac_f32 v247, v233, v152
	v_dual_add_f32 v114, v9, v13 :: v_dual_fma_f32 v246, v232, v152, -v11
	v_pk_fma_f32 v[116:117], v[170:171], v[154:155], v[106:107] op_sel_hi:[1,0,1]
	v_pk_mul_f32 v[108:109], v[236:237], v[108:109] op_sel_hi:[1,0]
	v_pk_fma_f32 v[106:107], v[170:171], v[154:155], v[106:107] neg_lo:[0,0,1] neg_hi:[0,0,1]
	s_delay_alu instid0(VALU_DEP_4)
	v_pk_add_f32 v[114:115], v[114:115], v[244:245]
	v_pk_mul_f32 v[110:111], v[174:175], v[158:159] op_sel:[1,1] op_sel_hi:[0,1]
	v_mov_b32_e32 v107, v117
	v_pk_fma_f32 v[116:117], v[172:173], v[156:157], v[108:109] op_sel_hi:[1,0,1]
	v_pk_fma_f32 v[108:109], v[172:173], v[156:157], v[108:109] neg_lo:[0,0,1] neg_hi:[0,0,1]
	v_pk_add_f32 v[114:115], v[114:115], v[246:247]
	v_pk_fma_f32 v[120:121], v[174:175], v[158:159], v[110:111] op_sel_hi:[1,0,1]
	v_pk_mul_f32 v[112:113], v[238:239], v[112:113] op_sel_hi:[1,0]
	v_mov_b32_e32 v109, v117
	s_wait_loadcnt 0x2
	v_pk_mul_f32 v[118:119], v[178:179], v[162:163] op_sel:[1,1] op_sel_hi:[0,1]
	v_pk_add_f32 v[106:107], v[114:115], v[106:107]
	v_mov_b32_e32 v114, v165
	v_pk_fma_f32 v[110:111], v[174:175], v[158:159], v[110:111] neg_lo:[0,0,1] neg_hi:[0,0,1]
	v_mov_b32_e32 v111, v121
	v_pk_fma_f32 v[116:117], v[176:177], v[160:161], v[112:113] op_sel_hi:[1,0,1]
	v_pk_add_f32 v[106:107], v[106:107], v[108:109]
	v_pk_fma_f32 v[108:109], v[178:179], v[162:163], v[118:119] op_sel_hi:[1,0,1]
	v_pk_mul_f32 v[114:115], v[240:241], v[114:115] op_sel_hi:[1,0]
	v_pk_fma_f32 v[112:113], v[176:177], v[160:161], v[112:113] neg_lo:[0,0,1] neg_hi:[0,0,1]
	v_mov_b32_e32 v113, v117
	v_pk_add_f32 v[106:107], v[106:107], v[110:111]
	v_pk_fma_f32 v[116:117], v[178:179], v[162:163], v[118:119] neg_lo:[0,0,1] neg_hi:[0,0,1]
	v_mov_b32_e32 v117, v109
	v_pk_fma_f32 v[108:109], v[180:181], v[164:165], v[114:115] op_sel_hi:[1,0,1]
	s_wait_loadcnt 0x1
	v_pk_mul_f32 v[110:111], v[182:183], v[166:167] op_sel:[1,1] op_sel_hi:[0,1]
	v_pk_add_f32 v[106:107], v[106:107], v[112:113]
	v_mov_b32_e32 v108, v169
	v_pk_fma_f32 v[114:115], v[180:181], v[164:165], v[114:115] neg_lo:[0,0,1] neg_hi:[0,0,1]
	v_mov_b32_e32 v115, v109
	v_pk_fma_f32 v[112:113], v[182:183], v[166:167], v[110:111] op_sel_hi:[1,0,1]
	v_pk_add_f32 v[106:107], v[106:107], v[116:117]
	v_pk_mul_f32 v[108:109], v[242:243], v[108:109] op_sel_hi:[1,0]
	v_pk_fma_f32 v[110:111], v[182:183], v[166:167], v[110:111] neg_lo:[0,0,1] neg_hi:[0,0,1]
	s_delay_alu instid0(VALU_DEP_4) | instskip(NEXT) | instid1(VALU_DEP_4)
	v_mov_b32_e32 v111, v113
	v_pk_add_f32 v[106:107], v[106:107], v[114:115]
	s_delay_alu instid0(VALU_DEP_4) | instskip(SKIP_1) | instid1(VALU_DEP_2)
	v_pk_fma_f32 v[112:113], v[184:185], v[168:169], v[108:109] op_sel_hi:[1,0,1]
	v_pk_fma_f32 v[108:109], v[184:185], v[168:169], v[108:109] neg_lo:[0,0,1] neg_hi:[0,0,1]
	v_mov_b32_e32 v109, v113
	s_delay_alu instid0(VALU_DEP_4) | instskip(NEXT) | instid1(VALU_DEP_1)
	v_pk_add_f32 v[106:107], v[106:107], v[110:111]
	v_pk_add_f32 v[106:107], v[106:107], v[108:109]
	s_wait_loadcnt 0x0
	s_delay_alu instid0(VALU_DEP_1)
	v_pk_add_f32 v[106:107], v[234:235], v[106:107] neg_lo:[0,1] neg_hi:[0,1]
	scratch_store_b64 off, v[106:107], off offset:152
	s_wait_xcnt 0x0
	v_cmpx_lt_u32_e32 18, v0
	s_cbranch_execz .LBB115_289
; %bb.288:
	scratch_load_b64 v[106:107], off, off offset:144
	v_mov_b64_e32 v[108:109], 0
	scratch_store_b64 off, v[108:109], off offset:144
	s_wait_loadcnt 0x0
	ds_store_b64 v1, v[106:107]
.LBB115_289:
	s_wait_xcnt 0x0
	s_or_b32 exec_lo, exec_lo, s0
	s_wait_storecnt_dscnt 0x0
	s_barrier_signal -1
	s_barrier_wait -1
	s_clause 0x11
	scratch_load_b128 v[106:109], off, off offset:152
	scratch_load_b128 v[110:113], off, off offset:168
	;; [unrolled: 1-line block ×16, first 2 shown]
	scratch_load_b64 v[234:235], off, off offset:408
	scratch_load_b64 v[236:237], off, off offset:144
	v_mov_b32_e32 v7, 0
	ds_load_2addr_b64 v[170:173], v7 offset0:95 offset1:96
	ds_load_2addr_b64 v[174:177], v7 offset0:97 offset1:98
	;; [unrolled: 1-line block ×16, first 2 shown]
	ds_load_b64 v[238:239], v7 offset:824
	s_mov_b32 s0, exec_lo
	s_wait_dscnt 0x10
	v_dual_mov_b32 v240, v173 :: v_dual_mov_b32 v241, v172
	s_wait_dscnt 0xd
	v_dual_mov_b32 v242, v177 :: v_dual_mov_b32 v247, v184
	v_dual_mov_b32 v243, v176 :: v_dual_mov_b32 v244, v181
	;; [unrolled: 1-line block ×3, first 2 shown]
	s_wait_loadcnt_dscnt 0x110c
	v_dual_mul_f32 v9, v186, v107 :: v_dual_mul_f32 v55, v187, v107
	v_dual_mul_f32 v57, v189, v109 :: v_dual_mul_f32 v11, v188, v109
	s_wait_loadcnt_dscnt 0x100b
	v_mul_f32_e32 v13, v190, v111
	s_wait_loadcnt_dscnt 0xe09
	v_dual_mul_f32 v67, v199, v119 :: v_dual_fma_f32 v55, v186, v106, -v55
	v_dual_fmac_f32 v9, v187, v106 :: v_dual_mul_f32 v69, v201, v121
	v_dual_mul_f32 v59, v191, v111 :: v_dual_mul_f32 v61, v193, v113
	v_dual_fmac_f32 v11, v189, v108 :: v_dual_fma_f32 v57, v188, v108, -v57
	s_delay_alu instid0(VALU_DEP_3) | instskip(SKIP_3) | instid1(VALU_DEP_3)
	v_dual_add_f32 v9, 0, v9 :: v_dual_add_f32 v55, 0, v55
	v_dual_mul_f32 v15, v192, v113 :: v_dual_mul_f32 v17, v194, v115
	s_wait_loadcnt_dscnt 0xd08
	v_dual_mul_f32 v71, v203, v123 :: v_dual_fma_f32 v59, v190, v110, -v59
	v_dual_fmac_f32 v13, v191, v110 :: v_dual_add_f32 v9, v9, v11
	s_delay_alu instid0(VALU_DEP_3) | instskip(SKIP_2) | instid1(VALU_DEP_3)
	v_dual_add_f32 v11, v55, v57 :: v_dual_fmac_f32 v15, v193, v112
	v_dual_mul_f32 v63, v195, v115 :: v_dual_mul_f32 v65, v197, v117
	v_dual_mul_f32 v55, v205, v125 :: v_dual_fma_f32 v57, v192, v112, -v61
	v_dual_add_f32 v9, v9, v13 :: v_dual_add_f32 v11, v11, v59
	v_dual_mul_f32 v19, v196, v117 :: v_dual_mul_f32 v21, v198, v119
	s_wait_loadcnt_dscnt 0xc07
	v_dual_mul_f32 v13, v207, v127 :: v_dual_fma_f32 v59, v194, v114, -v63
	s_delay_alu instid0(VALU_DEP_3) | instskip(NEXT) | instid1(VALU_DEP_3)
	v_dual_fmac_f32 v17, v195, v114 :: v_dual_add_f32 v9, v9, v15
	v_dual_add_f32 v11, v11, v57 :: v_dual_fmac_f32 v19, v197, v116
	v_dual_mul_f32 v15, v209, v129 :: v_dual_fma_f32 v57, v196, v116, -v65
	s_delay_alu instid0(VALU_DEP_2) | instskip(SKIP_3) | instid1(VALU_DEP_3)
	v_dual_add_f32 v9, v9, v17 :: v_dual_add_f32 v11, v11, v59
	v_dual_mul_f32 v23, v200, v121 :: v_dual_mul_f32 v25, v202, v123
	s_wait_loadcnt_dscnt 0xb06
	v_dual_mul_f32 v17, v211, v131 :: v_dual_fma_f32 v59, v198, v118, -v67
	v_dual_fmac_f32 v21, v199, v118 :: v_dual_add_f32 v9, v9, v19
	s_delay_alu instid0(VALU_DEP_3) | instskip(SKIP_1) | instid1(VALU_DEP_2)
	v_dual_add_f32 v11, v11, v57 :: v_dual_fmac_f32 v23, v201, v120
	v_dual_mul_f32 v19, v213, v133 :: v_dual_fma_f32 v57, v200, v120, -v69
	v_dual_add_f32 v9, v9, v21 :: v_dual_add_f32 v11, v11, v59
	v_dual_mul_f32 v27, v204, v125 :: v_dual_mul_f32 v29, v206, v127
	s_wait_loadcnt_dscnt 0xa05
	v_dual_mul_f32 v21, v215, v135 :: v_dual_fma_f32 v59, v202, v122, -v71
	s_delay_alu instid0(VALU_DEP_3) | instskip(NEXT) | instid1(VALU_DEP_3)
	v_dual_fmac_f32 v25, v203, v122 :: v_dual_add_f32 v9, v9, v23
	v_dual_add_f32 v11, v11, v57 :: v_dual_fmac_f32 v27, v205, v124
	v_dual_mul_f32 v23, v217, v137 :: v_dual_fma_f32 v55, v204, v124, -v55
	s_delay_alu instid0(VALU_DEP_2) | instskip(SKIP_3) | instid1(VALU_DEP_3)
	v_dual_add_f32 v9, v9, v25 :: v_dual_add_f32 v11, v11, v59
	v_dual_mul_f32 v31, v208, v129 :: v_dual_mul_f32 v33, v210, v131
	s_wait_loadcnt_dscnt 0x904
	v_dual_mul_f32 v25, v219, v139 :: v_dual_fma_f32 v13, v206, v126, -v13
	v_dual_fmac_f32 v29, v207, v126 :: v_dual_add_f32 v9, v9, v27
	v_dual_add_f32 v11, v11, v55 :: v_dual_mul_f32 v27, v221, v141
	v_fmac_f32_e32 v31, v209, v128
	s_delay_alu instid0(VALU_DEP_3) | instskip(NEXT) | instid1(VALU_DEP_3)
	v_dual_fma_f32 v15, v208, v128, -v15 :: v_dual_add_f32 v9, v9, v29
	v_add_f32_e32 v11, v11, v13
	v_dual_mul_f32 v35, v212, v133 :: v_dual_mul_f32 v37, v214, v135
	s_wait_loadcnt_dscnt 0x803
	v_dual_mul_f32 v13, v223, v143 :: v_dual_fma_f32 v17, v210, v130, -v17
	v_dual_fmac_f32 v33, v211, v130 :: v_dual_add_f32 v9, v9, v31
	v_dual_add_f32 v11, v11, v15 :: v_dual_mul_f32 v15, v225, v145
	v_fmac_f32_e32 v35, v213, v132
	s_delay_alu instid0(VALU_DEP_3) | instskip(NEXT) | instid1(VALU_DEP_3)
	v_dual_fma_f32 v19, v212, v132, -v19 :: v_dual_add_f32 v9, v9, v33
	v_add_f32_e32 v11, v11, v17
	;; [unrolled: 9-line block ×4, first 2 shown]
	v_dual_mul_f32 v47, v224, v145 :: v_dual_mul_f32 v49, v226, v147
	s_wait_loadcnt 0x5
	v_dual_mul_f32 v25, v171, v155 :: v_dual_fma_f32 v13, v222, v142, -v13
	v_dual_fmac_f32 v45, v223, v142 :: v_dual_add_f32 v9, v9, v43
	v_dual_add_f32 v11, v11, v27 :: v_dual_mov_b32 v106, v157
	v_fmac_f32_e32 v47, v225, v144
	s_delay_alu instid0(VALU_DEP_3) | instskip(NEXT) | instid1(VALU_DEP_3)
	v_dual_fma_f32 v15, v224, v144, -v15 :: v_dual_add_f32 v9, v9, v45
	v_add_f32_e32 v11, v11, v13
	v_dual_mul_f32 v51, v228, v149 :: v_dual_mul_f32 v53, v230, v151
	s_delay_alu instid0(VALU_DEP_3) | instskip(NEXT) | instid1(VALU_DEP_3)
	v_dual_fmac_f32 v49, v227, v146 :: v_dual_add_f32 v9, v9, v47
	v_dual_fma_f32 v13, v226, v146, -v17 :: v_dual_add_f32 v11, v11, v15
	s_wait_loadcnt 0x4
	v_dual_mov_b32 v110, v161 :: v_dual_fma_f32 v15, v228, v148, -v19
	v_fmac_f32_e32 v51, v229, v148
	v_dual_add_f32 v9, v9, v49 :: v_dual_fmac_f32 v53, v231, v150
	v_add_f32_e32 v11, v11, v13
	v_dual_mul_f32 v249, v232, v153 :: v_dual_mul_f32 v251, v170, v155
	s_delay_alu instid0(VALU_DEP_3) | instskip(NEXT) | instid1(VALU_DEP_2)
	v_dual_fma_f32 v13, v230, v150, -v21 :: v_dual_add_f32 v9, v9, v51
	v_dual_add_f32 v11, v11, v15 :: v_dual_fmac_f32 v249, v233, v152
	v_fma_f32 v248, v232, v152, -v23
	v_pk_mul_f32 v[106:107], v[240:241], v[106:107] op_sel_hi:[1,0]
	s_delay_alu instid0(VALU_DEP_4)
	v_add_f32_e32 v115, v9, v53
	s_wait_loadcnt 0x3
	v_dual_add_f32 v114, v11, v13 :: v_dual_mov_b32 v116, v165
	v_pk_mul_f32 v[108:109], v[174:175], v[158:159] op_sel:[1,1] op_sel_hi:[0,1]
	v_dual_fmac_f32 v251, v171, v154 :: v_dual_fma_f32 v250, v170, v154, -v25
	v_pk_fma_f32 v[118:119], v[172:173], v[156:157], v[106:107] op_sel_hi:[1,0,1]
	s_delay_alu instid0(VALU_DEP_4)
	v_pk_add_f32 v[114:115], v[114:115], v[248:249]
	v_pk_fma_f32 v[106:107], v[172:173], v[156:157], v[106:107] neg_lo:[0,0,1] neg_hi:[0,0,1]
	v_pk_fma_f32 v[120:121], v[174:175], v[158:159], v[108:109] op_sel_hi:[1,0,1]
	v_pk_mul_f32 v[110:111], v[242:243], v[110:111] op_sel_hi:[1,0]
	v_mov_b32_e32 v107, v119
	v_pk_add_f32 v[114:115], v[114:115], v[250:251]
	v_pk_fma_f32 v[108:109], v[174:175], v[158:159], v[108:109] neg_lo:[0,0,1] neg_hi:[0,0,1]
	v_pk_mul_f32 v[112:113], v[178:179], v[162:163] op_sel:[1,1] op_sel_hi:[0,1]
	v_mov_b32_e32 v109, v121
	v_pk_fma_f32 v[120:121], v[176:177], v[160:161], v[110:111] op_sel_hi:[1,0,1]
	v_pk_add_f32 v[106:107], v[114:115], v[106:107]
	v_pk_fma_f32 v[110:111], v[176:177], v[160:161], v[110:111] neg_lo:[0,0,1] neg_hi:[0,0,1]
	v_pk_fma_f32 v[114:115], v[178:179], v[162:163], v[112:113] op_sel_hi:[1,0,1]
	v_pk_mul_f32 v[116:117], v[244:245], v[116:117] op_sel_hi:[1,0]
	v_mov_b32_e32 v111, v121
	v_pk_add_f32 v[106:107], v[106:107], v[108:109]
	v_pk_fma_f32 v[112:113], v[178:179], v[162:163], v[112:113] neg_lo:[0,0,1] neg_hi:[0,0,1]
	s_wait_loadcnt 0x2
	v_pk_mul_f32 v[118:119], v[182:183], v[166:167] op_sel:[1,1] op_sel_hi:[0,1]
	v_dual_mov_b32 v108, v169 :: v_dual_mov_b32 v113, v115
	v_pk_fma_f32 v[114:115], v[180:181], v[164:165], v[116:117] op_sel_hi:[1,0,1]
	v_pk_add_f32 v[106:107], v[106:107], v[110:111]
	v_pk_fma_f32 v[116:117], v[180:181], v[164:165], v[116:117] neg_lo:[0,0,1] neg_hi:[0,0,1]
	v_pk_fma_f32 v[110:111], v[182:183], v[166:167], v[118:119] op_sel_hi:[1,0,1]
	v_pk_mul_f32 v[108:109], v[246:247], v[108:109] op_sel_hi:[1,0]
	v_mov_b32_e32 v117, v115
	v_pk_add_f32 v[106:107], v[106:107], v[112:113]
	v_pk_fma_f32 v[112:113], v[182:183], v[166:167], v[118:119] neg_lo:[0,0,1] neg_hi:[0,0,1]
	v_mov_b32_e32 v113, v111
	v_pk_fma_f32 v[110:111], v[184:185], v[168:169], v[108:109] op_sel_hi:[1,0,1]
	s_wait_loadcnt_dscnt 0x100
	v_pk_mul_f32 v[114:115], v[238:239], v[234:235] op_sel:[1,1] op_sel_hi:[0,1]
	v_pk_add_f32 v[106:107], v[106:107], v[116:117]
	v_pk_fma_f32 v[108:109], v[184:185], v[168:169], v[108:109] neg_lo:[0,0,1] neg_hi:[0,0,1]
	v_mov_b32_e32 v109, v111
	s_delay_alu instid0(VALU_DEP_4) | instskip(NEXT) | instid1(VALU_DEP_4)
	v_pk_fma_f32 v[110:111], v[238:239], v[234:235], v[114:115] op_sel_hi:[1,0,1]
	v_pk_add_f32 v[106:107], v[106:107], v[112:113]
	v_pk_fma_f32 v[112:113], v[238:239], v[234:235], v[114:115] neg_lo:[0,0,1] neg_hi:[0,0,1]
	s_delay_alu instid0(VALU_DEP_3) | instskip(NEXT) | instid1(VALU_DEP_3)
	v_mov_b32_e32 v113, v111
	v_pk_add_f32 v[106:107], v[106:107], v[108:109]
	s_delay_alu instid0(VALU_DEP_1) | instskip(SKIP_1) | instid1(VALU_DEP_1)
	v_pk_add_f32 v[106:107], v[106:107], v[112:113]
	s_wait_loadcnt 0x0
	v_pk_add_f32 v[106:107], v[236:237], v[106:107] neg_lo:[0,1] neg_hi:[0,1]
	scratch_store_b64 off, v[106:107], off offset:144
	s_wait_xcnt 0x0
	v_cmpx_lt_u32_e32 17, v0
	s_cbranch_execz .LBB115_291
; %bb.290:
	scratch_load_b64 v[106:107], off, off offset:136
	v_mov_b64_e32 v[108:109], 0
	scratch_store_b64 off, v[108:109], off offset:136
	s_wait_loadcnt 0x0
	ds_store_b64 v1, v[106:107]
.LBB115_291:
	s_wait_xcnt 0x0
	s_or_b32 exec_lo, exec_lo, s0
	s_wait_storecnt_dscnt 0x0
	s_barrier_signal -1
	s_barrier_wait -1
	s_clause 0x11
	scratch_load_b128 v[106:109], off, off offset:144
	scratch_load_b128 v[110:113], off, off offset:160
	;; [unrolled: 1-line block ×17, first 2 shown]
	scratch_load_b64 v[242:243], off, off offset:136
	ds_load_b128 v[174:177], v7 offset:768
	ds_load_b128 v[178:181], v7 offset:784
	;; [unrolled: 1-line block ×17, first 2 shown]
	s_mov_b32 s0, exec_lo
	s_wait_dscnt 0x10
	v_dual_mov_b32 v244, v177 :: v_dual_mov_b32 v245, v176
	s_wait_dscnt 0xf
	v_dual_mov_b32 v246, v181 :: v_dual_mov_b32 v247, v180
	;; [unrolled: 2-line block ×4, first 2 shown]
	s_wait_loadcnt_dscnt 0x110b
	v_dual_mul_f32 v7, v194, v107 :: v_dual_mul_f32 v9, v196, v109
	v_dual_mul_f32 v55, v195, v107 :: v_dual_mul_f32 v57, v197, v109
	s_wait_loadcnt_dscnt 0x100a
	v_dual_mul_f32 v11, v198, v111 :: v_dual_mul_f32 v13, v200, v113
	s_delay_alu instid0(VALU_DEP_3) | instskip(SKIP_3) | instid1(VALU_DEP_3)
	v_dual_fmac_f32 v7, v195, v106 :: v_dual_fmac_f32 v9, v197, v108
	s_wait_loadcnt_dscnt 0xe08
	v_dual_fma_f32 v55, v194, v106, -v55 :: v_dual_mul_f32 v67, v207, v119
	v_dual_mul_f32 v59, v199, v111 :: v_dual_mul_f32 v61, v201, v113
	v_dual_fma_f32 v57, v196, v108, -v57 :: v_dual_add_f32 v7, 0, v7
	s_delay_alu instid0(VALU_DEP_3) | instskip(SKIP_1) | instid1(VALU_DEP_3)
	v_dual_add_f32 v55, 0, v55 :: v_dual_mul_f32 v69, v209, v121
	v_dual_fmac_f32 v11, v199, v110 :: v_dual_fmac_f32 v13, v201, v112
	v_dual_fma_f32 v59, v198, v110, -v59 :: v_dual_add_f32 v7, v7, v9
	s_delay_alu instid0(VALU_DEP_3) | instskip(SKIP_2) | instid1(VALU_DEP_4)
	v_dual_add_f32 v9, v55, v57 :: v_dual_fma_f32 v57, v200, v112, -v61
	v_dual_mul_f32 v15, v202, v115 :: v_dual_mul_f32 v17, v204, v117
	v_dual_mul_f32 v63, v203, v115 :: v_dual_mul_f32 v65, v205, v117
	v_add_f32_e32 v7, v7, v11
	s_delay_alu instid0(VALU_DEP_3) | instskip(NEXT) | instid1(VALU_DEP_3)
	v_dual_add_f32 v9, v9, v59 :: v_dual_fmac_f32 v15, v203, v114
	v_fma_f32 v59, v202, v114, -v63
	v_dual_mul_f32 v19, v206, v119 :: v_dual_mul_f32 v21, v208, v121
	s_delay_alu instid0(VALU_DEP_4) | instskip(SKIP_2) | instid1(VALU_DEP_2)
	v_dual_add_f32 v7, v7, v13 :: v_dual_fmac_f32 v17, v205, v116
	s_wait_loadcnt_dscnt 0xc06
	v_dual_add_f32 v9, v9, v57 :: v_dual_mul_f32 v13, v215, v127
	v_dual_fma_f32 v57, v204, v116, -v65 :: v_dual_add_f32 v7, v7, v15
	v_mul_f32_e32 v15, v217, v129
	s_delay_alu instid0(VALU_DEP_3) | instskip(NEXT) | instid1(VALU_DEP_3)
	v_dual_add_f32 v9, v9, v59 :: v_dual_fmac_f32 v19, v207, v118
	v_dual_fma_f32 v59, v206, v118, -v67 :: v_dual_add_f32 v7, v7, v17
	v_fmac_f32_e32 v21, v209, v120
	s_wait_loadcnt_dscnt 0xb05
	s_delay_alu instid0(VALU_DEP_3) | instskip(SKIP_3) | instid1(VALU_DEP_3)
	v_dual_add_f32 v9, v9, v57 :: v_dual_mul_f32 v17, v219, v131
	v_dual_mul_f32 v23, v210, v123 :: v_dual_mul_f32 v25, v212, v125
	v_dual_mul_f32 v55, v211, v123 :: v_dual_mul_f32 v11, v213, v125
	v_dual_fma_f32 v57, v208, v120, -v69 :: v_dual_add_f32 v7, v7, v19
	v_dual_add_f32 v9, v9, v59 :: v_dual_fmac_f32 v23, v211, v122
	s_delay_alu instid0(VALU_DEP_3) | instskip(NEXT) | instid1(VALU_DEP_3)
	v_dual_mul_f32 v19, v221, v133 :: v_dual_fma_f32 v55, v210, v122, -v55
	v_dual_add_f32 v7, v7, v21 :: v_dual_fmac_f32 v25, v213, v124
	s_wait_loadcnt_dscnt 0xa04
	s_delay_alu instid0(VALU_DEP_3) | instskip(SKIP_1) | instid1(VALU_DEP_3)
	v_dual_add_f32 v9, v9, v57 :: v_dual_mul_f32 v21, v223, v135
	v_dual_mul_f32 v27, v214, v127 :: v_dual_mul_f32 v29, v216, v129
	v_dual_fma_f32 v11, v212, v124, -v11 :: v_dual_add_f32 v7, v7, v23
	s_delay_alu instid0(VALU_DEP_2) | instskip(SKIP_1) | instid1(VALU_DEP_2)
	v_dual_add_f32 v9, v9, v55 :: v_dual_fmac_f32 v27, v215, v126
	v_dual_mul_f32 v23, v225, v137 :: v_dual_fma_f32 v13, v214, v126, -v13
	v_dual_add_f32 v7, v7, v25 :: v_dual_add_f32 v9, v9, v11
	v_dual_mul_f32 v31, v218, v131 :: v_dual_mul_f32 v33, v220, v133
	s_wait_loadcnt_dscnt 0x903
	v_dual_mul_f32 v11, v227, v139 :: v_dual_fmac_f32 v29, v217, v128
	s_delay_alu instid0(VALU_DEP_3) | instskip(NEXT) | instid1(VALU_DEP_3)
	v_dual_fma_f32 v15, v216, v128, -v15 :: v_dual_add_f32 v7, v7, v27
	v_dual_add_f32 v9, v9, v13 :: v_dual_fmac_f32 v31, v219, v130
	v_dual_mul_f32 v13, v229, v141 :: v_dual_fma_f32 v17, v218, v130, -v17
	s_delay_alu instid0(VALU_DEP_2) | instskip(SKIP_3) | instid1(VALU_DEP_3)
	v_dual_add_f32 v7, v7, v29 :: v_dual_add_f32 v9, v9, v15
	v_dual_mul_f32 v35, v222, v135 :: v_dual_mul_f32 v37, v224, v137
	s_wait_loadcnt_dscnt 0x802
	v_dual_mul_f32 v15, v231, v143 :: v_dual_fmac_f32 v33, v221, v132
	v_dual_fma_f32 v19, v220, v132, -v19 :: v_dual_add_f32 v7, v7, v31
	s_delay_alu instid0(VALU_DEP_3) | instskip(SKIP_1) | instid1(VALU_DEP_2)
	v_dual_add_f32 v9, v9, v17 :: v_dual_fmac_f32 v35, v223, v134
	v_dual_mul_f32 v17, v233, v145 :: v_dual_fma_f32 v21, v222, v134, -v21
	v_dual_add_f32 v7, v7, v33 :: v_dual_add_f32 v9, v9, v19
	v_dual_mul_f32 v39, v226, v139 :: v_dual_mul_f32 v41, v228, v141
	s_wait_loadcnt_dscnt 0x701
	v_dual_mul_f32 v19, v235, v147 :: v_dual_fmac_f32 v37, v225, v136
	s_delay_alu instid0(VALU_DEP_3) | instskip(NEXT) | instid1(VALU_DEP_3)
	v_dual_fma_f32 v23, v224, v136, -v23 :: v_dual_add_f32 v7, v7, v35
	v_dual_add_f32 v9, v9, v21 :: v_dual_fmac_f32 v39, v227, v138
	v_dual_mul_f32 v21, v237, v149 :: v_dual_fma_f32 v11, v226, v138, -v11
	s_delay_alu instid0(VALU_DEP_2) | instskip(SKIP_3) | instid1(VALU_DEP_3)
	v_dual_add_f32 v7, v7, v37 :: v_dual_add_f32 v9, v9, v23
	v_dual_mul_f32 v43, v230, v143 :: v_dual_mul_f32 v45, v232, v145
	s_wait_loadcnt_dscnt 0x600
	v_dual_mul_f32 v23, v239, v151 :: v_dual_fmac_f32 v41, v229, v140
	v_dual_fma_f32 v13, v228, v140, -v13 :: v_dual_add_f32 v7, v7, v39
	s_delay_alu instid0(VALU_DEP_3) | instskip(SKIP_1) | instid1(VALU_DEP_3)
	v_dual_add_f32 v9, v9, v11 :: v_dual_fmac_f32 v43, v231, v142
	v_dual_mul_f32 v11, v241, v153 :: v_dual_fma_f32 v15, v230, v142, -v15
	v_dual_add_f32 v7, v7, v41 :: v_dual_fmac_f32 v45, v233, v144
	s_wait_loadcnt 0x5
	s_delay_alu instid0(VALU_DEP_3) | instskip(SKIP_1) | instid1(VALU_DEP_3)
	v_dual_add_f32 v9, v9, v13 :: v_dual_mul_f32 v13, v191, v155
	v_dual_mul_f32 v47, v234, v147 :: v_dual_mul_f32 v49, v236, v149
	v_dual_fma_f32 v17, v232, v144, -v17 :: v_dual_add_f32 v7, v7, v43
	s_delay_alu instid0(VALU_DEP_2) | instskip(SKIP_1) | instid1(VALU_DEP_3)
	v_dual_add_f32 v9, v9, v15 :: v_dual_fmac_f32 v47, v235, v146
	v_dual_mul_f32 v15, v193, v157 :: v_dual_fma_f32 v19, v234, v146, -v19
	v_dual_add_f32 v7, v7, v45 :: v_dual_fmac_f32 v49, v237, v148
	s_delay_alu instid0(VALU_DEP_3) | instskip(SKIP_2) | instid1(VALU_DEP_3)
	v_dual_add_f32 v9, v9, v17 :: v_dual_fma_f32 v17, v236, v148, -v21
	v_dual_mul_f32 v51, v238, v151 :: v_dual_mul_f32 v53, v240, v153
	s_wait_loadcnt 0x4
	v_dual_add_f32 v7, v7, v47 :: v_dual_mov_b32 v108, v161
	s_delay_alu instid0(VALU_DEP_2) | instskip(NEXT) | instid1(VALU_DEP_2)
	v_dual_add_f32 v9, v9, v19 :: v_dual_fmac_f32 v51, v239, v150
	v_dual_fma_f32 v19, v238, v150, -v23 :: v_dual_add_f32 v7, v7, v49
	v_dual_mul_f32 v253, v190, v155 :: v_dual_mul_f32 v255, v192, v157
	s_delay_alu instid0(VALU_DEP_3) | instskip(NEXT) | instid1(VALU_DEP_3)
	v_dual_add_f32 v9, v9, v17 :: v_dual_fma_f32 v11, v240, v152, -v11
	v_dual_fmac_f32 v53, v241, v152 :: v_dual_add_f32 v7, v7, v51
	v_pk_mul_f32 v[106:107], v[174:175], v[158:159] op_sel:[1,1] op_sel_hi:[0,1]
	s_delay_alu instid0(VALU_DEP_3) | instskip(SKIP_2) | instid1(VALU_DEP_2)
	v_dual_add_f32 v9, v9, v19 :: v_dual_fmac_f32 v253, v191, v154
	s_wait_loadcnt 0x3
	v_dual_mov_b32 v112, v165 :: v_dual_fma_f32 v252, v190, v154, -v13
	v_dual_add_f32 v115, v7, v53 :: v_dual_add_f32 v114, v9, v11
	v_fmac_f32_e32 v255, v193, v156
	v_pk_fma_f32 v[116:117], v[174:175], v[158:159], v[106:107] op_sel_hi:[1,0,1]
	v_fma_f32 v254, v192, v156, -v15
	v_pk_mul_f32 v[108:109], v[244:245], v[108:109] op_sel_hi:[1,0]
	v_pk_add_f32 v[114:115], v[114:115], v[252:253]
	v_pk_fma_f32 v[106:107], v[174:175], v[158:159], v[106:107] neg_lo:[0,0,1] neg_hi:[0,0,1]
	v_pk_mul_f32 v[110:111], v[178:179], v[162:163] op_sel:[1,1] op_sel_hi:[0,1]
	v_mov_b32_e32 v107, v117
	v_pk_fma_f32 v[116:117], v[176:177], v[160:161], v[108:109] op_sel_hi:[1,0,1]
	v_pk_add_f32 v[114:115], v[114:115], v[254:255]
	v_pk_fma_f32 v[108:109], v[176:177], v[160:161], v[108:109] neg_lo:[0,0,1] neg_hi:[0,0,1]
	v_pk_fma_f32 v[120:121], v[178:179], v[162:163], v[110:111] op_sel_hi:[1,0,1]
	v_pk_mul_f32 v[112:113], v[246:247], v[112:113] op_sel_hi:[1,0]
	v_mov_b32_e32 v109, v117
	v_pk_add_f32 v[106:107], v[114:115], v[106:107]
	s_wait_loadcnt 0x2
	v_pk_mul_f32 v[118:119], v[182:183], v[166:167] op_sel:[1,1] op_sel_hi:[0,1]
	v_mov_b32_e32 v114, v169
	v_pk_fma_f32 v[110:111], v[178:179], v[162:163], v[110:111] neg_lo:[0,0,1] neg_hi:[0,0,1]
	v_pk_fma_f32 v[116:117], v[180:181], v[164:165], v[112:113] op_sel_hi:[1,0,1]
	v_mov_b32_e32 v111, v121
	v_pk_add_f32 v[106:107], v[106:107], v[108:109]
	v_pk_fma_f32 v[108:109], v[182:183], v[166:167], v[118:119] op_sel_hi:[1,0,1]
	v_pk_mul_f32 v[114:115], v[248:249], v[114:115] op_sel_hi:[1,0]
	v_pk_fma_f32 v[112:113], v[180:181], v[164:165], v[112:113] neg_lo:[0,0,1] neg_hi:[0,0,1]
	v_mov_b32_e32 v113, v117
	v_pk_add_f32 v[106:107], v[106:107], v[110:111]
	v_pk_fma_f32 v[116:117], v[182:183], v[166:167], v[118:119] neg_lo:[0,0,1] neg_hi:[0,0,1]
	v_mov_b32_e32 v117, v109
	v_pk_fma_f32 v[108:109], v[184:185], v[168:169], v[114:115] op_sel_hi:[1,0,1]
	s_wait_loadcnt 0x1
	v_pk_mul_f32 v[110:111], v[186:187], v[170:171] op_sel:[1,1] op_sel_hi:[0,1]
	v_pk_add_f32 v[106:107], v[106:107], v[112:113]
	v_mov_b32_e32 v108, v173
	v_pk_fma_f32 v[114:115], v[184:185], v[168:169], v[114:115] neg_lo:[0,0,1] neg_hi:[0,0,1]
	s_delay_alu instid0(VALU_DEP_4)
	v_pk_fma_f32 v[112:113], v[186:187], v[170:171], v[110:111] op_sel_hi:[1,0,1]
	v_mov_b32_e32 v115, v109
	v_pk_add_f32 v[106:107], v[106:107], v[116:117]
	v_pk_mul_f32 v[108:109], v[250:251], v[108:109] op_sel_hi:[1,0]
	v_pk_fma_f32 v[110:111], v[186:187], v[170:171], v[110:111] neg_lo:[0,0,1] neg_hi:[0,0,1]
	v_mov_b32_e32 v111, v113
	s_delay_alu instid0(VALU_DEP_4) | instskip(NEXT) | instid1(VALU_DEP_4)
	v_pk_add_f32 v[106:107], v[106:107], v[114:115]
	v_pk_fma_f32 v[112:113], v[188:189], v[172:173], v[108:109] op_sel_hi:[1,0,1]
	v_pk_fma_f32 v[108:109], v[188:189], v[172:173], v[108:109] neg_lo:[0,0,1] neg_hi:[0,0,1]
	s_delay_alu instid0(VALU_DEP_3) | instskip(NEXT) | instid1(VALU_DEP_3)
	v_pk_add_f32 v[106:107], v[106:107], v[110:111]
	v_mov_b32_e32 v109, v113
	s_delay_alu instid0(VALU_DEP_1) | instskip(SKIP_1) | instid1(VALU_DEP_1)
	v_pk_add_f32 v[106:107], v[106:107], v[108:109]
	s_wait_loadcnt 0x0
	v_pk_add_f32 v[106:107], v[242:243], v[106:107] neg_lo:[0,1] neg_hi:[0,1]
	scratch_store_b64 off, v[106:107], off offset:136
	s_wait_xcnt 0x0
	v_cmpx_lt_u32_e32 16, v0
	s_cbranch_execz .LBB115_293
; %bb.292:
	scratch_load_b64 v[106:107], off, off offset:128
	v_mov_b64_e32 v[108:109], 0
	scratch_store_b64 off, v[108:109], off offset:128
	s_wait_loadcnt 0x0
	ds_store_b64 v1, v[106:107]
.LBB115_293:
	s_wait_xcnt 0x0
	s_or_b32 exec_lo, exec_lo, s0
	s_wait_storecnt_dscnt 0x0
	s_barrier_signal -1
	s_barrier_wait -1
	s_clause 0x12
	scratch_load_b128 v[106:109], off, off offset:136
	scratch_load_b128 v[110:113], off, off offset:152
	;; [unrolled: 1-line block ×17, first 2 shown]
	scratch_load_b64 v[242:243], off, off offset:408
	scratch_load_b64 v[244:245], off, off offset:128
	v_mov_b32_e32 v7, 0
	ds_load_2addr_b64 v[174:177], v7 offset0:95 offset1:96
	ds_load_2addr_b64 v[178:181], v7 offset0:97 offset1:98
	;; [unrolled: 1-line block ×17, first 2 shown]
	ds_load_b64 v[246:247], v7 offset:824
	s_mov_b32 s0, exec_lo
	s_wait_dscnt 0x11
	v_dual_mov_b32 v248, v177 :: v_dual_mov_b32 v249, v176
	s_wait_dscnt 0x10
	v_dual_mov_b32 v250, v181 :: v_dual_mov_b32 v251, v180
	;; [unrolled: 2-line block ×3, first 2 shown]
	v_dual_mov_b32 v253, v184 :: v_dual_mov_b32 v254, v193
	s_wait_loadcnt_dscnt 0x120c
	v_dual_mul_f32 v9, v194, v107 :: v_dual_mul_f32 v59, v195, v107
	v_dual_mul_f32 v61, v197, v109 :: v_dual_mul_f32 v11, v196, v109
	s_wait_loadcnt_dscnt 0x110b
	v_mul_f32_e32 v13, v198, v111
	s_wait_loadcnt_dscnt 0xf09
	v_dual_mul_f32 v71, v207, v119 :: v_dual_fma_f32 v59, v194, v106, -v59
	v_dual_fmac_f32 v9, v195, v106 :: v_dual_mul_f32 v73, v209, v121
	v_dual_mul_f32 v63, v199, v111 :: v_dual_mul_f32 v65, v201, v113
	v_dual_fmac_f32 v11, v197, v108 :: v_dual_fma_f32 v61, v196, v108, -v61
	s_delay_alu instid0(VALU_DEP_3) | instskip(SKIP_3) | instid1(VALU_DEP_3)
	v_dual_add_f32 v9, 0, v9 :: v_dual_add_f32 v59, 0, v59
	v_dual_mul_f32 v15, v200, v113 :: v_dual_mul_f32 v17, v202, v115
	s_wait_loadcnt_dscnt 0xe08
	v_dual_mul_f32 v75, v211, v123 :: v_dual_fma_f32 v63, v198, v110, -v63
	v_dual_fmac_f32 v13, v199, v110 :: v_dual_add_f32 v9, v9, v11
	s_delay_alu instid0(VALU_DEP_3) | instskip(SKIP_2) | instid1(VALU_DEP_3)
	v_dual_add_f32 v11, v59, v61 :: v_dual_fmac_f32 v15, v201, v112
	v_dual_mul_f32 v67, v203, v115 :: v_dual_mul_f32 v69, v205, v117
	v_dual_mul_f32 v59, v213, v125 :: v_dual_fma_f32 v61, v200, v112, -v65
	v_dual_add_f32 v9, v9, v13 :: v_dual_add_f32 v11, v11, v63
	v_dual_mul_f32 v19, v204, v117 :: v_dual_mul_f32 v21, v206, v119
	s_wait_loadcnt_dscnt 0xd07
	v_dual_mul_f32 v13, v215, v127 :: v_dual_fma_f32 v63, v202, v114, -v67
	s_delay_alu instid0(VALU_DEP_3) | instskip(NEXT) | instid1(VALU_DEP_3)
	v_dual_fmac_f32 v17, v203, v114 :: v_dual_add_f32 v9, v9, v15
	v_dual_add_f32 v11, v11, v61 :: v_dual_fmac_f32 v19, v205, v116
	v_dual_mul_f32 v15, v217, v129 :: v_dual_fma_f32 v61, v204, v116, -v69
	s_delay_alu instid0(VALU_DEP_2) | instskip(SKIP_3) | instid1(VALU_DEP_3)
	v_dual_add_f32 v9, v9, v17 :: v_dual_add_f32 v11, v11, v63
	v_dual_mul_f32 v23, v208, v121 :: v_dual_mul_f32 v25, v210, v123
	s_wait_loadcnt_dscnt 0xc06
	v_dual_mul_f32 v17, v219, v131 :: v_dual_fma_f32 v63, v206, v118, -v71
	v_dual_fmac_f32 v21, v207, v118 :: v_dual_add_f32 v9, v9, v19
	s_delay_alu instid0(VALU_DEP_3) | instskip(SKIP_1) | instid1(VALU_DEP_2)
	v_dual_add_f32 v11, v11, v61 :: v_dual_fmac_f32 v23, v209, v120
	v_dual_mul_f32 v19, v221, v133 :: v_dual_fma_f32 v61, v208, v120, -v73
	v_dual_add_f32 v9, v9, v21 :: v_dual_add_f32 v11, v11, v63
	v_dual_mul_f32 v27, v212, v125 :: v_dual_mul_f32 v29, v214, v127
	s_wait_loadcnt_dscnt 0xb05
	v_dual_mul_f32 v21, v223, v135 :: v_dual_fma_f32 v63, v210, v122, -v75
	s_delay_alu instid0(VALU_DEP_3) | instskip(NEXT) | instid1(VALU_DEP_3)
	v_dual_fmac_f32 v25, v211, v122 :: v_dual_add_f32 v9, v9, v23
	v_dual_add_f32 v11, v11, v61 :: v_dual_fmac_f32 v27, v213, v124
	v_dual_mul_f32 v23, v225, v137 :: v_dual_fma_f32 v59, v212, v124, -v59
	s_delay_alu instid0(VALU_DEP_2) | instskip(SKIP_3) | instid1(VALU_DEP_3)
	v_dual_add_f32 v9, v9, v25 :: v_dual_add_f32 v11, v11, v63
	v_dual_mul_f32 v31, v216, v129 :: v_dual_mul_f32 v33, v218, v131
	s_wait_loadcnt_dscnt 0xa04
	v_dual_mul_f32 v25, v227, v139 :: v_dual_fma_f32 v13, v214, v126, -v13
	v_dual_fmac_f32 v29, v215, v126 :: v_dual_add_f32 v9, v9, v27
	v_dual_add_f32 v11, v11, v59 :: v_dual_mul_f32 v27, v229, v141
	v_fmac_f32_e32 v31, v217, v128
	s_delay_alu instid0(VALU_DEP_3) | instskip(NEXT) | instid1(VALU_DEP_3)
	v_dual_fma_f32 v15, v216, v128, -v15 :: v_dual_add_f32 v9, v9, v29
	v_add_f32_e32 v11, v11, v13
	v_dual_mul_f32 v35, v220, v133 :: v_dual_mul_f32 v37, v222, v135
	s_wait_loadcnt_dscnt 0x903
	v_dual_mul_f32 v13, v231, v143 :: v_dual_fma_f32 v17, v218, v130, -v17
	v_dual_fmac_f32 v33, v219, v130 :: v_dual_add_f32 v9, v9, v31
	v_dual_add_f32 v11, v11, v15 :: v_dual_mul_f32 v15, v233, v145
	v_fmac_f32_e32 v35, v221, v132
	s_delay_alu instid0(VALU_DEP_3) | instskip(NEXT) | instid1(VALU_DEP_3)
	v_dual_fma_f32 v19, v220, v132, -v19 :: v_dual_add_f32 v9, v9, v33
	v_add_f32_e32 v11, v11, v17
	;; [unrolled: 9-line block ×4, first 2 shown]
	v_dual_mul_f32 v47, v232, v145 :: v_dual_mul_f32 v49, v234, v147
	s_wait_loadcnt 0x6
	v_dual_mul_f32 v25, v187, v155 :: v_dual_fma_f32 v13, v230, v142, -v13
	v_dual_fmac_f32 v45, v231, v142 :: v_dual_add_f32 v9, v9, v43
	v_dual_add_f32 v11, v11, v27 :: v_dual_mul_f32 v27, v189, v157
	v_fmac_f32_e32 v47, v233, v144
	s_delay_alu instid0(VALU_DEP_3) | instskip(NEXT) | instid1(VALU_DEP_3)
	v_dual_fma_f32 v15, v232, v144, -v15 :: v_dual_add_f32 v9, v9, v45
	v_add_f32_e32 v11, v11, v13
	v_dual_mul_f32 v51, v236, v149 :: v_dual_mul_f32 v53, v238, v151
	s_wait_loadcnt 0x5
	v_dual_mul_f32 v13, v175, v159 :: v_dual_fma_f32 v17, v234, v146, -v17
	v_dual_fmac_f32 v49, v235, v146 :: v_dual_add_f32 v9, v9, v47
	v_dual_add_f32 v11, v11, v15 :: v_dual_mov_b32 v106, v161
	v_fmac_f32_e32 v51, v237, v148
	s_delay_alu instid0(VALU_DEP_3) | instskip(NEXT) | instid1(VALU_DEP_3)
	v_dual_fma_f32 v15, v236, v148, -v19 :: v_dual_add_f32 v9, v9, v49
	v_add_f32_e32 v11, v11, v17
	v_dual_mul_f32 v55, v240, v153 :: v_dual_mul_f32 v57, v186, v155
	s_delay_alu instid0(VALU_DEP_3) | instskip(NEXT) | instid1(VALU_DEP_3)
	v_dual_fmac_f32 v53, v239, v150 :: v_dual_add_f32 v9, v9, v51
	v_dual_fma_f32 v17, v238, v150, -v21 :: v_dual_add_f32 v11, v11, v15
	s_wait_loadcnt 0x4
	v_dual_mov_b32 v110, v165 :: v_dual_fma_f32 v15, v240, v152, -v23
	v_fmac_f32_e32 v55, v241, v152
	v_dual_add_f32 v9, v9, v53 :: v_dual_fmac_f32 v57, v187, v154
	v_add_f32_e32 v11, v11, v17
	s_set_vgpr_msb 64                       ;  msbs: dst=1 src0=0 src1=0 src2=0
	v_dual_mul_f32 v1 /*v257*/, v188, v157 :: v_dual_mul_f32 v3 /*v259*/, v174, v159
	s_set_vgpr_msb 0                        ;  msbs: dst=0 src0=0 src1=0 src2=0
	v_dual_fma_f32 v17, v186, v154, -v25 :: v_dual_add_f32 v9, v9, v55
	v_add_f32_e32 v11, v11, v15
	s_set_vgpr_msb 64                       ;  msbs: dst=1 src0=0 src1=0 src2=0
	v_dual_fmac_f32 v1 /*v257*/, v189, v156 :: v_dual_fmac_f32 v3 /*v259*/, v175, v158
	v_dual_fma_f32 v0 /*v256*/, v188, v156, -v27 :: v_dual_fma_f32 v2 /*v258*/, v174, v158, -v13
	s_set_vgpr_msb 0                        ;  msbs: dst=0 src0=0 src1=0 src2=0
	v_pk_mul_f32 v[106:107], v[248:249], v[106:107] op_sel_hi:[1,0]
	v_add_f32_e32 v115, v9, v57
	s_wait_loadcnt 0x3
	v_dual_add_f32 v114, v11, v17 :: v_dual_mov_b32 v116, v169
	v_pk_mul_f32 v[108:109], v[178:179], v[162:163] op_sel:[1,1] op_sel_hi:[0,1]
	v_pk_fma_f32 v[118:119], v[176:177], v[160:161], v[106:107] op_sel_hi:[1,0,1]
	v_pk_fma_f32 v[106:107], v[176:177], v[160:161], v[106:107] neg_lo:[0,0,1] neg_hi:[0,0,1]
	s_set_vgpr_msb 4                        ;  msbs: dst=0 src0=0 src1=1 src2=0
	v_pk_add_f32 v[114:115], v[114:115], v[0:1] /*v[256:257]*/
	s_set_vgpr_msb 0                        ;  msbs: dst=0 src0=0 src1=0 src2=0
	v_pk_mul_f32 v[110:111], v[250:251], v[110:111] op_sel_hi:[1,0]
	v_pk_fma_f32 v[120:121], v[178:179], v[162:163], v[108:109] op_sel_hi:[1,0,1]
	v_mov_b32_e32 v107, v119
	v_pk_fma_f32 v[108:109], v[178:179], v[162:163], v[108:109] neg_lo:[0,0,1] neg_hi:[0,0,1]
	s_set_vgpr_msb 4                        ;  msbs: dst=0 src0=0 src1=1 src2=0
	v_pk_add_f32 v[114:115], v[114:115], v[2:3] /*v[258:259]*/
	s_set_vgpr_msb 0                        ;  msbs: dst=0 src0=0 src1=0 src2=0
	v_pk_mul_f32 v[112:113], v[182:183], v[166:167] op_sel:[1,1] op_sel_hi:[0,1]
	v_mov_b32_e32 v109, v121
	v_pk_fma_f32 v[120:121], v[180:181], v[164:165], v[110:111] op_sel_hi:[1,0,1]
	v_pk_fma_f32 v[110:111], v[180:181], v[164:165], v[110:111] neg_lo:[0,0,1] neg_hi:[0,0,1]
	v_pk_add_f32 v[106:107], v[114:115], v[106:107]
	v_pk_fma_f32 v[114:115], v[182:183], v[166:167], v[112:113] op_sel_hi:[1,0,1]
	v_pk_mul_f32 v[116:117], v[252:253], v[116:117] op_sel_hi:[1,0]
	v_mov_b32_e32 v111, v121
	v_pk_fma_f32 v[112:113], v[182:183], v[166:167], v[112:113] neg_lo:[0,0,1] neg_hi:[0,0,1]
	v_pk_add_f32 v[106:107], v[106:107], v[108:109]
	s_wait_loadcnt 0x2
	v_pk_mul_f32 v[118:119], v[190:191], v[170:171] op_sel:[1,1] op_sel_hi:[0,1]
	v_dual_mov_b32 v108, v173 :: v_dual_mov_b32 v113, v115
	v_pk_fma_f32 v[114:115], v[184:185], v[168:169], v[116:117] op_sel_hi:[1,0,1]
	v_pk_add_f32 v[106:107], v[106:107], v[110:111]
	v_pk_fma_f32 v[116:117], v[184:185], v[168:169], v[116:117] neg_lo:[0,0,1] neg_hi:[0,0,1]
	v_pk_fma_f32 v[110:111], v[190:191], v[170:171], v[118:119] op_sel_hi:[1,0,1]
	v_pk_mul_f32 v[108:109], v[254:255], v[108:109] op_sel_hi:[1,0]
	v_mov_b32_e32 v117, v115
	v_pk_add_f32 v[106:107], v[106:107], v[112:113]
	v_pk_fma_f32 v[112:113], v[190:191], v[170:171], v[118:119] neg_lo:[0,0,1] neg_hi:[0,0,1]
	v_mov_b32_e32 v113, v111
	v_pk_fma_f32 v[110:111], v[192:193], v[172:173], v[108:109] op_sel_hi:[1,0,1]
	s_wait_loadcnt_dscnt 0x100
	v_pk_mul_f32 v[114:115], v[246:247], v[242:243] op_sel:[1,1] op_sel_hi:[0,1]
	v_pk_add_f32 v[106:107], v[106:107], v[116:117]
	v_pk_fma_f32 v[108:109], v[192:193], v[172:173], v[108:109] neg_lo:[0,0,1] neg_hi:[0,0,1]
	v_mov_b32_e32 v109, v111
	s_delay_alu instid0(VALU_DEP_4) | instskip(NEXT) | instid1(VALU_DEP_4)
	v_pk_fma_f32 v[110:111], v[246:247], v[242:243], v[114:115] op_sel_hi:[1,0,1]
	v_pk_add_f32 v[106:107], v[106:107], v[112:113]
	v_pk_fma_f32 v[112:113], v[246:247], v[242:243], v[114:115] neg_lo:[0,0,1] neg_hi:[0,0,1]
	s_delay_alu instid0(VALU_DEP_3) | instskip(NEXT) | instid1(VALU_DEP_3)
	v_mov_b32_e32 v113, v111
	v_pk_add_f32 v[106:107], v[106:107], v[108:109]
	s_delay_alu instid0(VALU_DEP_1) | instskip(SKIP_1) | instid1(VALU_DEP_1)
	v_pk_add_f32 v[106:107], v[106:107], v[112:113]
	s_wait_loadcnt 0x0
	v_pk_add_f32 v[106:107], v[244:245], v[106:107] neg_lo:[0,1] neg_hi:[0,1]
	scratch_store_b64 off, v[106:107], off offset:128
	s_wait_xcnt 0x0
	v_cmpx_lt_u32_e32 15, v0
	s_cbranch_execz .LBB115_295
; %bb.294:
	scratch_load_b64 v[106:107], off, off offset:120
	v_mov_b64_e32 v[108:109], 0
	scratch_store_b64 off, v[108:109], off offset:120
	s_wait_loadcnt 0x0
	ds_store_b64 v1, v[106:107]
.LBB115_295:
	s_wait_xcnt 0x0
	s_or_b32 exec_lo, exec_lo, s0
	s_wait_storecnt_dscnt 0x0
	s_barrier_signal -1
	s_barrier_wait -1
	s_clause 0x12
	scratch_load_b128 v[106:109], off, off offset:128
	scratch_load_b128 v[110:113], off, off offset:144
	;; [unrolled: 1-line block ×18, first 2 shown]
	scratch_load_b64 v[250:251], off, off offset:120
	ds_load_b128 v[178:181], v7 offset:768
	ds_load_b128 v[182:185], v7 offset:784
	;; [unrolled: 1-line block ×18, first 2 shown]
	s_mov_b32 s0, exec_lo
	s_wait_dscnt 0x11
	v_dual_mov_b32 v252, v181 :: v_dual_mov_b32 v253, v180
	s_wait_dscnt 0x10
	v_dual_mov_b32 v254, v185 :: v_dual_mov_b32 v255, v184
	s_wait_dscnt 0xf
	s_set_vgpr_msb 64                       ;  msbs: dst=1 src0=0 src1=0 src2=0
	v_dual_mov_b32 v0 /*v256*/, v189 :: v_dual_mov_b32 v1 /*v257*/, v188
	s_wait_dscnt 0xe
	v_dual_mov_b32 v2 /*v258*/, v193 :: v_dual_mov_b32 v3 /*v259*/, v192
	s_wait_loadcnt_dscnt 0x120d
	s_set_vgpr_msb 0                        ;  msbs: dst=0 src0=0 src1=0 src2=0
	v_dual_mul_f32 v7, v194, v107 :: v_dual_mul_f32 v9, v196, v109
	v_dual_mul_f32 v59, v195, v107 :: v_dual_mul_f32 v61, v197, v109
	s_wait_loadcnt_dscnt 0x110c
	v_dual_mul_f32 v11, v198, v111 :: v_dual_mul_f32 v13, v200, v113
	s_delay_alu instid0(VALU_DEP_3) | instskip(SKIP_3) | instid1(VALU_DEP_3)
	v_dual_fmac_f32 v7, v195, v106 :: v_dual_fmac_f32 v9, v197, v108
	s_wait_loadcnt_dscnt 0xf0a
	v_dual_fma_f32 v59, v194, v106, -v59 :: v_dual_mul_f32 v71, v207, v119
	v_dual_mul_f32 v63, v199, v111 :: v_dual_mul_f32 v65, v201, v113
	v_dual_fma_f32 v61, v196, v108, -v61 :: v_dual_add_f32 v7, 0, v7
	s_delay_alu instid0(VALU_DEP_3) | instskip(SKIP_1) | instid1(VALU_DEP_3)
	v_dual_add_f32 v59, 0, v59 :: v_dual_mul_f32 v73, v209, v121
	v_dual_fmac_f32 v11, v199, v110 :: v_dual_fmac_f32 v13, v201, v112
	v_dual_fma_f32 v63, v198, v110, -v63 :: v_dual_add_f32 v7, v7, v9
	s_delay_alu instid0(VALU_DEP_3) | instskip(SKIP_2) | instid1(VALU_DEP_4)
	v_dual_add_f32 v9, v59, v61 :: v_dual_fma_f32 v61, v200, v112, -v65
	v_dual_mul_f32 v15, v202, v115 :: v_dual_mul_f32 v17, v204, v117
	v_dual_mul_f32 v67, v203, v115 :: v_dual_mul_f32 v69, v205, v117
	v_add_f32_e32 v7, v7, v11
	s_delay_alu instid0(VALU_DEP_3) | instskip(NEXT) | instid1(VALU_DEP_3)
	v_dual_add_f32 v9, v9, v63 :: v_dual_fmac_f32 v15, v203, v114
	v_fma_f32 v63, v202, v114, -v67
	v_dual_mul_f32 v19, v206, v119 :: v_dual_mul_f32 v21, v208, v121
	s_delay_alu instid0(VALU_DEP_4) | instskip(SKIP_2) | instid1(VALU_DEP_2)
	v_dual_add_f32 v7, v7, v13 :: v_dual_fmac_f32 v17, v205, v116
	s_wait_loadcnt_dscnt 0xd08
	v_dual_add_f32 v9, v9, v61 :: v_dual_mul_f32 v13, v215, v127
	v_dual_fma_f32 v61, v204, v116, -v69 :: v_dual_add_f32 v7, v7, v15
	v_mul_f32_e32 v15, v217, v129
	s_delay_alu instid0(VALU_DEP_3) | instskip(NEXT) | instid1(VALU_DEP_3)
	v_dual_add_f32 v9, v9, v63 :: v_dual_fmac_f32 v19, v207, v118
	v_dual_fma_f32 v63, v206, v118, -v71 :: v_dual_add_f32 v7, v7, v17
	v_fmac_f32_e32 v21, v209, v120
	s_wait_loadcnt_dscnt 0xc07
	s_delay_alu instid0(VALU_DEP_3) | instskip(SKIP_3) | instid1(VALU_DEP_3)
	v_dual_add_f32 v9, v9, v61 :: v_dual_mul_f32 v17, v219, v131
	v_dual_mul_f32 v23, v210, v123 :: v_dual_mul_f32 v25, v212, v125
	v_dual_mul_f32 v59, v211, v123 :: v_dual_mul_f32 v11, v213, v125
	v_dual_fma_f32 v61, v208, v120, -v73 :: v_dual_add_f32 v7, v7, v19
	v_dual_add_f32 v9, v9, v63 :: v_dual_fmac_f32 v23, v211, v122
	s_delay_alu instid0(VALU_DEP_3) | instskip(NEXT) | instid1(VALU_DEP_3)
	v_dual_mul_f32 v19, v221, v133 :: v_dual_fma_f32 v59, v210, v122, -v59
	v_dual_add_f32 v7, v7, v21 :: v_dual_fmac_f32 v25, v213, v124
	s_wait_loadcnt_dscnt 0xb06
	s_delay_alu instid0(VALU_DEP_3) | instskip(SKIP_1) | instid1(VALU_DEP_3)
	v_dual_add_f32 v9, v9, v61 :: v_dual_mul_f32 v21, v223, v135
	v_dual_mul_f32 v27, v214, v127 :: v_dual_mul_f32 v29, v216, v129
	v_dual_fma_f32 v11, v212, v124, -v11 :: v_dual_add_f32 v7, v7, v23
	s_delay_alu instid0(VALU_DEP_2) | instskip(SKIP_1) | instid1(VALU_DEP_2)
	v_dual_add_f32 v9, v9, v59 :: v_dual_fmac_f32 v27, v215, v126
	v_dual_mul_f32 v23, v225, v137 :: v_dual_fma_f32 v13, v214, v126, -v13
	v_dual_add_f32 v7, v7, v25 :: v_dual_add_f32 v9, v9, v11
	v_dual_mul_f32 v31, v218, v131 :: v_dual_mul_f32 v33, v220, v133
	s_wait_loadcnt_dscnt 0xa05
	v_dual_mul_f32 v11, v227, v139 :: v_dual_fmac_f32 v29, v217, v128
	s_delay_alu instid0(VALU_DEP_3) | instskip(NEXT) | instid1(VALU_DEP_3)
	v_dual_fma_f32 v15, v216, v128, -v15 :: v_dual_add_f32 v7, v7, v27
	v_dual_add_f32 v9, v9, v13 :: v_dual_fmac_f32 v31, v219, v130
	v_dual_mul_f32 v13, v229, v141 :: v_dual_fma_f32 v17, v218, v130, -v17
	s_delay_alu instid0(VALU_DEP_2) | instskip(SKIP_3) | instid1(VALU_DEP_3)
	v_dual_add_f32 v7, v7, v29 :: v_dual_add_f32 v9, v9, v15
	v_dual_mul_f32 v35, v222, v135 :: v_dual_mul_f32 v37, v224, v137
	s_wait_loadcnt_dscnt 0x904
	v_dual_mul_f32 v15, v231, v143 :: v_dual_fmac_f32 v33, v221, v132
	v_dual_fma_f32 v19, v220, v132, -v19 :: v_dual_add_f32 v7, v7, v31
	s_delay_alu instid0(VALU_DEP_3) | instskip(SKIP_1) | instid1(VALU_DEP_2)
	v_dual_add_f32 v9, v9, v17 :: v_dual_fmac_f32 v35, v223, v134
	v_dual_mul_f32 v17, v233, v145 :: v_dual_fma_f32 v21, v222, v134, -v21
	v_dual_add_f32 v7, v7, v33 :: v_dual_add_f32 v9, v9, v19
	v_dual_mul_f32 v39, v226, v139 :: v_dual_mul_f32 v41, v228, v141
	s_wait_loadcnt_dscnt 0x803
	v_dual_mul_f32 v19, v235, v147 :: v_dual_fmac_f32 v37, v225, v136
	s_delay_alu instid0(VALU_DEP_3) | instskip(NEXT) | instid1(VALU_DEP_3)
	v_dual_fma_f32 v23, v224, v136, -v23 :: v_dual_add_f32 v7, v7, v35
	v_dual_add_f32 v9, v9, v21 :: v_dual_fmac_f32 v39, v227, v138
	v_dual_mul_f32 v21, v237, v149 :: v_dual_fma_f32 v11, v226, v138, -v11
	s_delay_alu instid0(VALU_DEP_2) | instskip(SKIP_3) | instid1(VALU_DEP_3)
	v_dual_add_f32 v7, v7, v37 :: v_dual_add_f32 v9, v9, v23
	v_dual_mul_f32 v43, v230, v143 :: v_dual_mul_f32 v45, v232, v145
	s_wait_loadcnt_dscnt 0x702
	v_dual_mul_f32 v23, v239, v151 :: v_dual_fmac_f32 v41, v229, v140
	v_dual_fma_f32 v13, v228, v140, -v13 :: v_dual_add_f32 v7, v7, v39
	s_delay_alu instid0(VALU_DEP_3) | instskip(SKIP_1) | instid1(VALU_DEP_3)
	v_dual_add_f32 v9, v9, v11 :: v_dual_fmac_f32 v43, v231, v142
	v_dual_mul_f32 v11, v241, v153 :: v_dual_fma_f32 v15, v230, v142, -v15
	v_dual_add_f32 v7, v7, v41 :: v_dual_fmac_f32 v45, v233, v144
	s_wait_loadcnt_dscnt 0x601
	s_delay_alu instid0(VALU_DEP_3) | instskip(SKIP_1) | instid1(VALU_DEP_3)
	v_dual_add_f32 v9, v9, v13 :: v_dual_mul_f32 v13, v243, v155
	v_dual_mul_f32 v47, v234, v147 :: v_dual_mul_f32 v49, v236, v149
	v_dual_fma_f32 v17, v232, v144, -v17 :: v_dual_add_f32 v7, v7, v43
	s_delay_alu instid0(VALU_DEP_2) | instskip(SKIP_1) | instid1(VALU_DEP_3)
	v_dual_add_f32 v9, v9, v15 :: v_dual_fmac_f32 v47, v235, v146
	v_dual_mul_f32 v15, v245, v157 :: v_dual_fma_f32 v19, v234, v146, -v19
	v_dual_add_f32 v7, v7, v45 :: v_dual_fmac_f32 v49, v237, v148
	s_wait_loadcnt_dscnt 0x500
	s_delay_alu instid0(VALU_DEP_3) | instskip(SKIP_1) | instid1(VALU_DEP_3)
	v_dual_add_f32 v9, v9, v17 :: v_dual_mul_f32 v17, v247, v159
	v_dual_mul_f32 v51, v238, v151 :: v_dual_mul_f32 v53, v240, v153
	v_dual_fma_f32 v21, v236, v148, -v21 :: v_dual_add_f32 v7, v7, v47
	s_delay_alu instid0(VALU_DEP_2) | instskip(SKIP_1) | instid1(VALU_DEP_3)
	v_dual_add_f32 v9, v9, v19 :: v_dual_fmac_f32 v51, v239, v150
	v_dual_mul_f32 v19, v249, v161 :: v_dual_fma_f32 v23, v238, v150, -v23
	v_dual_add_f32 v7, v7, v49 :: v_dual_fmac_f32 v53, v241, v152
	s_delay_alu instid0(VALU_DEP_3) | instskip(SKIP_2) | instid1(VALU_DEP_3)
	v_dual_add_f32 v9, v9, v21 :: v_dual_fma_f32 v11, v240, v152, -v11
	v_dual_mul_f32 v55, v242, v155 :: v_dual_mul_f32 v57, v244, v157
	s_wait_loadcnt 0x4
	v_dual_add_f32 v7, v7, v51 :: v_dual_mov_b32 v108, v165
	s_delay_alu instid0(VALU_DEP_2) | instskip(NEXT) | instid1(VALU_DEP_2)
	v_dual_add_f32 v9, v9, v23 :: v_dual_fmac_f32 v55, v243, v154
	v_dual_fma_f32 v13, v242, v154, -v13 :: v_dual_add_f32 v7, v7, v53
	s_set_vgpr_msb 64                       ;  msbs: dst=1 src0=0 src1=0 src2=0
	v_dual_mul_f32 v5 /*v261*/, v246, v159 :: v_dual_mul_f32 v7 /*v263*/, v248, v161
	s_set_vgpr_msb 0                        ;  msbs: dst=0 src0=0 src1=0 src2=0
	v_dual_add_f32 v9, v9, v11 :: v_dual_fma_f32 v11, v244, v156, -v15
	v_dual_fmac_f32 v57, v245, v156 :: v_dual_add_f32 v7, v7, v55
	v_pk_mul_f32 v[106:107], v[178:179], v[162:163] op_sel:[1,1] op_sel_hi:[0,1]
	s_delay_alu instid0(VALU_DEP_3)
	v_add_f32_e32 v9, v9, v13
	s_wait_loadcnt 0x3
	v_mov_b32_e32 v112, v169
	s_set_vgpr_msb 64                       ;  msbs: dst=1 src0=0 src1=0 src2=0
	v_dual_fmac_f32 v5 /*v261*/, v247, v158 :: v_dual_fmac_f32 v7 /*v263*/, v249, v160
	v_dual_fma_f32 v4 /*v260*/, v246, v158, -v17 :: v_dual_fma_f32 v6 /*v262*/, v248, v160, -v19
	s_set_vgpr_msb 0                        ;  msbs: dst=0 src0=0 src1=0 src2=0
	v_dual_add_f32 v115, v7, v57 :: v_dual_add_f32 v114, v9, v11
	v_pk_fma_f32 v[116:117], v[178:179], v[162:163], v[106:107] op_sel_hi:[1,0,1]
	v_pk_mul_f32 v[108:109], v[252:253], v[108:109] op_sel_hi:[1,0]
	v_pk_fma_f32 v[106:107], v[178:179], v[162:163], v[106:107] neg_lo:[0,0,1] neg_hi:[0,0,1]
	v_pk_mul_f32 v[110:111], v[182:183], v[166:167] op_sel:[1,1] op_sel_hi:[0,1]
	s_set_vgpr_msb 4                        ;  msbs: dst=0 src0=0 src1=1 src2=0
	v_pk_add_f32 v[114:115], v[114:115], v[4:5] /*v[260:261]*/
	v_mov_b32_e32 v107, v117
	s_set_vgpr_msb 0                        ;  msbs: dst=0 src0=0 src1=0 src2=0
	v_pk_fma_f32 v[116:117], v[180:181], v[164:165], v[108:109] op_sel_hi:[1,0,1]
	v_pk_fma_f32 v[108:109], v[180:181], v[164:165], v[108:109] neg_lo:[0,0,1] neg_hi:[0,0,1]
	v_pk_fma_f32 v[120:121], v[182:183], v[166:167], v[110:111] op_sel_hi:[1,0,1]
	s_set_vgpr_msb 4                        ;  msbs: dst=0 src0=0 src1=1 src2=0
	v_pk_add_f32 v[114:115], v[114:115], v[6:7] /*v[262:263]*/
	s_set_vgpr_msb 0                        ;  msbs: dst=0 src0=0 src1=0 src2=0
	v_pk_mul_f32 v[112:113], v[254:255], v[112:113] op_sel_hi:[1,0]
	v_mov_b32_e32 v109, v117
	s_wait_loadcnt 0x2
	v_pk_mul_f32 v[118:119], v[186:187], v[170:171] op_sel:[1,1] op_sel_hi:[0,1]
	v_pk_fma_f32 v[110:111], v[182:183], v[166:167], v[110:111] neg_lo:[0,0,1] neg_hi:[0,0,1]
	v_pk_add_f32 v[106:107], v[114:115], v[106:107]
	v_dual_mov_b32 v114, v173 :: v_dual_mov_b32 v111, v121
	v_pk_fma_f32 v[116:117], v[184:185], v[168:169], v[112:113] op_sel_hi:[1,0,1]
	v_pk_fma_f32 v[112:113], v[184:185], v[168:169], v[112:113] neg_lo:[0,0,1] neg_hi:[0,0,1]
	s_delay_alu instid0(VALU_DEP_4)
	v_pk_add_f32 v[106:107], v[106:107], v[108:109]
	v_pk_fma_f32 v[108:109], v[186:187], v[170:171], v[118:119] op_sel_hi:[1,0,1]
	s_set_vgpr_msb 1                        ;  msbs: dst=0 src0=1 src1=0 src2=0
	v_pk_mul_f32 v[114:115], v[0:1] /*v[256:257]*/, v[114:115] op_sel_hi:[1,0]
	s_set_vgpr_msb 0                        ;  msbs: dst=0 src0=0 src1=0 src2=0
	v_mov_b32_e32 v113, v117
	v_pk_fma_f32 v[116:117], v[186:187], v[170:171], v[118:119] neg_lo:[0,0,1] neg_hi:[0,0,1]
	v_pk_add_f32 v[106:107], v[106:107], v[110:111]
	v_mov_b32_e32 v117, v109
	v_pk_fma_f32 v[108:109], v[188:189], v[172:173], v[114:115] op_sel_hi:[1,0,1]
	s_wait_loadcnt 0x1
	v_pk_mul_f32 v[110:111], v[190:191], v[174:175] op_sel:[1,1] op_sel_hi:[0,1]
	v_mov_b32_e32 v108, v177
	v_pk_add_f32 v[106:107], v[106:107], v[112:113]
	v_pk_fma_f32 v[114:115], v[188:189], v[172:173], v[114:115] neg_lo:[0,0,1] neg_hi:[0,0,1]
	v_mov_b32_e32 v115, v109
	v_pk_fma_f32 v[112:113], v[190:191], v[174:175], v[110:111] op_sel_hi:[1,0,1]
	s_set_vgpr_msb 1                        ;  msbs: dst=0 src0=1 src1=0 src2=0
	v_pk_mul_f32 v[108:109], v[2:3] /*v[258:259]*/, v[108:109] op_sel_hi:[1,0]
	s_set_vgpr_msb 0                        ;  msbs: dst=0 src0=0 src1=0 src2=0
	v_pk_add_f32 v[106:107], v[106:107], v[116:117]
	v_pk_fma_f32 v[110:111], v[190:191], v[174:175], v[110:111] neg_lo:[0,0,1] neg_hi:[0,0,1]
	v_mov_b32_e32 v111, v113
	v_pk_fma_f32 v[112:113], v[192:193], v[176:177], v[108:109] op_sel_hi:[1,0,1]
	s_delay_alu instid0(VALU_DEP_4) | instskip(SKIP_1) | instid1(VALU_DEP_3)
	v_pk_add_f32 v[106:107], v[106:107], v[114:115]
	v_pk_fma_f32 v[108:109], v[192:193], v[176:177], v[108:109] neg_lo:[0,0,1] neg_hi:[0,0,1]
	v_mov_b32_e32 v109, v113
	s_delay_alu instid0(VALU_DEP_3) | instskip(NEXT) | instid1(VALU_DEP_1)
	v_pk_add_f32 v[106:107], v[106:107], v[110:111]
	v_pk_add_f32 v[106:107], v[106:107], v[108:109]
	s_wait_loadcnt 0x0
	s_delay_alu instid0(VALU_DEP_1)
	v_pk_add_f32 v[106:107], v[250:251], v[106:107] neg_lo:[0,1] neg_hi:[0,1]
	scratch_store_b64 off, v[106:107], off offset:120
	s_wait_xcnt 0x0
	v_cmpx_lt_u32_e32 14, v0
	s_cbranch_execz .LBB115_297
; %bb.296:
	scratch_load_b64 v[106:107], off, off offset:112
	v_mov_b64_e32 v[108:109], 0
	scratch_store_b64 off, v[108:109], off offset:112
	s_wait_loadcnt 0x0
	ds_store_b64 v1, v[106:107]
.LBB115_297:
	s_wait_xcnt 0x0
	s_or_b32 exec_lo, exec_lo, s0
	s_wait_storecnt_dscnt 0x0
	s_barrier_signal -1
	s_barrier_wait -1
	s_clause 0x13
	scratch_load_b128 v[106:109], off, off offset:120
	scratch_load_b128 v[110:113], off, off offset:136
	;; [unrolled: 1-line block ×18, first 2 shown]
	scratch_load_b64 v[250:251], off, off offset:408
	scratch_load_b64 v[252:253], off, off offset:112
	v_mov_b32_e32 v7, 0
	ds_load_2addr_b64 v[178:181], v7 offset0:95 offset1:96
	ds_load_2addr_b64 v[182:185], v7 offset0:97 offset1:98
	;; [unrolled: 1-line block ×18, first 2 shown]
	ds_load_b64 v[254:255], v7 offset:824
	s_mov_b32 s0, exec_lo
	s_wait_dscnt 0x12
	s_set_vgpr_msb 64                       ;  msbs: dst=1 src0=0 src1=0 src2=0
	v_dual_mov_b32 v0 /*v256*/, v181 :: v_dual_mov_b32 v1 /*v257*/, v180
	s_wait_dscnt 0x11
	v_dual_mov_b32 v2 /*v258*/, v185 :: v_dual_mov_b32 v3 /*v259*/, v184
	s_wait_dscnt 0x10
	;; [unrolled: 2-line block ×3, first 2 shown]
	v_dual_mov_b32 v6 /*v262*/, v201 :: v_dual_mov_b32 v7 /*v263*/, v200
	s_wait_loadcnt 0x13
	s_set_vgpr_msb 0                        ;  msbs: dst=0 src0=0 src1=0 src2=0
	v_dual_mul_f32 v9, v190, v107 :: v_dual_mul_f32 v63, v191, v107
	v_dual_mul_f32 v65, v193, v109 :: v_dual_mul_f32 v11, v192, v109
	s_wait_loadcnt 0x12
	v_mul_f32_e32 v13, v194, v111
	s_wait_loadcnt_dscnt 0x100b
	v_dual_mul_f32 v75, v207, v119 :: v_dual_fma_f32 v63, v190, v106, -v63
	v_dual_fmac_f32 v9, v191, v106 :: v_dual_mul_f32 v77, v209, v121
	v_dual_mul_f32 v67, v195, v111 :: v_dual_mul_f32 v69, v197, v113
	v_dual_fmac_f32 v11, v193, v108 :: v_dual_fma_f32 v65, v192, v108, -v65
	s_delay_alu instid0(VALU_DEP_3) | instskip(SKIP_3) | instid1(VALU_DEP_3)
	v_dual_add_f32 v9, 0, v9 :: v_dual_add_f32 v63, 0, v63
	v_dual_mul_f32 v15, v196, v113 :: v_dual_mul_f32 v17, v202, v115
	s_wait_loadcnt_dscnt 0xf0a
	v_dual_mul_f32 v79, v211, v123 :: v_dual_fma_f32 v67, v194, v110, -v67
	v_dual_fmac_f32 v13, v195, v110 :: v_dual_add_f32 v9, v9, v11
	s_delay_alu instid0(VALU_DEP_3) | instskip(SKIP_2) | instid1(VALU_DEP_3)
	v_dual_add_f32 v11, v63, v65 :: v_dual_fmac_f32 v15, v197, v112
	v_dual_mul_f32 v71, v203, v115 :: v_dual_mul_f32 v73, v205, v117
	v_dual_mul_f32 v63, v213, v125 :: v_dual_fma_f32 v65, v196, v112, -v69
	v_dual_add_f32 v9, v9, v13 :: v_dual_add_f32 v11, v11, v67
	v_dual_mul_f32 v19, v204, v117 :: v_dual_mul_f32 v21, v206, v119
	s_wait_loadcnt_dscnt 0xe09
	v_dual_mul_f32 v13, v215, v127 :: v_dual_fma_f32 v67, v202, v114, -v71
	s_delay_alu instid0(VALU_DEP_3) | instskip(NEXT) | instid1(VALU_DEP_3)
	v_dual_fmac_f32 v17, v203, v114 :: v_dual_add_f32 v9, v9, v15
	v_dual_add_f32 v11, v11, v65 :: v_dual_fmac_f32 v19, v205, v116
	v_dual_mul_f32 v15, v217, v129 :: v_dual_fma_f32 v65, v204, v116, -v73
	s_delay_alu instid0(VALU_DEP_2) | instskip(SKIP_3) | instid1(VALU_DEP_3)
	v_dual_add_f32 v9, v9, v17 :: v_dual_add_f32 v11, v11, v67
	v_dual_mul_f32 v23, v208, v121 :: v_dual_mul_f32 v25, v210, v123
	s_wait_loadcnt_dscnt 0xd08
	v_dual_mul_f32 v17, v219, v131 :: v_dual_fma_f32 v67, v206, v118, -v75
	v_dual_fmac_f32 v21, v207, v118 :: v_dual_add_f32 v9, v9, v19
	s_delay_alu instid0(VALU_DEP_3) | instskip(SKIP_1) | instid1(VALU_DEP_2)
	v_dual_add_f32 v11, v11, v65 :: v_dual_fmac_f32 v23, v209, v120
	v_dual_mul_f32 v19, v221, v133 :: v_dual_fma_f32 v65, v208, v120, -v77
	v_dual_add_f32 v9, v9, v21 :: v_dual_add_f32 v11, v11, v67
	v_dual_mul_f32 v27, v212, v125 :: v_dual_mul_f32 v29, v214, v127
	s_wait_loadcnt_dscnt 0xc07
	v_dual_mul_f32 v21, v223, v135 :: v_dual_fma_f32 v67, v210, v122, -v79
	s_delay_alu instid0(VALU_DEP_3) | instskip(NEXT) | instid1(VALU_DEP_3)
	v_dual_fmac_f32 v25, v211, v122 :: v_dual_add_f32 v9, v9, v23
	v_dual_add_f32 v11, v11, v65 :: v_dual_fmac_f32 v27, v213, v124
	v_dual_mul_f32 v23, v225, v137 :: v_dual_fma_f32 v63, v212, v124, -v63
	s_delay_alu instid0(VALU_DEP_2) | instskip(SKIP_3) | instid1(VALU_DEP_3)
	v_dual_add_f32 v9, v9, v25 :: v_dual_add_f32 v11, v11, v67
	v_dual_mul_f32 v31, v216, v129 :: v_dual_mul_f32 v33, v218, v131
	s_wait_loadcnt_dscnt 0xb06
	v_dual_mul_f32 v25, v227, v139 :: v_dual_fma_f32 v13, v214, v126, -v13
	v_dual_fmac_f32 v29, v215, v126 :: v_dual_add_f32 v9, v9, v27
	v_dual_add_f32 v11, v11, v63 :: v_dual_mul_f32 v27, v229, v141
	v_fmac_f32_e32 v31, v217, v128
	s_delay_alu instid0(VALU_DEP_3) | instskip(NEXT) | instid1(VALU_DEP_3)
	v_dual_fma_f32 v15, v216, v128, -v15 :: v_dual_add_f32 v9, v9, v29
	v_add_f32_e32 v11, v11, v13
	v_dual_mul_f32 v35, v220, v133 :: v_dual_mul_f32 v37, v222, v135
	s_wait_loadcnt_dscnt 0xa05
	v_dual_mul_f32 v13, v231, v143 :: v_dual_fma_f32 v17, v218, v130, -v17
	v_dual_fmac_f32 v33, v219, v130 :: v_dual_add_f32 v9, v9, v31
	v_dual_add_f32 v11, v11, v15 :: v_dual_mul_f32 v15, v233, v145
	v_fmac_f32_e32 v35, v221, v132
	s_delay_alu instid0(VALU_DEP_3) | instskip(NEXT) | instid1(VALU_DEP_3)
	v_dual_fma_f32 v19, v220, v132, -v19 :: v_dual_add_f32 v9, v9, v33
	v_add_f32_e32 v11, v11, v17
	;; [unrolled: 9-line block ×6, first 2 shown]
	v_dual_mul_f32 v55, v240, v153 :: v_dual_mul_f32 v57, v242, v155
	s_wait_loadcnt 0x5
	v_dual_mul_f32 v17, v179, v163 :: v_dual_fma_f32 v21, v238, v150, -v21
	v_dual_fmac_f32 v53, v239, v150 :: v_dual_add_f32 v9, v9, v51
	v_dual_add_f32 v11, v11, v19 :: v_dual_mov_b32 v106, v165
	v_fmac_f32_e32 v55, v241, v152
	s_delay_alu instid0(VALU_DEP_3) | instskip(NEXT) | instid1(VALU_DEP_3)
	v_dual_fma_f32 v19, v240, v152, -v23 :: v_dual_add_f32 v9, v9, v53
	v_add_f32_e32 v11, v11, v21
	v_dual_mul_f32 v59, v244, v157 :: v_dual_mul_f32 v61, v246, v159
	s_delay_alu instid0(VALU_DEP_3) | instskip(NEXT) | instid1(VALU_DEP_3)
	v_dual_fmac_f32 v57, v243, v154 :: v_dual_add_f32 v9, v9, v55
	v_dual_fma_f32 v21, v242, v154, -v25 :: v_dual_add_f32 v11, v11, v19
	s_wait_loadcnt 0x4
	v_dual_mov_b32 v110, v169 :: v_dual_fma_f32 v19, v244, v156, -v27
	v_fmac_f32_e32 v59, v245, v156
	v_dual_add_f32 v9, v9, v57 :: v_dual_fmac_f32 v61, v247, v158
	v_add_f32_e32 v11, v11, v21
	s_set_vgpr_msb 64                       ;  msbs: dst=1 src0=0 src1=0 src2=0
	v_dual_mul_f32 v9 /*v265*/, v248, v161 :: v_dual_mul_f32 v11 /*v267*/, v178, v163
	s_set_vgpr_msb 0                        ;  msbs: dst=0 src0=0 src1=0 src2=0
	v_dual_fma_f32 v13, v246, v158, -v13 :: v_dual_add_f32 v9, v9, v59
	v_add_f32_e32 v11, v11, v19
	s_set_vgpr_msb 64                       ;  msbs: dst=1 src0=0 src1=0 src2=0
	v_dual_fmac_f32 v9 /*v265*/, v249, v160 :: v_dual_fmac_f32 v11 /*v267*/, v179, v162
	v_dual_fma_f32 v8 /*v264*/, v248, v160, -v15 :: v_dual_fma_f32 v10 /*v266*/, v178, v162, -v17
	s_set_vgpr_msb 1                        ;  msbs: dst=0 src0=1 src1=0 src2=0
	v_pk_mul_f32 v[106:107], v[0:1] /*v[256:257]*/, v[106:107] op_sel_hi:[1,0]
	s_set_vgpr_msb 0                        ;  msbs: dst=0 src0=0 src1=0 src2=0
	v_add_f32_e32 v115, v9, v61
	s_wait_loadcnt 0x3
	v_dual_add_f32 v114, v11, v13 :: v_dual_mov_b32 v116, v173
	v_pk_mul_f32 v[108:109], v[182:183], v[166:167] op_sel:[1,1] op_sel_hi:[0,1]
	v_pk_fma_f32 v[118:119], v[180:181], v[164:165], v[106:107] op_sel_hi:[1,0,1]
	v_pk_fma_f32 v[106:107], v[180:181], v[164:165], v[106:107] neg_lo:[0,0,1] neg_hi:[0,0,1]
	s_set_vgpr_msb 4                        ;  msbs: dst=0 src0=0 src1=1 src2=0
	v_pk_add_f32 v[114:115], v[114:115], v[8:9] /*v[264:265]*/
	s_set_vgpr_msb 1                        ;  msbs: dst=0 src0=1 src1=0 src2=0
	v_pk_mul_f32 v[110:111], v[2:3] /*v[258:259]*/, v[110:111] op_sel_hi:[1,0]
	s_set_vgpr_msb 0                        ;  msbs: dst=0 src0=0 src1=0 src2=0
	v_pk_fma_f32 v[120:121], v[182:183], v[166:167], v[108:109] op_sel_hi:[1,0,1]
	v_mov_b32_e32 v107, v119
	v_pk_fma_f32 v[108:109], v[182:183], v[166:167], v[108:109] neg_lo:[0,0,1] neg_hi:[0,0,1]
	s_set_vgpr_msb 4                        ;  msbs: dst=0 src0=0 src1=1 src2=0
	v_pk_add_f32 v[114:115], v[114:115], v[10:11] /*v[266:267]*/
	s_set_vgpr_msb 0                        ;  msbs: dst=0 src0=0 src1=0 src2=0
	v_pk_mul_f32 v[112:113], v[186:187], v[170:171] op_sel:[1,1] op_sel_hi:[0,1]
	v_mov_b32_e32 v109, v121
	v_pk_fma_f32 v[120:121], v[184:185], v[168:169], v[110:111] op_sel_hi:[1,0,1]
	v_pk_fma_f32 v[110:111], v[184:185], v[168:169], v[110:111] neg_lo:[0,0,1] neg_hi:[0,0,1]
	v_pk_add_f32 v[106:107], v[114:115], v[106:107]
	v_pk_fma_f32 v[114:115], v[186:187], v[170:171], v[112:113] op_sel_hi:[1,0,1]
	s_set_vgpr_msb 1                        ;  msbs: dst=0 src0=1 src1=0 src2=0
	v_pk_mul_f32 v[116:117], v[4:5] /*v[260:261]*/, v[116:117] op_sel_hi:[1,0]
	s_set_vgpr_msb 0                        ;  msbs: dst=0 src0=0 src1=0 src2=0
	v_mov_b32_e32 v111, v121
	v_pk_fma_f32 v[112:113], v[186:187], v[170:171], v[112:113] neg_lo:[0,0,1] neg_hi:[0,0,1]
	v_pk_add_f32 v[106:107], v[106:107], v[108:109]
	s_wait_loadcnt 0x2
	v_pk_mul_f32 v[118:119], v[198:199], v[174:175] op_sel:[1,1] op_sel_hi:[0,1]
	v_dual_mov_b32 v108, v177 :: v_dual_mov_b32 v113, v115
	v_pk_fma_f32 v[114:115], v[188:189], v[172:173], v[116:117] op_sel_hi:[1,0,1]
	v_pk_add_f32 v[106:107], v[106:107], v[110:111]
	v_pk_fma_f32 v[116:117], v[188:189], v[172:173], v[116:117] neg_lo:[0,0,1] neg_hi:[0,0,1]
	v_pk_fma_f32 v[110:111], v[198:199], v[174:175], v[118:119] op_sel_hi:[1,0,1]
	s_set_vgpr_msb 1                        ;  msbs: dst=0 src0=1 src1=0 src2=0
	v_pk_mul_f32 v[108:109], v[6:7] /*v[262:263]*/, v[108:109] op_sel_hi:[1,0]
	s_set_vgpr_msb 0                        ;  msbs: dst=0 src0=0 src1=0 src2=0
	v_mov_b32_e32 v117, v115
	v_pk_add_f32 v[106:107], v[106:107], v[112:113]
	v_pk_fma_f32 v[112:113], v[198:199], v[174:175], v[118:119] neg_lo:[0,0,1] neg_hi:[0,0,1]
	v_mov_b32_e32 v113, v111
	v_pk_fma_f32 v[110:111], v[200:201], v[176:177], v[108:109] op_sel_hi:[1,0,1]
	s_wait_loadcnt_dscnt 0x100
	v_pk_mul_f32 v[114:115], v[254:255], v[250:251] op_sel:[1,1] op_sel_hi:[0,1]
	v_pk_add_f32 v[106:107], v[106:107], v[116:117]
	v_pk_fma_f32 v[108:109], v[200:201], v[176:177], v[108:109] neg_lo:[0,0,1] neg_hi:[0,0,1]
	v_mov_b32_e32 v109, v111
	s_delay_alu instid0(VALU_DEP_4) | instskip(NEXT) | instid1(VALU_DEP_4)
	v_pk_fma_f32 v[110:111], v[254:255], v[250:251], v[114:115] op_sel_hi:[1,0,1]
	v_pk_add_f32 v[106:107], v[106:107], v[112:113]
	v_pk_fma_f32 v[112:113], v[254:255], v[250:251], v[114:115] neg_lo:[0,0,1] neg_hi:[0,0,1]
	s_delay_alu instid0(VALU_DEP_3) | instskip(NEXT) | instid1(VALU_DEP_3)
	v_mov_b32_e32 v113, v111
	v_pk_add_f32 v[106:107], v[106:107], v[108:109]
	s_delay_alu instid0(VALU_DEP_1) | instskip(SKIP_1) | instid1(VALU_DEP_1)
	v_pk_add_f32 v[106:107], v[106:107], v[112:113]
	s_wait_loadcnt 0x0
	v_pk_add_f32 v[106:107], v[252:253], v[106:107] neg_lo:[0,1] neg_hi:[0,1]
	scratch_store_b64 off, v[106:107], off offset:112
	s_wait_xcnt 0x0
	v_cmpx_lt_u32_e32 13, v0
	s_cbranch_execz .LBB115_299
; %bb.298:
	scratch_load_b64 v[106:107], off, off offset:104
	v_mov_b64_e32 v[108:109], 0
	scratch_store_b64 off, v[108:109], off offset:104
	s_wait_loadcnt 0x0
	ds_store_b64 v1, v[106:107]
.LBB115_299:
	s_wait_xcnt 0x0
	s_or_b32 exec_lo, exec_lo, s0
	s_wait_storecnt_dscnt 0x0
	s_barrier_signal -1
	s_barrier_wait -1
	s_clause 0x14
	scratch_load_b128 v[106:109], off, off offset:112
	scratch_load_b128 v[110:113], off, off offset:128
	;; [unrolled: 1-line block ×19, first 2 shown]
	s_set_vgpr_msb 64                       ;  msbs: dst=1 src0=0 src1=0 src2=0
	scratch_load_b64 v[2:3] /*v[258:259]*/, off, off offset:104
	s_set_vgpr_msb 0                        ;  msbs: dst=0 src0=0 src1=0 src2=0
	ds_load_b128 v[182:185], v7 offset:768
	ds_load_b128 v[186:189], v7 offset:784
	;; [unrolled: 1-line block ×19, first 2 shown]
	s_mov_b32 s0, exec_lo
	s_wait_dscnt 0x12
	s_set_vgpr_msb 64                       ;  msbs: dst=1 src0=0 src1=0 src2=0
	v_dual_mov_b32 v4 /*v260*/, v185 :: v_dual_mov_b32 v5 /*v261*/, v184
	s_wait_dscnt 0x11
	v_dual_mov_b32 v6 /*v262*/, v189 :: v_dual_mov_b32 v7 /*v263*/, v188
	s_wait_dscnt 0xf
	;; [unrolled: 2-line block ×3, first 2 shown]
	v_dual_mov_b32 v10 /*v266*/, v201 :: v_dual_mov_b32 v11 /*v267*/, v200
	s_wait_loadcnt_dscnt 0x130d
	s_set_vgpr_msb 0                        ;  msbs: dst=0 src0=0 src1=0 src2=0
	v_dual_mul_f32 v7, v202, v107 :: v_dual_mul_f32 v9, v204, v109
	s_wait_loadcnt_dscnt 0x120c
	v_dual_mul_f32 v63, v203, v107 :: v_dual_mul_f32 v69, v209, v113
	s_wait_loadcnt_dscnt 0x110b
	v_mul_f32_e32 v71, v211, v115
	v_dual_fmac_f32 v7, v203, v106 :: v_dual_fmac_f32 v9, v205, v108
	s_delay_alu instid0(VALU_DEP_3)
	v_fma_f32 v63, v202, v106, -v63
	v_dual_mul_f32 v11, v206, v111 :: v_dual_mul_f32 v13, v208, v113
	v_dual_mul_f32 v65, v205, v109 :: v_dual_mul_f32 v67, v207, v111
	s_wait_loadcnt_dscnt 0x600
	v_dual_mul_f32 v73, v213, v117 :: v_dual_mul_f32 v59, v254, v159
	s_set_vgpr_msb 1                        ;  msbs: dst=0 src0=1 src1=0 src2=0
	v_dual_mul_f32 v61, v0 /*v256*/, v161 :: v_dual_add_f32 v7, 0, v7
	s_set_vgpr_msb 0                        ;  msbs: dst=0 src0=0 src1=0 src2=0
	v_dual_mul_f32 v75, v215, v119 :: v_dual_fma_f32 v65, v204, v108, -v65
	v_dual_add_f32 v63, 0, v63 :: v_dual_mul_f32 v77, v217, v121
	v_dual_fmac_f32 v11, v207, v110 :: v_dual_fmac_f32 v13, v209, v112
	v_dual_fma_f32 v67, v206, v110, -v67 :: v_dual_add_f32 v7, v7, v9
	s_delay_alu instid0(VALU_DEP_3) | instskip(SKIP_1) | instid1(VALU_DEP_3)
	v_dual_add_f32 v9, v63, v65 :: v_dual_fma_f32 v65, v208, v112, -v69
	v_dual_mul_f32 v15, v210, v115 :: v_dual_mul_f32 v17, v212, v117
	v_add_f32_e32 v7, v7, v11
	s_delay_alu instid0(VALU_DEP_3) | instskip(NEXT) | instid1(VALU_DEP_3)
	v_dual_add_f32 v9, v9, v67 :: v_dual_fma_f32 v67, v210, v114, -v71
	v_dual_fmac_f32 v15, v211, v114 :: v_dual_mul_f32 v19, v214, v119
	v_mul_f32_e32 v21, v216, v121
	s_delay_alu instid0(VALU_DEP_4) | instskip(NEXT) | instid1(VALU_DEP_4)
	v_dual_add_f32 v7, v7, v13 :: v_dual_fmac_f32 v17, v213, v116
	v_dual_add_f32 v9, v9, v65 :: v_dual_mul_f32 v13, v223, v127
	s_delay_alu instid0(VALU_DEP_2) | instskip(SKIP_1) | instid1(VALU_DEP_3)
	v_dual_fma_f32 v65, v212, v116, -v73 :: v_dual_add_f32 v7, v7, v15
	v_mul_f32_e32 v15, v225, v129
	v_dual_add_f32 v9, v9, v67 :: v_dual_fmac_f32 v19, v215, v118
	s_delay_alu instid0(VALU_DEP_3) | instskip(SKIP_1) | instid1(VALU_DEP_3)
	v_dual_fma_f32 v67, v214, v118, -v75 :: v_dual_add_f32 v7, v7, v17
	v_fmac_f32_e32 v21, v217, v120
	v_dual_add_f32 v9, v9, v65 :: v_dual_mul_f32 v17, v227, v131
	v_dual_mul_f32 v23, v218, v123 :: v_dual_mul_f32 v25, v220, v125
	v_dual_mul_f32 v63, v219, v123 :: v_dual_mul_f32 v11, v221, v125
	v_dual_fma_f32 v65, v216, v120, -v77 :: v_dual_add_f32 v7, v7, v19
	s_delay_alu instid0(VALU_DEP_3) | instskip(NEXT) | instid1(VALU_DEP_3)
	v_dual_add_f32 v9, v9, v67 :: v_dual_fmac_f32 v23, v219, v122
	v_dual_mul_f32 v19, v229, v133 :: v_dual_fma_f32 v63, v218, v122, -v63
	s_delay_alu instid0(VALU_DEP_3) | instskip(NEXT) | instid1(VALU_DEP_3)
	v_dual_add_f32 v7, v7, v21 :: v_dual_fmac_f32 v25, v221, v124
	v_dual_add_f32 v9, v9, v65 :: v_dual_mul_f32 v21, v231, v135
	v_dual_mul_f32 v27, v222, v127 :: v_dual_mul_f32 v29, v224, v129
	s_delay_alu instid0(VALU_DEP_3) | instskip(NEXT) | instid1(VALU_DEP_2)
	v_dual_fma_f32 v11, v220, v124, -v11 :: v_dual_add_f32 v7, v7, v23
	v_dual_add_f32 v9, v9, v63 :: v_dual_fmac_f32 v27, v223, v126
	v_dual_mul_f32 v23, v233, v137 :: v_dual_fma_f32 v13, v222, v126, -v13
	s_delay_alu instid0(VALU_DEP_2) | instskip(SKIP_2) | instid1(VALU_DEP_3)
	v_dual_add_f32 v7, v7, v25 :: v_dual_add_f32 v9, v9, v11
	v_dual_mul_f32 v31, v226, v131 :: v_dual_mul_f32 v33, v228, v133
	v_dual_mul_f32 v11, v235, v139 :: v_dual_fmac_f32 v29, v225, v128
	v_dual_fma_f32 v15, v224, v128, -v15 :: v_dual_add_f32 v7, v7, v27
	s_delay_alu instid0(VALU_DEP_3) | instskip(SKIP_1) | instid1(VALU_DEP_2)
	v_dual_add_f32 v9, v9, v13 :: v_dual_fmac_f32 v31, v227, v130
	v_dual_mul_f32 v13, v237, v141 :: v_dual_fma_f32 v17, v226, v130, -v17
	v_dual_add_f32 v7, v7, v29 :: v_dual_add_f32 v9, v9, v15
	v_dual_mul_f32 v35, v230, v135 :: v_dual_mul_f32 v37, v232, v137
	v_dual_mul_f32 v15, v239, v143 :: v_dual_fmac_f32 v33, v229, v132
	s_delay_alu instid0(VALU_DEP_3) | instskip(NEXT) | instid1(VALU_DEP_3)
	v_dual_fma_f32 v19, v228, v132, -v19 :: v_dual_add_f32 v7, v7, v31
	v_dual_add_f32 v9, v9, v17 :: v_dual_fmac_f32 v35, v231, v134
	v_dual_mul_f32 v17, v241, v145 :: v_dual_fma_f32 v21, v230, v134, -v21
	s_delay_alu instid0(VALU_DEP_2) | instskip(SKIP_2) | instid1(VALU_DEP_3)
	v_dual_add_f32 v7, v7, v33 :: v_dual_add_f32 v9, v9, v19
	v_dual_mul_f32 v39, v234, v139 :: v_dual_mul_f32 v41, v236, v141
	v_dual_mul_f32 v19, v243, v147 :: v_dual_fmac_f32 v37, v233, v136
	v_dual_fma_f32 v23, v232, v136, -v23 :: v_dual_add_f32 v7, v7, v35
	s_delay_alu instid0(VALU_DEP_3) | instskip(SKIP_1) | instid1(VALU_DEP_2)
	v_dual_add_f32 v9, v9, v21 :: v_dual_fmac_f32 v39, v235, v138
	v_dual_mul_f32 v21, v245, v149 :: v_dual_fma_f32 v11, v234, v138, -v11
	v_dual_add_f32 v7, v7, v37 :: v_dual_add_f32 v9, v9, v23
	v_dual_mul_f32 v43, v238, v143 :: v_dual_mul_f32 v45, v240, v145
	v_dual_mul_f32 v23, v247, v151 :: v_dual_fmac_f32 v41, v237, v140
	s_delay_alu instid0(VALU_DEP_3) | instskip(NEXT) | instid1(VALU_DEP_3)
	v_dual_fma_f32 v13, v236, v140, -v13 :: v_dual_add_f32 v7, v7, v39
	v_dual_add_f32 v9, v9, v11 :: v_dual_fmac_f32 v43, v239, v142
	v_dual_mul_f32 v11, v249, v153 :: v_dual_fma_f32 v15, v238, v142, -v15
	s_delay_alu instid0(VALU_DEP_3) | instskip(NEXT) | instid1(VALU_DEP_3)
	v_dual_add_f32 v7, v7, v41 :: v_dual_fmac_f32 v45, v241, v144
	v_dual_add_f32 v9, v9, v13 :: v_dual_mul_f32 v13, v251, v155
	v_dual_mul_f32 v47, v242, v147 :: v_dual_mul_f32 v49, v244, v149
	s_delay_alu instid0(VALU_DEP_3) | instskip(NEXT) | instid1(VALU_DEP_2)
	v_dual_fma_f32 v17, v240, v144, -v17 :: v_dual_add_f32 v7, v7, v43
	v_dual_add_f32 v9, v9, v15 :: v_dual_fmac_f32 v47, v243, v146
	v_dual_mul_f32 v15, v253, v157 :: v_dual_fma_f32 v19, v242, v146, -v19
	s_delay_alu instid0(VALU_DEP_3) | instskip(NEXT) | instid1(VALU_DEP_3)
	v_dual_add_f32 v7, v7, v45 :: v_dual_fmac_f32 v49, v245, v148
	v_dual_add_f32 v9, v9, v17 :: v_dual_mul_f32 v17, v255, v159
	v_dual_mul_f32 v51, v246, v151 :: v_dual_mul_f32 v53, v248, v153
	s_delay_alu instid0(VALU_DEP_3) | instskip(NEXT) | instid1(VALU_DEP_2)
	v_dual_fma_f32 v21, v244, v148, -v21 :: v_dual_add_f32 v7, v7, v47
	v_dual_add_f32 v9, v9, v19 :: v_dual_fmac_f32 v51, v247, v150
	v_fma_f32 v23, v246, v150, -v23
	v_dual_mul_f32 v55, v250, v155 :: v_dual_mul_f32 v57, v252, v157
	s_delay_alu instid0(VALU_DEP_4) | instskip(SKIP_3) | instid1(VALU_DEP_3)
	v_add_f32_e32 v7, v7, v49
	s_wait_loadcnt 0x5
	v_dual_add_f32 v9, v9, v21 :: v_dual_mul_f32 v21, v191, v163
	v_dual_fmac_f32 v53, v249, v152 :: v_dual_fma_f32 v11, v248, v152, -v11
	v_add_f32_e32 v7, v7, v51
	s_delay_alu instid0(VALU_DEP_3) | instskip(SKIP_1) | instid1(VALU_DEP_2)
	v_dual_add_f32 v9, v9, v23 :: v_dual_fmac_f32 v55, v251, v154
	v_dual_mul_f32 v23, v193, v165 :: v_dual_fma_f32 v13, v250, v154, -v13
	v_dual_add_f32 v7, v7, v53 :: v_dual_add_f32 v9, v9, v11
	v_dual_fma_f32 v11, v252, v156, -v15 :: v_dual_fmac_f32 v57, v253, v156
	s_set_vgpr_msb 1                        ;  msbs: dst=0 src0=1 src1=0 src2=0
	v_dual_mul_f32 v19, v1 /*v257*/, v161 :: v_dual_fmac_f32 v61, v1 /*v257*/, v160
	s_set_vgpr_msb 0                        ;  msbs: dst=0 src0=0 src1=0 src2=0
	v_dual_add_f32 v7, v7, v55 :: v_dual_add_f32 v9, v9, v13
	s_wait_loadcnt 0x4
	v_dual_fmac_f32 v59, v255, v158 :: v_dual_mov_b32 v108, v169
	s_delay_alu instid0(VALU_DEP_2) | instskip(NEXT) | instid1(VALU_DEP_3)
	v_dual_fma_f32 v13, v254, v158, -v17 :: v_dual_add_f32 v7, v7, v57
	v_add_f32_e32 v9, v9, v11
	s_set_vgpr_msb 64                       ;  msbs: dst=1 src0=0 src1=0 src2=0
	v_dual_mul_f32 v13 /*v269*/, v190, v163 :: v_dual_mul_f32 v15 /*v271*/, v192, v165
	s_set_vgpr_msb 1                        ;  msbs: dst=0 src0=1 src1=0 src2=0
	v_fma_f32 v11, v0 /*v256*/, v160, -v19
	s_set_vgpr_msb 0                        ;  msbs: dst=0 src0=0 src1=0 src2=0
	v_dual_add_f32 v7, v7, v59 :: v_dual_add_f32 v9, v9, v13
	v_pk_mul_f32 v[106:107], v[182:183], v[166:167] op_sel:[1,1] op_sel_hi:[0,1]
	s_wait_loadcnt 0x3
	v_mov_b32_e32 v112, v173
	s_set_vgpr_msb 64                       ;  msbs: dst=1 src0=0 src1=0 src2=0
	v_dual_fmac_f32 v13 /*v269*/, v191, v162 :: v_dual_fmac_f32 v15 /*v271*/, v193, v164
	v_dual_fma_f32 v12 /*v268*/, v190, v162, -v21 :: v_dual_fma_f32 v14 /*v270*/, v192, v164, -v23
	s_set_vgpr_msb 0                        ;  msbs: dst=0 src0=0 src1=0 src2=0
	v_dual_add_f32 v115, v7, v61 :: v_dual_add_f32 v114, v9, v11
	v_pk_fma_f32 v[116:117], v[182:183], v[166:167], v[106:107] op_sel_hi:[1,0,1]
	s_set_vgpr_msb 1                        ;  msbs: dst=0 src0=1 src1=0 src2=0
	v_pk_mul_f32 v[108:109], v[4:5] /*v[260:261]*/, v[108:109] op_sel_hi:[1,0]
	s_set_vgpr_msb 0                        ;  msbs: dst=0 src0=0 src1=0 src2=0
	v_pk_fma_f32 v[106:107], v[182:183], v[166:167], v[106:107] neg_lo:[0,0,1] neg_hi:[0,0,1]
	v_pk_mul_f32 v[110:111], v[186:187], v[170:171] op_sel:[1,1] op_sel_hi:[0,1]
	s_set_vgpr_msb 4                        ;  msbs: dst=0 src0=0 src1=1 src2=0
	v_pk_add_f32 v[114:115], v[114:115], v[12:13] /*v[268:269]*/
	v_mov_b32_e32 v107, v117
	s_set_vgpr_msb 0                        ;  msbs: dst=0 src0=0 src1=0 src2=0
	v_pk_fma_f32 v[116:117], v[184:185], v[168:169], v[108:109] op_sel_hi:[1,0,1]
	v_pk_fma_f32 v[108:109], v[184:185], v[168:169], v[108:109] neg_lo:[0,0,1] neg_hi:[0,0,1]
	v_pk_fma_f32 v[120:121], v[186:187], v[170:171], v[110:111] op_sel_hi:[1,0,1]
	s_set_vgpr_msb 4                        ;  msbs: dst=0 src0=0 src1=1 src2=0
	v_pk_add_f32 v[114:115], v[114:115], v[14:15] /*v[270:271]*/
	s_set_vgpr_msb 1                        ;  msbs: dst=0 src0=1 src1=0 src2=0
	v_pk_mul_f32 v[112:113], v[6:7] /*v[262:263]*/, v[112:113] op_sel_hi:[1,0]
	s_set_vgpr_msb 0                        ;  msbs: dst=0 src0=0 src1=0 src2=0
	v_mov_b32_e32 v109, v117
	s_wait_loadcnt 0x2
	v_pk_mul_f32 v[118:119], v[194:195], v[174:175] op_sel:[1,1] op_sel_hi:[0,1]
	v_pk_fma_f32 v[110:111], v[186:187], v[170:171], v[110:111] neg_lo:[0,0,1] neg_hi:[0,0,1]
	v_pk_add_f32 v[106:107], v[114:115], v[106:107]
	v_dual_mov_b32 v114, v177 :: v_dual_mov_b32 v111, v121
	v_pk_fma_f32 v[116:117], v[188:189], v[172:173], v[112:113] op_sel_hi:[1,0,1]
	v_pk_fma_f32 v[112:113], v[188:189], v[172:173], v[112:113] neg_lo:[0,0,1] neg_hi:[0,0,1]
	s_delay_alu instid0(VALU_DEP_4)
	v_pk_add_f32 v[106:107], v[106:107], v[108:109]
	v_pk_fma_f32 v[108:109], v[194:195], v[174:175], v[118:119] op_sel_hi:[1,0,1]
	s_set_vgpr_msb 1                        ;  msbs: dst=0 src0=1 src1=0 src2=0
	v_pk_mul_f32 v[114:115], v[8:9] /*v[264:265]*/, v[114:115] op_sel_hi:[1,0]
	s_set_vgpr_msb 0                        ;  msbs: dst=0 src0=0 src1=0 src2=0
	v_mov_b32_e32 v113, v117
	v_pk_fma_f32 v[116:117], v[194:195], v[174:175], v[118:119] neg_lo:[0,0,1] neg_hi:[0,0,1]
	v_pk_add_f32 v[106:107], v[106:107], v[110:111]
	v_mov_b32_e32 v117, v109
	v_pk_fma_f32 v[108:109], v[196:197], v[176:177], v[114:115] op_sel_hi:[1,0,1]
	s_wait_loadcnt 0x1
	v_pk_mul_f32 v[110:111], v[198:199], v[178:179] op_sel:[1,1] op_sel_hi:[0,1]
	v_mov_b32_e32 v108, v181
	v_pk_add_f32 v[106:107], v[106:107], v[112:113]
	v_pk_fma_f32 v[114:115], v[196:197], v[176:177], v[114:115] neg_lo:[0,0,1] neg_hi:[0,0,1]
	v_mov_b32_e32 v115, v109
	v_pk_fma_f32 v[112:113], v[198:199], v[178:179], v[110:111] op_sel_hi:[1,0,1]
	s_set_vgpr_msb 1                        ;  msbs: dst=0 src0=1 src1=0 src2=0
	v_pk_mul_f32 v[108:109], v[10:11] /*v[266:267]*/, v[108:109] op_sel_hi:[1,0]
	s_set_vgpr_msb 0                        ;  msbs: dst=0 src0=0 src1=0 src2=0
	v_pk_add_f32 v[106:107], v[106:107], v[116:117]
	v_pk_fma_f32 v[110:111], v[198:199], v[178:179], v[110:111] neg_lo:[0,0,1] neg_hi:[0,0,1]
	v_mov_b32_e32 v111, v113
	v_pk_fma_f32 v[112:113], v[200:201], v[180:181], v[108:109] op_sel_hi:[1,0,1]
	s_delay_alu instid0(VALU_DEP_4) | instskip(SKIP_1) | instid1(VALU_DEP_3)
	v_pk_add_f32 v[106:107], v[106:107], v[114:115]
	v_pk_fma_f32 v[108:109], v[200:201], v[180:181], v[108:109] neg_lo:[0,0,1] neg_hi:[0,0,1]
	v_mov_b32_e32 v109, v113
	s_delay_alu instid0(VALU_DEP_3) | instskip(NEXT) | instid1(VALU_DEP_1)
	v_pk_add_f32 v[106:107], v[106:107], v[110:111]
	v_pk_add_f32 v[106:107], v[106:107], v[108:109]
	s_wait_loadcnt 0x0
	s_set_vgpr_msb 1                        ;  msbs: dst=0 src0=1 src1=0 src2=0
	s_delay_alu instid0(VALU_DEP_1)
	v_pk_add_f32 v[106:107], v[2:3] /*v[258:259]*/, v[106:107] neg_lo:[0,1] neg_hi:[0,1]
	scratch_store_b64 off, v[106:107], off offset:104
	s_wait_xcnt 0x0
	v_cmpx_lt_u32_e32 12, v0
	s_set_vgpr_msb 0                        ;  msbs: dst=0 src0=0 src1=0 src2=0
	s_cbranch_execz .LBB115_301
; %bb.300:
	scratch_load_b64 v[106:107], off, off offset:96
	v_mov_b64_e32 v[108:109], 0
	scratch_store_b64 off, v[108:109], off offset:96
	s_wait_loadcnt 0x0
	ds_store_b64 v1, v[106:107]
.LBB115_301:
	s_wait_xcnt 0x0
	s_or_b32 exec_lo, exec_lo, s0
	s_wait_storecnt_dscnt 0x0
	s_barrier_signal -1
	s_barrier_wait -1
	s_clause 0x15
	scratch_load_b128 v[106:109], off, off offset:104
	scratch_load_b128 v[110:113], off, off offset:120
	;; [unrolled: 1-line block ×19, first 2 shown]
	s_set_vgpr_msb 64                       ;  msbs: dst=1 src0=0 src1=0 src2=0
	scratch_load_b64 v[2:3] /*v[258:259]*/, off, off offset:408
	scratch_load_b64 v[4:5] /*v[260:261]*/, off, off offset:96
	s_set_vgpr_msb 0                        ;  msbs: dst=0 src0=0 src1=0 src2=0
	v_mov_b32_e32 v7, 0
	ds_load_2addr_b64 v[182:185], v7 offset0:95 offset1:96
	ds_load_2addr_b64 v[186:189], v7 offset0:93 offset1:94
	;; [unrolled: 1-line block ×19, first 2 shown]
	s_set_vgpr_msb 64                       ;  msbs: dst=1 src0=0 src1=0 src2=0
	ds_load_b64 v[6:7] /*v[262:263]*/, v7 offset:824
	s_wait_dscnt 0x13
	v_dual_mov_b32 v8 /*v264*/, v185 :: v_dual_mov_b32 v9 /*v265*/, v184
	s_wait_dscnt 0x11
	v_dual_mov_b32 v10 /*v266*/, v193 :: v_dual_mov_b32 v11 /*v267*/, v192
	;; [unrolled: 2-line block ×4, first 2 shown]
	s_mov_b32 s0, exec_lo
	s_wait_loadcnt 0x14
	s_set_vgpr_msb 0                        ;  msbs: dst=0 src0=0 src1=0 src2=0
	v_dual_mul_f32 v9, v198, v107 :: v_dual_mul_f32 v67, v199, v107
	s_wait_loadcnt 0x13
	v_mul_f32_e32 v73, v205, v113
	v_dual_mul_f32 v11, v200, v109 :: v_dual_mul_f32 v13, v202, v111
	s_wait_loadcnt_dscnt 0x120c
	v_dual_mul_f32 v75, v211, v115 :: v_dual_fma_f32 v67, v198, v106, -v67
	s_delay_alu instid0(VALU_DEP_2) | instskip(SKIP_1) | instid1(VALU_DEP_3)
	v_dual_fmac_f32 v9, v199, v106 :: v_dual_fmac_f32 v11, v201, v108
	v_dual_mul_f32 v71, v203, v111 :: v_dual_mul_f32 v77, v213, v117
	v_dual_mul_f32 v69, v201, v109 :: v_dual_add_f32 v67, 0, v67
	s_wait_loadcnt_dscnt 0x701
	s_set_vgpr_msb 1                        ;  msbs: dst=0 src0=1 src1=0 src2=0
	v_mul_f32_e32 v63, v0 /*v256*/, v161
	s_wait_loadcnt 0x6
	s_set_vgpr_msb 0                        ;  msbs: dst=0 src0=0 src1=0 src2=0
	v_dual_mul_f32 v65, v186, v163 :: v_dual_add_f32 v9, 0, v9
	v_fma_f32 v69, v200, v108, -v69
	v_dual_mul_f32 v15, v204, v113 :: v_dual_mul_f32 v17, v210, v115
	v_dual_mul_f32 v83, v219, v123 :: v_dual_fma_f32 v71, v202, v110, -v71
	s_delay_alu instid0(VALU_DEP_4) | instskip(NEXT) | instid1(VALU_DEP_3)
	v_dual_fmac_f32 v13, v203, v110 :: v_dual_add_f32 v9, v9, v11
	v_dual_add_f32 v11, v67, v69 :: v_dual_fmac_f32 v15, v205, v112
	v_dual_mul_f32 v67, v221, v125 :: v_dual_fma_f32 v69, v204, v112, -v73
	s_delay_alu instid0(VALU_DEP_2) | instskip(SKIP_2) | instid1(VALU_DEP_3)
	v_dual_add_f32 v9, v9, v13 :: v_dual_add_f32 v11, v11, v71
	v_dual_mul_f32 v19, v212, v117 :: v_dual_mul_f32 v21, v214, v119
	v_dual_mul_f32 v13, v223, v127 :: v_dual_fma_f32 v71, v210, v114, -v75
	v_dual_fmac_f32 v17, v211, v114 :: v_dual_add_f32 v9, v9, v15
	s_delay_alu instid0(VALU_DEP_3) | instskip(SKIP_2) | instid1(VALU_DEP_3)
	v_dual_add_f32 v11, v11, v69 :: v_dual_fmac_f32 v19, v213, v116
	v_dual_mul_f32 v79, v215, v119 :: v_dual_mul_f32 v81, v217, v121
	v_dual_mul_f32 v15, v225, v129 :: v_dual_fma_f32 v69, v212, v116, -v77
	v_dual_add_f32 v9, v9, v17 :: v_dual_add_f32 v11, v11, v71
	v_dual_mul_f32 v23, v216, v121 :: v_dual_mul_f32 v25, v218, v123
	s_delay_alu instid0(VALU_DEP_4) | instskip(NEXT) | instid1(VALU_DEP_3)
	v_dual_mul_f32 v17, v227, v131 :: v_dual_fma_f32 v71, v214, v118, -v79
	v_dual_fmac_f32 v21, v215, v118 :: v_dual_add_f32 v9, v9, v19
	s_delay_alu instid0(VALU_DEP_3) | instskip(SKIP_1) | instid1(VALU_DEP_2)
	v_dual_add_f32 v11, v11, v69 :: v_dual_fmac_f32 v23, v217, v120
	v_dual_mul_f32 v19, v229, v133 :: v_dual_fma_f32 v69, v216, v120, -v81
	v_dual_add_f32 v9, v9, v21 :: v_dual_add_f32 v11, v11, v71
	v_dual_mul_f32 v27, v220, v125 :: v_dual_mul_f32 v29, v222, v127
	v_dual_mul_f32 v21, v231, v135 :: v_dual_fma_f32 v71, v218, v122, -v83
	s_delay_alu instid0(VALU_DEP_3) | instskip(NEXT) | instid1(VALU_DEP_3)
	v_dual_fmac_f32 v25, v219, v122 :: v_dual_add_f32 v9, v9, v23
	v_dual_add_f32 v11, v11, v69 :: v_dual_fmac_f32 v27, v221, v124
	v_dual_mul_f32 v23, v233, v137 :: v_dual_fma_f32 v67, v220, v124, -v67
	s_delay_alu instid0(VALU_DEP_2) | instskip(SKIP_2) | instid1(VALU_DEP_3)
	v_dual_add_f32 v9, v9, v25 :: v_dual_add_f32 v11, v11, v71
	v_dual_mul_f32 v31, v224, v129 :: v_dual_mul_f32 v33, v226, v131
	v_dual_mul_f32 v25, v235, v139 :: v_dual_fma_f32 v13, v222, v126, -v13
	v_dual_fmac_f32 v29, v223, v126 :: v_dual_add_f32 v9, v9, v27
	s_delay_alu instid0(VALU_DEP_4) | instskip(NEXT) | instid1(VALU_DEP_4)
	v_dual_add_f32 v11, v11, v67 :: v_dual_mul_f32 v27, v237, v141
	v_fmac_f32_e32 v31, v225, v128
	s_delay_alu instid0(VALU_DEP_3) | instskip(NEXT) | instid1(VALU_DEP_3)
	v_dual_fma_f32 v15, v224, v128, -v15 :: v_dual_add_f32 v9, v9, v29
	v_add_f32_e32 v11, v11, v13
	v_dual_mul_f32 v35, v228, v133 :: v_dual_mul_f32 v37, v230, v135
	v_dual_mul_f32 v13, v239, v143 :: v_dual_fma_f32 v17, v226, v130, -v17
	s_delay_alu instid0(VALU_DEP_4) | instskip(NEXT) | instid1(VALU_DEP_4)
	v_dual_fmac_f32 v33, v227, v130 :: v_dual_add_f32 v9, v9, v31
	v_dual_add_f32 v11, v11, v15 :: v_dual_mul_f32 v15, v241, v145
	s_delay_alu instid0(VALU_DEP_4) | instskip(NEXT) | instid1(VALU_DEP_3)
	v_fmac_f32_e32 v35, v229, v132
	v_dual_fma_f32 v19, v228, v132, -v19 :: v_dual_add_f32 v9, v9, v33
	s_delay_alu instid0(VALU_DEP_3) | instskip(SKIP_2) | instid1(VALU_DEP_4)
	v_add_f32_e32 v11, v11, v17
	v_dual_mul_f32 v39, v232, v137 :: v_dual_mul_f32 v41, v234, v139
	v_dual_mul_f32 v17, v243, v147 :: v_dual_fma_f32 v21, v230, v134, -v21
	v_dual_fmac_f32 v37, v231, v134 :: v_dual_add_f32 v9, v9, v35
	s_delay_alu instid0(VALU_DEP_4) | instskip(NEXT) | instid1(VALU_DEP_4)
	v_dual_add_f32 v11, v11, v19 :: v_dual_mul_f32 v19, v245, v149
	v_fmac_f32_e32 v39, v233, v136
	s_delay_alu instid0(VALU_DEP_3) | instskip(NEXT) | instid1(VALU_DEP_3)
	v_dual_fma_f32 v23, v232, v136, -v23 :: v_dual_add_f32 v9, v9, v37
	v_add_f32_e32 v11, v11, v21
	v_dual_mul_f32 v43, v236, v141 :: v_dual_mul_f32 v45, v238, v143
	v_dual_mul_f32 v21, v247, v151 :: v_dual_fma_f32 v25, v234, v138, -v25
	s_delay_alu instid0(VALU_DEP_4) | instskip(NEXT) | instid1(VALU_DEP_4)
	v_dual_fmac_f32 v41, v235, v138 :: v_dual_add_f32 v9, v9, v39
	v_dual_add_f32 v11, v11, v23 :: v_dual_mul_f32 v23, v249, v153
	s_delay_alu instid0(VALU_DEP_4) | instskip(NEXT) | instid1(VALU_DEP_3)
	v_fmac_f32_e32 v43, v237, v140
	v_dual_fma_f32 v27, v236, v140, -v27 :: v_dual_add_f32 v9, v9, v41
	s_delay_alu instid0(VALU_DEP_3) | instskip(SKIP_2) | instid1(VALU_DEP_4)
	v_add_f32_e32 v11, v11, v25
	v_dual_mul_f32 v47, v240, v145 :: v_dual_mul_f32 v49, v242, v147
	v_dual_mul_f32 v25, v251, v155 :: v_dual_fma_f32 v13, v238, v142, -v13
	v_dual_fmac_f32 v45, v239, v142 :: v_dual_add_f32 v9, v9, v43
	s_delay_alu instid0(VALU_DEP_4) | instskip(NEXT) | instid1(VALU_DEP_4)
	v_dual_add_f32 v11, v11, v27 :: v_dual_mul_f32 v27, v253, v157
	v_fmac_f32_e32 v47, v241, v144
	s_delay_alu instid0(VALU_DEP_3) | instskip(NEXT) | instid1(VALU_DEP_3)
	v_dual_fma_f32 v15, v240, v144, -v15 :: v_dual_add_f32 v9, v9, v45
	v_add_f32_e32 v11, v11, v13
	v_dual_mul_f32 v51, v244, v149 :: v_dual_mul_f32 v53, v246, v151
	v_dual_mul_f32 v13, v255, v159 :: v_dual_fma_f32 v17, v242, v146, -v17
	s_delay_alu instid0(VALU_DEP_4) | instskip(NEXT) | instid1(VALU_DEP_3)
	v_dual_fmac_f32 v49, v243, v146 :: v_dual_add_f32 v9, v9, v47
	v_dual_add_f32 v11, v11, v15 :: v_dual_fmac_f32 v51, v245, v148
	v_fma_f32 v19, v244, v148, -v19
	v_dual_mul_f32 v55, v248, v153 :: v_dual_mul_f32 v57, v250, v155
	s_delay_alu instid0(VALU_DEP_4) | instskip(NEXT) | instid1(VALU_DEP_4)
	v_add_f32_e32 v9, v9, v49
	v_dual_add_f32 v11, v11, v17 :: v_dual_fma_f32 v21, v246, v150, -v21
	s_delay_alu instid0(VALU_DEP_3) | instskip(NEXT) | instid1(VALU_DEP_3)
	v_dual_fmac_f32 v53, v247, v150 :: v_dual_fmac_f32 v55, v249, v152
	v_add_f32_e32 v9, v9, v51
	s_delay_alu instid0(VALU_DEP_3) | instskip(SKIP_1) | instid1(VALU_DEP_3)
	v_dual_add_f32 v11, v11, v19 :: v_dual_fma_f32 v23, v248, v152, -v23
	v_dual_mul_f32 v59, v252, v157 :: v_dual_mul_f32 v61, v254, v159
	v_add_f32_e32 v9, v9, v53
	s_delay_alu instid0(VALU_DEP_3) | instskip(NEXT) | instid1(VALU_DEP_3)
	v_dual_add_f32 v11, v11, v21 :: v_dual_fma_f32 v25, v250, v154, -v25
	v_dual_fmac_f32 v57, v251, v154 :: v_dual_fmac_f32 v59, v253, v156
	s_delay_alu instid0(VALU_DEP_3) | instskip(NEXT) | instid1(VALU_DEP_3)
	v_add_f32_e32 v9, v9, v55
	v_dual_add_f32 v11, v11, v23 :: v_dual_fma_f32 v23, v252, v156, -v27
	s_set_vgpr_msb 1                        ;  msbs: dst=0 src0=1 src1=0 src2=0
	v_dual_mul_f32 v15, v1 /*v257*/, v161 :: v_dual_fmac_f32 v63, v1 /*v257*/, v160
	s_set_vgpr_msb 0                        ;  msbs: dst=0 src0=0 src1=0 src2=0
	v_add_f32_e32 v9, v9, v57
	v_dual_add_f32 v11, v11, v25 :: v_dual_fma_f32 v13, v254, v158, -v13
	v_fmac_f32_e32 v61, v255, v158
	v_dual_mul_f32 v17, v187, v163 :: v_dual_mul_f32 v19, v189, v165
	s_delay_alu instid0(VALU_DEP_4)
	v_add_f32_e32 v9, v9, v59
	s_wait_loadcnt 0x4
	v_dual_add_f32 v11, v11, v23 :: v_dual_mov_b32 v110, v173
	s_set_vgpr_msb 1                        ;  msbs: dst=0 src0=1 src1=0 src2=0
	v_fma_f32 v15, v0 /*v256*/, v160, -v15
	s_set_vgpr_msb 64                       ;  msbs: dst=1 src0=0 src1=0 src2=0
	v_dual_mul_f32 v17 /*v273*/, v188, v165 :: v_dual_mul_f32 v19 /*v275*/, v182, v167
	s_set_vgpr_msb 0                        ;  msbs: dst=0 src0=0 src1=0 src2=0
	v_dual_add_f32 v9, v9, v61 :: v_dual_fmac_f32 v65, v187, v162
	v_dual_add_f32 v11, v11, v13 :: v_dual_fma_f32 v13, v186, v162, -v17
	v_dual_mul_f32 v21, v183, v167 :: v_dual_mov_b32 v106, v169
	s_set_vgpr_msb 64                       ;  msbs: dst=1 src0=0 src1=0 src2=0
	v_dual_fmac_f32 v17 /*v273*/, v189, v164 :: v_dual_fmac_f32 v19 /*v275*/, v183, v166
	s_set_vgpr_msb 0                        ;  msbs: dst=0 src0=0 src1=0 src2=0
	v_add_f32_e32 v11, v11, v15
	v_add_f32_e32 v9, v9, v63
	s_set_vgpr_msb 64                       ;  msbs: dst=1 src0=0 src1=0 src2=0
	v_dual_fma_f32 v16 /*v272*/, v188, v164, -v19 :: v_dual_fma_f32 v18 /*v274*/, v182, v166, -v21
	s_set_vgpr_msb 1                        ;  msbs: dst=0 src0=1 src1=0 src2=0
	v_pk_mul_f32 v[106:107], v[8:9] /*v[264:265]*/, v[106:107] op_sel_hi:[1,0]
	s_set_vgpr_msb 0                        ;  msbs: dst=0 src0=0 src1=0 src2=0
	v_add_f32_e32 v114, v11, v13
	v_add_f32_e32 v115, v9, v65
	v_pk_mul_f32 v[108:109], v[190:191], v[170:171] op_sel:[1,1] op_sel_hi:[0,1]
	s_set_vgpr_msb 1                        ;  msbs: dst=0 src0=1 src1=0 src2=0
	v_pk_mul_f32 v[110:111], v[10:11] /*v[266:267]*/, v[110:111] op_sel_hi:[1,0]
	s_set_vgpr_msb 0                        ;  msbs: dst=0 src0=0 src1=0 src2=0
	v_pk_fma_f32 v[118:119], v[184:185], v[168:169], v[106:107] op_sel_hi:[1,0,1]
	v_pk_fma_f32 v[106:107], v[184:185], v[168:169], v[106:107] neg_lo:[0,0,1] neg_hi:[0,0,1]
	s_set_vgpr_msb 4                        ;  msbs: dst=0 src0=0 src1=1 src2=0
	v_pk_add_f32 v[114:115], v[114:115], v[16:17] /*v[272:273]*/
	s_wait_loadcnt 0x3
	v_mov_b32_e32 v116, v177
	s_set_vgpr_msb 0                        ;  msbs: dst=0 src0=0 src1=0 src2=0
	v_pk_fma_f32 v[120:121], v[190:191], v[170:171], v[108:109] op_sel_hi:[1,0,1]
	v_mov_b32_e32 v107, v119
	v_pk_fma_f32 v[108:109], v[190:191], v[170:171], v[108:109] neg_lo:[0,0,1] neg_hi:[0,0,1]
	s_set_vgpr_msb 4                        ;  msbs: dst=0 src0=0 src1=1 src2=0
	v_pk_add_f32 v[114:115], v[114:115], v[18:19] /*v[274:275]*/
	s_set_vgpr_msb 0                        ;  msbs: dst=0 src0=0 src1=0 src2=0
	v_pk_mul_f32 v[112:113], v[194:195], v[174:175] op_sel:[1,1] op_sel_hi:[0,1]
	v_mov_b32_e32 v109, v121
	v_pk_fma_f32 v[120:121], v[192:193], v[172:173], v[110:111] op_sel_hi:[1,0,1]
	v_pk_fma_f32 v[110:111], v[192:193], v[172:173], v[110:111] neg_lo:[0,0,1] neg_hi:[0,0,1]
	v_pk_add_f32 v[106:107], v[114:115], v[106:107]
	v_pk_fma_f32 v[114:115], v[194:195], v[174:175], v[112:113] op_sel_hi:[1,0,1]
	s_set_vgpr_msb 1                        ;  msbs: dst=0 src0=1 src1=0 src2=0
	v_pk_mul_f32 v[116:117], v[12:13] /*v[268:269]*/, v[116:117] op_sel_hi:[1,0]
	s_set_vgpr_msb 0                        ;  msbs: dst=0 src0=0 src1=0 src2=0
	v_mov_b32_e32 v111, v121
	v_pk_fma_f32 v[112:113], v[194:195], v[174:175], v[112:113] neg_lo:[0,0,1] neg_hi:[0,0,1]
	v_pk_add_f32 v[106:107], v[106:107], v[108:109]
	s_wait_loadcnt 0x2
	v_pk_mul_f32 v[118:119], v[206:207], v[178:179] op_sel:[1,1] op_sel_hi:[0,1]
	v_dual_mov_b32 v108, v181 :: v_dual_mov_b32 v113, v115
	v_pk_fma_f32 v[114:115], v[196:197], v[176:177], v[116:117] op_sel_hi:[1,0,1]
	v_pk_add_f32 v[106:107], v[106:107], v[110:111]
	v_pk_fma_f32 v[116:117], v[196:197], v[176:177], v[116:117] neg_lo:[0,0,1] neg_hi:[0,0,1]
	v_pk_fma_f32 v[110:111], v[206:207], v[178:179], v[118:119] op_sel_hi:[1,0,1]
	s_set_vgpr_msb 1                        ;  msbs: dst=0 src0=1 src1=0 src2=0
	v_pk_mul_f32 v[108:109], v[14:15] /*v[270:271]*/, v[108:109] op_sel_hi:[1,0]
	s_set_vgpr_msb 0                        ;  msbs: dst=0 src0=0 src1=0 src2=0
	v_mov_b32_e32 v117, v115
	v_pk_add_f32 v[106:107], v[106:107], v[112:113]
	v_pk_fma_f32 v[112:113], v[206:207], v[178:179], v[118:119] neg_lo:[0,0,1] neg_hi:[0,0,1]
	v_mov_b32_e32 v113, v111
	v_pk_fma_f32 v[110:111], v[208:209], v[180:181], v[108:109] op_sel_hi:[1,0,1]
	s_wait_loadcnt_dscnt 0x100
	s_set_vgpr_msb 5                        ;  msbs: dst=0 src0=1 src1=1 src2=0
	v_pk_mul_f32 v[114:115], v[6:7] /*v[262:263]*/, v[2:3] /*v[258:259]*/ op_sel:[1,1] op_sel_hi:[0,1]
	s_set_vgpr_msb 0                        ;  msbs: dst=0 src0=0 src1=0 src2=0
	v_pk_add_f32 v[106:107], v[106:107], v[116:117]
	v_pk_fma_f32 v[108:109], v[208:209], v[180:181], v[108:109] neg_lo:[0,0,1] neg_hi:[0,0,1]
	v_mov_b32_e32 v109, v111
	s_set_vgpr_msb 5                        ;  msbs: dst=0 src0=1 src1=1 src2=0
	v_pk_fma_f32 v[110:111], v[6:7] /*v[262:263]*/, v[2:3] /*v[258:259]*/, v[114:115] op_sel_hi:[1,0,1]
	s_set_vgpr_msb 0                        ;  msbs: dst=0 src0=0 src1=0 src2=0
	v_pk_add_f32 v[106:107], v[106:107], v[112:113]
	s_set_vgpr_msb 5                        ;  msbs: dst=0 src0=1 src1=1 src2=0
	v_pk_fma_f32 v[112:113], v[6:7] /*v[262:263]*/, v[2:3] /*v[258:259]*/, v[114:115] neg_lo:[0,0,1] neg_hi:[0,0,1]
	s_set_vgpr_msb 0                        ;  msbs: dst=0 src0=0 src1=0 src2=0
	v_mov_b32_e32 v113, v111
	v_pk_add_f32 v[106:107], v[106:107], v[108:109]
	s_delay_alu instid0(VALU_DEP_1) | instskip(SKIP_2) | instid1(VALU_DEP_1)
	v_pk_add_f32 v[106:107], v[106:107], v[112:113]
	s_wait_loadcnt 0x0
	s_set_vgpr_msb 1                        ;  msbs: dst=0 src0=1 src1=0 src2=0
	v_pk_add_f32 v[106:107], v[4:5] /*v[260:261]*/, v[106:107] neg_lo:[0,1] neg_hi:[0,1]
	scratch_store_b64 off, v[106:107], off offset:96
	s_wait_xcnt 0x0
	v_cmpx_lt_u32_e32 11, v0
	s_set_vgpr_msb 0                        ;  msbs: dst=0 src0=0 src1=0 src2=0
	s_cbranch_execz .LBB115_303
; %bb.302:
	scratch_load_b64 v[106:107], off, off offset:88
	v_mov_b64_e32 v[108:109], 0
	scratch_store_b64 off, v[108:109], off offset:88
	s_wait_loadcnt 0x0
	ds_store_b64 v1, v[106:107]
.LBB115_303:
	s_wait_xcnt 0x0
	s_or_b32 exec_lo, exec_lo, s0
	s_wait_storecnt_dscnt 0x0
	s_barrier_signal -1
	s_barrier_wait -1
	ds_load_b128 v[106:109], v7 offset:512
	ds_load_b128 v[110:113], v7 offset:528
	;; [unrolled: 1-line block ×4, first 2 shown]
	s_clause 0xf
	scratch_load_b128 v[122:125], off, off offset:96
	scratch_load_b128 v[126:129], off, off offset:112
	;; [unrolled: 1-line block ×16, first 2 shown]
	ds_load_b128 v[218:221], v7 offset:736
	ds_load_b128 v[226:229], v7 offset:752
	;; [unrolled: 1-line block ×12, first 2 shown]
	s_clause 0x3
	scratch_load_b128 v[234:237], off, off offset:352
	scratch_load_b128 v[238:241], off, off offset:368
	;; [unrolled: 1-line block ×4, first 2 shown]
	s_mov_b32 s0, exec_lo
	s_wait_loadcnt_dscnt 0x130f
	v_dual_mul_f32 v9, v106, v123 :: v_dual_mul_f32 v11, v108, v125
	s_delay_alu instid0(VALU_DEP_1) | instskip(SKIP_2) | instid1(VALU_DEP_1)
	v_dual_fmac_f32 v9, v107, v122 :: v_dual_fmac_f32 v11, v109, v124
	s_wait_loadcnt_dscnt 0xe0a
	v_dual_mul_f32 v253, v226, v231 :: v_dual_mul_f32 v255, v228, v233
	v_dual_add_f32 v9, 0, v9 :: v_dual_fmac_f32 v253, v227, v230
	s_delay_alu instid0(VALU_DEP_2) | instskip(NEXT) | instid1(VALU_DEP_2)
	v_fmac_f32_e32 v255, v229, v232
	v_add_f32_e32 v9, v9, v11
	v_mul_f32_e32 v11, v110, v127
	s_delay_alu instid0(VALU_DEP_1) | instskip(NEXT) | instid1(VALU_DEP_1)
	v_fmac_f32_e32 v11, v111, v126
	v_dual_add_f32 v9, v9, v11 :: v_dual_mul_f32 v11, v112, v129
	s_delay_alu instid0(VALU_DEP_1) | instskip(NEXT) | instid1(VALU_DEP_1)
	v_fmac_f32_e32 v11, v113, v128
	v_add_f32_e32 v9, v9, v11
	v_mul_f32_e32 v11, v114, v131
	s_delay_alu instid0(VALU_DEP_1) | instskip(NEXT) | instid1(VALU_DEP_1)
	v_fmac_f32_e32 v11, v115, v130
	v_dual_add_f32 v9, v9, v11 :: v_dual_mul_f32 v11, v116, v133
	s_delay_alu instid0(VALU_DEP_1) | instskip(NEXT) | instid1(VALU_DEP_1)
	;; [unrolled: 7-line block ×3, first 2 shown]
	v_fmac_f32_e32 v11, v121, v136
	v_add_f32_e32 v9, v9, v11
	s_wait_loadcnt_dscnt 0xd09
	v_mul_f32_e32 v11, v138, v143
	s_delay_alu instid0(VALU_DEP_1) | instskip(NEXT) | instid1(VALU_DEP_1)
	v_fmac_f32_e32 v11, v139, v142
	v_dual_add_f32 v9, v9, v11 :: v_dual_mul_f32 v11, v140, v145
	s_delay_alu instid0(VALU_DEP_1) | instskip(NEXT) | instid1(VALU_DEP_1)
	v_fmac_f32_e32 v11, v141, v144
	v_add_f32_e32 v9, v9, v11
	s_wait_loadcnt_dscnt 0xc08
	v_mul_f32_e32 v11, v146, v151
	s_delay_alu instid0(VALU_DEP_1) | instskip(NEXT) | instid1(VALU_DEP_1)
	v_fmac_f32_e32 v11, v147, v150
	v_dual_add_f32 v9, v9, v11 :: v_dual_mul_f32 v11, v148, v153
	s_delay_alu instid0(VALU_DEP_1) | instskip(NEXT) | instid1(VALU_DEP_1)
	;; [unrolled: 8-line block ×10, first 2 shown]
	v_fmac_f32_e32 v11, v213, v216
	v_add_f32_e32 v9, v9, v11
	v_mul_f32_e32 v11, v218, v223
	s_delay_alu instid0(VALU_DEP_1) | instskip(NEXT) | instid1(VALU_DEP_1)
	v_fmac_f32_e32 v11, v219, v222
	v_dual_add_f32 v9, v9, v11 :: v_dual_mul_f32 v11, v220, v225
	s_delay_alu instid0(VALU_DEP_1) | instskip(NEXT) | instid1(VALU_DEP_1)
	v_fmac_f32_e32 v11, v221, v224
	v_add_f32_e32 v251, v9, v11
	v_dual_mul_f32 v9, v107, v123 :: v_dual_mul_f32 v11, v109, v125
	s_delay_alu instid0(VALU_DEP_1) | instskip(NEXT) | instid1(VALU_DEP_1)
	v_dual_fma_f32 v9, v106, v122, -v9 :: v_dual_fma_f32 v11, v108, v124, -v11
	v_add_f32_e32 v9, 0, v9
	s_delay_alu instid0(VALU_DEP_1) | instskip(SKIP_1) | instid1(VALU_DEP_1)
	v_add_f32_e32 v9, v9, v11
	v_mul_f32_e32 v11, v111, v127
	v_fma_f32 v11, v110, v126, -v11
	s_delay_alu instid0(VALU_DEP_1) | instskip(SKIP_1) | instid1(VALU_DEP_1)
	v_add_f32_e32 v9, v9, v11
	v_mul_f32_e32 v11, v113, v129
	v_fma_f32 v11, v112, v128, -v11
	;; [unrolled: 4-line block ×6, first 2 shown]
	ds_load_b128 v[106:109], v7 offset:768
	ds_load_b128 v[110:113], v7 offset:784
	;; [unrolled: 1-line block ×4, first 2 shown]
	v_add_f32_e32 v9, v9, v11
	v_mul_f32_e32 v11, v139, v143
	s_delay_alu instid0(VALU_DEP_1) | instskip(NEXT) | instid1(VALU_DEP_1)
	v_fma_f32 v11, v138, v142, -v11
	v_add_f32_e32 v9, v9, v11
	v_mul_f32_e32 v11, v141, v145
	s_wait_loadcnt_dscnt 0x303
	v_pk_mul_f32 v[124:125], v[106:107], v[234:235] op_sel:[1,1] op_sel_hi:[0,1]
	s_delay_alu instid0(VALU_DEP_2) | instskip(NEXT) | instid1(VALU_DEP_2)
	v_fma_f32 v11, v140, v144, -v11
	v_pk_fma_f32 v[126:127], v[106:107], v[234:235], v[124:125] neg_lo:[0,0,1] neg_hi:[0,0,1]
	v_pk_fma_f32 v[106:107], v[106:107], v[234:235], v[124:125] op_sel_hi:[1,0,1]
	v_mov_b32_e32 v124, v237
	s_delay_alu instid0(VALU_DEP_4) | instskip(SKIP_1) | instid1(VALU_DEP_1)
	v_add_f32_e32 v9, v9, v11
	v_mul_f32_e32 v11, v147, v151
	v_dual_mov_b32 v127, v107 :: v_dual_fma_f32 v11, v146, v150, -v11
	s_delay_alu instid0(VALU_DEP_1) | instskip(SKIP_1) | instid1(VALU_DEP_1)
	v_add_f32_e32 v9, v9, v11
	v_mul_f32_e32 v11, v149, v153
	v_fma_f32 v11, v148, v152, -v11
	s_delay_alu instid0(VALU_DEP_1) | instskip(SKIP_1) | instid1(VALU_DEP_1)
	v_add_f32_e32 v9, v9, v11
	v_mul_f32_e32 v11, v155, v159
	v_fma_f32 v11, v154, v158, -v11
	;; [unrolled: 4-line block ×19, first 2 shown]
	s_delay_alu instid0(VALU_DEP_1) | instskip(SKIP_1) | instid1(VALU_DEP_1)
	v_add_f32_e32 v250, v9, v11
	v_mul_f32_e32 v9, v227, v231
	v_dual_fma_f32 v252, v226, v230, -v9 :: v_dual_mul_f32 v9, v229, v233
	s_delay_alu instid0(VALU_DEP_1) | instskip(NEXT) | instid1(VALU_DEP_2)
	v_pk_add_f32 v[122:123], v[250:251], v[252:253]
	v_fma_f32 v254, v228, v232, -v9
	s_delay_alu instid0(VALU_DEP_1) | instskip(NEXT) | instid1(VALU_DEP_1)
	v_pk_add_f32 v[122:123], v[122:123], v[254:255]
	v_pk_add_f32 v[106:107], v[122:123], v[126:127]
	v_dual_mov_b32 v122, v109 :: v_dual_mov_b32 v123, v108
	s_delay_alu instid0(VALU_DEP_1) | instskip(NEXT) | instid1(VALU_DEP_1)
	v_pk_mul_f32 v[122:123], v[122:123], v[124:125] op_sel_hi:[1,0]
	v_pk_fma_f32 v[124:125], v[108:109], v[236:237], v[122:123] neg_lo:[0,0,1] neg_hi:[0,0,1]
	v_pk_fma_f32 v[108:109], v[108:109], v[236:237], v[122:123] op_sel_hi:[1,0,1]
	s_delay_alu instid0(VALU_DEP_1) | instskip(SKIP_2) | instid1(VALU_DEP_2)
	v_mov_b32_e32 v125, v109
	s_wait_loadcnt_dscnt 0x202
	v_pk_mul_f32 v[108:109], v[110:111], v[238:239] op_sel:[1,1] op_sel_hi:[0,1]
	v_pk_add_f32 v[106:107], v[106:107], v[124:125]
	s_delay_alu instid0(VALU_DEP_2) | instskip(SKIP_2) | instid1(VALU_DEP_2)
	v_pk_fma_f32 v[122:123], v[110:111], v[238:239], v[108:109] neg_lo:[0,0,1] neg_hi:[0,0,1]
	v_pk_fma_f32 v[108:109], v[110:111], v[238:239], v[108:109] op_sel_hi:[1,0,1]
	v_dual_mov_b32 v108, v113 :: v_dual_mov_b32 v110, v241
	v_dual_mov_b32 v123, v109 :: v_dual_mov_b32 v109, v112
	s_delay_alu instid0(VALU_DEP_1) | instskip(NEXT) | instid1(VALU_DEP_2)
	v_pk_add_f32 v[106:107], v[106:107], v[122:123]
	v_pk_mul_f32 v[108:109], v[108:109], v[110:111] op_sel_hi:[1,0]
	s_delay_alu instid0(VALU_DEP_1) | instskip(SKIP_1) | instid1(VALU_DEP_1)
	v_pk_fma_f32 v[110:111], v[112:113], v[240:241], v[108:109] neg_lo:[0,0,1] neg_hi:[0,0,1]
	v_pk_fma_f32 v[108:109], v[112:113], v[240:241], v[108:109] op_sel_hi:[1,0,1]
	v_mov_b32_e32 v111, v109
	s_wait_loadcnt_dscnt 0x101
	v_pk_mul_f32 v[108:109], v[114:115], v[242:243] op_sel:[1,1] op_sel_hi:[0,1]
	s_delay_alu instid0(VALU_DEP_2) | instskip(NEXT) | instid1(VALU_DEP_2)
	v_pk_add_f32 v[106:107], v[106:107], v[110:111]
	v_pk_fma_f32 v[110:111], v[114:115], v[242:243], v[108:109] neg_lo:[0,0,1] neg_hi:[0,0,1]
	v_pk_fma_f32 v[108:109], v[114:115], v[242:243], v[108:109] op_sel_hi:[1,0,1]
	s_delay_alu instid0(VALU_DEP_1) | instskip(SKIP_1) | instid1(VALU_DEP_2)
	v_dual_mov_b32 v108, v117 :: v_dual_mov_b32 v111, v109
	v_mov_b32_e32 v109, v116
	v_pk_add_f32 v[106:107], v[106:107], v[110:111]
	v_mov_b32_e32 v110, v245
	s_delay_alu instid0(VALU_DEP_1) | instskip(NEXT) | instid1(VALU_DEP_1)
	v_pk_mul_f32 v[108:109], v[108:109], v[110:111] op_sel_hi:[1,0]
	v_pk_fma_f32 v[110:111], v[116:117], v[244:245], v[108:109] neg_lo:[0,0,1] neg_hi:[0,0,1]
	v_pk_fma_f32 v[108:109], v[116:117], v[244:245], v[108:109] op_sel_hi:[1,0,1]
	s_delay_alu instid0(VALU_DEP_1) | instskip(SKIP_2) | instid1(VALU_DEP_2)
	v_mov_b32_e32 v111, v109
	s_wait_loadcnt_dscnt 0x0
	v_pk_mul_f32 v[108:109], v[118:119], v[246:247] op_sel:[1,1] op_sel_hi:[0,1]
	v_pk_add_f32 v[106:107], v[106:107], v[110:111]
	s_delay_alu instid0(VALU_DEP_2) | instskip(SKIP_1) | instid1(VALU_DEP_1)
	v_pk_fma_f32 v[110:111], v[118:119], v[246:247], v[108:109] neg_lo:[0,0,1] neg_hi:[0,0,1]
	v_pk_fma_f32 v[108:109], v[118:119], v[246:247], v[108:109] op_sel_hi:[1,0,1]
	v_dual_mov_b32 v108, v121 :: v_dual_mov_b32 v111, v109
	v_mov_b32_e32 v109, v120
	s_delay_alu instid0(VALU_DEP_2) | instskip(SKIP_1) | instid1(VALU_DEP_1)
	v_pk_add_f32 v[106:107], v[106:107], v[110:111]
	v_mov_b32_e32 v110, v249
	v_pk_mul_f32 v[108:109], v[108:109], v[110:111] op_sel_hi:[1,0]
	s_delay_alu instid0(VALU_DEP_1) | instskip(SKIP_1) | instid1(VALU_DEP_1)
	v_pk_fma_f32 v[110:111], v[120:121], v[248:249], v[108:109] neg_lo:[0,0,1] neg_hi:[0,0,1]
	v_pk_fma_f32 v[108:109], v[120:121], v[248:249], v[108:109] op_sel_hi:[1,0,1]
	v_mov_b32_e32 v111, v109
	scratch_load_b64 v[108:109], off, off offset:88
	v_pk_add_f32 v[106:107], v[106:107], v[110:111]
	s_wait_loadcnt 0x0
	s_delay_alu instid0(VALU_DEP_1)
	v_pk_add_f32 v[106:107], v[108:109], v[106:107] neg_lo:[0,1] neg_hi:[0,1]
	scratch_store_b64 off, v[106:107], off offset:88
	s_wait_xcnt 0x0
	v_cmpx_lt_u32_e32 10, v0
	s_cbranch_execz .LBB115_305
; %bb.304:
	scratch_load_b64 v[106:107], off, off offset:80
	v_mov_b64_e32 v[108:109], 0
	scratch_store_b64 off, v[108:109], off offset:80
	s_wait_loadcnt 0x0
	ds_store_b64 v1, v[106:107]
.LBB115_305:
	s_wait_xcnt 0x0
	s_or_b32 exec_lo, exec_lo, s0
	s_wait_storecnt_dscnt 0x0
	s_barrier_signal -1
	s_barrier_wait -1
	s_clause 0xf
	scratch_load_b128 v[110:113], off, off offset:88
	scratch_load_b128 v[118:121], off, off offset:104
	;; [unrolled: 1-line block ×16, first 2 shown]
	v_mov_b32_e32 v7, 0
	scratch_load_b128 v[238:241], off, off offset:344
	s_mov_b32 s0, exec_lo
	ds_load_2addr_b64 v[106:109], v7 offset0:63 offset1:64
	ds_load_2addr_b64 v[114:117], v7 offset0:65 offset1:66
	s_wait_loadcnt_dscnt 0x1001
	v_dual_mul_f32 v9, v106, v111 :: v_dual_mul_f32 v11, v108, v113
	ds_load_2addr_b64 v[122:125], v7 offset0:67 offset1:68
	ds_load_2addr_b64 v[130:133], v7 offset0:69 offset1:70
	;; [unrolled: 1-line block ×4, first 2 shown]
	v_dual_fmac_f32 v9, v107, v110 :: v_dual_fmac_f32 v11, v109, v112
	ds_load_2addr_b64 v[138:141], v7 offset0:71 offset1:72
	ds_load_2addr_b64 v[146:149], v7 offset0:73 offset1:74
	;; [unrolled: 1-line block ×3, first 2 shown]
	v_add_f32_e32 v9, 0, v9
	ds_load_2addr_b64 v[154:157], v7 offset0:75 offset1:76
	ds_load_2addr_b64 v[162:165], v7 offset0:77 offset1:78
	;; [unrolled: 1-line block ×4, first 2 shown]
	v_add_f32_e32 v9, v9, v11
	s_wait_loadcnt_dscnt 0xf0b
	v_mul_f32_e32 v11, v114, v119
	ds_load_2addr_b64 v[186:189], v7 offset0:83 offset1:84
	ds_load_2addr_b64 v[194:197], v7 offset0:85 offset1:86
	;; [unrolled: 1-line block ×4, first 2 shown]
	v_fmac_f32_e32 v11, v115, v118
	s_clause 0x4
	scratch_load_b128 v[242:245], off, off offset:360
	scratch_load_b128 v[246:249], off, off offset:376
	;; [unrolled: 1-line block ×3, first 2 shown]
	s_set_vgpr_msb 64                       ;  msbs: dst=1 src0=0 src1=0 src2=0
	scratch_load_b64 v[4:5] /*v[260:261]*/, off, off offset:408
	s_wait_loadcnt_dscnt 0x50b
	v_mul_f32_e32 v1 /*v257*/, v228, v233
	s_set_vgpr_msb 0                        ;  msbs: dst=0 src0=0 src1=0 src2=0
	v_dual_add_f32 v9, v9, v11 :: v_dual_mul_f32 v11, v116, v121
	s_wait_loadcnt_dscnt 0x408
	s_set_vgpr_msb 64                       ;  msbs: dst=1 src0=0 src1=0 src2=0
	v_dual_mul_f32 v3 /*v259*/, v234, v239 :: v_dual_fmac_f32 v1 /*v257*/, v229, v232
	s_set_vgpr_msb 0                        ;  msbs: dst=0 src0=0 src1=0 src2=0
	v_fmac_f32_e32 v11, v117, v120
	s_set_vgpr_msb 64                       ;  msbs: dst=1 src0=0 src1=0 src2=0
	s_delay_alu instid0(VALU_DEP_2) | instskip(SKIP_1) | instid1(VALU_DEP_2)
	v_fmac_f32_e32 v3 /*v259*/, v235, v238
	s_set_vgpr_msb 0                        ;  msbs: dst=0 src0=0 src1=0 src2=0
	v_add_f32_e32 v9, v9, v11
	v_mul_f32_e32 v11, v122, v127
	s_delay_alu instid0(VALU_DEP_1) | instskip(NEXT) | instid1(VALU_DEP_1)
	v_fmac_f32_e32 v11, v123, v126
	v_dual_add_f32 v9, v9, v11 :: v_dual_mul_f32 v11, v124, v129
	s_delay_alu instid0(VALU_DEP_1) | instskip(NEXT) | instid1(VALU_DEP_1)
	v_fmac_f32_e32 v11, v125, v128
	v_add_f32_e32 v9, v9, v11
	v_mul_f32_e32 v11, v130, v135
	s_delay_alu instid0(VALU_DEP_1) | instskip(NEXT) | instid1(VALU_DEP_1)
	v_fmac_f32_e32 v11, v131, v134
	v_dual_add_f32 v9, v9, v11 :: v_dual_mul_f32 v11, v132, v137
	s_delay_alu instid0(VALU_DEP_1) | instskip(NEXT) | instid1(VALU_DEP_1)
	v_fmac_f32_e32 v11, v133, v136
	;; [unrolled: 7-line block ×4, first 2 shown]
	v_add_f32_e32 v9, v9, v11
	s_wait_dscnt 0x7
	v_mul_f32_e32 v11, v154, v159
	s_delay_alu instid0(VALU_DEP_1) | instskip(NEXT) | instid1(VALU_DEP_1)
	v_fmac_f32_e32 v11, v155, v158
	v_dual_add_f32 v9, v9, v11 :: v_dual_mul_f32 v11, v156, v161
	s_delay_alu instid0(VALU_DEP_1) | instskip(NEXT) | instid1(VALU_DEP_1)
	v_fmac_f32_e32 v11, v157, v160
	v_add_f32_e32 v9, v9, v11
	s_wait_dscnt 0x6
	v_mul_f32_e32 v11, v162, v167
	s_delay_alu instid0(VALU_DEP_1) | instskip(NEXT) | instid1(VALU_DEP_1)
	v_fmac_f32_e32 v11, v163, v166
	v_dual_add_f32 v9, v9, v11 :: v_dual_mul_f32 v11, v164, v169
	s_delay_alu instid0(VALU_DEP_1) | instskip(NEXT) | instid1(VALU_DEP_1)
	v_fmac_f32_e32 v11, v165, v168
	;; [unrolled: 8-line block ×8, first 2 shown]
	v_add_f32_e32 v9, v9, v11
	v_mul_f32_e32 v11, v218, v223
	s_delay_alu instid0(VALU_DEP_1) | instskip(NEXT) | instid1(VALU_DEP_1)
	v_fmac_f32_e32 v11, v219, v222
	v_dual_add_f32 v9, v9, v11 :: v_dual_mul_f32 v11, v220, v225
	s_delay_alu instid0(VALU_DEP_1) | instskip(NEXT) | instid1(VALU_DEP_1)
	v_fmac_f32_e32 v11, v221, v224
	v_add_f32_e32 v9, v9, v11
	v_mul_f32_e32 v11, v226, v231
	s_delay_alu instid0(VALU_DEP_1) | instskip(NEXT) | instid1(VALU_DEP_1)
	v_fmac_f32_e32 v11, v227, v230
	v_add_f32_e32 v255, v9, v11
	v_dual_mul_f32 v9, v107, v111 :: v_dual_mul_f32 v11, v109, v113
	s_delay_alu instid0(VALU_DEP_1) | instskip(NEXT) | instid1(VALU_DEP_1)
	v_dual_fma_f32 v9, v106, v110, -v9 :: v_dual_fma_f32 v11, v108, v112, -v11
	v_add_f32_e32 v9, 0, v9
	s_delay_alu instid0(VALU_DEP_1) | instskip(SKIP_1) | instid1(VALU_DEP_1)
	v_add_f32_e32 v9, v9, v11
	v_mul_f32_e32 v11, v115, v119
	v_fma_f32 v11, v114, v118, -v11
	s_delay_alu instid0(VALU_DEP_1) | instskip(SKIP_1) | instid1(VALU_DEP_1)
	v_add_f32_e32 v9, v9, v11
	v_mul_f32_e32 v11, v117, v121
	v_fma_f32 v11, v116, v120, -v11
	ds_load_2addr_b64 v[106:109], v7 offset0:97 offset1:98
	ds_load_2addr_b64 v[110:113], v7 offset0:99 offset1:100
	;; [unrolled: 1-line block ×3, first 2 shown]
	ds_load_b64 v[118:119], v7 offset:824
	v_add_f32_e32 v9, v9, v11
	v_dual_mul_f32 v11, v123, v127 :: v_dual_mov_b32 v123, v236
	s_delay_alu instid0(VALU_DEP_1) | instskip(NEXT) | instid1(VALU_DEP_1)
	v_dual_fma_f32 v11, v122, v126, -v11 :: v_dual_mov_b32 v122, v237
	v_add_f32_e32 v9, v9, v11
	v_mul_f32_e32 v11, v125, v129
	s_delay_alu instid0(VALU_DEP_1) | instskip(NEXT) | instid1(VALU_DEP_1)
	v_dual_fma_f32 v11, v124, v128, -v11 :: v_dual_mov_b32 v124, v241
	v_add_f32_e32 v9, v9, v11
	v_mul_f32_e32 v11, v131, v135
	s_delay_alu instid0(VALU_DEP_3) | instskip(NEXT) | instid1(VALU_DEP_2)
	v_pk_mul_f32 v[122:123], v[122:123], v[124:125] op_sel_hi:[1,0]
	v_fma_f32 v11, v130, v134, -v11
	s_delay_alu instid0(VALU_DEP_2) | instskip(SKIP_1) | instid1(VALU_DEP_3)
	v_pk_fma_f32 v[124:125], v[236:237], v[240:241], v[122:123] neg_lo:[0,0,1] neg_hi:[0,0,1]
	v_pk_fma_f32 v[122:123], v[236:237], v[240:241], v[122:123] op_sel_hi:[1,0,1]
	v_add_f32_e32 v9, v9, v11
	s_delay_alu instid0(VALU_DEP_2) | instskip(SKIP_2) | instid1(VALU_DEP_2)
	v_dual_mul_f32 v11, v133, v137 :: v_dual_mov_b32 v125, v123
	s_wait_loadcnt_dscnt 0x303
	v_pk_mul_f32 v[122:123], v[106:107], v[242:243] op_sel:[1,1] op_sel_hi:[0,1]
	v_fma_f32 v11, v132, v136, -v11
	s_delay_alu instid0(VALU_DEP_1) | instskip(SKIP_1) | instid1(VALU_DEP_1)
	v_add_f32_e32 v9, v9, v11
	v_mul_f32_e32 v11, v139, v143
	v_fma_f32 v11, v138, v142, -v11
	s_delay_alu instid0(VALU_DEP_1) | instskip(SKIP_1) | instid1(VALU_DEP_1)
	v_add_f32_e32 v9, v9, v11
	v_mul_f32_e32 v11, v141, v145
	;; [unrolled: 4-line block ×23, first 2 shown]
	v_fma_f32 v11, v226, v230, -v11
	s_delay_alu instid0(VALU_DEP_1) | instskip(SKIP_2) | instid1(VALU_DEP_1)
	v_add_f32_e32 v254, v9, v11
	v_mul_f32_e32 v9, v229, v233
	s_set_vgpr_msb 64                       ;  msbs: dst=1 src0=0 src1=0 src2=0
	v_fma_f32 v0 /*v256*/, v228, v232, -v9
	s_set_vgpr_msb 0                        ;  msbs: dst=0 src0=0 src1=0 src2=0
	v_mul_f32_e32 v9, v235, v239
	s_set_vgpr_msb 64                       ;  msbs: dst=1 src0=0 src1=0 src2=0
	s_delay_alu instid0(VALU_DEP_1) | instskip(SKIP_2) | instid1(VALU_DEP_1)
	v_fma_f32 v2 /*v258*/, v234, v238, -v9
	s_set_vgpr_msb 4                        ;  msbs: dst=0 src0=0 src1=1 src2=0
	v_pk_add_f32 v[120:121], v[254:255], v[0:1] /*v[256:257]*/
	v_pk_add_f32 v[120:121], v[120:121], v[2:3] /*v[258:259]*/
	s_set_vgpr_msb 0                        ;  msbs: dst=0 src0=0 src1=0 src2=0
	s_delay_alu instid0(VALU_DEP_1) | instskip(SKIP_2) | instid1(VALU_DEP_1)
	v_pk_add_f32 v[120:121], v[120:121], v[124:125]
	v_pk_fma_f32 v[124:125], v[106:107], v[242:243], v[122:123] neg_lo:[0,0,1] neg_hi:[0,0,1]
	v_pk_fma_f32 v[106:107], v[106:107], v[242:243], v[122:123] op_sel_hi:[1,0,1]
	v_dual_mov_b32 v122, v245 :: v_dual_mov_b32 v125, v107
	s_delay_alu instid0(VALU_DEP_1) | instskip(SKIP_1) | instid1(VALU_DEP_1)
	v_pk_add_f32 v[106:107], v[120:121], v[124:125]
	v_dual_mov_b32 v120, v109 :: v_dual_mov_b32 v121, v108
	v_pk_mul_f32 v[120:121], v[120:121], v[122:123] op_sel_hi:[1,0]
	s_delay_alu instid0(VALU_DEP_1) | instskip(SKIP_1) | instid1(VALU_DEP_1)
	v_pk_fma_f32 v[122:123], v[108:109], v[244:245], v[120:121] neg_lo:[0,0,1] neg_hi:[0,0,1]
	v_pk_fma_f32 v[108:109], v[108:109], v[244:245], v[120:121] op_sel_hi:[1,0,1]
	v_mov_b32_e32 v123, v109
	s_wait_loadcnt_dscnt 0x202
	v_pk_mul_f32 v[108:109], v[110:111], v[246:247] op_sel:[1,1] op_sel_hi:[0,1]
	s_delay_alu instid0(VALU_DEP_2) | instskip(NEXT) | instid1(VALU_DEP_2)
	v_pk_add_f32 v[106:107], v[106:107], v[122:123]
	v_pk_fma_f32 v[120:121], v[110:111], v[246:247], v[108:109] neg_lo:[0,0,1] neg_hi:[0,0,1]
	v_pk_fma_f32 v[108:109], v[110:111], v[246:247], v[108:109] op_sel_hi:[1,0,1]
	v_dual_mov_b32 v108, v113 :: v_dual_mov_b32 v110, v249
	s_delay_alu instid0(VALU_DEP_2) | instskip(NEXT) | instid1(VALU_DEP_1)
	v_dual_mov_b32 v121, v109 :: v_dual_mov_b32 v109, v112
	v_pk_add_f32 v[106:107], v[106:107], v[120:121]
	s_delay_alu instid0(VALU_DEP_2) | instskip(NEXT) | instid1(VALU_DEP_1)
	v_pk_mul_f32 v[108:109], v[108:109], v[110:111] op_sel_hi:[1,0]
	v_pk_fma_f32 v[110:111], v[112:113], v[248:249], v[108:109] neg_lo:[0,0,1] neg_hi:[0,0,1]
	v_pk_fma_f32 v[108:109], v[112:113], v[248:249], v[108:109] op_sel_hi:[1,0,1]
	s_delay_alu instid0(VALU_DEP_1) | instskip(SKIP_2) | instid1(VALU_DEP_2)
	v_mov_b32_e32 v111, v109
	s_wait_loadcnt_dscnt 0x101
	v_pk_mul_f32 v[108:109], v[114:115], v[250:251] op_sel:[1,1] op_sel_hi:[0,1]
	v_pk_add_f32 v[106:107], v[106:107], v[110:111]
	s_delay_alu instid0(VALU_DEP_2) | instskip(SKIP_1) | instid1(VALU_DEP_1)
	v_pk_fma_f32 v[110:111], v[114:115], v[250:251], v[108:109] neg_lo:[0,0,1] neg_hi:[0,0,1]
	v_pk_fma_f32 v[108:109], v[114:115], v[250:251], v[108:109] op_sel_hi:[1,0,1]
	v_dual_mov_b32 v108, v117 :: v_dual_mov_b32 v111, v109
	v_mov_b32_e32 v109, v116
	s_delay_alu instid0(VALU_DEP_2) | instskip(SKIP_1) | instid1(VALU_DEP_1)
	v_pk_add_f32 v[106:107], v[106:107], v[110:111]
	v_mov_b32_e32 v110, v253
	v_pk_mul_f32 v[108:109], v[108:109], v[110:111] op_sel_hi:[1,0]
	s_delay_alu instid0(VALU_DEP_1) | instskip(SKIP_1) | instid1(VALU_DEP_1)
	v_pk_fma_f32 v[110:111], v[116:117], v[252:253], v[108:109] neg_lo:[0,0,1] neg_hi:[0,0,1]
	v_pk_fma_f32 v[108:109], v[116:117], v[252:253], v[108:109] op_sel_hi:[1,0,1]
	v_mov_b32_e32 v111, v109
	s_wait_loadcnt_dscnt 0x0
	s_set_vgpr_msb 4                        ;  msbs: dst=0 src0=0 src1=1 src2=0
	v_pk_mul_f32 v[108:109], v[118:119], v[4:5] /*v[260:261]*/ op_sel:[1,1] op_sel_hi:[0,1]
	s_set_vgpr_msb 0                        ;  msbs: dst=0 src0=0 src1=0 src2=0
	v_pk_add_f32 v[106:107], v[106:107], v[110:111]
	s_set_vgpr_msb 4                        ;  msbs: dst=0 src0=0 src1=1 src2=0
	s_delay_alu instid0(VALU_DEP_2) | instskip(SKIP_1) | instid1(VALU_DEP_1)
	v_pk_fma_f32 v[110:111], v[118:119], v[4:5] /*v[260:261]*/, v[108:109] neg_lo:[0,0,1] neg_hi:[0,0,1]
	v_pk_fma_f32 v[108:109], v[118:119], v[4:5] /*v[260:261]*/, v[108:109] op_sel_hi:[1,0,1]
	v_mov_b32_e32 v111, v109
	scratch_load_b64 v[108:109], off, off offset:80
	s_set_vgpr_msb 0                        ;  msbs: dst=0 src0=0 src1=0 src2=0
	v_pk_add_f32 v[106:107], v[106:107], v[110:111]
	s_wait_loadcnt 0x0
	s_delay_alu instid0(VALU_DEP_1)
	v_pk_add_f32 v[106:107], v[108:109], v[106:107] neg_lo:[0,1] neg_hi:[0,1]
	scratch_store_b64 off, v[106:107], off offset:80
	s_wait_xcnt 0x0
	v_cmpx_lt_u32_e32 9, v0
	s_cbranch_execz .LBB115_307
; %bb.306:
	scratch_load_b64 v[106:107], off, off offset:72
	v_mov_b64_e32 v[108:109], 0
	scratch_store_b64 off, v[108:109], off offset:72
	s_wait_loadcnt 0x0
	ds_store_b64 v1, v[106:107]
.LBB115_307:
	s_wait_xcnt 0x0
	s_or_b32 exec_lo, exec_lo, s0
	s_wait_storecnt_dscnt 0x0
	s_barrier_signal -1
	s_barrier_wait -1
	ds_load_b128 v[106:109], v7 offset:496
	ds_load_b128 v[110:113], v7 offset:512
	;; [unrolled: 1-line block ×4, first 2 shown]
	s_clause 0x10
	scratch_load_b128 v[122:125], off, off offset:80
	scratch_load_b128 v[126:129], off, off offset:96
	scratch_load_b128 v[130:133], off, off offset:112
	scratch_load_b128 v[134:137], off, off offset:128
	scratch_load_b128 v[142:145], off, off offset:144
	scratch_load_b128 v[150:153], off, off offset:160
	scratch_load_b128 v[158:161], off, off offset:176
	scratch_load_b128 v[166:169], off, off offset:192
	scratch_load_b128 v[174:177], off, off offset:208
	scratch_load_b128 v[182:185], off, off offset:224
	scratch_load_b128 v[190:193], off, off offset:240
	scratch_load_b128 v[198:201], off, off offset:256
	scratch_load_b128 v[206:209], off, off offset:272
	scratch_load_b128 v[214:217], off, off offset:288
	scratch_load_b128 v[222:225], off, off offset:304
	scratch_load_b128 v[230:233], off, off offset:320
	scratch_load_b128 v[238:241], off, off offset:336
	ds_load_b128 v[138:141], v7 offset:560
	ds_load_b128 v[146:149], v7 offset:576
	;; [unrolled: 1-line block ×13, first 2 shown]
	s_clause 0x3
	scratch_load_b128 v[242:245], off, off offset:352
	scratch_load_b128 v[246:249], off, off offset:368
	;; [unrolled: 1-line block ×4, first 2 shown]
	s_mov_b32 s0, exec_lo
	s_wait_loadcnt_dscnt 0x1410
	v_dual_mul_f32 v9, v106, v123 :: v_dual_mul_f32 v11, v108, v125
	s_delay_alu instid0(VALU_DEP_1) | instskip(NEXT) | instid1(VALU_DEP_1)
	v_dual_fmac_f32 v9, v107, v122 :: v_dual_fmac_f32 v11, v109, v124
	v_add_f32_e32 v9, 0, v9
	s_delay_alu instid0(VALU_DEP_1)
	v_add_f32_e32 v9, v9, v11
	s_wait_loadcnt_dscnt 0x130f
	v_mul_f32_e32 v11, v110, v127
	s_wait_loadcnt_dscnt 0x40a
	s_set_vgpr_msb 64                       ;  msbs: dst=1 src0=0 src1=0 src2=0
	v_dual_mul_f32 v5 /*v261*/, v234, v239 :: v_dual_mul_f32 v7 /*v263*/, v236, v241
	s_set_vgpr_msb 0                        ;  msbs: dst=0 src0=0 src1=0 src2=0
	v_fmac_f32_e32 v11, v111, v126
	s_set_vgpr_msb 64                       ;  msbs: dst=1 src0=0 src1=0 src2=0
	s_delay_alu instid0(VALU_DEP_2) | instskip(SKIP_1) | instid1(VALU_DEP_2)
	v_dual_fmac_f32 v5 /*v261*/, v235, v238 :: v_dual_fmac_f32 v7 /*v263*/, v237, v240
	s_set_vgpr_msb 0                        ;  msbs: dst=0 src0=0 src1=0 src2=0
	v_dual_add_f32 v9, v9, v11 :: v_dual_mul_f32 v11, v112, v129
	s_delay_alu instid0(VALU_DEP_1) | instskip(NEXT) | instid1(VALU_DEP_1)
	v_fmac_f32_e32 v11, v113, v128
	v_add_f32_e32 v9, v9, v11
	v_mul_f32_e32 v11, v114, v131
	s_delay_alu instid0(VALU_DEP_1) | instskip(NEXT) | instid1(VALU_DEP_1)
	v_fmac_f32_e32 v11, v115, v130
	v_dual_add_f32 v9, v9, v11 :: v_dual_mul_f32 v11, v116, v133
	s_delay_alu instid0(VALU_DEP_1) | instskip(NEXT) | instid1(VALU_DEP_1)
	v_fmac_f32_e32 v11, v117, v132
	v_add_f32_e32 v9, v9, v11
	v_mul_f32_e32 v11, v118, v135
	s_delay_alu instid0(VALU_DEP_1) | instskip(NEXT) | instid1(VALU_DEP_1)
	v_fmac_f32_e32 v11, v119, v134
	v_dual_add_f32 v9, v9, v11 :: v_dual_mul_f32 v11, v120, v137
	s_delay_alu instid0(VALU_DEP_1) | instskip(NEXT) | instid1(VALU_DEP_1)
	v_fmac_f32_e32 v11, v121, v136
	v_add_f32_e32 v9, v9, v11
	v_mul_f32_e32 v11, v138, v143
	s_delay_alu instid0(VALU_DEP_1) | instskip(NEXT) | instid1(VALU_DEP_1)
	v_fmac_f32_e32 v11, v139, v142
	v_dual_add_f32 v9, v9, v11 :: v_dual_mul_f32 v11, v140, v145
	s_delay_alu instid0(VALU_DEP_1) | instskip(NEXT) | instid1(VALU_DEP_1)
	v_fmac_f32_e32 v11, v141, v144
	v_add_f32_e32 v9, v9, v11
	v_mul_f32_e32 v11, v146, v151
	s_delay_alu instid0(VALU_DEP_1) | instskip(NEXT) | instid1(VALU_DEP_1)
	v_fmac_f32_e32 v11, v147, v150
	v_dual_add_f32 v9, v9, v11 :: v_dual_mul_f32 v11, v148, v153
	s_delay_alu instid0(VALU_DEP_1) | instskip(NEXT) | instid1(VALU_DEP_1)
	v_fmac_f32_e32 v11, v149, v152
	v_add_f32_e32 v9, v9, v11
	s_wait_dscnt 0x9
	v_mul_f32_e32 v11, v154, v159
	s_delay_alu instid0(VALU_DEP_1) | instskip(NEXT) | instid1(VALU_DEP_1)
	v_fmac_f32_e32 v11, v155, v158
	v_dual_add_f32 v9, v9, v11 :: v_dual_mul_f32 v11, v156, v161
	s_delay_alu instid0(VALU_DEP_1) | instskip(NEXT) | instid1(VALU_DEP_1)
	v_fmac_f32_e32 v11, v157, v160
	v_add_f32_e32 v9, v9, v11
	s_wait_dscnt 0x8
	v_mul_f32_e32 v11, v162, v167
	s_delay_alu instid0(VALU_DEP_1) | instskip(NEXT) | instid1(VALU_DEP_1)
	v_fmac_f32_e32 v11, v163, v166
	;; [unrolled: 8-line block ×10, first 2 shown]
	v_dual_add_f32 v9, v9, v11 :: v_dual_mul_f32 v11, v228, v233
	s_delay_alu instid0(VALU_DEP_1) | instskip(SKIP_1) | instid1(VALU_DEP_1)
	v_fmac_f32_e32 v11, v229, v232
	s_set_vgpr_msb 64                       ;  msbs: dst=1 src0=0 src1=0 src2=0
	v_add_f32_e32 v3 /*v259*/, v9, v11
	s_set_vgpr_msb 0                        ;  msbs: dst=0 src0=0 src1=0 src2=0
	v_dual_mul_f32 v9, v107, v123 :: v_dual_mul_f32 v11, v109, v125
	s_delay_alu instid0(VALU_DEP_1) | instskip(NEXT) | instid1(VALU_DEP_1)
	v_dual_fma_f32 v9, v106, v122, -v9 :: v_dual_fma_f32 v11, v108, v124, -v11
	v_add_f32_e32 v9, 0, v9
	s_delay_alu instid0(VALU_DEP_1) | instskip(SKIP_1) | instid1(VALU_DEP_1)
	v_add_f32_e32 v9, v9, v11
	v_mul_f32_e32 v11, v111, v127
	v_fma_f32 v11, v110, v126, -v11
	s_delay_alu instid0(VALU_DEP_1) | instskip(SKIP_1) | instid1(VALU_DEP_1)
	v_add_f32_e32 v9, v9, v11
	v_mul_f32_e32 v11, v113, v129
	v_fma_f32 v11, v112, v128, -v11
	;; [unrolled: 4-line block ×6, first 2 shown]
	ds_load_b128 v[106:109], v7 offset:768
	ds_load_b128 v[110:113], v7 offset:784
	;; [unrolled: 1-line block ×4, first 2 shown]
	v_add_f32_e32 v9, v9, v11
	v_mul_f32_e32 v11, v139, v143
	s_delay_alu instid0(VALU_DEP_1) | instskip(NEXT) | instid1(VALU_DEP_1)
	v_fma_f32 v11, v138, v142, -v11
	v_add_f32_e32 v9, v9, v11
	v_mul_f32_e32 v11, v141, v145
	s_wait_loadcnt_dscnt 0x303
	v_pk_mul_f32 v[124:125], v[106:107], v[242:243] op_sel:[1,1] op_sel_hi:[0,1]
	s_delay_alu instid0(VALU_DEP_2) | instskip(NEXT) | instid1(VALU_DEP_2)
	v_fma_f32 v11, v140, v144, -v11
	v_pk_fma_f32 v[126:127], v[106:107], v[242:243], v[124:125] neg_lo:[0,0,1] neg_hi:[0,0,1]
	v_pk_fma_f32 v[106:107], v[106:107], v[242:243], v[124:125] op_sel_hi:[1,0,1]
	v_mov_b32_e32 v124, v245
	s_delay_alu instid0(VALU_DEP_4) | instskip(SKIP_1) | instid1(VALU_DEP_1)
	v_add_f32_e32 v9, v9, v11
	v_mul_f32_e32 v11, v147, v151
	v_dual_mov_b32 v127, v107 :: v_dual_fma_f32 v11, v146, v150, -v11
	s_delay_alu instid0(VALU_DEP_1) | instskip(SKIP_1) | instid1(VALU_DEP_1)
	v_add_f32_e32 v9, v9, v11
	v_mul_f32_e32 v11, v149, v153
	v_fma_f32 v11, v148, v152, -v11
	s_delay_alu instid0(VALU_DEP_1) | instskip(SKIP_1) | instid1(VALU_DEP_1)
	v_add_f32_e32 v9, v9, v11
	v_mul_f32_e32 v11, v155, v159
	v_fma_f32 v11, v154, v158, -v11
	;; [unrolled: 4-line block ×21, first 2 shown]
	s_set_vgpr_msb 64                       ;  msbs: dst=1 src0=0 src1=0 src2=0
	s_delay_alu instid0(VALU_DEP_1) | instskip(SKIP_3) | instid1(VALU_DEP_1)
	v_add_f32_e32 v2 /*v258*/, v9, v11
	s_set_vgpr_msb 0                        ;  msbs: dst=0 src0=0 src1=0 src2=0
	v_mul_f32_e32 v9, v235, v239
	s_set_vgpr_msb 64                       ;  msbs: dst=1 src0=0 src1=0 src2=0
	v_fma_f32 v4 /*v260*/, v234, v238, -v9
	s_set_vgpr_msb 0                        ;  msbs: dst=0 src0=0 src1=0 src2=0
	v_mul_f32_e32 v9, v237, v241
	s_set_vgpr_msb 5                        ;  msbs: dst=0 src0=1 src1=1 src2=0
	s_delay_alu instid0(VALU_DEP_2) | instskip(SKIP_1) | instid1(VALU_DEP_2)
	v_pk_add_f32 v[122:123], v[2:3] /*v[258:259]*/, v[4:5] /*v[260:261]*/
	s_set_vgpr_msb 64                       ;  msbs: dst=1 src0=0 src1=0 src2=0
	v_fma_f32 v6 /*v262*/, v236, v240, -v9
	s_set_vgpr_msb 4                        ;  msbs: dst=0 src0=0 src1=1 src2=0
	s_delay_alu instid0(VALU_DEP_1) | instskip(SKIP_1) | instid1(VALU_DEP_1)
	v_pk_add_f32 v[122:123], v[122:123], v[6:7] /*v[262:263]*/
	s_set_vgpr_msb 0                        ;  msbs: dst=0 src0=0 src1=0 src2=0
	v_pk_add_f32 v[106:107], v[122:123], v[126:127]
	v_dual_mov_b32 v122, v109 :: v_dual_mov_b32 v123, v108
	s_delay_alu instid0(VALU_DEP_1) | instskip(NEXT) | instid1(VALU_DEP_1)
	v_pk_mul_f32 v[122:123], v[122:123], v[124:125] op_sel_hi:[1,0]
	v_pk_fma_f32 v[124:125], v[108:109], v[244:245], v[122:123] neg_lo:[0,0,1] neg_hi:[0,0,1]
	v_pk_fma_f32 v[108:109], v[108:109], v[244:245], v[122:123] op_sel_hi:[1,0,1]
	s_delay_alu instid0(VALU_DEP_1) | instskip(SKIP_2) | instid1(VALU_DEP_2)
	v_mov_b32_e32 v125, v109
	s_wait_loadcnt_dscnt 0x202
	v_pk_mul_f32 v[108:109], v[110:111], v[246:247] op_sel:[1,1] op_sel_hi:[0,1]
	v_pk_add_f32 v[106:107], v[106:107], v[124:125]
	s_delay_alu instid0(VALU_DEP_2) | instskip(SKIP_2) | instid1(VALU_DEP_2)
	v_pk_fma_f32 v[122:123], v[110:111], v[246:247], v[108:109] neg_lo:[0,0,1] neg_hi:[0,0,1]
	v_pk_fma_f32 v[108:109], v[110:111], v[246:247], v[108:109] op_sel_hi:[1,0,1]
	v_dual_mov_b32 v108, v113 :: v_dual_mov_b32 v110, v249
	v_dual_mov_b32 v123, v109 :: v_dual_mov_b32 v109, v112
	s_delay_alu instid0(VALU_DEP_1) | instskip(NEXT) | instid1(VALU_DEP_2)
	v_pk_add_f32 v[106:107], v[106:107], v[122:123]
	v_pk_mul_f32 v[108:109], v[108:109], v[110:111] op_sel_hi:[1,0]
	s_delay_alu instid0(VALU_DEP_1) | instskip(SKIP_1) | instid1(VALU_DEP_1)
	v_pk_fma_f32 v[110:111], v[112:113], v[248:249], v[108:109] neg_lo:[0,0,1] neg_hi:[0,0,1]
	v_pk_fma_f32 v[108:109], v[112:113], v[248:249], v[108:109] op_sel_hi:[1,0,1]
	v_mov_b32_e32 v111, v109
	s_wait_loadcnt_dscnt 0x101
	v_pk_mul_f32 v[108:109], v[114:115], v[250:251] op_sel:[1,1] op_sel_hi:[0,1]
	s_delay_alu instid0(VALU_DEP_2) | instskip(NEXT) | instid1(VALU_DEP_2)
	v_pk_add_f32 v[106:107], v[106:107], v[110:111]
	v_pk_fma_f32 v[110:111], v[114:115], v[250:251], v[108:109] neg_lo:[0,0,1] neg_hi:[0,0,1]
	v_pk_fma_f32 v[108:109], v[114:115], v[250:251], v[108:109] op_sel_hi:[1,0,1]
	s_delay_alu instid0(VALU_DEP_1) | instskip(SKIP_1) | instid1(VALU_DEP_2)
	v_dual_mov_b32 v108, v117 :: v_dual_mov_b32 v111, v109
	v_mov_b32_e32 v109, v116
	v_pk_add_f32 v[106:107], v[106:107], v[110:111]
	v_mov_b32_e32 v110, v253
	s_delay_alu instid0(VALU_DEP_1) | instskip(NEXT) | instid1(VALU_DEP_1)
	v_pk_mul_f32 v[108:109], v[108:109], v[110:111] op_sel_hi:[1,0]
	v_pk_fma_f32 v[110:111], v[116:117], v[252:253], v[108:109] neg_lo:[0,0,1] neg_hi:[0,0,1]
	v_pk_fma_f32 v[108:109], v[116:117], v[252:253], v[108:109] op_sel_hi:[1,0,1]
	s_delay_alu instid0(VALU_DEP_1) | instskip(SKIP_2) | instid1(VALU_DEP_2)
	v_mov_b32_e32 v111, v109
	s_wait_loadcnt_dscnt 0x0
	v_pk_mul_f32 v[108:109], v[118:119], v[254:255] op_sel:[1,1] op_sel_hi:[0,1]
	v_pk_add_f32 v[106:107], v[106:107], v[110:111]
	s_delay_alu instid0(VALU_DEP_2) | instskip(SKIP_1) | instid1(VALU_DEP_1)
	v_pk_fma_f32 v[110:111], v[118:119], v[254:255], v[108:109] neg_lo:[0,0,1] neg_hi:[0,0,1]
	v_pk_fma_f32 v[108:109], v[118:119], v[254:255], v[108:109] op_sel_hi:[1,0,1]
	v_dual_mov_b32 v108, v121 :: v_dual_mov_b32 v111, v109
	v_mov_b32_e32 v109, v120
	s_delay_alu instid0(VALU_DEP_2) | instskip(SKIP_3) | instid1(VALU_DEP_1)
	v_pk_add_f32 v[106:107], v[106:107], v[110:111]
	s_set_vgpr_msb 1                        ;  msbs: dst=0 src0=1 src1=0 src2=0
	v_mov_b32_e32 v110, v1 /*v257*/
	s_set_vgpr_msb 0                        ;  msbs: dst=0 src0=0 src1=0 src2=0
	v_pk_mul_f32 v[108:109], v[108:109], v[110:111] op_sel_hi:[1,0]
	s_set_vgpr_msb 4                        ;  msbs: dst=0 src0=0 src1=1 src2=0
	s_delay_alu instid0(VALU_DEP_1) | instskip(SKIP_1) | instid1(VALU_DEP_1)
	v_pk_fma_f32 v[110:111], v[120:121], v[0:1] /*v[256:257]*/, v[108:109] neg_lo:[0,0,1] neg_hi:[0,0,1]
	v_pk_fma_f32 v[108:109], v[120:121], v[0:1] /*v[256:257]*/, v[108:109] op_sel_hi:[1,0,1]
	v_mov_b32_e32 v111, v109
	scratch_load_b64 v[108:109], off, off offset:72
	s_set_vgpr_msb 0                        ;  msbs: dst=0 src0=0 src1=0 src2=0
	v_pk_add_f32 v[106:107], v[106:107], v[110:111]
	s_wait_loadcnt 0x0
	s_delay_alu instid0(VALU_DEP_1)
	v_pk_add_f32 v[106:107], v[108:109], v[106:107] neg_lo:[0,1] neg_hi:[0,1]
	scratch_store_b64 off, v[106:107], off offset:72
	s_wait_xcnt 0x0
	v_cmpx_lt_u32_e32 8, v0
	s_cbranch_execz .LBB115_309
; %bb.308:
	scratch_load_b64 v[106:107], off, off offset:64
	v_mov_b64_e32 v[108:109], 0
	scratch_store_b64 off, v[108:109], off offset:64
	s_wait_loadcnt 0x0
	ds_store_b64 v1, v[106:107]
.LBB115_309:
	s_wait_xcnt 0x0
	s_or_b32 exec_lo, exec_lo, s0
	s_wait_storecnt_dscnt 0x0
	s_barrier_signal -1
	s_barrier_wait -1
	s_clause 0xf
	scratch_load_b128 v[110:113], off, off offset:72
	scratch_load_b128 v[118:121], off, off offset:88
	;; [unrolled: 1-line block ×16, first 2 shown]
	v_mov_b32_e32 v7, 0
	s_clause 0x1
	scratch_load_b128 v[238:241], off, off offset:328
	scratch_load_b128 v[246:249], off, off offset:344
	s_mov_b32 s0, exec_lo
	ds_load_2addr_b64 v[106:109], v7 offset0:61 offset1:62
	ds_load_2addr_b64 v[114:117], v7 offset0:63 offset1:64
	s_wait_loadcnt_dscnt 0x1101
	v_dual_mul_f32 v9, v106, v111 :: v_dual_mul_f32 v11, v108, v113
	ds_load_2addr_b64 v[122:125], v7 offset0:65 offset1:66
	ds_load_2addr_b64 v[130:133], v7 offset0:67 offset1:68
	;; [unrolled: 1-line block ×4, first 2 shown]
	v_dual_fmac_f32 v9, v107, v110 :: v_dual_fmac_f32 v11, v109, v112
	ds_load_2addr_b64 v[138:141], v7 offset0:69 offset1:70
	ds_load_2addr_b64 v[146:149], v7 offset0:71 offset1:72
	;; [unrolled: 1-line block ×4, first 2 shown]
	v_add_f32_e32 v9, 0, v9
	ds_load_2addr_b64 v[170:173], v7 offset0:77 offset1:78
	ds_load_2addr_b64 v[178:181], v7 offset0:79 offset1:80
	;; [unrolled: 1-line block ×4, first 2 shown]
	v_add_f32_e32 v9, v9, v11
	s_wait_loadcnt_dscnt 0x100c
	v_mul_f32_e32 v11, v114, v119
	ds_load_2addr_b64 v[202:205], v7 offset0:85 offset1:86
	ds_load_2addr_b64 v[210:213], v7 offset0:87 offset1:88
	;; [unrolled: 1-line block ×4, first 2 shown]
	v_fmac_f32_e32 v11, v115, v118
	s_clause 0x4
	scratch_load_b128 v[250:253], off, off offset:360
	scratch_load_b128 v[254:257], off, off offset:376
	s_set_vgpr_msb 64                       ;  msbs: dst=1 src0=0 src1=0 src2=0
	scratch_load_b128 v[2:5] /*v[258:261]*/, off, off offset:392
	scratch_load_b64 v[12:13] /*v[268:269]*/, off, off offset:408
	s_wait_loadcnt_dscnt 0x40c
	v_dual_mul_f32 v9 /*v265*/, v236, v241 :: v_dual_mul_f32 v11 /*v267*/, v242, v247
	s_set_vgpr_msb 0                        ;  msbs: dst=0 src0=0 src1=0 src2=0
	v_dual_add_f32 v9, v9, v11 :: v_dual_mul_f32 v11, v116, v121
	s_set_vgpr_msb 64                       ;  msbs: dst=1 src0=0 src1=0 src2=0
	s_delay_alu instid0(VALU_DEP_2) | instskip(SKIP_1) | instid1(VALU_DEP_2)
	v_fmac_f32_e32 v9 /*v265*/, v237, v240
	s_set_vgpr_msb 0                        ;  msbs: dst=0 src0=0 src1=0 src2=0
	v_fmac_f32_e32 v11, v117, v120
	s_delay_alu instid0(VALU_DEP_1) | instskip(SKIP_1) | instid1(VALU_DEP_1)
	v_add_f32_e32 v9, v9, v11
	v_mul_f32_e32 v11, v122, v127
	v_fmac_f32_e32 v11, v123, v126
	s_delay_alu instid0(VALU_DEP_1) | instskip(NEXT) | instid1(VALU_DEP_1)
	v_dual_add_f32 v9, v9, v11 :: v_dual_mul_f32 v11, v124, v129
	v_fmac_f32_e32 v11, v125, v128
	s_delay_alu instid0(VALU_DEP_1) | instskip(SKIP_1) | instid1(VALU_DEP_1)
	v_add_f32_e32 v9, v9, v11
	v_mul_f32_e32 v11, v130, v135
	v_fmac_f32_e32 v11, v131, v134
	s_delay_alu instid0(VALU_DEP_1) | instskip(NEXT) | instid1(VALU_DEP_1)
	v_dual_add_f32 v9, v9, v11 :: v_dual_mul_f32 v11, v132, v137
	v_fmac_f32_e32 v11, v133, v136
	s_delay_alu instid0(VALU_DEP_1) | instskip(SKIP_2) | instid1(VALU_DEP_1)
	v_add_f32_e32 v9, v9, v11
	s_wait_dscnt 0xb
	v_mul_f32_e32 v11, v138, v143
	v_fmac_f32_e32 v11, v139, v142
	s_delay_alu instid0(VALU_DEP_1) | instskip(NEXT) | instid1(VALU_DEP_1)
	v_dual_add_f32 v9, v9, v11 :: v_dual_mul_f32 v11, v140, v145
	v_fmac_f32_e32 v11, v141, v144
	s_delay_alu instid0(VALU_DEP_1) | instskip(SKIP_2) | instid1(VALU_DEP_1)
	v_add_f32_e32 v9, v9, v11
	s_wait_dscnt 0xa
	;; [unrolled: 8-line block ×12, first 2 shown]
	v_mul_f32_e32 v11, v226, v231
	v_fmac_f32_e32 v11, v227, v230
	s_delay_alu instid0(VALU_DEP_1) | instskip(NEXT) | instid1(VALU_DEP_1)
	v_dual_add_f32 v9, v9, v11 :: v_dual_mul_f32 v11, v228, v233
	v_fmac_f32_e32 v11, v229, v232
	s_delay_alu instid0(VALU_DEP_1) | instskip(SKIP_1) | instid1(VALU_DEP_1)
	v_add_f32_e32 v9, v9, v11
	v_mul_f32_e32 v11, v234, v239
	v_fmac_f32_e32 v11, v235, v238
	s_set_vgpr_msb 64                       ;  msbs: dst=1 src0=0 src1=0 src2=0
	s_delay_alu instid0(VALU_DEP_1) | instskip(SKIP_2) | instid1(VALU_DEP_1)
	v_add_f32_e32 v7 /*v263*/, v9, v11
	s_set_vgpr_msb 0                        ;  msbs: dst=0 src0=0 src1=0 src2=0
	v_dual_mul_f32 v9, v107, v111 :: v_dual_mul_f32 v11, v109, v113
	v_dual_fma_f32 v9, v106, v110, -v9 :: v_dual_fma_f32 v11, v108, v112, -v11
	s_delay_alu instid0(VALU_DEP_1) | instskip(NEXT) | instid1(VALU_DEP_1)
	v_add_f32_e32 v9, 0, v9
	v_add_f32_e32 v9, v9, v11
	v_mul_f32_e32 v11, v115, v119
	s_delay_alu instid0(VALU_DEP_1) | instskip(NEXT) | instid1(VALU_DEP_1)
	v_fma_f32 v11, v114, v118, -v11
	v_add_f32_e32 v9, v9, v11
	v_mul_f32_e32 v11, v117, v121
	s_delay_alu instid0(VALU_DEP_1)
	v_fma_f32 v11, v116, v120, -v11
	ds_load_2addr_b64 v[106:109], v7 offset0:97 offset1:98
	ds_load_2addr_b64 v[110:113], v7 offset0:99 offset1:100
	;; [unrolled: 1-line block ×3, first 2 shown]
	ds_load_b64 v[118:119], v7 offset:824
	v_add_f32_e32 v9, v9, v11
	v_dual_mul_f32 v11, v123, v127 :: v_dual_mov_b32 v123, v244
	s_delay_alu instid0(VALU_DEP_1) | instskip(NEXT) | instid1(VALU_DEP_1)
	v_dual_fma_f32 v11, v122, v126, -v11 :: v_dual_mov_b32 v122, v245
	v_add_f32_e32 v9, v9, v11
	v_mul_f32_e32 v11, v125, v129
	s_delay_alu instid0(VALU_DEP_1) | instskip(NEXT) | instid1(VALU_DEP_1)
	v_dual_fma_f32 v11, v124, v128, -v11 :: v_dual_mov_b32 v124, v249
	v_add_f32_e32 v9, v9, v11
	v_mul_f32_e32 v11, v131, v135
	s_delay_alu instid0(VALU_DEP_3) | instskip(NEXT) | instid1(VALU_DEP_2)
	v_pk_mul_f32 v[122:123], v[122:123], v[124:125] op_sel_hi:[1,0]
	v_fma_f32 v11, v130, v134, -v11
	s_delay_alu instid0(VALU_DEP_2) | instskip(SKIP_1) | instid1(VALU_DEP_3)
	v_pk_fma_f32 v[124:125], v[244:245], v[248:249], v[122:123] neg_lo:[0,0,1] neg_hi:[0,0,1]
	v_pk_fma_f32 v[122:123], v[244:245], v[248:249], v[122:123] op_sel_hi:[1,0,1]
	v_add_f32_e32 v9, v9, v11
	s_delay_alu instid0(VALU_DEP_2) | instskip(SKIP_2) | instid1(VALU_DEP_2)
	v_dual_mul_f32 v11, v133, v137 :: v_dual_mov_b32 v125, v123
	s_wait_loadcnt_dscnt 0x303
	v_pk_mul_f32 v[122:123], v[106:107], v[250:251] op_sel:[1,1] op_sel_hi:[0,1]
	v_fma_f32 v11, v132, v136, -v11
	s_delay_alu instid0(VALU_DEP_1) | instskip(SKIP_1) | instid1(VALU_DEP_1)
	v_add_f32_e32 v9, v9, v11
	v_mul_f32_e32 v11, v139, v143
	v_fma_f32 v11, v138, v142, -v11
	s_delay_alu instid0(VALU_DEP_1) | instskip(SKIP_1) | instid1(VALU_DEP_1)
	v_add_f32_e32 v9, v9, v11
	v_mul_f32_e32 v11, v141, v145
	;; [unrolled: 4-line block ×25, first 2 shown]
	v_fma_f32 v11, v234, v238, -v11
	s_set_vgpr_msb 64                       ;  msbs: dst=1 src0=0 src1=0 src2=0
	s_delay_alu instid0(VALU_DEP_1) | instskip(SKIP_3) | instid1(VALU_DEP_1)
	v_dual_fmac_f32 v11 /*v267*/, v243, v246 :: v_dual_add_f32 v6 /*v262*/, v9, v11
	s_set_vgpr_msb 0                        ;  msbs: dst=0 src0=0 src1=0 src2=0
	v_mul_f32_e32 v9, v237, v241
	s_set_vgpr_msb 64                       ;  msbs: dst=1 src0=0 src1=0 src2=0
	v_fma_f32 v8 /*v264*/, v236, v240, -v9
	s_set_vgpr_msb 0                        ;  msbs: dst=0 src0=0 src1=0 src2=0
	v_mul_f32_e32 v9, v243, v247
	s_set_vgpr_msb 64                       ;  msbs: dst=1 src0=0 src1=0 src2=0
	s_delay_alu instid0(VALU_DEP_1) | instskip(SKIP_3) | instid1(VALU_DEP_1)
	v_fma_f32 v10 /*v266*/, v242, v246, -v9
	s_set_vgpr_msb 5                        ;  msbs: dst=0 src0=1 src1=1 src2=0
	v_pk_add_f32 v[120:121], v[6:7] /*v[262:263]*/, v[8:9] /*v[264:265]*/
	s_set_vgpr_msb 4                        ;  msbs: dst=0 src0=0 src1=1 src2=0
	v_pk_add_f32 v[120:121], v[120:121], v[10:11] /*v[266:267]*/
	s_set_vgpr_msb 0                        ;  msbs: dst=0 src0=0 src1=0 src2=0
	s_delay_alu instid0(VALU_DEP_1) | instskip(SKIP_2) | instid1(VALU_DEP_1)
	v_pk_add_f32 v[120:121], v[120:121], v[124:125]
	v_pk_fma_f32 v[124:125], v[106:107], v[250:251], v[122:123] neg_lo:[0,0,1] neg_hi:[0,0,1]
	v_pk_fma_f32 v[106:107], v[106:107], v[250:251], v[122:123] op_sel_hi:[1,0,1]
	v_dual_mov_b32 v122, v253 :: v_dual_mov_b32 v125, v107
	s_delay_alu instid0(VALU_DEP_1) | instskip(SKIP_1) | instid1(VALU_DEP_1)
	v_pk_add_f32 v[106:107], v[120:121], v[124:125]
	v_dual_mov_b32 v120, v109 :: v_dual_mov_b32 v121, v108
	v_pk_mul_f32 v[120:121], v[120:121], v[122:123] op_sel_hi:[1,0]
	s_delay_alu instid0(VALU_DEP_1) | instskip(SKIP_1) | instid1(VALU_DEP_1)
	v_pk_fma_f32 v[122:123], v[108:109], v[252:253], v[120:121] neg_lo:[0,0,1] neg_hi:[0,0,1]
	v_pk_fma_f32 v[108:109], v[108:109], v[252:253], v[120:121] op_sel_hi:[1,0,1]
	v_mov_b32_e32 v123, v109
	s_wait_loadcnt_dscnt 0x202
	v_pk_mul_f32 v[108:109], v[110:111], v[254:255] op_sel:[1,1] op_sel_hi:[0,1]
	s_delay_alu instid0(VALU_DEP_2) | instskip(NEXT) | instid1(VALU_DEP_2)
	v_pk_add_f32 v[106:107], v[106:107], v[122:123]
	v_pk_fma_f32 v[120:121], v[110:111], v[254:255], v[108:109] neg_lo:[0,0,1] neg_hi:[0,0,1]
	v_pk_fma_f32 v[108:109], v[110:111], v[254:255], v[108:109] op_sel_hi:[1,0,1]
	v_mov_b32_e32 v108, v113
	s_set_vgpr_msb 1                        ;  msbs: dst=0 src0=1 src1=0 src2=0
	v_mov_b32_e32 v110, v1 /*v257*/
	s_set_vgpr_msb 0                        ;  msbs: dst=0 src0=0 src1=0 src2=0
	v_dual_mov_b32 v121, v109 :: v_dual_mov_b32 v109, v112
	s_delay_alu instid0(VALU_DEP_1) | instskip(NEXT) | instid1(VALU_DEP_2)
	v_pk_add_f32 v[106:107], v[106:107], v[120:121]
	v_pk_mul_f32 v[108:109], v[108:109], v[110:111] op_sel_hi:[1,0]
	s_set_vgpr_msb 4                        ;  msbs: dst=0 src0=0 src1=1 src2=0
	s_delay_alu instid0(VALU_DEP_1) | instskip(SKIP_1) | instid1(VALU_DEP_1)
	v_pk_fma_f32 v[110:111], v[112:113], v[0:1] /*v[256:257]*/, v[108:109] neg_lo:[0,0,1] neg_hi:[0,0,1]
	v_pk_fma_f32 v[108:109], v[112:113], v[0:1] /*v[256:257]*/, v[108:109] op_sel_hi:[1,0,1]
	v_mov_b32_e32 v111, v109
	s_wait_loadcnt_dscnt 0x101
	v_pk_mul_f32 v[108:109], v[114:115], v[2:3] /*v[258:259]*/ op_sel:[1,1] op_sel_hi:[0,1]
	s_set_vgpr_msb 0                        ;  msbs: dst=0 src0=0 src1=0 src2=0
	s_delay_alu instid0(VALU_DEP_2) | instskip(SKIP_1) | instid1(VALU_DEP_2)
	v_pk_add_f32 v[106:107], v[106:107], v[110:111]
	s_set_vgpr_msb 4                        ;  msbs: dst=0 src0=0 src1=1 src2=0
	v_pk_fma_f32 v[110:111], v[114:115], v[2:3] /*v[258:259]*/, v[108:109] neg_lo:[0,0,1] neg_hi:[0,0,1]
	v_pk_fma_f32 v[108:109], v[114:115], v[2:3] /*v[258:259]*/, v[108:109] op_sel_hi:[1,0,1]
	s_delay_alu instid0(VALU_DEP_1) | instskip(SKIP_2) | instid1(VALU_DEP_2)
	v_dual_mov_b32 v108, v117 :: v_dual_mov_b32 v111, v109
	v_mov_b32_e32 v109, v116
	s_set_vgpr_msb 0                        ;  msbs: dst=0 src0=0 src1=0 src2=0
	v_pk_add_f32 v[106:107], v[106:107], v[110:111]
	s_set_vgpr_msb 1                        ;  msbs: dst=0 src0=1 src1=0 src2=0
	v_mov_b32_e32 v110, v5 /*v261*/
	s_set_vgpr_msb 0                        ;  msbs: dst=0 src0=0 src1=0 src2=0
	s_delay_alu instid0(VALU_DEP_1) | instskip(SKIP_1) | instid1(VALU_DEP_1)
	v_pk_mul_f32 v[108:109], v[108:109], v[110:111] op_sel_hi:[1,0]
	s_set_vgpr_msb 4                        ;  msbs: dst=0 src0=0 src1=1 src2=0
	v_pk_fma_f32 v[110:111], v[116:117], v[4:5] /*v[260:261]*/, v[108:109] neg_lo:[0,0,1] neg_hi:[0,0,1]
	v_pk_fma_f32 v[108:109], v[116:117], v[4:5] /*v[260:261]*/, v[108:109] op_sel_hi:[1,0,1]
	s_delay_alu instid0(VALU_DEP_1) | instskip(SKIP_3) | instid1(VALU_DEP_2)
	v_mov_b32_e32 v111, v109
	s_wait_loadcnt_dscnt 0x0
	v_pk_mul_f32 v[108:109], v[118:119], v[12:13] /*v[268:269]*/ op_sel:[1,1] op_sel_hi:[0,1]
	s_set_vgpr_msb 0                        ;  msbs: dst=0 src0=0 src1=0 src2=0
	v_pk_add_f32 v[106:107], v[106:107], v[110:111]
	s_set_vgpr_msb 4                        ;  msbs: dst=0 src0=0 src1=1 src2=0
	s_delay_alu instid0(VALU_DEP_2) | instskip(SKIP_1) | instid1(VALU_DEP_1)
	v_pk_fma_f32 v[110:111], v[118:119], v[12:13] /*v[268:269]*/, v[108:109] neg_lo:[0,0,1] neg_hi:[0,0,1]
	v_pk_fma_f32 v[108:109], v[118:119], v[12:13] /*v[268:269]*/, v[108:109] op_sel_hi:[1,0,1]
	v_mov_b32_e32 v111, v109
	scratch_load_b64 v[108:109], off, off offset:64
	s_set_vgpr_msb 0                        ;  msbs: dst=0 src0=0 src1=0 src2=0
	v_pk_add_f32 v[106:107], v[106:107], v[110:111]
	s_wait_loadcnt 0x0
	s_delay_alu instid0(VALU_DEP_1)
	v_pk_add_f32 v[106:107], v[108:109], v[106:107] neg_lo:[0,1] neg_hi:[0,1]
	scratch_store_b64 off, v[106:107], off offset:64
	s_wait_xcnt 0x0
	v_cmpx_lt_u32_e32 7, v0
	s_cbranch_execz .LBB115_311
; %bb.310:
	scratch_load_b64 v[106:107], off, off offset:56
	v_mov_b64_e32 v[108:109], 0
	scratch_store_b64 off, v[108:109], off offset:56
	s_wait_loadcnt 0x0
	ds_store_b64 v1, v[106:107]
.LBB115_311:
	s_wait_xcnt 0x0
	s_or_b32 exec_lo, exec_lo, s0
	s_wait_storecnt_dscnt 0x0
	s_barrier_signal -1
	s_barrier_wait -1
	ds_load_b128 v[106:109], v7 offset:480
	ds_load_b128 v[110:113], v7 offset:496
	;; [unrolled: 1-line block ×4, first 2 shown]
	s_clause 0x11
	scratch_load_b128 v[122:125], off, off offset:64
	scratch_load_b128 v[126:129], off, off offset:80
	;; [unrolled: 1-line block ×18, first 2 shown]
	ds_load_b128 v[138:141], v7 offset:544
	ds_load_b128 v[146:149], v7 offset:560
	;; [unrolled: 1-line block ×14, first 2 shown]
	s_clause 0x4
	scratch_load_b128 v[250:253], off, off offset:352
	scratch_load_b128 v[254:257], off, off offset:368
	s_set_vgpr_msb 64                       ;  msbs: dst=1 src0=0 src1=0 src2=0
	scratch_load_b128 v[2:5] /*v[258:261]*/, off, off offset:384
	scratch_load_b128 v[6:9] /*v[262:265]*/, off, off offset:400
	s_mov_b32 s0, exec_lo
	s_wait_loadcnt_dscnt 0x1511
	s_set_vgpr_msb 0                        ;  msbs: dst=0 src0=0 src1=0 src2=0
	v_dual_mul_f32 v9, v106, v123 :: v_dual_mul_f32 v11, v108, v125
	s_delay_alu instid0(VALU_DEP_1) | instskip(NEXT) | instid1(VALU_DEP_1)
	v_dual_fmac_f32 v9, v107, v122 :: v_dual_fmac_f32 v11, v109, v124
	v_add_f32_e32 v9, 0, v9
	s_delay_alu instid0(VALU_DEP_1)
	v_add_f32_e32 v9, v9, v11
	s_wait_loadcnt_dscnt 0x1410
	v_mul_f32_e32 v11, v110, v127
	s_wait_loadcnt_dscnt 0x40a
	s_set_vgpr_msb 64                       ;  msbs: dst=1 src0=0 src1=0 src2=0
	v_dual_mul_f32 v13 /*v269*/, v242, v247 :: v_dual_mul_f32 v15 /*v271*/, v244, v249
	s_set_vgpr_msb 0                        ;  msbs: dst=0 src0=0 src1=0 src2=0
	v_fmac_f32_e32 v11, v111, v126
	s_set_vgpr_msb 64                       ;  msbs: dst=1 src0=0 src1=0 src2=0
	s_delay_alu instid0(VALU_DEP_2) | instskip(SKIP_1) | instid1(VALU_DEP_2)
	v_dual_fmac_f32 v13 /*v269*/, v243, v246 :: v_dual_fmac_f32 v15 /*v271*/, v245, v248
	s_set_vgpr_msb 0                        ;  msbs: dst=0 src0=0 src1=0 src2=0
	v_dual_add_f32 v9, v9, v11 :: v_dual_mul_f32 v11, v112, v129
	s_delay_alu instid0(VALU_DEP_1) | instskip(NEXT) | instid1(VALU_DEP_1)
	v_fmac_f32_e32 v11, v113, v128
	v_add_f32_e32 v9, v9, v11
	v_mul_f32_e32 v11, v114, v131
	s_delay_alu instid0(VALU_DEP_1) | instskip(NEXT) | instid1(VALU_DEP_1)
	v_fmac_f32_e32 v11, v115, v130
	v_dual_add_f32 v9, v9, v11 :: v_dual_mul_f32 v11, v116, v133
	s_delay_alu instid0(VALU_DEP_1) | instskip(NEXT) | instid1(VALU_DEP_1)
	v_fmac_f32_e32 v11, v117, v132
	v_add_f32_e32 v9, v9, v11
	v_mul_f32_e32 v11, v118, v135
	s_delay_alu instid0(VALU_DEP_1) | instskip(NEXT) | instid1(VALU_DEP_1)
	v_fmac_f32_e32 v11, v119, v134
	v_dual_add_f32 v9, v9, v11 :: v_dual_mul_f32 v11, v120, v137
	s_delay_alu instid0(VALU_DEP_1) | instskip(NEXT) | instid1(VALU_DEP_1)
	v_fmac_f32_e32 v11, v121, v136
	v_add_f32_e32 v9, v9, v11
	v_mul_f32_e32 v11, v138, v143
	s_delay_alu instid0(VALU_DEP_1) | instskip(NEXT) | instid1(VALU_DEP_1)
	v_fmac_f32_e32 v11, v139, v142
	v_dual_add_f32 v9, v9, v11 :: v_dual_mul_f32 v11, v140, v145
	s_delay_alu instid0(VALU_DEP_1) | instskip(NEXT) | instid1(VALU_DEP_1)
	v_fmac_f32_e32 v11, v141, v144
	v_add_f32_e32 v9, v9, v11
	v_mul_f32_e32 v11, v146, v151
	s_delay_alu instid0(VALU_DEP_1) | instskip(NEXT) | instid1(VALU_DEP_1)
	v_fmac_f32_e32 v11, v147, v150
	v_dual_add_f32 v9, v9, v11 :: v_dual_mul_f32 v11, v148, v153
	s_delay_alu instid0(VALU_DEP_1) | instskip(NEXT) | instid1(VALU_DEP_1)
	v_fmac_f32_e32 v11, v149, v152
	v_add_f32_e32 v9, v9, v11
	s_wait_dscnt 0x9
	v_mul_f32_e32 v11, v154, v159
	s_delay_alu instid0(VALU_DEP_1) | instskip(NEXT) | instid1(VALU_DEP_1)
	v_fmac_f32_e32 v11, v155, v158
	v_dual_add_f32 v9, v9, v11 :: v_dual_mul_f32 v11, v156, v161
	s_delay_alu instid0(VALU_DEP_1) | instskip(NEXT) | instid1(VALU_DEP_1)
	v_fmac_f32_e32 v11, v157, v160
	v_add_f32_e32 v9, v9, v11
	s_wait_dscnt 0x8
	v_mul_f32_e32 v11, v162, v167
	s_delay_alu instid0(VALU_DEP_1) | instskip(NEXT) | instid1(VALU_DEP_1)
	v_fmac_f32_e32 v11, v163, v166
	v_dual_add_f32 v9, v9, v11 :: v_dual_mul_f32 v11, v164, v169
	s_delay_alu instid0(VALU_DEP_1) | instskip(NEXT) | instid1(VALU_DEP_1)
	v_fmac_f32_e32 v11, v165, v168
	v_add_f32_e32 v9, v9, v11
	s_wait_dscnt 0x7
	v_mul_f32_e32 v11, v170, v175
	s_delay_alu instid0(VALU_DEP_1) | instskip(NEXT) | instid1(VALU_DEP_1)
	v_fmac_f32_e32 v11, v171, v174
	v_dual_add_f32 v9, v9, v11 :: v_dual_mul_f32 v11, v172, v177
	s_delay_alu instid0(VALU_DEP_1) | instskip(NEXT) | instid1(VALU_DEP_1)
	v_fmac_f32_e32 v11, v173, v176
	v_add_f32_e32 v9, v9, v11
	s_wait_dscnt 0x6
	v_mul_f32_e32 v11, v178, v183
	s_delay_alu instid0(VALU_DEP_1) | instskip(NEXT) | instid1(VALU_DEP_1)
	v_fmac_f32_e32 v11, v179, v182
	v_dual_add_f32 v9, v9, v11 :: v_dual_mul_f32 v11, v180, v185
	s_delay_alu instid0(VALU_DEP_1) | instskip(NEXT) | instid1(VALU_DEP_1)
	v_fmac_f32_e32 v11, v181, v184
	v_add_f32_e32 v9, v9, v11
	s_wait_dscnt 0x5
	v_mul_f32_e32 v11, v186, v191
	s_delay_alu instid0(VALU_DEP_1) | instskip(NEXT) | instid1(VALU_DEP_1)
	v_fmac_f32_e32 v11, v187, v190
	v_dual_add_f32 v9, v9, v11 :: v_dual_mul_f32 v11, v188, v193
	s_delay_alu instid0(VALU_DEP_1) | instskip(NEXT) | instid1(VALU_DEP_1)
	v_fmac_f32_e32 v11, v189, v192
	v_add_f32_e32 v9, v9, v11
	s_wait_dscnt 0x4
	v_mul_f32_e32 v11, v194, v199
	s_delay_alu instid0(VALU_DEP_1) | instskip(NEXT) | instid1(VALU_DEP_1)
	v_fmac_f32_e32 v11, v195, v198
	v_dual_add_f32 v9, v9, v11 :: v_dual_mul_f32 v11, v196, v201
	s_delay_alu instid0(VALU_DEP_1) | instskip(NEXT) | instid1(VALU_DEP_1)
	v_fmac_f32_e32 v11, v197, v200
	v_add_f32_e32 v9, v9, v11
	s_wait_dscnt 0x3
	v_mul_f32_e32 v11, v202, v207
	s_delay_alu instid0(VALU_DEP_1) | instskip(NEXT) | instid1(VALU_DEP_1)
	v_fmac_f32_e32 v11, v203, v206
	v_dual_add_f32 v9, v9, v11 :: v_dual_mul_f32 v11, v204, v209
	s_delay_alu instid0(VALU_DEP_1) | instskip(NEXT) | instid1(VALU_DEP_1)
	v_fmac_f32_e32 v11, v205, v208
	v_add_f32_e32 v9, v9, v11
	s_wait_dscnt 0x2
	v_mul_f32_e32 v11, v210, v215
	s_delay_alu instid0(VALU_DEP_1) | instskip(NEXT) | instid1(VALU_DEP_1)
	v_fmac_f32_e32 v11, v211, v214
	v_dual_add_f32 v9, v9, v11 :: v_dual_mul_f32 v11, v212, v217
	s_delay_alu instid0(VALU_DEP_1) | instskip(NEXT) | instid1(VALU_DEP_1)
	v_fmac_f32_e32 v11, v213, v216
	v_add_f32_e32 v9, v9, v11
	s_wait_dscnt 0x1
	v_mul_f32_e32 v11, v218, v223
	s_delay_alu instid0(VALU_DEP_1) | instskip(NEXT) | instid1(VALU_DEP_1)
	v_fmac_f32_e32 v11, v219, v222
	v_dual_add_f32 v9, v9, v11 :: v_dual_mul_f32 v11, v220, v225
	s_delay_alu instid0(VALU_DEP_1) | instskip(NEXT) | instid1(VALU_DEP_1)
	v_fmac_f32_e32 v11, v221, v224
	v_add_f32_e32 v9, v9, v11
	s_wait_dscnt 0x0
	v_mul_f32_e32 v11, v226, v231
	s_delay_alu instid0(VALU_DEP_1) | instskip(NEXT) | instid1(VALU_DEP_1)
	v_fmac_f32_e32 v11, v227, v230
	v_dual_add_f32 v9, v9, v11 :: v_dual_mul_f32 v11, v228, v233
	s_delay_alu instid0(VALU_DEP_1) | instskip(NEXT) | instid1(VALU_DEP_1)
	v_fmac_f32_e32 v11, v229, v232
	v_add_f32_e32 v9, v9, v11
	v_mul_f32_e32 v11, v234, v239
	s_delay_alu instid0(VALU_DEP_1) | instskip(NEXT) | instid1(VALU_DEP_1)
	v_fmac_f32_e32 v11, v235, v238
	v_dual_add_f32 v9, v9, v11 :: v_dual_mul_f32 v11, v236, v241
	s_delay_alu instid0(VALU_DEP_1) | instskip(SKIP_1) | instid1(VALU_DEP_1)
	v_fmac_f32_e32 v11, v237, v240
	s_set_vgpr_msb 64                       ;  msbs: dst=1 src0=0 src1=0 src2=0
	v_add_f32_e32 v11 /*v267*/, v9, v11
	s_set_vgpr_msb 0                        ;  msbs: dst=0 src0=0 src1=0 src2=0
	v_dual_mul_f32 v9, v107, v123 :: v_dual_mul_f32 v11, v109, v125
	s_delay_alu instid0(VALU_DEP_1) | instskip(NEXT) | instid1(VALU_DEP_1)
	v_dual_fma_f32 v9, v106, v122, -v9 :: v_dual_fma_f32 v11, v108, v124, -v11
	v_add_f32_e32 v9, 0, v9
	s_delay_alu instid0(VALU_DEP_1) | instskip(SKIP_1) | instid1(VALU_DEP_1)
	v_add_f32_e32 v9, v9, v11
	v_mul_f32_e32 v11, v111, v127
	v_fma_f32 v11, v110, v126, -v11
	s_delay_alu instid0(VALU_DEP_1) | instskip(SKIP_1) | instid1(VALU_DEP_1)
	v_add_f32_e32 v9, v9, v11
	v_mul_f32_e32 v11, v113, v129
	v_fma_f32 v11, v112, v128, -v11
	;; [unrolled: 4-line block ×6, first 2 shown]
	ds_load_b128 v[106:109], v7 offset:768
	ds_load_b128 v[110:113], v7 offset:784
	ds_load_b128 v[114:117], v7 offset:800
	ds_load_b128 v[118:121], v7 offset:816
	v_add_f32_e32 v9, v9, v11
	v_mul_f32_e32 v11, v139, v143
	s_delay_alu instid0(VALU_DEP_1) | instskip(NEXT) | instid1(VALU_DEP_1)
	v_fma_f32 v11, v138, v142, -v11
	v_add_f32_e32 v9, v9, v11
	v_mul_f32_e32 v11, v141, v145
	s_wait_loadcnt_dscnt 0x303
	v_pk_mul_f32 v[124:125], v[106:107], v[250:251] op_sel:[1,1] op_sel_hi:[0,1]
	s_delay_alu instid0(VALU_DEP_2) | instskip(NEXT) | instid1(VALU_DEP_2)
	v_fma_f32 v11, v140, v144, -v11
	v_pk_fma_f32 v[126:127], v[106:107], v[250:251], v[124:125] neg_lo:[0,0,1] neg_hi:[0,0,1]
	v_pk_fma_f32 v[106:107], v[106:107], v[250:251], v[124:125] op_sel_hi:[1,0,1]
	v_mov_b32_e32 v124, v253
	s_delay_alu instid0(VALU_DEP_4) | instskip(SKIP_1) | instid1(VALU_DEP_1)
	v_add_f32_e32 v9, v9, v11
	v_mul_f32_e32 v11, v147, v151
	v_dual_mov_b32 v127, v107 :: v_dual_fma_f32 v11, v146, v150, -v11
	s_delay_alu instid0(VALU_DEP_1) | instskip(SKIP_1) | instid1(VALU_DEP_1)
	v_add_f32_e32 v9, v9, v11
	v_mul_f32_e32 v11, v149, v153
	v_fma_f32 v11, v148, v152, -v11
	s_delay_alu instid0(VALU_DEP_1) | instskip(SKIP_1) | instid1(VALU_DEP_1)
	v_add_f32_e32 v9, v9, v11
	v_mul_f32_e32 v11, v155, v159
	v_fma_f32 v11, v154, v158, -v11
	;; [unrolled: 4-line block ×23, first 2 shown]
	s_set_vgpr_msb 64                       ;  msbs: dst=1 src0=0 src1=0 src2=0
	s_delay_alu instid0(VALU_DEP_1) | instskip(SKIP_3) | instid1(VALU_DEP_1)
	v_add_f32_e32 v10 /*v266*/, v9, v11
	s_set_vgpr_msb 0                        ;  msbs: dst=0 src0=0 src1=0 src2=0
	v_mul_f32_e32 v9, v243, v247
	s_set_vgpr_msb 64                       ;  msbs: dst=1 src0=0 src1=0 src2=0
	v_fma_f32 v12 /*v268*/, v242, v246, -v9
	s_set_vgpr_msb 0                        ;  msbs: dst=0 src0=0 src1=0 src2=0
	v_mul_f32_e32 v9, v245, v249
	s_set_vgpr_msb 5                        ;  msbs: dst=0 src0=1 src1=1 src2=0
	s_delay_alu instid0(VALU_DEP_2) | instskip(SKIP_1) | instid1(VALU_DEP_2)
	v_pk_add_f32 v[122:123], v[10:11] /*v[266:267]*/, v[12:13] /*v[268:269]*/
	s_set_vgpr_msb 64                       ;  msbs: dst=1 src0=0 src1=0 src2=0
	v_fma_f32 v14 /*v270*/, v244, v248, -v9
	s_set_vgpr_msb 4                        ;  msbs: dst=0 src0=0 src1=1 src2=0
	s_delay_alu instid0(VALU_DEP_1) | instskip(SKIP_1) | instid1(VALU_DEP_1)
	v_pk_add_f32 v[122:123], v[122:123], v[14:15] /*v[270:271]*/
	s_set_vgpr_msb 0                        ;  msbs: dst=0 src0=0 src1=0 src2=0
	v_pk_add_f32 v[106:107], v[122:123], v[126:127]
	v_dual_mov_b32 v122, v109 :: v_dual_mov_b32 v123, v108
	s_delay_alu instid0(VALU_DEP_1) | instskip(NEXT) | instid1(VALU_DEP_1)
	v_pk_mul_f32 v[122:123], v[122:123], v[124:125] op_sel_hi:[1,0]
	v_pk_fma_f32 v[124:125], v[108:109], v[252:253], v[122:123] neg_lo:[0,0,1] neg_hi:[0,0,1]
	v_pk_fma_f32 v[108:109], v[108:109], v[252:253], v[122:123] op_sel_hi:[1,0,1]
	s_delay_alu instid0(VALU_DEP_1) | instskip(SKIP_2) | instid1(VALU_DEP_2)
	v_mov_b32_e32 v125, v109
	s_wait_loadcnt_dscnt 0x202
	v_pk_mul_f32 v[108:109], v[110:111], v[254:255] op_sel:[1,1] op_sel_hi:[0,1]
	v_pk_add_f32 v[106:107], v[106:107], v[124:125]
	s_delay_alu instid0(VALU_DEP_2)
	v_pk_fma_f32 v[122:123], v[110:111], v[254:255], v[108:109] neg_lo:[0,0,1] neg_hi:[0,0,1]
	v_pk_fma_f32 v[108:109], v[110:111], v[254:255], v[108:109] op_sel_hi:[1,0,1]
	v_mov_b32_e32 v108, v113
	s_set_vgpr_msb 1                        ;  msbs: dst=0 src0=1 src1=0 src2=0
	v_mov_b32_e32 v110, v1 /*v257*/
	s_set_vgpr_msb 0                        ;  msbs: dst=0 src0=0 src1=0 src2=0
	v_dual_mov_b32 v123, v109 :: v_dual_mov_b32 v109, v112
	s_delay_alu instid0(VALU_DEP_1) | instskip(NEXT) | instid1(VALU_DEP_2)
	v_pk_add_f32 v[106:107], v[106:107], v[122:123]
	v_pk_mul_f32 v[108:109], v[108:109], v[110:111] op_sel_hi:[1,0]
	s_set_vgpr_msb 4                        ;  msbs: dst=0 src0=0 src1=1 src2=0
	s_delay_alu instid0(VALU_DEP_1) | instskip(SKIP_1) | instid1(VALU_DEP_1)
	v_pk_fma_f32 v[110:111], v[112:113], v[0:1] /*v[256:257]*/, v[108:109] neg_lo:[0,0,1] neg_hi:[0,0,1]
	v_pk_fma_f32 v[108:109], v[112:113], v[0:1] /*v[256:257]*/, v[108:109] op_sel_hi:[1,0,1]
	v_mov_b32_e32 v111, v109
	s_wait_loadcnt_dscnt 0x101
	v_pk_mul_f32 v[108:109], v[114:115], v[2:3] /*v[258:259]*/ op_sel:[1,1] op_sel_hi:[0,1]
	s_set_vgpr_msb 0                        ;  msbs: dst=0 src0=0 src1=0 src2=0
	s_delay_alu instid0(VALU_DEP_2) | instskip(SKIP_1) | instid1(VALU_DEP_2)
	v_pk_add_f32 v[106:107], v[106:107], v[110:111]
	s_set_vgpr_msb 4                        ;  msbs: dst=0 src0=0 src1=1 src2=0
	v_pk_fma_f32 v[110:111], v[114:115], v[2:3] /*v[258:259]*/, v[108:109] neg_lo:[0,0,1] neg_hi:[0,0,1]
	v_pk_fma_f32 v[108:109], v[114:115], v[2:3] /*v[258:259]*/, v[108:109] op_sel_hi:[1,0,1]
	s_delay_alu instid0(VALU_DEP_1) | instskip(SKIP_2) | instid1(VALU_DEP_2)
	v_dual_mov_b32 v108, v117 :: v_dual_mov_b32 v111, v109
	v_mov_b32_e32 v109, v116
	s_set_vgpr_msb 0                        ;  msbs: dst=0 src0=0 src1=0 src2=0
	v_pk_add_f32 v[106:107], v[106:107], v[110:111]
	s_set_vgpr_msb 1                        ;  msbs: dst=0 src0=1 src1=0 src2=0
	v_mov_b32_e32 v110, v5 /*v261*/
	s_set_vgpr_msb 0                        ;  msbs: dst=0 src0=0 src1=0 src2=0
	s_delay_alu instid0(VALU_DEP_1) | instskip(SKIP_1) | instid1(VALU_DEP_1)
	v_pk_mul_f32 v[108:109], v[108:109], v[110:111] op_sel_hi:[1,0]
	s_set_vgpr_msb 4                        ;  msbs: dst=0 src0=0 src1=1 src2=0
	v_pk_fma_f32 v[110:111], v[116:117], v[4:5] /*v[260:261]*/, v[108:109] neg_lo:[0,0,1] neg_hi:[0,0,1]
	v_pk_fma_f32 v[108:109], v[116:117], v[4:5] /*v[260:261]*/, v[108:109] op_sel_hi:[1,0,1]
	s_delay_alu instid0(VALU_DEP_1) | instskip(SKIP_3) | instid1(VALU_DEP_2)
	v_mov_b32_e32 v111, v109
	s_wait_loadcnt_dscnt 0x0
	v_pk_mul_f32 v[108:109], v[118:119], v[6:7] /*v[262:263]*/ op_sel:[1,1] op_sel_hi:[0,1]
	s_set_vgpr_msb 0                        ;  msbs: dst=0 src0=0 src1=0 src2=0
	v_pk_add_f32 v[106:107], v[106:107], v[110:111]
	s_set_vgpr_msb 4                        ;  msbs: dst=0 src0=0 src1=1 src2=0
	s_delay_alu instid0(VALU_DEP_2) | instskip(SKIP_1) | instid1(VALU_DEP_1)
	v_pk_fma_f32 v[110:111], v[118:119], v[6:7] /*v[262:263]*/, v[108:109] neg_lo:[0,0,1] neg_hi:[0,0,1]
	v_pk_fma_f32 v[108:109], v[118:119], v[6:7] /*v[262:263]*/, v[108:109] op_sel_hi:[1,0,1]
	v_dual_mov_b32 v108, v121 :: v_dual_mov_b32 v111, v109
	v_mov_b32_e32 v109, v120
	s_set_vgpr_msb 0                        ;  msbs: dst=0 src0=0 src1=0 src2=0
	s_delay_alu instid0(VALU_DEP_2) | instskip(SKIP_3) | instid1(VALU_DEP_1)
	v_pk_add_f32 v[106:107], v[106:107], v[110:111]
	s_set_vgpr_msb 1                        ;  msbs: dst=0 src0=1 src1=0 src2=0
	v_mov_b32_e32 v110, v9 /*v265*/
	s_set_vgpr_msb 0                        ;  msbs: dst=0 src0=0 src1=0 src2=0
	v_pk_mul_f32 v[108:109], v[108:109], v[110:111] op_sel_hi:[1,0]
	s_set_vgpr_msb 4                        ;  msbs: dst=0 src0=0 src1=1 src2=0
	s_delay_alu instid0(VALU_DEP_1) | instskip(SKIP_1) | instid1(VALU_DEP_1)
	v_pk_fma_f32 v[110:111], v[120:121], v[8:9] /*v[264:265]*/, v[108:109] neg_lo:[0,0,1] neg_hi:[0,0,1]
	v_pk_fma_f32 v[108:109], v[120:121], v[8:9] /*v[264:265]*/, v[108:109] op_sel_hi:[1,0,1]
	v_mov_b32_e32 v111, v109
	scratch_load_b64 v[108:109], off, off offset:56
	s_set_vgpr_msb 0                        ;  msbs: dst=0 src0=0 src1=0 src2=0
	v_pk_add_f32 v[106:107], v[106:107], v[110:111]
	s_wait_loadcnt 0x0
	s_delay_alu instid0(VALU_DEP_1)
	v_pk_add_f32 v[106:107], v[108:109], v[106:107] neg_lo:[0,1] neg_hi:[0,1]
	scratch_store_b64 off, v[106:107], off offset:56
	s_wait_xcnt 0x0
	v_cmpx_lt_u32_e32 6, v0
	s_cbranch_execz .LBB115_313
; %bb.312:
	scratch_load_b64 v[106:107], off, off offset:48
	v_mov_b64_e32 v[108:109], 0
	scratch_store_b64 off, v[108:109], off offset:48
	s_wait_loadcnt 0x0
	ds_store_b64 v1, v[106:107]
.LBB115_313:
	s_wait_xcnt 0x0
	s_or_b32 exec_lo, exec_lo, s0
	s_wait_storecnt_dscnt 0x0
	s_barrier_signal -1
	s_barrier_wait -1
	s_clause 0xf
	scratch_load_b128 v[110:113], off, off offset:56
	scratch_load_b128 v[118:121], off, off offset:72
	scratch_load_b128 v[126:129], off, off offset:88
	scratch_load_b128 v[134:137], off, off offset:104
	scratch_load_b128 v[142:145], off, off offset:120
	scratch_load_b128 v[150:153], off, off offset:136
	scratch_load_b128 v[158:161], off, off offset:152
	scratch_load_b128 v[166:169], off, off offset:168
	scratch_load_b128 v[174:177], off, off offset:184
	scratch_load_b128 v[182:185], off, off offset:200
	scratch_load_b128 v[190:193], off, off offset:216
	scratch_load_b128 v[198:201], off, off offset:232
	scratch_load_b128 v[206:209], off, off offset:248
	scratch_load_b128 v[214:217], off, off offset:264
	scratch_load_b128 v[222:225], off, off offset:280
	scratch_load_b128 v[230:233], off, off offset:296
	v_mov_b32_e32 v7, 0
	s_clause 0x2
	scratch_load_b128 v[238:241], off, off offset:312
	scratch_load_b128 v[246:249], off, off offset:328
	;; [unrolled: 1-line block ×3, first 2 shown]
	s_mov_b32 s0, exec_lo
	ds_load_2addr_b64 v[106:109], v7 offset0:59 offset1:60
	ds_load_2addr_b64 v[114:117], v7 offset0:61 offset1:62
	s_wait_loadcnt_dscnt 0x1201
	v_dual_mul_f32 v9, v106, v111 :: v_dual_mul_f32 v11, v108, v113
	ds_load_2addr_b64 v[122:125], v7 offset0:63 offset1:64
	ds_load_2addr_b64 v[130:133], v7 offset0:65 offset1:66
	;; [unrolled: 1-line block ×4, first 2 shown]
	v_dual_fmac_f32 v9, v107, v110 :: v_dual_fmac_f32 v11, v109, v112
	ds_load_2addr_b64 v[138:141], v7 offset0:67 offset1:68
	ds_load_2addr_b64 v[146:149], v7 offset0:69 offset1:70
	;; [unrolled: 1-line block ×3, first 2 shown]
	v_add_f32_e32 v9, 0, v9
	ds_load_2addr_b64 v[154:157], v7 offset0:71 offset1:72
	ds_load_2addr_b64 v[162:165], v7 offset0:73 offset1:74
	;; [unrolled: 1-line block ×4, first 2 shown]
	v_add_f32_e32 v9, v9, v11
	s_wait_loadcnt_dscnt 0x110b
	v_mul_f32_e32 v11, v114, v119
	ds_load_2addr_b64 v[186:189], v7 offset0:79 offset1:80
	ds_load_2addr_b64 v[194:197], v7 offset0:81 offset1:82
	;; [unrolled: 1-line block ×4, first 2 shown]
	v_fmac_f32_e32 v11, v115, v118
	ds_load_2addr_b64 v[218:221], v7 offset0:87 offset1:88
	ds_load_2addr_b64 v[226:229], v7 offset0:89 offset1:90
	s_set_vgpr_msb 64                       ;  msbs: dst=1 src0=0 src1=0 src2=0
	s_clause 0x3
	scratch_load_b128 v[2:5] /*v[258:261]*/, off, off offset:360
	scratch_load_b128 v[6:9] /*v[262:265]*/, off, off offset:376
	;; [unrolled: 1-line block ×3, first 2 shown]
	scratch_load_b64 v[20:21] /*v[276:277]*/, off, off offset:408
	s_wait_loadcnt_dscnt 0x50d
	v_mul_f32_e32 v17 /*v273*/, v244, v249
	s_set_vgpr_msb 0                        ;  msbs: dst=0 src0=0 src1=0 src2=0
	v_dual_add_f32 v9, v9, v11 :: v_dual_mul_f32 v11, v116, v121
	s_wait_loadcnt_dscnt 0x40a
	s_set_vgpr_msb 64                       ;  msbs: dst=1 src0=0 src1=0 src2=0
	v_dual_mul_f32 v19 /*v275*/, v250, v255 :: v_dual_fmac_f32 v17 /*v273*/, v245, v248
	s_set_vgpr_msb 0                        ;  msbs: dst=0 src0=0 src1=0 src2=0
	v_fmac_f32_e32 v11, v117, v120
	s_delay_alu instid0(VALU_DEP_1) | instskip(SKIP_1) | instid1(VALU_DEP_1)
	v_add_f32_e32 v9, v9, v11
	v_mul_f32_e32 v11, v122, v127
	v_fmac_f32_e32 v11, v123, v126
	s_delay_alu instid0(VALU_DEP_1) | instskip(NEXT) | instid1(VALU_DEP_1)
	v_dual_add_f32 v9, v9, v11 :: v_dual_mul_f32 v11, v124, v129
	v_fmac_f32_e32 v11, v125, v128
	s_delay_alu instid0(VALU_DEP_1) | instskip(SKIP_1) | instid1(VALU_DEP_1)
	v_add_f32_e32 v9, v9, v11
	v_mul_f32_e32 v11, v130, v135
	v_fmac_f32_e32 v11, v131, v134
	s_delay_alu instid0(VALU_DEP_1) | instskip(NEXT) | instid1(VALU_DEP_1)
	v_dual_add_f32 v9, v9, v11 :: v_dual_mul_f32 v11, v132, v137
	;; [unrolled: 7-line block ×4, first 2 shown]
	v_fmac_f32_e32 v11, v149, v152
	s_delay_alu instid0(VALU_DEP_1) | instskip(SKIP_2) | instid1(VALU_DEP_1)
	v_add_f32_e32 v9, v9, v11
	s_wait_dscnt 0x9
	v_mul_f32_e32 v11, v154, v159
	v_fmac_f32_e32 v11, v155, v158
	s_delay_alu instid0(VALU_DEP_1) | instskip(NEXT) | instid1(VALU_DEP_1)
	v_dual_add_f32 v9, v9, v11 :: v_dual_mul_f32 v11, v156, v161
	v_fmac_f32_e32 v11, v157, v160
	s_delay_alu instid0(VALU_DEP_1) | instskip(SKIP_2) | instid1(VALU_DEP_1)
	v_add_f32_e32 v9, v9, v11
	s_wait_dscnt 0x8
	v_mul_f32_e32 v11, v162, v167
	v_fmac_f32_e32 v11, v163, v166
	s_delay_alu instid0(VALU_DEP_1) | instskip(NEXT) | instid1(VALU_DEP_1)
	v_dual_add_f32 v9, v9, v11 :: v_dual_mul_f32 v11, v164, v169
	;; [unrolled: 8-line block ×10, first 2 shown]
	v_fmac_f32_e32 v11, v229, v232
	s_delay_alu instid0(VALU_DEP_1) | instskip(SKIP_1) | instid1(VALU_DEP_1)
	v_add_f32_e32 v9, v9, v11
	v_mul_f32_e32 v11, v234, v239
	v_fmac_f32_e32 v11, v235, v238
	s_delay_alu instid0(VALU_DEP_1) | instskip(NEXT) | instid1(VALU_DEP_1)
	v_dual_add_f32 v9, v9, v11 :: v_dual_mul_f32 v11, v236, v241
	v_fmac_f32_e32 v11, v237, v240
	s_delay_alu instid0(VALU_DEP_1) | instskip(SKIP_1) | instid1(VALU_DEP_1)
	v_add_f32_e32 v9, v9, v11
	v_mul_f32_e32 v11, v242, v247
	v_fmac_f32_e32 v11, v243, v246
	s_set_vgpr_msb 64                       ;  msbs: dst=1 src0=0 src1=0 src2=0
	s_delay_alu instid0(VALU_DEP_1) | instskip(SKIP_2) | instid1(VALU_DEP_1)
	v_add_f32_e32 v15 /*v271*/, v9, v11
	s_set_vgpr_msb 0                        ;  msbs: dst=0 src0=0 src1=0 src2=0
	v_dual_mul_f32 v9, v107, v111 :: v_dual_mul_f32 v11, v109, v113
	v_dual_fma_f32 v9, v106, v110, -v9 :: v_dual_fma_f32 v11, v108, v112, -v11
	s_delay_alu instid0(VALU_DEP_1) | instskip(NEXT) | instid1(VALU_DEP_1)
	v_add_f32_e32 v9, 0, v9
	v_add_f32_e32 v9, v9, v11
	v_mul_f32_e32 v11, v115, v119
	s_delay_alu instid0(VALU_DEP_1) | instskip(NEXT) | instid1(VALU_DEP_1)
	v_fma_f32 v11, v114, v118, -v11
	v_add_f32_e32 v9, v9, v11
	v_mul_f32_e32 v11, v117, v121
	s_delay_alu instid0(VALU_DEP_1)
	v_fma_f32 v11, v116, v120, -v11
	ds_load_2addr_b64 v[106:109], v7 offset0:97 offset1:98
	ds_load_2addr_b64 v[110:113], v7 offset0:99 offset1:100
	;; [unrolled: 1-line block ×3, first 2 shown]
	ds_load_b64 v[118:119], v7 offset:824
	v_add_f32_e32 v9, v9, v11
	v_dual_mul_f32 v11, v123, v127 :: v_dual_mov_b32 v123, v252
	s_delay_alu instid0(VALU_DEP_1) | instskip(NEXT) | instid1(VALU_DEP_1)
	v_dual_fma_f32 v11, v122, v126, -v11 :: v_dual_mov_b32 v122, v253
	v_add_f32_e32 v9, v9, v11
	v_mul_f32_e32 v11, v125, v129
	s_delay_alu instid0(VALU_DEP_1) | instskip(SKIP_3) | instid1(VALU_DEP_2)
	v_fma_f32 v11, v124, v128, -v11
	s_set_vgpr_msb 1                        ;  msbs: dst=0 src0=1 src1=0 src2=0
	v_mov_b32_e32 v124, v1 /*v257*/
	s_set_vgpr_msb 0                        ;  msbs: dst=0 src0=0 src1=0 src2=0
	v_add_f32_e32 v9, v9, v11
	v_mul_f32_e32 v11, v131, v135
	s_delay_alu instid0(VALU_DEP_3) | instskip(NEXT) | instid1(VALU_DEP_2)
	v_pk_mul_f32 v[122:123], v[122:123], v[124:125] op_sel_hi:[1,0]
	v_fma_f32 v11, v130, v134, -v11
	s_set_vgpr_msb 4                        ;  msbs: dst=0 src0=0 src1=1 src2=0
	s_delay_alu instid0(VALU_DEP_2) | instskip(SKIP_3) | instid1(VALU_DEP_2)
	v_pk_fma_f32 v[124:125], v[252:253], v[0:1] /*v[256:257]*/, v[122:123] neg_lo:[0,0,1] neg_hi:[0,0,1]
	v_pk_fma_f32 v[122:123], v[252:253], v[0:1] /*v[256:257]*/, v[122:123] op_sel_hi:[1,0,1]
	s_set_vgpr_msb 0                        ;  msbs: dst=0 src0=0 src1=0 src2=0
	v_add_f32_e32 v9, v9, v11
	v_dual_mul_f32 v11, v133, v137 :: v_dual_mov_b32 v125, v123
	s_wait_loadcnt_dscnt 0x303
	s_set_vgpr_msb 4                        ;  msbs: dst=0 src0=0 src1=1 src2=0
	v_pk_mul_f32 v[122:123], v[106:107], v[2:3] /*v[258:259]*/ op_sel:[1,1] op_sel_hi:[0,1]
	s_set_vgpr_msb 0                        ;  msbs: dst=0 src0=0 src1=0 src2=0
	v_fma_f32 v11, v132, v136, -v11
	s_delay_alu instid0(VALU_DEP_1) | instskip(SKIP_1) | instid1(VALU_DEP_1)
	v_add_f32_e32 v9, v9, v11
	v_mul_f32_e32 v11, v139, v143
	v_fma_f32 v11, v138, v142, -v11
	s_delay_alu instid0(VALU_DEP_1) | instskip(SKIP_1) | instid1(VALU_DEP_1)
	v_add_f32_e32 v9, v9, v11
	v_mul_f32_e32 v11, v141, v145
	v_fma_f32 v11, v140, v144, -v11
	s_delay_alu instid0(VALU_DEP_1) | instskip(SKIP_1) | instid1(VALU_DEP_1)
	v_add_f32_e32 v9, v9, v11
	v_mul_f32_e32 v11, v147, v151
	v_fma_f32 v11, v146, v150, -v11
	s_delay_alu instid0(VALU_DEP_1) | instskip(SKIP_1) | instid1(VALU_DEP_1)
	v_add_f32_e32 v9, v9, v11
	v_mul_f32_e32 v11, v149, v153
	v_fma_f32 v11, v148, v152, -v11
	s_delay_alu instid0(VALU_DEP_1) | instskip(SKIP_1) | instid1(VALU_DEP_1)
	v_add_f32_e32 v9, v9, v11
	v_mul_f32_e32 v11, v155, v159
	v_fma_f32 v11, v154, v158, -v11
	s_delay_alu instid0(VALU_DEP_1) | instskip(SKIP_1) | instid1(VALU_DEP_1)
	v_add_f32_e32 v9, v9, v11
	v_mul_f32_e32 v11, v157, v161
	v_fma_f32 v11, v156, v160, -v11
	s_delay_alu instid0(VALU_DEP_1) | instskip(SKIP_1) | instid1(VALU_DEP_1)
	v_add_f32_e32 v9, v9, v11
	v_mul_f32_e32 v11, v163, v167
	v_fma_f32 v11, v162, v166, -v11
	s_delay_alu instid0(VALU_DEP_1) | instskip(SKIP_1) | instid1(VALU_DEP_1)
	v_add_f32_e32 v9, v9, v11
	v_mul_f32_e32 v11, v165, v169
	v_fma_f32 v11, v164, v168, -v11
	s_delay_alu instid0(VALU_DEP_1) | instskip(SKIP_1) | instid1(VALU_DEP_1)
	v_add_f32_e32 v9, v9, v11
	v_mul_f32_e32 v11, v171, v175
	v_fma_f32 v11, v170, v174, -v11
	s_delay_alu instid0(VALU_DEP_1) | instskip(SKIP_1) | instid1(VALU_DEP_1)
	v_add_f32_e32 v9, v9, v11
	v_mul_f32_e32 v11, v173, v177
	v_fma_f32 v11, v172, v176, -v11
	s_delay_alu instid0(VALU_DEP_1) | instskip(SKIP_1) | instid1(VALU_DEP_1)
	v_add_f32_e32 v9, v9, v11
	v_mul_f32_e32 v11, v179, v183
	v_fma_f32 v11, v178, v182, -v11
	s_delay_alu instid0(VALU_DEP_1) | instskip(SKIP_1) | instid1(VALU_DEP_1)
	v_add_f32_e32 v9, v9, v11
	v_mul_f32_e32 v11, v181, v185
	v_fma_f32 v11, v180, v184, -v11
	s_delay_alu instid0(VALU_DEP_1) | instskip(SKIP_1) | instid1(VALU_DEP_1)
	v_add_f32_e32 v9, v9, v11
	v_mul_f32_e32 v11, v187, v191
	v_fma_f32 v11, v186, v190, -v11
	s_delay_alu instid0(VALU_DEP_1) | instskip(SKIP_1) | instid1(VALU_DEP_1)
	v_add_f32_e32 v9, v9, v11
	v_mul_f32_e32 v11, v189, v193
	v_fma_f32 v11, v188, v192, -v11
	s_delay_alu instid0(VALU_DEP_1) | instskip(SKIP_1) | instid1(VALU_DEP_1)
	v_add_f32_e32 v9, v9, v11
	v_mul_f32_e32 v11, v195, v199
	v_fma_f32 v11, v194, v198, -v11
	s_delay_alu instid0(VALU_DEP_1) | instskip(SKIP_1) | instid1(VALU_DEP_1)
	v_add_f32_e32 v9, v9, v11
	v_mul_f32_e32 v11, v197, v201
	v_fma_f32 v11, v196, v200, -v11
	s_delay_alu instid0(VALU_DEP_1) | instskip(SKIP_1) | instid1(VALU_DEP_1)
	v_add_f32_e32 v9, v9, v11
	v_mul_f32_e32 v11, v203, v207
	v_fma_f32 v11, v202, v206, -v11
	s_delay_alu instid0(VALU_DEP_1) | instskip(SKIP_1) | instid1(VALU_DEP_1)
	v_add_f32_e32 v9, v9, v11
	v_mul_f32_e32 v11, v205, v209
	v_fma_f32 v11, v204, v208, -v11
	s_delay_alu instid0(VALU_DEP_1) | instskip(SKIP_1) | instid1(VALU_DEP_1)
	v_add_f32_e32 v9, v9, v11
	v_mul_f32_e32 v11, v211, v215
	v_fma_f32 v11, v210, v214, -v11
	s_delay_alu instid0(VALU_DEP_1) | instskip(SKIP_1) | instid1(VALU_DEP_1)
	v_add_f32_e32 v9, v9, v11
	v_mul_f32_e32 v11, v213, v217
	v_fma_f32 v11, v212, v216, -v11
	s_delay_alu instid0(VALU_DEP_1) | instskip(SKIP_1) | instid1(VALU_DEP_1)
	v_add_f32_e32 v9, v9, v11
	v_mul_f32_e32 v11, v219, v223
	v_fma_f32 v11, v218, v222, -v11
	s_delay_alu instid0(VALU_DEP_1) | instskip(SKIP_1) | instid1(VALU_DEP_1)
	v_add_f32_e32 v9, v9, v11
	v_mul_f32_e32 v11, v221, v225
	v_fma_f32 v11, v220, v224, -v11
	s_delay_alu instid0(VALU_DEP_1) | instskip(SKIP_1) | instid1(VALU_DEP_1)
	v_add_f32_e32 v9, v9, v11
	v_mul_f32_e32 v11, v227, v231
	v_fma_f32 v11, v226, v230, -v11
	s_delay_alu instid0(VALU_DEP_1) | instskip(SKIP_1) | instid1(VALU_DEP_1)
	v_add_f32_e32 v9, v9, v11
	v_mul_f32_e32 v11, v229, v233
	v_fma_f32 v11, v228, v232, -v11
	s_delay_alu instid0(VALU_DEP_1) | instskip(SKIP_1) | instid1(VALU_DEP_1)
	v_add_f32_e32 v9, v9, v11
	v_mul_f32_e32 v11, v235, v239
	v_fma_f32 v11, v234, v238, -v11
	s_delay_alu instid0(VALU_DEP_1) | instskip(SKIP_1) | instid1(VALU_DEP_1)
	v_add_f32_e32 v9, v9, v11
	v_mul_f32_e32 v11, v237, v241
	v_fma_f32 v11, v236, v240, -v11
	s_delay_alu instid0(VALU_DEP_1) | instskip(SKIP_1) | instid1(VALU_DEP_1)
	v_add_f32_e32 v9, v9, v11
	v_mul_f32_e32 v11, v243, v247
	v_fma_f32 v11, v242, v246, -v11
	s_set_vgpr_msb 64                       ;  msbs: dst=1 src0=0 src1=0 src2=0
	s_delay_alu instid0(VALU_DEP_1) | instskip(SKIP_3) | instid1(VALU_DEP_1)
	v_dual_fmac_f32 v19 /*v275*/, v251, v254 :: v_dual_add_f32 v14 /*v270*/, v9, v11
	s_set_vgpr_msb 0                        ;  msbs: dst=0 src0=0 src1=0 src2=0
	v_mul_f32_e32 v9, v245, v249
	s_set_vgpr_msb 64                       ;  msbs: dst=1 src0=0 src1=0 src2=0
	v_fma_f32 v16 /*v272*/, v244, v248, -v9
	s_set_vgpr_msb 0                        ;  msbs: dst=0 src0=0 src1=0 src2=0
	v_mul_f32_e32 v9, v251, v255
	s_set_vgpr_msb 64                       ;  msbs: dst=1 src0=0 src1=0 src2=0
	s_delay_alu instid0(VALU_DEP_1) | instskip(SKIP_3) | instid1(VALU_DEP_1)
	v_fma_f32 v18 /*v274*/, v250, v254, -v9
	s_set_vgpr_msb 5                        ;  msbs: dst=0 src0=1 src1=1 src2=0
	v_pk_add_f32 v[120:121], v[14:15] /*v[270:271]*/, v[16:17] /*v[272:273]*/
	s_set_vgpr_msb 4                        ;  msbs: dst=0 src0=0 src1=1 src2=0
	v_pk_add_f32 v[120:121], v[120:121], v[18:19] /*v[274:275]*/
	s_set_vgpr_msb 0                        ;  msbs: dst=0 src0=0 src1=0 src2=0
	s_delay_alu instid0(VALU_DEP_1)
	v_pk_add_f32 v[120:121], v[120:121], v[124:125]
	s_set_vgpr_msb 4                        ;  msbs: dst=0 src0=0 src1=1 src2=0
	v_pk_fma_f32 v[124:125], v[106:107], v[2:3] /*v[258:259]*/, v[122:123] neg_lo:[0,0,1] neg_hi:[0,0,1]
	v_pk_fma_f32 v[106:107], v[106:107], v[2:3] /*v[258:259]*/, v[122:123] op_sel_hi:[1,0,1]
	s_set_vgpr_msb 1                        ;  msbs: dst=0 src0=1 src1=0 src2=0
	v_mov_b32_e32 v122, v5 /*v261*/
	s_set_vgpr_msb 0                        ;  msbs: dst=0 src0=0 src1=0 src2=0
	s_delay_alu instid0(VALU_DEP_2) | instskip(NEXT) | instid1(VALU_DEP_1)
	v_mov_b32_e32 v125, v107
	v_pk_add_f32 v[106:107], v[120:121], v[124:125]
	v_dual_mov_b32 v120, v109 :: v_dual_mov_b32 v121, v108
	s_delay_alu instid0(VALU_DEP_1) | instskip(SKIP_1) | instid1(VALU_DEP_1)
	v_pk_mul_f32 v[120:121], v[120:121], v[122:123] op_sel_hi:[1,0]
	s_set_vgpr_msb 4                        ;  msbs: dst=0 src0=0 src1=1 src2=0
	v_pk_fma_f32 v[122:123], v[108:109], v[4:5] /*v[260:261]*/, v[120:121] neg_lo:[0,0,1] neg_hi:[0,0,1]
	v_pk_fma_f32 v[108:109], v[108:109], v[4:5] /*v[260:261]*/, v[120:121] op_sel_hi:[1,0,1]
	s_delay_alu instid0(VALU_DEP_1) | instskip(SKIP_3) | instid1(VALU_DEP_2)
	v_mov_b32_e32 v123, v109
	s_wait_loadcnt_dscnt 0x202
	v_pk_mul_f32 v[108:109], v[110:111], v[6:7] /*v[262:263]*/ op_sel:[1,1] op_sel_hi:[0,1]
	s_set_vgpr_msb 0                        ;  msbs: dst=0 src0=0 src1=0 src2=0
	v_pk_add_f32 v[106:107], v[106:107], v[122:123]
	s_set_vgpr_msb 4                        ;  msbs: dst=0 src0=0 src1=1 src2=0
	s_delay_alu instid0(VALU_DEP_2)
	v_pk_fma_f32 v[120:121], v[110:111], v[6:7] /*v[262:263]*/, v[108:109] neg_lo:[0,0,1] neg_hi:[0,0,1]
	v_pk_fma_f32 v[108:109], v[110:111], v[6:7] /*v[262:263]*/, v[108:109] op_sel_hi:[1,0,1]
	v_mov_b32_e32 v108, v113
	s_set_vgpr_msb 1                        ;  msbs: dst=0 src0=1 src1=0 src2=0
	v_mov_b32_e32 v110, v9 /*v265*/
	s_set_vgpr_msb 0                        ;  msbs: dst=0 src0=0 src1=0 src2=0
	v_dual_mov_b32 v121, v109 :: v_dual_mov_b32 v109, v112
	s_delay_alu instid0(VALU_DEP_1) | instskip(NEXT) | instid1(VALU_DEP_2)
	v_pk_add_f32 v[106:107], v[106:107], v[120:121]
	v_pk_mul_f32 v[108:109], v[108:109], v[110:111] op_sel_hi:[1,0]
	s_set_vgpr_msb 4                        ;  msbs: dst=0 src0=0 src1=1 src2=0
	s_delay_alu instid0(VALU_DEP_1) | instskip(SKIP_1) | instid1(VALU_DEP_1)
	v_pk_fma_f32 v[110:111], v[112:113], v[8:9] /*v[264:265]*/, v[108:109] neg_lo:[0,0,1] neg_hi:[0,0,1]
	v_pk_fma_f32 v[108:109], v[112:113], v[8:9] /*v[264:265]*/, v[108:109] op_sel_hi:[1,0,1]
	v_mov_b32_e32 v111, v109
	s_wait_loadcnt_dscnt 0x101
	v_pk_mul_f32 v[108:109], v[114:115], v[10:11] /*v[266:267]*/ op_sel:[1,1] op_sel_hi:[0,1]
	s_set_vgpr_msb 0                        ;  msbs: dst=0 src0=0 src1=0 src2=0
	s_delay_alu instid0(VALU_DEP_2) | instskip(SKIP_1) | instid1(VALU_DEP_2)
	v_pk_add_f32 v[106:107], v[106:107], v[110:111]
	s_set_vgpr_msb 4                        ;  msbs: dst=0 src0=0 src1=1 src2=0
	v_pk_fma_f32 v[110:111], v[114:115], v[10:11] /*v[266:267]*/, v[108:109] neg_lo:[0,0,1] neg_hi:[0,0,1]
	v_pk_fma_f32 v[108:109], v[114:115], v[10:11] /*v[266:267]*/, v[108:109] op_sel_hi:[1,0,1]
	s_delay_alu instid0(VALU_DEP_1) | instskip(SKIP_2) | instid1(VALU_DEP_2)
	v_dual_mov_b32 v108, v117 :: v_dual_mov_b32 v111, v109
	v_mov_b32_e32 v109, v116
	s_set_vgpr_msb 0                        ;  msbs: dst=0 src0=0 src1=0 src2=0
	v_pk_add_f32 v[106:107], v[106:107], v[110:111]
	s_set_vgpr_msb 1                        ;  msbs: dst=0 src0=1 src1=0 src2=0
	v_mov_b32_e32 v110, v13 /*v269*/
	s_set_vgpr_msb 0                        ;  msbs: dst=0 src0=0 src1=0 src2=0
	s_delay_alu instid0(VALU_DEP_1) | instskip(SKIP_1) | instid1(VALU_DEP_1)
	v_pk_mul_f32 v[108:109], v[108:109], v[110:111] op_sel_hi:[1,0]
	s_set_vgpr_msb 4                        ;  msbs: dst=0 src0=0 src1=1 src2=0
	v_pk_fma_f32 v[110:111], v[116:117], v[12:13] /*v[268:269]*/, v[108:109] neg_lo:[0,0,1] neg_hi:[0,0,1]
	v_pk_fma_f32 v[108:109], v[116:117], v[12:13] /*v[268:269]*/, v[108:109] op_sel_hi:[1,0,1]
	s_delay_alu instid0(VALU_DEP_1) | instskip(SKIP_3) | instid1(VALU_DEP_2)
	v_mov_b32_e32 v111, v109
	s_wait_loadcnt_dscnt 0x0
	v_pk_mul_f32 v[108:109], v[118:119], v[20:21] /*v[276:277]*/ op_sel:[1,1] op_sel_hi:[0,1]
	s_set_vgpr_msb 0                        ;  msbs: dst=0 src0=0 src1=0 src2=0
	v_pk_add_f32 v[106:107], v[106:107], v[110:111]
	s_set_vgpr_msb 4                        ;  msbs: dst=0 src0=0 src1=1 src2=0
	s_delay_alu instid0(VALU_DEP_2) | instskip(SKIP_1) | instid1(VALU_DEP_1)
	v_pk_fma_f32 v[110:111], v[118:119], v[20:21] /*v[276:277]*/, v[108:109] neg_lo:[0,0,1] neg_hi:[0,0,1]
	v_pk_fma_f32 v[108:109], v[118:119], v[20:21] /*v[276:277]*/, v[108:109] op_sel_hi:[1,0,1]
	v_mov_b32_e32 v111, v109
	scratch_load_b64 v[108:109], off, off offset:48
	s_set_vgpr_msb 0                        ;  msbs: dst=0 src0=0 src1=0 src2=0
	v_pk_add_f32 v[106:107], v[106:107], v[110:111]
	s_wait_loadcnt 0x0
	s_delay_alu instid0(VALU_DEP_1)
	v_pk_add_f32 v[106:107], v[108:109], v[106:107] neg_lo:[0,1] neg_hi:[0,1]
	scratch_store_b64 off, v[106:107], off offset:48
	s_wait_xcnt 0x0
	v_cmpx_lt_u32_e32 5, v0
	s_cbranch_execz .LBB115_315
; %bb.314:
	scratch_load_b64 v[106:107], off, off offset:40
	v_mov_b64_e32 v[108:109], 0
	scratch_store_b64 off, v[108:109], off offset:40
	s_wait_loadcnt 0x0
	ds_store_b64 v1, v[106:107]
.LBB115_315:
	s_wait_xcnt 0x0
	s_or_b32 exec_lo, exec_lo, s0
	s_wait_storecnt_dscnt 0x0
	s_barrier_signal -1
	s_barrier_wait -1
	ds_load_b128 v[106:109], v7 offset:464
	ds_load_b128 v[110:113], v7 offset:480
	ds_load_b128 v[114:117], v7 offset:496
	ds_load_b128 v[118:121], v7 offset:512
	s_clause 0x12
	scratch_load_b128 v[122:125], off, off offset:48
	scratch_load_b128 v[126:129], off, off offset:64
	;; [unrolled: 1-line block ×19, first 2 shown]
	ds_load_b128 v[138:141], v7 offset:528
	ds_load_b128 v[146:149], v7 offset:544
	;; [unrolled: 1-line block ×15, first 2 shown]
	s_set_vgpr_msb 64                       ;  msbs: dst=1 src0=0 src1=0 src2=0
	s_clause 0x3
	scratch_load_b128 v[2:5] /*v[258:261]*/, off, off offset:352
	scratch_load_b128 v[6:9] /*v[262:265]*/, off, off offset:368
	;; [unrolled: 1-line block ×4, first 2 shown]
	s_mov_b32 s0, exec_lo
	s_wait_loadcnt_dscnt 0x1612
	s_set_vgpr_msb 0                        ;  msbs: dst=0 src0=0 src1=0 src2=0
	v_dual_mul_f32 v9, v106, v123 :: v_dual_mul_f32 v11, v108, v125
	s_delay_alu instid0(VALU_DEP_1) | instskip(NEXT) | instid1(VALU_DEP_1)
	v_dual_fmac_f32 v9, v107, v122 :: v_dual_fmac_f32 v11, v109, v124
	v_add_f32_e32 v9, 0, v9
	s_delay_alu instid0(VALU_DEP_1)
	v_add_f32_e32 v9, v9, v11
	s_wait_loadcnt_dscnt 0x1511
	v_mul_f32_e32 v11, v110, v127
	s_wait_loadcnt_dscnt 0x40c
	s_set_vgpr_msb 64                       ;  msbs: dst=1 src0=0 src1=0 src2=0
	v_mul_f32_e32 v21 /*v277*/, v250, v255
	s_set_vgpr_msb 0                        ;  msbs: dst=0 src0=0 src1=0 src2=0
	v_fmac_f32_e32 v11, v111, v126
	s_delay_alu instid0(VALU_DEP_1) | instskip(NEXT) | instid1(VALU_DEP_1)
	v_dual_add_f32 v9, v9, v11 :: v_dual_mul_f32 v11, v112, v129
	v_fmac_f32_e32 v11, v113, v128
	s_delay_alu instid0(VALU_DEP_1) | instskip(SKIP_1) | instid1(VALU_DEP_1)
	v_add_f32_e32 v9, v9, v11
	v_mul_f32_e32 v11, v114, v131
	v_fmac_f32_e32 v11, v115, v130
	s_delay_alu instid0(VALU_DEP_1) | instskip(NEXT) | instid1(VALU_DEP_1)
	v_dual_add_f32 v9, v9, v11 :: v_dual_mul_f32 v11, v116, v133
	v_fmac_f32_e32 v11, v117, v132
	s_delay_alu instid0(VALU_DEP_1) | instskip(SKIP_1) | instid1(VALU_DEP_1)
	v_add_f32_e32 v9, v9, v11
	v_mul_f32_e32 v11, v118, v135
	;; [unrolled: 7-line block ×4, first 2 shown]
	v_fmac_f32_e32 v11, v147, v150
	s_delay_alu instid0(VALU_DEP_1) | instskip(NEXT) | instid1(VALU_DEP_1)
	v_dual_add_f32 v9, v9, v11 :: v_dual_mul_f32 v11, v148, v153
	v_fmac_f32_e32 v11, v149, v152
	s_delay_alu instid0(VALU_DEP_1) | instskip(SKIP_2) | instid1(VALU_DEP_1)
	v_add_f32_e32 v9, v9, v11
	s_wait_dscnt 0xb
	v_mul_f32_e32 v11, v154, v159
	v_fmac_f32_e32 v11, v155, v158
	s_delay_alu instid0(VALU_DEP_1) | instskip(NEXT) | instid1(VALU_DEP_1)
	v_dual_add_f32 v9, v9, v11 :: v_dual_mul_f32 v11, v156, v161
	v_fmac_f32_e32 v11, v157, v160
	s_delay_alu instid0(VALU_DEP_1) | instskip(SKIP_2) | instid1(VALU_DEP_1)
	v_add_f32_e32 v9, v9, v11
	s_wait_dscnt 0xa
	v_mul_f32_e32 v11, v162, v167
	;; [unrolled: 8-line block ×12, first 2 shown]
	v_fmac_f32_e32 v11, v243, v246
	s_delay_alu instid0(VALU_DEP_1) | instskip(NEXT) | instid1(VALU_DEP_1)
	v_dual_add_f32 v9, v9, v11 :: v_dual_mul_f32 v11, v244, v249
	v_fmac_f32_e32 v11, v245, v248
	s_set_vgpr_msb 64                       ;  msbs: dst=1 src0=0 src1=0 src2=0
	s_delay_alu instid0(VALU_DEP_1) | instskip(SKIP_2) | instid1(VALU_DEP_1)
	v_add_f32_e32 v19 /*v275*/, v9, v11
	s_set_vgpr_msb 0                        ;  msbs: dst=0 src0=0 src1=0 src2=0
	v_dual_mul_f32 v9, v107, v123 :: v_dual_mul_f32 v11, v109, v125
	v_dual_fma_f32 v9, v106, v122, -v9 :: v_dual_fma_f32 v11, v108, v124, -v11
	s_delay_alu instid0(VALU_DEP_1) | instskip(NEXT) | instid1(VALU_DEP_1)
	v_add_f32_e32 v9, 0, v9
	v_add_f32_e32 v9, v9, v11
	v_mul_f32_e32 v11, v111, v127
	s_delay_alu instid0(VALU_DEP_1) | instskip(NEXT) | instid1(VALU_DEP_1)
	v_fma_f32 v11, v110, v126, -v11
	v_add_f32_e32 v9, v9, v11
	v_mul_f32_e32 v11, v113, v129
	s_delay_alu instid0(VALU_DEP_1) | instskip(NEXT) | instid1(VALU_DEP_1)
	v_fma_f32 v11, v112, v128, -v11
	;; [unrolled: 4-line block ×5, first 2 shown]
	v_add_f32_e32 v9, v9, v11
	v_mul_f32_e32 v11, v121, v137
	s_delay_alu instid0(VALU_DEP_1)
	v_fma_f32 v11, v120, v136, -v11
	ds_load_b128 v[106:109], v7 offset:768
	ds_load_b128 v[110:113], v7 offset:784
	;; [unrolled: 1-line block ×4, first 2 shown]
	v_add_f32_e32 v9, v9, v11
	v_mul_f32_e32 v11, v139, v143
	s_delay_alu instid0(VALU_DEP_1) | instskip(NEXT) | instid1(VALU_DEP_1)
	v_fma_f32 v11, v138, v142, -v11
	v_add_f32_e32 v9, v9, v11
	v_mul_f32_e32 v11, v141, v145
	s_wait_loadcnt_dscnt 0x303
	s_set_vgpr_msb 4                        ;  msbs: dst=0 src0=0 src1=1 src2=0
	v_pk_mul_f32 v[124:125], v[106:107], v[2:3] /*v[258:259]*/ op_sel:[1,1] op_sel_hi:[0,1]
	s_set_vgpr_msb 0                        ;  msbs: dst=0 src0=0 src1=0 src2=0
	v_fma_f32 v11, v140, v144, -v11
	s_set_vgpr_msb 4                        ;  msbs: dst=0 src0=0 src1=1 src2=0
	s_delay_alu instid0(VALU_DEP_2)
	v_pk_fma_f32 v[126:127], v[106:107], v[2:3] /*v[258:259]*/, v[124:125] neg_lo:[0,0,1] neg_hi:[0,0,1]
	v_pk_fma_f32 v[106:107], v[106:107], v[2:3] /*v[258:259]*/, v[124:125] op_sel_hi:[1,0,1]
	s_set_vgpr_msb 1                        ;  msbs: dst=0 src0=1 src1=0 src2=0
	v_mov_b32_e32 v124, v5 /*v261*/
	s_set_vgpr_msb 0                        ;  msbs: dst=0 src0=0 src1=0 src2=0
	v_add_f32_e32 v9, v9, v11
	v_mul_f32_e32 v11, v147, v151
	s_delay_alu instid0(VALU_DEP_1) | instskip(NEXT) | instid1(VALU_DEP_1)
	v_dual_mov_b32 v127, v107 :: v_dual_fma_f32 v11, v146, v150, -v11
	v_add_f32_e32 v9, v9, v11
	v_mul_f32_e32 v11, v149, v153
	s_delay_alu instid0(VALU_DEP_1) | instskip(NEXT) | instid1(VALU_DEP_1)
	v_fma_f32 v11, v148, v152, -v11
	v_add_f32_e32 v9, v9, v11
	v_mul_f32_e32 v11, v155, v159
	s_delay_alu instid0(VALU_DEP_1) | instskip(NEXT) | instid1(VALU_DEP_1)
	v_fma_f32 v11, v154, v158, -v11
	;; [unrolled: 4-line block ×24, first 2 shown]
	v_add_f32_e32 v9, v9, v11
	v_mul_f32_e32 v11, v245, v249
	s_delay_alu instid0(VALU_DEP_1) | instskip(SKIP_1) | instid1(VALU_DEP_1)
	v_fma_f32 v11, v244, v248, -v11
	s_set_vgpr_msb 64                       ;  msbs: dst=1 src0=0 src1=0 src2=0
	v_add_f32_e32 v18 /*v274*/, v9, v11
	s_set_vgpr_msb 0                        ;  msbs: dst=0 src0=0 src1=0 src2=0
	v_mul_f32_e32 v9, v251, v255
	s_set_vgpr_msb 64                       ;  msbs: dst=1 src0=0 src1=0 src2=0
	s_delay_alu instid0(VALU_DEP_1)
	v_fma_f32 v20 /*v276*/, v250, v254, -v9
	v_fmac_f32_e32 v21 /*v277*/, v251, v254
	s_set_vgpr_msb 4                        ;  msbs: dst=0 src0=0 src1=1 src2=0
	v_mul_f32_e32 v9, v253, v1 /*v257*/
	s_set_vgpr_msb 0x44                     ;  msbs: dst=1 src0=0 src1=1 src2=0
	v_mul_f32_e32 v23 /*v279*/, v252, v1 /*v257*/
	s_set_vgpr_msb 5                        ;  msbs: dst=0 src0=1 src1=1 src2=0
	v_pk_add_f32 v[122:123], v[18:19] /*v[274:275]*/, v[20:21] /*v[276:277]*/
	s_set_vgpr_msb 0x44                     ;  msbs: dst=1 src0=0 src1=1 src2=0
	v_fma_f32 v22 /*v278*/, v252, v0 /*v256*/, -v9
	v_fmac_f32_e32 v23 /*v279*/, v253, v0 /*v256*/
	s_set_vgpr_msb 4                        ;  msbs: dst=0 src0=0 src1=1 src2=0
	s_delay_alu instid0(VALU_DEP_1) | instskip(SKIP_1) | instid1(VALU_DEP_1)
	v_pk_add_f32 v[122:123], v[122:123], v[22:23] /*v[278:279]*/
	s_set_vgpr_msb 0                        ;  msbs: dst=0 src0=0 src1=0 src2=0
	v_pk_add_f32 v[106:107], v[122:123], v[126:127]
	v_dual_mov_b32 v122, v109 :: v_dual_mov_b32 v123, v108
	s_delay_alu instid0(VALU_DEP_1) | instskip(SKIP_1) | instid1(VALU_DEP_1)
	v_pk_mul_f32 v[122:123], v[122:123], v[124:125] op_sel_hi:[1,0]
	s_set_vgpr_msb 4                        ;  msbs: dst=0 src0=0 src1=1 src2=0
	v_pk_fma_f32 v[124:125], v[108:109], v[4:5] /*v[260:261]*/, v[122:123] neg_lo:[0,0,1] neg_hi:[0,0,1]
	v_pk_fma_f32 v[108:109], v[108:109], v[4:5] /*v[260:261]*/, v[122:123] op_sel_hi:[1,0,1]
	s_delay_alu instid0(VALU_DEP_1) | instskip(SKIP_3) | instid1(VALU_DEP_2)
	v_mov_b32_e32 v125, v109
	s_wait_loadcnt_dscnt 0x202
	v_pk_mul_f32 v[108:109], v[110:111], v[6:7] /*v[262:263]*/ op_sel:[1,1] op_sel_hi:[0,1]
	s_set_vgpr_msb 0                        ;  msbs: dst=0 src0=0 src1=0 src2=0
	v_pk_add_f32 v[106:107], v[106:107], v[124:125]
	s_set_vgpr_msb 4                        ;  msbs: dst=0 src0=0 src1=1 src2=0
	s_delay_alu instid0(VALU_DEP_2)
	v_pk_fma_f32 v[122:123], v[110:111], v[6:7] /*v[262:263]*/, v[108:109] neg_lo:[0,0,1] neg_hi:[0,0,1]
	v_pk_fma_f32 v[108:109], v[110:111], v[6:7] /*v[262:263]*/, v[108:109] op_sel_hi:[1,0,1]
	v_mov_b32_e32 v108, v113
	s_set_vgpr_msb 1                        ;  msbs: dst=0 src0=1 src1=0 src2=0
	v_mov_b32_e32 v110, v9 /*v265*/
	s_set_vgpr_msb 0                        ;  msbs: dst=0 src0=0 src1=0 src2=0
	v_dual_mov_b32 v123, v109 :: v_dual_mov_b32 v109, v112
	s_delay_alu instid0(VALU_DEP_1) | instskip(NEXT) | instid1(VALU_DEP_2)
	v_pk_add_f32 v[106:107], v[106:107], v[122:123]
	v_pk_mul_f32 v[108:109], v[108:109], v[110:111] op_sel_hi:[1,0]
	s_set_vgpr_msb 4                        ;  msbs: dst=0 src0=0 src1=1 src2=0
	s_delay_alu instid0(VALU_DEP_1) | instskip(SKIP_1) | instid1(VALU_DEP_1)
	v_pk_fma_f32 v[110:111], v[112:113], v[8:9] /*v[264:265]*/, v[108:109] neg_lo:[0,0,1] neg_hi:[0,0,1]
	v_pk_fma_f32 v[108:109], v[112:113], v[8:9] /*v[264:265]*/, v[108:109] op_sel_hi:[1,0,1]
	v_mov_b32_e32 v111, v109
	s_wait_loadcnt_dscnt 0x101
	v_pk_mul_f32 v[108:109], v[114:115], v[10:11] /*v[266:267]*/ op_sel:[1,1] op_sel_hi:[0,1]
	s_set_vgpr_msb 0                        ;  msbs: dst=0 src0=0 src1=0 src2=0
	s_delay_alu instid0(VALU_DEP_2) | instskip(SKIP_1) | instid1(VALU_DEP_2)
	v_pk_add_f32 v[106:107], v[106:107], v[110:111]
	s_set_vgpr_msb 4                        ;  msbs: dst=0 src0=0 src1=1 src2=0
	v_pk_fma_f32 v[110:111], v[114:115], v[10:11] /*v[266:267]*/, v[108:109] neg_lo:[0,0,1] neg_hi:[0,0,1]
	v_pk_fma_f32 v[108:109], v[114:115], v[10:11] /*v[266:267]*/, v[108:109] op_sel_hi:[1,0,1]
	s_delay_alu instid0(VALU_DEP_1) | instskip(SKIP_2) | instid1(VALU_DEP_2)
	v_dual_mov_b32 v108, v117 :: v_dual_mov_b32 v111, v109
	v_mov_b32_e32 v109, v116
	s_set_vgpr_msb 0                        ;  msbs: dst=0 src0=0 src1=0 src2=0
	v_pk_add_f32 v[106:107], v[106:107], v[110:111]
	s_set_vgpr_msb 1                        ;  msbs: dst=0 src0=1 src1=0 src2=0
	v_mov_b32_e32 v110, v13 /*v269*/
	s_set_vgpr_msb 0                        ;  msbs: dst=0 src0=0 src1=0 src2=0
	s_delay_alu instid0(VALU_DEP_1) | instskip(SKIP_1) | instid1(VALU_DEP_1)
	v_pk_mul_f32 v[108:109], v[108:109], v[110:111] op_sel_hi:[1,0]
	s_set_vgpr_msb 4                        ;  msbs: dst=0 src0=0 src1=1 src2=0
	v_pk_fma_f32 v[110:111], v[116:117], v[12:13] /*v[268:269]*/, v[108:109] neg_lo:[0,0,1] neg_hi:[0,0,1]
	v_pk_fma_f32 v[108:109], v[116:117], v[12:13] /*v[268:269]*/, v[108:109] op_sel_hi:[1,0,1]
	s_delay_alu instid0(VALU_DEP_1) | instskip(SKIP_3) | instid1(VALU_DEP_2)
	v_mov_b32_e32 v111, v109
	s_wait_loadcnt_dscnt 0x0
	v_pk_mul_f32 v[108:109], v[118:119], v[14:15] /*v[270:271]*/ op_sel:[1,1] op_sel_hi:[0,1]
	s_set_vgpr_msb 0                        ;  msbs: dst=0 src0=0 src1=0 src2=0
	v_pk_add_f32 v[106:107], v[106:107], v[110:111]
	s_set_vgpr_msb 4                        ;  msbs: dst=0 src0=0 src1=1 src2=0
	s_delay_alu instid0(VALU_DEP_2) | instskip(SKIP_1) | instid1(VALU_DEP_1)
	v_pk_fma_f32 v[110:111], v[118:119], v[14:15] /*v[270:271]*/, v[108:109] neg_lo:[0,0,1] neg_hi:[0,0,1]
	v_pk_fma_f32 v[108:109], v[118:119], v[14:15] /*v[270:271]*/, v[108:109] op_sel_hi:[1,0,1]
	v_dual_mov_b32 v108, v121 :: v_dual_mov_b32 v111, v109
	v_mov_b32_e32 v109, v120
	s_set_vgpr_msb 0                        ;  msbs: dst=0 src0=0 src1=0 src2=0
	s_delay_alu instid0(VALU_DEP_2) | instskip(SKIP_3) | instid1(VALU_DEP_1)
	v_pk_add_f32 v[106:107], v[106:107], v[110:111]
	s_set_vgpr_msb 1                        ;  msbs: dst=0 src0=1 src1=0 src2=0
	v_mov_b32_e32 v110, v17 /*v273*/
	s_set_vgpr_msb 0                        ;  msbs: dst=0 src0=0 src1=0 src2=0
	v_pk_mul_f32 v[108:109], v[108:109], v[110:111] op_sel_hi:[1,0]
	s_set_vgpr_msb 4                        ;  msbs: dst=0 src0=0 src1=1 src2=0
	s_delay_alu instid0(VALU_DEP_1) | instskip(SKIP_1) | instid1(VALU_DEP_1)
	v_pk_fma_f32 v[110:111], v[120:121], v[16:17] /*v[272:273]*/, v[108:109] neg_lo:[0,0,1] neg_hi:[0,0,1]
	v_pk_fma_f32 v[108:109], v[120:121], v[16:17] /*v[272:273]*/, v[108:109] op_sel_hi:[1,0,1]
	v_mov_b32_e32 v111, v109
	scratch_load_b64 v[108:109], off, off offset:40
	s_set_vgpr_msb 0                        ;  msbs: dst=0 src0=0 src1=0 src2=0
	v_pk_add_f32 v[106:107], v[106:107], v[110:111]
	s_wait_loadcnt 0x0
	s_delay_alu instid0(VALU_DEP_1)
	v_pk_add_f32 v[106:107], v[108:109], v[106:107] neg_lo:[0,1] neg_hi:[0,1]
	scratch_store_b64 off, v[106:107], off offset:40
	s_wait_xcnt 0x0
	v_cmpx_lt_u32_e32 4, v0
	s_cbranch_execz .LBB115_317
; %bb.316:
	scratch_load_b64 v[106:107], off, off offset:32
	v_mov_b64_e32 v[108:109], 0
	scratch_store_b64 off, v[108:109], off offset:32
	s_wait_loadcnt 0x0
	ds_store_b64 v1, v[106:107]
.LBB115_317:
	s_wait_xcnt 0x0
	s_or_b32 exec_lo, exec_lo, s0
	s_wait_storecnt_dscnt 0x0
	s_barrier_signal -1
	s_barrier_wait -1
	s_clause 0xf
	scratch_load_b128 v[110:113], off, off offset:40
	scratch_load_b128 v[118:121], off, off offset:56
	;; [unrolled: 1-line block ×16, first 2 shown]
	v_mov_b32_e32 v7, 0
	s_clause 0x4
	scratch_load_b128 v[238:241], off, off offset:296
	scratch_load_b128 v[246:249], off, off offset:312
	;; [unrolled: 1-line block ×3, first 2 shown]
	s_set_vgpr_msb 64                       ;  msbs: dst=1 src0=0 src1=0 src2=0
	scratch_load_b128 v[6:9] /*v[262:265]*/, off, off offset:344
	s_set_vgpr_msb 0                        ;  msbs: dst=0 src0=0 src1=0 src2=0
	ds_load_2addr_b64 v[106:109], v7 offset0:57 offset1:58
	ds_load_2addr_b64 v[114:117], v7 offset0:59 offset1:60
	s_mov_b32 s0, exec_lo
	s_wait_loadcnt_dscnt 0x1301
	v_dual_mul_f32 v9, v106, v111 :: v_dual_mul_f32 v11, v108, v113
	ds_load_2addr_b64 v[122:125], v7 offset0:61 offset1:62
	ds_load_2addr_b64 v[130:133], v7 offset0:63 offset1:64
	;; [unrolled: 1-line block ×4, first 2 shown]
	v_dual_fmac_f32 v9, v107, v110 :: v_dual_fmac_f32 v11, v109, v112
	ds_load_2addr_b64 v[154:157], v7 offset0:69 offset1:70
	ds_load_2addr_b64 v[162:165], v7 offset0:71 offset1:72
	;; [unrolled: 1-line block ×4, first 2 shown]
	v_add_f32_e32 v9, 0, v9
	ds_load_2addr_b64 v[186:189], v7 offset0:77 offset1:78
	ds_load_2addr_b64 v[194:197], v7 offset0:79 offset1:80
	;; [unrolled: 1-line block ×4, first 2 shown]
	v_add_f32_e32 v9, v9, v11
	s_wait_loadcnt_dscnt 0x120c
	v_mul_f32_e32 v11, v114, v119
	ds_load_2addr_b64 v[218:221], v7 offset0:85 offset1:86
	ds_load_2addr_b64 v[226:229], v7 offset0:87 offset1:88
	;; [unrolled: 1-line block ×4, first 2 shown]
	v_fmac_f32_e32 v11, v115, v118
	ds_load_2addr_b64 v[250:253], v7 offset0:93 offset1:94
	s_set_vgpr_msb 64                       ;  msbs: dst=1 src0=0 src1=0 src2=0
	ds_load_2addr_b64 v[2:5] /*v[258:261]*/, v7 offset0:95 offset1:96
	s_clause 0x3
	scratch_load_b128 v[10:13] /*v[266:269]*/, off, off offset:360
	scratch_load_b128 v[14:17] /*v[270:273]*/, off, off offset:376
	;; [unrolled: 1-line block ×3, first 2 shown]
	scratch_load_b64 v[28:29] /*v[284:285]*/, off, off offset:408
	s_set_vgpr_msb 0                        ;  msbs: dst=0 src0=0 src1=0 src2=0
	v_dual_add_f32 v9, v9, v11 :: v_dual_mul_f32 v11, v116, v121
	s_delay_alu instid0(VALU_DEP_1) | instskip(NEXT) | instid1(VALU_DEP_1)
	v_fmac_f32_e32 v11, v117, v120
	v_add_f32_e32 v9, v9, v11
	s_wait_loadcnt_dscnt 0x1511
	v_mul_f32_e32 v11, v122, v127
	s_delay_alu instid0(VALU_DEP_1) | instskip(NEXT) | instid1(VALU_DEP_1)
	v_fmac_f32_e32 v11, v123, v126
	v_dual_add_f32 v9, v9, v11 :: v_dual_mul_f32 v11, v124, v129
	s_delay_alu instid0(VALU_DEP_1) | instskip(NEXT) | instid1(VALU_DEP_1)
	v_fmac_f32_e32 v11, v125, v128
	v_add_f32_e32 v9, v9, v11
	s_wait_loadcnt_dscnt 0x1410
	v_mul_f32_e32 v11, v130, v135
	s_delay_alu instid0(VALU_DEP_1) | instskip(NEXT) | instid1(VALU_DEP_1)
	v_fmac_f32_e32 v11, v131, v134
	;; [unrolled: 8-line block ×16, first 2 shown]
	v_dual_add_f32 v9, v9, v11 :: v_dual_mul_f32 v11, v244, v249
	s_delay_alu instid0(VALU_DEP_1) | instskip(NEXT) | instid1(VALU_DEP_1)
	v_fmac_f32_e32 v11, v245, v248
	v_add_f32_e32 v9, v9, v11
	s_wait_loadcnt_dscnt 0x501
	v_mul_f32_e32 v11, v250, v255
	s_delay_alu instid0(VALU_DEP_1) | instskip(SKIP_1) | instid1(VALU_DEP_1)
	v_fmac_f32_e32 v11, v251, v254
	s_set_vgpr_msb 64                       ;  msbs: dst=1 src0=0 src1=0 src2=0
	v_add_f32_e32 v23 /*v279*/, v9, v11
	s_set_vgpr_msb 0                        ;  msbs: dst=0 src0=0 src1=0 src2=0
	v_dual_mul_f32 v9, v107, v111 :: v_dual_mul_f32 v11, v109, v113
	s_delay_alu instid0(VALU_DEP_1) | instskip(NEXT) | instid1(VALU_DEP_1)
	v_dual_fma_f32 v9, v106, v110, -v9 :: v_dual_fma_f32 v11, v108, v112, -v11
	v_add_f32_e32 v9, 0, v9
	s_delay_alu instid0(VALU_DEP_1) | instskip(SKIP_1) | instid1(VALU_DEP_1)
	v_add_f32_e32 v9, v9, v11
	v_mul_f32_e32 v11, v115, v119
	v_fma_f32 v11, v114, v118, -v11
	s_delay_alu instid0(VALU_DEP_1) | instskip(SKIP_1) | instid1(VALU_DEP_1)
	v_add_f32_e32 v9, v9, v11
	v_mul_f32_e32 v11, v117, v121
	v_fma_f32 v11, v116, v120, -v11
	ds_load_2addr_b64 v[106:109], v7 offset0:97 offset1:98
	ds_load_2addr_b64 v[110:113], v7 offset0:99 offset1:100
	;; [unrolled: 1-line block ×3, first 2 shown]
	ds_load_b64 v[118:119], v7 offset:824
	v_add_f32_e32 v9, v9, v11
	v_mul_f32_e32 v11, v123, v127
	s_wait_dscnt 0x4
	s_set_vgpr_msb 1                        ;  msbs: dst=0 src0=1 src1=0 src2=0
	v_mov_b32_e32 v123, v4 /*v260*/
	s_set_vgpr_msb 0                        ;  msbs: dst=0 src0=0 src1=0 src2=0
	v_fma_f32 v11, v122, v126, -v11
	s_set_vgpr_msb 1                        ;  msbs: dst=0 src0=1 src1=0 src2=0
	v_mov_b32_e32 v122, v5 /*v261*/
	s_set_vgpr_msb 0                        ;  msbs: dst=0 src0=0 src1=0 src2=0
	s_delay_alu instid0(VALU_DEP_2) | instskip(SKIP_1) | instid1(VALU_DEP_1)
	v_add_f32_e32 v9, v9, v11
	v_mul_f32_e32 v11, v125, v129
	v_fma_f32 v11, v124, v128, -v11
	s_wait_loadcnt 0x4
	s_set_vgpr_msb 1                        ;  msbs: dst=0 src0=1 src1=0 src2=0
	v_mov_b32_e32 v124, v9 /*v265*/
	s_set_vgpr_msb 0                        ;  msbs: dst=0 src0=0 src1=0 src2=0
	v_add_f32_e32 v9, v9, v11
	v_mul_f32_e32 v11, v131, v135
	s_delay_alu instid0(VALU_DEP_3) | instskip(NEXT) | instid1(VALU_DEP_2)
	v_pk_mul_f32 v[122:123], v[122:123], v[124:125] op_sel_hi:[1,0]
	v_fma_f32 v11, v130, v134, -v11
	s_set_vgpr_msb 5                        ;  msbs: dst=0 src0=1 src1=1 src2=0
	s_delay_alu instid0(VALU_DEP_2) | instskip(SKIP_3) | instid1(VALU_DEP_2)
	v_pk_fma_f32 v[124:125], v[4:5] /*v[260:261]*/, v[8:9] /*v[264:265]*/, v[122:123] neg_lo:[0,0,1] neg_hi:[0,0,1]
	v_pk_fma_f32 v[122:123], v[4:5] /*v[260:261]*/, v[8:9] /*v[264:265]*/, v[122:123] op_sel_hi:[1,0,1]
	s_set_vgpr_msb 0                        ;  msbs: dst=0 src0=0 src1=0 src2=0
	v_add_f32_e32 v9, v9, v11
	v_dual_mul_f32 v11, v133, v137 :: v_dual_mov_b32 v125, v123
	s_wait_loadcnt_dscnt 0x303
	s_set_vgpr_msb 4                        ;  msbs: dst=0 src0=0 src1=1 src2=0
	v_pk_mul_f32 v[122:123], v[106:107], v[10:11] /*v[266:267]*/ op_sel:[1,1] op_sel_hi:[0,1]
	s_set_vgpr_msb 0                        ;  msbs: dst=0 src0=0 src1=0 src2=0
	v_fma_f32 v11, v132, v136, -v11
	s_delay_alu instid0(VALU_DEP_1) | instskip(SKIP_1) | instid1(VALU_DEP_1)
	v_add_f32_e32 v9, v9, v11
	v_mul_f32_e32 v11, v139, v143
	v_fma_f32 v11, v138, v142, -v11
	s_delay_alu instid0(VALU_DEP_1) | instskip(SKIP_1) | instid1(VALU_DEP_1)
	v_add_f32_e32 v9, v9, v11
	v_mul_f32_e32 v11, v141, v145
	;; [unrolled: 4-line block ×29, first 2 shown]
	v_fma_f32 v11, v250, v254, -v11
	s_set_vgpr_msb 64                       ;  msbs: dst=1 src0=0 src1=0 src2=0
	s_delay_alu instid0(VALU_DEP_1) | instskip(SKIP_3) | instid1(VALU_DEP_1)
	v_add_f32_e32 v22 /*v278*/, v9, v11
	s_set_vgpr_msb 4                        ;  msbs: dst=0 src0=0 src1=1 src2=0
	v_mul_f32_e32 v9, v253, v1 /*v257*/
	s_set_vgpr_msb 0x44                     ;  msbs: dst=1 src0=0 src1=1 src2=0
	v_dual_mul_f32 v25 /*v281*/, v252, v1 /*v257*/ :: v_dual_fma_f32 v24 /*v280*/, v252, v0 /*v256*/, -v9
	s_set_vgpr_msb 5                        ;  msbs: dst=0 src0=1 src1=1 src2=0
	v_mul_f32_e32 v9, v3 /*v259*/, v7 /*v263*/
	s_set_vgpr_msb 0x44                     ;  msbs: dst=1 src0=0 src1=1 src2=0
	s_delay_alu instid0(VALU_DEP_2) | instskip(SKIP_1) | instid1(VALU_DEP_2)
	v_fmac_f32_e32 v25 /*v281*/, v253, v0 /*v256*/
	s_set_vgpr_msb 0x45                     ;  msbs: dst=1 src0=1 src1=1 src2=0
	v_dual_mul_f32 v27 /*v283*/, v2 /*v258*/, v7 /*v263*/ :: v_dual_fma_f32 v26 /*v282*/, v2 /*v258*/, v6 /*v262*/, -v9
	s_set_vgpr_msb 5                        ;  msbs: dst=0 src0=1 src1=1 src2=0
	s_delay_alu instid0(VALU_DEP_2) | instskip(SKIP_1) | instid1(VALU_DEP_2)
	v_pk_add_f32 v[120:121], v[22:23] /*v[278:279]*/, v[24:25] /*v[280:281]*/
	s_set_vgpr_msb 0x45                     ;  msbs: dst=1 src0=1 src1=1 src2=0
	v_fmac_f32_e32 v27 /*v283*/, v3 /*v259*/, v6 /*v262*/
	s_set_vgpr_msb 4                        ;  msbs: dst=0 src0=0 src1=1 src2=0
	s_delay_alu instid0(VALU_DEP_1) | instskip(SKIP_1) | instid1(VALU_DEP_1)
	v_pk_add_f32 v[120:121], v[120:121], v[26:27] /*v[282:283]*/
	s_set_vgpr_msb 0                        ;  msbs: dst=0 src0=0 src1=0 src2=0
	v_pk_add_f32 v[120:121], v[120:121], v[124:125]
	s_set_vgpr_msb 4                        ;  msbs: dst=0 src0=0 src1=1 src2=0
	v_pk_fma_f32 v[124:125], v[106:107], v[10:11] /*v[266:267]*/, v[122:123] neg_lo:[0,0,1] neg_hi:[0,0,1]
	v_pk_fma_f32 v[106:107], v[106:107], v[10:11] /*v[266:267]*/, v[122:123] op_sel_hi:[1,0,1]
	s_set_vgpr_msb 1                        ;  msbs: dst=0 src0=1 src1=0 src2=0
	v_mov_b32_e32 v122, v13 /*v269*/
	s_set_vgpr_msb 0                        ;  msbs: dst=0 src0=0 src1=0 src2=0
	s_delay_alu instid0(VALU_DEP_2) | instskip(NEXT) | instid1(VALU_DEP_1)
	v_mov_b32_e32 v125, v107
	v_pk_add_f32 v[106:107], v[120:121], v[124:125]
	v_dual_mov_b32 v120, v109 :: v_dual_mov_b32 v121, v108
	s_delay_alu instid0(VALU_DEP_1) | instskip(SKIP_1) | instid1(VALU_DEP_1)
	v_pk_mul_f32 v[120:121], v[120:121], v[122:123] op_sel_hi:[1,0]
	s_set_vgpr_msb 4                        ;  msbs: dst=0 src0=0 src1=1 src2=0
	v_pk_fma_f32 v[122:123], v[108:109], v[12:13] /*v[268:269]*/, v[120:121] neg_lo:[0,0,1] neg_hi:[0,0,1]
	v_pk_fma_f32 v[108:109], v[108:109], v[12:13] /*v[268:269]*/, v[120:121] op_sel_hi:[1,0,1]
	s_delay_alu instid0(VALU_DEP_1) | instskip(SKIP_3) | instid1(VALU_DEP_2)
	v_mov_b32_e32 v123, v109
	s_wait_loadcnt_dscnt 0x202
	v_pk_mul_f32 v[108:109], v[110:111], v[14:15] /*v[270:271]*/ op_sel:[1,1] op_sel_hi:[0,1]
	s_set_vgpr_msb 0                        ;  msbs: dst=0 src0=0 src1=0 src2=0
	v_pk_add_f32 v[106:107], v[106:107], v[122:123]
	s_set_vgpr_msb 4                        ;  msbs: dst=0 src0=0 src1=1 src2=0
	s_delay_alu instid0(VALU_DEP_2)
	v_pk_fma_f32 v[120:121], v[110:111], v[14:15] /*v[270:271]*/, v[108:109] neg_lo:[0,0,1] neg_hi:[0,0,1]
	v_pk_fma_f32 v[108:109], v[110:111], v[14:15] /*v[270:271]*/, v[108:109] op_sel_hi:[1,0,1]
	v_mov_b32_e32 v108, v113
	s_set_vgpr_msb 1                        ;  msbs: dst=0 src0=1 src1=0 src2=0
	v_mov_b32_e32 v110, v17 /*v273*/
	s_set_vgpr_msb 0                        ;  msbs: dst=0 src0=0 src1=0 src2=0
	v_dual_mov_b32 v121, v109 :: v_dual_mov_b32 v109, v112
	s_delay_alu instid0(VALU_DEP_1) | instskip(NEXT) | instid1(VALU_DEP_2)
	v_pk_add_f32 v[106:107], v[106:107], v[120:121]
	v_pk_mul_f32 v[108:109], v[108:109], v[110:111] op_sel_hi:[1,0]
	s_set_vgpr_msb 4                        ;  msbs: dst=0 src0=0 src1=1 src2=0
	s_delay_alu instid0(VALU_DEP_1) | instskip(SKIP_1) | instid1(VALU_DEP_1)
	v_pk_fma_f32 v[110:111], v[112:113], v[16:17] /*v[272:273]*/, v[108:109] neg_lo:[0,0,1] neg_hi:[0,0,1]
	v_pk_fma_f32 v[108:109], v[112:113], v[16:17] /*v[272:273]*/, v[108:109] op_sel_hi:[1,0,1]
	v_mov_b32_e32 v111, v109
	s_wait_loadcnt_dscnt 0x101
	v_pk_mul_f32 v[108:109], v[114:115], v[18:19] /*v[274:275]*/ op_sel:[1,1] op_sel_hi:[0,1]
	s_set_vgpr_msb 0                        ;  msbs: dst=0 src0=0 src1=0 src2=0
	s_delay_alu instid0(VALU_DEP_2) | instskip(SKIP_1) | instid1(VALU_DEP_2)
	v_pk_add_f32 v[106:107], v[106:107], v[110:111]
	s_set_vgpr_msb 4                        ;  msbs: dst=0 src0=0 src1=1 src2=0
	v_pk_fma_f32 v[110:111], v[114:115], v[18:19] /*v[274:275]*/, v[108:109] neg_lo:[0,0,1] neg_hi:[0,0,1]
	v_pk_fma_f32 v[108:109], v[114:115], v[18:19] /*v[274:275]*/, v[108:109] op_sel_hi:[1,0,1]
	s_delay_alu instid0(VALU_DEP_1) | instskip(SKIP_2) | instid1(VALU_DEP_2)
	v_dual_mov_b32 v108, v117 :: v_dual_mov_b32 v111, v109
	v_mov_b32_e32 v109, v116
	s_set_vgpr_msb 0                        ;  msbs: dst=0 src0=0 src1=0 src2=0
	v_pk_add_f32 v[106:107], v[106:107], v[110:111]
	s_set_vgpr_msb 1                        ;  msbs: dst=0 src0=1 src1=0 src2=0
	v_mov_b32_e32 v110, v21 /*v277*/
	s_set_vgpr_msb 0                        ;  msbs: dst=0 src0=0 src1=0 src2=0
	s_delay_alu instid0(VALU_DEP_1) | instskip(SKIP_1) | instid1(VALU_DEP_1)
	v_pk_mul_f32 v[108:109], v[108:109], v[110:111] op_sel_hi:[1,0]
	s_set_vgpr_msb 4                        ;  msbs: dst=0 src0=0 src1=1 src2=0
	v_pk_fma_f32 v[110:111], v[116:117], v[20:21] /*v[276:277]*/, v[108:109] neg_lo:[0,0,1] neg_hi:[0,0,1]
	v_pk_fma_f32 v[108:109], v[116:117], v[20:21] /*v[276:277]*/, v[108:109] op_sel_hi:[1,0,1]
	s_delay_alu instid0(VALU_DEP_1) | instskip(SKIP_3) | instid1(VALU_DEP_2)
	v_mov_b32_e32 v111, v109
	s_wait_loadcnt_dscnt 0x0
	v_pk_mul_f32 v[108:109], v[118:119], v[28:29] /*v[284:285]*/ op_sel:[1,1] op_sel_hi:[0,1]
	s_set_vgpr_msb 0                        ;  msbs: dst=0 src0=0 src1=0 src2=0
	v_pk_add_f32 v[106:107], v[106:107], v[110:111]
	s_set_vgpr_msb 4                        ;  msbs: dst=0 src0=0 src1=1 src2=0
	s_delay_alu instid0(VALU_DEP_2) | instskip(SKIP_1) | instid1(VALU_DEP_1)
	v_pk_fma_f32 v[110:111], v[118:119], v[28:29] /*v[284:285]*/, v[108:109] neg_lo:[0,0,1] neg_hi:[0,0,1]
	v_pk_fma_f32 v[108:109], v[118:119], v[28:29] /*v[284:285]*/, v[108:109] op_sel_hi:[1,0,1]
	v_mov_b32_e32 v111, v109
	scratch_load_b64 v[108:109], off, off offset:32
	s_set_vgpr_msb 0                        ;  msbs: dst=0 src0=0 src1=0 src2=0
	v_pk_add_f32 v[106:107], v[106:107], v[110:111]
	s_wait_loadcnt 0x0
	s_delay_alu instid0(VALU_DEP_1)
	v_pk_add_f32 v[106:107], v[108:109], v[106:107] neg_lo:[0,1] neg_hi:[0,1]
	scratch_store_b64 off, v[106:107], off offset:32
	s_wait_xcnt 0x0
	v_cmpx_lt_u32_e32 3, v0
	s_cbranch_execz .LBB115_319
; %bb.318:
	scratch_load_b64 v[106:107], off, off offset:24
	v_mov_b64_e32 v[108:109], 0
	scratch_store_b64 off, v[108:109], off offset:24
	s_wait_loadcnt 0x0
	ds_store_b64 v1, v[106:107]
.LBB115_319:
	s_wait_xcnt 0x0
	s_or_b32 exec_lo, exec_lo, s0
	s_wait_storecnt_dscnt 0x0
	s_barrier_signal -1
	s_barrier_wait -1
	s_clause 0x17
	scratch_load_b128 v[106:109], off, off offset:32
	scratch_load_b128 v[110:113], off, off offset:48
	;; [unrolled: 1-line block ×24, first 2 shown]
	ds_load_b128 v[202:205], v7 offset:448
	ds_load_b128 v[206:209], v7 offset:464
	;; [unrolled: 1-line block ×6, first 2 shown]
	s_set_vgpr_msb 64                       ;  msbs: dst=1 src0=0 src1=0 src2=0
	scratch_load_b64 v[42:43] /*v[298:299]*/, off, off offset:24
	s_set_vgpr_msb 0                        ;  msbs: dst=0 src0=0 src1=0 src2=0
	ds_load_b128 v[226:229], v7 offset:512
	ds_load_b128 v[230:233], v7 offset:528
	;; [unrolled: 1-line block ×8, first 2 shown]
	s_set_vgpr_msb 64                       ;  msbs: dst=1 src0=0 src1=0 src2=0
	ds_load_b128 v[2:5] /*v[258:261]*/, v7 offset:608
	ds_load_b128 v[6:9] /*v[262:265]*/, v7 offset:624
	;; [unrolled: 1-line block ×10, first 2 shown]
	s_mov_b32 s0, exec_lo
	s_wait_dscnt 0xf
	v_dual_mov_b32 v48 /*v304*/, v237 :: v_dual_mov_b32 v49 /*v305*/, v236
	s_wait_dscnt 0xe
	v_dual_mov_b32 v50 /*v306*/, v241 :: v_dual_mov_b32 v51 /*v307*/, v240
	v_dual_mov_b32 v44 /*v300*/, v221 :: v_dual_mov_b32 v45 /*v301*/, v220
	v_dual_mov_b32 v46 /*v302*/, v225 :: v_dual_mov_b32 v47 /*v303*/, v224
	s_wait_loadcnt 0x18
	s_set_vgpr_msb 0                        ;  msbs: dst=0 src0=0 src1=0 src2=0
	v_dual_mul_f32 v7, v202, v107 :: v_dual_mul_f32 v9, v204, v109
	s_wait_loadcnt 0x17
	v_dual_mul_f32 v83, v203, v107 :: v_dual_mul_f32 v89, v209, v113
	v_dual_mul_f32 v11, v206, v111 :: v_dual_mul_f32 v13, v208, v113
	s_delay_alu instid0(VALU_DEP_3)
	v_dual_fmac_f32 v7, v203, v106 :: v_dual_fmac_f32 v9, v205, v108
	s_wait_loadcnt_dscnt 0xf0a
	v_dual_mul_f32 v85, v205, v109 :: v_dual_mul_f32 v43, v254, v143
	v_dual_mul_f32 v87, v207, v111 :: v_dual_mul_f32 v93, v213, v117
	v_dual_mul_f32 v91, v211, v115 :: v_dual_fma_f32 v83, v202, v106, -v83
	v_add_f32_e32 v7, 0, v7
	s_delay_alu instid0(VALU_DEP_4)
	v_dual_mul_f32 v95, v215, v119 :: v_dual_fma_f32 v85, v204, v108, -v85
	v_dual_fmac_f32 v11, v207, v110 :: v_dual_fmac_f32 v13, v209, v112
	s_wait_loadcnt_dscnt 0x601
	s_set_vgpr_msb 1                        ;  msbs: dst=0 src0=1 src1=0 src2=0
	v_dual_mul_f32 v81, v36 /*v292*/, v181 :: v_dual_add_f32 v83, 0, v83
	s_set_vgpr_msb 0                        ;  msbs: dst=0 src0=0 src1=0 src2=0
	v_dual_mul_f32 v97, v217, v121 :: v_dual_fma_f32 v87, v206, v110, -v87
	v_dual_add_f32 v7, v7, v9 :: v_dual_mul_f32 v15, v210, v115
	v_mul_f32_e32 v17, v212, v117
	v_dual_add_f32 v9, v83, v85 :: v_dual_fma_f32 v85, v208, v112, -v89
	s_delay_alu instid0(VALU_DEP_3) | instskip(NEXT) | instid1(VALU_DEP_4)
	v_add_f32_e32 v7, v7, v11
	v_dual_fmac_f32 v15, v211, v114 :: v_dual_mul_f32 v19, v214, v119
	s_delay_alu instid0(VALU_DEP_3) | instskip(NEXT) | instid1(VALU_DEP_3)
	v_dual_mul_f32 v21, v216, v121 :: v_dual_add_f32 v9, v9, v87
	v_dual_fma_f32 v87, v210, v114, -v91 :: v_dual_add_f32 v7, v7, v13
	v_dual_fmac_f32 v17, v213, v116 :: v_dual_mul_f32 v13, v231, v127
	s_delay_alu instid0(VALU_DEP_3) | instskip(NEXT) | instid1(VALU_DEP_3)
	v_dual_add_f32 v9, v9, v85 :: v_dual_fma_f32 v85, v212, v116, -v93
	v_add_f32_e32 v7, v7, v15
	v_dual_fmac_f32 v19, v215, v118 :: v_dual_mul_f32 v23, v226, v123
	s_delay_alu instid0(VALU_DEP_3) | instskip(NEXT) | instid1(VALU_DEP_3)
	v_dual_mul_f32 v25, v228, v125 :: v_dual_add_f32 v9, v9, v87
	v_dual_add_f32 v7, v7, v17 :: v_dual_fmac_f32 v21, v217, v120
	v_dual_mul_f32 v15, v233, v129 :: v_dual_fma_f32 v87, v214, v118, -v95
	s_delay_alu instid0(VALU_DEP_3) | instskip(NEXT) | instid1(VALU_DEP_3)
	v_dual_add_f32 v9, v9, v85 :: v_dual_mul_f32 v17, v243, v131
	v_dual_fma_f32 v85, v216, v120, -v97 :: v_dual_add_f32 v7, v7, v19
	v_dual_mul_f32 v83, v227, v123 :: v_dual_mul_f32 v11, v229, v125
	s_delay_alu instid0(VALU_DEP_3) | instskip(NEXT) | instid1(VALU_DEP_3)
	v_dual_add_f32 v9, v9, v87 :: v_dual_fmac_f32 v23, v227, v122
	v_dual_add_f32 v7, v7, v21 :: v_dual_fmac_f32 v25, v229, v124
	v_dual_mul_f32 v27, v230, v127 :: v_dual_mul_f32 v29, v232, v129
	s_delay_alu instid0(VALU_DEP_4) | instskip(NEXT) | instid1(VALU_DEP_4)
	v_dual_mul_f32 v19, v245, v133 :: v_dual_fma_f32 v83, v226, v122, -v83
	v_dual_add_f32 v9, v9, v85 :: v_dual_mul_f32 v21, v247, v135
	s_delay_alu instid0(VALU_DEP_4) | instskip(NEXT) | instid1(VALU_DEP_2)
	v_dual_fma_f32 v11, v228, v124, -v11 :: v_dual_add_f32 v7, v7, v23
	v_dual_fmac_f32 v27, v231, v126 :: v_dual_add_f32 v9, v9, v83
	v_dual_mul_f32 v31, v242, v131 :: v_dual_mul_f32 v33, v244, v133
	s_delay_alu instid0(VALU_DEP_3) | instskip(SKIP_1) | instid1(VALU_DEP_4)
	v_add_f32_e32 v7, v7, v25
	v_dual_mul_f32 v23, v249, v137 :: v_dual_fma_f32 v13, v230, v126, -v13
	v_add_f32_e32 v9, v9, v11
	v_dual_mul_f32 v11, v251, v139 :: v_dual_fmac_f32 v29, v233, v128
	s_delay_alu instid0(VALU_DEP_4) | instskip(NEXT) | instid1(VALU_DEP_3)
	v_dual_fma_f32 v15, v232, v128, -v15 :: v_dual_add_f32 v7, v7, v27
	v_dual_add_f32 v9, v9, v13 :: v_dual_fmac_f32 v31, v243, v130
	v_dual_mul_f32 v35, v246, v135 :: v_dual_mul_f32 v37, v248, v137
	s_delay_alu instid0(VALU_DEP_2) | instskip(SKIP_2) | instid1(VALU_DEP_3)
	v_dual_add_f32 v7, v7, v29 :: v_dual_add_f32 v9, v9, v15
	v_dual_mul_f32 v13, v253, v141 :: v_dual_fma_f32 v17, v242, v130, -v17
	v_dual_mul_f32 v15, v255, v143 :: v_dual_fmac_f32 v33, v245, v132
	v_dual_fma_f32 v19, v244, v132, -v19 :: v_dual_add_f32 v7, v7, v31
	s_delay_alu instid0(VALU_DEP_3) | instskip(SKIP_2) | instid1(VALU_DEP_3)
	v_dual_add_f32 v9, v9, v17 :: v_dual_fmac_f32 v35, v247, v134
	v_fma_f32 v21, v246, v134, -v21
	v_dual_mul_f32 v39, v250, v139 :: v_dual_mul_f32 v41, v252, v141
	v_dual_add_f32 v7, v7, v33 :: v_dual_add_f32 v9, v9, v19
	v_dual_fma_f32 v23, v248, v136, -v23 :: v_dual_fmac_f32 v37, v249, v136
	s_delay_alu instid0(VALU_DEP_3) | instskip(NEXT) | instid1(VALU_DEP_3)
	v_fmac_f32_e32 v39, v251, v138
	v_dual_add_f32 v7, v7, v35 :: v_dual_add_f32 v9, v9, v21
	v_fma_f32 v11, v250, v138, -v11
	s_set_vgpr_msb 1                        ;  msbs: dst=0 src0=1 src1=0 src2=0
	v_dual_mul_f32 v45, v0 /*v256*/, v145 :: v_dual_mul_f32 v47, v2 /*v258*/, v147
	s_set_vgpr_msb 0                        ;  msbs: dst=0 src0=0 src1=0 src2=0
	v_dual_add_f32 v7, v7, v37 :: v_dual_add_f32 v9, v9, v23
	v_fma_f32 v13, v252, v140, -v13
	v_dual_fmac_f32 v41, v253, v140 :: v_dual_fmac_f32 v43, v255, v142
	s_delay_alu instid0(VALU_DEP_3) | instskip(NEXT) | instid1(VALU_DEP_4)
	v_add_f32_e32 v7, v7, v39
	v_dual_add_f32 v9, v9, v11 :: v_dual_fma_f32 v15, v254, v142, -v15
	s_set_vgpr_msb 1                        ;  msbs: dst=0 src0=1 src1=0 src2=0
	v_dual_mul_f32 v17, v1 /*v257*/, v145 :: v_dual_mul_f32 v19, v3 /*v259*/, v147
	s_set_vgpr_msb 0                        ;  msbs: dst=0 src0=0 src1=0 src2=0
	v_add_f32_e32 v7, v7, v41
	v_add_f32_e32 v9, v9, v13
	s_set_vgpr_msb 1                        ;  msbs: dst=0 src0=1 src1=0 src2=0
	v_dual_fmac_f32 v45, v1 /*v257*/, v144 :: v_dual_fmac_f32 v47, v3 /*v259*/, v146
	v_dual_mul_f32 v49, v4 /*v260*/, v149 :: v_dual_mul_f32 v51, v6 /*v262*/, v151
	s_set_vgpr_msb 0                        ;  msbs: dst=0 src0=0 src1=0 src2=0
	v_add_f32_e32 v7, v7, v43
	s_set_vgpr_msb 1                        ;  msbs: dst=0 src0=1 src1=0 src2=0
	v_fma_f32 v17, v0 /*v256*/, v144, -v17
	s_set_vgpr_msb 0                        ;  msbs: dst=0 src0=0 src1=0 src2=0
	v_add_f32_e32 v9, v9, v15
	s_set_vgpr_msb 1                        ;  msbs: dst=0 src0=1 src1=0 src2=0
	v_dual_mul_f32 v21, v5 /*v261*/, v149 :: v_dual_mul_f32 v23, v7 /*v263*/, v151
	s_set_vgpr_msb 0                        ;  msbs: dst=0 src0=0 src1=0 src2=0
	v_add_f32_e32 v7, v7, v45
	s_set_vgpr_msb 1                        ;  msbs: dst=0 src0=1 src1=0 src2=0
	v_dual_mul_f32 v15, v13 /*v269*/, v157 :: v_dual_fma_f32 v19, v2 /*v258*/, v146, -v19
	s_set_vgpr_msb 0                        ;  msbs: dst=0 src0=0 src1=0 src2=0
	v_add_f32_e32 v9, v9, v17
	s_set_vgpr_msb 1                        ;  msbs: dst=0 src0=1 src1=0 src2=0
	v_dual_fmac_f32 v49, v5 /*v261*/, v148 :: v_dual_fmac_f32 v51, v7 /*v263*/, v150
	s_set_vgpr_msb 0                        ;  msbs: dst=0 src0=0 src1=0 src2=0
	v_add_f32_e32 v7, v7, v47
	s_set_vgpr_msb 1                        ;  msbs: dst=0 src0=1 src1=0 src2=0
	v_dual_mul_f32 v53, v8 /*v264*/, v153 :: v_dual_mul_f32 v55, v10 /*v266*/, v155
	v_dual_mul_f32 v17, v15 /*v271*/, v159 :: v_dual_fma_f32 v21, v4 /*v260*/, v148, -v21
	s_set_vgpr_msb 0                        ;  msbs: dst=0 src0=0 src1=0 src2=0
	v_dual_add_f32 v9, v9, v19 :: v_dual_add_f32 v7, v7, v49
	s_set_vgpr_msb 1                        ;  msbs: dst=0 src0=1 src1=0 src2=0
	v_dual_mul_f32 v11, v9 /*v265*/, v153 :: v_dual_mul_f32 v13, v11 /*v267*/, v155
	v_dual_mul_f32 v19, v17 /*v273*/, v161 :: v_dual_fma_f32 v23, v6 /*v262*/, v150, -v23
	s_set_vgpr_msb 0                        ;  msbs: dst=0 src0=0 src1=0 src2=0
	v_dual_add_f32 v9, v9, v21 :: v_dual_add_f32 v7, v7, v51
	s_set_vgpr_msb 1                        ;  msbs: dst=0 src0=1 src1=0 src2=0
	v_dual_fmac_f32 v53, v9 /*v265*/, v152 :: v_dual_fma_f32 v11, v8 /*v264*/, v152, -v11
	v_dual_mul_f32 v57, v12 /*v268*/, v157 :: v_dual_mul_f32 v59, v14 /*v270*/, v159
	v_mul_f32_e32 v21, v19 /*v275*/, v163
	s_set_vgpr_msb 0                        ;  msbs: dst=0 src0=0 src1=0 src2=0
	s_delay_alu instid0(VALU_DEP_3)
	v_dual_add_f32 v9, v9, v23 :: v_dual_add_f32 v7, v7, v53
	s_set_vgpr_msb 1                        ;  msbs: dst=0 src0=1 src1=0 src2=0
	v_dual_mul_f32 v23, v21 /*v277*/, v165 :: v_dual_fmac_f32 v55, v11 /*v267*/, v154
	v_fma_f32 v13, v10 /*v266*/, v154, -v13
	v_dual_fmac_f32 v57, v13 /*v269*/, v156 :: v_dual_fma_f32 v15, v12 /*v268*/, v156, -v15
	v_dual_mul_f32 v61, v16 /*v272*/, v161 :: v_dual_mul_f32 v63, v18 /*v274*/, v163
	s_set_vgpr_msb 0                        ;  msbs: dst=0 src0=0 src1=0 src2=0
	v_add_f32_e32 v7, v7, v55
	v_add_f32_e32 v9, v9, v11
	s_set_vgpr_msb 1                        ;  msbs: dst=0 src0=1 src1=0 src2=0
	v_mul_f32_e32 v11, v23 /*v279*/, v167
	v_dual_fmac_f32 v59, v15 /*v271*/, v158 :: v_dual_fma_f32 v17, v14 /*v270*/, v158, -v17
	s_set_vgpr_msb 0                        ;  msbs: dst=0 src0=0 src1=0 src2=0
	v_add_f32_e32 v7, v7, v57
	v_add_f32_e32 v9, v9, v13
	s_set_vgpr_msb 1                        ;  msbs: dst=0 src0=1 src1=0 src2=0
	v_mul_f32_e32 v13, v25 /*v281*/, v169
	v_dual_fmac_f32 v61, v17 /*v273*/, v160 :: v_dual_fma_f32 v19, v16 /*v272*/, v160, -v19
	s_set_vgpr_msb 0                        ;  msbs: dst=0 src0=0 src1=0 src2=0
	v_add_f32_e32 v7, v7, v59
	v_add_f32_e32 v9, v9, v15
	s_set_vgpr_msb 1                        ;  msbs: dst=0 src0=1 src1=0 src2=0
	v_dual_mul_f32 v65, v20 /*v276*/, v165 :: v_dual_mul_f32 v67, v22 /*v278*/, v167
	v_mul_f32_e32 v15, v27 /*v283*/, v171
	v_fmac_f32_e32 v63, v19 /*v275*/, v162
	s_set_vgpr_msb 0                        ;  msbs: dst=0 src0=0 src1=0 src2=0
	v_add_f32_e32 v7, v7, v61
	v_add_f32_e32 v9, v9, v17
	s_set_vgpr_msb 1                        ;  msbs: dst=0 src0=1 src1=0 src2=0
	v_dual_mul_f32 v17, v29 /*v285*/, v173 :: v_dual_fma_f32 v21, v18 /*v274*/, v162, -v21
	v_dual_fmac_f32 v65, v21 /*v277*/, v164 :: v_dual_fma_f32 v23, v20 /*v276*/, v164, -v23
	s_set_vgpr_msb 0                        ;  msbs: dst=0 src0=0 src1=0 src2=0
	v_add_f32_e32 v7, v7, v63
	v_add_f32_e32 v9, v9, v19
	s_set_vgpr_msb 1                        ;  msbs: dst=0 src0=1 src1=0 src2=0
	v_dual_mul_f32 v69, v24 /*v280*/, v169 :: v_dual_mul_f32 v71, v26 /*v282*/, v171
	v_mul_f32_e32 v19, v31 /*v287*/, v175
	v_fmac_f32_e32 v67, v23 /*v279*/, v166
	s_set_vgpr_msb 0                        ;  msbs: dst=0 src0=0 src1=0 src2=0
	v_add_f32_e32 v7, v7, v65
	v_add_f32_e32 v9, v9, v21
	s_set_vgpr_msb 1                        ;  msbs: dst=0 src0=1 src1=0 src2=0
	v_mul_f32_e32 v21, v33 /*v289*/, v177
	v_dual_fmac_f32 v69, v25 /*v281*/, v168 :: v_dual_fmac_f32 v71, v27 /*v283*/, v170
	v_fma_f32 v13, v24 /*v280*/, v168, -v13
	s_set_vgpr_msb 0                        ;  msbs: dst=0 src0=0 src1=0 src2=0
	v_add_f32_e32 v7, v7, v67
	s_set_vgpr_msb 1                        ;  msbs: dst=0 src0=1 src1=0 src2=0
	v_dual_mul_f32 v73, v28 /*v284*/, v173 :: v_dual_mul_f32 v75, v30 /*v286*/, v175
	v_fma_f32 v11, v22 /*v278*/, v166, -v11
	s_set_vgpr_msb 0                        ;  msbs: dst=0 src0=0 src1=0 src2=0
	v_dual_add_f32 v9, v9, v23 :: v_dual_add_f32 v7, v7, v69
	s_set_vgpr_msb 1                        ;  msbs: dst=0 src0=1 src1=0 src2=0
	v_dual_mul_f32 v23, v35 /*v291*/, v179 :: v_dual_fmac_f32 v73, v29 /*v285*/, v172
	v_dual_fmac_f32 v75, v31 /*v287*/, v174 :: v_dual_fma_f32 v17, v28 /*v284*/, v172, -v17
	s_set_vgpr_msb 0                        ;  msbs: dst=0 src0=0 src1=0 src2=0
	v_add_f32_e32 v7, v7, v71
	v_add_f32_e32 v9, v9, v11
	s_set_vgpr_msb 1                        ;  msbs: dst=0 src0=1 src1=0 src2=0
	v_dual_mul_f32 v77, v32 /*v288*/, v177 :: v_dual_mul_f32 v79, v34 /*v290*/, v179
	v_dual_mul_f32 v11, v37 /*v293*/, v181 :: v_dual_fma_f32 v15, v26 /*v282*/, v170, -v15
	s_set_vgpr_msb 0                        ;  msbs: dst=0 src0=0 src1=0 src2=0
	v_add_f32_e32 v7, v7, v73
	v_add_f32_e32 v9, v9, v13
	s_wait_loadcnt_dscnt 0x500
	s_set_vgpr_msb 1                        ;  msbs: dst=0 src0=1 src1=0 src2=0
	v_dual_mul_f32 v13, v39 /*v295*/, v183 :: v_dual_fma_f32 v19, v30 /*v286*/, v174, -v19
	v_fmac_f32_e32 v77, v33 /*v289*/, v176
	s_wait_loadcnt 0x4
	s_set_vgpr_msb 0                        ;  msbs: dst=0 src0=0 src1=0 src2=0
	v_dual_add_f32 v7, v7, v75 :: v_dual_mov_b32 v108, v189
	v_add_f32_e32 v9, v9, v15
	s_set_vgpr_msb 1                        ;  msbs: dst=0 src0=1 src1=0 src2=0
	v_dual_mul_f32 v15, v41 /*v297*/, v185 :: v_dual_fmac_f32 v79, v35 /*v291*/, v178
	s_set_vgpr_msb 0                        ;  msbs: dst=0 src0=0 src1=0 src2=0
	v_add_f32_e32 v7, v7, v77
	s_set_vgpr_msb 1                        ;  msbs: dst=0 src0=1 src1=0 src2=0
	v_dual_fmac_f32 v81, v37 /*v293*/, v180 :: v_dual_fma_f32 v11, v36 /*v292*/, v180, -v11
	s_set_vgpr_msb 0                        ;  msbs: dst=0 src0=0 src1=0 src2=0
	v_add_f32_e32 v9, v9, v17
	s_set_vgpr_msb 1                        ;  msbs: dst=0 src0=1 src1=0 src2=0
	v_fma_f32 v17, v32 /*v288*/, v176, -v21
	s_wait_loadcnt 0x3
	s_set_vgpr_msb 0                        ;  msbs: dst=0 src0=0 src1=0 src2=0
	v_dual_add_f32 v7, v7, v79 :: v_dual_mov_b32 v112, v193
	s_set_vgpr_msb 0x41                     ;  msbs: dst=1 src0=1 src1=0 src2=0
	v_dual_mul_f32 v53 /*v309*/, v38 /*v294*/, v183 :: v_dual_mul_f32 v55 /*v311*/, v40 /*v296*/, v185
	s_set_vgpr_msb 0                        ;  msbs: dst=0 src0=0 src1=0 src2=0
	s_delay_alu instid0(VALU_DEP_2)
	v_dual_add_f32 v9, v9, v19 :: v_dual_add_f32 v115, v7, v81
	s_set_vgpr_msb 1                        ;  msbs: dst=0 src0=1 src1=0 src2=0
	v_fma_f32 v19, v34 /*v290*/, v178, -v23
	s_set_vgpr_msb 0                        ;  msbs: dst=0 src0=0 src1=0 src2=0
	v_pk_mul_f32 v[106:107], v[218:219], v[186:187] op_sel:[1,1] op_sel_hi:[0,1]
	s_set_vgpr_msb 0x41                     ;  msbs: dst=1 src0=1 src1=0 src2=0
	v_dual_fmac_f32 v53 /*v309*/, v39 /*v295*/, v182 :: v_dual_fmac_f32 v55 /*v311*/, v41 /*v297*/, v184
	s_set_vgpr_msb 0                        ;  msbs: dst=0 src0=0 src1=0 src2=0
	v_add_f32_e32 v9, v9, v17
	s_set_vgpr_msb 0x41                     ;  msbs: dst=1 src0=1 src1=0 src2=0
	v_dual_fma_f32 v52 /*v308*/, v38 /*v294*/, v182, -v13 :: v_dual_fma_f32 v54 /*v310*/, v40 /*v296*/, v184, -v15
	s_set_vgpr_msb 0                        ;  msbs: dst=0 src0=0 src1=0 src2=0
	v_pk_fma_f32 v[116:117], v[218:219], v[186:187], v[106:107] op_sel_hi:[1,0,1]
	s_set_vgpr_msb 1                        ;  msbs: dst=0 src0=1 src1=0 src2=0
	v_pk_mul_f32 v[108:109], v[44:45] /*v[300:301]*/, v[108:109] op_sel_hi:[1,0]
	s_set_vgpr_msb 0                        ;  msbs: dst=0 src0=0 src1=0 src2=0
	v_add_f32_e32 v9, v9, v19
	v_pk_fma_f32 v[106:107], v[218:219], v[186:187], v[106:107] neg_lo:[0,0,1] neg_hi:[0,0,1]
	v_pk_mul_f32 v[110:111], v[222:223], v[190:191] op_sel:[1,1] op_sel_hi:[0,1]
	v_mov_b32_e32 v107, v117
	v_pk_fma_f32 v[116:117], v[220:221], v[188:189], v[108:109] op_sel_hi:[1,0,1]
	v_add_f32_e32 v114, v9, v11
	v_pk_fma_f32 v[108:109], v[220:221], v[188:189], v[108:109] neg_lo:[0,0,1] neg_hi:[0,0,1]
	v_pk_fma_f32 v[120:121], v[222:223], v[190:191], v[110:111] op_sel_hi:[1,0,1]
	s_set_vgpr_msb 1                        ;  msbs: dst=0 src0=1 src1=0 src2=0
	v_pk_mul_f32 v[112:113], v[46:47] /*v[302:303]*/, v[112:113] op_sel_hi:[1,0]
	s_set_vgpr_msb 4                        ;  msbs: dst=0 src0=0 src1=1 src2=0
	v_mov_b32_e32 v109, v117
	v_pk_add_f32 v[114:115], v[114:115], v[52:53] /*v[308:309]*/
	s_wait_loadcnt 0x2
	s_set_vgpr_msb 0                        ;  msbs: dst=0 src0=0 src1=0 src2=0
	v_pk_mul_f32 v[118:119], v[234:235], v[194:195] op_sel:[1,1] op_sel_hi:[0,1]
	v_pk_fma_f32 v[110:111], v[222:223], v[190:191], v[110:111] neg_lo:[0,0,1] neg_hi:[0,0,1]
	v_mov_b32_e32 v111, v121
	v_pk_fma_f32 v[116:117], v[224:225], v[192:193], v[112:113] op_sel_hi:[1,0,1]
	s_set_vgpr_msb 4                        ;  msbs: dst=0 src0=0 src1=1 src2=0
	v_pk_add_f32 v[114:115], v[114:115], v[54:55] /*v[310:311]*/
	s_set_vgpr_msb 0                        ;  msbs: dst=0 src0=0 src1=0 src2=0
	v_pk_fma_f32 v[112:113], v[224:225], v[192:193], v[112:113] neg_lo:[0,0,1] neg_hi:[0,0,1]
	s_delay_alu instid0(VALU_DEP_2) | instskip(SKIP_1) | instid1(VALU_DEP_2)
	v_pk_add_f32 v[106:107], v[114:115], v[106:107]
	v_mov_b32_e32 v114, v197
	v_pk_add_f32 v[106:107], v[106:107], v[108:109]
	v_pk_fma_f32 v[108:109], v[234:235], v[194:195], v[118:119] op_sel_hi:[1,0,1]
	s_set_vgpr_msb 1                        ;  msbs: dst=0 src0=1 src1=0 src2=0
	s_delay_alu instid0(VALU_DEP_3)
	v_pk_mul_f32 v[114:115], v[48:49] /*v[304:305]*/, v[114:115] op_sel_hi:[1,0]
	s_set_vgpr_msb 0                        ;  msbs: dst=0 src0=0 src1=0 src2=0
	v_mov_b32_e32 v113, v117
	v_pk_fma_f32 v[116:117], v[234:235], v[194:195], v[118:119] neg_lo:[0,0,1] neg_hi:[0,0,1]
	v_pk_add_f32 v[106:107], v[106:107], v[110:111]
	v_mov_b32_e32 v117, v109
	v_pk_fma_f32 v[108:109], v[236:237], v[196:197], v[114:115] op_sel_hi:[1,0,1]
	s_wait_loadcnt 0x1
	v_pk_mul_f32 v[110:111], v[238:239], v[198:199] op_sel:[1,1] op_sel_hi:[0,1]
	v_mov_b32_e32 v108, v201
	v_pk_add_f32 v[106:107], v[106:107], v[112:113]
	v_pk_fma_f32 v[114:115], v[236:237], v[196:197], v[114:115] neg_lo:[0,0,1] neg_hi:[0,0,1]
	v_mov_b32_e32 v115, v109
	v_pk_fma_f32 v[112:113], v[238:239], v[198:199], v[110:111] op_sel_hi:[1,0,1]
	s_set_vgpr_msb 1                        ;  msbs: dst=0 src0=1 src1=0 src2=0
	v_pk_mul_f32 v[108:109], v[50:51] /*v[306:307]*/, v[108:109] op_sel_hi:[1,0]
	s_set_vgpr_msb 0                        ;  msbs: dst=0 src0=0 src1=0 src2=0
	v_pk_add_f32 v[106:107], v[106:107], v[116:117]
	v_pk_fma_f32 v[110:111], v[238:239], v[198:199], v[110:111] neg_lo:[0,0,1] neg_hi:[0,0,1]
	v_mov_b32_e32 v111, v113
	v_pk_fma_f32 v[112:113], v[240:241], v[200:201], v[108:109] op_sel_hi:[1,0,1]
	s_delay_alu instid0(VALU_DEP_4) | instskip(SKIP_1) | instid1(VALU_DEP_3)
	v_pk_add_f32 v[106:107], v[106:107], v[114:115]
	v_pk_fma_f32 v[108:109], v[240:241], v[200:201], v[108:109] neg_lo:[0,0,1] neg_hi:[0,0,1]
	v_mov_b32_e32 v109, v113
	s_delay_alu instid0(VALU_DEP_3) | instskip(NEXT) | instid1(VALU_DEP_1)
	v_pk_add_f32 v[106:107], v[106:107], v[110:111]
	v_pk_add_f32 v[106:107], v[106:107], v[108:109]
	s_wait_loadcnt 0x0
	s_set_vgpr_msb 1                        ;  msbs: dst=0 src0=1 src1=0 src2=0
	s_delay_alu instid0(VALU_DEP_1)
	v_pk_add_f32 v[106:107], v[42:43] /*v[298:299]*/, v[106:107] neg_lo:[0,1] neg_hi:[0,1]
	scratch_store_b64 off, v[106:107], off offset:24
	s_wait_xcnt 0x0
	v_cmpx_lt_u32_e32 2, v0
	s_set_vgpr_msb 0                        ;  msbs: dst=0 src0=0 src1=0 src2=0
	s_cbranch_execz .LBB115_321
; %bb.320:
	scratch_load_b64 v[106:107], off, off offset:16
	v_mov_b64_e32 v[108:109], 0
	scratch_store_b64 off, v[108:109], off offset:16
	s_wait_loadcnt 0x0
	ds_store_b64 v1, v[106:107]
.LBB115_321:
	s_wait_xcnt 0x0
	s_or_b32 exec_lo, exec_lo, s0
	s_wait_storecnt_dscnt 0x0
	s_barrier_signal -1
	s_barrier_wait -1
	s_clause 0x1a
	scratch_load_b128 v[106:109], off, off offset:24
	scratch_load_b128 v[110:113], off, off offset:40
	;; [unrolled: 1-line block ×24, first 2 shown]
	s_set_vgpr_msb 64                       ;  msbs: dst=1 src0=0 src1=0 src2=0
	scratch_load_b64 v[42:43] /*v[298:299]*/, off, off offset:408
	scratch_load_b64 v[44:45] /*v[300:301]*/, off, off offset:16
	s_set_vgpr_msb 0                        ;  msbs: dst=0 src0=0 src1=0 src2=0
	v_mov_b32_e32 v85, 0
	ds_load_2addr_b64 v[202:205], v85 offset0:55 offset1:56
	ds_load_2addr_b64 v[206:209], v85 offset0:57 offset1:58
	;; [unrolled: 1-line block ×14, first 2 shown]
	s_set_vgpr_msb 64                       ;  msbs: dst=1 src0=0 src1=0 src2=0
	ds_load_2addr_b64 v[2:5] /*v[258:261]*/, v85 offset0:75 offset1:76
	ds_load_2addr_b64 v[6:9] /*v[262:265]*/, v85 offset0:77 offset1:78
	;; [unrolled: 1-line block ×10, first 2 shown]
	ds_load_b64 v[46:47] /*v[302:303]*/, v85 offset:824
	s_wait_dscnt 0x14
	v_dual_mov_b32 v48 /*v304*/, v221 :: v_dual_mov_b32 v49 /*v305*/, v220
	s_wait_dscnt 0x11
	v_dual_mov_b32 v50 /*v306*/, v233 :: v_dual_mov_b32 v51 /*v307*/, v232
	;; [unrolled: 2-line block ×4, first 2 shown]
	s_mov_b32 s0, exec_lo
	s_wait_loadcnt 0x19
	s_set_vgpr_msb 0                        ;  msbs: dst=0 src0=0 src1=0 src2=0
	v_dual_mul_f32 v7, v202, v107 :: v_dual_mul_f32 v87, v203, v107
	v_dual_mul_f32 v89, v205, v109 :: v_dual_mul_f32 v9, v204, v109
	s_wait_loadcnt 0x18
	v_mul_f32_e32 v11, v206, v111
	s_wait_loadcnt 0x16
	v_dual_mul_f32 v99, v215, v119 :: v_dual_fma_f32 v87, v202, v106, -v87
	v_dual_fmac_f32 v7, v203, v106 :: v_dual_mul_f32 v101, v217, v121
	v_dual_mul_f32 v91, v207, v111 :: v_dual_mul_f32 v93, v209, v113
	s_delay_alu instid0(VALU_DEP_2) | instskip(NEXT) | instid1(VALU_DEP_4)
	v_dual_fmac_f32 v9, v205, v108 :: v_dual_add_f32 v7, 0, v7
	v_dual_fma_f32 v89, v204, v108, -v89 :: v_dual_add_f32 v87, 0, v87
	v_dual_mul_f32 v13, v208, v113 :: v_dual_mul_f32 v15, v210, v115
	s_wait_loadcnt 0x15
	v_dual_mul_f32 v103, v223, v123 :: v_dual_fma_f32 v91, v206, v110, -v91
	v_fmac_f32_e32 v11, v207, v110
	s_delay_alu instid0(VALU_DEP_3) | instskip(SKIP_2) | instid1(VALU_DEP_3)
	v_dual_add_f32 v7, v7, v9 :: v_dual_fmac_f32 v13, v209, v112
	v_dual_add_f32 v9, v87, v89 :: v_dual_fma_f32 v89, v208, v112, -v93
	v_dual_mul_f32 v95, v211, v115 :: v_dual_mul_f32 v97, v213, v117
	v_dual_mul_f32 v87, v225, v125 :: v_dual_add_f32 v7, v7, v11
	s_delay_alu instid0(VALU_DEP_3) | instskip(SKIP_2) | instid1(VALU_DEP_2)
	v_dual_add_f32 v9, v9, v91 :: v_dual_fmac_f32 v15, v211, v114
	v_dual_mul_f32 v17, v212, v117 :: v_dual_mul_f32 v19, v214, v119
	s_wait_loadcnt 0x14
	v_dual_mul_f32 v11, v227, v127 :: v_dual_add_f32 v9, v9, v89
	v_dual_fma_f32 v91, v210, v114, -v95 :: v_dual_add_f32 v7, v7, v13
	s_delay_alu instid0(VALU_DEP_3) | instskip(SKIP_1) | instid1(VALU_DEP_3)
	v_fmac_f32_e32 v17, v213, v116
	v_dual_mul_f32 v13, v229, v129 :: v_dual_fma_f32 v89, v212, v116, -v97
	v_dual_add_f32 v9, v9, v91 :: v_dual_fmac_f32 v19, v215, v118
	s_delay_alu instid0(VALU_DEP_4) | instskip(SKIP_2) | instid1(VALU_DEP_3)
	v_dual_add_f32 v7, v7, v15 :: v_dual_fma_f32 v91, v214, v118, -v99
	v_dual_mul_f32 v21, v216, v121 :: v_dual_mul_f32 v23, v222, v123
	s_wait_loadcnt 0x13
	v_dual_mul_f32 v15, v239, v131 :: v_dual_add_f32 v9, v9, v89
	s_delay_alu instid0(VALU_DEP_2) | instskip(SKIP_1) | instid1(VALU_DEP_3)
	v_dual_add_f32 v7, v7, v17 :: v_dual_fmac_f32 v21, v217, v120
	v_dual_mul_f32 v17, v241, v133 :: v_dual_fma_f32 v89, v216, v120, -v101
	v_dual_add_f32 v9, v9, v91 :: v_dual_fmac_f32 v23, v223, v122
	s_delay_alu instid0(VALU_DEP_3) | instskip(SKIP_2) | instid1(VALU_DEP_3)
	v_dual_add_f32 v7, v7, v19 :: v_dual_fma_f32 v91, v222, v122, -v103
	v_dual_mul_f32 v25, v224, v125 :: v_dual_mul_f32 v27, v226, v127
	s_wait_loadcnt 0x12
	v_dual_mul_f32 v19, v243, v135 :: v_dual_add_f32 v9, v9, v89
	s_delay_alu instid0(VALU_DEP_2) | instskip(SKIP_1) | instid1(VALU_DEP_3)
	v_dual_add_f32 v7, v7, v21 :: v_dual_fmac_f32 v25, v225, v124
	v_dual_mul_f32 v21, v245, v137 :: v_dual_fma_f32 v87, v224, v124, -v87
	v_dual_add_f32 v9, v9, v91 :: v_dual_fmac_f32 v27, v227, v126
	s_delay_alu instid0(VALU_DEP_3) | instskip(SKIP_1) | instid1(VALU_DEP_2)
	v_dual_add_f32 v7, v7, v23 :: v_dual_fma_f32 v11, v226, v126, -v11
	v_dual_mul_f32 v29, v228, v129 :: v_dual_mul_f32 v31, v238, v131
	v_dual_add_f32 v9, v9, v87 :: v_dual_add_f32 v7, v7, v25
	v_fma_f32 v13, v228, v128, -v13
	s_delay_alu instid0(VALU_DEP_3) | instskip(SKIP_1) | instid1(VALU_DEP_4)
	v_dual_fmac_f32 v29, v229, v128 :: v_dual_mul_f32 v33, v240, v133
	v_mul_f32_e32 v35, v242, v135
	v_add_f32_e32 v7, v7, v27
	v_add_f32_e32 v9, v9, v11
	s_wait_loadcnt_dscnt 0x100b
	v_dual_mul_f32 v11, v255, v143 :: v_dual_fma_f32 v15, v238, v130, -v15
	v_fmac_f32_e32 v31, v239, v130
	v_dual_add_f32 v7, v7, v29 :: v_dual_fmac_f32 v33, v241, v132
	v_dual_add_f32 v9, v9, v13 :: v_dual_fma_f32 v17, v240, v132, -v17
	v_dual_mul_f32 v37, v244, v137 :: v_dual_mul_f32 v39, v250, v139
	s_delay_alu instid0(VALU_DEP_3) | instskip(NEXT) | instid1(VALU_DEP_3)
	v_add_f32_e32 v7, v7, v31
	v_dual_add_f32 v9, v9, v15 :: v_dual_fmac_f32 v35, v243, v134
	v_dual_fma_f32 v19, v242, v134, -v19 :: v_dual_mul_f32 v23, v251, v139
	v_mul_f32_e32 v25, v253, v141
	s_delay_alu instid0(VALU_DEP_4) | instskip(NEXT) | instid1(VALU_DEP_4)
	v_add_f32_e32 v7, v7, v33
	v_dual_add_f32 v9, v9, v17 :: v_dual_fma_f32 v21, v244, v136, -v21
	v_dual_fmac_f32 v37, v245, v136 :: v_dual_mul_f32 v41, v252, v141
	v_mul_f32_e32 v43, v254, v143
	s_delay_alu instid0(VALU_DEP_4) | instskip(NEXT) | instid1(VALU_DEP_4)
	v_add_f32_e32 v7, v7, v35
	v_dual_add_f32 v9, v9, v19 :: v_dual_fmac_f32 v39, v251, v138
	v_dual_fma_f32 v23, v250, v138, -v23 :: v_dual_fma_f32 v25, v252, v140, -v25
	s_delay_alu instid0(VALU_DEP_3) | instskip(NEXT) | instid1(VALU_DEP_3)
	v_add_f32_e32 v7, v7, v37
	v_add_f32_e32 v9, v9, v21
	v_fmac_f32_e32 v41, v253, v140
	s_wait_loadcnt_dscnt 0xf0a
	s_set_vgpr_msb 1                        ;  msbs: dst=0 src0=1 src1=0 src2=0
	v_dual_mul_f32 v45, v0 /*v256*/, v145 :: v_dual_mul_f32 v47, v2 /*v258*/, v147
	s_set_vgpr_msb 0                        ;  msbs: dst=0 src0=0 src1=0 src2=0
	v_add_f32_e32 v7, v7, v39
	v_dual_add_f32 v9, v9, v23 :: v_dual_fmac_f32 v43, v255, v142
	s_set_vgpr_msb 1                        ;  msbs: dst=0 src0=1 src1=0 src2=0
	v_dual_mul_f32 v13, v1 /*v257*/, v145 :: v_dual_mul_f32 v15, v3 /*v259*/, v147
	s_set_vgpr_msb 0                        ;  msbs: dst=0 src0=0 src1=0 src2=0
	v_dual_fma_f32 v11, v254, v142, -v11 :: v_dual_add_f32 v7, v7, v41
	v_add_f32_e32 v9, v9, v25
	s_wait_loadcnt_dscnt 0xd08
	s_set_vgpr_msb 1                        ;  msbs: dst=0 src0=1 src1=0 src2=0
	v_dual_mul_f32 v25, v13 /*v269*/, v157 :: v_dual_fma_f32 v13, v0 /*v256*/, v144, -v13
	v_fmac_f32_e32 v45, v1 /*v257*/, v144
	s_set_vgpr_msb 0                        ;  msbs: dst=0 src0=0 src1=0 src2=0
	v_add_f32_e32 v7, v7, v43
	v_add_f32_e32 v9, v9, v11
	s_set_vgpr_msb 1                        ;  msbs: dst=0 src0=1 src1=0 src2=0
	v_dual_mul_f32 v49, v4 /*v260*/, v149 :: v_dual_mul_f32 v51, v6 /*v262*/, v151
	v_dual_mul_f32 v17, v5 /*v261*/, v149 :: v_dual_mul_f32 v19, v7 /*v263*/, v151
	s_wait_loadcnt_dscnt 0xc07
	v_mul_f32_e32 v11, v15 /*v271*/, v159
	v_fmac_f32_e32 v47, v3 /*v259*/, v146
	v_dual_fma_f32 v15, v2 /*v258*/, v146, -v15 :: v_dual_fmac_f32 v49, v5 /*v261*/, v148
	s_set_vgpr_msb 0                        ;  msbs: dst=0 src0=0 src1=0 src2=0
	v_add_f32_e32 v7, v7, v45
	v_add_f32_e32 v9, v9, v13
	s_set_vgpr_msb 1                        ;  msbs: dst=0 src0=1 src1=0 src2=0
	v_dual_mul_f32 v13, v17 /*v273*/, v161 :: v_dual_fma_f32 v17, v4 /*v260*/, v148, -v17
	v_dual_mul_f32 v53, v8 /*v264*/, v153 :: v_dual_mul_f32 v55, v10 /*v266*/, v155
	s_set_vgpr_msb 0                        ;  msbs: dst=0 src0=0 src1=0 src2=0
	v_add_f32_e32 v7, v7, v47
	v_add_f32_e32 v9, v9, v15
	s_set_vgpr_msb 1                        ;  msbs: dst=0 src0=1 src1=0 src2=0
	v_dual_mul_f32 v21, v9 /*v265*/, v153 :: v_dual_mul_f32 v23, v11 /*v267*/, v155
	s_wait_loadcnt_dscnt 0xb06
	v_mul_f32_e32 v15, v19 /*v275*/, v163
	v_fmac_f32_e32 v51, v7 /*v263*/, v150
	v_dual_fma_f32 v19, v6 /*v262*/, v150, -v19 :: v_dual_fmac_f32 v53, v9 /*v265*/, v152
	s_set_vgpr_msb 0                        ;  msbs: dst=0 src0=0 src1=0 src2=0
	v_add_f32_e32 v7, v7, v49
	v_add_f32_e32 v9, v9, v17
	s_set_vgpr_msb 1                        ;  msbs: dst=0 src0=1 src1=0 src2=0
	v_dual_mul_f32 v17, v21 /*v277*/, v165 :: v_dual_fma_f32 v21, v8 /*v264*/, v152, -v21
	v_dual_mul_f32 v57, v12 /*v268*/, v157 :: v_dual_mul_f32 v59, v14 /*v270*/, v159
	s_set_vgpr_msb 0                        ;  msbs: dst=0 src0=0 src1=0 src2=0
	v_add_f32_e32 v7, v7, v51
	v_add_f32_e32 v9, v9, v19
	s_wait_loadcnt_dscnt 0xa05
	s_set_vgpr_msb 1                        ;  msbs: dst=0 src0=1 src1=0 src2=0
	v_mul_f32_e32 v19, v23 /*v279*/, v167
	v_fmac_f32_e32 v55, v11 /*v267*/, v154
	v_dual_fma_f32 v23, v10 /*v266*/, v154, -v23 :: v_dual_fmac_f32 v57, v13 /*v269*/, v156
	s_set_vgpr_msb 0                        ;  msbs: dst=0 src0=0 src1=0 src2=0
	v_add_f32_e32 v7, v7, v53
	v_add_f32_e32 v9, v9, v21
	s_set_vgpr_msb 1                        ;  msbs: dst=0 src0=1 src1=0 src2=0
	v_dual_mul_f32 v21, v25 /*v281*/, v169 :: v_dual_fma_f32 v25, v12 /*v268*/, v156, -v25
	v_dual_mul_f32 v61, v16 /*v272*/, v161 :: v_dual_mul_f32 v63, v18 /*v274*/, v163
	s_set_vgpr_msb 0                        ;  msbs: dst=0 src0=0 src1=0 src2=0
	v_add_f32_e32 v7, v7, v55
	v_add_f32_e32 v9, v9, v23
	s_wait_loadcnt_dscnt 0x904
	s_set_vgpr_msb 1                        ;  msbs: dst=0 src0=1 src1=0 src2=0
	;; [unrolled: 14-line block ×5, first 2 shown]
	v_mul_f32_e32 v19, v39 /*v295*/, v183
	v_fmac_f32_e32 v71, v27 /*v283*/, v170
	v_dual_fma_f32 v23, v26 /*v282*/, v170, -v23 :: v_dual_fmac_f32 v73, v29 /*v285*/, v172
	s_set_vgpr_msb 0                        ;  msbs: dst=0 src0=0 src1=0 src2=0
	v_add_f32_e32 v7, v7, v69
	v_add_f32_e32 v9, v9, v21
	s_set_vgpr_msb 1                        ;  msbs: dst=0 src0=1 src1=0 src2=0
	v_dual_mul_f32 v21, v41 /*v297*/, v185 :: v_dual_fma_f32 v25, v28 /*v284*/, v172, -v25
	v_fmac_f32_e32 v75, v31 /*v287*/, v174
	s_set_vgpr_msb 0                        ;  msbs: dst=0 src0=0 src1=0 src2=0
	v_add_f32_e32 v7, v7, v71
	v_add_f32_e32 v9, v9, v23
	s_set_vgpr_msb 1                        ;  msbs: dst=0 src0=1 src1=0 src2=0
	v_dual_mul_f32 v77, v32 /*v288*/, v177 :: v_dual_mul_f32 v79, v34 /*v290*/, v179
	v_fma_f32 v11, v30 /*v286*/, v174, -v11
	s_set_vgpr_msb 0                        ;  msbs: dst=0 src0=0 src1=0 src2=0
	v_add_f32_e32 v7, v7, v73
	s_wait_loadcnt 0x5
	v_dual_mul_f32 v23, v219, v187 :: v_dual_add_f32 v9, v9, v25
	v_mov_b32_e32 v106, v189
	s_set_vgpr_msb 1                        ;  msbs: dst=0 src0=1 src1=0 src2=0
	v_fmac_f32_e32 v77, v33 /*v289*/, v176
	v_dual_fma_f32 v13, v32 /*v288*/, v176, -v13 :: v_dual_fmac_f32 v79, v35 /*v291*/, v178
	s_set_vgpr_msb 0                        ;  msbs: dst=0 src0=0 src1=0 src2=0
	v_add_f32_e32 v7, v7, v75
	v_add_f32_e32 v9, v9, v11
	s_set_vgpr_msb 1                        ;  msbs: dst=0 src0=1 src1=0 src2=0
	v_dual_mul_f32 v81, v36 /*v292*/, v181 :: v_dual_mul_f32 v83, v38 /*v294*/, v183
	v_fma_f32 v11, v34 /*v290*/, v178, -v15
	s_set_vgpr_msb 0                        ;  msbs: dst=0 src0=0 src1=0 src2=0
	v_add_f32_e32 v7, v7, v77
	v_add_f32_e32 v9, v9, v13
	s_set_vgpr_msb 1                        ;  msbs: dst=0 src0=1 src1=0 src2=0
	v_pk_mul_f32 v[106:107], v[48:49] /*v[304:305]*/, v[106:107] op_sel_hi:[1,0]
	v_fmac_f32_e32 v81, v37 /*v293*/, v180
	v_dual_fma_f32 v13, v36 /*v292*/, v180, -v17 :: v_dual_fmac_f32 v83, v39 /*v295*/, v182
	s_set_vgpr_msb 0                        ;  msbs: dst=0 src0=0 src1=0 src2=0
	v_add_f32_e32 v7, v7, v79
	v_pk_fma_f32 v[118:119], v[220:221], v[188:189], v[106:107] op_sel_hi:[1,0,1]
	v_add_f32_e32 v9, v9, v11
	v_pk_fma_f32 v[106:107], v[220:221], v[188:189], v[106:107] neg_lo:[0,0,1] neg_hi:[0,0,1]
	s_set_vgpr_msb 0x41                     ;  msbs: dst=1 src0=1 src1=0 src2=0
	v_dual_mul_f32 v57 /*v313*/, v40 /*v296*/, v185 :: v_dual_fma_f32 v56 /*v312*/, v40 /*v296*/, v184, -v21
	s_wait_loadcnt 0x4
	s_set_vgpr_msb 0                        ;  msbs: dst=0 src0=0 src1=0 src2=0
	v_dual_mov_b32 v110, v193 :: v_dual_add_f32 v7, v7, v81
	s_set_vgpr_msb 1                        ;  msbs: dst=0 src0=1 src1=0 src2=0
	v_fma_f32 v11, v38 /*v294*/, v182, -v19
	s_set_vgpr_msb 0                        ;  msbs: dst=0 src0=0 src1=0 src2=0
	v_dual_mov_b32 v107, v119 :: v_dual_add_f32 v9, v9, v13
	s_set_vgpr_msb 64                       ;  msbs: dst=1 src0=0 src1=0 src2=0
	v_dual_mul_f32 v59 /*v315*/, v218, v187 :: v_dual_fma_f32 v58 /*v314*/, v218, v186, -v23
	s_set_vgpr_msb 0x41                     ;  msbs: dst=1 src0=1 src1=0 src2=0
	v_fmac_f32_e32 v57 /*v313*/, v41 /*v297*/, v184
	s_set_vgpr_msb 0                        ;  msbs: dst=0 src0=0 src1=0 src2=0
	v_add_f32_e32 v115, v7, v83
	v_add_f32_e32 v114, v9, v11
	v_pk_mul_f32 v[108:109], v[230:231], v[190:191] op_sel:[1,1] op_sel_hi:[0,1]
	s_set_vgpr_msb 64                       ;  msbs: dst=1 src0=0 src1=0 src2=0
	v_fmac_f32_e32 v59 /*v315*/, v219, v186
	s_set_vgpr_msb 1                        ;  msbs: dst=0 src0=1 src1=0 src2=0
	v_pk_mul_f32 v[110:111], v[50:51] /*v[306:307]*/, v[110:111] op_sel_hi:[1,0]
	s_wait_loadcnt 0x3
	s_set_vgpr_msb 0                        ;  msbs: dst=0 src0=0 src1=0 src2=0
	v_pk_mul_f32 v[112:113], v[234:235], v[194:195] op_sel:[1,1] op_sel_hi:[0,1]
	s_set_vgpr_msb 4                        ;  msbs: dst=0 src0=0 src1=1 src2=0
	v_pk_add_f32 v[114:115], v[114:115], v[56:57] /*v[312:313]*/
	s_set_vgpr_msb 0                        ;  msbs: dst=0 src0=0 src1=0 src2=0
	v_pk_fma_f32 v[120:121], v[230:231], v[190:191], v[108:109] op_sel_hi:[1,0,1]
	v_pk_fma_f32 v[108:109], v[230:231], v[190:191], v[108:109] neg_lo:[0,0,1] neg_hi:[0,0,1]
	v_mov_b32_e32 v116, v197
	s_wait_loadcnt 0x2
	v_pk_mul_f32 v[118:119], v[246:247], v[198:199] op_sel:[1,1] op_sel_hi:[0,1]
	s_set_vgpr_msb 4                        ;  msbs: dst=0 src0=0 src1=1 src2=0
	v_pk_add_f32 v[114:115], v[114:115], v[58:59] /*v[314:315]*/
	v_mov_b32_e32 v109, v121
	s_set_vgpr_msb 0                        ;  msbs: dst=0 src0=0 src1=0 src2=0
	v_pk_fma_f32 v[120:121], v[232:233], v[192:193], v[110:111] op_sel_hi:[1,0,1]
	v_pk_fma_f32 v[110:111], v[232:233], v[192:193], v[110:111] neg_lo:[0,0,1] neg_hi:[0,0,1]
	s_set_vgpr_msb 1                        ;  msbs: dst=0 src0=1 src1=0 src2=0
	v_pk_mul_f32 v[116:117], v[52:53] /*v[308:309]*/, v[116:117] op_sel_hi:[1,0]
	s_set_vgpr_msb 0                        ;  msbs: dst=0 src0=0 src1=0 src2=0
	v_pk_add_f32 v[106:107], v[114:115], v[106:107]
	v_pk_fma_f32 v[114:115], v[234:235], v[194:195], v[112:113] op_sel_hi:[1,0,1]
	v_mov_b32_e32 v111, v121
	v_pk_fma_f32 v[112:113], v[234:235], v[194:195], v[112:113] neg_lo:[0,0,1] neg_hi:[0,0,1]
	s_delay_alu instid0(VALU_DEP_4) | instskip(NEXT) | instid1(VALU_DEP_4)
	v_pk_add_f32 v[106:107], v[106:107], v[108:109]
	v_dual_mov_b32 v108, v201 :: v_dual_mov_b32 v113, v115
	v_pk_fma_f32 v[114:115], v[236:237], v[196:197], v[116:117] op_sel_hi:[1,0,1]
	v_pk_fma_f32 v[116:117], v[236:237], v[196:197], v[116:117] neg_lo:[0,0,1] neg_hi:[0,0,1]
	s_delay_alu instid0(VALU_DEP_4)
	v_pk_add_f32 v[106:107], v[106:107], v[110:111]
	v_pk_fma_f32 v[110:111], v[246:247], v[198:199], v[118:119] op_sel_hi:[1,0,1]
	s_set_vgpr_msb 1                        ;  msbs: dst=0 src0=1 src1=0 src2=0
	v_pk_mul_f32 v[108:109], v[54:55] /*v[310:311]*/, v[108:109] op_sel_hi:[1,0]
	s_set_vgpr_msb 0                        ;  msbs: dst=0 src0=0 src1=0 src2=0
	v_mov_b32_e32 v117, v115
	s_wait_loadcnt_dscnt 0x100
	s_set_vgpr_msb 5                        ;  msbs: dst=0 src0=1 src1=1 src2=0
	v_pk_mul_f32 v[114:115], v[46:47] /*v[302:303]*/, v[42:43] /*v[298:299]*/ op_sel:[1,1] op_sel_hi:[0,1]
	s_set_vgpr_msb 0                        ;  msbs: dst=0 src0=0 src1=0 src2=0
	v_pk_add_f32 v[106:107], v[106:107], v[112:113]
	v_pk_fma_f32 v[112:113], v[246:247], v[198:199], v[118:119] neg_lo:[0,0,1] neg_hi:[0,0,1]
	v_mov_b32_e32 v113, v111
	v_pk_fma_f32 v[110:111], v[248:249], v[200:201], v[108:109] op_sel_hi:[1,0,1]
	v_pk_fma_f32 v[108:109], v[248:249], v[200:201], v[108:109] neg_lo:[0,0,1] neg_hi:[0,0,1]
	v_pk_add_f32 v[106:107], v[106:107], v[116:117]
	s_delay_alu instid0(VALU_DEP_3)
	v_mov_b32_e32 v109, v111
	s_set_vgpr_msb 5                        ;  msbs: dst=0 src0=1 src1=1 src2=0
	v_pk_fma_f32 v[110:111], v[46:47] /*v[302:303]*/, v[42:43] /*v[298:299]*/, v[114:115] op_sel_hi:[1,0,1]
	s_set_vgpr_msb 0                        ;  msbs: dst=0 src0=0 src1=0 src2=0
	v_pk_add_f32 v[106:107], v[106:107], v[112:113]
	s_set_vgpr_msb 5                        ;  msbs: dst=0 src0=1 src1=1 src2=0
	v_pk_fma_f32 v[112:113], v[46:47] /*v[302:303]*/, v[42:43] /*v[298:299]*/, v[114:115] neg_lo:[0,0,1] neg_hi:[0,0,1]
	s_set_vgpr_msb 0                        ;  msbs: dst=0 src0=0 src1=0 src2=0
	v_mov_b32_e32 v113, v111
	v_pk_add_f32 v[106:107], v[106:107], v[108:109]
	s_delay_alu instid0(VALU_DEP_1) | instskip(SKIP_2) | instid1(VALU_DEP_1)
	v_pk_add_f32 v[106:107], v[106:107], v[112:113]
	s_wait_loadcnt 0x0
	s_set_vgpr_msb 1                        ;  msbs: dst=0 src0=1 src1=0 src2=0
	v_pk_add_f32 v[106:107], v[44:45] /*v[300:301]*/, v[106:107] neg_lo:[0,1] neg_hi:[0,1]
	scratch_store_b64 off, v[106:107], off offset:16
	s_wait_xcnt 0x0
	v_cmpx_lt_u32_e32 1, v0
	s_set_vgpr_msb 0                        ;  msbs: dst=0 src0=0 src1=0 src2=0
	s_cbranch_execz .LBB115_323
; %bb.322:
	scratch_load_b64 v[106:107], off, off offset:8
	v_mov_b64_e32 v[108:109], 0
	scratch_store_b64 off, v[108:109], off offset:8
	s_wait_loadcnt 0x0
	ds_store_b64 v1, v[106:107]
.LBB115_323:
	s_wait_xcnt 0x0
	s_or_b32 exec_lo, exec_lo, s0
	s_wait_storecnt_dscnt 0x0
	s_barrier_signal -1
	s_barrier_wait -1
	s_clause 0x18
	scratch_load_b128 v[106:109], off, off offset:16
	scratch_load_b128 v[110:113], off, off offset:32
	;; [unrolled: 1-line block ×25, first 2 shown]
	ds_load_b128 v[206:209], v85 offset:432
	ds_load_b128 v[210:213], v85 offset:448
	;; [unrolled: 1-line block ×13, first 2 shown]
	s_set_vgpr_msb 64                       ;  msbs: dst=1 src0=0 src1=0 src2=0
	ds_load_b128 v[2:5] /*v[258:261]*/, v85 offset:560
	ds_load_b128 v[6:9] /*v[262:265]*/, v85 offset:576
	scratch_load_b64 v[50:51] /*v[306:307]*/, off, off offset:8
	ds_load_b128 v[10:13] /*v[266:269]*/, v85 offset:592
	ds_load_b128 v[14:17] /*v[270:273]*/, v85 offset:608
	ds_load_b128 v[18:21] /*v[274:277]*/, v85 offset:624
	ds_load_b128 v[22:25] /*v[278:281]*/, v85 offset:640
	ds_load_b128 v[26:29] /*v[282:285]*/, v85 offset:656
	ds_load_b128 v[30:33] /*v[286:289]*/, v85 offset:672
	ds_load_b128 v[34:37] /*v[290:293]*/, v85 offset:688
	ds_load_b128 v[38:41] /*v[294:297]*/, v85 offset:704
	ds_load_b128 v[42:45] /*v[298:301]*/, v85 offset:720
	ds_load_b128 v[46:49] /*v[302:305]*/, v85 offset:736
	s_set_vgpr_msb 0                        ;  msbs: dst=0 src0=0 src1=0 src2=0
	v_ashrrev_i32_e32 v83, 31, v82
	v_dual_ashrrev_i32 v7, 31, v6 :: v_dual_ashrrev_i32 v9, 31, v8
	v_dual_ashrrev_i32 v11, 31, v10 :: v_dual_ashrrev_i32 v13, 31, v12
	;; [unrolled: 1-line block ×4, first 2 shown]
	s_wait_dscnt 0x13
	s_set_vgpr_msb 64                       ;  msbs: dst=1 src0=0 src1=0 src2=0
	v_dual_mov_b32 v52 /*v308*/, v229 :: v_dual_mov_b32 v53 /*v309*/, v228
	s_wait_dscnt 0x10
	v_dual_mov_b32 v54 /*v310*/, v241 :: v_dual_mov_b32 v55 /*v311*/, v240
	s_wait_dscnt 0xf
	;; [unrolled: 2-line block ×3, first 2 shown]
	s_set_vgpr_msb 0x41                     ;  msbs: dst=1 src0=1 src1=0 src2=0
	v_dual_mov_b32 v58 /*v314*/, v1 /*v257*/ :: v_dual_mov_b32 v59 /*v315*/, v0 /*v256*/
	s_set_vgpr_msb 0                        ;  msbs: dst=0 src0=0 src1=0 src2=0
	v_dual_ashrrev_i32 v23, 31, v22 :: v_dual_ashrrev_i32 v25, 31, v24
	v_dual_ashrrev_i32 v27, 31, v26 :: v_dual_ashrrev_i32 v29, 31, v28
	;; [unrolled: 1-line block ×15, first 2 shown]
	s_mov_b32 s0, exec_lo
	s_wait_loadcnt 0x18
	v_dual_mul_f32 v85, v206, v107 :: v_dual_mul_f32 v91, v212, v113
	v_dual_mul_f32 v93, v207, v107 :: v_dual_mul_f32 v95, v209, v109
	;; [unrolled: 1-line block ×3, first 2 shown]
	v_mul_f32_e32 v89, v210, v111
	s_delay_alu instid0(VALU_DEP_3)
	v_dual_fma_f32 v93, v206, v106, -v93 :: v_dual_fma_f32 v95, v208, v108, -v95
	s_wait_loadcnt 0x17
	v_dual_mul_f32 v99, v213, v113 :: v_dual_mul_f32 v101, v214, v115
	s_wait_loadcnt 0x16
	v_dual_mul_f32 v103, v216, v117 :: v_dual_mul_f32 v105, v218, v119
	v_dual_mul_f32 v107, v220, v121 :: v_dual_mul_f32 v109, v215, v115
	;; [unrolled: 1-line block ×3, first 2 shown]
	v_dual_fmac_f32 v85, v207, v106 :: v_dual_fmac_f32 v87, v209, v108
	v_add_f32_e32 v93, 0, v93
	s_wait_loadcnt 0x15
	v_dual_mul_f32 v115, v221, v121 :: v_dual_mul_f32 v117, v230, v123
	s_wait_loadcnt 0x14
	v_dual_mul_f32 v119, v232, v125 :: v_dual_mul_f32 v121, v234, v127
	s_wait_loadcnt 0x13
	s_set_vgpr_msb 64                       ;  msbs: dst=1 src0=0 src1=0 src2=0
	v_dual_mul_f32 v60 /*v316*/, v236, v129 :: v_dual_mul_f32 v61 /*v317*/, v246, v131
	s_set_vgpr_msb 0                        ;  msbs: dst=0 src0=0 src1=0 src2=0
	v_dual_mul_f32 v106, v231, v123 :: v_dual_mul_f32 v108, v233, v125
	v_dual_mul_f32 v123, v248, v133 :: v_dual_mul_f32 v125, v235, v127
	v_dual_mul_f32 v127, v237, v129 :: v_dual_mul_f32 v129, v247, v131
	s_wait_loadcnt 0x12
	v_dual_mul_f32 v131, v249, v133 :: v_dual_mul_f32 v133, v250, v135
	v_dual_fmac_f32 v89, v211, v110 :: v_dual_fmac_f32 v91, v213, v112
	v_dual_fma_f32 v97, v210, v110, -v97 :: v_dual_fma_f32 v99, v212, v112, -v99
	v_dual_mul_f32 v110, v252, v137 :: v_dual_mul_f32 v112, v251, v135
	v_dual_mul_f32 v135, v253, v137 :: v_dual_fmac_f32 v101, v215, v114
	s_wait_loadcnt_dscnt 0x100a
	s_set_vgpr_msb 1                        ;  msbs: dst=0 src0=1 src1=0 src2=0
	v_mul_f32_e32 v207, v6 /*v262*/, v143
	s_set_vgpr_msb 0                        ;  msbs: dst=0 src0=0 src1=0 src2=0
	v_dual_fmac_f32 v103, v217, v116 :: v_dual_fma_f32 v109, v214, v114, -v109
	v_dual_fma_f32 v111, v216, v116, -v111 :: v_dual_add_f32 v85, 0, v85
	s_set_vgpr_msb 1                        ;  msbs: dst=0 src0=1 src1=0 src2=0
	v_dual_mul_f32 v114, v8 /*v264*/, v145 :: v_dual_mul_f32 v116, v7 /*v263*/, v143
	s_wait_loadcnt_dscnt 0xf09
	v_dual_mul_f32 v143, v9 /*v265*/, v145 :: v_dual_mul_f32 v145, v10 /*v266*/, v147
	s_set_vgpr_msb 0                        ;  msbs: dst=0 src0=0 src1=0 src2=0
	v_add_f32_e32 v93, v93, v95
	v_dual_add_f32 v85, v85, v87 :: v_dual_fmac_f32 v105, v219, v118
	v_dual_fmac_f32 v117, v231, v122 :: v_dual_fma_f32 v106, v230, v122, -v106
	s_delay_alu instid0(VALU_DEP_3) | instskip(NEXT) | instid1(VALU_DEP_3)
	v_add_f32_e32 v93, v93, v97
	v_dual_add_f32 v85, v85, v89 :: v_dual_fmac_f32 v121, v235, v126
	v_dual_fmac_f32 v107, v221, v120 :: v_dual_fmac_f32 v133, v251, v134
	s_delay_alu instid0(VALU_DEP_3)
	v_add_f32_e32 v93, v93, v99
	v_fmac_f32_e32 v119, v233, v124
	s_set_vgpr_msb 64                       ;  msbs: dst=1 src0=0 src1=0 src2=0
	v_dual_fmac_f32 v60 /*v316*/, v237, v128 :: v_dual_fmac_f32 v61 /*v317*/, v247, v130
	s_set_vgpr_msb 0                        ;  msbs: dst=0 src0=0 src1=0 src2=0
	v_fmac_f32_e32 v123, v249, v132
	v_dual_add_f32 v93, v93, v109 :: v_dual_fma_f32 v109, v218, v118, -v113
	v_dual_fma_f32 v113, v220, v120, -v115 :: v_dual_add_f32 v85, v85, v91
	s_set_vgpr_msb 1                        ;  msbs: dst=0 src0=1 src1=0 src2=0
	v_dual_mul_f32 v137, v2 /*v258*/, v139 :: v_dual_mul_f32 v206, v4 /*v260*/, v141
	s_set_vgpr_msb 0                        ;  msbs: dst=0 src0=0 src1=0 src2=0
	v_fmac_f32_e32 v110, v253, v136
	s_wait_loadcnt_dscnt 0x600
	s_set_vgpr_msb 1                        ;  msbs: dst=0 src0=1 src1=0 src2=0
	v_mul_f32_e32 v118, v48 /*v304*/, v185
	s_set_vgpr_msb 0                        ;  msbs: dst=0 src0=0 src1=0 src2=0
	v_add_f32_e32 v85, v85, v101
	s_set_vgpr_msb 1                        ;  msbs: dst=0 src0=1 src1=0 src2=0
	v_dual_fmac_f32 v137, v3 /*v259*/, v138 :: v_dual_mul_f32 v139, v3 /*v259*/, v139
	v_dual_mul_f32 v141, v5 /*v261*/, v141 :: v_dual_fmac_f32 v206, v5 /*v261*/, v140
	s_set_vgpr_msb 0                        ;  msbs: dst=0 src0=0 src1=0 src2=0
	v_add_f32_e32 v85, v85, v103
	s_set_vgpr_msb 1                        ;  msbs: dst=0 src0=1 src1=0 src2=0
	v_dual_fmac_f32 v207, v7 /*v263*/, v142 :: v_dual_fmac_f32 v114, v9 /*v265*/, v144
	v_dual_mul_f32 v87, v12 /*v268*/, v149 :: v_dual_mul_f32 v208, v14 /*v270*/, v151
	s_set_vgpr_msb 0                        ;  msbs: dst=0 src0=0 src1=0 src2=0
	v_add_f32_e32 v85, v85, v105
	s_set_vgpr_msb 1                        ;  msbs: dst=0 src0=1 src1=0 src2=0
	v_dual_fmac_f32 v145, v11 /*v267*/, v146 :: v_dual_mul_f32 v95, v16 /*v272*/, v153
	v_dual_mul_f32 v89, v18 /*v274*/, v155 :: v_dual_fmac_f32 v87, v13 /*v269*/, v148
	s_set_vgpr_msb 0                        ;  msbs: dst=0 src0=0 src1=0 src2=0
	v_dual_add_f32 v85, v85, v107 :: v_dual_fma_f32 v107, v232, v124, -v108
	v_dual_fma_f32 v108, v234, v126, -v125 :: v_dual_add_f32 v93, v93, v111
	s_set_vgpr_msb 1                        ;  msbs: dst=0 src0=1 src1=0 src2=0
	v_dual_fmac_f32 v208, v15 /*v271*/, v150 :: v_dual_fmac_f32 v95, v17 /*v273*/, v152
	v_dual_mul_f32 v209, v20 /*v276*/, v157 :: v_dual_mul_f32 v97, v22 /*v278*/, v159
	s_set_vgpr_msb 0                        ;  msbs: dst=0 src0=0 src1=0 src2=0
	v_dual_add_f32 v93, v93, v109 :: v_dual_fma_f32 v109, v246, v130, -v129
	s_set_vgpr_msb 1                        ;  msbs: dst=0 src0=1 src1=0 src2=0
	v_dual_fmac_f32 v89, v19 /*v275*/, v154 :: v_dual_mul_f32 v91, v24 /*v280*/, v161
	v_mul_f32_e32 v147, v11 /*v267*/, v147
	s_set_vgpr_msb 0                        ;  msbs: dst=0 src0=0 src1=0 src2=0
	v_add_f32_e32 v93, v93, v113
	s_set_vgpr_msb 1                        ;  msbs: dst=0 src0=1 src1=0 src2=0
	v_dual_mul_f32 v99, v13 /*v269*/, v149 :: v_dual_mul_f32 v101, v26 /*v282*/, v163
	v_dual_fmac_f32 v91, v25 /*v281*/, v160 :: v_dual_mul_f32 v149, v28 /*v284*/, v165
	v_mul_f32_e32 v210, v30 /*v286*/, v167
	s_set_vgpr_msb 0                        ;  msbs: dst=0 src0=0 src1=0 src2=0
	v_add_f32_e32 v93, v93, v106
	s_set_vgpr_msb 1                        ;  msbs: dst=0 src0=1 src1=0 src2=0
	v_dual_mul_f32 v103, v32 /*v288*/, v169 :: v_dual_mul_f32 v111, v34 /*v290*/, v171
	v_dual_mul_f32 v105, v36 /*v292*/, v173 :: v_dual_mul_f32 v113, v38 /*v294*/, v175
	s_set_vgpr_msb 0                        ;  msbs: dst=0 src0=0 src1=0 src2=0
	v_dual_add_f32 v93, v93, v107 :: v_dual_fma_f32 v107, v236, v128, -v127
	s_set_vgpr_msb 1                        ;  msbs: dst=0 src0=1 src1=0 src2=0
	v_dual_mul_f32 v106, v40 /*v296*/, v177 :: v_dual_mul_f32 v115, v42 /*v298*/, v179
	v_fmac_f32_e32 v113, v39 /*v295*/, v174
	s_set_vgpr_msb 0                        ;  msbs: dst=0 src0=0 src1=0 src2=0
	v_add_f32_e32 v93, v93, v108
	s_set_vgpr_msb 1                        ;  msbs: dst=0 src0=1 src1=0 src2=0
	v_dual_mul_f32 v108, v44 /*v300*/, v181 :: v_dual_fmac_f32 v106, v41 /*v297*/, v176
	v_fma_f32 v99, v12 /*v268*/, v148, -v99
	v_fmac_f32_e32 v209, v21 /*v277*/, v156
	s_set_vgpr_msb 0                        ;  msbs: dst=0 src0=0 src1=0 src2=0
	v_dual_add_f32 v93, v93, v107 :: v_dual_fma_f32 v107, v248, v132, -v131
	s_set_vgpr_msb 1                        ;  msbs: dst=0 src0=1 src1=0 src2=0
	v_fmac_f32_e32 v97, v23 /*v279*/, v158
	v_fmac_f32_e32 v101, v27 /*v283*/, v162
	v_fma_f32 v116, v6 /*v262*/, v142, -v116
	s_set_vgpr_msb 0                        ;  msbs: dst=0 src0=0 src1=0 src2=0
	v_dual_add_f32 v93, v93, v109 :: v_dual_fma_f32 v109, v250, v134, -v112
	v_dual_fma_f32 v112, v252, v136, -v135 :: v_dual_add_f32 v85, v85, v117
	s_set_vgpr_msb 1                        ;  msbs: dst=0 src0=1 src1=0 src2=0
	v_mul_f32_e32 v117, v46 /*v302*/, v183
	s_set_vgpr_msb 0                        ;  msbs: dst=0 src0=0 src1=0 src2=0
	v_add_f32_e32 v93, v93, v107
	s_wait_loadcnt 0x5
	v_mul_f32_e32 v107, v222, v187
	s_set_vgpr_msb 1                        ;  msbs: dst=0 src0=1 src1=0 src2=0
	v_fmac_f32_e32 v108, v45 /*v301*/, v180
	v_dual_fma_f32 v120, v8 /*v264*/, v144, -v143 :: v_dual_fmac_f32 v210, v31 /*v287*/, v166
	s_set_vgpr_msb 0                        ;  msbs: dst=0 src0=0 src1=0 src2=0
	v_add_f32_e32 v93, v93, v109
	v_dual_mul_f32 v109, v224, v189 :: v_dual_add_f32 v85, v85, v119
	v_fmac_f32_e32 v107, v223, v186
	s_set_vgpr_msb 1                        ;  msbs: dst=0 src0=1 src1=0 src2=0
	v_fma_f32 v119, v2 /*v258*/, v138, -v139
	v_fmac_f32_e32 v115, v43 /*v299*/, v178
	v_fmac_f32_e32 v111, v35 /*v291*/, v170
	s_set_vgpr_msb 0                        ;  msbs: dst=0 src0=0 src1=0 src2=0
	v_add_f32_e32 v85, v85, v121
	s_set_vgpr_msb 1                        ;  msbs: dst=0 src0=1 src1=0 src2=0
	v_dual_fma_f32 v121, v10 /*v266*/, v146, -v147 :: v_dual_fmac_f32 v118, v49 /*v305*/, v184
	s_set_vgpr_msb 0                        ;  msbs: dst=0 src0=0 src1=0 src2=0
	v_fmac_f32_e32 v109, v225, v188
	s_set_vgpr_msb 1                        ;  msbs: dst=0 src0=1 src1=0 src2=0
	v_fmac_f32_e32 v117, v47 /*v303*/, v182
	s_set_vgpr_msb 4                        ;  msbs: dst=0 src0=0 src1=1 src2=0
	v_add_f32_e32 v85, v85, v60 /*v316*/
	s_delay_alu instid0(VALU_DEP_1) | instskip(SKIP_1) | instid1(VALU_DEP_1)
	v_add_f32_e32 v85, v85, v61 /*v317*/
	s_set_vgpr_msb 0                        ;  msbs: dst=0 src0=0 src1=0 src2=0
	v_add_f32_e32 v85, v85, v123
	s_delay_alu instid0(VALU_DEP_1) | instskip(NEXT) | instid1(VALU_DEP_1)
	v_add_f32_e32 v85, v85, v133
	v_add_f32_e32 v85, v85, v110
	s_set_vgpr_msb 1                        ;  msbs: dst=0 src0=1 src1=0 src2=0
	v_mul_f32_e32 v110, v15 /*v271*/, v151
	s_set_vgpr_msb 0                        ;  msbs: dst=0 src0=0 src1=0 src2=0
	s_delay_alu instid0(VALU_DEP_2) | instskip(SKIP_1) | instid1(VALU_DEP_2)
	v_add_f32_e32 v85, v85, v137
	s_set_vgpr_msb 1                        ;  msbs: dst=0 src0=1 src1=0 src2=0
	v_fma_f32 v110, v14 /*v270*/, v150, -v110
	s_set_vgpr_msb 0                        ;  msbs: dst=0 src0=0 src1=0 src2=0
	s_delay_alu instid0(VALU_DEP_2) | instskip(NEXT) | instid1(VALU_DEP_1)
	v_add_f32_e32 v85, v85, v206
	v_add_f32_e32 v85, v85, v207
	s_delay_alu instid0(VALU_DEP_1) | instskip(SKIP_3) | instid1(VALU_DEP_2)
	v_add_f32_e32 v85, v85, v114
	s_set_vgpr_msb 1                        ;  msbs: dst=0 src0=1 src1=0 src2=0
	v_mul_f32_e32 v114, v23 /*v279*/, v159
	s_set_vgpr_msb 0                        ;  msbs: dst=0 src0=0 src1=0 src2=0
	v_add_f32_e32 v85, v85, v145
	s_delay_alu instid0(VALU_DEP_1) | instskip(NEXT) | instid1(VALU_DEP_1)
	v_add_f32_e32 v85, v85, v87
	v_add_f32_e32 v85, v85, v208
	s_delay_alu instid0(VALU_DEP_1) | instskip(SKIP_3) | instid1(VALU_DEP_2)
	v_add_f32_e32 v85, v85, v95
	s_set_vgpr_msb 1                        ;  msbs: dst=0 src0=1 src1=0 src2=0
	v_mul_f32_e32 v95, v31 /*v287*/, v167
	s_set_vgpr_msb 0                        ;  msbs: dst=0 src0=0 src1=0 src2=0
	v_add_f32_e32 v85, v85, v89
	s_set_vgpr_msb 1                        ;  msbs: dst=0 src0=1 src1=0 src2=0
	s_delay_alu instid0(VALU_DEP_2)
	v_dual_mul_f32 v89, v33 /*v289*/, v169 :: v_dual_fma_f32 v95, v30 /*v286*/, v166, -v95
	v_fmac_f32_e32 v103, v33 /*v289*/, v168
	s_set_vgpr_msb 0                        ;  msbs: dst=0 src0=0 src1=0 src2=0
	v_add_f32_e32 v85, v85, v209
	s_set_vgpr_msb 1                        ;  msbs: dst=0 src0=1 src1=0 src2=0
	v_fma_f32 v89, v32 /*v288*/, v168, -v89
	s_set_vgpr_msb 0                        ;  msbs: dst=0 src0=0 src1=0 src2=0
	s_delay_alu instid0(VALU_DEP_2) | instskip(SKIP_3) | instid1(VALU_DEP_2)
	v_add_f32_e32 v85, v85, v97
	s_set_vgpr_msb 1                        ;  msbs: dst=0 src0=1 src1=0 src2=0
	v_mul_f32_e32 v97, v37 /*v293*/, v173
	s_set_vgpr_msb 0                        ;  msbs: dst=0 src0=0 src1=0 src2=0
	v_add_f32_e32 v85, v85, v91
	s_set_vgpr_msb 1                        ;  msbs: dst=0 src0=1 src1=0 src2=0
	v_dual_mul_f32 v91, v39 /*v295*/, v175 :: v_dual_fmac_f32 v105, v37 /*v293*/, v172
	v_fma_f32 v97, v36 /*v292*/, v172, -v97
	s_set_vgpr_msb 0                        ;  msbs: dst=0 src0=0 src1=0 src2=0
	v_add_f32_e32 v85, v85, v101
	s_set_vgpr_msb 1                        ;  msbs: dst=0 src0=1 src1=0 src2=0
	v_dual_mul_f32 v101, v43 /*v299*/, v179 :: v_dual_fma_f32 v91, v38 /*v294*/, v174, -v91
	s_delay_alu instid0(VALU_DEP_1)
	v_fma_f32 v101, v42 /*v298*/, v178, -v101
	s_set_vgpr_msb 0                        ;  msbs: dst=0 src0=0 src1=0 src2=0
	v_add_f32_e32 v93, v93, v112
	s_set_vgpr_msb 1                        ;  msbs: dst=0 src0=1 src1=0 src2=0
	v_fma_f32 v112, v4 /*v260*/, v140, -v141
	s_set_vgpr_msb 0                        ;  msbs: dst=0 src0=0 src1=0 src2=0
	s_delay_alu instid0(VALU_DEP_2) | instskip(SKIP_3) | instid1(VALU_DEP_2)
	v_add_f32_e32 v93, v93, v119
	s_set_vgpr_msb 1                        ;  msbs: dst=0 src0=1 src1=0 src2=0
	v_mul_f32_e32 v119, v17 /*v273*/, v153
	s_set_vgpr_msb 0                        ;  msbs: dst=0 src0=0 src1=0 src2=0
	v_add_f32_e32 v93, v93, v112
	s_set_vgpr_msb 1                        ;  msbs: dst=0 src0=1 src1=0 src2=0
	v_mul_f32_e32 v112, v19 /*v275*/, v155
	s_set_vgpr_msb 0                        ;  msbs: dst=0 src0=0 src1=0 src2=0
	s_delay_alu instid0(VALU_DEP_2) | instskip(SKIP_1) | instid1(VALU_DEP_2)
	v_add_f32_e32 v93, v93, v116
	s_set_vgpr_msb 1                        ;  msbs: dst=0 src0=1 src1=0 src2=0
	v_dual_mul_f32 v116, v21 /*v277*/, v157 :: v_dual_fma_f32 v112, v18 /*v274*/, v154, -v112
	s_set_vgpr_msb 0                        ;  msbs: dst=0 src0=0 src1=0 src2=0
	s_delay_alu instid0(VALU_DEP_2) | instskip(SKIP_3) | instid1(VALU_DEP_2)
	v_add_f32_e32 v93, v93, v120
	s_set_vgpr_msb 1                        ;  msbs: dst=0 src0=1 src1=0 src2=0
	v_mul_f32_e32 v120, v25 /*v281*/, v161
	s_set_vgpr_msb 0                        ;  msbs: dst=0 src0=0 src1=0 src2=0
	v_add_f32_e32 v93, v93, v121
	s_delay_alu instid0(VALU_DEP_1) | instskip(SKIP_3) | instid1(VALU_DEP_2)
	v_add_f32_e32 v87, v93, v99
	s_set_vgpr_msb 1                        ;  msbs: dst=0 src0=1 src1=0 src2=0
	v_dual_mul_f32 v93, v27 /*v283*/, v163 :: v_dual_fma_f32 v99, v16 /*v272*/, v152, -v119
	s_set_vgpr_msb 0                        ;  msbs: dst=0 src0=0 src1=0 src2=0
	v_add_f32_e32 v87, v87, v110
	s_set_vgpr_msb 1                        ;  msbs: dst=0 src0=1 src1=0 src2=0
	s_delay_alu instid0(VALU_DEP_2)
	v_dual_mul_f32 v110, v29 /*v285*/, v165 :: v_dual_fma_f32 v93, v26 /*v282*/, v162, -v93
	v_fmac_f32_e32 v149, v29 /*v285*/, v164
	s_set_vgpr_msb 0                        ;  msbs: dst=0 src0=0 src1=0 src2=0
	v_add_f32_e32 v87, v87, v99
	s_set_vgpr_msb 1                        ;  msbs: dst=0 src0=1 src1=0 src2=0
	v_fma_f32 v99, v20 /*v276*/, v156, -v116
	v_fma_f32 v110, v28 /*v284*/, v164, -v110
	s_set_vgpr_msb 0                        ;  msbs: dst=0 src0=0 src1=0 src2=0
	v_add_f32_e32 v85, v85, v149
	s_wait_loadcnt 0x3
	v_dual_mov_b32 v116, v197 :: v_dual_add_f32 v87, v87, v112
	s_set_vgpr_msb 1                        ;  msbs: dst=0 src0=1 src1=0 src2=0
	v_dual_fma_f32 v112, v22 /*v278*/, v158, -v114 :: v_dual_fma_f32 v114, v24 /*v280*/, v160, -v120
	s_set_vgpr_msb 0                        ;  msbs: dst=0 src0=0 src1=0 src2=0
	s_delay_alu instid0(VALU_DEP_2) | instskip(SKIP_3) | instid1(VALU_DEP_2)
	v_dual_add_f32 v85, v85, v210 :: v_dual_add_f32 v87, v87, v99
	s_set_vgpr_msb 1                        ;  msbs: dst=0 src0=1 src1=0 src2=0
	v_mul_f32_e32 v99, v35 /*v291*/, v171
	s_set_vgpr_msb 0                        ;  msbs: dst=0 src0=0 src1=0 src2=0
	v_dual_add_f32 v85, v85, v103 :: v_dual_ashrrev_i32 v103, 31, v102
	v_add_f32_e32 v87, v87, v112
	s_set_vgpr_msb 1                        ;  msbs: dst=0 src0=1 src1=0 src2=0
	v_fma_f32 v99, v34 /*v290*/, v170, -v99
	s_set_vgpr_msb 0                        ;  msbs: dst=0 src0=0 src1=0 src2=0
	v_mov_b32_e32 v112, v193
	v_dual_add_f32 v85, v85, v111 :: v_dual_add_f32 v87, v87, v114
	s_delay_alu instid0(VALU_DEP_1) | instskip(NEXT) | instid1(VALU_DEP_2)
	v_dual_add_f32 v85, v85, v105 :: v_dual_ashrrev_i32 v105, 31, v104
	v_add_f32_e32 v87, v87, v93
	s_set_vgpr_msb 1                        ;  msbs: dst=0 src0=1 src1=0 src2=0
	v_mul_f32_e32 v93, v41 /*v297*/, v177
	s_set_vgpr_msb 0                        ;  msbs: dst=0 src0=0 src1=0 src2=0
	v_add_f32_e32 v85, v85, v113
	s_set_vgpr_msb 1                        ;  msbs: dst=0 src0=1 src1=0 src2=0
	v_pk_mul_f32 v[112:113], v[52:53] /*v[308:309]*/, v[112:113] op_sel_hi:[1,0]
	s_set_vgpr_msb 0                        ;  msbs: dst=0 src0=0 src1=0 src2=0
	v_add_f32_e32 v87, v87, v110
	s_set_vgpr_msb 1                        ;  msbs: dst=0 src0=1 src1=0 src2=0
	v_fma_f32 v93, v40 /*v296*/, v176, -v93
	s_set_vgpr_msb 0                        ;  msbs: dst=0 src0=0 src1=0 src2=0
	v_pk_mul_f32 v[110:111], v[226:227], v[190:191] op_sel:[1,1] op_sel_hi:[0,1]
	v_dual_add_f32 v85, v85, v106 :: v_dual_add_f32 v87, v87, v95
	s_set_vgpr_msb 1                        ;  msbs: dst=0 src0=1 src1=0 src2=0
	v_mul_f32_e32 v95, v45 /*v301*/, v181
	s_set_vgpr_msb 0                        ;  msbs: dst=0 src0=0 src1=0 src2=0
	v_pk_fma_f32 v[120:121], v[226:227], v[190:191], v[110:111] op_sel_hi:[1,0,1]
	v_add_f32_e32 v85, v85, v115
	v_pk_fma_f32 v[110:111], v[226:227], v[190:191], v[110:111] neg_lo:[0,0,1] neg_hi:[0,0,1]
	v_add_f32_e32 v87, v87, v89
	s_set_vgpr_msb 1                        ;  msbs: dst=0 src0=1 src1=0 src2=0
	v_mul_f32_e32 v89, v47 /*v303*/, v183
	s_set_vgpr_msb 0                        ;  msbs: dst=0 src0=0 src1=0 src2=0
	v_pk_mul_f32 v[114:115], v[238:239], v[194:195] op_sel:[1,1] op_sel_hi:[0,1]
	v_add_f32_e32 v85, v85, v108
	v_dual_mov_b32 v111, v121 :: v_dual_add_f32 v87, v87, v99
	s_set_vgpr_msb 1                        ;  msbs: dst=0 src0=1 src1=0 src2=0
	v_dual_mul_f32 v99, v49 /*v305*/, v185 :: v_dual_fma_f32 v89, v46 /*v302*/, v182, -v89
	s_set_vgpr_msb 0                        ;  msbs: dst=0 src0=0 src1=0 src2=0
	v_add_f32_e32 v85, v85, v117
	v_pk_fma_f32 v[120:121], v[228:229], v[192:193], v[112:113] op_sel_hi:[1,0,1]
	v_add_f32_e32 v87, v87, v97
	v_mul_f32_e32 v97, v223, v187
	v_pk_fma_f32 v[112:113], v[228:229], v[192:193], v[112:113] neg_lo:[0,0,1] neg_hi:[0,0,1]
	v_add_f32_e32 v119, v85, v118
	s_set_vgpr_msb 1                        ;  msbs: dst=0 src0=1 src1=0 src2=0
	v_pk_mul_f32 v[116:117], v[54:55] /*v[310:311]*/, v[116:117] op_sel_hi:[1,0]
	s_set_vgpr_msb 0                        ;  msbs: dst=0 src0=0 src1=0 src2=0
	v_dual_add_f32 v87, v87, v91 :: v_dual_mul_f32 v91, v225, v189
	v_dual_fma_f32 v106, v222, v186, -v97 :: v_dual_mov_b32 v113, v121
	s_delay_alu instid0(VALU_DEP_2)
	v_dual_ashrrev_i32 v85, 31, v84 :: v_dual_add_f32 v87, v87, v93
	s_set_vgpr_msb 1                        ;  msbs: dst=0 src0=1 src1=0 src2=0
	v_fma_f32 v93, v44 /*v300*/, v180, -v95
	s_set_vgpr_msb 0                        ;  msbs: dst=0 src0=0 src1=0 src2=0
	v_dual_fma_f32 v108, v224, v188, -v91 :: v_dual_ashrrev_i32 v91, 31, v90
	v_dual_ashrrev_i32 v95, 31, v94 :: v_dual_add_f32 v87, v87, v101
	v_ashrrev_i32_e32 v97, 31, v96
	s_delay_alu instid0(VALU_DEP_2) | instskip(SKIP_3) | instid1(VALU_DEP_2)
	v_dual_ashrrev_i32 v101, 31, v100 :: v_dual_add_f32 v87, v87, v93
	s_set_vgpr_msb 1                        ;  msbs: dst=0 src0=1 src1=0 src2=0
	v_dual_fma_f32 v93, v48 /*v304*/, v184, -v99 :: v_dual_ashrrev_i32 v99, 31, v98
	s_set_vgpr_msb 0                        ;  msbs: dst=0 src0=0 src1=0 src2=0
	v_dual_add_f32 v87, v87, v89 :: v_dual_ashrrev_i32 v89, 31, v88
	s_delay_alu instid0(VALU_DEP_1) | instskip(SKIP_1) | instid1(VALU_DEP_2)
	v_dual_add_f32 v118, v87, v93 :: v_dual_ashrrev_i32 v87, 31, v86
	v_ashrrev_i32_e32 v93, 31, v92
	v_pk_add_f32 v[106:107], v[118:119], v[106:107]
	s_wait_loadcnt 0x2
	v_pk_mul_f32 v[118:119], v[242:243], v[198:199] op_sel:[1,1] op_sel_hi:[0,1]
	s_delay_alu instid0(VALU_DEP_2) | instskip(SKIP_2) | instid1(VALU_DEP_3)
	v_pk_add_f32 v[106:107], v[106:107], v[108:109]
	v_pk_fma_f32 v[108:109], v[238:239], v[194:195], v[114:115] op_sel_hi:[1,0,1]
	v_mov_b32_e32 v108, v201
	v_pk_add_f32 v[106:107], v[106:107], v[110:111]
	v_pk_fma_f32 v[110:111], v[238:239], v[194:195], v[114:115] neg_lo:[0,0,1] neg_hi:[0,0,1]
	s_delay_alu instid0(VALU_DEP_4)
	v_mov_b32_e32 v111, v109
	v_pk_fma_f32 v[114:115], v[240:241], v[196:197], v[116:117] op_sel_hi:[1,0,1]
	s_set_vgpr_msb 1                        ;  msbs: dst=0 src0=1 src1=0 src2=0
	v_pk_mul_f32 v[108:109], v[56:57] /*v[312:313]*/, v[108:109] op_sel_hi:[1,0]
	s_set_vgpr_msb 0                        ;  msbs: dst=0 src0=0 src1=0 src2=0
	v_pk_add_f32 v[106:107], v[106:107], v[112:113]
	v_pk_fma_f32 v[112:113], v[242:243], v[198:199], v[118:119] op_sel_hi:[1,0,1]
	v_pk_fma_f32 v[116:117], v[240:241], v[196:197], v[116:117] neg_lo:[0,0,1] neg_hi:[0,0,1]
	v_mov_b32_e32 v117, v115
	v_pk_fma_f32 v[114:115], v[242:243], v[198:199], v[118:119] neg_lo:[0,0,1] neg_hi:[0,0,1]
	v_pk_add_f32 v[106:107], v[106:107], v[110:111]
	v_mov_b32_e32 v115, v113
	v_pk_fma_f32 v[112:113], v[244:245], v[200:201], v[108:109] op_sel_hi:[1,0,1]
	s_wait_loadcnt 0x1
	v_pk_mul_f32 v[110:111], v[254:255], v[202:203] op_sel:[1,1] op_sel_hi:[0,1]
	v_mov_b32_e32 v112, v205
	v_pk_add_f32 v[106:107], v[106:107], v[116:117]
	v_pk_fma_f32 v[108:109], v[244:245], v[200:201], v[108:109] neg_lo:[0,0,1] neg_hi:[0,0,1]
	s_delay_alu instid0(VALU_DEP_4) | instskip(SKIP_1) | instid1(VALU_DEP_4)
	v_pk_fma_f32 v[116:117], v[254:255], v[202:203], v[110:111] op_sel_hi:[1,0,1]
	v_mov_b32_e32 v109, v113
	v_pk_add_f32 v[106:107], v[106:107], v[114:115]
	s_set_vgpr_msb 1                        ;  msbs: dst=0 src0=1 src1=0 src2=0
	v_pk_mul_f32 v[112:113], v[58:59] /*v[314:315]*/, v[112:113] op_sel_hi:[1,0]
	s_set_vgpr_msb 0                        ;  msbs: dst=0 src0=0 src1=0 src2=0
	v_pk_fma_f32 v[110:111], v[254:255], v[202:203], v[110:111] neg_lo:[0,0,1] neg_hi:[0,0,1]
	v_mov_b32_e32 v111, v117
	v_pk_add_f32 v[106:107], v[106:107], v[108:109]
	s_set_vgpr_msb 1                        ;  msbs: dst=0 src0=1 src1=0 src2=0
	v_pk_fma_f32 v[108:109], v[0:1] /*v[256:257]*/, v[204:205], v[112:113] op_sel_hi:[1,0,1]
	v_pk_fma_f32 v[112:113], v[0:1] /*v[256:257]*/, v[204:205], v[112:113] neg_lo:[0,0,1] neg_hi:[0,0,1]
	s_set_vgpr_msb 0                        ;  msbs: dst=0 src0=0 src1=0 src2=0
	v_pk_add_f32 v[106:107], v[106:107], v[110:111]
	s_delay_alu instid0(VALU_DEP_3) | instskip(NEXT) | instid1(VALU_DEP_1)
	v_mov_b32_e32 v113, v109
	v_pk_add_f32 v[106:107], v[106:107], v[112:113]
	s_wait_loadcnt 0x0
	s_set_vgpr_msb 1                        ;  msbs: dst=0 src0=1 src1=0 src2=0
	s_delay_alu instid0(VALU_DEP_1)
	v_pk_add_f32 v[106:107], v[50:51] /*v[306:307]*/, v[106:107] neg_lo:[0,1] neg_hi:[0,1]
	scratch_store_b64 off, v[106:107], off offset:8
	s_wait_xcnt 0x0
	v_cmpx_ne_u32_e32 0, v0
	s_set_vgpr_msb 0                        ;  msbs: dst=0 src0=0 src1=0 src2=0
	s_cbranch_execz .LBB115_325
; %bb.324:
	scratch_load_b64 v[106:107], off, off
	v_mov_b64_e32 v[108:109], 0
	scratch_store_b64 off, v[108:109], off
	s_wait_loadcnt 0x0
	ds_store_b64 v1, v[106:107]
.LBB115_325:
	s_wait_xcnt 0x0
	s_or_b32 exec_lo, exec_lo, s0
	s_wait_storecnt_dscnt 0x0
	s_barrier_signal -1
	s_barrier_wait -1
	s_clause 0xf
	scratch_load_b128 v[114:117], off, off offset:8
	scratch_load_b128 v[122:125], off, off offset:24
	;; [unrolled: 1-line block ×16, first 2 shown]
	v_mov_b32_e32 v108, 0
	s_clause 0x4
	scratch_load_b128 v[242:245], off, off offset:264
	scratch_load_b128 v[250:253], off, off offset:280
	s_set_vgpr_msb 64                       ;  msbs: dst=1 src0=0 src1=0 src2=0
	scratch_load_b128 v[2:5] /*v[258:261]*/, off, off offset:296
	scratch_load_b128 v[10:13] /*v[266:269]*/, off, off offset:312
	s_set_vgpr_msb 0                        ;  msbs: dst=0 src0=0 src1=0 src2=0
	ds_load_2addr_b64 v[110:113], v108 offset0:53 offset1:54
	ds_load_2addr_b64 v[118:121], v108 offset0:55 offset1:56
	s_set_vgpr_msb 64                       ;  msbs: dst=1 src0=0 src1=0 src2=0
	s_clause 0x1
	scratch_load_b128 v[18:21] /*v[274:277]*/, off, off offset:328
	scratch_load_b128 v[26:29] /*v[282:285]*/, off, off offset:344
	s_and_b32 vcc_lo, exec_lo, s12
	s_wait_loadcnt_dscnt 0x1501
	s_set_vgpr_msb 0                        ;  msbs: dst=0 src0=0 src1=0 src2=0
	v_dual_mul_f32 v0, v110, v115 :: v_dual_mul_f32 v1, v112, v117
	ds_load_2addr_b64 v[126:129], v108 offset0:57 offset1:58
	ds_load_2addr_b64 v[134:137], v108 offset0:59 offset1:60
	;; [unrolled: 1-line block ×4, first 2 shown]
	v_dual_fmac_f32 v0, v111, v114 :: v_dual_fmac_f32 v1, v113, v116
	ds_load_2addr_b64 v[158:161], v108 offset0:65 offset1:66
	ds_load_2addr_b64 v[166:169], v108 offset0:67 offset1:68
	;; [unrolled: 1-line block ×4, first 2 shown]
	v_add_f32_e32 v0, 0, v0
	ds_load_2addr_b64 v[190:193], v108 offset0:73 offset1:74
	ds_load_2addr_b64 v[198:201], v108 offset0:75 offset1:76
	;; [unrolled: 1-line block ×4, first 2 shown]
	s_wait_loadcnt_dscnt 0x140c
	v_dual_add_f32 v0, v0, v1 :: v_dual_mul_f32 v1, v118, v123
	ds_load_2addr_b64 v[222:225], v108 offset0:81 offset1:82
	ds_load_2addr_b64 v[230:233], v108 offset0:83 offset1:84
	;; [unrolled: 1-line block ×4, first 2 shown]
	v_fmac_f32_e32 v1, v119, v122
	ds_load_2addr_b64 v[254:257], v108 offset0:89 offset1:90
	s_set_vgpr_msb 64                       ;  msbs: dst=1 src0=0 src1=0 src2=0
	ds_load_2addr_b64 v[6:9] /*v[262:265]*/, v108 offset0:91 offset1:92
	ds_load_2addr_b64 v[14:17] /*v[270:273]*/, v108 offset0:93 offset1:94
	;; [unrolled: 1-line block ×3, first 2 shown]
	s_set_vgpr_msb 0                        ;  msbs: dst=0 src0=0 src1=0 src2=0
	v_add_f32_e32 v0, v0, v1
	v_mul_f32_e32 v1, v120, v125
	s_set_vgpr_msb 64                       ;  msbs: dst=1 src0=0 src1=0 src2=0
	s_clause 0x3
	scratch_load_b128 v[30:33] /*v[286:289]*/, off, off offset:360
	scratch_load_b128 v[34:37] /*v[290:293]*/, off, off offset:376
	;; [unrolled: 1-line block ×3, first 2 shown]
	scratch_load_b64 v[44:45] /*v[300:301]*/, off, off offset:408
	s_set_vgpr_msb 0                        ;  msbs: dst=0 src0=0 src1=0 src2=0
	v_mul_f32_e32 v106, v113, v117
	v_fmac_f32_e32 v1, v121, v124
	s_delay_alu instid0(VALU_DEP_2) | instskip(SKIP_1) | instid1(VALU_DEP_2)
	v_fma_f32 v106, v112, v116, -v106
	s_wait_loadcnt_dscnt 0x1713
	v_dual_add_f32 v0, v0, v1 :: v_dual_mul_f32 v1, v126, v131
	s_delay_alu instid0(VALU_DEP_1)
	v_fmac_f32_e32 v1, v127, v130
	s_wait_loadcnt_dscnt 0x400
	s_set_vgpr_msb 5                        ;  msbs: dst=0 src0=1 src1=1 src2=0
	v_dual_mul_f32 v107, v16 /*v272*/, v21 /*v277*/ :: v_dual_mul_f32 v109, v23 /*v279*/, v27 /*v283*/
	s_set_vgpr_msb 0x45                     ;  msbs: dst=1 src0=1 src1=1 src2=0
	v_mul_f32_e32 v43 /*v299*/, v22 /*v278*/, v27 /*v283*/
	s_set_vgpr_msb 0                        ;  msbs: dst=0 src0=0 src1=0 src2=0
	v_add_f32_e32 v0, v0, v1
	v_mul_f32_e32 v1, v128, v133
	s_set_vgpr_msb 5                        ;  msbs: dst=0 src0=1 src1=1 src2=0
	v_fmac_f32_e32 v107, v17 /*v273*/, v20 /*v276*/
	s_set_vgpr_msb 0x45                     ;  msbs: dst=1 src0=1 src1=1 src2=0
	v_fma_f32 v42 /*v298*/, v22 /*v278*/, v26 /*v282*/, -v109
	v_fmac_f32_e32 v43 /*v299*/, v23 /*v279*/, v26 /*v282*/
	s_set_vgpr_msb 0                        ;  msbs: dst=0 src0=0 src1=0 src2=0
	v_fmac_f32_e32 v1, v129, v132
	s_delay_alu instid0(VALU_DEP_1) | instskip(NEXT) | instid1(VALU_DEP_1)
	v_dual_add_f32 v0, v0, v1 :: v_dual_mul_f32 v1, v134, v139
	v_fmac_f32_e32 v1, v135, v138
	s_delay_alu instid0(VALU_DEP_1) | instskip(SKIP_1) | instid1(VALU_DEP_1)
	v_add_f32_e32 v0, v0, v1
	v_mul_f32_e32 v1, v136, v141
	v_fmac_f32_e32 v1, v137, v140
	s_delay_alu instid0(VALU_DEP_1) | instskip(NEXT) | instid1(VALU_DEP_1)
	v_dual_add_f32 v0, v0, v1 :: v_dual_mul_f32 v1, v142, v147
	v_fmac_f32_e32 v1, v143, v146
	s_delay_alu instid0(VALU_DEP_1) | instskip(SKIP_1) | instid1(VALU_DEP_1)
	v_add_f32_e32 v0, v0, v1
	v_mul_f32_e32 v1, v144, v149
	;; [unrolled: 7-line block ×15, first 2 shown]
	v_fmac_f32_e32 v1, v249, v252
	s_delay_alu instid0(VALU_DEP_1) | instskip(SKIP_2) | instid1(VALU_DEP_1)
	v_add_f32_e32 v0, v0, v1
	s_set_vgpr_msb 4                        ;  msbs: dst=0 src0=0 src1=1 src2=0
	v_mul_f32_e32 v1, v254, v3 /*v259*/
	v_fmac_f32_e32 v1, v255, v2 /*v258*/
	s_set_vgpr_msb 0                        ;  msbs: dst=0 src0=0 src1=0 src2=0
	s_delay_alu instid0(VALU_DEP_1) | instskip(SKIP_2) | instid1(VALU_DEP_1)
	v_add_f32_e32 v0, v0, v1
	s_set_vgpr_msb 5                        ;  msbs: dst=0 src0=1 src1=1 src2=0
	v_mul_f32_e32 v1, v0 /*v256*/, v5 /*v261*/
	v_fmac_f32_e32 v1, v1 /*v257*/, v4 /*v260*/
	s_set_vgpr_msb 0                        ;  msbs: dst=0 src0=0 src1=0 src2=0
	s_delay_alu instid0(VALU_DEP_1) | instskip(SKIP_2) | instid1(VALU_DEP_1)
	v_add_f32_e32 v0, v0, v1
	s_set_vgpr_msb 5                        ;  msbs: dst=0 src0=1 src1=1 src2=0
	v_mul_f32_e32 v1, v6 /*v262*/, v11 /*v267*/
	v_fmac_f32_e32 v1, v7 /*v263*/, v10 /*v266*/
	;; [unrolled: 6-line block ×4, first 2 shown]
	s_set_vgpr_msb 0                        ;  msbs: dst=0 src0=0 src1=0 src2=0
	s_delay_alu instid0(VALU_DEP_1) | instskip(NEXT) | instid1(VALU_DEP_1)
	v_dual_add_f32 v1, v0, v1 :: v_dual_mul_f32 v0, v111, v115
	v_fma_f32 v0, v110, v114, -v0
	s_delay_alu instid0(VALU_DEP_1) | instskip(NEXT) | instid1(VALU_DEP_1)
	v_add_f32_e32 v0, 0, v0
	v_dual_add_f32 v0, v0, v106 :: v_dual_mul_f32 v106, v119, v123
	s_delay_alu instid0(VALU_DEP_1) | instskip(NEXT) | instid1(VALU_DEP_1)
	v_fma_f32 v106, v118, v122, -v106
	v_dual_add_f32 v0, v0, v106 :: v_dual_mul_f32 v106, v121, v125
	s_delay_alu instid0(VALU_DEP_1)
	v_fma_f32 v106, v120, v124, -v106
	ds_load_2addr_b64 v[110:113], v108 offset0:97 offset1:98
	ds_load_2addr_b64 v[114:117], v108 offset0:99 offset1:100
	ds_load_2addr_b64 v[118:121], v108 offset0:101 offset1:102
	ds_load_b64 v[122:123], v108 offset:824
	s_set_vgpr_msb 1                        ;  msbs: dst=0 src0=1 src1=0 src2=0
	v_mov_b32_e32 v124, v29 /*v285*/
	s_set_vgpr_msb 0                        ;  msbs: dst=0 src0=0 src1=0 src2=0
	v_dual_add_f32 v0, v0, v106 :: v_dual_mul_f32 v106, v127, v131
	s_delay_alu instid0(VALU_DEP_1) | instskip(NEXT) | instid1(VALU_DEP_1)
	v_fma_f32 v106, v126, v130, -v106
	v_dual_add_f32 v0, v0, v106 :: v_dual_mul_f32 v106, v129, v133
	s_delay_alu instid0(VALU_DEP_1) | instskip(NEXT) | instid1(VALU_DEP_1)
	v_fma_f32 v106, v128, v132, -v106
	;; [unrolled: 3-line block ×32, first 2 shown]
	v_add_f32_e32 v0, v0, v106
	s_set_vgpr_msb 4                        ;  msbs: dst=0 src0=0 src1=1 src2=0
	v_mul_f32_e32 v106, v255, v3 /*v259*/
	s_delay_alu instid0(VALU_DEP_1) | instskip(SKIP_1) | instid1(VALU_DEP_1)
	v_fma_f32 v106, v254, v2 /*v258*/, -v106
	s_set_vgpr_msb 0                        ;  msbs: dst=0 src0=0 src1=0 src2=0
	v_add_f32_e32 v0, v0, v106
	s_set_vgpr_msb 5                        ;  msbs: dst=0 src0=1 src1=1 src2=0
	v_mul_f32_e32 v106, v1 /*v257*/, v5 /*v261*/
	s_delay_alu instid0(VALU_DEP_1) | instskip(SKIP_1) | instid1(VALU_DEP_1)
	v_fma_f32 v106, v0 /*v256*/, v4 /*v260*/, -v106
	s_set_vgpr_msb 0                        ;  msbs: dst=0 src0=0 src1=0 src2=0
	v_add_f32_e32 v0, v0, v106
	s_set_vgpr_msb 5                        ;  msbs: dst=0 src0=1 src1=1 src2=0
	v_mul_f32_e32 v106, v7 /*v263*/, v11 /*v267*/
	s_delay_alu instid0(VALU_DEP_1) | instskip(SKIP_1) | instid1(VALU_DEP_1)
	v_fma_f32 v106, v6 /*v262*/, v10 /*v266*/, -v106
	;; [unrolled: 6-line block ×5, first 2 shown]
	s_set_vgpr_msb 0                        ;  msbs: dst=0 src0=0 src1=0 src2=0
	v_pk_add_f32 v[0:1], v[0:1], v[106:107]
	s_set_vgpr_msb 1                        ;  msbs: dst=0 src0=1 src1=0 src2=0
	v_dual_mov_b32 v106, v25 /*v281*/ :: v_dual_mov_b32 v107, v24 /*v280*/
	s_set_vgpr_msb 4                        ;  msbs: dst=0 src0=0 src1=1 src2=0
	s_delay_alu instid0(VALU_DEP_2) | instskip(SKIP_1) | instid1(VALU_DEP_2)
	v_pk_add_f32 v[0:1], v[0:1], v[42:43] /*v[298:299]*/
	s_set_vgpr_msb 0                        ;  msbs: dst=0 src0=0 src1=0 src2=0
	v_pk_mul_f32 v[106:107], v[106:107], v[124:125] op_sel_hi:[1,0]
	s_set_vgpr_msb 5                        ;  msbs: dst=0 src0=1 src1=1 src2=0
	s_delay_alu instid0(VALU_DEP_1) | instskip(SKIP_2) | instid1(VALU_DEP_1)
	v_pk_fma_f32 v[124:125], v[24:25] /*v[280:281]*/, v[28:29] /*v[284:285]*/, v[106:107] neg_lo:[0,0,1] neg_hi:[0,0,1]
	v_pk_fma_f32 v[106:107], v[24:25] /*v[280:281]*/, v[28:29] /*v[284:285]*/, v[106:107] op_sel_hi:[1,0,1]
	s_set_vgpr_msb 4                        ;  msbs: dst=0 src0=0 src1=1 src2=0
	v_mov_b32_e32 v125, v107
	s_wait_loadcnt_dscnt 0x303
	v_pk_mul_f32 v[106:107], v[110:111], v[30:31] /*v[286:287]*/ op_sel:[1,1] op_sel_hi:[0,1]
	s_set_vgpr_msb 0                        ;  msbs: dst=0 src0=0 src1=0 src2=0
	s_delay_alu instid0(VALU_DEP_2) | instskip(SKIP_1) | instid1(VALU_DEP_2)
	v_pk_add_f32 v[0:1], v[0:1], v[124:125]
	s_set_vgpr_msb 4                        ;  msbs: dst=0 src0=0 src1=1 src2=0
	v_pk_fma_f32 v[124:125], v[110:111], v[30:31] /*v[286:287]*/, v[106:107] neg_lo:[0,0,1] neg_hi:[0,0,1]
	v_pk_fma_f32 v[106:107], v[110:111], v[30:31] /*v[286:287]*/, v[106:107] op_sel_hi:[1,0,1]
	v_mov_b32_e32 v106, v113
	s_set_vgpr_msb 1                        ;  msbs: dst=0 src0=1 src1=0 src2=0
	v_mov_b32_e32 v110, v33 /*v289*/
	s_set_vgpr_msb 0                        ;  msbs: dst=0 src0=0 src1=0 src2=0
	v_dual_mov_b32 v125, v107 :: v_dual_mov_b32 v107, v112
	s_delay_alu instid0(VALU_DEP_1) | instskip(NEXT) | instid1(VALU_DEP_2)
	v_pk_add_f32 v[0:1], v[0:1], v[124:125]
	v_pk_mul_f32 v[106:107], v[106:107], v[110:111] op_sel_hi:[1,0]
	s_set_vgpr_msb 4                        ;  msbs: dst=0 src0=0 src1=1 src2=0
	s_delay_alu instid0(VALU_DEP_1) | instskip(SKIP_1) | instid1(VALU_DEP_1)
	v_pk_fma_f32 v[110:111], v[112:113], v[32:33] /*v[288:289]*/, v[106:107] neg_lo:[0,0,1] neg_hi:[0,0,1]
	v_pk_fma_f32 v[106:107], v[112:113], v[32:33] /*v[288:289]*/, v[106:107] op_sel_hi:[1,0,1]
	v_mov_b32_e32 v111, v107
	s_wait_loadcnt_dscnt 0x202
	v_pk_mul_f32 v[106:107], v[114:115], v[34:35] /*v[290:291]*/ op_sel:[1,1] op_sel_hi:[0,1]
	s_set_vgpr_msb 0                        ;  msbs: dst=0 src0=0 src1=0 src2=0
	s_delay_alu instid0(VALU_DEP_2) | instskip(SKIP_1) | instid1(VALU_DEP_2)
	v_pk_add_f32 v[0:1], v[0:1], v[110:111]
	s_set_vgpr_msb 4                        ;  msbs: dst=0 src0=0 src1=1 src2=0
	v_pk_fma_f32 v[110:111], v[114:115], v[34:35] /*v[290:291]*/, v[106:107] neg_lo:[0,0,1] neg_hi:[0,0,1]
	v_pk_fma_f32 v[106:107], v[114:115], v[34:35] /*v[290:291]*/, v[106:107] op_sel_hi:[1,0,1]
	s_delay_alu instid0(VALU_DEP_1) | instskip(SKIP_2) | instid1(VALU_DEP_2)
	v_dual_mov_b32 v106, v117 :: v_dual_mov_b32 v111, v107
	v_mov_b32_e32 v107, v116
	s_set_vgpr_msb 0                        ;  msbs: dst=0 src0=0 src1=0 src2=0
	v_pk_add_f32 v[0:1], v[0:1], v[110:111]
	s_set_vgpr_msb 1                        ;  msbs: dst=0 src0=1 src1=0 src2=0
	v_mov_b32_e32 v110, v37 /*v293*/
	s_set_vgpr_msb 0                        ;  msbs: dst=0 src0=0 src1=0 src2=0
	s_delay_alu instid0(VALU_DEP_1) | instskip(SKIP_1) | instid1(VALU_DEP_1)
	v_pk_mul_f32 v[106:107], v[106:107], v[110:111] op_sel_hi:[1,0]
	s_set_vgpr_msb 4                        ;  msbs: dst=0 src0=0 src1=1 src2=0
	v_pk_fma_f32 v[110:111], v[116:117], v[36:37] /*v[292:293]*/, v[106:107] neg_lo:[0,0,1] neg_hi:[0,0,1]
	v_pk_fma_f32 v[106:107], v[116:117], v[36:37] /*v[292:293]*/, v[106:107] op_sel_hi:[1,0,1]
	s_delay_alu instid0(VALU_DEP_1) | instskip(SKIP_3) | instid1(VALU_DEP_2)
	v_mov_b32_e32 v111, v107
	s_wait_loadcnt_dscnt 0x101
	v_pk_mul_f32 v[106:107], v[118:119], v[38:39] /*v[294:295]*/ op_sel:[1,1] op_sel_hi:[0,1]
	s_set_vgpr_msb 0                        ;  msbs: dst=0 src0=0 src1=0 src2=0
	v_pk_add_f32 v[0:1], v[0:1], v[110:111]
	s_set_vgpr_msb 4                        ;  msbs: dst=0 src0=0 src1=1 src2=0
	s_delay_alu instid0(VALU_DEP_2) | instskip(SKIP_1) | instid1(VALU_DEP_1)
	v_pk_fma_f32 v[110:111], v[118:119], v[38:39] /*v[294:295]*/, v[106:107] neg_lo:[0,0,1] neg_hi:[0,0,1]
	v_pk_fma_f32 v[106:107], v[118:119], v[38:39] /*v[294:295]*/, v[106:107] op_sel_hi:[1,0,1]
	v_dual_mov_b32 v106, v121 :: v_dual_mov_b32 v111, v107
	v_mov_b32_e32 v107, v120
	s_set_vgpr_msb 0                        ;  msbs: dst=0 src0=0 src1=0 src2=0
	s_delay_alu instid0(VALU_DEP_2) | instskip(SKIP_3) | instid1(VALU_DEP_1)
	v_pk_add_f32 v[0:1], v[0:1], v[110:111]
	s_set_vgpr_msb 1                        ;  msbs: dst=0 src0=1 src1=0 src2=0
	v_mov_b32_e32 v110, v41 /*v297*/
	s_set_vgpr_msb 0                        ;  msbs: dst=0 src0=0 src1=0 src2=0
	v_pk_mul_f32 v[106:107], v[106:107], v[110:111] op_sel_hi:[1,0]
	s_set_vgpr_msb 4                        ;  msbs: dst=0 src0=0 src1=1 src2=0
	s_delay_alu instid0(VALU_DEP_1) | instskip(SKIP_1) | instid1(VALU_DEP_1)
	v_pk_fma_f32 v[110:111], v[120:121], v[40:41] /*v[296:297]*/, v[106:107] neg_lo:[0,0,1] neg_hi:[0,0,1]
	v_pk_fma_f32 v[106:107], v[120:121], v[40:41] /*v[296:297]*/, v[106:107] op_sel_hi:[1,0,1]
	v_mov_b32_e32 v111, v107
	s_wait_loadcnt_dscnt 0x0
	v_pk_mul_f32 v[106:107], v[122:123], v[44:45] /*v[300:301]*/ op_sel:[1,1] op_sel_hi:[0,1]
	s_set_vgpr_msb 0                        ;  msbs: dst=0 src0=0 src1=0 src2=0
	s_delay_alu instid0(VALU_DEP_2) | instskip(SKIP_1) | instid1(VALU_DEP_2)
	v_pk_add_f32 v[0:1], v[0:1], v[110:111]
	s_set_vgpr_msb 4                        ;  msbs: dst=0 src0=0 src1=1 src2=0
	v_pk_fma_f32 v[110:111], v[122:123], v[44:45] /*v[300:301]*/, v[106:107] neg_lo:[0,0,1] neg_hi:[0,0,1]
	v_pk_fma_f32 v[106:107], v[122:123], v[44:45] /*v[300:301]*/, v[106:107] op_sel_hi:[1,0,1]
	s_delay_alu instid0(VALU_DEP_1) | instskip(SKIP_4) | instid1(VALU_DEP_1)
	v_mov_b32_e32 v111, v107
	scratch_load_b64 v[106:107], off, off
	s_set_vgpr_msb 0                        ;  msbs: dst=0 src0=0 src1=0 src2=0
	v_pk_add_f32 v[0:1], v[0:1], v[110:111]
	s_wait_loadcnt 0x0
	v_pk_add_f32 v[106:107], v[106:107], v[0:1] neg_lo:[0,1] neg_hi:[0,1]
	scratch_store_b64 off, v[106:107], off
	s_cbranch_vccz .LBB115_428
; %bb.326:
	global_load_b32 v0, v108, s[8:9] offset:200
	s_wait_loadcnt 0x0
	v_cmp_ne_u32_e32 vcc_lo, 51, v0
	s_cbranch_vccz .LBB115_328
; %bb.327:
	v_lshlrev_b32_e32 v0, 3, v0
	s_wait_xcnt 0x0
	s_delay_alu instid0(VALU_DEP_1)
	v_mov_b32_e32 v108, v0
	scratch_load_b64 v[0:1], v108, off offset:-8
	scratch_load_b64 v[106:107], off, off offset:400
	s_wait_loadcnt 0x1
	scratch_store_b64 off, v[0:1], off offset:400
	s_wait_loadcnt 0x0
	scratch_store_b64 v108, v[106:107], off offset:-8
.LBB115_328:
	s_wait_xcnt 0x1
	v_mov_b32_e32 v0, 0
	global_load_b32 v1, v0, s[8:9] offset:196
	s_wait_loadcnt 0x0
	v_cmp_eq_u32_e32 vcc_lo, 50, v1
	s_cbranch_vccnz .LBB115_330
; %bb.329:
	v_lshlrev_b32_e32 v1, 3, v1
	scratch_load_b64 v[106:107], v1, off offset:-8
	scratch_load_b64 v[108:109], off, off offset:392
	s_wait_loadcnt 0x1
	scratch_store_b64 off, v[106:107], off offset:392
	s_wait_loadcnt 0x0
	scratch_store_b64 v1, v[108:109], off offset:-8
.LBB115_330:
	global_load_b32 v0, v0, s[8:9] offset:192
	s_wait_loadcnt 0x0
	v_cmp_eq_u32_e32 vcc_lo, 49, v0
	s_cbranch_vccnz .LBB115_332
; %bb.331:
	s_wait_xcnt 0x0
	v_lshlrev_b32_e32 v0, 3, v0
	s_delay_alu instid0(VALU_DEP_1)
	v_mov_b32_e32 v108, v0
	scratch_load_b64 v[0:1], v108, off offset:-8
	scratch_load_b64 v[106:107], off, off offset:384
	s_wait_loadcnt 0x1
	scratch_store_b64 off, v[0:1], off offset:384
	s_wait_loadcnt 0x0
	scratch_store_b64 v108, v[106:107], off offset:-8
.LBB115_332:
	s_wait_xcnt 0x0
	v_mov_b32_e32 v0, 0
	global_load_b32 v1, v0, s[8:9] offset:188
	s_wait_loadcnt 0x0
	v_cmp_eq_u32_e32 vcc_lo, 48, v1
	s_cbranch_vccnz .LBB115_334
; %bb.333:
	v_lshlrev_b32_e32 v1, 3, v1
	scratch_load_b64 v[106:107], v1, off offset:-8
	scratch_load_b64 v[108:109], off, off offset:376
	s_wait_loadcnt 0x1
	scratch_store_b64 off, v[106:107], off offset:376
	s_wait_loadcnt 0x0
	scratch_store_b64 v1, v[108:109], off offset:-8
.LBB115_334:
	global_load_b32 v0, v0, s[8:9] offset:184
	s_wait_loadcnt 0x0
	v_cmp_eq_u32_e32 vcc_lo, 47, v0
	s_cbranch_vccnz .LBB115_336
; %bb.335:
	s_wait_xcnt 0x0
	v_lshlrev_b32_e32 v0, 3, v0
	s_delay_alu instid0(VALU_DEP_1)
	v_mov_b32_e32 v108, v0
	scratch_load_b64 v[0:1], v108, off offset:-8
	scratch_load_b64 v[106:107], off, off offset:368
	s_wait_loadcnt 0x1
	scratch_store_b64 off, v[0:1], off offset:368
	s_wait_loadcnt 0x0
	scratch_store_b64 v108, v[106:107], off offset:-8
.LBB115_336:
	;; [unrolled: 31-line block ×24, first 2 shown]
	s_wait_xcnt 0x0
	v_mov_b32_e32 v0, 0
	global_load_b32 v1, v0, s[8:9] offset:4
	s_wait_loadcnt 0x0
	v_cmp_eq_u32_e32 vcc_lo, 2, v1
	s_cbranch_vccnz .LBB115_426
; %bb.425:
	v_lshlrev_b32_e32 v1, 3, v1
	scratch_load_b64 v[106:107], v1, off offset:-8
	scratch_load_b64 v[108:109], off, off offset:8
	s_wait_loadcnt 0x1
	scratch_store_b64 off, v[106:107], off offset:8
	s_wait_loadcnt 0x0
	scratch_store_b64 v1, v[108:109], off offset:-8
.LBB115_426:
	global_load_b32 v0, v0, s[8:9]
	scratch_load_b64 v[106:107], off, off
	s_wait_loadcnt 0x1
	v_cmp_eq_u32_e32 vcc_lo, 1, v0
	s_cbranch_vccnz .LBB115_428
; %bb.427:
	s_wait_xcnt 0x1
	v_lshlrev_b32_e32 v0, 3, v0
	s_delay_alu instid0(VALU_DEP_1)
	v_mov_b32_e32 v108, v0
	scratch_load_b64 v[0:1], v108, off offset:-8
	s_wait_loadcnt 0x0
	scratch_store_b64 off, v[0:1], off
	scratch_store_b64 v108, v[106:107], off offset:-8
	scratch_load_b64 v[106:107], off, off
.LBB115_428:
	s_wait_loadcnt 0x0
	flat_store_b64 v[2:3], v[106:107]
	scratch_load_b64 v[2:3], off, off offset:8
	v_lshl_add_u64 v[154:155], v[6:7], 3, s[2:3]
	v_lshl_add_u64 v[152:153], v[8:9], 3, s[2:3]
	;; [unrolled: 1-line block ×50, first 2 shown]
	s_wait_loadcnt 0x0
	flat_store_b64 v[4:5], v[2:3]
	scratch_load_b64 v[2:3], off, off offset:16
	s_wait_loadcnt 0x0
	flat_store_b64 v[154:155], v[2:3]
	scratch_load_b64 v[2:3], off, off offset:24
	;; [unrolled: 3-line block ×50, first 2 shown]
	s_wait_loadcnt 0x0
	flat_store_b64 v[0:1], v[2:3]
	s_sendmsg sendmsg(MSG_DEALLOC_VGPRS)
	s_endpgm
	.section	.rodata,"a",@progbits
	.p2align	6, 0x0
	.amdhsa_kernel _ZN9rocsolver6v33100L18getri_kernel_smallILi52E19rocblas_complex_numIfEPKPS3_EEvT1_iilPiilS8_bb
		.amdhsa_group_segment_fixed_size 836
		.amdhsa_private_segment_fixed_size 432
		.amdhsa_kernarg_size 60
		.amdhsa_user_sgpr_count 2
		.amdhsa_user_sgpr_dispatch_ptr 0
		.amdhsa_user_sgpr_queue_ptr 0
		.amdhsa_user_sgpr_kernarg_segment_ptr 1
		.amdhsa_user_sgpr_dispatch_id 0
		.amdhsa_user_sgpr_kernarg_preload_length 0
		.amdhsa_user_sgpr_kernarg_preload_offset 0
		.amdhsa_user_sgpr_private_segment_size 0
		.amdhsa_wavefront_size32 1
		.amdhsa_uses_dynamic_stack 0
		.amdhsa_enable_private_segment 1
		.amdhsa_system_sgpr_workgroup_id_x 1
		.amdhsa_system_sgpr_workgroup_id_y 0
		.amdhsa_system_sgpr_workgroup_id_z 0
		.amdhsa_system_sgpr_workgroup_info 0
		.amdhsa_system_vgpr_workitem_id 0
		.amdhsa_next_free_vgpr 318
		.amdhsa_next_free_sgpr 19
		.amdhsa_named_barrier_count 0
		.amdhsa_reserve_vcc 1
		.amdhsa_float_round_mode_32 0
		.amdhsa_float_round_mode_16_64 0
		.amdhsa_float_denorm_mode_32 3
		.amdhsa_float_denorm_mode_16_64 3
		.amdhsa_fp16_overflow 0
		.amdhsa_memory_ordered 1
		.amdhsa_forward_progress 1
		.amdhsa_inst_pref_size 255
		.amdhsa_round_robin_scheduling 0
		.amdhsa_exception_fp_ieee_invalid_op 0
		.amdhsa_exception_fp_denorm_src 0
		.amdhsa_exception_fp_ieee_div_zero 0
		.amdhsa_exception_fp_ieee_overflow 0
		.amdhsa_exception_fp_ieee_underflow 0
		.amdhsa_exception_fp_ieee_inexact 0
		.amdhsa_exception_int_div_zero 0
	.end_amdhsa_kernel
	.section	.text._ZN9rocsolver6v33100L18getri_kernel_smallILi52E19rocblas_complex_numIfEPKPS3_EEvT1_iilPiilS8_bb,"axG",@progbits,_ZN9rocsolver6v33100L18getri_kernel_smallILi52E19rocblas_complex_numIfEPKPS3_EEvT1_iilPiilS8_bb,comdat
.Lfunc_end115:
	.size	_ZN9rocsolver6v33100L18getri_kernel_smallILi52E19rocblas_complex_numIfEPKPS3_EEvT1_iilPiilS8_bb, .Lfunc_end115-_ZN9rocsolver6v33100L18getri_kernel_smallILi52E19rocblas_complex_numIfEPKPS3_EEvT1_iilPiilS8_bb
                                        ; -- End function
	.set _ZN9rocsolver6v33100L18getri_kernel_smallILi52E19rocblas_complex_numIfEPKPS3_EEvT1_iilPiilS8_bb.num_vgpr, 318
	.set _ZN9rocsolver6v33100L18getri_kernel_smallILi52E19rocblas_complex_numIfEPKPS3_EEvT1_iilPiilS8_bb.num_agpr, 0
	.set _ZN9rocsolver6v33100L18getri_kernel_smallILi52E19rocblas_complex_numIfEPKPS3_EEvT1_iilPiilS8_bb.numbered_sgpr, 19
	.set _ZN9rocsolver6v33100L18getri_kernel_smallILi52E19rocblas_complex_numIfEPKPS3_EEvT1_iilPiilS8_bb.num_named_barrier, 0
	.set _ZN9rocsolver6v33100L18getri_kernel_smallILi52E19rocblas_complex_numIfEPKPS3_EEvT1_iilPiilS8_bb.private_seg_size, 432
	.set _ZN9rocsolver6v33100L18getri_kernel_smallILi52E19rocblas_complex_numIfEPKPS3_EEvT1_iilPiilS8_bb.uses_vcc, 1
	.set _ZN9rocsolver6v33100L18getri_kernel_smallILi52E19rocblas_complex_numIfEPKPS3_EEvT1_iilPiilS8_bb.uses_flat_scratch, 1
	.set _ZN9rocsolver6v33100L18getri_kernel_smallILi52E19rocblas_complex_numIfEPKPS3_EEvT1_iilPiilS8_bb.has_dyn_sized_stack, 0
	.set _ZN9rocsolver6v33100L18getri_kernel_smallILi52E19rocblas_complex_numIfEPKPS3_EEvT1_iilPiilS8_bb.has_recursion, 0
	.set _ZN9rocsolver6v33100L18getri_kernel_smallILi52E19rocblas_complex_numIfEPKPS3_EEvT1_iilPiilS8_bb.has_indirect_call, 0
	.section	.AMDGPU.csdata,"",@progbits
; Kernel info:
; codeLenInByte = 101068
; TotalNumSgprs: 21
; NumVgprs: 318
; ScratchSize: 432
; MemoryBound: 0
; FloatMode: 240
; IeeeMode: 1
; LDSByteSize: 836 bytes/workgroup (compile time only)
; SGPRBlocks: 0
; VGPRBlocks: 19
; NumSGPRsForWavesPerEU: 21
; NumVGPRsForWavesPerEU: 318
; NamedBarCnt: 0
; Occupancy: 3
; WaveLimiterHint : 1
; COMPUTE_PGM_RSRC2:SCRATCH_EN: 1
; COMPUTE_PGM_RSRC2:USER_SGPR: 2
; COMPUTE_PGM_RSRC2:TRAP_HANDLER: 0
; COMPUTE_PGM_RSRC2:TGID_X_EN: 1
; COMPUTE_PGM_RSRC2:TGID_Y_EN: 0
; COMPUTE_PGM_RSRC2:TGID_Z_EN: 0
; COMPUTE_PGM_RSRC2:TIDIG_COMP_CNT: 0
	.section	.text._ZN9rocsolver6v33100L18getri_kernel_smallILi53E19rocblas_complex_numIfEPKPS3_EEvT1_iilPiilS8_bb,"axG",@progbits,_ZN9rocsolver6v33100L18getri_kernel_smallILi53E19rocblas_complex_numIfEPKPS3_EEvT1_iilPiilS8_bb,comdat
	.globl	_ZN9rocsolver6v33100L18getri_kernel_smallILi53E19rocblas_complex_numIfEPKPS3_EEvT1_iilPiilS8_bb ; -- Begin function _ZN9rocsolver6v33100L18getri_kernel_smallILi53E19rocblas_complex_numIfEPKPS3_EEvT1_iilPiilS8_bb
	.p2align	8
	.type	_ZN9rocsolver6v33100L18getri_kernel_smallILi53E19rocblas_complex_numIfEPKPS3_EEvT1_iilPiilS8_bb,@function
_ZN9rocsolver6v33100L18getri_kernel_smallILi53E19rocblas_complex_numIfEPKPS3_EEvT1_iilPiilS8_bb: ; @_ZN9rocsolver6v33100L18getri_kernel_smallILi53E19rocblas_complex_numIfEPKPS3_EEvT1_iilPiilS8_bb
; %bb.0:
	s_mov_b32 s2, exec_lo
	v_cmpx_gt_u32_e32 53, v0
	s_cbranch_execz .LBB116_226
; %bb.1:
	s_clause 0x1
	s_load_b32 s13, s[0:1], 0x38
	s_load_b64 s[2:3], s[0:1], 0x0
	s_getreg_b32 s6, hwreg(HW_REG_IB_STS2, 6, 4)
	s_wait_kmcnt 0x0
	s_bitcmp1_b32 s13, 8
	s_cselect_b32 s12, -1, 0
	s_bfe_u32 s4, ttmp6, 0x4000c
	s_and_b32 s5, ttmp6, 15
	s_add_co_i32 s4, s4, 1
	s_delay_alu instid0(SALU_CYCLE_1) | instskip(NEXT) | instid1(SALU_CYCLE_1)
	s_mul_i32 s4, ttmp9, s4
	s_add_co_i32 s5, s5, s4
	s_cmp_eq_u32 s6, 0
	s_cselect_b32 s10, ttmp9, s5
	s_load_b128 s[4:7], s[0:1], 0x28
	s_ashr_i32 s11, s10, 31
	s_delay_alu instid0(SALU_CYCLE_1) | instskip(NEXT) | instid1(SALU_CYCLE_1)
	s_lshl_b64 s[8:9], s[10:11], 3
	s_add_nc_u64 s[2:3], s[2:3], s[8:9]
	s_bfe_u32 s8, s13, 0x10008
	s_load_b64 s[2:3], s[2:3], 0x0
	s_cmp_eq_u32 s8, 0
                                        ; implicit-def: $sgpr8_sgpr9
	s_cbranch_scc1 .LBB116_3
; %bb.2:
	s_load_b96 s[16:18], s[0:1], 0x18
	s_wait_kmcnt 0x0
	s_mul_u64 s[4:5], s[4:5], s[10:11]
	s_delay_alu instid0(SALU_CYCLE_1) | instskip(SKIP_4) | instid1(SALU_CYCLE_1)
	s_lshl_b64 s[4:5], s[4:5], 2
	s_ashr_i32 s9, s18, 31
	s_mov_b32 s8, s18
	s_add_nc_u64 s[4:5], s[16:17], s[4:5]
	s_lshl_b64 s[8:9], s[8:9], 2
	s_add_nc_u64 s[8:9], s[4:5], s[8:9]
.LBB116_3:
	s_wait_kmcnt 0x0
	s_clause 0x1
	s_load_b64 s[4:5], s[0:1], 0x8
	s_load_b32 s13, s[0:1], 0x38
	v_dual_mov_b32 v109, 0 :: v_dual_lshlrev_b32 v108, 3, v0
	s_wait_kmcnt 0x0
	s_ashr_i32 s1, s4, 31
	s_mov_b32 s0, s4
	s_delay_alu instid0(SALU_CYCLE_1) | instskip(NEXT) | instid1(SALU_CYCLE_1)
	s_lshl_b64 s[0:1], s[0:1], 3
	s_add_nc_u64 s[2:3], s[2:3], s[0:1]
	s_ashr_i32 s1, s5, 31
	flat_load_b64 v[6:7], v0, s[2:3] scale_offset
	v_add_nc_u64_e32 v[2:3], s[2:3], v[108:109]
	s_mov_b32 s0, s5
	s_bitcmp0_b32 s13, 0
	s_delay_alu instid0(VALU_DEP_1)
	v_lshl_add_u64 v[4:5], s[0:1], 3, v[2:3]
	s_mov_b32 s1, -1
	s_wait_loadcnt_dscnt 0x0
	scratch_store_b64 off, v[6:7], off
	flat_load_b64 v[8:9], v[4:5]
	s_wait_xcnt 0x1
	v_add3_u32 v6, s5, s5, v0
	s_wait_loadcnt_dscnt 0x0
	scratch_store_b64 off, v[8:9], off offset:8
	flat_load_b64 v[10:11], v6, s[2:3] scale_offset
	s_wait_xcnt 0x1
	v_add_nc_u32_e32 v8, s5, v6
	s_wait_loadcnt_dscnt 0x0
	scratch_store_b64 off, v[10:11], off offset:16
	flat_load_b64 v[12:13], v8, s[2:3] scale_offset
	s_wait_xcnt 0x1
	v_add_nc_u32_e32 v10, s5, v8
	;; [unrolled: 5-line block ×50, first 2 shown]
	s_wait_loadcnt_dscnt 0x0
	scratch_store_b64 off, v[110:111], off offset:408
	flat_load_b64 v[110:111], v106, s[2:3] scale_offset
	s_wait_loadcnt_dscnt 0x0
	scratch_store_b64 off, v[110:111], off offset:416
	s_cbranch_scc1 .LBB116_224
; %bb.4:
	v_cmp_eq_u32_e64 s0, 0, v0
	s_wait_xcnt 0x0
	s_and_saveexec_b32 s1, s0
; %bb.5:
	v_mov_b32_e32 v1, 0
	ds_store_b32 v1, v1 offset:424
; %bb.6:
	s_or_b32 exec_lo, exec_lo, s1
	s_wait_storecnt_dscnt 0x0
	s_barrier_signal -1
	s_barrier_wait -1
	scratch_load_b64 v[110:111], v0, off scale_offset
	s_wait_loadcnt 0x0
	v_cmp_eq_f32_e32 vcc_lo, 0, v110
	v_cmp_eq_f32_e64 s1, 0, v111
	s_and_b32 s1, vcc_lo, s1
	s_delay_alu instid0(SALU_CYCLE_1)
	s_and_saveexec_b32 s4, s1
	s_cbranch_execz .LBB116_10
; %bb.7:
	v_mov_b32_e32 v1, 0
	s_mov_b32 s5, 0
	ds_load_b32 v7, v1 offset:424
	s_wait_dscnt 0x0
	v_readfirstlane_b32 s1, v7
	v_add_nc_u32_e32 v7, 1, v0
	s_cmp_eq_u32 s1, 0
	s_delay_alu instid0(VALU_DEP_1) | instskip(SKIP_1) | instid1(SALU_CYCLE_1)
	v_cmp_gt_i32_e32 vcc_lo, s1, v7
	s_cselect_b32 s13, -1, 0
	s_or_b32 s13, s13, vcc_lo
	s_delay_alu instid0(SALU_CYCLE_1)
	s_and_b32 exec_lo, exec_lo, s13
	s_cbranch_execz .LBB116_10
; %bb.8:
	v_mov_b32_e32 v9, s1
.LBB116_9:                              ; =>This Inner Loop Header: Depth=1
	ds_cmpstore_rtn_b32 v9, v1, v7, v9 offset:424
	s_wait_dscnt 0x0
	v_cmp_ne_u32_e32 vcc_lo, 0, v9
	v_cmp_le_i32_e64 s1, v9, v7
	s_and_b32 s1, vcc_lo, s1
	s_delay_alu instid0(SALU_CYCLE_1) | instskip(NEXT) | instid1(SALU_CYCLE_1)
	s_and_b32 s1, exec_lo, s1
	s_or_b32 s5, s1, s5
	s_delay_alu instid0(SALU_CYCLE_1)
	s_and_not1_b32 exec_lo, exec_lo, s5
	s_cbranch_execnz .LBB116_9
.LBB116_10:
	s_or_b32 exec_lo, exec_lo, s4
	v_mov_b32_e32 v1, 0
	s_barrier_signal -1
	s_barrier_wait -1
	ds_load_b32 v7, v1 offset:424
	s_and_saveexec_b32 s1, s0
	s_cbranch_execz .LBB116_12
; %bb.11:
	s_lshl_b64 s[4:5], s[10:11], 2
	s_delay_alu instid0(SALU_CYCLE_1)
	s_add_nc_u64 s[4:5], s[6:7], s[4:5]
	s_wait_dscnt 0x0
	global_store_b32 v1, v7, s[4:5]
.LBB116_12:
	s_wait_xcnt 0x0
	s_or_b32 exec_lo, exec_lo, s1
	s_wait_dscnt 0x0
	v_cmp_ne_u32_e32 vcc_lo, 0, v7
	s_mov_b32 s1, 0
	s_cbranch_vccnz .LBB116_224
; %bb.13:
	v_lshl_add_u32 v7, v0, 3, 0
                                        ; implicit-def: $vgpr113
                                        ; implicit-def: $vgpr114
	scratch_load_b64 v[110:111], v7, off
	s_wait_loadcnt 0x0
	v_cmp_ngt_f32_e64 s1, |v110|, |v111|
	s_wait_xcnt 0x0
	s_and_saveexec_b32 s4, s1
	s_delay_alu instid0(SALU_CYCLE_1)
	s_xor_b32 s1, exec_lo, s4
	s_cbranch_execz .LBB116_15
; %bb.14:
	v_div_scale_f32 v1, null, v111, v111, v110
	v_div_scale_f32 v13, vcc_lo, v110, v111, v110
	s_delay_alu instid0(VALU_DEP_2) | instskip(SKIP_1) | instid1(TRANS32_DEP_1)
	v_rcp_f32_e32 v9, v1
	v_nop
	v_fma_f32 v11, -v1, v9, 1.0
	s_delay_alu instid0(VALU_DEP_1) | instskip(NEXT) | instid1(VALU_DEP_1)
	v_fmac_f32_e32 v9, v11, v9
	v_mul_f32_e32 v11, v13, v9
	s_delay_alu instid0(VALU_DEP_1) | instskip(NEXT) | instid1(VALU_DEP_1)
	v_fma_f32 v15, -v1, v11, v13
	v_fmac_f32_e32 v11, v15, v9
	s_delay_alu instid0(VALU_DEP_1) | instskip(NEXT) | instid1(VALU_DEP_1)
	v_fma_f32 v1, -v1, v11, v13
	v_div_fmas_f32 v1, v1, v9, v11
	s_delay_alu instid0(VALU_DEP_1) | instskip(NEXT) | instid1(VALU_DEP_1)
	v_div_fixup_f32 v1, v1, v111, v110
	v_fmac_f32_e32 v111, v110, v1
	s_delay_alu instid0(VALU_DEP_1) | instskip(NEXT) | instid1(VALU_DEP_1)
	v_div_scale_f32 v9, null, v111, v111, -1.0
	v_rcp_f32_e32 v11, v9
	v_nop
	s_delay_alu instid0(TRANS32_DEP_1) | instskip(NEXT) | instid1(VALU_DEP_1)
	v_fma_f32 v13, -v9, v11, 1.0
	v_fmac_f32_e32 v11, v13, v11
	v_div_scale_f32 v13, vcc_lo, -1.0, v111, -1.0
	s_delay_alu instid0(VALU_DEP_1) | instskip(NEXT) | instid1(VALU_DEP_1)
	v_mul_f32_e32 v15, v13, v11
	v_fma_f32 v17, -v9, v15, v13
	s_delay_alu instid0(VALU_DEP_1) | instskip(NEXT) | instid1(VALU_DEP_1)
	v_fmac_f32_e32 v15, v17, v11
	v_fma_f32 v9, -v9, v15, v13
	s_delay_alu instid0(VALU_DEP_1) | instskip(NEXT) | instid1(VALU_DEP_1)
	v_div_fmas_f32 v9, v9, v11, v15
	v_div_fixup_f32 v113, v9, v111, -1.0
                                        ; implicit-def: $vgpr110_vgpr111
	s_delay_alu instid0(VALU_DEP_1) | instskip(NEXT) | instid1(VALU_DEP_1)
	v_mul_f32_e32 v114, v1, v113
	v_xor_b32_e32 v112, 0x80000000, v114
.LBB116_15:
	s_and_not1_saveexec_b32 s1, s1
	s_cbranch_execz .LBB116_17
; %bb.16:
	v_div_scale_f32 v1, null, v110, v110, v111
	v_div_scale_f32 v13, vcc_lo, v111, v110, v111
	s_delay_alu instid0(VALU_DEP_2) | instskip(SKIP_1) | instid1(TRANS32_DEP_1)
	v_rcp_f32_e32 v9, v1
	v_nop
	v_fma_f32 v11, -v1, v9, 1.0
	s_delay_alu instid0(VALU_DEP_1) | instskip(NEXT) | instid1(VALU_DEP_1)
	v_fmac_f32_e32 v9, v11, v9
	v_mul_f32_e32 v11, v13, v9
	s_delay_alu instid0(VALU_DEP_1) | instskip(NEXT) | instid1(VALU_DEP_1)
	v_fma_f32 v15, -v1, v11, v13
	v_fmac_f32_e32 v11, v15, v9
	s_delay_alu instid0(VALU_DEP_1) | instskip(NEXT) | instid1(VALU_DEP_1)
	v_fma_f32 v1, -v1, v11, v13
	v_div_fmas_f32 v1, v1, v9, v11
	s_delay_alu instid0(VALU_DEP_1) | instskip(NEXT) | instid1(VALU_DEP_1)
	v_div_fixup_f32 v1, v1, v110, v111
	v_fmac_f32_e32 v110, v111, v1
	s_delay_alu instid0(VALU_DEP_1) | instskip(SKIP_1) | instid1(VALU_DEP_2)
	v_div_scale_f32 v9, null, v110, v110, 1.0
	v_div_scale_f32 v15, vcc_lo, 1.0, v110, 1.0
	v_rcp_f32_e32 v11, v9
	v_nop
	s_delay_alu instid0(TRANS32_DEP_1) | instskip(NEXT) | instid1(VALU_DEP_1)
	v_fma_f32 v13, -v9, v11, 1.0
	v_fmac_f32_e32 v11, v13, v11
	s_delay_alu instid0(VALU_DEP_1) | instskip(NEXT) | instid1(VALU_DEP_1)
	v_mul_f32_e32 v13, v15, v11
	v_fma_f32 v17, -v9, v13, v15
	s_delay_alu instid0(VALU_DEP_1) | instskip(NEXT) | instid1(VALU_DEP_1)
	v_fmac_f32_e32 v13, v17, v11
	v_fma_f32 v9, -v9, v13, v15
	s_delay_alu instid0(VALU_DEP_1) | instskip(NEXT) | instid1(VALU_DEP_1)
	v_div_fmas_f32 v9, v9, v11, v13
	v_div_fixup_f32 v112, v9, v110, 1.0
	s_delay_alu instid0(VALU_DEP_1)
	v_xor_b32_e32 v114, 0x80000000, v112
	v_mul_f32_e64 v113, v1, -v112
.LBB116_17:
	s_or_b32 exec_lo, exec_lo, s1
	scratch_store_b64 v7, v[112:113], off
	scratch_load_b64 v[110:111], off, off offset:8
	v_xor_b32_e32 v115, 0x80000000, v113
	v_add_nc_u32_e32 v1, 0x1b0, v108
	s_wait_loadcnt 0x0
	ds_store_2addr_b64 v108, v[114:115], v[110:111] offset1:54
	s_wait_storecnt_dscnt 0x0
	s_barrier_signal -1
	s_barrier_wait -1
	s_wait_xcnt 0x0
	s_and_saveexec_b32 s1, s0
	s_cbranch_execz .LBB116_19
; %bb.18:
	scratch_load_b64 v[110:111], v7, off
	ds_load_b64 v[112:113], v1
	s_wait_loadcnt_dscnt 0x0
	v_pk_mul_f32 v[116:117], v[112:113], v[110:111] op_sel:[1,1] op_sel_hi:[0,1]
	s_delay_alu instid0(VALU_DEP_1) | instskip(SKIP_2) | instid1(VALU_DEP_3)
	v_pk_fma_f32 v[118:119], v[112:113], v[110:111], v[116:117] op_sel_hi:[1,0,1]
	v_mov_b32_e32 v9, 0
	v_pk_fma_f32 v[110:111], v[112:113], v[110:111], v[116:117] neg_lo:[0,0,1] neg_hi:[0,0,1]
	v_mov_b32_e32 v111, v119
	ds_load_b64 v[114:115], v9 offset:8
	v_pk_add_f32 v[110:111], v[110:111], 0 op_sel_hi:[1,0]
	s_wait_dscnt 0x0
	s_delay_alu instid0(VALU_DEP_1) | instskip(NEXT) | instid1(VALU_DEP_1)
	v_pk_mul_f32 v[112:113], v[110:111], v[114:115] op_sel:[1,1] op_sel_hi:[0,1]
	v_pk_fma_f32 v[116:117], v[110:111], v[114:115], v[112:113] op_sel_hi:[1,0,1]
	v_pk_fma_f32 v[110:111], v[110:111], v[114:115], v[112:113] neg_lo:[0,0,1] neg_hi:[0,0,1]
	s_delay_alu instid0(VALU_DEP_2)
	v_mov_b32_e32 v111, v117
	scratch_store_b64 off, v[110:111], off offset:8
.LBB116_19:
	s_wait_xcnt 0x0
	s_or_b32 exec_lo, exec_lo, s1
	s_wait_storecnt 0x0
	s_barrier_signal -1
	s_barrier_wait -1
	scratch_load_b64 v[110:111], off, off offset:16
	s_mov_b32 s1, exec_lo
	s_wait_loadcnt 0x0
	ds_store_b64 v1, v[110:111]
	s_wait_dscnt 0x0
	s_barrier_signal -1
	s_barrier_wait -1
	v_cmpx_gt_u32_e32 2, v0
	s_cbranch_execz .LBB116_23
; %bb.20:
	scratch_load_b64 v[110:111], v7, off
	ds_load_b64 v[112:113], v1
	s_wait_loadcnt_dscnt 0x0
	v_pk_mul_f32 v[114:115], v[112:113], v[110:111] op_sel:[1,1] op_sel_hi:[0,1]
	s_delay_alu instid0(VALU_DEP_1) | instskip(SKIP_1) | instid1(VALU_DEP_2)
	v_pk_fma_f32 v[116:117], v[112:113], v[110:111], v[114:115] op_sel_hi:[1,0,1]
	v_pk_fma_f32 v[110:111], v[112:113], v[110:111], v[114:115] neg_lo:[0,0,1] neg_hi:[0,0,1]
	v_mov_b32_e32 v111, v117
	s_delay_alu instid0(VALU_DEP_1)
	v_pk_add_f32 v[110:111], v[110:111], 0 op_sel_hi:[1,0]
	s_and_saveexec_b32 s4, s0
	s_cbranch_execz .LBB116_22
; %bb.21:
	scratch_load_b64 v[112:113], off, off offset:8
	v_mov_b32_e32 v7, 0
	ds_load_b64 v[114:115], v7 offset:440
	s_wait_loadcnt_dscnt 0x0
	v_pk_mul_f32 v[116:117], v[114:115], v[112:113] op_sel:[1,1] op_sel_hi:[0,1]
	s_delay_alu instid0(VALU_DEP_1) | instskip(SKIP_1) | instid1(VALU_DEP_2)
	v_pk_fma_f32 v[118:119], v[114:115], v[112:113], v[116:117] op_sel_hi:[1,0,1]
	v_pk_fma_f32 v[112:113], v[114:115], v[112:113], v[116:117] neg_lo:[0,0,1] neg_hi:[0,0,1]
	v_mov_b32_e32 v113, v119
	s_delay_alu instid0(VALU_DEP_1)
	v_pk_add_f32 v[110:111], v[110:111], v[112:113]
.LBB116_22:
	s_or_b32 exec_lo, exec_lo, s4
	v_mov_b32_e32 v7, 0
	ds_load_b64 v[112:113], v7 offset:16
	s_wait_dscnt 0x0
	v_pk_mul_f32 v[114:115], v[110:111], v[112:113] op_sel:[1,1] op_sel_hi:[0,1]
	s_delay_alu instid0(VALU_DEP_1) | instskip(SKIP_1) | instid1(VALU_DEP_2)
	v_pk_fma_f32 v[116:117], v[110:111], v[112:113], v[114:115] op_sel_hi:[1,0,1]
	v_pk_fma_f32 v[110:111], v[110:111], v[112:113], v[114:115] neg_lo:[0,0,1] neg_hi:[0,0,1]
	v_mov_b32_e32 v111, v117
	scratch_store_b64 off, v[110:111], off offset:16
.LBB116_23:
	s_wait_xcnt 0x0
	s_or_b32 exec_lo, exec_lo, s1
	s_wait_storecnt 0x0
	s_barrier_signal -1
	s_barrier_wait -1
	scratch_load_b64 v[110:111], off, off offset:24
	v_add_nc_u32_e32 v7, -1, v0
	s_mov_b32 s0, exec_lo
	s_wait_loadcnt 0x0
	ds_store_b64 v1, v[110:111]
	s_wait_dscnt 0x0
	s_barrier_signal -1
	s_barrier_wait -1
	v_cmpx_gt_u32_e32 3, v0
	s_cbranch_execz .LBB116_27
; %bb.24:
	v_dual_mov_b32 v110, 0 :: v_dual_add_nc_u32 v9, -1, v0
	v_add_nc_u32_e32 v11, 0x1b0, v108
	v_mov_b32_e32 v13, v108
	s_mov_b32 s1, 0
	s_delay_alu instid0(VALU_DEP_3)
	v_mov_b32_e32 v111, v110
.LBB116_25:                             ; =>This Inner Loop Header: Depth=1
	scratch_load_b64 v[112:113], v13, off
	ds_load_b64 v[114:115], v11
	s_wait_xcnt 0x0
	v_dual_add_nc_u32 v11, 8, v11 :: v_dual_add_nc_u32 v13, 8, v13
	s_wait_loadcnt_dscnt 0x0
	v_pk_mul_f32 v[116:117], v[114:115], v[112:113] op_sel:[1,1] op_sel_hi:[0,1]
	s_delay_alu instid0(VALU_DEP_1) | instskip(SKIP_2) | instid1(VALU_DEP_3)
	v_pk_fma_f32 v[118:119], v[114:115], v[112:113], v[116:117] op_sel_hi:[1,0,1]
	v_add_nc_u32_e32 v9, 1, v9
	v_pk_fma_f32 v[112:113], v[114:115], v[112:113], v[116:117] neg_lo:[0,0,1] neg_hi:[0,0,1]
	v_mov_b32_e32 v113, v119
	s_delay_alu instid0(VALU_DEP_3) | instskip(NEXT) | instid1(VALU_DEP_2)
	v_cmp_lt_u32_e32 vcc_lo, 1, v9
	v_pk_add_f32 v[110:111], v[110:111], v[112:113]
	s_or_b32 s1, vcc_lo, s1
	s_delay_alu instid0(SALU_CYCLE_1)
	s_and_not1_b32 exec_lo, exec_lo, s1
	s_cbranch_execnz .LBB116_25
; %bb.26:
	s_or_b32 exec_lo, exec_lo, s1
	v_mov_b32_e32 v9, 0
	ds_load_b64 v[112:113], v9 offset:24
	s_wait_dscnt 0x0
	v_pk_mul_f32 v[114:115], v[110:111], v[112:113] op_sel:[1,1] op_sel_hi:[0,1]
	s_delay_alu instid0(VALU_DEP_1) | instskip(SKIP_1) | instid1(VALU_DEP_2)
	v_pk_fma_f32 v[116:117], v[110:111], v[112:113], v[114:115] op_sel_hi:[1,0,1]
	v_pk_fma_f32 v[110:111], v[110:111], v[112:113], v[114:115] neg_lo:[0,0,1] neg_hi:[0,0,1]
	v_mov_b32_e32 v111, v117
	scratch_store_b64 off, v[110:111], off offset:24
.LBB116_27:
	s_wait_xcnt 0x0
	s_or_b32 exec_lo, exec_lo, s0
	s_wait_storecnt 0x0
	s_barrier_signal -1
	s_barrier_wait -1
	scratch_load_b64 v[110:111], off, off offset:32
	s_mov_b32 s0, exec_lo
	s_wait_loadcnt 0x0
	ds_store_b64 v1, v[110:111]
	s_wait_dscnt 0x0
	s_barrier_signal -1
	s_barrier_wait -1
	v_cmpx_gt_u32_e32 4, v0
	s_cbranch_execz .LBB116_31
; %bb.28:
	v_dual_mov_b32 v110, 0 :: v_dual_add_nc_u32 v9, -1, v0
	v_add_nc_u32_e32 v11, 0x1b0, v108
	v_mov_b32_e32 v13, v108
	s_mov_b32 s1, 0
	s_delay_alu instid0(VALU_DEP_3)
	v_mov_b32_e32 v111, v110
.LBB116_29:                             ; =>This Inner Loop Header: Depth=1
	scratch_load_b64 v[112:113], v13, off
	ds_load_b64 v[114:115], v11
	s_wait_xcnt 0x0
	v_dual_add_nc_u32 v11, 8, v11 :: v_dual_add_nc_u32 v13, 8, v13
	s_wait_loadcnt_dscnt 0x0
	v_pk_mul_f32 v[116:117], v[114:115], v[112:113] op_sel:[1,1] op_sel_hi:[0,1]
	s_delay_alu instid0(VALU_DEP_1) | instskip(SKIP_2) | instid1(VALU_DEP_3)
	v_pk_fma_f32 v[118:119], v[114:115], v[112:113], v[116:117] op_sel_hi:[1,0,1]
	v_add_nc_u32_e32 v9, 1, v9
	v_pk_fma_f32 v[112:113], v[114:115], v[112:113], v[116:117] neg_lo:[0,0,1] neg_hi:[0,0,1]
	v_mov_b32_e32 v113, v119
	s_delay_alu instid0(VALU_DEP_3) | instskip(NEXT) | instid1(VALU_DEP_2)
	v_cmp_lt_u32_e32 vcc_lo, 2, v9
	v_pk_add_f32 v[110:111], v[110:111], v[112:113]
	s_or_b32 s1, vcc_lo, s1
	s_delay_alu instid0(SALU_CYCLE_1)
	s_and_not1_b32 exec_lo, exec_lo, s1
	s_cbranch_execnz .LBB116_29
; %bb.30:
	s_or_b32 exec_lo, exec_lo, s1
	v_mov_b32_e32 v9, 0
	ds_load_b64 v[112:113], v9 offset:32
	s_wait_dscnt 0x0
	v_pk_mul_f32 v[114:115], v[110:111], v[112:113] op_sel:[1,1] op_sel_hi:[0,1]
	s_delay_alu instid0(VALU_DEP_1) | instskip(SKIP_1) | instid1(VALU_DEP_2)
	v_pk_fma_f32 v[116:117], v[110:111], v[112:113], v[114:115] op_sel_hi:[1,0,1]
	v_pk_fma_f32 v[110:111], v[110:111], v[112:113], v[114:115] neg_lo:[0,0,1] neg_hi:[0,0,1]
	v_mov_b32_e32 v111, v117
	scratch_store_b64 off, v[110:111], off offset:32
.LBB116_31:
	s_wait_xcnt 0x0
	s_or_b32 exec_lo, exec_lo, s0
	s_wait_storecnt 0x0
	s_barrier_signal -1
	s_barrier_wait -1
	scratch_load_b64 v[110:111], off, off offset:40
	s_mov_b32 s0, exec_lo
	s_wait_loadcnt 0x0
	ds_store_b64 v1, v[110:111]
	s_wait_dscnt 0x0
	s_barrier_signal -1
	s_barrier_wait -1
	v_cmpx_gt_u32_e32 5, v0
	s_cbranch_execz .LBB116_35
; %bb.32:
	v_dual_mov_b32 v110, 0 :: v_dual_add_nc_u32 v9, -1, v0
	v_add_nc_u32_e32 v11, 0x1b0, v108
	v_mov_b32_e32 v13, v108
	s_mov_b32 s1, 0
	s_delay_alu instid0(VALU_DEP_3)
	v_mov_b32_e32 v111, v110
.LBB116_33:                             ; =>This Inner Loop Header: Depth=1
	scratch_load_b64 v[112:113], v13, off
	ds_load_b64 v[114:115], v11
	s_wait_xcnt 0x0
	v_dual_add_nc_u32 v11, 8, v11 :: v_dual_add_nc_u32 v13, 8, v13
	s_wait_loadcnt_dscnt 0x0
	v_pk_mul_f32 v[116:117], v[114:115], v[112:113] op_sel:[1,1] op_sel_hi:[0,1]
	s_delay_alu instid0(VALU_DEP_1) | instskip(SKIP_2) | instid1(VALU_DEP_3)
	v_pk_fma_f32 v[118:119], v[114:115], v[112:113], v[116:117] op_sel_hi:[1,0,1]
	v_add_nc_u32_e32 v9, 1, v9
	v_pk_fma_f32 v[112:113], v[114:115], v[112:113], v[116:117] neg_lo:[0,0,1] neg_hi:[0,0,1]
	v_mov_b32_e32 v113, v119
	s_delay_alu instid0(VALU_DEP_3) | instskip(NEXT) | instid1(VALU_DEP_2)
	v_cmp_lt_u32_e32 vcc_lo, 3, v9
	v_pk_add_f32 v[110:111], v[110:111], v[112:113]
	s_or_b32 s1, vcc_lo, s1
	s_delay_alu instid0(SALU_CYCLE_1)
	s_and_not1_b32 exec_lo, exec_lo, s1
	s_cbranch_execnz .LBB116_33
; %bb.34:
	s_or_b32 exec_lo, exec_lo, s1
	v_mov_b32_e32 v9, 0
	ds_load_b64 v[112:113], v9 offset:40
	s_wait_dscnt 0x0
	v_pk_mul_f32 v[114:115], v[110:111], v[112:113] op_sel:[1,1] op_sel_hi:[0,1]
	s_delay_alu instid0(VALU_DEP_1) | instskip(SKIP_1) | instid1(VALU_DEP_2)
	v_pk_fma_f32 v[116:117], v[110:111], v[112:113], v[114:115] op_sel_hi:[1,0,1]
	v_pk_fma_f32 v[110:111], v[110:111], v[112:113], v[114:115] neg_lo:[0,0,1] neg_hi:[0,0,1]
	v_mov_b32_e32 v111, v117
	scratch_store_b64 off, v[110:111], off offset:40
.LBB116_35:
	s_wait_xcnt 0x0
	s_or_b32 exec_lo, exec_lo, s0
	s_wait_storecnt 0x0
	s_barrier_signal -1
	s_barrier_wait -1
	scratch_load_b64 v[110:111], off, off offset:48
	s_mov_b32 s0, exec_lo
	s_wait_loadcnt 0x0
	ds_store_b64 v1, v[110:111]
	s_wait_dscnt 0x0
	s_barrier_signal -1
	s_barrier_wait -1
	v_cmpx_gt_u32_e32 6, v0
	s_cbranch_execz .LBB116_39
; %bb.36:
	v_dual_mov_b32 v110, 0 :: v_dual_add_nc_u32 v9, -1, v0
	v_add_nc_u32_e32 v11, 0x1b0, v108
	v_mov_b32_e32 v13, v108
	s_mov_b32 s1, 0
	s_delay_alu instid0(VALU_DEP_3)
	v_mov_b32_e32 v111, v110
.LBB116_37:                             ; =>This Inner Loop Header: Depth=1
	scratch_load_b64 v[112:113], v13, off
	ds_load_b64 v[114:115], v11
	s_wait_xcnt 0x0
	v_dual_add_nc_u32 v11, 8, v11 :: v_dual_add_nc_u32 v13, 8, v13
	s_wait_loadcnt_dscnt 0x0
	v_pk_mul_f32 v[116:117], v[114:115], v[112:113] op_sel:[1,1] op_sel_hi:[0,1]
	s_delay_alu instid0(VALU_DEP_1) | instskip(SKIP_2) | instid1(VALU_DEP_3)
	v_pk_fma_f32 v[118:119], v[114:115], v[112:113], v[116:117] op_sel_hi:[1,0,1]
	v_add_nc_u32_e32 v9, 1, v9
	v_pk_fma_f32 v[112:113], v[114:115], v[112:113], v[116:117] neg_lo:[0,0,1] neg_hi:[0,0,1]
	v_mov_b32_e32 v113, v119
	s_delay_alu instid0(VALU_DEP_3) | instskip(NEXT) | instid1(VALU_DEP_2)
	v_cmp_lt_u32_e32 vcc_lo, 4, v9
	v_pk_add_f32 v[110:111], v[110:111], v[112:113]
	s_or_b32 s1, vcc_lo, s1
	s_delay_alu instid0(SALU_CYCLE_1)
	s_and_not1_b32 exec_lo, exec_lo, s1
	s_cbranch_execnz .LBB116_37
; %bb.38:
	s_or_b32 exec_lo, exec_lo, s1
	v_mov_b32_e32 v9, 0
	ds_load_b64 v[112:113], v9 offset:48
	s_wait_dscnt 0x0
	v_pk_mul_f32 v[114:115], v[110:111], v[112:113] op_sel:[1,1] op_sel_hi:[0,1]
	s_delay_alu instid0(VALU_DEP_1) | instskip(SKIP_1) | instid1(VALU_DEP_2)
	v_pk_fma_f32 v[116:117], v[110:111], v[112:113], v[114:115] op_sel_hi:[1,0,1]
	v_pk_fma_f32 v[110:111], v[110:111], v[112:113], v[114:115] neg_lo:[0,0,1] neg_hi:[0,0,1]
	v_mov_b32_e32 v111, v117
	scratch_store_b64 off, v[110:111], off offset:48
.LBB116_39:
	s_wait_xcnt 0x0
	s_or_b32 exec_lo, exec_lo, s0
	s_wait_storecnt 0x0
	s_barrier_signal -1
	s_barrier_wait -1
	scratch_load_b64 v[110:111], off, off offset:56
	s_mov_b32 s0, exec_lo
	s_wait_loadcnt 0x0
	ds_store_b64 v1, v[110:111]
	s_wait_dscnt 0x0
	s_barrier_signal -1
	s_barrier_wait -1
	v_cmpx_gt_u32_e32 7, v0
	s_cbranch_execz .LBB116_43
; %bb.40:
	v_dual_mov_b32 v110, 0 :: v_dual_add_nc_u32 v9, -1, v0
	v_add_nc_u32_e32 v11, 0x1b0, v108
	v_mov_b32_e32 v13, v108
	s_mov_b32 s1, 0
	s_delay_alu instid0(VALU_DEP_3)
	v_mov_b32_e32 v111, v110
.LBB116_41:                             ; =>This Inner Loop Header: Depth=1
	scratch_load_b64 v[112:113], v13, off
	ds_load_b64 v[114:115], v11
	s_wait_xcnt 0x0
	v_dual_add_nc_u32 v11, 8, v11 :: v_dual_add_nc_u32 v13, 8, v13
	s_wait_loadcnt_dscnt 0x0
	v_pk_mul_f32 v[116:117], v[114:115], v[112:113] op_sel:[1,1] op_sel_hi:[0,1]
	s_delay_alu instid0(VALU_DEP_1) | instskip(SKIP_2) | instid1(VALU_DEP_3)
	v_pk_fma_f32 v[118:119], v[114:115], v[112:113], v[116:117] op_sel_hi:[1,0,1]
	v_add_nc_u32_e32 v9, 1, v9
	v_pk_fma_f32 v[112:113], v[114:115], v[112:113], v[116:117] neg_lo:[0,0,1] neg_hi:[0,0,1]
	v_mov_b32_e32 v113, v119
	s_delay_alu instid0(VALU_DEP_3) | instskip(NEXT) | instid1(VALU_DEP_2)
	v_cmp_lt_u32_e32 vcc_lo, 5, v9
	v_pk_add_f32 v[110:111], v[110:111], v[112:113]
	s_or_b32 s1, vcc_lo, s1
	s_delay_alu instid0(SALU_CYCLE_1)
	s_and_not1_b32 exec_lo, exec_lo, s1
	s_cbranch_execnz .LBB116_41
; %bb.42:
	s_or_b32 exec_lo, exec_lo, s1
	v_mov_b32_e32 v9, 0
	ds_load_b64 v[112:113], v9 offset:56
	s_wait_dscnt 0x0
	v_pk_mul_f32 v[114:115], v[110:111], v[112:113] op_sel:[1,1] op_sel_hi:[0,1]
	s_delay_alu instid0(VALU_DEP_1) | instskip(SKIP_1) | instid1(VALU_DEP_2)
	v_pk_fma_f32 v[116:117], v[110:111], v[112:113], v[114:115] op_sel_hi:[1,0,1]
	v_pk_fma_f32 v[110:111], v[110:111], v[112:113], v[114:115] neg_lo:[0,0,1] neg_hi:[0,0,1]
	v_mov_b32_e32 v111, v117
	scratch_store_b64 off, v[110:111], off offset:56
.LBB116_43:
	s_wait_xcnt 0x0
	s_or_b32 exec_lo, exec_lo, s0
	s_wait_storecnt 0x0
	s_barrier_signal -1
	s_barrier_wait -1
	scratch_load_b64 v[110:111], off, off offset:64
	s_mov_b32 s0, exec_lo
	s_wait_loadcnt 0x0
	ds_store_b64 v1, v[110:111]
	s_wait_dscnt 0x0
	s_barrier_signal -1
	s_barrier_wait -1
	v_cmpx_gt_u32_e32 8, v0
	s_cbranch_execz .LBB116_47
; %bb.44:
	v_dual_mov_b32 v110, 0 :: v_dual_add_nc_u32 v9, -1, v0
	v_add_nc_u32_e32 v11, 0x1b0, v108
	v_mov_b32_e32 v13, v108
	s_mov_b32 s1, 0
	s_delay_alu instid0(VALU_DEP_3)
	v_mov_b32_e32 v111, v110
.LBB116_45:                             ; =>This Inner Loop Header: Depth=1
	scratch_load_b64 v[112:113], v13, off
	ds_load_b64 v[114:115], v11
	s_wait_xcnt 0x0
	v_dual_add_nc_u32 v11, 8, v11 :: v_dual_add_nc_u32 v13, 8, v13
	s_wait_loadcnt_dscnt 0x0
	v_pk_mul_f32 v[116:117], v[114:115], v[112:113] op_sel:[1,1] op_sel_hi:[0,1]
	s_delay_alu instid0(VALU_DEP_1) | instskip(SKIP_2) | instid1(VALU_DEP_3)
	v_pk_fma_f32 v[118:119], v[114:115], v[112:113], v[116:117] op_sel_hi:[1,0,1]
	v_add_nc_u32_e32 v9, 1, v9
	v_pk_fma_f32 v[112:113], v[114:115], v[112:113], v[116:117] neg_lo:[0,0,1] neg_hi:[0,0,1]
	v_mov_b32_e32 v113, v119
	s_delay_alu instid0(VALU_DEP_3) | instskip(NEXT) | instid1(VALU_DEP_2)
	v_cmp_lt_u32_e32 vcc_lo, 6, v9
	v_pk_add_f32 v[110:111], v[110:111], v[112:113]
	s_or_b32 s1, vcc_lo, s1
	s_delay_alu instid0(SALU_CYCLE_1)
	s_and_not1_b32 exec_lo, exec_lo, s1
	s_cbranch_execnz .LBB116_45
; %bb.46:
	s_or_b32 exec_lo, exec_lo, s1
	v_mov_b32_e32 v9, 0
	ds_load_b64 v[112:113], v9 offset:64
	s_wait_dscnt 0x0
	v_pk_mul_f32 v[114:115], v[110:111], v[112:113] op_sel:[1,1] op_sel_hi:[0,1]
	s_delay_alu instid0(VALU_DEP_1) | instskip(SKIP_1) | instid1(VALU_DEP_2)
	v_pk_fma_f32 v[116:117], v[110:111], v[112:113], v[114:115] op_sel_hi:[1,0,1]
	v_pk_fma_f32 v[110:111], v[110:111], v[112:113], v[114:115] neg_lo:[0,0,1] neg_hi:[0,0,1]
	v_mov_b32_e32 v111, v117
	scratch_store_b64 off, v[110:111], off offset:64
.LBB116_47:
	s_wait_xcnt 0x0
	s_or_b32 exec_lo, exec_lo, s0
	s_wait_storecnt 0x0
	s_barrier_signal -1
	s_barrier_wait -1
	scratch_load_b64 v[110:111], off, off offset:72
	s_mov_b32 s0, exec_lo
	s_wait_loadcnt 0x0
	ds_store_b64 v1, v[110:111]
	s_wait_dscnt 0x0
	s_barrier_signal -1
	s_barrier_wait -1
	v_cmpx_gt_u32_e32 9, v0
	s_cbranch_execz .LBB116_51
; %bb.48:
	v_dual_mov_b32 v110, 0 :: v_dual_add_nc_u32 v9, -1, v0
	v_add_nc_u32_e32 v11, 0x1b0, v108
	v_mov_b32_e32 v13, v108
	s_mov_b32 s1, 0
	s_delay_alu instid0(VALU_DEP_3)
	v_mov_b32_e32 v111, v110
.LBB116_49:                             ; =>This Inner Loop Header: Depth=1
	scratch_load_b64 v[112:113], v13, off
	ds_load_b64 v[114:115], v11
	s_wait_xcnt 0x0
	v_dual_add_nc_u32 v11, 8, v11 :: v_dual_add_nc_u32 v13, 8, v13
	s_wait_loadcnt_dscnt 0x0
	v_pk_mul_f32 v[116:117], v[114:115], v[112:113] op_sel:[1,1] op_sel_hi:[0,1]
	s_delay_alu instid0(VALU_DEP_1) | instskip(SKIP_2) | instid1(VALU_DEP_3)
	v_pk_fma_f32 v[118:119], v[114:115], v[112:113], v[116:117] op_sel_hi:[1,0,1]
	v_add_nc_u32_e32 v9, 1, v9
	v_pk_fma_f32 v[112:113], v[114:115], v[112:113], v[116:117] neg_lo:[0,0,1] neg_hi:[0,0,1]
	v_mov_b32_e32 v113, v119
	s_delay_alu instid0(VALU_DEP_3) | instskip(NEXT) | instid1(VALU_DEP_2)
	v_cmp_lt_u32_e32 vcc_lo, 7, v9
	v_pk_add_f32 v[110:111], v[110:111], v[112:113]
	s_or_b32 s1, vcc_lo, s1
	s_delay_alu instid0(SALU_CYCLE_1)
	s_and_not1_b32 exec_lo, exec_lo, s1
	s_cbranch_execnz .LBB116_49
; %bb.50:
	s_or_b32 exec_lo, exec_lo, s1
	v_mov_b32_e32 v9, 0
	ds_load_b64 v[112:113], v9 offset:72
	s_wait_dscnt 0x0
	v_pk_mul_f32 v[114:115], v[110:111], v[112:113] op_sel:[1,1] op_sel_hi:[0,1]
	s_delay_alu instid0(VALU_DEP_1) | instskip(SKIP_1) | instid1(VALU_DEP_2)
	v_pk_fma_f32 v[116:117], v[110:111], v[112:113], v[114:115] op_sel_hi:[1,0,1]
	v_pk_fma_f32 v[110:111], v[110:111], v[112:113], v[114:115] neg_lo:[0,0,1] neg_hi:[0,0,1]
	v_mov_b32_e32 v111, v117
	scratch_store_b64 off, v[110:111], off offset:72
.LBB116_51:
	s_wait_xcnt 0x0
	s_or_b32 exec_lo, exec_lo, s0
	s_wait_storecnt 0x0
	s_barrier_signal -1
	s_barrier_wait -1
	scratch_load_b64 v[110:111], off, off offset:80
	s_mov_b32 s0, exec_lo
	s_wait_loadcnt 0x0
	ds_store_b64 v1, v[110:111]
	s_wait_dscnt 0x0
	s_barrier_signal -1
	s_barrier_wait -1
	v_cmpx_gt_u32_e32 10, v0
	s_cbranch_execz .LBB116_55
; %bb.52:
	v_dual_mov_b32 v110, 0 :: v_dual_add_nc_u32 v9, -1, v0
	v_add_nc_u32_e32 v11, 0x1b0, v108
	v_mov_b32_e32 v13, v108
	s_mov_b32 s1, 0
	s_delay_alu instid0(VALU_DEP_3)
	v_mov_b32_e32 v111, v110
.LBB116_53:                             ; =>This Inner Loop Header: Depth=1
	scratch_load_b64 v[112:113], v13, off
	ds_load_b64 v[114:115], v11
	s_wait_xcnt 0x0
	v_dual_add_nc_u32 v11, 8, v11 :: v_dual_add_nc_u32 v13, 8, v13
	s_wait_loadcnt_dscnt 0x0
	v_pk_mul_f32 v[116:117], v[114:115], v[112:113] op_sel:[1,1] op_sel_hi:[0,1]
	s_delay_alu instid0(VALU_DEP_1) | instskip(SKIP_2) | instid1(VALU_DEP_3)
	v_pk_fma_f32 v[118:119], v[114:115], v[112:113], v[116:117] op_sel_hi:[1,0,1]
	v_add_nc_u32_e32 v9, 1, v9
	v_pk_fma_f32 v[112:113], v[114:115], v[112:113], v[116:117] neg_lo:[0,0,1] neg_hi:[0,0,1]
	v_mov_b32_e32 v113, v119
	s_delay_alu instid0(VALU_DEP_3) | instskip(NEXT) | instid1(VALU_DEP_2)
	v_cmp_lt_u32_e32 vcc_lo, 8, v9
	v_pk_add_f32 v[110:111], v[110:111], v[112:113]
	s_or_b32 s1, vcc_lo, s1
	s_delay_alu instid0(SALU_CYCLE_1)
	s_and_not1_b32 exec_lo, exec_lo, s1
	s_cbranch_execnz .LBB116_53
; %bb.54:
	s_or_b32 exec_lo, exec_lo, s1
	v_mov_b32_e32 v9, 0
	ds_load_b64 v[112:113], v9 offset:80
	s_wait_dscnt 0x0
	v_pk_mul_f32 v[114:115], v[110:111], v[112:113] op_sel:[1,1] op_sel_hi:[0,1]
	s_delay_alu instid0(VALU_DEP_1) | instskip(SKIP_1) | instid1(VALU_DEP_2)
	v_pk_fma_f32 v[116:117], v[110:111], v[112:113], v[114:115] op_sel_hi:[1,0,1]
	v_pk_fma_f32 v[110:111], v[110:111], v[112:113], v[114:115] neg_lo:[0,0,1] neg_hi:[0,0,1]
	v_mov_b32_e32 v111, v117
	scratch_store_b64 off, v[110:111], off offset:80
.LBB116_55:
	s_wait_xcnt 0x0
	s_or_b32 exec_lo, exec_lo, s0
	s_wait_storecnt 0x0
	s_barrier_signal -1
	s_barrier_wait -1
	scratch_load_b64 v[110:111], off, off offset:88
	s_mov_b32 s0, exec_lo
	s_wait_loadcnt 0x0
	ds_store_b64 v1, v[110:111]
	s_wait_dscnt 0x0
	s_barrier_signal -1
	s_barrier_wait -1
	v_cmpx_gt_u32_e32 11, v0
	s_cbranch_execz .LBB116_59
; %bb.56:
	v_dual_mov_b32 v110, 0 :: v_dual_add_nc_u32 v9, -1, v0
	v_add_nc_u32_e32 v11, 0x1b0, v108
	v_mov_b32_e32 v13, v108
	s_mov_b32 s1, 0
	s_delay_alu instid0(VALU_DEP_3)
	v_mov_b32_e32 v111, v110
.LBB116_57:                             ; =>This Inner Loop Header: Depth=1
	scratch_load_b64 v[112:113], v13, off
	ds_load_b64 v[114:115], v11
	s_wait_xcnt 0x0
	v_dual_add_nc_u32 v11, 8, v11 :: v_dual_add_nc_u32 v13, 8, v13
	s_wait_loadcnt_dscnt 0x0
	v_pk_mul_f32 v[116:117], v[114:115], v[112:113] op_sel:[1,1] op_sel_hi:[0,1]
	s_delay_alu instid0(VALU_DEP_1) | instskip(SKIP_2) | instid1(VALU_DEP_3)
	v_pk_fma_f32 v[118:119], v[114:115], v[112:113], v[116:117] op_sel_hi:[1,0,1]
	v_add_nc_u32_e32 v9, 1, v9
	v_pk_fma_f32 v[112:113], v[114:115], v[112:113], v[116:117] neg_lo:[0,0,1] neg_hi:[0,0,1]
	v_mov_b32_e32 v113, v119
	s_delay_alu instid0(VALU_DEP_3) | instskip(NEXT) | instid1(VALU_DEP_2)
	v_cmp_lt_u32_e32 vcc_lo, 9, v9
	v_pk_add_f32 v[110:111], v[110:111], v[112:113]
	s_or_b32 s1, vcc_lo, s1
	s_delay_alu instid0(SALU_CYCLE_1)
	s_and_not1_b32 exec_lo, exec_lo, s1
	s_cbranch_execnz .LBB116_57
; %bb.58:
	s_or_b32 exec_lo, exec_lo, s1
	v_mov_b32_e32 v9, 0
	ds_load_b64 v[112:113], v9 offset:88
	s_wait_dscnt 0x0
	v_pk_mul_f32 v[114:115], v[110:111], v[112:113] op_sel:[1,1] op_sel_hi:[0,1]
	s_delay_alu instid0(VALU_DEP_1) | instskip(SKIP_1) | instid1(VALU_DEP_2)
	v_pk_fma_f32 v[116:117], v[110:111], v[112:113], v[114:115] op_sel_hi:[1,0,1]
	v_pk_fma_f32 v[110:111], v[110:111], v[112:113], v[114:115] neg_lo:[0,0,1] neg_hi:[0,0,1]
	v_mov_b32_e32 v111, v117
	scratch_store_b64 off, v[110:111], off offset:88
.LBB116_59:
	s_wait_xcnt 0x0
	s_or_b32 exec_lo, exec_lo, s0
	s_wait_storecnt 0x0
	s_barrier_signal -1
	s_barrier_wait -1
	scratch_load_b64 v[110:111], off, off offset:96
	s_mov_b32 s0, exec_lo
	s_wait_loadcnt 0x0
	ds_store_b64 v1, v[110:111]
	s_wait_dscnt 0x0
	s_barrier_signal -1
	s_barrier_wait -1
	v_cmpx_gt_u32_e32 12, v0
	s_cbranch_execz .LBB116_63
; %bb.60:
	v_dual_mov_b32 v110, 0 :: v_dual_add_nc_u32 v9, -1, v0
	v_add_nc_u32_e32 v11, 0x1b0, v108
	v_mov_b32_e32 v13, v108
	s_mov_b32 s1, 0
	s_delay_alu instid0(VALU_DEP_3)
	v_mov_b32_e32 v111, v110
.LBB116_61:                             ; =>This Inner Loop Header: Depth=1
	scratch_load_b64 v[112:113], v13, off
	ds_load_b64 v[114:115], v11
	s_wait_xcnt 0x0
	v_dual_add_nc_u32 v11, 8, v11 :: v_dual_add_nc_u32 v13, 8, v13
	s_wait_loadcnt_dscnt 0x0
	v_pk_mul_f32 v[116:117], v[114:115], v[112:113] op_sel:[1,1] op_sel_hi:[0,1]
	s_delay_alu instid0(VALU_DEP_1) | instskip(SKIP_2) | instid1(VALU_DEP_3)
	v_pk_fma_f32 v[118:119], v[114:115], v[112:113], v[116:117] op_sel_hi:[1,0,1]
	v_add_nc_u32_e32 v9, 1, v9
	v_pk_fma_f32 v[112:113], v[114:115], v[112:113], v[116:117] neg_lo:[0,0,1] neg_hi:[0,0,1]
	v_mov_b32_e32 v113, v119
	s_delay_alu instid0(VALU_DEP_3) | instskip(NEXT) | instid1(VALU_DEP_2)
	v_cmp_lt_u32_e32 vcc_lo, 10, v9
	v_pk_add_f32 v[110:111], v[110:111], v[112:113]
	s_or_b32 s1, vcc_lo, s1
	s_delay_alu instid0(SALU_CYCLE_1)
	s_and_not1_b32 exec_lo, exec_lo, s1
	s_cbranch_execnz .LBB116_61
; %bb.62:
	s_or_b32 exec_lo, exec_lo, s1
	v_mov_b32_e32 v9, 0
	ds_load_b64 v[112:113], v9 offset:96
	s_wait_dscnt 0x0
	v_pk_mul_f32 v[114:115], v[110:111], v[112:113] op_sel:[1,1] op_sel_hi:[0,1]
	s_delay_alu instid0(VALU_DEP_1) | instskip(SKIP_1) | instid1(VALU_DEP_2)
	v_pk_fma_f32 v[116:117], v[110:111], v[112:113], v[114:115] op_sel_hi:[1,0,1]
	v_pk_fma_f32 v[110:111], v[110:111], v[112:113], v[114:115] neg_lo:[0,0,1] neg_hi:[0,0,1]
	v_mov_b32_e32 v111, v117
	scratch_store_b64 off, v[110:111], off offset:96
.LBB116_63:
	s_wait_xcnt 0x0
	s_or_b32 exec_lo, exec_lo, s0
	s_wait_storecnt 0x0
	s_barrier_signal -1
	s_barrier_wait -1
	scratch_load_b64 v[110:111], off, off offset:104
	s_mov_b32 s0, exec_lo
	s_wait_loadcnt 0x0
	ds_store_b64 v1, v[110:111]
	s_wait_dscnt 0x0
	s_barrier_signal -1
	s_barrier_wait -1
	v_cmpx_gt_u32_e32 13, v0
	s_cbranch_execz .LBB116_67
; %bb.64:
	v_dual_mov_b32 v110, 0 :: v_dual_add_nc_u32 v9, -1, v0
	v_add_nc_u32_e32 v11, 0x1b0, v108
	v_mov_b32_e32 v13, v108
	s_mov_b32 s1, 0
	s_delay_alu instid0(VALU_DEP_3)
	v_mov_b32_e32 v111, v110
.LBB116_65:                             ; =>This Inner Loop Header: Depth=1
	scratch_load_b64 v[112:113], v13, off
	ds_load_b64 v[114:115], v11
	s_wait_xcnt 0x0
	v_dual_add_nc_u32 v11, 8, v11 :: v_dual_add_nc_u32 v13, 8, v13
	s_wait_loadcnt_dscnt 0x0
	v_pk_mul_f32 v[116:117], v[114:115], v[112:113] op_sel:[1,1] op_sel_hi:[0,1]
	s_delay_alu instid0(VALU_DEP_1) | instskip(SKIP_2) | instid1(VALU_DEP_3)
	v_pk_fma_f32 v[118:119], v[114:115], v[112:113], v[116:117] op_sel_hi:[1,0,1]
	v_add_nc_u32_e32 v9, 1, v9
	v_pk_fma_f32 v[112:113], v[114:115], v[112:113], v[116:117] neg_lo:[0,0,1] neg_hi:[0,0,1]
	v_mov_b32_e32 v113, v119
	s_delay_alu instid0(VALU_DEP_3) | instskip(NEXT) | instid1(VALU_DEP_2)
	v_cmp_lt_u32_e32 vcc_lo, 11, v9
	v_pk_add_f32 v[110:111], v[110:111], v[112:113]
	s_or_b32 s1, vcc_lo, s1
	s_delay_alu instid0(SALU_CYCLE_1)
	s_and_not1_b32 exec_lo, exec_lo, s1
	s_cbranch_execnz .LBB116_65
; %bb.66:
	s_or_b32 exec_lo, exec_lo, s1
	v_mov_b32_e32 v9, 0
	ds_load_b64 v[112:113], v9 offset:104
	s_wait_dscnt 0x0
	v_pk_mul_f32 v[114:115], v[110:111], v[112:113] op_sel:[1,1] op_sel_hi:[0,1]
	s_delay_alu instid0(VALU_DEP_1) | instskip(SKIP_1) | instid1(VALU_DEP_2)
	v_pk_fma_f32 v[116:117], v[110:111], v[112:113], v[114:115] op_sel_hi:[1,0,1]
	v_pk_fma_f32 v[110:111], v[110:111], v[112:113], v[114:115] neg_lo:[0,0,1] neg_hi:[0,0,1]
	v_mov_b32_e32 v111, v117
	scratch_store_b64 off, v[110:111], off offset:104
.LBB116_67:
	s_wait_xcnt 0x0
	s_or_b32 exec_lo, exec_lo, s0
	s_wait_storecnt 0x0
	s_barrier_signal -1
	s_barrier_wait -1
	scratch_load_b64 v[110:111], off, off offset:112
	s_mov_b32 s0, exec_lo
	s_wait_loadcnt 0x0
	ds_store_b64 v1, v[110:111]
	s_wait_dscnt 0x0
	s_barrier_signal -1
	s_barrier_wait -1
	v_cmpx_gt_u32_e32 14, v0
	s_cbranch_execz .LBB116_71
; %bb.68:
	v_dual_mov_b32 v110, 0 :: v_dual_add_nc_u32 v9, -1, v0
	v_add_nc_u32_e32 v11, 0x1b0, v108
	v_mov_b32_e32 v13, v108
	s_mov_b32 s1, 0
	s_delay_alu instid0(VALU_DEP_3)
	v_mov_b32_e32 v111, v110
.LBB116_69:                             ; =>This Inner Loop Header: Depth=1
	scratch_load_b64 v[112:113], v13, off
	ds_load_b64 v[114:115], v11
	s_wait_xcnt 0x0
	v_dual_add_nc_u32 v11, 8, v11 :: v_dual_add_nc_u32 v13, 8, v13
	s_wait_loadcnt_dscnt 0x0
	v_pk_mul_f32 v[116:117], v[114:115], v[112:113] op_sel:[1,1] op_sel_hi:[0,1]
	s_delay_alu instid0(VALU_DEP_1) | instskip(SKIP_2) | instid1(VALU_DEP_3)
	v_pk_fma_f32 v[118:119], v[114:115], v[112:113], v[116:117] op_sel_hi:[1,0,1]
	v_add_nc_u32_e32 v9, 1, v9
	v_pk_fma_f32 v[112:113], v[114:115], v[112:113], v[116:117] neg_lo:[0,0,1] neg_hi:[0,0,1]
	v_mov_b32_e32 v113, v119
	s_delay_alu instid0(VALU_DEP_3) | instskip(NEXT) | instid1(VALU_DEP_2)
	v_cmp_lt_u32_e32 vcc_lo, 12, v9
	v_pk_add_f32 v[110:111], v[110:111], v[112:113]
	s_or_b32 s1, vcc_lo, s1
	s_delay_alu instid0(SALU_CYCLE_1)
	s_and_not1_b32 exec_lo, exec_lo, s1
	s_cbranch_execnz .LBB116_69
; %bb.70:
	s_or_b32 exec_lo, exec_lo, s1
	v_mov_b32_e32 v9, 0
	ds_load_b64 v[112:113], v9 offset:112
	s_wait_dscnt 0x0
	v_pk_mul_f32 v[114:115], v[110:111], v[112:113] op_sel:[1,1] op_sel_hi:[0,1]
	s_delay_alu instid0(VALU_DEP_1) | instskip(SKIP_1) | instid1(VALU_DEP_2)
	v_pk_fma_f32 v[116:117], v[110:111], v[112:113], v[114:115] op_sel_hi:[1,0,1]
	v_pk_fma_f32 v[110:111], v[110:111], v[112:113], v[114:115] neg_lo:[0,0,1] neg_hi:[0,0,1]
	v_mov_b32_e32 v111, v117
	scratch_store_b64 off, v[110:111], off offset:112
.LBB116_71:
	s_wait_xcnt 0x0
	s_or_b32 exec_lo, exec_lo, s0
	s_wait_storecnt 0x0
	s_barrier_signal -1
	s_barrier_wait -1
	scratch_load_b64 v[110:111], off, off offset:120
	s_mov_b32 s0, exec_lo
	s_wait_loadcnt 0x0
	ds_store_b64 v1, v[110:111]
	s_wait_dscnt 0x0
	s_barrier_signal -1
	s_barrier_wait -1
	v_cmpx_gt_u32_e32 15, v0
	s_cbranch_execz .LBB116_75
; %bb.72:
	v_dual_mov_b32 v110, 0 :: v_dual_add_nc_u32 v9, -1, v0
	v_add_nc_u32_e32 v11, 0x1b0, v108
	v_mov_b32_e32 v13, v108
	s_mov_b32 s1, 0
	s_delay_alu instid0(VALU_DEP_3)
	v_mov_b32_e32 v111, v110
.LBB116_73:                             ; =>This Inner Loop Header: Depth=1
	scratch_load_b64 v[112:113], v13, off
	ds_load_b64 v[114:115], v11
	s_wait_xcnt 0x0
	v_dual_add_nc_u32 v11, 8, v11 :: v_dual_add_nc_u32 v13, 8, v13
	s_wait_loadcnt_dscnt 0x0
	v_pk_mul_f32 v[116:117], v[114:115], v[112:113] op_sel:[1,1] op_sel_hi:[0,1]
	s_delay_alu instid0(VALU_DEP_1) | instskip(SKIP_2) | instid1(VALU_DEP_3)
	v_pk_fma_f32 v[118:119], v[114:115], v[112:113], v[116:117] op_sel_hi:[1,0,1]
	v_add_nc_u32_e32 v9, 1, v9
	v_pk_fma_f32 v[112:113], v[114:115], v[112:113], v[116:117] neg_lo:[0,0,1] neg_hi:[0,0,1]
	v_mov_b32_e32 v113, v119
	s_delay_alu instid0(VALU_DEP_3) | instskip(NEXT) | instid1(VALU_DEP_2)
	v_cmp_lt_u32_e32 vcc_lo, 13, v9
	v_pk_add_f32 v[110:111], v[110:111], v[112:113]
	s_or_b32 s1, vcc_lo, s1
	s_delay_alu instid0(SALU_CYCLE_1)
	s_and_not1_b32 exec_lo, exec_lo, s1
	s_cbranch_execnz .LBB116_73
; %bb.74:
	s_or_b32 exec_lo, exec_lo, s1
	v_mov_b32_e32 v9, 0
	ds_load_b64 v[112:113], v9 offset:120
	s_wait_dscnt 0x0
	v_pk_mul_f32 v[114:115], v[110:111], v[112:113] op_sel:[1,1] op_sel_hi:[0,1]
	s_delay_alu instid0(VALU_DEP_1) | instskip(SKIP_1) | instid1(VALU_DEP_2)
	v_pk_fma_f32 v[116:117], v[110:111], v[112:113], v[114:115] op_sel_hi:[1,0,1]
	v_pk_fma_f32 v[110:111], v[110:111], v[112:113], v[114:115] neg_lo:[0,0,1] neg_hi:[0,0,1]
	v_mov_b32_e32 v111, v117
	scratch_store_b64 off, v[110:111], off offset:120
.LBB116_75:
	s_wait_xcnt 0x0
	s_or_b32 exec_lo, exec_lo, s0
	s_wait_storecnt 0x0
	s_barrier_signal -1
	s_barrier_wait -1
	scratch_load_b64 v[110:111], off, off offset:128
	s_mov_b32 s0, exec_lo
	s_wait_loadcnt 0x0
	ds_store_b64 v1, v[110:111]
	s_wait_dscnt 0x0
	s_barrier_signal -1
	s_barrier_wait -1
	v_cmpx_gt_u32_e32 16, v0
	s_cbranch_execz .LBB116_79
; %bb.76:
	v_dual_mov_b32 v110, 0 :: v_dual_add_nc_u32 v9, -1, v0
	v_add_nc_u32_e32 v11, 0x1b0, v108
	v_mov_b32_e32 v13, v108
	s_mov_b32 s1, 0
	s_delay_alu instid0(VALU_DEP_3)
	v_mov_b32_e32 v111, v110
.LBB116_77:                             ; =>This Inner Loop Header: Depth=1
	scratch_load_b64 v[112:113], v13, off
	ds_load_b64 v[114:115], v11
	s_wait_xcnt 0x0
	v_dual_add_nc_u32 v11, 8, v11 :: v_dual_add_nc_u32 v13, 8, v13
	s_wait_loadcnt_dscnt 0x0
	v_pk_mul_f32 v[116:117], v[114:115], v[112:113] op_sel:[1,1] op_sel_hi:[0,1]
	s_delay_alu instid0(VALU_DEP_1) | instskip(SKIP_2) | instid1(VALU_DEP_3)
	v_pk_fma_f32 v[118:119], v[114:115], v[112:113], v[116:117] op_sel_hi:[1,0,1]
	v_add_nc_u32_e32 v9, 1, v9
	v_pk_fma_f32 v[112:113], v[114:115], v[112:113], v[116:117] neg_lo:[0,0,1] neg_hi:[0,0,1]
	v_mov_b32_e32 v113, v119
	s_delay_alu instid0(VALU_DEP_3) | instskip(NEXT) | instid1(VALU_DEP_2)
	v_cmp_lt_u32_e32 vcc_lo, 14, v9
	v_pk_add_f32 v[110:111], v[110:111], v[112:113]
	s_or_b32 s1, vcc_lo, s1
	s_delay_alu instid0(SALU_CYCLE_1)
	s_and_not1_b32 exec_lo, exec_lo, s1
	s_cbranch_execnz .LBB116_77
; %bb.78:
	s_or_b32 exec_lo, exec_lo, s1
	v_mov_b32_e32 v9, 0
	ds_load_b64 v[112:113], v9 offset:128
	s_wait_dscnt 0x0
	v_pk_mul_f32 v[114:115], v[110:111], v[112:113] op_sel:[1,1] op_sel_hi:[0,1]
	s_delay_alu instid0(VALU_DEP_1) | instskip(SKIP_1) | instid1(VALU_DEP_2)
	v_pk_fma_f32 v[116:117], v[110:111], v[112:113], v[114:115] op_sel_hi:[1,0,1]
	v_pk_fma_f32 v[110:111], v[110:111], v[112:113], v[114:115] neg_lo:[0,0,1] neg_hi:[0,0,1]
	v_mov_b32_e32 v111, v117
	scratch_store_b64 off, v[110:111], off offset:128
.LBB116_79:
	s_wait_xcnt 0x0
	s_or_b32 exec_lo, exec_lo, s0
	s_wait_storecnt 0x0
	s_barrier_signal -1
	s_barrier_wait -1
	scratch_load_b64 v[110:111], off, off offset:136
	s_mov_b32 s0, exec_lo
	s_wait_loadcnt 0x0
	ds_store_b64 v1, v[110:111]
	s_wait_dscnt 0x0
	s_barrier_signal -1
	s_barrier_wait -1
	v_cmpx_gt_u32_e32 17, v0
	s_cbranch_execz .LBB116_83
; %bb.80:
	v_dual_mov_b32 v110, 0 :: v_dual_add_nc_u32 v9, -1, v0
	v_add_nc_u32_e32 v11, 0x1b0, v108
	v_mov_b32_e32 v13, v108
	s_mov_b32 s1, 0
	s_delay_alu instid0(VALU_DEP_3)
	v_mov_b32_e32 v111, v110
.LBB116_81:                             ; =>This Inner Loop Header: Depth=1
	scratch_load_b64 v[112:113], v13, off
	ds_load_b64 v[114:115], v11
	s_wait_xcnt 0x0
	v_dual_add_nc_u32 v11, 8, v11 :: v_dual_add_nc_u32 v13, 8, v13
	s_wait_loadcnt_dscnt 0x0
	v_pk_mul_f32 v[116:117], v[114:115], v[112:113] op_sel:[1,1] op_sel_hi:[0,1]
	s_delay_alu instid0(VALU_DEP_1) | instskip(SKIP_2) | instid1(VALU_DEP_3)
	v_pk_fma_f32 v[118:119], v[114:115], v[112:113], v[116:117] op_sel_hi:[1,0,1]
	v_add_nc_u32_e32 v9, 1, v9
	v_pk_fma_f32 v[112:113], v[114:115], v[112:113], v[116:117] neg_lo:[0,0,1] neg_hi:[0,0,1]
	v_mov_b32_e32 v113, v119
	s_delay_alu instid0(VALU_DEP_3) | instskip(NEXT) | instid1(VALU_DEP_2)
	v_cmp_lt_u32_e32 vcc_lo, 15, v9
	v_pk_add_f32 v[110:111], v[110:111], v[112:113]
	s_or_b32 s1, vcc_lo, s1
	s_delay_alu instid0(SALU_CYCLE_1)
	s_and_not1_b32 exec_lo, exec_lo, s1
	s_cbranch_execnz .LBB116_81
; %bb.82:
	s_or_b32 exec_lo, exec_lo, s1
	v_mov_b32_e32 v9, 0
	ds_load_b64 v[112:113], v9 offset:136
	s_wait_dscnt 0x0
	v_pk_mul_f32 v[114:115], v[110:111], v[112:113] op_sel:[1,1] op_sel_hi:[0,1]
	s_delay_alu instid0(VALU_DEP_1) | instskip(SKIP_1) | instid1(VALU_DEP_2)
	v_pk_fma_f32 v[116:117], v[110:111], v[112:113], v[114:115] op_sel_hi:[1,0,1]
	v_pk_fma_f32 v[110:111], v[110:111], v[112:113], v[114:115] neg_lo:[0,0,1] neg_hi:[0,0,1]
	v_mov_b32_e32 v111, v117
	scratch_store_b64 off, v[110:111], off offset:136
.LBB116_83:
	s_wait_xcnt 0x0
	s_or_b32 exec_lo, exec_lo, s0
	s_wait_storecnt 0x0
	s_barrier_signal -1
	s_barrier_wait -1
	scratch_load_b64 v[110:111], off, off offset:144
	s_mov_b32 s0, exec_lo
	s_wait_loadcnt 0x0
	ds_store_b64 v1, v[110:111]
	s_wait_dscnt 0x0
	s_barrier_signal -1
	s_barrier_wait -1
	v_cmpx_gt_u32_e32 18, v0
	s_cbranch_execz .LBB116_87
; %bb.84:
	v_dual_mov_b32 v110, 0 :: v_dual_add_nc_u32 v9, -1, v0
	v_add_nc_u32_e32 v11, 0x1b0, v108
	v_mov_b32_e32 v13, v108
	s_mov_b32 s1, 0
	s_delay_alu instid0(VALU_DEP_3)
	v_mov_b32_e32 v111, v110
.LBB116_85:                             ; =>This Inner Loop Header: Depth=1
	scratch_load_b64 v[112:113], v13, off
	ds_load_b64 v[114:115], v11
	s_wait_xcnt 0x0
	v_dual_add_nc_u32 v11, 8, v11 :: v_dual_add_nc_u32 v13, 8, v13
	s_wait_loadcnt_dscnt 0x0
	v_pk_mul_f32 v[116:117], v[114:115], v[112:113] op_sel:[1,1] op_sel_hi:[0,1]
	s_delay_alu instid0(VALU_DEP_1) | instskip(SKIP_2) | instid1(VALU_DEP_3)
	v_pk_fma_f32 v[118:119], v[114:115], v[112:113], v[116:117] op_sel_hi:[1,0,1]
	v_add_nc_u32_e32 v9, 1, v9
	v_pk_fma_f32 v[112:113], v[114:115], v[112:113], v[116:117] neg_lo:[0,0,1] neg_hi:[0,0,1]
	v_mov_b32_e32 v113, v119
	s_delay_alu instid0(VALU_DEP_3) | instskip(NEXT) | instid1(VALU_DEP_2)
	v_cmp_lt_u32_e32 vcc_lo, 16, v9
	v_pk_add_f32 v[110:111], v[110:111], v[112:113]
	s_or_b32 s1, vcc_lo, s1
	s_delay_alu instid0(SALU_CYCLE_1)
	s_and_not1_b32 exec_lo, exec_lo, s1
	s_cbranch_execnz .LBB116_85
; %bb.86:
	s_or_b32 exec_lo, exec_lo, s1
	v_mov_b32_e32 v9, 0
	ds_load_b64 v[112:113], v9 offset:144
	s_wait_dscnt 0x0
	v_pk_mul_f32 v[114:115], v[110:111], v[112:113] op_sel:[1,1] op_sel_hi:[0,1]
	s_delay_alu instid0(VALU_DEP_1) | instskip(SKIP_1) | instid1(VALU_DEP_2)
	v_pk_fma_f32 v[116:117], v[110:111], v[112:113], v[114:115] op_sel_hi:[1,0,1]
	v_pk_fma_f32 v[110:111], v[110:111], v[112:113], v[114:115] neg_lo:[0,0,1] neg_hi:[0,0,1]
	v_mov_b32_e32 v111, v117
	scratch_store_b64 off, v[110:111], off offset:144
.LBB116_87:
	s_wait_xcnt 0x0
	s_or_b32 exec_lo, exec_lo, s0
	s_wait_storecnt 0x0
	s_barrier_signal -1
	s_barrier_wait -1
	scratch_load_b64 v[110:111], off, off offset:152
	s_mov_b32 s0, exec_lo
	s_wait_loadcnt 0x0
	ds_store_b64 v1, v[110:111]
	s_wait_dscnt 0x0
	s_barrier_signal -1
	s_barrier_wait -1
	v_cmpx_gt_u32_e32 19, v0
	s_cbranch_execz .LBB116_91
; %bb.88:
	v_dual_mov_b32 v110, 0 :: v_dual_add_nc_u32 v9, -1, v0
	v_add_nc_u32_e32 v11, 0x1b0, v108
	v_mov_b32_e32 v13, v108
	s_mov_b32 s1, 0
	s_delay_alu instid0(VALU_DEP_3)
	v_mov_b32_e32 v111, v110
.LBB116_89:                             ; =>This Inner Loop Header: Depth=1
	scratch_load_b64 v[112:113], v13, off
	ds_load_b64 v[114:115], v11
	s_wait_xcnt 0x0
	v_dual_add_nc_u32 v11, 8, v11 :: v_dual_add_nc_u32 v13, 8, v13
	s_wait_loadcnt_dscnt 0x0
	v_pk_mul_f32 v[116:117], v[114:115], v[112:113] op_sel:[1,1] op_sel_hi:[0,1]
	s_delay_alu instid0(VALU_DEP_1) | instskip(SKIP_2) | instid1(VALU_DEP_3)
	v_pk_fma_f32 v[118:119], v[114:115], v[112:113], v[116:117] op_sel_hi:[1,0,1]
	v_add_nc_u32_e32 v9, 1, v9
	v_pk_fma_f32 v[112:113], v[114:115], v[112:113], v[116:117] neg_lo:[0,0,1] neg_hi:[0,0,1]
	v_mov_b32_e32 v113, v119
	s_delay_alu instid0(VALU_DEP_3) | instskip(NEXT) | instid1(VALU_DEP_2)
	v_cmp_lt_u32_e32 vcc_lo, 17, v9
	v_pk_add_f32 v[110:111], v[110:111], v[112:113]
	s_or_b32 s1, vcc_lo, s1
	s_delay_alu instid0(SALU_CYCLE_1)
	s_and_not1_b32 exec_lo, exec_lo, s1
	s_cbranch_execnz .LBB116_89
; %bb.90:
	s_or_b32 exec_lo, exec_lo, s1
	v_mov_b32_e32 v9, 0
	ds_load_b64 v[112:113], v9 offset:152
	s_wait_dscnt 0x0
	v_pk_mul_f32 v[114:115], v[110:111], v[112:113] op_sel:[1,1] op_sel_hi:[0,1]
	s_delay_alu instid0(VALU_DEP_1) | instskip(SKIP_1) | instid1(VALU_DEP_2)
	v_pk_fma_f32 v[116:117], v[110:111], v[112:113], v[114:115] op_sel_hi:[1,0,1]
	v_pk_fma_f32 v[110:111], v[110:111], v[112:113], v[114:115] neg_lo:[0,0,1] neg_hi:[0,0,1]
	v_mov_b32_e32 v111, v117
	scratch_store_b64 off, v[110:111], off offset:152
.LBB116_91:
	s_wait_xcnt 0x0
	s_or_b32 exec_lo, exec_lo, s0
	s_wait_storecnt 0x0
	s_barrier_signal -1
	s_barrier_wait -1
	scratch_load_b64 v[110:111], off, off offset:160
	s_mov_b32 s0, exec_lo
	s_wait_loadcnt 0x0
	ds_store_b64 v1, v[110:111]
	s_wait_dscnt 0x0
	s_barrier_signal -1
	s_barrier_wait -1
	v_cmpx_gt_u32_e32 20, v0
	s_cbranch_execz .LBB116_95
; %bb.92:
	v_dual_mov_b32 v110, 0 :: v_dual_add_nc_u32 v9, -1, v0
	v_add_nc_u32_e32 v11, 0x1b0, v108
	v_mov_b32_e32 v13, v108
	s_mov_b32 s1, 0
	s_delay_alu instid0(VALU_DEP_3)
	v_mov_b32_e32 v111, v110
.LBB116_93:                             ; =>This Inner Loop Header: Depth=1
	scratch_load_b64 v[112:113], v13, off
	ds_load_b64 v[114:115], v11
	s_wait_xcnt 0x0
	v_dual_add_nc_u32 v11, 8, v11 :: v_dual_add_nc_u32 v13, 8, v13
	s_wait_loadcnt_dscnt 0x0
	v_pk_mul_f32 v[116:117], v[114:115], v[112:113] op_sel:[1,1] op_sel_hi:[0,1]
	s_delay_alu instid0(VALU_DEP_1) | instskip(SKIP_2) | instid1(VALU_DEP_3)
	v_pk_fma_f32 v[118:119], v[114:115], v[112:113], v[116:117] op_sel_hi:[1,0,1]
	v_add_nc_u32_e32 v9, 1, v9
	v_pk_fma_f32 v[112:113], v[114:115], v[112:113], v[116:117] neg_lo:[0,0,1] neg_hi:[0,0,1]
	v_mov_b32_e32 v113, v119
	s_delay_alu instid0(VALU_DEP_3) | instskip(NEXT) | instid1(VALU_DEP_2)
	v_cmp_lt_u32_e32 vcc_lo, 18, v9
	v_pk_add_f32 v[110:111], v[110:111], v[112:113]
	s_or_b32 s1, vcc_lo, s1
	s_delay_alu instid0(SALU_CYCLE_1)
	s_and_not1_b32 exec_lo, exec_lo, s1
	s_cbranch_execnz .LBB116_93
; %bb.94:
	s_or_b32 exec_lo, exec_lo, s1
	v_mov_b32_e32 v9, 0
	ds_load_b64 v[112:113], v9 offset:160
	s_wait_dscnt 0x0
	v_pk_mul_f32 v[114:115], v[110:111], v[112:113] op_sel:[1,1] op_sel_hi:[0,1]
	s_delay_alu instid0(VALU_DEP_1) | instskip(SKIP_1) | instid1(VALU_DEP_2)
	v_pk_fma_f32 v[116:117], v[110:111], v[112:113], v[114:115] op_sel_hi:[1,0,1]
	v_pk_fma_f32 v[110:111], v[110:111], v[112:113], v[114:115] neg_lo:[0,0,1] neg_hi:[0,0,1]
	v_mov_b32_e32 v111, v117
	scratch_store_b64 off, v[110:111], off offset:160
.LBB116_95:
	s_wait_xcnt 0x0
	s_or_b32 exec_lo, exec_lo, s0
	s_wait_storecnt 0x0
	s_barrier_signal -1
	s_barrier_wait -1
	scratch_load_b64 v[110:111], off, off offset:168
	s_mov_b32 s0, exec_lo
	s_wait_loadcnt 0x0
	ds_store_b64 v1, v[110:111]
	s_wait_dscnt 0x0
	s_barrier_signal -1
	s_barrier_wait -1
	v_cmpx_gt_u32_e32 21, v0
	s_cbranch_execz .LBB116_99
; %bb.96:
	v_dual_mov_b32 v110, 0 :: v_dual_add_nc_u32 v9, -1, v0
	v_add_nc_u32_e32 v11, 0x1b0, v108
	v_mov_b32_e32 v13, v108
	s_mov_b32 s1, 0
	s_delay_alu instid0(VALU_DEP_3)
	v_mov_b32_e32 v111, v110
.LBB116_97:                             ; =>This Inner Loop Header: Depth=1
	scratch_load_b64 v[112:113], v13, off
	ds_load_b64 v[114:115], v11
	s_wait_xcnt 0x0
	v_dual_add_nc_u32 v11, 8, v11 :: v_dual_add_nc_u32 v13, 8, v13
	s_wait_loadcnt_dscnt 0x0
	v_pk_mul_f32 v[116:117], v[114:115], v[112:113] op_sel:[1,1] op_sel_hi:[0,1]
	s_delay_alu instid0(VALU_DEP_1) | instskip(SKIP_2) | instid1(VALU_DEP_3)
	v_pk_fma_f32 v[118:119], v[114:115], v[112:113], v[116:117] op_sel_hi:[1,0,1]
	v_add_nc_u32_e32 v9, 1, v9
	v_pk_fma_f32 v[112:113], v[114:115], v[112:113], v[116:117] neg_lo:[0,0,1] neg_hi:[0,0,1]
	v_mov_b32_e32 v113, v119
	s_delay_alu instid0(VALU_DEP_3) | instskip(NEXT) | instid1(VALU_DEP_2)
	v_cmp_lt_u32_e32 vcc_lo, 19, v9
	v_pk_add_f32 v[110:111], v[110:111], v[112:113]
	s_or_b32 s1, vcc_lo, s1
	s_delay_alu instid0(SALU_CYCLE_1)
	s_and_not1_b32 exec_lo, exec_lo, s1
	s_cbranch_execnz .LBB116_97
; %bb.98:
	s_or_b32 exec_lo, exec_lo, s1
	v_mov_b32_e32 v9, 0
	ds_load_b64 v[112:113], v9 offset:168
	s_wait_dscnt 0x0
	v_pk_mul_f32 v[114:115], v[110:111], v[112:113] op_sel:[1,1] op_sel_hi:[0,1]
	s_delay_alu instid0(VALU_DEP_1) | instskip(SKIP_1) | instid1(VALU_DEP_2)
	v_pk_fma_f32 v[116:117], v[110:111], v[112:113], v[114:115] op_sel_hi:[1,0,1]
	v_pk_fma_f32 v[110:111], v[110:111], v[112:113], v[114:115] neg_lo:[0,0,1] neg_hi:[0,0,1]
	v_mov_b32_e32 v111, v117
	scratch_store_b64 off, v[110:111], off offset:168
.LBB116_99:
	s_wait_xcnt 0x0
	s_or_b32 exec_lo, exec_lo, s0
	s_wait_storecnt 0x0
	s_barrier_signal -1
	s_barrier_wait -1
	scratch_load_b64 v[110:111], off, off offset:176
	s_mov_b32 s0, exec_lo
	s_wait_loadcnt 0x0
	ds_store_b64 v1, v[110:111]
	s_wait_dscnt 0x0
	s_barrier_signal -1
	s_barrier_wait -1
	v_cmpx_gt_u32_e32 22, v0
	s_cbranch_execz .LBB116_103
; %bb.100:
	v_dual_mov_b32 v110, 0 :: v_dual_add_nc_u32 v9, -1, v0
	v_add_nc_u32_e32 v11, 0x1b0, v108
	v_mov_b32_e32 v13, v108
	s_mov_b32 s1, 0
	s_delay_alu instid0(VALU_DEP_3)
	v_mov_b32_e32 v111, v110
.LBB116_101:                            ; =>This Inner Loop Header: Depth=1
	scratch_load_b64 v[112:113], v13, off
	ds_load_b64 v[114:115], v11
	s_wait_xcnt 0x0
	v_dual_add_nc_u32 v11, 8, v11 :: v_dual_add_nc_u32 v13, 8, v13
	s_wait_loadcnt_dscnt 0x0
	v_pk_mul_f32 v[116:117], v[114:115], v[112:113] op_sel:[1,1] op_sel_hi:[0,1]
	s_delay_alu instid0(VALU_DEP_1) | instskip(SKIP_2) | instid1(VALU_DEP_3)
	v_pk_fma_f32 v[118:119], v[114:115], v[112:113], v[116:117] op_sel_hi:[1,0,1]
	v_add_nc_u32_e32 v9, 1, v9
	v_pk_fma_f32 v[112:113], v[114:115], v[112:113], v[116:117] neg_lo:[0,0,1] neg_hi:[0,0,1]
	v_mov_b32_e32 v113, v119
	s_delay_alu instid0(VALU_DEP_3) | instskip(NEXT) | instid1(VALU_DEP_2)
	v_cmp_lt_u32_e32 vcc_lo, 20, v9
	v_pk_add_f32 v[110:111], v[110:111], v[112:113]
	s_or_b32 s1, vcc_lo, s1
	s_delay_alu instid0(SALU_CYCLE_1)
	s_and_not1_b32 exec_lo, exec_lo, s1
	s_cbranch_execnz .LBB116_101
; %bb.102:
	s_or_b32 exec_lo, exec_lo, s1
	v_mov_b32_e32 v9, 0
	ds_load_b64 v[112:113], v9 offset:176
	s_wait_dscnt 0x0
	v_pk_mul_f32 v[114:115], v[110:111], v[112:113] op_sel:[1,1] op_sel_hi:[0,1]
	s_delay_alu instid0(VALU_DEP_1) | instskip(SKIP_1) | instid1(VALU_DEP_2)
	v_pk_fma_f32 v[116:117], v[110:111], v[112:113], v[114:115] op_sel_hi:[1,0,1]
	v_pk_fma_f32 v[110:111], v[110:111], v[112:113], v[114:115] neg_lo:[0,0,1] neg_hi:[0,0,1]
	v_mov_b32_e32 v111, v117
	scratch_store_b64 off, v[110:111], off offset:176
.LBB116_103:
	s_wait_xcnt 0x0
	s_or_b32 exec_lo, exec_lo, s0
	s_wait_storecnt 0x0
	s_barrier_signal -1
	s_barrier_wait -1
	scratch_load_b64 v[110:111], off, off offset:184
	s_mov_b32 s0, exec_lo
	s_wait_loadcnt 0x0
	ds_store_b64 v1, v[110:111]
	s_wait_dscnt 0x0
	s_barrier_signal -1
	s_barrier_wait -1
	v_cmpx_gt_u32_e32 23, v0
	s_cbranch_execz .LBB116_107
; %bb.104:
	v_dual_mov_b32 v110, 0 :: v_dual_add_nc_u32 v9, -1, v0
	v_add_nc_u32_e32 v11, 0x1b0, v108
	v_mov_b32_e32 v13, v108
	s_mov_b32 s1, 0
	s_delay_alu instid0(VALU_DEP_3)
	v_mov_b32_e32 v111, v110
.LBB116_105:                            ; =>This Inner Loop Header: Depth=1
	scratch_load_b64 v[112:113], v13, off
	ds_load_b64 v[114:115], v11
	s_wait_xcnt 0x0
	v_dual_add_nc_u32 v11, 8, v11 :: v_dual_add_nc_u32 v13, 8, v13
	s_wait_loadcnt_dscnt 0x0
	v_pk_mul_f32 v[116:117], v[114:115], v[112:113] op_sel:[1,1] op_sel_hi:[0,1]
	s_delay_alu instid0(VALU_DEP_1) | instskip(SKIP_2) | instid1(VALU_DEP_3)
	v_pk_fma_f32 v[118:119], v[114:115], v[112:113], v[116:117] op_sel_hi:[1,0,1]
	v_add_nc_u32_e32 v9, 1, v9
	v_pk_fma_f32 v[112:113], v[114:115], v[112:113], v[116:117] neg_lo:[0,0,1] neg_hi:[0,0,1]
	v_mov_b32_e32 v113, v119
	s_delay_alu instid0(VALU_DEP_3) | instskip(NEXT) | instid1(VALU_DEP_2)
	v_cmp_lt_u32_e32 vcc_lo, 21, v9
	v_pk_add_f32 v[110:111], v[110:111], v[112:113]
	s_or_b32 s1, vcc_lo, s1
	s_delay_alu instid0(SALU_CYCLE_1)
	s_and_not1_b32 exec_lo, exec_lo, s1
	s_cbranch_execnz .LBB116_105
; %bb.106:
	s_or_b32 exec_lo, exec_lo, s1
	v_mov_b32_e32 v9, 0
	ds_load_b64 v[112:113], v9 offset:184
	s_wait_dscnt 0x0
	v_pk_mul_f32 v[114:115], v[110:111], v[112:113] op_sel:[1,1] op_sel_hi:[0,1]
	s_delay_alu instid0(VALU_DEP_1) | instskip(SKIP_1) | instid1(VALU_DEP_2)
	v_pk_fma_f32 v[116:117], v[110:111], v[112:113], v[114:115] op_sel_hi:[1,0,1]
	v_pk_fma_f32 v[110:111], v[110:111], v[112:113], v[114:115] neg_lo:[0,0,1] neg_hi:[0,0,1]
	v_mov_b32_e32 v111, v117
	scratch_store_b64 off, v[110:111], off offset:184
.LBB116_107:
	s_wait_xcnt 0x0
	s_or_b32 exec_lo, exec_lo, s0
	s_wait_storecnt 0x0
	s_barrier_signal -1
	s_barrier_wait -1
	scratch_load_b64 v[110:111], off, off offset:192
	;; [unrolled: 52-line block ×30, first 2 shown]
	s_mov_b32 s0, exec_lo
	s_wait_loadcnt 0x0
	ds_store_b64 v1, v[110:111]
	s_wait_dscnt 0x0
	s_barrier_signal -1
	s_barrier_wait -1
	v_cmpx_ne_u32_e32 52, v0
	s_cbranch_execz .LBB116_223
; %bb.220:
	v_dual_mov_b32 v110, 0 :: v_dual_mov_b32 v9, v108
	s_mov_b32 s1, 0
	s_delay_alu instid0(VALU_DEP_1)
	v_mov_b32_e32 v111, v110
.LBB116_221:                            ; =>This Inner Loop Header: Depth=1
	scratch_load_b64 v[108:109], v9, off
	ds_load_b64 v[112:113], v1
	v_add_nc_u32_e32 v1, 8, v1
	s_wait_xcnt 0x0
	v_add_nc_u32_e32 v9, 8, v9
	s_wait_loadcnt_dscnt 0x0
	v_pk_mul_f32 v[114:115], v[112:113], v[108:109] op_sel:[1,1] op_sel_hi:[0,1]
	s_delay_alu instid0(VALU_DEP_1) | instskip(SKIP_2) | instid1(VALU_DEP_3)
	v_pk_fma_f32 v[116:117], v[112:113], v[108:109], v[114:115] op_sel_hi:[1,0,1]
	v_add_nc_u32_e32 v7, 1, v7
	v_pk_fma_f32 v[108:109], v[112:113], v[108:109], v[114:115] neg_lo:[0,0,1] neg_hi:[0,0,1]
	v_mov_b32_e32 v109, v117
	s_delay_alu instid0(VALU_DEP_3) | instskip(NEXT) | instid1(VALU_DEP_2)
	v_cmp_lt_u32_e32 vcc_lo, 50, v7
	v_pk_add_f32 v[110:111], v[110:111], v[108:109]
	s_or_b32 s1, vcc_lo, s1
	s_delay_alu instid0(SALU_CYCLE_1)
	s_and_not1_b32 exec_lo, exec_lo, s1
	s_cbranch_execnz .LBB116_221
; %bb.222:
	s_or_b32 exec_lo, exec_lo, s1
	v_mov_b32_e32 v1, 0
	ds_load_b64 v[108:109], v1 offset:416
	s_wait_dscnt 0x0
	v_pk_mul_f32 v[112:113], v[110:111], v[108:109] op_sel:[1,1] op_sel_hi:[0,1]
	s_delay_alu instid0(VALU_DEP_1) | instskip(SKIP_1) | instid1(VALU_DEP_2)
	v_pk_fma_f32 v[114:115], v[110:111], v[108:109], v[112:113] op_sel_hi:[1,0,1]
	v_pk_fma_f32 v[108:109], v[110:111], v[108:109], v[112:113] neg_lo:[0,0,1] neg_hi:[0,0,1]
	v_mov_b32_e32 v109, v115
	scratch_store_b64 off, v[108:109], off offset:416
.LBB116_223:
	s_wait_xcnt 0x0
	s_or_b32 exec_lo, exec_lo, s0
	s_mov_b32 s1, -1
	s_wait_storecnt 0x0
	s_barrier_signal -1
	s_barrier_wait -1
.LBB116_224:
	s_and_b32 vcc_lo, exec_lo, s1
	s_cbranch_vccz .LBB116_226
; %bb.225:
	v_mov_b32_e32 v1, 0
	s_lshl_b64 s[0:1], s[10:11], 2
	s_delay_alu instid0(SALU_CYCLE_1)
	s_add_nc_u64 s[0:1], s[6:7], s[0:1]
	global_load_b32 v1, v1, s[0:1]
	s_wait_loadcnt 0x0
	v_cmp_ne_u32_e32 vcc_lo, 0, v1
	s_cbranch_vccz .LBB116_227
.LBB116_226:
	s_sendmsg sendmsg(MSG_DEALLOC_VGPRS)
	s_endpgm
.LBB116_227:
	s_wait_xcnt 0x0
	v_lshl_add_u32 v1, v0, 3, 0x1b0
	s_mov_b32 s0, exec_lo
	v_cmpx_eq_u32_e32 52, v0
	s_cbranch_execz .LBB116_229
; %bb.228:
	scratch_load_b64 v[108:109], off, off offset:408
	v_mov_b64_e32 v[110:111], 0
	scratch_store_b64 off, v[110:111], off offset:408
	s_wait_loadcnt 0x0
	ds_store_b64 v1, v[108:109]
.LBB116_229:
	s_wait_xcnt 0x0
	s_or_b32 exec_lo, exec_lo, s0
	s_wait_storecnt_dscnt 0x0
	s_barrier_signal -1
	s_barrier_wait -1
	s_clause 0x1
	scratch_load_b64 v[108:109], off, off offset:416
	scratch_load_b64 v[110:111], off, off offset:408
	v_mov_b32_e32 v7, 0
	s_mov_b32 s0, exec_lo
	ds_load_b64 v[112:113], v7 offset:848
	s_wait_loadcnt_dscnt 0x100
	v_pk_mul_f32 v[114:115], v[112:113], v[108:109] op_sel:[1,1] op_sel_hi:[0,1]
	s_delay_alu instid0(VALU_DEP_1) | instskip(SKIP_1) | instid1(VALU_DEP_2)
	v_pk_fma_f32 v[116:117], v[112:113], v[108:109], v[114:115] op_sel_hi:[1,0,1]
	v_pk_fma_f32 v[108:109], v[112:113], v[108:109], v[114:115] neg_lo:[0,0,1] neg_hi:[0,0,1]
	v_mov_b32_e32 v109, v117
	s_delay_alu instid0(VALU_DEP_1) | instskip(SKIP_1) | instid1(VALU_DEP_1)
	v_pk_add_f32 v[108:109], v[108:109], 0 op_sel_hi:[1,0]
	s_wait_loadcnt 0x0
	v_pk_add_f32 v[108:109], v[110:111], v[108:109] neg_lo:[0,1] neg_hi:[0,1]
	scratch_store_b64 off, v[108:109], off offset:408
	s_wait_xcnt 0x0
	v_cmpx_lt_u32_e32 50, v0
	s_cbranch_execz .LBB116_231
; %bb.230:
	scratch_load_b64 v[108:109], off, off offset:400
	v_mov_b64_e32 v[110:111], 0
	scratch_store_b64 off, v[110:111], off offset:400
	s_wait_loadcnt 0x0
	ds_store_b64 v1, v[108:109]
.LBB116_231:
	s_wait_xcnt 0x0
	s_or_b32 exec_lo, exec_lo, s0
	s_wait_storecnt_dscnt 0x0
	s_barrier_signal -1
	s_barrier_wait -1
	s_clause 0x1
	scratch_load_b128 v[108:111], off, off offset:408
	scratch_load_b64 v[116:117], off, off offset:400
	ds_load_2addr_b64 v[112:115], v7 offset0:105 offset1:106
	s_mov_b32 s0, exec_lo
	s_wait_dscnt 0x0
	v_dual_mov_b32 v118, v115 :: v_dual_mov_b32 v119, v114
	s_wait_loadcnt 0x1
	v_pk_mul_f32 v[120:121], v[112:113], v[108:109] op_sel:[1,1] op_sel_hi:[0,1]
	s_delay_alu instid0(VALU_DEP_1) | instskip(SKIP_2) | instid1(VALU_DEP_3)
	v_pk_fma_f32 v[124:125], v[112:113], v[108:109], v[120:121] op_sel_hi:[1,0,1]
	v_mov_b32_e32 v122, v111
	v_pk_fma_f32 v[108:109], v[112:113], v[108:109], v[120:121] neg_lo:[0,0,1] neg_hi:[0,0,1]
	v_mov_b32_e32 v109, v125
	s_delay_alu instid0(VALU_DEP_3) | instskip(NEXT) | instid1(VALU_DEP_2)
	v_pk_mul_f32 v[118:119], v[118:119], v[122:123] op_sel_hi:[1,0]
	v_pk_add_f32 v[108:109], v[108:109], 0 op_sel_hi:[1,0]
	s_delay_alu instid0(VALU_DEP_2) | instskip(SKIP_1) | instid1(VALU_DEP_2)
	v_pk_fma_f32 v[112:113], v[114:115], v[110:111], v[118:119] op_sel_hi:[1,0,1]
	v_pk_fma_f32 v[110:111], v[114:115], v[110:111], v[118:119] neg_lo:[0,0,1] neg_hi:[0,0,1]
	v_mov_b32_e32 v111, v113
	s_delay_alu instid0(VALU_DEP_1) | instskip(SKIP_1) | instid1(VALU_DEP_1)
	v_pk_add_f32 v[108:109], v[108:109], v[110:111]
	s_wait_loadcnt 0x0
	v_pk_add_f32 v[108:109], v[116:117], v[108:109] neg_lo:[0,1] neg_hi:[0,1]
	scratch_store_b64 off, v[108:109], off offset:400
	s_wait_xcnt 0x0
	v_cmpx_lt_u32_e32 49, v0
	s_cbranch_execz .LBB116_233
; %bb.232:
	scratch_load_b64 v[108:109], off, off offset:392
	v_mov_b64_e32 v[110:111], 0
	scratch_store_b64 off, v[110:111], off offset:392
	s_wait_loadcnt 0x0
	ds_store_b64 v1, v[108:109]
.LBB116_233:
	s_wait_xcnt 0x0
	s_or_b32 exec_lo, exec_lo, s0
	s_wait_storecnt_dscnt 0x0
	s_barrier_signal -1
	s_barrier_wait -1
	s_clause 0x2
	scratch_load_b128 v[108:111], off, off offset:400
	scratch_load_b64 v[116:117], off, off offset:416
	scratch_load_b64 v[118:119], off, off offset:392
	v_mov_b32_e32 v7, 0
	ds_load_b128 v[112:115], v7 offset:832
	ds_load_b64 v[120:121], v7 offset:848
	s_mov_b32 s0, exec_lo
	s_wait_dscnt 0x1
	v_dual_mov_b32 v122, v115 :: v_dual_mov_b32 v123, v114
	s_wait_loadcnt 0x2
	v_mov_b32_e32 v126, v111
	v_pk_mul_f32 v[124:125], v[112:113], v[108:109] op_sel:[1,1] op_sel_hi:[0,1]
	s_delay_alu instid0(VALU_DEP_2) | instskip(NEXT) | instid1(VALU_DEP_2)
	v_pk_mul_f32 v[122:123], v[122:123], v[126:127] op_sel_hi:[1,0]
	v_pk_fma_f32 v[128:129], v[112:113], v[108:109], v[124:125] op_sel_hi:[1,0,1]
	v_pk_fma_f32 v[108:109], v[112:113], v[108:109], v[124:125] neg_lo:[0,0,1] neg_hi:[0,0,1]
	s_wait_loadcnt_dscnt 0x100
	v_pk_mul_f32 v[124:125], v[120:121], v[116:117] op_sel:[1,1] op_sel_hi:[0,1]
	v_pk_fma_f32 v[112:113], v[114:115], v[110:111], v[122:123] op_sel_hi:[1,0,1]
	v_mov_b32_e32 v109, v129
	v_pk_fma_f32 v[110:111], v[114:115], v[110:111], v[122:123] neg_lo:[0,0,1] neg_hi:[0,0,1]
	s_delay_alu instid0(VALU_DEP_4) | instskip(NEXT) | instid1(VALU_DEP_4)
	v_pk_fma_f32 v[114:115], v[120:121], v[116:117], v[124:125] neg_lo:[0,0,1] neg_hi:[0,0,1]
	v_mov_b32_e32 v111, v113
	s_delay_alu instid0(VALU_DEP_4) | instskip(SKIP_1) | instid1(VALU_DEP_2)
	v_pk_add_f32 v[108:109], v[108:109], 0 op_sel_hi:[1,0]
	v_pk_fma_f32 v[112:113], v[120:121], v[116:117], v[124:125] op_sel_hi:[1,0,1]
	v_pk_add_f32 v[108:109], v[108:109], v[110:111]
	s_delay_alu instid0(VALU_DEP_2) | instskip(NEXT) | instid1(VALU_DEP_1)
	v_mov_b32_e32 v115, v113
	v_pk_add_f32 v[108:109], v[108:109], v[114:115]
	s_wait_loadcnt 0x0
	s_delay_alu instid0(VALU_DEP_1)
	v_pk_add_f32 v[108:109], v[118:119], v[108:109] neg_lo:[0,1] neg_hi:[0,1]
	scratch_store_b64 off, v[108:109], off offset:392
	s_wait_xcnt 0x0
	v_cmpx_lt_u32_e32 48, v0
	s_cbranch_execz .LBB116_235
; %bb.234:
	scratch_load_b64 v[108:109], off, off offset:384
	v_mov_b64_e32 v[110:111], 0
	scratch_store_b64 off, v[110:111], off offset:384
	s_wait_loadcnt 0x0
	ds_store_b64 v1, v[108:109]
.LBB116_235:
	s_wait_xcnt 0x0
	s_or_b32 exec_lo, exec_lo, s0
	s_wait_storecnt_dscnt 0x0
	s_barrier_signal -1
	s_barrier_wait -1
	s_clause 0x2
	scratch_load_b128 v[108:111], off, off offset:392
	scratch_load_b128 v[112:115], off, off offset:408
	scratch_load_b64 v[124:125], off, off offset:384
	ds_load_2addr_b64 v[116:119], v7 offset0:103 offset1:104
	ds_load_2addr_b64 v[120:123], v7 offset0:105 offset1:106
	s_mov_b32 s0, exec_lo
	s_wait_dscnt 0x1
	v_dual_mov_b32 v126, v119 :: v_dual_mov_b32 v127, v118
	s_wait_loadcnt_dscnt 0x200
	v_dual_mov_b32 v132, v123 :: v_dual_mov_b32 v130, v111
	v_pk_mul_f32 v[128:129], v[116:117], v[108:109] op_sel:[1,1] op_sel_hi:[0,1]
	s_delay_alu instid0(VALU_DEP_2) | instskip(NEXT) | instid1(VALU_DEP_2)
	v_pk_mul_f32 v[126:127], v[126:127], v[130:131] op_sel_hi:[1,0]
	v_pk_fma_f32 v[134:135], v[116:117], v[108:109], v[128:129] op_sel_hi:[1,0,1]
	v_pk_fma_f32 v[108:109], v[116:117], v[108:109], v[128:129] neg_lo:[0,0,1] neg_hi:[0,0,1]
	v_mov_b32_e32 v133, v122
	s_wait_loadcnt 0x1
	v_pk_mul_f32 v[130:131], v[120:121], v[112:113] op_sel:[1,1] op_sel_hi:[0,1]
	v_pk_fma_f32 v[116:117], v[118:119], v[110:111], v[126:127] op_sel_hi:[1,0,1]
	v_dual_mov_b32 v109, v135 :: v_dual_mov_b32 v116, v115
	v_pk_fma_f32 v[110:111], v[118:119], v[110:111], v[126:127] neg_lo:[0,0,1] neg_hi:[0,0,1]
	s_delay_alu instid0(VALU_DEP_4) | instskip(NEXT) | instid1(VALU_DEP_4)
	v_pk_fma_f32 v[128:129], v[120:121], v[112:113], v[130:131] op_sel_hi:[1,0,1]
	v_mov_b32_e32 v111, v117
	s_delay_alu instid0(VALU_DEP_4) | instskip(SKIP_2) | instid1(VALU_DEP_3)
	v_pk_add_f32 v[108:109], v[108:109], 0 op_sel_hi:[1,0]
	v_pk_mul_f32 v[116:117], v[132:133], v[116:117] op_sel_hi:[1,0]
	v_pk_fma_f32 v[112:113], v[120:121], v[112:113], v[130:131] neg_lo:[0,0,1] neg_hi:[0,0,1]
	v_pk_add_f32 v[108:109], v[108:109], v[110:111]
	s_delay_alu instid0(VALU_DEP_3) | instskip(SKIP_2) | instid1(VALU_DEP_3)
	v_pk_fma_f32 v[110:111], v[122:123], v[114:115], v[116:117] op_sel_hi:[1,0,1]
	v_mov_b32_e32 v113, v129
	v_pk_fma_f32 v[114:115], v[122:123], v[114:115], v[116:117] neg_lo:[0,0,1] neg_hi:[0,0,1]
	v_mov_b32_e32 v115, v111
	s_delay_alu instid0(VALU_DEP_3) | instskip(NEXT) | instid1(VALU_DEP_1)
	v_pk_add_f32 v[108:109], v[108:109], v[112:113]
	v_pk_add_f32 v[108:109], v[108:109], v[114:115]
	s_wait_loadcnt 0x0
	s_delay_alu instid0(VALU_DEP_1)
	v_pk_add_f32 v[108:109], v[124:125], v[108:109] neg_lo:[0,1] neg_hi:[0,1]
	scratch_store_b64 off, v[108:109], off offset:384
	s_wait_xcnt 0x0
	v_cmpx_lt_u32_e32 47, v0
	s_cbranch_execz .LBB116_237
; %bb.236:
	scratch_load_b64 v[108:109], off, off offset:376
	v_mov_b64_e32 v[110:111], 0
	scratch_store_b64 off, v[110:111], off offset:376
	s_wait_loadcnt 0x0
	ds_store_b64 v1, v[108:109]
.LBB116_237:
	s_wait_xcnt 0x0
	s_or_b32 exec_lo, exec_lo, s0
	s_wait_storecnt_dscnt 0x0
	s_barrier_signal -1
	s_barrier_wait -1
	s_clause 0x3
	scratch_load_b128 v[108:111], off, off offset:384
	scratch_load_b128 v[112:115], off, off offset:400
	scratch_load_b64 v[124:125], off, off offset:416
	scratch_load_b64 v[126:127], off, off offset:376
	v_mov_b32_e32 v7, 0
	ds_load_b128 v[116:119], v7 offset:816
	ds_load_b128 v[120:123], v7 offset:832
	s_mov_b32 s0, exec_lo
	s_wait_dscnt 0x1
	v_dual_mov_b32 v128, v119 :: v_dual_mov_b32 v129, v118
	ds_load_b64 v[134:135], v7 offset:848
	s_wait_dscnt 0x1
	v_dual_mov_b32 v136, v123 :: v_dual_mov_b32 v137, v122
	s_wait_loadcnt 0x3
	v_pk_mul_f32 v[130:131], v[116:117], v[108:109] op_sel:[1,1] op_sel_hi:[0,1]
	v_mov_b32_e32 v132, v111
	s_delay_alu instid0(VALU_DEP_2) | instskip(NEXT) | instid1(VALU_DEP_2)
	v_pk_fma_f32 v[138:139], v[116:117], v[108:109], v[130:131] op_sel_hi:[1,0,1]
	v_pk_mul_f32 v[128:129], v[128:129], v[132:133] op_sel_hi:[1,0]
	v_pk_fma_f32 v[108:109], v[116:117], v[108:109], v[130:131] neg_lo:[0,0,1] neg_hi:[0,0,1]
	s_wait_loadcnt 0x2
	v_pk_mul_f32 v[132:133], v[120:121], v[112:113] op_sel:[1,1] op_sel_hi:[0,1]
	v_dual_mov_b32 v138, v115 :: v_dual_mov_b32 v109, v139
	v_pk_fma_f32 v[116:117], v[118:119], v[110:111], v[128:129] op_sel_hi:[1,0,1]
	v_pk_fma_f32 v[110:111], v[118:119], v[110:111], v[128:129] neg_lo:[0,0,1] neg_hi:[0,0,1]
	s_delay_alu instid0(VALU_DEP_4) | instskip(NEXT) | instid1(VALU_DEP_4)
	v_pk_fma_f32 v[130:131], v[120:121], v[112:113], v[132:133] op_sel_hi:[1,0,1]
	v_pk_mul_f32 v[136:137], v[136:137], v[138:139] op_sel_hi:[1,0]
	v_pk_add_f32 v[108:109], v[108:109], 0 op_sel_hi:[1,0]
	v_mov_b32_e32 v111, v117
	v_pk_fma_f32 v[112:113], v[120:121], v[112:113], v[132:133] neg_lo:[0,0,1] neg_hi:[0,0,1]
	v_mov_b32_e32 v113, v131
	v_pk_fma_f32 v[116:117], v[122:123], v[114:115], v[136:137] op_sel_hi:[1,0,1]
	v_pk_fma_f32 v[114:115], v[122:123], v[114:115], v[136:137] neg_lo:[0,0,1] neg_hi:[0,0,1]
	v_pk_add_f32 v[108:109], v[108:109], v[110:111]
	s_wait_loadcnt_dscnt 0x100
	v_pk_mul_f32 v[110:111], v[134:135], v[124:125] op_sel:[1,1] op_sel_hi:[0,1]
	s_delay_alu instid0(VALU_DEP_2) | instskip(NEXT) | instid1(VALU_DEP_2)
	v_pk_add_f32 v[108:109], v[108:109], v[112:113]
	v_pk_fma_f32 v[112:113], v[134:135], v[124:125], v[110:111] op_sel_hi:[1,0,1]
	v_mov_b32_e32 v115, v117
	v_pk_fma_f32 v[110:111], v[134:135], v[124:125], v[110:111] neg_lo:[0,0,1] neg_hi:[0,0,1]
	s_delay_alu instid0(VALU_DEP_3) | instskip(NEXT) | instid1(VALU_DEP_3)
	v_mov_b32_e32 v111, v113
	v_pk_add_f32 v[108:109], v[108:109], v[114:115]
	s_delay_alu instid0(VALU_DEP_1) | instskip(SKIP_1) | instid1(VALU_DEP_1)
	v_pk_add_f32 v[108:109], v[108:109], v[110:111]
	s_wait_loadcnt 0x0
	v_pk_add_f32 v[108:109], v[126:127], v[108:109] neg_lo:[0,1] neg_hi:[0,1]
	scratch_store_b64 off, v[108:109], off offset:376
	s_wait_xcnt 0x0
	v_cmpx_lt_u32_e32 46, v0
	s_cbranch_execz .LBB116_239
; %bb.238:
	scratch_load_b64 v[108:109], off, off offset:368
	v_mov_b64_e32 v[110:111], 0
	scratch_store_b64 off, v[110:111], off offset:368
	s_wait_loadcnt 0x0
	ds_store_b64 v1, v[108:109]
.LBB116_239:
	s_wait_xcnt 0x0
	s_or_b32 exec_lo, exec_lo, s0
	s_wait_storecnt_dscnt 0x0
	s_barrier_signal -1
	s_barrier_wait -1
	s_clause 0x3
	scratch_load_b128 v[108:111], off, off offset:376
	scratch_load_b128 v[112:115], off, off offset:392
	;; [unrolled: 1-line block ×3, first 2 shown]
	scratch_load_b64 v[132:133], off, off offset:368
	ds_load_2addr_b64 v[120:123], v7 offset0:101 offset1:102
	ds_load_2addr_b64 v[124:127], v7 offset0:103 offset1:104
	;; [unrolled: 1-line block ×3, first 2 shown]
	s_mov_b32 s0, exec_lo
	s_wait_dscnt 0x2
	v_dual_mov_b32 v134, v123 :: v_dual_mov_b32 v135, v122
	s_wait_dscnt 0x1
	v_dual_mov_b32 v136, v127 :: v_dual_mov_b32 v137, v126
	;; [unrolled: 2-line block ×3, first 2 shown]
	s_wait_loadcnt 0x3
	v_pk_mul_f32 v[138:139], v[120:121], v[108:109] op_sel:[1,1] op_sel_hi:[0,1]
	v_mov_b32_e32 v140, v111
	s_delay_alu instid0(VALU_DEP_2) | instskip(NEXT) | instid1(VALU_DEP_2)
	v_pk_fma_f32 v[144:145], v[120:121], v[108:109], v[138:139] op_sel_hi:[1,0,1]
	v_pk_mul_f32 v[134:135], v[134:135], v[140:141] op_sel_hi:[1,0]
	v_pk_fma_f32 v[108:109], v[120:121], v[108:109], v[138:139] neg_lo:[0,0,1] neg_hi:[0,0,1]
	s_wait_loadcnt 0x2
	v_pk_mul_f32 v[140:141], v[124:125], v[112:113] op_sel:[1,1] op_sel_hi:[0,1]
	v_mov_b32_e32 v144, v115
	v_pk_fma_f32 v[120:121], v[122:123], v[110:111], v[134:135] op_sel_hi:[1,0,1]
	v_mov_b32_e32 v109, v145
	v_pk_fma_f32 v[110:111], v[122:123], v[110:111], v[134:135] neg_lo:[0,0,1] neg_hi:[0,0,1]
	v_pk_fma_f32 v[138:139], v[124:125], v[112:113], v[140:141] op_sel_hi:[1,0,1]
	v_pk_mul_f32 v[136:137], v[136:137], v[144:145] op_sel_hi:[1,0]
	v_mov_b32_e32 v111, v121
	v_pk_add_f32 v[108:109], v[108:109], 0 op_sel_hi:[1,0]
	v_pk_fma_f32 v[112:113], v[124:125], v[112:113], v[140:141] neg_lo:[0,0,1] neg_hi:[0,0,1]
	s_wait_loadcnt 0x1
	v_pk_mul_f32 v[120:121], v[128:129], v[116:117] op_sel:[1,1] op_sel_hi:[0,1]
	v_mov_b32_e32 v113, v139
	v_pk_fma_f32 v[122:123], v[126:127], v[114:115], v[136:137] op_sel_hi:[1,0,1]
	v_pk_add_f32 v[108:109], v[108:109], v[110:111]
	v_mov_b32_e32 v110, v119
	v_pk_fma_f32 v[114:115], v[126:127], v[114:115], v[136:137] neg_lo:[0,0,1] neg_hi:[0,0,1]
	v_pk_fma_f32 v[124:125], v[128:129], v[116:117], v[120:121] op_sel_hi:[1,0,1]
	v_mov_b32_e32 v115, v123
	v_pk_add_f32 v[108:109], v[108:109], v[112:113]
	v_pk_mul_f32 v[110:111], v[142:143], v[110:111] op_sel_hi:[1,0]
	v_pk_fma_f32 v[112:113], v[128:129], v[116:117], v[120:121] neg_lo:[0,0,1] neg_hi:[0,0,1]
	v_mov_b32_e32 v113, v125
	s_delay_alu instid0(VALU_DEP_4) | instskip(NEXT) | instid1(VALU_DEP_4)
	v_pk_add_f32 v[108:109], v[108:109], v[114:115]
	v_pk_fma_f32 v[114:115], v[130:131], v[118:119], v[110:111] op_sel_hi:[1,0,1]
	v_pk_fma_f32 v[110:111], v[130:131], v[118:119], v[110:111] neg_lo:[0,0,1] neg_hi:[0,0,1]
	s_delay_alu instid0(VALU_DEP_3) | instskip(NEXT) | instid1(VALU_DEP_3)
	v_pk_add_f32 v[108:109], v[108:109], v[112:113]
	v_mov_b32_e32 v111, v115
	s_delay_alu instid0(VALU_DEP_1) | instskip(SKIP_1) | instid1(VALU_DEP_1)
	v_pk_add_f32 v[108:109], v[108:109], v[110:111]
	s_wait_loadcnt 0x0
	v_pk_add_f32 v[108:109], v[132:133], v[108:109] neg_lo:[0,1] neg_hi:[0,1]
	scratch_store_b64 off, v[108:109], off offset:368
	s_wait_xcnt 0x0
	v_cmpx_lt_u32_e32 45, v0
	s_cbranch_execz .LBB116_241
; %bb.240:
	scratch_load_b64 v[108:109], off, off offset:360
	v_mov_b64_e32 v[110:111], 0
	scratch_store_b64 off, v[110:111], off offset:360
	s_wait_loadcnt 0x0
	ds_store_b64 v1, v[108:109]
.LBB116_241:
	s_wait_xcnt 0x0
	s_or_b32 exec_lo, exec_lo, s0
	s_wait_storecnt_dscnt 0x0
	s_barrier_signal -1
	s_barrier_wait -1
	s_clause 0x4
	scratch_load_b128 v[108:111], off, off offset:368
	scratch_load_b128 v[112:115], off, off offset:384
	;; [unrolled: 1-line block ×3, first 2 shown]
	scratch_load_b64 v[132:133], off, off offset:416
	scratch_load_b64 v[134:135], off, off offset:360
	v_mov_b32_e32 v7, 0
	ds_load_b128 v[120:123], v7 offset:800
	ds_load_b128 v[124:127], v7 offset:816
	;; [unrolled: 1-line block ×3, first 2 shown]
	ds_load_b64 v[136:137], v7 offset:848
	s_mov_b32 s0, exec_lo
	s_wait_dscnt 0x3
	v_dual_mov_b32 v138, v123 :: v_dual_mov_b32 v139, v122
	s_wait_dscnt 0x2
	v_dual_mov_b32 v140, v127 :: v_dual_mov_b32 v141, v126
	;; [unrolled: 2-line block ×3, first 2 shown]
	s_wait_loadcnt 0x4
	v_pk_mul_f32 v[142:143], v[120:121], v[108:109] op_sel:[1,1] op_sel_hi:[0,1]
	v_mov_b32_e32 v144, v111
	s_wait_loadcnt 0x3
	v_pk_mul_f32 v[148:149], v[124:125], v[112:113] op_sel:[1,1] op_sel_hi:[0,1]
	s_wait_loadcnt 0x2
	v_pk_mul_f32 v[152:153], v[128:129], v[116:117] op_sel:[1,1] op_sel_hi:[0,1]
	v_pk_fma_f32 v[150:151], v[120:121], v[108:109], v[142:143] op_sel_hi:[1,0,1]
	v_pk_mul_f32 v[138:139], v[138:139], v[144:145] op_sel_hi:[1,0]
	v_pk_fma_f32 v[108:109], v[120:121], v[108:109], v[142:143] neg_lo:[0,0,1] neg_hi:[0,0,1]
	v_mov_b32_e32 v144, v115
	v_pk_fma_f32 v[142:143], v[124:125], v[112:113], v[148:149] op_sel_hi:[1,0,1]
	v_mov_b32_e32 v109, v151
	v_pk_fma_f32 v[120:121], v[122:123], v[110:111], v[138:139] op_sel_hi:[1,0,1]
	v_pk_fma_f32 v[110:111], v[122:123], v[110:111], v[138:139] neg_lo:[0,0,1] neg_hi:[0,0,1]
	v_pk_mul_f32 v[140:141], v[140:141], v[144:145] op_sel_hi:[1,0]
	v_pk_fma_f32 v[112:113], v[124:125], v[112:113], v[148:149] neg_lo:[0,0,1] neg_hi:[0,0,1]
	v_pk_add_f32 v[108:109], v[108:109], 0 op_sel_hi:[1,0]
	v_dual_mov_b32 v111, v121 :: v_dual_mov_b32 v120, v119
	s_delay_alu instid0(VALU_DEP_4) | instskip(SKIP_2) | instid1(VALU_DEP_4)
	v_pk_fma_f32 v[122:123], v[126:127], v[114:115], v[140:141] op_sel_hi:[1,0,1]
	v_mov_b32_e32 v113, v143
	v_pk_fma_f32 v[114:115], v[126:127], v[114:115], v[140:141] neg_lo:[0,0,1] neg_hi:[0,0,1]
	v_pk_add_f32 v[108:109], v[108:109], v[110:111]
	v_pk_fma_f32 v[110:111], v[128:129], v[116:117], v[152:153] op_sel_hi:[1,0,1]
	v_pk_mul_f32 v[120:121], v[146:147], v[120:121] op_sel_hi:[1,0]
	v_mov_b32_e32 v115, v123
	s_delay_alu instid0(VALU_DEP_4)
	v_pk_add_f32 v[108:109], v[108:109], v[112:113]
	v_pk_fma_f32 v[112:113], v[128:129], v[116:117], v[152:153] neg_lo:[0,0,1] neg_hi:[0,0,1]
	v_mov_b32_e32 v113, v111
	v_pk_fma_f32 v[110:111], v[130:131], v[118:119], v[120:121] op_sel_hi:[1,0,1]
	v_pk_fma_f32 v[116:117], v[130:131], v[118:119], v[120:121] neg_lo:[0,0,1] neg_hi:[0,0,1]
	v_pk_add_f32 v[108:109], v[108:109], v[114:115]
	s_wait_loadcnt_dscnt 0x100
	v_pk_mul_f32 v[114:115], v[136:137], v[132:133] op_sel:[1,1] op_sel_hi:[0,1]
	v_mov_b32_e32 v117, v111
	s_delay_alu instid0(VALU_DEP_3) | instskip(NEXT) | instid1(VALU_DEP_3)
	v_pk_add_f32 v[108:109], v[108:109], v[112:113]
	v_pk_fma_f32 v[110:111], v[136:137], v[132:133], v[114:115] op_sel_hi:[1,0,1]
	v_pk_fma_f32 v[112:113], v[136:137], v[132:133], v[114:115] neg_lo:[0,0,1] neg_hi:[0,0,1]
	s_delay_alu instid0(VALU_DEP_3) | instskip(NEXT) | instid1(VALU_DEP_3)
	v_pk_add_f32 v[108:109], v[108:109], v[116:117]
	v_mov_b32_e32 v113, v111
	s_delay_alu instid0(VALU_DEP_1) | instskip(SKIP_1) | instid1(VALU_DEP_1)
	v_pk_add_f32 v[108:109], v[108:109], v[112:113]
	s_wait_loadcnt 0x0
	v_pk_add_f32 v[108:109], v[134:135], v[108:109] neg_lo:[0,1] neg_hi:[0,1]
	scratch_store_b64 off, v[108:109], off offset:360
	s_wait_xcnt 0x0
	v_cmpx_lt_u32_e32 44, v0
	s_cbranch_execz .LBB116_243
; %bb.242:
	scratch_load_b64 v[108:109], off, off offset:352
	v_mov_b64_e32 v[110:111], 0
	scratch_store_b64 off, v[110:111], off offset:352
	s_wait_loadcnt 0x0
	ds_store_b64 v1, v[108:109]
.LBB116_243:
	s_wait_xcnt 0x0
	s_or_b32 exec_lo, exec_lo, s0
	s_wait_storecnt_dscnt 0x0
	s_barrier_signal -1
	s_barrier_wait -1
	s_clause 0x4
	scratch_load_b128 v[108:111], off, off offset:360
	scratch_load_b128 v[112:115], off, off offset:376
	;; [unrolled: 1-line block ×4, first 2 shown]
	scratch_load_b64 v[140:141], off, off offset:352
	ds_load_2addr_b64 v[124:127], v7 offset0:99 offset1:100
	ds_load_2addr_b64 v[128:131], v7 offset0:101 offset1:102
	;; [unrolled: 1-line block ×4, first 2 shown]
	s_mov_b32 s0, exec_lo
	s_wait_dscnt 0x3
	v_dual_mov_b32 v142, v127 :: v_dual_mov_b32 v143, v126
	s_wait_dscnt 0x2
	v_dual_mov_b32 v144, v131 :: v_dual_mov_b32 v145, v130
	;; [unrolled: 2-line block ×3, first 2 shown]
	v_dual_mov_b32 v147, v134 :: v_dual_mov_b32 v152, v139
	s_wait_loadcnt 0x4
	v_mov_b32_e32 v150, v111
	v_pk_mul_f32 v[148:149], v[124:125], v[108:109] op_sel:[1,1] op_sel_hi:[0,1]
	s_wait_loadcnt 0x3
	v_pk_mul_f32 v[154:155], v[128:129], v[112:113] op_sel:[1,1] op_sel_hi:[0,1]
	s_wait_loadcnt 0x2
	v_pk_mul_f32 v[158:159], v[132:133], v[116:117] op_sel:[1,1] op_sel_hi:[0,1]
	v_pk_mul_f32 v[142:143], v[142:143], v[150:151] op_sel_hi:[1,0]
	v_pk_fma_f32 v[156:157], v[124:125], v[108:109], v[148:149] op_sel_hi:[1,0,1]
	v_pk_fma_f32 v[108:109], v[124:125], v[108:109], v[148:149] neg_lo:[0,0,1] neg_hi:[0,0,1]
	v_mov_b32_e32 v150, v115
	v_pk_fma_f32 v[148:149], v[128:129], v[112:113], v[154:155] op_sel_hi:[1,0,1]
	v_pk_fma_f32 v[124:125], v[126:127], v[110:111], v[142:143] op_sel_hi:[1,0,1]
	v_mov_b32_e32 v109, v157
	v_pk_fma_f32 v[110:111], v[126:127], v[110:111], v[142:143] neg_lo:[0,0,1] neg_hi:[0,0,1]
	v_pk_mul_f32 v[144:145], v[144:145], v[150:151] op_sel_hi:[1,0]
	s_delay_alu instid0(VALU_DEP_4) | instskip(NEXT) | instid1(VALU_DEP_4)
	v_dual_mov_b32 v124, v119 :: v_dual_mov_b32 v111, v125
	v_pk_add_f32 v[108:109], v[108:109], 0 op_sel_hi:[1,0]
	v_pk_fma_f32 v[112:113], v[128:129], v[112:113], v[154:155] neg_lo:[0,0,1] neg_hi:[0,0,1]
	v_mov_b32_e32 v113, v149
	v_pk_fma_f32 v[126:127], v[130:131], v[114:115], v[144:145] op_sel_hi:[1,0,1]
	v_pk_mul_f32 v[124:125], v[146:147], v[124:125] op_sel_hi:[1,0]
	v_pk_add_f32 v[108:109], v[108:109], v[110:111]
	v_pk_fma_f32 v[110:111], v[132:133], v[116:117], v[158:159] op_sel_hi:[1,0,1]
	v_pk_fma_f32 v[114:115], v[130:131], v[114:115], v[144:145] neg_lo:[0,0,1] neg_hi:[0,0,1]
	v_mov_b32_e32 v115, v127
	v_pk_fma_f32 v[116:117], v[132:133], v[116:117], v[158:159] neg_lo:[0,0,1] neg_hi:[0,0,1]
	v_pk_add_f32 v[108:109], v[108:109], v[112:113]
	v_mov_b32_e32 v117, v111
	v_pk_fma_f32 v[110:111], v[134:135], v[118:119], v[124:125] op_sel_hi:[1,0,1]
	s_wait_loadcnt 0x1
	v_pk_mul_f32 v[112:113], v[136:137], v[120:121] op_sel:[1,1] op_sel_hi:[0,1]
	v_mov_b32_e32 v110, v123
	v_pk_add_f32 v[108:109], v[108:109], v[114:115]
	v_pk_fma_f32 v[118:119], v[134:135], v[118:119], v[124:125] neg_lo:[0,0,1] neg_hi:[0,0,1]
	v_mov_b32_e32 v119, v111
	v_pk_fma_f32 v[114:115], v[136:137], v[120:121], v[112:113] op_sel_hi:[1,0,1]
	v_pk_mul_f32 v[110:111], v[152:153], v[110:111] op_sel_hi:[1,0]
	v_pk_add_f32 v[108:109], v[108:109], v[116:117]
	v_pk_fma_f32 v[112:113], v[136:137], v[120:121], v[112:113] neg_lo:[0,0,1] neg_hi:[0,0,1]
	s_delay_alu instid0(VALU_DEP_4) | instskip(NEXT) | instid1(VALU_DEP_4)
	v_mov_b32_e32 v113, v115
	v_pk_fma_f32 v[114:115], v[138:139], v[122:123], v[110:111] op_sel_hi:[1,0,1]
	s_delay_alu instid0(VALU_DEP_4) | instskip(SKIP_1) | instid1(VALU_DEP_3)
	v_pk_add_f32 v[108:109], v[108:109], v[118:119]
	v_pk_fma_f32 v[110:111], v[138:139], v[122:123], v[110:111] neg_lo:[0,0,1] neg_hi:[0,0,1]
	v_mov_b32_e32 v111, v115
	s_delay_alu instid0(VALU_DEP_3) | instskip(NEXT) | instid1(VALU_DEP_1)
	v_pk_add_f32 v[108:109], v[108:109], v[112:113]
	v_pk_add_f32 v[108:109], v[108:109], v[110:111]
	s_wait_loadcnt 0x0
	s_delay_alu instid0(VALU_DEP_1)
	v_pk_add_f32 v[108:109], v[140:141], v[108:109] neg_lo:[0,1] neg_hi:[0,1]
	scratch_store_b64 off, v[108:109], off offset:352
	s_wait_xcnt 0x0
	v_cmpx_lt_u32_e32 43, v0
	s_cbranch_execz .LBB116_245
; %bb.244:
	scratch_load_b64 v[108:109], off, off offset:344
	v_mov_b64_e32 v[110:111], 0
	scratch_store_b64 off, v[110:111], off offset:344
	s_wait_loadcnt 0x0
	ds_store_b64 v1, v[108:109]
.LBB116_245:
	s_wait_xcnt 0x0
	s_or_b32 exec_lo, exec_lo, s0
	s_wait_storecnt_dscnt 0x0
	s_barrier_signal -1
	s_barrier_wait -1
	s_clause 0x5
	scratch_load_b128 v[108:111], off, off offset:352
	scratch_load_b128 v[112:115], off, off offset:368
	;; [unrolled: 1-line block ×4, first 2 shown]
	scratch_load_b64 v[140:141], off, off offset:416
	scratch_load_b64 v[142:143], off, off offset:344
	v_mov_b32_e32 v7, 0
	ds_load_b128 v[124:127], v7 offset:784
	ds_load_b128 v[128:131], v7 offset:800
	;; [unrolled: 1-line block ×4, first 2 shown]
	ds_load_b64 v[144:145], v7 offset:848
	s_mov_b32 s0, exec_lo
	s_wait_dscnt 0x4
	v_dual_mov_b32 v146, v127 :: v_dual_mov_b32 v147, v126
	s_wait_dscnt 0x1
	v_dual_mov_b32 v148, v131 :: v_dual_mov_b32 v153, v138
	v_dual_mov_b32 v149, v130 :: v_dual_mov_b32 v150, v135
	v_dual_mov_b32 v151, v134 :: v_dual_mov_b32 v152, v139
	s_wait_loadcnt 0x5
	v_dual_mov_b32 v154, v111 :: v_dual_mul_f32 v155, v124, v109
	v_mul_f32_e32 v9, v125, v109
	s_wait_loadcnt 0x4
	v_pk_mul_f32 v[156:157], v[128:129], v[112:113] op_sel:[1,1] op_sel_hi:[0,1]
	v_mov_b32_e32 v158, v115
	s_wait_loadcnt 0x3
	v_pk_mul_f32 v[160:161], v[132:133], v[116:117] op_sel:[1,1] op_sel_hi:[0,1]
	v_pk_mul_f32 v[146:147], v[146:147], v[154:155] op_sel_hi:[1,0]
	v_dual_fmac_f32 v155, v125, v108 :: v_dual_fma_f32 v154, v124, v108, -v9
	v_mov_b32_e32 v108, v119
	v_pk_fma_f32 v[162:163], v[128:129], v[112:113], v[156:157] op_sel_hi:[1,0,1]
	s_delay_alu instid0(VALU_DEP_4)
	v_pk_fma_f32 v[124:125], v[126:127], v[110:111], v[146:147] op_sel_hi:[1,0,1]
	v_pk_fma_f32 v[110:111], v[126:127], v[110:111], v[146:147] neg_lo:[0,0,1] neg_hi:[0,0,1]
	v_pk_mul_f32 v[148:149], v[148:149], v[158:159] op_sel_hi:[1,0]
	v_pk_add_f32 v[154:155], v[154:155], 0 op_sel_hi:[1,0]
	v_pk_fma_f32 v[112:113], v[128:129], v[112:113], v[156:157] neg_lo:[0,0,1] neg_hi:[0,0,1]
	v_dual_mov_b32 v111, v125 :: v_dual_mov_b32 v113, v163
	s_delay_alu instid0(VALU_DEP_4) | instskip(SKIP_2) | instid1(VALU_DEP_4)
	v_pk_fma_f32 v[126:127], v[130:131], v[114:115], v[148:149] op_sel_hi:[1,0,1]
	v_pk_fma_f32 v[114:115], v[130:131], v[114:115], v[148:149] neg_lo:[0,0,1] neg_hi:[0,0,1]
	v_pk_fma_f32 v[128:129], v[132:133], v[116:117], v[160:161] op_sel_hi:[1,0,1]
	v_pk_add_f32 v[110:111], v[154:155], v[110:111]
	v_pk_mul_f32 v[108:109], v[150:151], v[108:109] op_sel_hi:[1,0]
	v_mov_b32_e32 v115, v127
	v_pk_fma_f32 v[116:117], v[132:133], v[116:117], v[160:161] neg_lo:[0,0,1] neg_hi:[0,0,1]
	s_wait_loadcnt 0x2
	v_pk_mul_f32 v[124:125], v[136:137], v[120:121] op_sel:[1,1] op_sel_hi:[0,1]
	v_pk_add_f32 v[110:111], v[110:111], v[112:113]
	v_mov_b32_e32 v112, v123
	v_pk_fma_f32 v[126:127], v[134:135], v[118:119], v[108:109] op_sel_hi:[1,0,1]
	v_mov_b32_e32 v117, v129
	v_pk_fma_f32 v[108:109], v[134:135], v[118:119], v[108:109] neg_lo:[0,0,1] neg_hi:[0,0,1]
	v_pk_add_f32 v[110:111], v[110:111], v[114:115]
	v_pk_fma_f32 v[114:115], v[136:137], v[120:121], v[124:125] op_sel_hi:[1,0,1]
	v_pk_mul_f32 v[112:113], v[152:153], v[112:113] op_sel_hi:[1,0]
	v_mov_b32_e32 v109, v127
	s_delay_alu instid0(VALU_DEP_4)
	v_pk_add_f32 v[110:111], v[110:111], v[116:117]
	v_pk_fma_f32 v[116:117], v[136:137], v[120:121], v[124:125] neg_lo:[0,0,1] neg_hi:[0,0,1]
	v_mov_b32_e32 v117, v115
	v_pk_fma_f32 v[114:115], v[138:139], v[122:123], v[112:113] op_sel_hi:[1,0,1]
	v_pk_fma_f32 v[112:113], v[138:139], v[122:123], v[112:113] neg_lo:[0,0,1] neg_hi:[0,0,1]
	v_pk_add_f32 v[108:109], v[110:111], v[108:109]
	s_wait_loadcnt_dscnt 0x100
	v_pk_mul_f32 v[110:111], v[144:145], v[140:141] op_sel:[1,1] op_sel_hi:[0,1]
	v_mov_b32_e32 v113, v115
	s_delay_alu instid0(VALU_DEP_3) | instskip(NEXT) | instid1(VALU_DEP_3)
	v_pk_add_f32 v[108:109], v[108:109], v[116:117]
	v_pk_fma_f32 v[114:115], v[144:145], v[140:141], v[110:111] op_sel_hi:[1,0,1]
	v_pk_fma_f32 v[110:111], v[144:145], v[140:141], v[110:111] neg_lo:[0,0,1] neg_hi:[0,0,1]
	s_delay_alu instid0(VALU_DEP_3) | instskip(NEXT) | instid1(VALU_DEP_3)
	v_pk_add_f32 v[108:109], v[108:109], v[112:113]
	v_mov_b32_e32 v111, v115
	s_delay_alu instid0(VALU_DEP_1) | instskip(SKIP_1) | instid1(VALU_DEP_1)
	v_pk_add_f32 v[108:109], v[108:109], v[110:111]
	s_wait_loadcnt 0x0
	v_pk_add_f32 v[108:109], v[142:143], v[108:109] neg_lo:[0,1] neg_hi:[0,1]
	scratch_store_b64 off, v[108:109], off offset:344
	s_wait_xcnt 0x0
	v_cmpx_lt_u32_e32 42, v0
	s_cbranch_execz .LBB116_247
; %bb.246:
	scratch_load_b64 v[108:109], off, off offset:336
	v_mov_b64_e32 v[110:111], 0
	scratch_store_b64 off, v[110:111], off offset:336
	s_wait_loadcnt 0x0
	ds_store_b64 v1, v[108:109]
.LBB116_247:
	s_wait_xcnt 0x0
	s_or_b32 exec_lo, exec_lo, s0
	s_wait_storecnt_dscnt 0x0
	s_barrier_signal -1
	s_barrier_wait -1
	s_clause 0x5
	scratch_load_b128 v[108:111], off, off offset:344
	scratch_load_b128 v[112:115], off, off offset:360
	;; [unrolled: 1-line block ×5, first 2 shown]
	scratch_load_b64 v[148:149], off, off offset:336
	ds_load_2addr_b64 v[128:131], v7 offset0:99 offset1:100
	ds_load_2addr_b64 v[132:135], v7 offset0:101 offset1:102
	ds_load_2addr_b64 v[136:139], v7 offset0:103 offset1:104
	ds_load_2addr_b64 v[140:143], v7 offset0:105 offset1:106
	ds_load_2addr_b64 v[144:147], v7 offset0:97 offset1:98
	s_mov_b32 s0, exec_lo
	s_wait_dscnt 0x4
	v_dual_mov_b32 v150, v131 :: v_dual_mov_b32 v151, v130
	s_wait_dscnt 0x3
	v_dual_mov_b32 v152, v135 :: v_dual_mov_b32 v153, v134
	;; [unrolled: 2-line block ×4, first 2 shown]
	s_wait_loadcnt_dscnt 0x500
	v_dual_mul_f32 v159, v144, v109 :: v_dual_mul_f32 v161, v146, v111
	v_dual_mul_f32 v7, v145, v109 :: v_dual_mul_f32 v9, v147, v111
	s_wait_loadcnt 0x4
	v_pk_mul_f32 v[162:163], v[128:129], v[112:113] op_sel:[1,1] op_sel_hi:[0,1]
	s_wait_loadcnt 0x3
	v_dual_mov_b32 v164, v115 :: v_dual_mov_b32 v168, v119
	v_dual_fmac_f32 v159, v145, v108 :: v_dual_fmac_f32 v161, v147, v110
	v_dual_fma_f32 v158, v144, v108, -v7 :: v_dual_fma_f32 v160, v146, v110, -v9
	v_pk_fma_f32 v[108:109], v[128:129], v[112:113], v[162:163] op_sel_hi:[1,0,1]
	s_delay_alu instid0(VALU_DEP_4) | instskip(SKIP_1) | instid1(VALU_DEP_4)
	v_pk_mul_f32 v[110:111], v[150:151], v[164:165] op_sel_hi:[1,0]
	v_pk_fma_f32 v[112:113], v[128:129], v[112:113], v[162:163] neg_lo:[0,0,1] neg_hi:[0,0,1]
	v_pk_add_f32 v[144:145], v[158:159], 0 op_sel_hi:[1,0]
	v_pk_mul_f32 v[166:167], v[132:133], v[116:117] op_sel:[1,1] op_sel_hi:[0,1]
	v_mov_b32_e32 v113, v109
	v_pk_fma_f32 v[108:109], v[130:131], v[114:115], v[110:111] op_sel_hi:[1,0,1]
	v_pk_fma_f32 v[110:111], v[130:131], v[114:115], v[110:111] neg_lo:[0,0,1] neg_hi:[0,0,1]
	v_pk_add_f32 v[128:129], v[144:145], v[160:161]
	v_pk_fma_f32 v[144:145], v[132:133], v[116:117], v[166:167] op_sel_hi:[1,0,1]
	v_pk_mul_f32 v[150:151], v[152:153], v[168:169] op_sel_hi:[1,0]
	v_mov_b32_e32 v111, v109
	s_wait_loadcnt 0x2
	v_pk_mul_f32 v[146:147], v[136:137], v[120:121] op_sel:[1,1] op_sel_hi:[0,1]
	v_pk_add_f32 v[108:109], v[128:129], v[112:113]
	v_mov_b32_e32 v112, v123
	v_pk_fma_f32 v[114:115], v[132:133], v[116:117], v[166:167] neg_lo:[0,0,1] neg_hi:[0,0,1]
	v_mov_b32_e32 v115, v145
	v_pk_fma_f32 v[116:117], v[134:135], v[118:119], v[150:151] op_sel_hi:[1,0,1]
	v_pk_add_f32 v[108:109], v[108:109], v[110:111]
	v_pk_fma_f32 v[110:111], v[136:137], v[120:121], v[146:147] op_sel_hi:[1,0,1]
	v_pk_mul_f32 v[112:113], v[154:155], v[112:113] op_sel_hi:[1,0]
	v_pk_fma_f32 v[118:119], v[134:135], v[118:119], v[150:151] neg_lo:[0,0,1] neg_hi:[0,0,1]
	v_mov_b32_e32 v119, v117
	v_pk_add_f32 v[108:109], v[108:109], v[114:115]
	v_pk_fma_f32 v[116:117], v[136:137], v[120:121], v[146:147] neg_lo:[0,0,1] neg_hi:[0,0,1]
	v_mov_b32_e32 v117, v111
	v_pk_fma_f32 v[110:111], v[138:139], v[122:123], v[112:113] op_sel_hi:[1,0,1]
	s_wait_loadcnt 0x1
	v_pk_mul_f32 v[114:115], v[140:141], v[124:125] op_sel:[1,1] op_sel_hi:[0,1]
	v_pk_add_f32 v[108:109], v[108:109], v[118:119]
	v_mov_b32_e32 v110, v127
	v_pk_fma_f32 v[112:113], v[138:139], v[122:123], v[112:113] neg_lo:[0,0,1] neg_hi:[0,0,1]
	v_mov_b32_e32 v113, v111
	v_pk_fma_f32 v[118:119], v[140:141], v[124:125], v[114:115] op_sel_hi:[1,0,1]
	v_pk_add_f32 v[108:109], v[108:109], v[116:117]
	v_pk_mul_f32 v[110:111], v[156:157], v[110:111] op_sel_hi:[1,0]
	v_pk_fma_f32 v[114:115], v[140:141], v[124:125], v[114:115] neg_lo:[0,0,1] neg_hi:[0,0,1]
	s_delay_alu instid0(VALU_DEP_3) | instskip(NEXT) | instid1(VALU_DEP_3)
	v_pk_add_f32 v[108:109], v[108:109], v[112:113]
	v_pk_fma_f32 v[112:113], v[142:143], v[126:127], v[110:111] op_sel_hi:[1,0,1]
	v_mov_b32_e32 v115, v119
	v_pk_fma_f32 v[110:111], v[142:143], v[126:127], v[110:111] neg_lo:[0,0,1] neg_hi:[0,0,1]
	s_delay_alu instid0(VALU_DEP_3) | instskip(NEXT) | instid1(VALU_DEP_3)
	v_mov_b32_e32 v111, v113
	v_pk_add_f32 v[108:109], v[108:109], v[114:115]
	s_delay_alu instid0(VALU_DEP_1) | instskip(SKIP_1) | instid1(VALU_DEP_1)
	v_pk_add_f32 v[108:109], v[108:109], v[110:111]
	s_wait_loadcnt 0x0
	v_pk_add_f32 v[108:109], v[148:149], v[108:109] neg_lo:[0,1] neg_hi:[0,1]
	scratch_store_b64 off, v[108:109], off offset:336
	s_wait_xcnt 0x0
	v_cmpx_lt_u32_e32 41, v0
	s_cbranch_execz .LBB116_249
; %bb.248:
	scratch_load_b64 v[108:109], off, off offset:328
	v_mov_b64_e32 v[110:111], 0
	scratch_store_b64 off, v[110:111], off offset:328
	s_wait_loadcnt 0x0
	ds_store_b64 v1, v[108:109]
.LBB116_249:
	s_wait_xcnt 0x0
	s_or_b32 exec_lo, exec_lo, s0
	s_wait_storecnt_dscnt 0x0
	s_barrier_signal -1
	s_barrier_wait -1
	s_clause 0x6
	scratch_load_b128 v[108:111], off, off offset:336
	scratch_load_b128 v[112:115], off, off offset:352
	;; [unrolled: 1-line block ×5, first 2 shown]
	scratch_load_b64 v[148:149], off, off offset:416
	scratch_load_b64 v[150:151], off, off offset:328
	v_mov_b32_e32 v7, 0
	ds_load_b128 v[128:131], v7 offset:784
	ds_load_b128 v[132:135], v7 offset:800
	;; [unrolled: 1-line block ×5, first 2 shown]
	ds_load_b64 v[152:153], v7 offset:848
	s_mov_b32 s0, exec_lo
	s_wait_dscnt 0x5
	v_dual_mov_b32 v154, v131 :: v_dual_mov_b32 v155, v130
	s_wait_dscnt 0x2
	v_dual_mov_b32 v156, v135 :: v_dual_mov_b32 v161, v142
	v_dual_mov_b32 v157, v134 :: v_dual_mov_b32 v158, v139
	;; [unrolled: 1-line block ×3, first 2 shown]
	s_wait_loadcnt_dscnt 0x601
	v_dual_mul_f32 v9, v144, v109 :: v_dual_mul_f32 v11, v145, v109
	v_dual_mul_f32 v13, v147, v111 :: v_dual_mul_f32 v163, v146, v111
	s_wait_loadcnt 0x5
	v_dual_mul_f32 v165, v128, v113 :: v_dual_mul_f32 v15, v129, v113
	s_wait_loadcnt 0x4
	v_dual_mov_b32 v164, v115 :: v_dual_mov_b32 v168, v119
	v_dual_fmac_f32 v9, v145, v108 :: v_dual_fma_f32 v11, v144, v108, -v11
	v_dual_fma_f32 v162, v146, v110, -v13 :: v_dual_fmac_f32 v163, v147, v110
	s_delay_alu instid0(VALU_DEP_3) | instskip(NEXT) | instid1(VALU_DEP_3)
	v_pk_mul_f32 v[108:109], v[154:155], v[164:165] op_sel_hi:[1,0]
	v_dual_add_f32 v111, 0, v9 :: v_dual_add_f32 v110, 0, v11
	s_wait_loadcnt 0x3
	v_mov_b32_e32 v144, v123
	v_pk_mul_f32 v[166:167], v[132:133], v[116:117] op_sel:[1,1] op_sel_hi:[0,1]
	v_dual_fmac_f32 v165, v129, v112 :: v_dual_fma_f32 v164, v128, v112, -v15
	v_pk_fma_f32 v[112:113], v[130:131], v[114:115], v[108:109] op_sel_hi:[1,0,1]
	v_pk_add_f32 v[110:111], v[110:111], v[162:163]
	v_pk_fma_f32 v[108:109], v[130:131], v[114:115], v[108:109] neg_lo:[0,0,1] neg_hi:[0,0,1]
	v_pk_fma_f32 v[128:129], v[132:133], v[116:117], v[166:167] op_sel_hi:[1,0,1]
	v_pk_mul_f32 v[146:147], v[156:157], v[168:169] op_sel_hi:[1,0]
	v_mov_b32_e32 v109, v113
	v_pk_add_f32 v[110:111], v[110:111], v[164:165]
	v_pk_fma_f32 v[114:115], v[132:133], v[116:117], v[166:167] neg_lo:[0,0,1] neg_hi:[0,0,1]
	v_pk_mul_f32 v[170:171], v[136:137], v[120:121] op_sel:[1,1] op_sel_hi:[0,1]
	v_mov_b32_e32 v115, v129
	v_pk_fma_f32 v[116:117], v[134:135], v[118:119], v[146:147] op_sel_hi:[1,0,1]
	v_pk_add_f32 v[108:109], v[110:111], v[108:109]
	v_pk_fma_f32 v[118:119], v[134:135], v[118:119], v[146:147] neg_lo:[0,0,1] neg_hi:[0,0,1]
	v_pk_fma_f32 v[110:111], v[136:137], v[120:121], v[170:171] op_sel_hi:[1,0,1]
	v_pk_mul_f32 v[128:129], v[158:159], v[144:145] op_sel_hi:[1,0]
	s_wait_loadcnt 0x2
	v_dual_mov_b32 v119, v117 :: v_dual_mov_b32 v110, v127
	v_pk_add_f32 v[108:109], v[108:109], v[114:115]
	v_pk_fma_f32 v[114:115], v[136:137], v[120:121], v[170:171] neg_lo:[0,0,1] neg_hi:[0,0,1]
	v_pk_mul_f32 v[112:113], v[140:141], v[124:125] op_sel:[1,1] op_sel_hi:[0,1]
	v_pk_fma_f32 v[116:117], v[138:139], v[122:123], v[128:129] op_sel_hi:[1,0,1]
	v_mov_b32_e32 v115, v111
	v_pk_add_f32 v[108:109], v[108:109], v[118:119]
	v_pk_fma_f32 v[120:121], v[138:139], v[122:123], v[128:129] neg_lo:[0,0,1] neg_hi:[0,0,1]
	v_pk_fma_f32 v[118:119], v[140:141], v[124:125], v[112:113] op_sel_hi:[1,0,1]
	v_pk_mul_f32 v[110:111], v[160:161], v[110:111] op_sel_hi:[1,0]
	v_mov_b32_e32 v121, v117
	v_pk_add_f32 v[108:109], v[108:109], v[114:115]
	v_pk_fma_f32 v[112:113], v[140:141], v[124:125], v[112:113] neg_lo:[0,0,1] neg_hi:[0,0,1]
	s_wait_loadcnt_dscnt 0x100
	v_pk_mul_f32 v[116:117], v[152:153], v[148:149] op_sel:[1,1] op_sel_hi:[0,1]
	v_pk_fma_f32 v[114:115], v[142:143], v[126:127], v[110:111] op_sel_hi:[1,0,1]
	v_mov_b32_e32 v113, v119
	v_pk_add_f32 v[108:109], v[108:109], v[120:121]
	v_pk_fma_f32 v[110:111], v[142:143], v[126:127], v[110:111] neg_lo:[0,0,1] neg_hi:[0,0,1]
	s_delay_alu instid0(VALU_DEP_4) | instskip(SKIP_1) | instid1(VALU_DEP_4)
	v_mov_b32_e32 v111, v115
	v_pk_fma_f32 v[114:115], v[152:153], v[148:149], v[116:117] neg_lo:[0,0,1] neg_hi:[0,0,1]
	v_pk_add_f32 v[108:109], v[108:109], v[112:113]
	v_pk_fma_f32 v[112:113], v[152:153], v[148:149], v[116:117] op_sel_hi:[1,0,1]
	s_delay_alu instid0(VALU_DEP_2) | instskip(NEXT) | instid1(VALU_DEP_2)
	v_pk_add_f32 v[108:109], v[108:109], v[110:111]
	v_mov_b32_e32 v115, v113
	s_delay_alu instid0(VALU_DEP_1) | instskip(SKIP_1) | instid1(VALU_DEP_1)
	v_pk_add_f32 v[108:109], v[108:109], v[114:115]
	s_wait_loadcnt 0x0
	v_pk_add_f32 v[108:109], v[150:151], v[108:109] neg_lo:[0,1] neg_hi:[0,1]
	scratch_store_b64 off, v[108:109], off offset:328
	s_wait_xcnt 0x0
	v_cmpx_lt_u32_e32 40, v0
	s_cbranch_execz .LBB116_251
; %bb.250:
	scratch_load_b64 v[108:109], off, off offset:320
	v_mov_b64_e32 v[110:111], 0
	scratch_store_b64 off, v[110:111], off offset:320
	s_wait_loadcnt 0x0
	ds_store_b64 v1, v[108:109]
.LBB116_251:
	s_wait_xcnt 0x0
	s_or_b32 exec_lo, exec_lo, s0
	s_wait_storecnt_dscnt 0x0
	s_barrier_signal -1
	s_barrier_wait -1
	s_clause 0x6
	scratch_load_b128 v[108:111], off, off offset:328
	scratch_load_b128 v[112:115], off, off offset:344
	scratch_load_b128 v[116:119], off, off offset:360
	scratch_load_b128 v[120:123], off, off offset:376
	scratch_load_b128 v[124:127], off, off offset:392
	scratch_load_b128 v[128:131], off, off offset:408
	scratch_load_b64 v[156:157], off, off offset:320
	ds_load_2addr_b64 v[132:135], v7 offset0:99 offset1:100
	ds_load_2addr_b64 v[136:139], v7 offset0:101 offset1:102
	;; [unrolled: 1-line block ×6, first 2 shown]
	s_mov_b32 s0, exec_lo
	s_wait_dscnt 0x5
	v_dual_mov_b32 v158, v135 :: v_dual_mov_b32 v159, v134
	s_wait_dscnt 0x4
	v_dual_mov_b32 v160, v139 :: v_dual_mov_b32 v161, v138
	;; [unrolled: 2-line block ×4, first 2 shown]
	s_wait_loadcnt_dscnt 0x601
	v_dual_mul_f32 v7, v148, v109 :: v_dual_mul_f32 v9, v150, v111
	v_dual_mul_f32 v11, v149, v109 :: v_dual_mul_f32 v13, v151, v111
	s_wait_loadcnt 0x4
	s_delay_alu instid0(VALU_DEP_2)
	v_dual_mov_b32 v172, v119 :: v_dual_fmac_f32 v7, v149, v108
	s_wait_dscnt 0x0
	v_dual_mul_f32 v167, v152, v113 :: v_dual_mul_f32 v169, v154, v115
	v_dual_fma_f32 v11, v148, v108, -v11 :: v_dual_fmac_f32 v9, v151, v110
	v_dual_mul_f32 v15, v153, v113 :: v_dual_mul_f32 v17, v155, v115
	v_dual_fma_f32 v13, v150, v110, -v13 :: v_dual_add_f32 v7, 0, v7
	s_wait_loadcnt 0x3
	s_delay_alu instid0(VALU_DEP_3) | instskip(SKIP_3) | instid1(VALU_DEP_4)
	v_dual_add_f32 v11, 0, v11 :: v_dual_mov_b32 v110, v123
	v_pk_mul_f32 v[170:171], v[132:133], v[116:117] op_sel:[1,1] op_sel_hi:[0,1]
	v_pk_mul_f32 v[108:109], v[136:137], v[120:121] op_sel:[1,1] op_sel_hi:[0,1]
	v_dual_fmac_f32 v167, v153, v112 :: v_dual_add_f32 v113, v7, v9
	v_dual_fma_f32 v166, v152, v112, -v15 :: v_dual_add_f32 v112, v11, v13
	v_fmac_f32_e32 v169, v155, v114
	v_fma_f32 v168, v154, v114, -v17
	v_pk_fma_f32 v[114:115], v[132:133], v[116:117], v[170:171] op_sel_hi:[1,0,1]
	v_pk_mul_f32 v[148:149], v[158:159], v[172:173] op_sel_hi:[1,0]
	v_pk_add_f32 v[112:113], v[112:113], v[166:167]
	v_pk_fma_f32 v[116:117], v[132:133], v[116:117], v[170:171] neg_lo:[0,0,1] neg_hi:[0,0,1]
	v_pk_fma_f32 v[132:133], v[136:137], v[120:121], v[108:109] op_sel_hi:[1,0,1]
	v_pk_fma_f32 v[108:109], v[136:137], v[120:121], v[108:109] neg_lo:[0,0,1] neg_hi:[0,0,1]
	v_mov_b32_e32 v117, v115
	v_pk_fma_f32 v[114:115], v[134:135], v[118:119], v[148:149] op_sel_hi:[1,0,1]
	v_pk_fma_f32 v[118:119], v[134:135], v[118:119], v[148:149] neg_lo:[0,0,1] neg_hi:[0,0,1]
	v_mov_b32_e32 v109, v133
	v_pk_add_f32 v[112:113], v[112:113], v[168:169]
	v_pk_mul_f32 v[110:111], v[160:161], v[110:111] op_sel_hi:[1,0]
	s_wait_loadcnt 0x2
	v_dual_mov_b32 v119, v115 :: v_dual_mov_b32 v114, v127
	v_pk_mul_f32 v[150:151], v[140:141], v[124:125] op_sel:[1,1] op_sel_hi:[0,1]
	v_pk_add_f32 v[112:113], v[112:113], v[116:117]
	v_pk_fma_f32 v[116:117], v[138:139], v[122:123], v[110:111] op_sel_hi:[1,0,1]
	v_pk_fma_f32 v[110:111], v[138:139], v[122:123], v[110:111] neg_lo:[0,0,1] neg_hi:[0,0,1]
	v_pk_mul_f32 v[114:115], v[162:163], v[114:115] op_sel_hi:[1,0]
	s_delay_alu instid0(VALU_DEP_4) | instskip(SKIP_3) | instid1(VALU_DEP_4)
	v_pk_add_f32 v[112:113], v[112:113], v[118:119]
	v_pk_fma_f32 v[118:119], v[140:141], v[124:125], v[150:151] op_sel_hi:[1,0,1]
	v_mov_b32_e32 v111, v117
	v_pk_fma_f32 v[116:117], v[140:141], v[124:125], v[150:151] neg_lo:[0,0,1] neg_hi:[0,0,1]
	v_pk_add_f32 v[108:109], v[112:113], v[108:109]
	s_wait_loadcnt 0x1
	v_pk_mul_f32 v[112:113], v[144:145], v[128:129] op_sel:[1,1] op_sel_hi:[0,1]
	v_mov_b32_e32 v117, v119
	v_pk_fma_f32 v[118:119], v[142:143], v[126:127], v[114:115] op_sel_hi:[1,0,1]
	v_pk_fma_f32 v[114:115], v[142:143], v[126:127], v[114:115] neg_lo:[0,0,1] neg_hi:[0,0,1]
	v_pk_add_f32 v[108:109], v[108:109], v[110:111]
	v_mov_b32_e32 v110, v131
	v_pk_fma_f32 v[120:121], v[144:145], v[128:129], v[112:113] op_sel_hi:[1,0,1]
	v_mov_b32_e32 v115, v119
	v_pk_fma_f32 v[112:113], v[144:145], v[128:129], v[112:113] neg_lo:[0,0,1] neg_hi:[0,0,1]
	v_pk_add_f32 v[108:109], v[108:109], v[116:117]
	v_pk_mul_f32 v[110:111], v[164:165], v[110:111] op_sel_hi:[1,0]
	s_delay_alu instid0(VALU_DEP_2) | instskip(NEXT) | instid1(VALU_DEP_2)
	v_pk_add_f32 v[108:109], v[108:109], v[114:115]
	v_pk_fma_f32 v[114:115], v[146:147], v[130:131], v[110:111] op_sel_hi:[1,0,1]
	v_mov_b32_e32 v113, v121
	v_pk_fma_f32 v[110:111], v[146:147], v[130:131], v[110:111] neg_lo:[0,0,1] neg_hi:[0,0,1]
	s_delay_alu instid0(VALU_DEP_3) | instskip(NEXT) | instid1(VALU_DEP_3)
	v_mov_b32_e32 v111, v115
	v_pk_add_f32 v[108:109], v[108:109], v[112:113]
	s_delay_alu instid0(VALU_DEP_1) | instskip(SKIP_1) | instid1(VALU_DEP_1)
	v_pk_add_f32 v[108:109], v[108:109], v[110:111]
	s_wait_loadcnt 0x0
	v_pk_add_f32 v[108:109], v[156:157], v[108:109] neg_lo:[0,1] neg_hi:[0,1]
	scratch_store_b64 off, v[108:109], off offset:320
	s_wait_xcnt 0x0
	v_cmpx_lt_u32_e32 39, v0
	s_cbranch_execz .LBB116_253
; %bb.252:
	scratch_load_b64 v[108:109], off, off offset:312
	v_mov_b64_e32 v[110:111], 0
	scratch_store_b64 off, v[110:111], off offset:312
	s_wait_loadcnt 0x0
	ds_store_b64 v1, v[108:109]
.LBB116_253:
	s_wait_xcnt 0x0
	s_or_b32 exec_lo, exec_lo, s0
	s_wait_storecnt_dscnt 0x0
	s_barrier_signal -1
	s_barrier_wait -1
	s_clause 0x7
	scratch_load_b128 v[108:111], off, off offset:320
	scratch_load_b128 v[112:115], off, off offset:336
	;; [unrolled: 1-line block ×6, first 2 shown]
	scratch_load_b64 v[156:157], off, off offset:416
	scratch_load_b64 v[158:159], off, off offset:312
	v_mov_b32_e32 v7, 0
	ds_load_b128 v[132:135], v7 offset:784
	ds_load_b128 v[136:139], v7 offset:800
	;; [unrolled: 1-line block ×6, first 2 shown]
	ds_load_b64 v[160:161], v7 offset:848
	s_mov_b32 s0, exec_lo
	s_wait_dscnt 0x6
	v_dual_mov_b32 v162, v135 :: v_dual_mov_b32 v163, v134
	s_wait_dscnt 0x3
	v_dual_mov_b32 v164, v139 :: v_dual_mov_b32 v169, v146
	v_dual_mov_b32 v165, v138 :: v_dual_mov_b32 v166, v143
	v_dual_mov_b32 v167, v142 :: v_dual_mov_b32 v168, v147
	s_wait_loadcnt_dscnt 0x702
	v_dual_mul_f32 v9, v148, v109 :: v_dual_mul_f32 v15, v149, v109
	v_dual_mul_f32 v17, v151, v111 :: v_dual_mul_f32 v11, v150, v111
	s_wait_loadcnt_dscnt 0x601
	s_delay_alu instid0(VALU_DEP_2) | instskip(NEXT) | instid1(VALU_DEP_3)
	v_dual_mul_f32 v13, v152, v113 :: v_dual_fmac_f32 v9, v149, v108
	v_dual_fma_f32 v15, v148, v108, -v15 :: v_dual_mul_f32 v19, v153, v113
	v_mul_f32_e32 v21, v155, v115
	s_wait_loadcnt 0x4
	v_dual_mov_b32 v108, v123 :: v_dual_fma_f32 v17, v150, v110, -v17
	v_dual_fmac_f32 v11, v151, v110 :: v_dual_add_f32 v9, 0, v9
	v_dual_add_f32 v15, 0, v15 :: v_dual_fmac_f32 v13, v153, v112
	v_dual_mul_f32 v171, v154, v115 :: v_dual_mul_f32 v173, v132, v117
	v_dual_mul_f32 v23, v133, v117 :: v_dual_mov_b32 v172, v119
	s_delay_alu instid0(VALU_DEP_4) | instskip(NEXT) | instid1(VALU_DEP_4)
	v_dual_fma_f32 v19, v152, v112, -v19 :: v_dual_add_f32 v9, v9, v11
	v_dual_add_f32 v11, v15, v17 :: v_dual_fma_f32 v170, v154, v114, -v21
	s_delay_alu instid0(VALU_DEP_4) | instskip(NEXT) | instid1(VALU_DEP_4)
	v_fmac_f32_e32 v171, v155, v114
	v_pk_mul_f32 v[112:113], v[162:163], v[172:173] op_sel_hi:[1,0]
	s_delay_alu instid0(VALU_DEP_3)
	v_dual_add_f32 v115, v9, v13 :: v_dual_add_f32 v114, v11, v19
	v_fmac_f32_e32 v173, v133, v116
	v_pk_mul_f32 v[174:175], v[136:137], v[120:121] op_sel:[1,1] op_sel_hi:[0,1]
	s_wait_loadcnt 0x3
	v_dual_mov_b32 v148, v127 :: v_dual_fma_f32 v172, v132, v116, -v23
	v_pk_fma_f32 v[116:117], v[134:135], v[118:119], v[112:113] op_sel_hi:[1,0,1]
	v_pk_add_f32 v[114:115], v[114:115], v[170:171]
	v_pk_fma_f32 v[112:113], v[134:135], v[118:119], v[112:113] neg_lo:[0,0,1] neg_hi:[0,0,1]
	v_pk_fma_f32 v[132:133], v[136:137], v[120:121], v[174:175] op_sel_hi:[1,0,1]
	v_pk_mul_f32 v[108:109], v[164:165], v[108:109] op_sel_hi:[1,0]
	v_mov_b32_e32 v113, v117
	v_pk_add_f32 v[114:115], v[114:115], v[172:173]
	v_pk_fma_f32 v[118:119], v[136:137], v[120:121], v[174:175] neg_lo:[0,0,1] neg_hi:[0,0,1]
	v_pk_mul_f32 v[110:111], v[140:141], v[124:125] op_sel:[1,1] op_sel_hi:[0,1]
	v_mov_b32_e32 v119, v133
	v_pk_fma_f32 v[120:121], v[138:139], v[122:123], v[108:109] op_sel_hi:[1,0,1]
	v_pk_add_f32 v[112:113], v[114:115], v[112:113]
	v_pk_fma_f32 v[108:109], v[138:139], v[122:123], v[108:109] neg_lo:[0,0,1] neg_hi:[0,0,1]
	v_pk_fma_f32 v[114:115], v[140:141], v[124:125], v[110:111] op_sel_hi:[1,0,1]
	v_pk_mul_f32 v[132:133], v[166:167], v[148:149] op_sel_hi:[1,0]
	s_wait_loadcnt 0x2
	v_dual_mov_b32 v109, v121 :: v_dual_mov_b32 v114, v131
	v_pk_add_f32 v[112:113], v[112:113], v[118:119]
	v_pk_fma_f32 v[110:111], v[140:141], v[124:125], v[110:111] neg_lo:[0,0,1] neg_hi:[0,0,1]
	v_pk_mul_f32 v[116:117], v[144:145], v[128:129] op_sel:[1,1] op_sel_hi:[0,1]
	v_pk_fma_f32 v[118:119], v[142:143], v[126:127], v[132:133] op_sel_hi:[1,0,1]
	v_mov_b32_e32 v111, v115
	v_pk_add_f32 v[108:109], v[112:113], v[108:109]
	v_pk_fma_f32 v[120:121], v[142:143], v[126:127], v[132:133] neg_lo:[0,0,1] neg_hi:[0,0,1]
	v_pk_fma_f32 v[112:113], v[144:145], v[128:129], v[116:117] op_sel_hi:[1,0,1]
	v_pk_mul_f32 v[114:115], v[168:169], v[114:115] op_sel_hi:[1,0]
	v_mov_b32_e32 v121, v119
	v_pk_add_f32 v[108:109], v[108:109], v[110:111]
	v_pk_fma_f32 v[110:111], v[144:145], v[128:129], v[116:117] neg_lo:[0,0,1] neg_hi:[0,0,1]
	v_mov_b32_e32 v111, v113
	v_pk_fma_f32 v[112:113], v[146:147], v[130:131], v[114:115] op_sel_hi:[1,0,1]
	s_wait_loadcnt_dscnt 0x100
	v_pk_mul_f32 v[116:117], v[160:161], v[156:157] op_sel:[1,1] op_sel_hi:[0,1]
	v_pk_add_f32 v[108:109], v[108:109], v[120:121]
	v_pk_fma_f32 v[114:115], v[146:147], v[130:131], v[114:115] neg_lo:[0,0,1] neg_hi:[0,0,1]
	v_mov_b32_e32 v115, v113
	s_delay_alu instid0(VALU_DEP_4) | instskip(NEXT) | instid1(VALU_DEP_4)
	v_pk_fma_f32 v[112:113], v[160:161], v[156:157], v[116:117] neg_lo:[0,0,1] neg_hi:[0,0,1]
	v_pk_add_f32 v[108:109], v[108:109], v[110:111]
	v_pk_fma_f32 v[110:111], v[160:161], v[156:157], v[116:117] op_sel_hi:[1,0,1]
	s_delay_alu instid0(VALU_DEP_2) | instskip(NEXT) | instid1(VALU_DEP_2)
	v_pk_add_f32 v[108:109], v[108:109], v[114:115]
	v_mov_b32_e32 v113, v111
	s_delay_alu instid0(VALU_DEP_1) | instskip(SKIP_1) | instid1(VALU_DEP_1)
	v_pk_add_f32 v[108:109], v[108:109], v[112:113]
	s_wait_loadcnt 0x0
	v_pk_add_f32 v[108:109], v[158:159], v[108:109] neg_lo:[0,1] neg_hi:[0,1]
	scratch_store_b64 off, v[108:109], off offset:312
	s_wait_xcnt 0x0
	v_cmpx_lt_u32_e32 38, v0
	s_cbranch_execz .LBB116_255
; %bb.254:
	scratch_load_b64 v[108:109], off, off offset:304
	v_mov_b64_e32 v[110:111], 0
	scratch_store_b64 off, v[110:111], off offset:304
	s_wait_loadcnt 0x0
	ds_store_b64 v1, v[108:109]
.LBB116_255:
	s_wait_xcnt 0x0
	s_or_b32 exec_lo, exec_lo, s0
	s_wait_storecnt_dscnt 0x0
	s_barrier_signal -1
	s_barrier_wait -1
	s_clause 0x7
	scratch_load_b128 v[108:111], off, off offset:312
	scratch_load_b128 v[112:115], off, off offset:328
	;; [unrolled: 1-line block ×7, first 2 shown]
	scratch_load_b64 v[164:165], off, off offset:304
	ds_load_2addr_b64 v[136:139], v7 offset0:99 offset1:100
	ds_load_2addr_b64 v[140:143], v7 offset0:101 offset1:102
	;; [unrolled: 1-line block ×7, first 2 shown]
	s_mov_b32 s0, exec_lo
	s_wait_dscnt 0x6
	v_dual_mov_b32 v166, v139 :: v_dual_mov_b32 v167, v138
	s_wait_dscnt 0x5
	v_dual_mov_b32 v168, v143 :: v_dual_mov_b32 v169, v142
	;; [unrolled: 2-line block ×4, first 2 shown]
	s_wait_loadcnt_dscnt 0x702
	v_dual_mul_f32 v7, v152, v109 :: v_dual_mul_f32 v9, v154, v111
	v_dual_mul_f32 v15, v153, v109 :: v_dual_mul_f32 v17, v155, v111
	s_wait_loadcnt_dscnt 0x601
	v_dual_mul_f32 v11, v156, v113 :: v_dual_mul_f32 v13, v158, v115
	s_delay_alu instid0(VALU_DEP_3) | instskip(NEXT) | instid1(VALU_DEP_3)
	v_dual_fmac_f32 v7, v153, v108 :: v_dual_fmac_f32 v9, v155, v110
	v_dual_fma_f32 v15, v152, v108, -v15 :: v_dual_fma_f32 v17, v154, v110, -v17
	v_dual_mul_f32 v19, v157, v113 :: v_dual_mul_f32 v21, v159, v115
	s_wait_loadcnt 0x4
	s_delay_alu instid0(VALU_DEP_3) | instskip(NEXT) | instid1(VALU_DEP_3)
	v_dual_add_f32 v7, 0, v7 :: v_dual_mov_b32 v110, v123
	v_dual_add_f32 v15, 0, v15 :: v_dual_fmac_f32 v11, v157, v112
	s_delay_alu instid0(VALU_DEP_2) | instskip(SKIP_2) | instid1(VALU_DEP_3)
	v_dual_fma_f32 v19, v156, v112, -v19 :: v_dual_add_f32 v7, v7, v9
	s_wait_dscnt 0x0
	v_dual_mul_f32 v175, v160, v117 :: v_dual_mul_f32 v177, v162, v119
	v_dual_add_f32 v9, v15, v17 :: v_dual_fma_f32 v15, v158, v114, -v21
	v_dual_mul_f32 v23, v161, v117 :: v_dual_mul_f32 v25, v163, v119
	s_delay_alu instid0(VALU_DEP_2) | instskip(NEXT) | instid1(VALU_DEP_4)
	v_dual_fmac_f32 v13, v159, v114 :: v_dual_add_f32 v9, v9, v19
	v_dual_add_f32 v7, v7, v11 :: v_dual_fmac_f32 v175, v161, v116
	v_pk_mul_f32 v[108:109], v[136:137], v[120:121] op_sel:[1,1] op_sel_hi:[0,1]
	s_wait_loadcnt 0x3
	v_pk_mul_f32 v[112:113], v[140:141], v[124:125] op_sel:[1,1] op_sel_hi:[0,1]
	v_dual_mov_b32 v114, v127 :: v_dual_fma_f32 v174, v160, v116, -v23
	v_dual_add_f32 v117, v7, v13 :: v_dual_add_f32 v116, v9, v15
	v_fmac_f32_e32 v177, v163, v118
	v_fma_f32 v176, v162, v118, -v25
	v_pk_fma_f32 v[118:119], v[136:137], v[120:121], v[108:109] op_sel_hi:[1,0,1]
	v_pk_mul_f32 v[110:111], v[166:167], v[110:111] op_sel_hi:[1,0]
	v_pk_add_f32 v[116:117], v[116:117], v[174:175]
	v_pk_fma_f32 v[108:109], v[136:137], v[120:121], v[108:109] neg_lo:[0,0,1] neg_hi:[0,0,1]
	v_pk_fma_f32 v[120:121], v[140:141], v[124:125], v[112:113] op_sel_hi:[1,0,1]
	v_pk_fma_f32 v[112:113], v[140:141], v[124:125], v[112:113] neg_lo:[0,0,1] neg_hi:[0,0,1]
	v_mov_b32_e32 v109, v119
	v_pk_fma_f32 v[118:119], v[138:139], v[122:123], v[110:111] op_sel_hi:[1,0,1]
	v_pk_fma_f32 v[110:111], v[138:139], v[122:123], v[110:111] neg_lo:[0,0,1] neg_hi:[0,0,1]
	v_mov_b32_e32 v113, v121
	v_pk_add_f32 v[116:117], v[116:117], v[176:177]
	v_pk_mul_f32 v[114:115], v[168:169], v[114:115] op_sel_hi:[1,0]
	v_mov_b32_e32 v111, v119
	s_wait_loadcnt 0x2
	v_pk_mul_f32 v[152:153], v[144:145], v[128:129] op_sel:[1,1] op_sel_hi:[0,1]
	v_pk_add_f32 v[108:109], v[116:117], v[108:109]
	v_mov_b32_e32 v116, v131
	v_pk_fma_f32 v[118:119], v[142:143], v[126:127], v[114:115] op_sel_hi:[1,0,1]
	v_pk_fma_f32 v[114:115], v[142:143], v[126:127], v[114:115] neg_lo:[0,0,1] neg_hi:[0,0,1]
	s_delay_alu instid0(VALU_DEP_4)
	v_pk_add_f32 v[108:109], v[108:109], v[110:111]
	v_pk_fma_f32 v[110:111], v[144:145], v[128:129], v[152:153] op_sel_hi:[1,0,1]
	v_pk_mul_f32 v[116:117], v[170:171], v[116:117] op_sel_hi:[1,0]
	v_mov_b32_e32 v115, v119
	v_pk_fma_f32 v[118:119], v[144:145], v[128:129], v[152:153] neg_lo:[0,0,1] neg_hi:[0,0,1]
	v_pk_add_f32 v[108:109], v[108:109], v[112:113]
	v_mov_b32_e32 v119, v111
	v_pk_fma_f32 v[110:111], v[146:147], v[130:131], v[116:117] op_sel_hi:[1,0,1]
	s_wait_loadcnt 0x1
	v_pk_mul_f32 v[112:113], v[148:149], v[132:133] op_sel:[1,1] op_sel_hi:[0,1]
	v_mov_b32_e32 v110, v135
	v_pk_add_f32 v[108:109], v[108:109], v[114:115]
	v_pk_fma_f32 v[116:117], v[146:147], v[130:131], v[116:117] neg_lo:[0,0,1] neg_hi:[0,0,1]
	v_mov_b32_e32 v117, v111
	v_pk_fma_f32 v[114:115], v[148:149], v[132:133], v[112:113] op_sel_hi:[1,0,1]
	v_pk_mul_f32 v[110:111], v[172:173], v[110:111] op_sel_hi:[1,0]
	v_pk_add_f32 v[108:109], v[108:109], v[118:119]
	v_pk_fma_f32 v[112:113], v[148:149], v[132:133], v[112:113] neg_lo:[0,0,1] neg_hi:[0,0,1]
	s_delay_alu instid0(VALU_DEP_4) | instskip(NEXT) | instid1(VALU_DEP_4)
	v_mov_b32_e32 v113, v115
	v_pk_fma_f32 v[114:115], v[150:151], v[134:135], v[110:111] op_sel_hi:[1,0,1]
	s_delay_alu instid0(VALU_DEP_4) | instskip(SKIP_1) | instid1(VALU_DEP_3)
	v_pk_add_f32 v[108:109], v[108:109], v[116:117]
	v_pk_fma_f32 v[110:111], v[150:151], v[134:135], v[110:111] neg_lo:[0,0,1] neg_hi:[0,0,1]
	v_mov_b32_e32 v111, v115
	s_delay_alu instid0(VALU_DEP_3) | instskip(NEXT) | instid1(VALU_DEP_1)
	v_pk_add_f32 v[108:109], v[108:109], v[112:113]
	v_pk_add_f32 v[108:109], v[108:109], v[110:111]
	s_wait_loadcnt 0x0
	s_delay_alu instid0(VALU_DEP_1)
	v_pk_add_f32 v[108:109], v[164:165], v[108:109] neg_lo:[0,1] neg_hi:[0,1]
	scratch_store_b64 off, v[108:109], off offset:304
	s_wait_xcnt 0x0
	v_cmpx_lt_u32_e32 37, v0
	s_cbranch_execz .LBB116_257
; %bb.256:
	scratch_load_b64 v[108:109], off, off offset:296
	v_mov_b64_e32 v[110:111], 0
	scratch_store_b64 off, v[110:111], off offset:296
	s_wait_loadcnt 0x0
	ds_store_b64 v1, v[108:109]
.LBB116_257:
	s_wait_xcnt 0x0
	s_or_b32 exec_lo, exec_lo, s0
	s_wait_storecnt_dscnt 0x0
	s_barrier_signal -1
	s_barrier_wait -1
	s_clause 0x8
	scratch_load_b128 v[108:111], off, off offset:304
	scratch_load_b128 v[112:115], off, off offset:320
	;; [unrolled: 1-line block ×7, first 2 shown]
	scratch_load_b64 v[164:165], off, off offset:416
	scratch_load_b64 v[166:167], off, off offset:296
	v_mov_b32_e32 v7, 0
	ds_load_b128 v[136:139], v7 offset:784
	ds_load_b128 v[140:143], v7 offset:800
	;; [unrolled: 1-line block ×7, first 2 shown]
	ds_load_b64 v[168:169], v7 offset:848
	s_mov_b32 s0, exec_lo
	s_wait_dscnt 0x7
	v_dual_mov_b32 v170, v139 :: v_dual_mov_b32 v171, v138
	s_wait_dscnt 0x4
	v_dual_mov_b32 v172, v143 :: v_dual_mov_b32 v177, v150
	v_dual_mov_b32 v173, v142 :: v_dual_mov_b32 v174, v147
	;; [unrolled: 1-line block ×3, first 2 shown]
	s_wait_loadcnt_dscnt 0x803
	v_dual_mul_f32 v9, v152, v109 :: v_dual_mul_f32 v19, v153, v109
	v_dual_mul_f32 v21, v155, v111 :: v_dual_mul_f32 v11, v154, v111
	s_wait_loadcnt_dscnt 0x702
	v_mul_f32_e32 v13, v156, v113
	s_wait_loadcnt 0x5
	v_dual_mul_f32 v31, v137, v121 :: v_dual_fma_f32 v19, v152, v108, -v19
	v_dual_fmac_f32 v9, v153, v108 :: v_dual_mov_b32 v108, v123
	v_dual_mul_f32 v23, v157, v113 :: v_dual_mul_f32 v25, v159, v115
	v_dual_fmac_f32 v11, v155, v110 :: v_dual_fma_f32 v21, v154, v110, -v21
	s_delay_alu instid0(VALU_DEP_3) | instskip(SKIP_3) | instid1(VALU_DEP_3)
	v_dual_add_f32 v9, 0, v9 :: v_dual_add_f32 v19, 0, v19
	s_wait_dscnt 0x1
	v_dual_mul_f32 v15, v158, v115 :: v_dual_mul_f32 v17, v160, v117
	v_dual_fmac_f32 v13, v157, v112 :: v_dual_fma_f32 v23, v156, v112, -v23
	v_dual_add_f32 v9, v9, v11 :: v_dual_add_f32 v11, v19, v21
	v_dual_mul_f32 v27, v161, v117 :: v_dual_mul_f32 v29, v163, v119
	s_wait_loadcnt 0x4
	v_dual_mov_b32 v112, v127 :: v_dual_fma_f32 v19, v158, v114, -v25
	s_delay_alu instid0(VALU_DEP_3) | instskip(SKIP_2) | instid1(VALU_DEP_3)
	v_dual_fmac_f32 v15, v159, v114 :: v_dual_add_f32 v9, v9, v13
	v_dual_add_f32 v11, v11, v23 :: v_dual_fmac_f32 v17, v161, v116
	v_dual_mul_f32 v179, v162, v119 :: v_dual_mul_f32 v181, v136, v121
	v_dual_fma_f32 v13, v160, v116, -v27 :: v_dual_add_f32 v9, v9, v15
	s_delay_alu instid0(VALU_DEP_3) | instskip(NEXT) | instid1(VALU_DEP_3)
	v_dual_add_f32 v11, v11, v19 :: v_dual_fma_f32 v178, v162, v118, -v29
	v_fmac_f32_e32 v179, v163, v118
	v_pk_mul_f32 v[108:109], v[170:171], v[108:109] op_sel_hi:[1,0]
	s_delay_alu instid0(VALU_DEP_4) | instskip(NEXT) | instid1(VALU_DEP_4)
	v_add_f32_e32 v117, v9, v17
	v_dual_add_f32 v116, v11, v13 :: v_dual_fmac_f32 v181, v137, v120
	v_pk_mul_f32 v[110:111], v[140:141], v[124:125] op_sel:[1,1] op_sel_hi:[0,1]
	s_wait_loadcnt 0x3
	v_dual_mov_b32 v118, v131 :: v_dual_fma_f32 v180, v136, v120, -v31
	v_pk_fma_f32 v[120:121], v[138:139], v[122:123], v[108:109] op_sel_hi:[1,0,1]
	v_pk_add_f32 v[116:117], v[116:117], v[178:179]
	v_pk_fma_f32 v[108:109], v[138:139], v[122:123], v[108:109] neg_lo:[0,0,1] neg_hi:[0,0,1]
	v_pk_fma_f32 v[136:137], v[140:141], v[124:125], v[110:111] op_sel_hi:[1,0,1]
	v_pk_mul_f32 v[112:113], v[172:173], v[112:113] op_sel_hi:[1,0]
	v_mov_b32_e32 v109, v121
	v_pk_add_f32 v[116:117], v[116:117], v[180:181]
	v_pk_fma_f32 v[110:111], v[140:141], v[124:125], v[110:111] neg_lo:[0,0,1] neg_hi:[0,0,1]
	v_pk_mul_f32 v[114:115], v[144:145], v[128:129] op_sel:[1,1] op_sel_hi:[0,1]
	v_mov_b32_e32 v111, v137
	v_pk_fma_f32 v[122:123], v[142:143], v[126:127], v[112:113] op_sel_hi:[1,0,1]
	v_pk_add_f32 v[108:109], v[116:117], v[108:109]
	v_pk_fma_f32 v[112:113], v[142:143], v[126:127], v[112:113] neg_lo:[0,0,1] neg_hi:[0,0,1]
	v_pk_fma_f32 v[116:117], v[144:145], v[128:129], v[114:115] op_sel_hi:[1,0,1]
	v_pk_mul_f32 v[118:119], v[174:175], v[118:119] op_sel_hi:[1,0]
	v_mov_b32_e32 v113, v123
	v_pk_add_f32 v[108:109], v[108:109], v[110:111]
	v_pk_fma_f32 v[114:115], v[144:145], v[128:129], v[114:115] neg_lo:[0,0,1] neg_hi:[0,0,1]
	s_wait_loadcnt 0x2
	v_pk_mul_f32 v[120:121], v[148:149], v[132:133] op_sel:[1,1] op_sel_hi:[0,1]
	v_dual_mov_b32 v110, v135 :: v_dual_mov_b32 v115, v117
	v_pk_fma_f32 v[116:117], v[146:147], v[130:131], v[118:119] op_sel_hi:[1,0,1]
	v_pk_add_f32 v[108:109], v[108:109], v[112:113]
	v_pk_fma_f32 v[118:119], v[146:147], v[130:131], v[118:119] neg_lo:[0,0,1] neg_hi:[0,0,1]
	v_pk_fma_f32 v[112:113], v[148:149], v[132:133], v[120:121] op_sel_hi:[1,0,1]
	v_pk_mul_f32 v[110:111], v[176:177], v[110:111] op_sel_hi:[1,0]
	v_mov_b32_e32 v119, v117
	v_pk_add_f32 v[108:109], v[108:109], v[114:115]
	v_pk_fma_f32 v[114:115], v[148:149], v[132:133], v[120:121] neg_lo:[0,0,1] neg_hi:[0,0,1]
	v_mov_b32_e32 v115, v113
	v_pk_fma_f32 v[112:113], v[150:151], v[134:135], v[110:111] op_sel_hi:[1,0,1]
	s_wait_loadcnt_dscnt 0x100
	v_pk_mul_f32 v[116:117], v[168:169], v[164:165] op_sel:[1,1] op_sel_hi:[0,1]
	v_pk_add_f32 v[108:109], v[108:109], v[118:119]
	v_pk_fma_f32 v[110:111], v[150:151], v[134:135], v[110:111] neg_lo:[0,0,1] neg_hi:[0,0,1]
	v_mov_b32_e32 v111, v113
	s_delay_alu instid0(VALU_DEP_4) | instskip(NEXT) | instid1(VALU_DEP_4)
	v_pk_fma_f32 v[112:113], v[168:169], v[164:165], v[116:117] op_sel_hi:[1,0,1]
	v_pk_add_f32 v[108:109], v[108:109], v[114:115]
	v_pk_fma_f32 v[114:115], v[168:169], v[164:165], v[116:117] neg_lo:[0,0,1] neg_hi:[0,0,1]
	s_delay_alu instid0(VALU_DEP_3) | instskip(NEXT) | instid1(VALU_DEP_3)
	v_mov_b32_e32 v115, v113
	v_pk_add_f32 v[108:109], v[108:109], v[110:111]
	s_delay_alu instid0(VALU_DEP_1) | instskip(SKIP_1) | instid1(VALU_DEP_1)
	v_pk_add_f32 v[108:109], v[108:109], v[114:115]
	s_wait_loadcnt 0x0
	v_pk_add_f32 v[108:109], v[166:167], v[108:109] neg_lo:[0,1] neg_hi:[0,1]
	scratch_store_b64 off, v[108:109], off offset:296
	s_wait_xcnt 0x0
	v_cmpx_lt_u32_e32 36, v0
	s_cbranch_execz .LBB116_259
; %bb.258:
	scratch_load_b64 v[108:109], off, off offset:288
	v_mov_b64_e32 v[110:111], 0
	scratch_store_b64 off, v[110:111], off offset:288
	s_wait_loadcnt 0x0
	ds_store_b64 v1, v[108:109]
.LBB116_259:
	s_wait_xcnt 0x0
	s_or_b32 exec_lo, exec_lo, s0
	s_wait_storecnt_dscnt 0x0
	s_barrier_signal -1
	s_barrier_wait -1
	s_clause 0x8
	scratch_load_b128 v[108:111], off, off offset:296
	scratch_load_b128 v[112:115], off, off offset:312
	;; [unrolled: 1-line block ×8, first 2 shown]
	scratch_load_b64 v[172:173], off, off offset:288
	ds_load_2addr_b64 v[140:143], v7 offset0:99 offset1:100
	ds_load_2addr_b64 v[144:147], v7 offset0:101 offset1:102
	;; [unrolled: 1-line block ×8, first 2 shown]
	s_mov_b32 s0, exec_lo
	s_wait_dscnt 0x7
	v_dual_mov_b32 v174, v143 :: v_dual_mov_b32 v175, v142
	s_wait_dscnt 0x6
	v_dual_mov_b32 v176, v147 :: v_dual_mov_b32 v177, v146
	;; [unrolled: 2-line block ×4, first 2 shown]
	s_wait_loadcnt_dscnt 0x803
	v_dual_mul_f32 v7, v156, v109 :: v_dual_mul_f32 v9, v158, v111
	v_dual_mul_f32 v19, v157, v109 :: v_dual_mul_f32 v21, v159, v111
	s_wait_loadcnt_dscnt 0x702
	v_dual_mul_f32 v11, v160, v113 :: v_dual_mul_f32 v13, v162, v115
	s_delay_alu instid0(VALU_DEP_3) | instskip(SKIP_3) | instid1(VALU_DEP_3)
	v_dual_fmac_f32 v7, v157, v108 :: v_dual_fmac_f32 v9, v159, v110
	s_wait_loadcnt_dscnt 0x500
	v_dual_fma_f32 v19, v156, v108, -v19 :: v_dual_mul_f32 v31, v169, v121
	v_dual_mul_f32 v23, v161, v113 :: v_dual_mul_f32 v25, v163, v115
	v_dual_fma_f32 v21, v158, v110, -v21 :: v_dual_add_f32 v7, 0, v7
	s_delay_alu instid0(VALU_DEP_3) | instskip(SKIP_1) | instid1(VALU_DEP_4)
	v_dual_add_f32 v19, 0, v19 :: v_dual_fmac_f32 v11, v161, v112
	v_dual_mul_f32 v15, v164, v117 :: v_dual_mul_f32 v17, v166, v119
	v_dual_mul_f32 v33, v171, v123 :: v_dual_fma_f32 v23, v160, v112, -v23
	s_delay_alu instid0(VALU_DEP_4) | instskip(NEXT) | instid1(VALU_DEP_3)
	v_add_f32_e32 v7, v7, v9
	v_dual_add_f32 v9, v19, v21 :: v_dual_fmac_f32 v15, v165, v116
	v_dual_mul_f32 v27, v165, v117 :: v_dual_mul_f32 v29, v167, v119
	s_delay_alu instid0(VALU_DEP_2) | instskip(NEXT) | instid1(VALU_DEP_4)
	v_dual_fmac_f32 v13, v163, v114 :: v_dual_add_f32 v9, v9, v23
	v_dual_fma_f32 v19, v162, v114, -v25 :: v_dual_add_f32 v7, v7, v11
	s_wait_loadcnt 0x4
	s_delay_alu instid0(VALU_DEP_3) | instskip(SKIP_1) | instid1(VALU_DEP_3)
	v_dual_fma_f32 v11, v164, v116, -v27 :: v_dual_mov_b32 v110, v127
	v_dual_mul_f32 v183, v168, v121 :: v_dual_mul_f32 v185, v170, v123
	v_dual_add_f32 v7, v7, v13 :: v_dual_fma_f32 v13, v166, v118, -v29
	v_dual_add_f32 v9, v9, v19 :: v_dual_fmac_f32 v17, v167, v118
	v_pk_mul_f32 v[108:109], v[140:141], v[124:125] op_sel:[1,1] op_sel_hi:[0,1]
	s_delay_alu instid0(VALU_DEP_3) | instskip(SKIP_1) | instid1(VALU_DEP_3)
	v_dual_add_f32 v7, v7, v15 :: v_dual_fmac_f32 v183, v169, v120
	s_wait_loadcnt 0x3
	v_dual_add_f32 v9, v9, v11 :: v_dual_mov_b32 v114, v131
	s_delay_alu instid0(VALU_DEP_2) | instskip(NEXT) | instid1(VALU_DEP_2)
	v_dual_fma_f32 v182, v168, v120, -v31 :: v_dual_add_f32 v117, v7, v17
	v_dual_fma_f32 v184, v170, v122, -v33 :: v_dual_add_f32 v116, v9, v13
	v_fmac_f32_e32 v185, v171, v122
	v_pk_fma_f32 v[118:119], v[140:141], v[124:125], v[108:109] op_sel_hi:[1,0,1]
	v_pk_mul_f32 v[110:111], v[174:175], v[110:111] op_sel_hi:[1,0]
	v_pk_fma_f32 v[108:109], v[140:141], v[124:125], v[108:109] neg_lo:[0,0,1] neg_hi:[0,0,1]
	v_pk_add_f32 v[116:117], v[116:117], v[182:183]
	v_pk_mul_f32 v[112:113], v[144:145], v[128:129] op_sel:[1,1] op_sel_hi:[0,1]
	v_mov_b32_e32 v109, v119
	v_pk_fma_f32 v[118:119], v[142:143], v[126:127], v[110:111] op_sel_hi:[1,0,1]
	v_pk_fma_f32 v[110:111], v[142:143], v[126:127], v[110:111] neg_lo:[0,0,1] neg_hi:[0,0,1]
	v_pk_add_f32 v[116:117], v[116:117], v[184:185]
	v_pk_fma_f32 v[122:123], v[144:145], v[128:129], v[112:113] op_sel_hi:[1,0,1]
	v_pk_mul_f32 v[114:115], v[176:177], v[114:115] op_sel_hi:[1,0]
	v_mov_b32_e32 v111, v119
	s_wait_loadcnt 0x2
	v_pk_mul_f32 v[120:121], v[148:149], v[132:133] op_sel:[1,1] op_sel_hi:[0,1]
	v_pk_add_f32 v[108:109], v[116:117], v[108:109]
	v_mov_b32_e32 v116, v135
	v_pk_fma_f32 v[112:113], v[144:145], v[128:129], v[112:113] neg_lo:[0,0,1] neg_hi:[0,0,1]
	v_mov_b32_e32 v113, v123
	v_pk_fma_f32 v[118:119], v[146:147], v[130:131], v[114:115] op_sel_hi:[1,0,1]
	v_pk_add_f32 v[108:109], v[108:109], v[110:111]
	v_pk_fma_f32 v[110:111], v[148:149], v[132:133], v[120:121] op_sel_hi:[1,0,1]
	v_pk_mul_f32 v[116:117], v[178:179], v[116:117] op_sel_hi:[1,0]
	v_pk_fma_f32 v[114:115], v[146:147], v[130:131], v[114:115] neg_lo:[0,0,1] neg_hi:[0,0,1]
	v_mov_b32_e32 v115, v119
	v_pk_add_f32 v[108:109], v[108:109], v[112:113]
	v_pk_fma_f32 v[118:119], v[148:149], v[132:133], v[120:121] neg_lo:[0,0,1] neg_hi:[0,0,1]
	v_mov_b32_e32 v119, v111
	v_pk_fma_f32 v[110:111], v[150:151], v[134:135], v[116:117] op_sel_hi:[1,0,1]
	s_wait_loadcnt 0x1
	v_pk_mul_f32 v[112:113], v[152:153], v[136:137] op_sel:[1,1] op_sel_hi:[0,1]
	v_pk_add_f32 v[108:109], v[108:109], v[114:115]
	v_mov_b32_e32 v110, v139
	v_pk_fma_f32 v[116:117], v[150:151], v[134:135], v[116:117] neg_lo:[0,0,1] neg_hi:[0,0,1]
	v_mov_b32_e32 v117, v111
	v_pk_fma_f32 v[114:115], v[152:153], v[136:137], v[112:113] op_sel_hi:[1,0,1]
	v_pk_add_f32 v[108:109], v[108:109], v[118:119]
	v_pk_mul_f32 v[110:111], v[180:181], v[110:111] op_sel_hi:[1,0]
	v_pk_fma_f32 v[112:113], v[152:153], v[136:137], v[112:113] neg_lo:[0,0,1] neg_hi:[0,0,1]
	s_delay_alu instid0(VALU_DEP_4) | instskip(NEXT) | instid1(VALU_DEP_4)
	v_mov_b32_e32 v113, v115
	v_pk_add_f32 v[108:109], v[108:109], v[116:117]
	s_delay_alu instid0(VALU_DEP_4) | instskip(SKIP_1) | instid1(VALU_DEP_2)
	v_pk_fma_f32 v[114:115], v[154:155], v[138:139], v[110:111] op_sel_hi:[1,0,1]
	v_pk_fma_f32 v[110:111], v[154:155], v[138:139], v[110:111] neg_lo:[0,0,1] neg_hi:[0,0,1]
	v_mov_b32_e32 v111, v115
	s_delay_alu instid0(VALU_DEP_4) | instskip(NEXT) | instid1(VALU_DEP_1)
	v_pk_add_f32 v[108:109], v[108:109], v[112:113]
	v_pk_add_f32 v[108:109], v[108:109], v[110:111]
	s_wait_loadcnt 0x0
	s_delay_alu instid0(VALU_DEP_1)
	v_pk_add_f32 v[108:109], v[172:173], v[108:109] neg_lo:[0,1] neg_hi:[0,1]
	scratch_store_b64 off, v[108:109], off offset:288
	s_wait_xcnt 0x0
	v_cmpx_lt_u32_e32 35, v0
	s_cbranch_execz .LBB116_261
; %bb.260:
	scratch_load_b64 v[108:109], off, off offset:280
	v_mov_b64_e32 v[110:111], 0
	scratch_store_b64 off, v[110:111], off offset:280
	s_wait_loadcnt 0x0
	ds_store_b64 v1, v[108:109]
.LBB116_261:
	s_wait_xcnt 0x0
	s_or_b32 exec_lo, exec_lo, s0
	s_wait_storecnt_dscnt 0x0
	s_barrier_signal -1
	s_barrier_wait -1
	s_clause 0x9
	scratch_load_b128 v[108:111], off, off offset:288
	scratch_load_b128 v[112:115], off, off offset:304
	;; [unrolled: 1-line block ×8, first 2 shown]
	scratch_load_b64 v[172:173], off, off offset:416
	scratch_load_b64 v[174:175], off, off offset:280
	v_mov_b32_e32 v7, 0
	ds_load_b128 v[140:143], v7 offset:784
	ds_load_b128 v[144:147], v7 offset:800
	;; [unrolled: 1-line block ×8, first 2 shown]
	ds_load_b64 v[176:177], v7 offset:848
	s_mov_b32 s0, exec_lo
	s_wait_dscnt 0x8
	v_dual_mov_b32 v178, v143 :: v_dual_mov_b32 v179, v142
	s_wait_dscnt 0x5
	v_dual_mov_b32 v180, v147 :: v_dual_mov_b32 v185, v154
	v_dual_mov_b32 v181, v146 :: v_dual_mov_b32 v182, v151
	;; [unrolled: 1-line block ×3, first 2 shown]
	s_wait_loadcnt_dscnt 0x904
	v_dual_mul_f32 v9, v156, v109 :: v_dual_mul_f32 v23, v157, v109
	v_dual_mul_f32 v25, v159, v111 :: v_dual_mul_f32 v11, v158, v111
	s_wait_loadcnt_dscnt 0x803
	v_mul_f32_e32 v13, v160, v113
	s_wait_loadcnt_dscnt 0x601
	v_dual_mul_f32 v35, v169, v121 :: v_dual_fma_f32 v23, v156, v108, -v23
	v_dual_fmac_f32 v9, v157, v108 :: v_dual_mul_f32 v37, v171, v123
	v_dual_mul_f32 v27, v161, v113 :: v_dual_mul_f32 v29, v163, v115
	v_dual_fmac_f32 v11, v159, v110 :: v_dual_fma_f32 v25, v158, v110, -v25
	s_delay_alu instid0(VALU_DEP_3)
	v_dual_add_f32 v9, 0, v9 :: v_dual_add_f32 v23, 0, v23
	v_dual_mul_f32 v15, v162, v115 :: v_dual_mul_f32 v17, v164, v117
	s_wait_loadcnt 0x5
	v_dual_mul_f32 v39, v141, v125 :: v_dual_fma_f32 v27, v160, v112, -v27
	v_fmac_f32_e32 v13, v161, v112
	v_dual_add_f32 v9, v9, v11 :: v_dual_mov_b32 v108, v127
	v_add_f32_e32 v11, v23, v25
	v_dual_mul_f32 v31, v165, v117 :: v_dual_mul_f32 v33, v167, v119
	v_dual_fmac_f32 v15, v163, v114 :: v_dual_fma_f32 v23, v162, v114, -v29
	s_delay_alu instid0(VALU_DEP_3) | instskip(SKIP_1) | instid1(VALU_DEP_4)
	v_dual_add_f32 v9, v9, v13 :: v_dual_add_f32 v11, v11, v27
	v_dual_mul_f32 v19, v166, v119 :: v_dual_mul_f32 v21, v168, v121
	v_dual_fmac_f32 v17, v165, v116 :: v_dual_fma_f32 v13, v164, v116, -v31
	s_wait_loadcnt 0x4
	s_delay_alu instid0(VALU_DEP_3) | instskip(SKIP_1) | instid1(VALU_DEP_2)
	v_dual_add_f32 v9, v9, v15 :: v_dual_mov_b32 v112, v131
	v_dual_add_f32 v11, v11, v23 :: v_dual_fma_f32 v15, v166, v118, -v33
	v_dual_fmac_f32 v19, v167, v118 :: v_dual_add_f32 v9, v9, v17
	v_dual_mul_f32 v187, v170, v123 :: v_dual_mul_f32 v189, v140, v125
	s_delay_alu instid0(VALU_DEP_3) | instskip(NEXT) | instid1(VALU_DEP_3)
	v_dual_add_f32 v11, v11, v13 :: v_dual_fmac_f32 v21, v169, v120
	v_dual_fma_f32 v13, v168, v120, -v35 :: v_dual_add_f32 v9, v9, v19
	s_delay_alu instid0(VALU_DEP_3) | instskip(NEXT) | instid1(VALU_DEP_3)
	v_fmac_f32_e32 v187, v171, v122
	v_dual_add_f32 v11, v11, v15 :: v_dual_fma_f32 v186, v170, v122, -v37
	v_pk_mul_f32 v[108:109], v[178:179], v[108:109] op_sel_hi:[1,0]
	s_delay_alu instid0(VALU_DEP_4) | instskip(SKIP_1) | instid1(VALU_DEP_4)
	v_add_f32_e32 v117, v9, v21
	v_pk_mul_f32 v[110:111], v[144:145], v[128:129] op_sel:[1,1] op_sel_hi:[0,1]
	v_dual_add_f32 v116, v11, v13 :: v_dual_fmac_f32 v189, v141, v124
	s_wait_loadcnt 0x3
	v_dual_mov_b32 v118, v135 :: v_dual_fma_f32 v188, v140, v124, -v39
	v_pk_fma_f32 v[120:121], v[142:143], v[126:127], v[108:109] op_sel_hi:[1,0,1]
	s_delay_alu instid0(VALU_DEP_3)
	v_pk_add_f32 v[116:117], v[116:117], v[186:187]
	v_pk_fma_f32 v[108:109], v[142:143], v[126:127], v[108:109] neg_lo:[0,0,1] neg_hi:[0,0,1]
	v_pk_fma_f32 v[122:123], v[144:145], v[128:129], v[110:111] op_sel_hi:[1,0,1]
	v_pk_mul_f32 v[112:113], v[180:181], v[112:113] op_sel_hi:[1,0]
	v_mov_b32_e32 v109, v121
	v_pk_add_f32 v[116:117], v[116:117], v[188:189]
	v_pk_fma_f32 v[110:111], v[144:145], v[128:129], v[110:111] neg_lo:[0,0,1] neg_hi:[0,0,1]
	v_pk_mul_f32 v[114:115], v[148:149], v[132:133] op_sel:[1,1] op_sel_hi:[0,1]
	v_mov_b32_e32 v111, v123
	v_pk_fma_f32 v[122:123], v[146:147], v[130:131], v[112:113] op_sel_hi:[1,0,1]
	v_pk_add_f32 v[108:109], v[116:117], v[108:109]
	v_pk_fma_f32 v[112:113], v[146:147], v[130:131], v[112:113] neg_lo:[0,0,1] neg_hi:[0,0,1]
	v_pk_fma_f32 v[116:117], v[148:149], v[132:133], v[114:115] op_sel_hi:[1,0,1]
	v_pk_mul_f32 v[118:119], v[182:183], v[118:119] op_sel_hi:[1,0]
	v_mov_b32_e32 v113, v123
	v_pk_add_f32 v[108:109], v[108:109], v[110:111]
	v_pk_fma_f32 v[114:115], v[148:149], v[132:133], v[114:115] neg_lo:[0,0,1] neg_hi:[0,0,1]
	s_wait_loadcnt 0x2
	v_pk_mul_f32 v[120:121], v[152:153], v[136:137] op_sel:[1,1] op_sel_hi:[0,1]
	v_dual_mov_b32 v110, v139 :: v_dual_mov_b32 v115, v117
	v_pk_fma_f32 v[116:117], v[150:151], v[134:135], v[118:119] op_sel_hi:[1,0,1]
	v_pk_add_f32 v[108:109], v[108:109], v[112:113]
	v_pk_fma_f32 v[118:119], v[150:151], v[134:135], v[118:119] neg_lo:[0,0,1] neg_hi:[0,0,1]
	v_pk_fma_f32 v[112:113], v[152:153], v[136:137], v[120:121] op_sel_hi:[1,0,1]
	v_pk_mul_f32 v[110:111], v[184:185], v[110:111] op_sel_hi:[1,0]
	v_mov_b32_e32 v119, v117
	v_pk_add_f32 v[108:109], v[108:109], v[114:115]
	v_pk_fma_f32 v[114:115], v[152:153], v[136:137], v[120:121] neg_lo:[0,0,1] neg_hi:[0,0,1]
	v_mov_b32_e32 v115, v113
	v_pk_fma_f32 v[112:113], v[154:155], v[138:139], v[110:111] op_sel_hi:[1,0,1]
	s_wait_loadcnt_dscnt 0x100
	v_pk_mul_f32 v[116:117], v[176:177], v[172:173] op_sel:[1,1] op_sel_hi:[0,1]
	v_pk_add_f32 v[108:109], v[108:109], v[118:119]
	v_pk_fma_f32 v[110:111], v[154:155], v[138:139], v[110:111] neg_lo:[0,0,1] neg_hi:[0,0,1]
	v_mov_b32_e32 v111, v113
	s_delay_alu instid0(VALU_DEP_4) | instskip(NEXT) | instid1(VALU_DEP_4)
	v_pk_fma_f32 v[112:113], v[176:177], v[172:173], v[116:117] op_sel_hi:[1,0,1]
	v_pk_add_f32 v[108:109], v[108:109], v[114:115]
	v_pk_fma_f32 v[114:115], v[176:177], v[172:173], v[116:117] neg_lo:[0,0,1] neg_hi:[0,0,1]
	s_delay_alu instid0(VALU_DEP_3) | instskip(NEXT) | instid1(VALU_DEP_3)
	v_mov_b32_e32 v115, v113
	v_pk_add_f32 v[108:109], v[108:109], v[110:111]
	s_delay_alu instid0(VALU_DEP_1) | instskip(SKIP_1) | instid1(VALU_DEP_1)
	v_pk_add_f32 v[108:109], v[108:109], v[114:115]
	s_wait_loadcnt 0x0
	v_pk_add_f32 v[108:109], v[174:175], v[108:109] neg_lo:[0,1] neg_hi:[0,1]
	scratch_store_b64 off, v[108:109], off offset:280
	s_wait_xcnt 0x0
	v_cmpx_lt_u32_e32 34, v0
	s_cbranch_execz .LBB116_263
; %bb.262:
	scratch_load_b64 v[108:109], off, off offset:272
	v_mov_b64_e32 v[110:111], 0
	scratch_store_b64 off, v[110:111], off offset:272
	s_wait_loadcnt 0x0
	ds_store_b64 v1, v[108:109]
.LBB116_263:
	s_wait_xcnt 0x0
	s_or_b32 exec_lo, exec_lo, s0
	s_wait_storecnt_dscnt 0x0
	s_barrier_signal -1
	s_barrier_wait -1
	s_clause 0x9
	scratch_load_b128 v[108:111], off, off offset:280
	scratch_load_b128 v[112:115], off, off offset:296
	;; [unrolled: 1-line block ×9, first 2 shown]
	scratch_load_b64 v[180:181], off, off offset:272
	ds_load_2addr_b64 v[144:147], v7 offset0:99 offset1:100
	ds_load_2addr_b64 v[148:151], v7 offset0:101 offset1:102
	;; [unrolled: 1-line block ×9, first 2 shown]
	s_mov_b32 s0, exec_lo
	s_wait_dscnt 0x8
	v_dual_mov_b32 v182, v147 :: v_dual_mov_b32 v183, v146
	s_wait_dscnt 0x7
	v_dual_mov_b32 v184, v151 :: v_dual_mov_b32 v185, v150
	;; [unrolled: 2-line block ×4, first 2 shown]
	s_wait_loadcnt_dscnt 0x904
	v_dual_mul_f32 v7, v160, v109 :: v_dual_mul_f32 v9, v162, v111
	v_dual_mul_f32 v23, v161, v109 :: v_dual_mul_f32 v25, v163, v111
	s_wait_loadcnt_dscnt 0x803
	v_dual_mul_f32 v11, v164, v113 :: v_dual_mul_f32 v13, v166, v115
	s_delay_alu instid0(VALU_DEP_3) | instskip(SKIP_3) | instid1(VALU_DEP_3)
	v_dual_fmac_f32 v7, v161, v108 :: v_dual_fmac_f32 v9, v163, v110
	s_wait_loadcnt_dscnt 0x601
	v_dual_fma_f32 v23, v160, v108, -v23 :: v_dual_mul_f32 v35, v173, v121
	v_dual_mul_f32 v27, v165, v113 :: v_dual_mul_f32 v29, v167, v115
	v_dual_fma_f32 v25, v162, v110, -v25 :: v_dual_add_f32 v7, 0, v7
	s_delay_alu instid0(VALU_DEP_3) | instskip(SKIP_1) | instid1(VALU_DEP_4)
	v_dual_add_f32 v23, 0, v23 :: v_dual_fmac_f32 v11, v165, v112
	v_dual_mul_f32 v15, v168, v117 :: v_dual_mul_f32 v17, v170, v119
	v_dual_mul_f32 v37, v175, v123 :: v_dual_fma_f32 v27, v164, v112, -v27
	s_delay_alu instid0(VALU_DEP_4) | instskip(NEXT) | instid1(VALU_DEP_3)
	v_add_f32_e32 v7, v7, v9
	v_dual_add_f32 v9, v23, v25 :: v_dual_fmac_f32 v15, v169, v116
	v_dual_mul_f32 v31, v169, v117 :: v_dual_mul_f32 v33, v171, v119
	s_wait_loadcnt_dscnt 0x500
	v_dual_mul_f32 v23, v177, v125 :: v_dual_fmac_f32 v13, v167, v114
	v_dual_fma_f32 v25, v166, v114, -v29 :: v_dual_add_f32 v7, v7, v11
	s_delay_alu instid0(VALU_DEP_3) | instskip(SKIP_1) | instid1(VALU_DEP_3)
	v_dual_add_f32 v9, v9, v27 :: v_dual_fma_f32 v27, v168, v116, -v31
	v_dual_mul_f32 v19, v172, v121 :: v_dual_mul_f32 v21, v174, v123
	v_add_f32_e32 v7, v7, v13
	s_delay_alu instid0(VALU_DEP_3) | instskip(SKIP_1) | instid1(VALU_DEP_3)
	v_dual_mul_f32 v11, v179, v127 :: v_dual_add_f32 v9, v9, v25
	v_fmac_f32_e32 v17, v171, v118
	v_dual_fma_f32 v13, v170, v118, -v33 :: v_dual_add_f32 v7, v7, v15
	s_wait_loadcnt 0x4
	v_dual_mov_b32 v110, v131 :: v_dual_fmac_f32 v19, v173, v120
	v_dual_add_f32 v9, v9, v27 :: v_dual_fma_f32 v15, v172, v120, -v35
	s_delay_alu instid0(VALU_DEP_3) | instskip(SKIP_1) | instid1(VALU_DEP_3)
	v_add_f32_e32 v7, v7, v17
	v_dual_mul_f32 v191, v176, v125 :: v_dual_mul_f32 v193, v178, v127
	v_dual_add_f32 v9, v9, v13 :: v_dual_fmac_f32 v21, v175, v122
	s_delay_alu instid0(VALU_DEP_3) | instskip(SKIP_2) | instid1(VALU_DEP_3)
	v_dual_fma_f32 v13, v174, v122, -v37 :: v_dual_add_f32 v7, v7, v19
	v_pk_mul_f32 v[108:109], v[144:145], v[128:129] op_sel:[1,1] op_sel_hi:[0,1]
	s_wait_loadcnt 0x3
	v_dual_add_f32 v9, v9, v15 :: v_dual_mov_b32 v114, v135
	s_delay_alu instid0(VALU_DEP_3) | instskip(NEXT) | instid1(VALU_DEP_2)
	v_dual_fmac_f32 v191, v177, v124 :: v_dual_add_f32 v117, v7, v21
	v_dual_fma_f32 v190, v176, v124, -v23 :: v_dual_add_f32 v116, v9, v13
	v_dual_fmac_f32 v193, v179, v126 :: v_dual_fma_f32 v192, v178, v126, -v11
	v_pk_fma_f32 v[118:119], v[144:145], v[128:129], v[108:109] op_sel_hi:[1,0,1]
	v_pk_mul_f32 v[110:111], v[182:183], v[110:111] op_sel_hi:[1,0]
	s_delay_alu instid0(VALU_DEP_4)
	v_pk_add_f32 v[116:117], v[116:117], v[190:191]
	v_pk_fma_f32 v[108:109], v[144:145], v[128:129], v[108:109] neg_lo:[0,0,1] neg_hi:[0,0,1]
	v_pk_mul_f32 v[112:113], v[148:149], v[132:133] op_sel:[1,1] op_sel_hi:[0,1]
	v_mov_b32_e32 v109, v119
	v_pk_fma_f32 v[118:119], v[146:147], v[130:131], v[110:111] op_sel_hi:[1,0,1]
	v_pk_add_f32 v[116:117], v[116:117], v[192:193]
	v_pk_fma_f32 v[110:111], v[146:147], v[130:131], v[110:111] neg_lo:[0,0,1] neg_hi:[0,0,1]
	v_pk_fma_f32 v[122:123], v[148:149], v[132:133], v[112:113] op_sel_hi:[1,0,1]
	v_pk_mul_f32 v[114:115], v[184:185], v[114:115] op_sel_hi:[1,0]
	v_mov_b32_e32 v111, v119
	v_pk_add_f32 v[108:109], v[116:117], v[108:109]
	s_wait_loadcnt 0x2
	v_pk_mul_f32 v[120:121], v[152:153], v[136:137] op_sel:[1,1] op_sel_hi:[0,1]
	v_mov_b32_e32 v116, v139
	v_pk_fma_f32 v[112:113], v[148:149], v[132:133], v[112:113] neg_lo:[0,0,1] neg_hi:[0,0,1]
	v_mov_b32_e32 v113, v123
	v_pk_fma_f32 v[118:119], v[150:151], v[134:135], v[114:115] op_sel_hi:[1,0,1]
	v_pk_add_f32 v[108:109], v[108:109], v[110:111]
	v_pk_fma_f32 v[110:111], v[152:153], v[136:137], v[120:121] op_sel_hi:[1,0,1]
	v_pk_mul_f32 v[116:117], v[186:187], v[116:117] op_sel_hi:[1,0]
	v_pk_fma_f32 v[114:115], v[150:151], v[134:135], v[114:115] neg_lo:[0,0,1] neg_hi:[0,0,1]
	v_mov_b32_e32 v115, v119
	v_pk_add_f32 v[108:109], v[108:109], v[112:113]
	v_pk_fma_f32 v[118:119], v[152:153], v[136:137], v[120:121] neg_lo:[0,0,1] neg_hi:[0,0,1]
	v_mov_b32_e32 v119, v111
	v_pk_fma_f32 v[110:111], v[154:155], v[138:139], v[116:117] op_sel_hi:[1,0,1]
	s_wait_loadcnt 0x1
	v_pk_mul_f32 v[112:113], v[156:157], v[140:141] op_sel:[1,1] op_sel_hi:[0,1]
	v_pk_add_f32 v[108:109], v[108:109], v[114:115]
	v_mov_b32_e32 v110, v143
	v_pk_fma_f32 v[116:117], v[154:155], v[138:139], v[116:117] neg_lo:[0,0,1] neg_hi:[0,0,1]
	v_mov_b32_e32 v117, v111
	v_pk_fma_f32 v[114:115], v[156:157], v[140:141], v[112:113] op_sel_hi:[1,0,1]
	v_pk_add_f32 v[108:109], v[108:109], v[118:119]
	v_pk_mul_f32 v[110:111], v[188:189], v[110:111] op_sel_hi:[1,0]
	v_pk_fma_f32 v[112:113], v[156:157], v[140:141], v[112:113] neg_lo:[0,0,1] neg_hi:[0,0,1]
	s_delay_alu instid0(VALU_DEP_4) | instskip(NEXT) | instid1(VALU_DEP_4)
	v_mov_b32_e32 v113, v115
	v_pk_add_f32 v[108:109], v[108:109], v[116:117]
	s_delay_alu instid0(VALU_DEP_4) | instskip(SKIP_1) | instid1(VALU_DEP_2)
	v_pk_fma_f32 v[114:115], v[158:159], v[142:143], v[110:111] op_sel_hi:[1,0,1]
	v_pk_fma_f32 v[110:111], v[158:159], v[142:143], v[110:111] neg_lo:[0,0,1] neg_hi:[0,0,1]
	v_mov_b32_e32 v111, v115
	s_delay_alu instid0(VALU_DEP_4) | instskip(NEXT) | instid1(VALU_DEP_1)
	v_pk_add_f32 v[108:109], v[108:109], v[112:113]
	v_pk_add_f32 v[108:109], v[108:109], v[110:111]
	s_wait_loadcnt 0x0
	s_delay_alu instid0(VALU_DEP_1)
	v_pk_add_f32 v[108:109], v[180:181], v[108:109] neg_lo:[0,1] neg_hi:[0,1]
	scratch_store_b64 off, v[108:109], off offset:272
	s_wait_xcnt 0x0
	v_cmpx_lt_u32_e32 33, v0
	s_cbranch_execz .LBB116_265
; %bb.264:
	scratch_load_b64 v[108:109], off, off offset:264
	v_mov_b64_e32 v[110:111], 0
	scratch_store_b64 off, v[110:111], off offset:264
	s_wait_loadcnt 0x0
	ds_store_b64 v1, v[108:109]
.LBB116_265:
	s_wait_xcnt 0x0
	s_or_b32 exec_lo, exec_lo, s0
	s_wait_storecnt_dscnt 0x0
	s_barrier_signal -1
	s_barrier_wait -1
	s_clause 0xa
	scratch_load_b128 v[108:111], off, off offset:272
	scratch_load_b128 v[112:115], off, off offset:288
	;; [unrolled: 1-line block ×9, first 2 shown]
	scratch_load_b64 v[180:181], off, off offset:416
	scratch_load_b64 v[182:183], off, off offset:264
	v_mov_b32_e32 v7, 0
	ds_load_b128 v[144:147], v7 offset:784
	ds_load_b128 v[148:151], v7 offset:800
	;; [unrolled: 1-line block ×9, first 2 shown]
	ds_load_b64 v[184:185], v7 offset:848
	s_mov_b32 s0, exec_lo
	s_wait_dscnt 0x9
	v_dual_mov_b32 v186, v147 :: v_dual_mov_b32 v187, v146
	s_wait_dscnt 0x6
	v_dual_mov_b32 v188, v151 :: v_dual_mov_b32 v193, v158
	v_dual_mov_b32 v189, v150 :: v_dual_mov_b32 v190, v155
	;; [unrolled: 1-line block ×3, first 2 shown]
	s_wait_loadcnt_dscnt 0xa05
	v_dual_mul_f32 v9, v160, v109 :: v_dual_mul_f32 v27, v161, v109
	v_dual_mul_f32 v29, v163, v111 :: v_dual_mul_f32 v11, v162, v111
	s_wait_loadcnt_dscnt 0x904
	v_mul_f32_e32 v13, v164, v113
	s_wait_loadcnt_dscnt 0x702
	v_dual_mul_f32 v39, v173, v121 :: v_dual_fma_f32 v27, v160, v108, -v27
	v_dual_fmac_f32 v9, v161, v108 :: v_dual_mul_f32 v41, v175, v123
	v_dual_mul_f32 v31, v165, v113 :: v_dual_mul_f32 v33, v167, v115
	v_dual_fmac_f32 v11, v163, v110 :: v_dual_fma_f32 v29, v162, v110, -v29
	s_delay_alu instid0(VALU_DEP_3) | instskip(SKIP_4) | instid1(VALU_DEP_3)
	v_dual_add_f32 v9, 0, v9 :: v_dual_add_f32 v27, 0, v27
	v_dual_mul_f32 v15, v166, v115 :: v_dual_mul_f32 v17, v168, v117
	s_wait_loadcnt_dscnt 0x601
	v_dual_mul_f32 v43, v177, v125 :: v_dual_fma_f32 v31, v164, v112, -v31
	v_fmac_f32_e32 v13, v165, v112
	v_dual_add_f32 v9, v9, v11 :: v_dual_fmac_f32 v15, v167, v114
	v_add_f32_e32 v11, v27, v29
	v_dual_mul_f32 v35, v169, v117 :: v_dual_mul_f32 v37, v171, v119
	v_dual_mul_f32 v27, v179, v127 :: v_dual_fma_f32 v29, v166, v114, -v33
	s_delay_alu instid0(VALU_DEP_3) | instskip(SKIP_3) | instid1(VALU_DEP_3)
	v_dual_add_f32 v9, v9, v13 :: v_dual_add_f32 v11, v11, v31
	v_dual_mul_f32 v19, v170, v119 :: v_dual_mul_f32 v21, v172, v121
	s_wait_loadcnt 0x5
	v_dual_mul_f32 v13, v145, v129 :: v_dual_fma_f32 v31, v168, v116, -v35
	v_dual_fmac_f32 v17, v169, v116 :: v_dual_add_f32 v11, v11, v29
	v_dual_add_f32 v9, v9, v15 :: v_dual_mov_b32 v108, v131
	v_dual_fmac_f32 v19, v171, v118 :: v_dual_fma_f32 v15, v170, v118, -v37
	s_delay_alu instid0(VALU_DEP_2) | instskip(SKIP_3) | instid1(VALU_DEP_3)
	v_dual_add_f32 v11, v11, v31 :: v_dual_add_f32 v9, v9, v17
	v_dual_mul_f32 v23, v174, v123 :: v_dual_mul_f32 v25, v176, v125
	v_dual_fmac_f32 v21, v173, v120 :: v_dual_fma_f32 v17, v172, v120, -v39
	s_wait_loadcnt 0x4
	v_dual_add_f32 v9, v9, v19 :: v_dual_mov_b32 v112, v135
	v_dual_add_f32 v11, v11, v15 :: v_dual_fma_f32 v15, v174, v122, -v41
	s_delay_alu instid0(VALU_DEP_2) | instskip(SKIP_1) | instid1(VALU_DEP_3)
	v_dual_fmac_f32 v23, v175, v122 :: v_dual_add_f32 v9, v9, v21
	v_dual_mul_f32 v195, v178, v127 :: v_dual_mul_f32 v197, v144, v129
	v_dual_add_f32 v11, v11, v17 :: v_dual_fmac_f32 v25, v177, v124
	s_delay_alu instid0(VALU_DEP_3) | instskip(NEXT) | instid1(VALU_DEP_3)
	v_dual_fma_f32 v17, v176, v124, -v43 :: v_dual_add_f32 v9, v9, v23
	v_fmac_f32_e32 v195, v179, v126
	s_delay_alu instid0(VALU_DEP_3) | instskip(SKIP_1) | instid1(VALU_DEP_4)
	v_dual_add_f32 v11, v11, v15 :: v_dual_fma_f32 v194, v178, v126, -v27
	v_pk_mul_f32 v[108:109], v[186:187], v[108:109] op_sel_hi:[1,0]
	v_add_f32_e32 v117, v9, v25
	v_pk_mul_f32 v[110:111], v[148:149], v[132:133] op_sel:[1,1] op_sel_hi:[0,1]
	s_delay_alu instid0(VALU_DEP_4) | instskip(SKIP_3) | instid1(VALU_DEP_3)
	v_dual_add_f32 v116, v11, v17 :: v_dual_fmac_f32 v197, v145, v128
	s_wait_loadcnt 0x3
	v_dual_mov_b32 v118, v139 :: v_dual_fma_f32 v196, v144, v128, -v13
	v_pk_fma_f32 v[120:121], v[146:147], v[130:131], v[108:109] op_sel_hi:[1,0,1]
	v_pk_add_f32 v[116:117], v[116:117], v[194:195]
	v_pk_fma_f32 v[108:109], v[146:147], v[130:131], v[108:109] neg_lo:[0,0,1] neg_hi:[0,0,1]
	v_pk_fma_f32 v[122:123], v[148:149], v[132:133], v[110:111] op_sel_hi:[1,0,1]
	v_pk_mul_f32 v[112:113], v[188:189], v[112:113] op_sel_hi:[1,0]
	v_mov_b32_e32 v109, v121
	v_pk_add_f32 v[116:117], v[116:117], v[196:197]
	v_pk_fma_f32 v[110:111], v[148:149], v[132:133], v[110:111] neg_lo:[0,0,1] neg_hi:[0,0,1]
	v_pk_mul_f32 v[114:115], v[152:153], v[136:137] op_sel:[1,1] op_sel_hi:[0,1]
	v_mov_b32_e32 v111, v123
	v_pk_fma_f32 v[122:123], v[150:151], v[134:135], v[112:113] op_sel_hi:[1,0,1]
	v_pk_add_f32 v[108:109], v[116:117], v[108:109]
	v_pk_fma_f32 v[112:113], v[150:151], v[134:135], v[112:113] neg_lo:[0,0,1] neg_hi:[0,0,1]
	v_pk_fma_f32 v[116:117], v[152:153], v[136:137], v[114:115] op_sel_hi:[1,0,1]
	v_pk_mul_f32 v[118:119], v[190:191], v[118:119] op_sel_hi:[1,0]
	v_mov_b32_e32 v113, v123
	v_pk_add_f32 v[108:109], v[108:109], v[110:111]
	v_pk_fma_f32 v[114:115], v[152:153], v[136:137], v[114:115] neg_lo:[0,0,1] neg_hi:[0,0,1]
	s_wait_loadcnt 0x2
	v_pk_mul_f32 v[120:121], v[156:157], v[140:141] op_sel:[1,1] op_sel_hi:[0,1]
	v_dual_mov_b32 v110, v143 :: v_dual_mov_b32 v115, v117
	v_pk_fma_f32 v[116:117], v[154:155], v[138:139], v[118:119] op_sel_hi:[1,0,1]
	v_pk_add_f32 v[108:109], v[108:109], v[112:113]
	v_pk_fma_f32 v[118:119], v[154:155], v[138:139], v[118:119] neg_lo:[0,0,1] neg_hi:[0,0,1]
	v_pk_fma_f32 v[112:113], v[156:157], v[140:141], v[120:121] op_sel_hi:[1,0,1]
	v_pk_mul_f32 v[110:111], v[192:193], v[110:111] op_sel_hi:[1,0]
	v_mov_b32_e32 v119, v117
	v_pk_add_f32 v[108:109], v[108:109], v[114:115]
	v_pk_fma_f32 v[114:115], v[156:157], v[140:141], v[120:121] neg_lo:[0,0,1] neg_hi:[0,0,1]
	v_mov_b32_e32 v115, v113
	v_pk_fma_f32 v[112:113], v[158:159], v[142:143], v[110:111] op_sel_hi:[1,0,1]
	s_wait_loadcnt_dscnt 0x100
	v_pk_mul_f32 v[116:117], v[184:185], v[180:181] op_sel:[1,1] op_sel_hi:[0,1]
	v_pk_add_f32 v[108:109], v[108:109], v[118:119]
	v_pk_fma_f32 v[110:111], v[158:159], v[142:143], v[110:111] neg_lo:[0,0,1] neg_hi:[0,0,1]
	v_mov_b32_e32 v111, v113
	s_delay_alu instid0(VALU_DEP_4) | instskip(NEXT) | instid1(VALU_DEP_4)
	v_pk_fma_f32 v[112:113], v[184:185], v[180:181], v[116:117] op_sel_hi:[1,0,1]
	v_pk_add_f32 v[108:109], v[108:109], v[114:115]
	v_pk_fma_f32 v[114:115], v[184:185], v[180:181], v[116:117] neg_lo:[0,0,1] neg_hi:[0,0,1]
	s_delay_alu instid0(VALU_DEP_3) | instskip(NEXT) | instid1(VALU_DEP_3)
	v_mov_b32_e32 v115, v113
	v_pk_add_f32 v[108:109], v[108:109], v[110:111]
	s_delay_alu instid0(VALU_DEP_1) | instskip(SKIP_1) | instid1(VALU_DEP_1)
	v_pk_add_f32 v[108:109], v[108:109], v[114:115]
	s_wait_loadcnt 0x0
	v_pk_add_f32 v[108:109], v[182:183], v[108:109] neg_lo:[0,1] neg_hi:[0,1]
	scratch_store_b64 off, v[108:109], off offset:264
	s_wait_xcnt 0x0
	v_cmpx_lt_u32_e32 32, v0
	s_cbranch_execz .LBB116_267
; %bb.266:
	scratch_load_b64 v[108:109], off, off offset:256
	v_mov_b64_e32 v[110:111], 0
	scratch_store_b64 off, v[110:111], off offset:256
	s_wait_loadcnt 0x0
	ds_store_b64 v1, v[108:109]
.LBB116_267:
	s_wait_xcnt 0x0
	s_or_b32 exec_lo, exec_lo, s0
	s_wait_storecnt_dscnt 0x0
	s_barrier_signal -1
	s_barrier_wait -1
	s_clause 0xa
	scratch_load_b128 v[108:111], off, off offset:264
	scratch_load_b128 v[112:115], off, off offset:280
	;; [unrolled: 1-line block ×10, first 2 shown]
	scratch_load_b64 v[188:189], off, off offset:256
	ds_load_2addr_b64 v[148:151], v7 offset0:99 offset1:100
	ds_load_2addr_b64 v[152:155], v7 offset0:101 offset1:102
	ds_load_2addr_b64 v[156:159], v7 offset0:103 offset1:104
	ds_load_2addr_b64 v[160:163], v7 offset0:105 offset1:106
	ds_load_2addr_b64 v[164:167], v7 offset0:87 offset1:88
	ds_load_2addr_b64 v[168:171], v7 offset0:89 offset1:90
	ds_load_2addr_b64 v[172:175], v7 offset0:91 offset1:92
	ds_load_2addr_b64 v[176:179], v7 offset0:93 offset1:94
	ds_load_2addr_b64 v[180:183], v7 offset0:95 offset1:96
	ds_load_2addr_b64 v[184:187], v7 offset0:97 offset1:98
	s_mov_b32 s0, exec_lo
	s_wait_dscnt 0x9
	v_dual_mov_b32 v190, v151 :: v_dual_mov_b32 v191, v150
	s_wait_dscnt 0x8
	v_dual_mov_b32 v192, v155 :: v_dual_mov_b32 v193, v154
	;; [unrolled: 2-line block ×4, first 2 shown]
	s_wait_loadcnt_dscnt 0xa05
	v_dual_mul_f32 v7, v164, v109 :: v_dual_mul_f32 v9, v166, v111
	v_dual_mul_f32 v27, v165, v109 :: v_dual_mul_f32 v29, v167, v111
	s_wait_loadcnt_dscnt 0x904
	v_dual_mul_f32 v11, v168, v113 :: v_dual_mul_f32 v13, v170, v115
	s_delay_alu instid0(VALU_DEP_3) | instskip(SKIP_3) | instid1(VALU_DEP_3)
	v_dual_fmac_f32 v7, v165, v108 :: v_dual_fmac_f32 v9, v167, v110
	s_wait_loadcnt_dscnt 0x702
	v_dual_fma_f32 v27, v164, v108, -v27 :: v_dual_mul_f32 v39, v177, v121
	v_dual_mul_f32 v31, v169, v113 :: v_dual_mul_f32 v33, v171, v115
	v_dual_fma_f32 v29, v166, v110, -v29 :: v_dual_add_f32 v7, 0, v7
	s_delay_alu instid0(VALU_DEP_3) | instskip(SKIP_1) | instid1(VALU_DEP_4)
	v_dual_add_f32 v27, 0, v27 :: v_dual_fmac_f32 v11, v169, v112
	v_dual_mul_f32 v15, v172, v117 :: v_dual_mul_f32 v17, v174, v119
	v_dual_mul_f32 v41, v179, v123 :: v_dual_fma_f32 v31, v168, v112, -v31
	s_delay_alu instid0(VALU_DEP_4) | instskip(NEXT) | instid1(VALU_DEP_3)
	v_add_f32_e32 v7, v7, v9
	v_dual_add_f32 v9, v27, v29 :: v_dual_fmac_f32 v15, v173, v116
	v_dual_mul_f32 v35, v173, v117 :: v_dual_mul_f32 v37, v175, v119
	s_wait_loadcnt_dscnt 0x601
	v_dual_mul_f32 v27, v181, v125 :: v_dual_fmac_f32 v13, v171, v114
	v_dual_fma_f32 v29, v170, v114, -v33 :: v_dual_add_f32 v7, v7, v11
	s_delay_alu instid0(VALU_DEP_3) | instskip(SKIP_1) | instid1(VALU_DEP_3)
	v_dual_add_f32 v9, v9, v31 :: v_dual_fma_f32 v31, v172, v116, -v35
	v_dual_mul_f32 v19, v176, v121 :: v_dual_mul_f32 v21, v178, v123
	v_add_f32_e32 v7, v7, v13
	s_delay_alu instid0(VALU_DEP_3) | instskip(SKIP_2) | instid1(VALU_DEP_3)
	v_dual_mul_f32 v11, v183, v127 :: v_dual_add_f32 v9, v9, v29
	s_wait_loadcnt_dscnt 0x500
	v_dual_mul_f32 v13, v185, v129 :: v_dual_fmac_f32 v17, v175, v118
	v_dual_fma_f32 v29, v174, v118, -v37 :: v_dual_add_f32 v7, v7, v15
	s_delay_alu instid0(VALU_DEP_3) | instskip(SKIP_1) | instid1(VALU_DEP_3)
	v_dual_add_f32 v9, v9, v31 :: v_dual_fma_f32 v31, v176, v120, -v39
	v_dual_mul_f32 v15, v187, v131 :: v_dual_fmac_f32 v19, v177, v120
	v_dual_add_f32 v7, v7, v17 :: v_dual_fma_f32 v17, v178, v122, -v41
	s_delay_alu instid0(VALU_DEP_3) | instskip(SKIP_1) | instid1(VALU_DEP_3)
	v_dual_add_f32 v9, v9, v29 :: v_dual_fmac_f32 v21, v179, v122
	v_dual_mul_f32 v23, v180, v125 :: v_dual_mul_f32 v25, v182, v127
	v_add_f32_e32 v7, v7, v19
	s_wait_loadcnt 0x4
	s_delay_alu instid0(VALU_DEP_3) | instskip(NEXT) | instid1(VALU_DEP_3)
	v_dual_add_f32 v9, v9, v31 :: v_dual_mov_b32 v110, v135
	v_fmac_f32_e32 v23, v181, v124
	s_delay_alu instid0(VALU_DEP_3) | instskip(NEXT) | instid1(VALU_DEP_3)
	v_dual_fma_f32 v19, v180, v124, -v27 :: v_dual_add_f32 v7, v7, v21
	v_dual_add_f32 v9, v9, v17 :: v_dual_fmac_f32 v25, v183, v126
	v_dual_mul_f32 v199, v184, v129 :: v_dual_mul_f32 v201, v186, v131
	s_delay_alu instid0(VALU_DEP_3) | instskip(SKIP_1) | instid1(VALU_DEP_3)
	v_dual_fma_f32 v11, v182, v126, -v11 :: v_dual_add_f32 v7, v7, v23
	s_wait_loadcnt 0x3
	v_dual_add_f32 v9, v9, v19 :: v_dual_mov_b32 v114, v139
	v_pk_mul_f32 v[108:109], v[148:149], v[132:133] op_sel:[1,1] op_sel_hi:[0,1]
	v_dual_fmac_f32 v199, v185, v128 :: v_dual_fma_f32 v198, v184, v128, -v13
	s_delay_alu instid0(VALU_DEP_3) | instskip(SKIP_1) | instid1(VALU_DEP_4)
	v_dual_add_f32 v117, v7, v25 :: v_dual_add_f32 v116, v9, v11
	v_dual_fmac_f32 v201, v187, v130 :: v_dual_fma_f32 v200, v186, v130, -v15
	v_pk_fma_f32 v[118:119], v[148:149], v[132:133], v[108:109] op_sel_hi:[1,0,1]
	v_pk_mul_f32 v[110:111], v[190:191], v[110:111] op_sel_hi:[1,0]
	s_delay_alu instid0(VALU_DEP_4)
	v_pk_add_f32 v[116:117], v[116:117], v[198:199]
	v_pk_fma_f32 v[108:109], v[148:149], v[132:133], v[108:109] neg_lo:[0,0,1] neg_hi:[0,0,1]
	v_pk_mul_f32 v[112:113], v[152:153], v[136:137] op_sel:[1,1] op_sel_hi:[0,1]
	v_mov_b32_e32 v109, v119
	v_pk_fma_f32 v[118:119], v[150:151], v[134:135], v[110:111] op_sel_hi:[1,0,1]
	v_pk_add_f32 v[116:117], v[116:117], v[200:201]
	v_pk_fma_f32 v[110:111], v[150:151], v[134:135], v[110:111] neg_lo:[0,0,1] neg_hi:[0,0,1]
	v_pk_fma_f32 v[122:123], v[152:153], v[136:137], v[112:113] op_sel_hi:[1,0,1]
	v_pk_mul_f32 v[114:115], v[192:193], v[114:115] op_sel_hi:[1,0]
	v_mov_b32_e32 v111, v119
	v_pk_add_f32 v[108:109], v[116:117], v[108:109]
	s_wait_loadcnt 0x2
	v_pk_mul_f32 v[120:121], v[156:157], v[140:141] op_sel:[1,1] op_sel_hi:[0,1]
	v_mov_b32_e32 v116, v143
	v_pk_fma_f32 v[112:113], v[152:153], v[136:137], v[112:113] neg_lo:[0,0,1] neg_hi:[0,0,1]
	v_mov_b32_e32 v113, v123
	v_pk_fma_f32 v[118:119], v[154:155], v[138:139], v[114:115] op_sel_hi:[1,0,1]
	v_pk_add_f32 v[108:109], v[108:109], v[110:111]
	v_pk_fma_f32 v[110:111], v[156:157], v[140:141], v[120:121] op_sel_hi:[1,0,1]
	v_pk_mul_f32 v[116:117], v[194:195], v[116:117] op_sel_hi:[1,0]
	v_pk_fma_f32 v[114:115], v[154:155], v[138:139], v[114:115] neg_lo:[0,0,1] neg_hi:[0,0,1]
	v_mov_b32_e32 v115, v119
	v_pk_add_f32 v[108:109], v[108:109], v[112:113]
	v_pk_fma_f32 v[118:119], v[156:157], v[140:141], v[120:121] neg_lo:[0,0,1] neg_hi:[0,0,1]
	v_mov_b32_e32 v119, v111
	v_pk_fma_f32 v[110:111], v[158:159], v[142:143], v[116:117] op_sel_hi:[1,0,1]
	s_wait_loadcnt 0x1
	v_pk_mul_f32 v[112:113], v[160:161], v[144:145] op_sel:[1,1] op_sel_hi:[0,1]
	v_pk_add_f32 v[108:109], v[108:109], v[114:115]
	v_mov_b32_e32 v110, v147
	v_pk_fma_f32 v[116:117], v[158:159], v[142:143], v[116:117] neg_lo:[0,0,1] neg_hi:[0,0,1]
	v_mov_b32_e32 v117, v111
	v_pk_fma_f32 v[114:115], v[160:161], v[144:145], v[112:113] op_sel_hi:[1,0,1]
	v_pk_add_f32 v[108:109], v[108:109], v[118:119]
	v_pk_mul_f32 v[110:111], v[196:197], v[110:111] op_sel_hi:[1,0]
	v_pk_fma_f32 v[112:113], v[160:161], v[144:145], v[112:113] neg_lo:[0,0,1] neg_hi:[0,0,1]
	s_delay_alu instid0(VALU_DEP_4) | instskip(NEXT) | instid1(VALU_DEP_4)
	v_mov_b32_e32 v113, v115
	v_pk_add_f32 v[108:109], v[108:109], v[116:117]
	s_delay_alu instid0(VALU_DEP_4) | instskip(SKIP_1) | instid1(VALU_DEP_2)
	v_pk_fma_f32 v[114:115], v[162:163], v[146:147], v[110:111] op_sel_hi:[1,0,1]
	v_pk_fma_f32 v[110:111], v[162:163], v[146:147], v[110:111] neg_lo:[0,0,1] neg_hi:[0,0,1]
	v_mov_b32_e32 v111, v115
	s_delay_alu instid0(VALU_DEP_4) | instskip(NEXT) | instid1(VALU_DEP_1)
	v_pk_add_f32 v[108:109], v[108:109], v[112:113]
	v_pk_add_f32 v[108:109], v[108:109], v[110:111]
	s_wait_loadcnt 0x0
	s_delay_alu instid0(VALU_DEP_1)
	v_pk_add_f32 v[108:109], v[188:189], v[108:109] neg_lo:[0,1] neg_hi:[0,1]
	scratch_store_b64 off, v[108:109], off offset:256
	s_wait_xcnt 0x0
	v_cmpx_lt_u32_e32 31, v0
	s_cbranch_execz .LBB116_269
; %bb.268:
	scratch_load_b64 v[108:109], off, off offset:248
	v_mov_b64_e32 v[110:111], 0
	scratch_store_b64 off, v[110:111], off offset:248
	s_wait_loadcnt 0x0
	ds_store_b64 v1, v[108:109]
.LBB116_269:
	s_wait_xcnt 0x0
	s_or_b32 exec_lo, exec_lo, s0
	s_wait_storecnt_dscnt 0x0
	s_barrier_signal -1
	s_barrier_wait -1
	s_clause 0xb
	scratch_load_b128 v[108:111], off, off offset:256
	scratch_load_b128 v[112:115], off, off offset:272
	;; [unrolled: 1-line block ×10, first 2 shown]
	scratch_load_b64 v[188:189], off, off offset:416
	scratch_load_b64 v[190:191], off, off offset:248
	v_mov_b32_e32 v7, 0
	ds_load_b128 v[148:151], v7 offset:784
	ds_load_b128 v[152:155], v7 offset:800
	;; [unrolled: 1-line block ×10, first 2 shown]
	ds_load_b64 v[192:193], v7 offset:848
	s_mov_b32 s0, exec_lo
	s_wait_dscnt 0xa
	v_dual_mov_b32 v194, v151 :: v_dual_mov_b32 v195, v150
	s_wait_dscnt 0x7
	v_dual_mov_b32 v196, v155 :: v_dual_mov_b32 v201, v162
	v_dual_mov_b32 v197, v154 :: v_dual_mov_b32 v198, v159
	;; [unrolled: 1-line block ×3, first 2 shown]
	s_wait_loadcnt_dscnt 0xb06
	v_dual_mul_f32 v9, v164, v109 :: v_dual_mul_f32 v31, v165, v109
	v_dual_mul_f32 v33, v167, v111 :: v_dual_mul_f32 v11, v166, v111
	s_wait_loadcnt_dscnt 0xa05
	v_mul_f32_e32 v13, v168, v113
	s_wait_loadcnt_dscnt 0x803
	v_dual_mul_f32 v43, v177, v121 :: v_dual_fma_f32 v31, v164, v108, -v31
	v_dual_fmac_f32 v9, v165, v108 :: v_dual_mul_f32 v45, v179, v123
	v_dual_mul_f32 v35, v169, v113 :: v_dual_mul_f32 v37, v171, v115
	v_dual_fmac_f32 v11, v167, v110 :: v_dual_fma_f32 v33, v166, v110, -v33
	s_delay_alu instid0(VALU_DEP_3) | instskip(SKIP_4) | instid1(VALU_DEP_3)
	v_dual_add_f32 v9, 0, v9 :: v_dual_add_f32 v31, 0, v31
	v_dual_mul_f32 v15, v170, v115 :: v_dual_mul_f32 v17, v172, v117
	s_wait_loadcnt_dscnt 0x702
	v_dual_mul_f32 v47, v181, v125 :: v_dual_fma_f32 v35, v168, v112, -v35
	v_fmac_f32_e32 v13, v169, v112
	v_dual_add_f32 v9, v9, v11 :: v_dual_fmac_f32 v15, v171, v114
	v_add_f32_e32 v11, v31, v33
	v_dual_mul_f32 v39, v173, v117 :: v_dual_mul_f32 v41, v175, v119
	v_dual_mul_f32 v31, v183, v127 :: v_dual_fma_f32 v33, v170, v114, -v37
	s_delay_alu instid0(VALU_DEP_3) | instskip(SKIP_3) | instid1(VALU_DEP_3)
	v_dual_add_f32 v9, v9, v13 :: v_dual_add_f32 v11, v11, v35
	v_dual_mul_f32 v19, v174, v119 :: v_dual_mul_f32 v21, v176, v121
	s_wait_loadcnt_dscnt 0x601
	v_dual_mul_f32 v13, v185, v129 :: v_dual_fma_f32 v35, v172, v116, -v39
	v_dual_fmac_f32 v17, v173, v116 :: v_dual_add_f32 v11, v11, v33
	s_delay_alu instid0(VALU_DEP_3) | instskip(SKIP_1) | instid1(VALU_DEP_2)
	v_dual_add_f32 v9, v9, v15 :: v_dual_fmac_f32 v19, v175, v118
	v_dual_mul_f32 v15, v187, v131 :: v_dual_fma_f32 v33, v174, v118, -v41
	v_dual_add_f32 v11, v11, v35 :: v_dual_add_f32 v9, v9, v17
	v_dual_mul_f32 v23, v178, v123 :: v_dual_mul_f32 v25, v180, v125
	s_wait_loadcnt 0x5
	v_dual_mul_f32 v17, v149, v133 :: v_dual_fma_f32 v35, v176, v120, -v43
	s_delay_alu instid0(VALU_DEP_3) | instskip(SKIP_2) | instid1(VALU_DEP_2)
	v_dual_fmac_f32 v21, v177, v120 :: v_dual_add_f32 v11, v11, v33
	v_dual_add_f32 v9, v9, v19 :: v_dual_mov_b32 v108, v135
	v_dual_fmac_f32 v23, v179, v122 :: v_dual_fma_f32 v19, v178, v122, -v45
	v_dual_add_f32 v11, v11, v35 :: v_dual_add_f32 v9, v9, v21
	v_dual_mul_f32 v27, v182, v127 :: v_dual_mul_f32 v29, v184, v129
	v_dual_fmac_f32 v25, v181, v124 :: v_dual_fma_f32 v21, v180, v124, -v47
	s_wait_loadcnt 0x4
	s_delay_alu instid0(VALU_DEP_3) | instskip(SKIP_1) | instid1(VALU_DEP_2)
	v_dual_add_f32 v9, v9, v23 :: v_dual_mov_b32 v112, v139
	v_dual_add_f32 v11, v11, v19 :: v_dual_fma_f32 v19, v182, v126, -v31
	v_dual_fmac_f32 v27, v183, v126 :: v_dual_add_f32 v9, v9, v25
	v_dual_mul_f32 v203, v186, v131 :: v_dual_mul_f32 v205, v148, v133
	s_delay_alu instid0(VALU_DEP_3) | instskip(NEXT) | instid1(VALU_DEP_3)
	v_dual_add_f32 v11, v11, v21 :: v_dual_fmac_f32 v29, v185, v128
	v_dual_fma_f32 v13, v184, v128, -v13 :: v_dual_add_f32 v9, v9, v27
	s_delay_alu instid0(VALU_DEP_3) | instskip(NEXT) | instid1(VALU_DEP_3)
	v_fmac_f32_e32 v203, v187, v130
	v_dual_add_f32 v11, v11, v19 :: v_dual_fma_f32 v202, v186, v130, -v15
	v_pk_mul_f32 v[108:109], v[194:195], v[108:109] op_sel_hi:[1,0]
	s_delay_alu instid0(VALU_DEP_4) | instskip(SKIP_1) | instid1(VALU_DEP_4)
	v_add_f32_e32 v117, v9, v29
	v_pk_mul_f32 v[110:111], v[152:153], v[136:137] op_sel:[1,1] op_sel_hi:[0,1]
	v_dual_add_f32 v116, v11, v13 :: v_dual_fmac_f32 v205, v149, v132
	s_wait_loadcnt 0x3
	v_dual_mov_b32 v118, v143 :: v_dual_fma_f32 v204, v148, v132, -v17
	v_pk_fma_f32 v[120:121], v[150:151], v[134:135], v[108:109] op_sel_hi:[1,0,1]
	s_delay_alu instid0(VALU_DEP_3)
	v_pk_add_f32 v[116:117], v[116:117], v[202:203]
	v_pk_fma_f32 v[108:109], v[150:151], v[134:135], v[108:109] neg_lo:[0,0,1] neg_hi:[0,0,1]
	v_pk_fma_f32 v[122:123], v[152:153], v[136:137], v[110:111] op_sel_hi:[1,0,1]
	v_pk_mul_f32 v[112:113], v[196:197], v[112:113] op_sel_hi:[1,0]
	v_mov_b32_e32 v109, v121
	v_pk_add_f32 v[116:117], v[116:117], v[204:205]
	v_pk_fma_f32 v[110:111], v[152:153], v[136:137], v[110:111] neg_lo:[0,0,1] neg_hi:[0,0,1]
	v_pk_mul_f32 v[114:115], v[156:157], v[140:141] op_sel:[1,1] op_sel_hi:[0,1]
	v_mov_b32_e32 v111, v123
	v_pk_fma_f32 v[122:123], v[154:155], v[138:139], v[112:113] op_sel_hi:[1,0,1]
	v_pk_add_f32 v[108:109], v[116:117], v[108:109]
	v_pk_fma_f32 v[112:113], v[154:155], v[138:139], v[112:113] neg_lo:[0,0,1] neg_hi:[0,0,1]
	v_pk_fma_f32 v[116:117], v[156:157], v[140:141], v[114:115] op_sel_hi:[1,0,1]
	v_pk_mul_f32 v[118:119], v[198:199], v[118:119] op_sel_hi:[1,0]
	v_mov_b32_e32 v113, v123
	v_pk_add_f32 v[108:109], v[108:109], v[110:111]
	v_pk_fma_f32 v[114:115], v[156:157], v[140:141], v[114:115] neg_lo:[0,0,1] neg_hi:[0,0,1]
	s_wait_loadcnt 0x2
	v_pk_mul_f32 v[120:121], v[160:161], v[144:145] op_sel:[1,1] op_sel_hi:[0,1]
	v_dual_mov_b32 v110, v147 :: v_dual_mov_b32 v115, v117
	v_pk_fma_f32 v[116:117], v[158:159], v[142:143], v[118:119] op_sel_hi:[1,0,1]
	v_pk_add_f32 v[108:109], v[108:109], v[112:113]
	v_pk_fma_f32 v[118:119], v[158:159], v[142:143], v[118:119] neg_lo:[0,0,1] neg_hi:[0,0,1]
	v_pk_fma_f32 v[112:113], v[160:161], v[144:145], v[120:121] op_sel_hi:[1,0,1]
	v_pk_mul_f32 v[110:111], v[200:201], v[110:111] op_sel_hi:[1,0]
	v_mov_b32_e32 v119, v117
	v_pk_add_f32 v[108:109], v[108:109], v[114:115]
	v_pk_fma_f32 v[114:115], v[160:161], v[144:145], v[120:121] neg_lo:[0,0,1] neg_hi:[0,0,1]
	v_mov_b32_e32 v115, v113
	v_pk_fma_f32 v[112:113], v[162:163], v[146:147], v[110:111] op_sel_hi:[1,0,1]
	s_wait_loadcnt_dscnt 0x100
	v_pk_mul_f32 v[116:117], v[192:193], v[188:189] op_sel:[1,1] op_sel_hi:[0,1]
	v_pk_add_f32 v[108:109], v[108:109], v[118:119]
	v_pk_fma_f32 v[110:111], v[162:163], v[146:147], v[110:111] neg_lo:[0,0,1] neg_hi:[0,0,1]
	v_mov_b32_e32 v111, v113
	s_delay_alu instid0(VALU_DEP_4) | instskip(NEXT) | instid1(VALU_DEP_4)
	v_pk_fma_f32 v[112:113], v[192:193], v[188:189], v[116:117] op_sel_hi:[1,0,1]
	v_pk_add_f32 v[108:109], v[108:109], v[114:115]
	v_pk_fma_f32 v[114:115], v[192:193], v[188:189], v[116:117] neg_lo:[0,0,1] neg_hi:[0,0,1]
	s_delay_alu instid0(VALU_DEP_3) | instskip(NEXT) | instid1(VALU_DEP_3)
	v_mov_b32_e32 v115, v113
	v_pk_add_f32 v[108:109], v[108:109], v[110:111]
	s_delay_alu instid0(VALU_DEP_1) | instskip(SKIP_1) | instid1(VALU_DEP_1)
	v_pk_add_f32 v[108:109], v[108:109], v[114:115]
	s_wait_loadcnt 0x0
	v_pk_add_f32 v[108:109], v[190:191], v[108:109] neg_lo:[0,1] neg_hi:[0,1]
	scratch_store_b64 off, v[108:109], off offset:248
	s_wait_xcnt 0x0
	v_cmpx_lt_u32_e32 30, v0
	s_cbranch_execz .LBB116_271
; %bb.270:
	scratch_load_b64 v[108:109], off, off offset:240
	v_mov_b64_e32 v[110:111], 0
	scratch_store_b64 off, v[110:111], off offset:240
	s_wait_loadcnt 0x0
	ds_store_b64 v1, v[108:109]
.LBB116_271:
	s_wait_xcnt 0x0
	s_or_b32 exec_lo, exec_lo, s0
	s_wait_storecnt_dscnt 0x0
	s_barrier_signal -1
	s_barrier_wait -1
	s_clause 0xb
	scratch_load_b128 v[108:111], off, off offset:248
	scratch_load_b128 v[112:115], off, off offset:264
	;; [unrolled: 1-line block ×11, first 2 shown]
	scratch_load_b64 v[196:197], off, off offset:240
	ds_load_2addr_b64 v[152:155], v7 offset0:99 offset1:100
	ds_load_2addr_b64 v[156:159], v7 offset0:101 offset1:102
	;; [unrolled: 1-line block ×11, first 2 shown]
	s_mov_b32 s0, exec_lo
	s_wait_dscnt 0xa
	v_dual_mov_b32 v198, v155 :: v_dual_mov_b32 v199, v154
	s_wait_dscnt 0x9
	v_dual_mov_b32 v200, v159 :: v_dual_mov_b32 v201, v158
	;; [unrolled: 2-line block ×4, first 2 shown]
	s_wait_loadcnt_dscnt 0xb06
	v_dual_mul_f32 v7, v168, v109 :: v_dual_mul_f32 v9, v170, v111
	v_dual_mul_f32 v31, v169, v109 :: v_dual_mul_f32 v33, v171, v111
	s_wait_loadcnt_dscnt 0xa05
	v_dual_mul_f32 v11, v172, v113 :: v_dual_mul_f32 v13, v174, v115
	s_delay_alu instid0(VALU_DEP_3) | instskip(SKIP_3) | instid1(VALU_DEP_3)
	v_dual_fmac_f32 v7, v169, v108 :: v_dual_fmac_f32 v9, v171, v110
	s_wait_loadcnt_dscnt 0x803
	v_dual_fma_f32 v31, v168, v108, -v31 :: v_dual_mul_f32 v43, v181, v121
	v_dual_mul_f32 v35, v173, v113 :: v_dual_mul_f32 v37, v175, v115
	v_dual_fma_f32 v33, v170, v110, -v33 :: v_dual_add_f32 v7, 0, v7
	s_delay_alu instid0(VALU_DEP_3) | instskip(SKIP_1) | instid1(VALU_DEP_4)
	v_dual_add_f32 v31, 0, v31 :: v_dual_fmac_f32 v11, v173, v112
	v_dual_mul_f32 v15, v176, v117 :: v_dual_mul_f32 v17, v178, v119
	v_dual_mul_f32 v45, v183, v123 :: v_dual_fma_f32 v35, v172, v112, -v35
	s_delay_alu instid0(VALU_DEP_4) | instskip(NEXT) | instid1(VALU_DEP_3)
	v_add_f32_e32 v7, v7, v9
	v_dual_add_f32 v9, v31, v33 :: v_dual_fmac_f32 v15, v177, v116
	v_dual_mul_f32 v39, v177, v117 :: v_dual_mul_f32 v41, v179, v119
	s_wait_loadcnt_dscnt 0x702
	v_dual_mul_f32 v31, v185, v125 :: v_dual_fmac_f32 v13, v175, v114
	v_dual_fma_f32 v33, v174, v114, -v37 :: v_dual_add_f32 v7, v7, v11
	s_delay_alu instid0(VALU_DEP_3) | instskip(SKIP_1) | instid1(VALU_DEP_3)
	v_dual_add_f32 v9, v9, v35 :: v_dual_fma_f32 v35, v176, v116, -v39
	v_dual_mul_f32 v19, v180, v121 :: v_dual_mul_f32 v21, v182, v123
	v_add_f32_e32 v7, v7, v13
	s_delay_alu instid0(VALU_DEP_3) | instskip(SKIP_2) | instid1(VALU_DEP_3)
	v_dual_mul_f32 v11, v187, v127 :: v_dual_add_f32 v9, v9, v33
	s_wait_loadcnt_dscnt 0x601
	v_dual_mul_f32 v13, v189, v129 :: v_dual_fmac_f32 v17, v179, v118
	v_dual_fma_f32 v33, v178, v118, -v41 :: v_dual_add_f32 v7, v7, v15
	s_delay_alu instid0(VALU_DEP_3) | instskip(SKIP_1) | instid1(VALU_DEP_3)
	v_dual_add_f32 v9, v9, v35 :: v_dual_fma_f32 v35, v180, v120, -v43
	v_dual_mul_f32 v15, v191, v131 :: v_dual_fmac_f32 v19, v181, v120
	v_add_f32_e32 v7, v7, v17
	s_delay_alu instid0(VALU_DEP_3)
	v_dual_add_f32 v9, v9, v33 :: v_dual_fmac_f32 v21, v183, v122
	v_dual_mul_f32 v23, v184, v125 :: v_dual_mul_f32 v25, v186, v127
	s_wait_loadcnt_dscnt 0x500
	v_dual_fma_f32 v33, v182, v122, -v45 :: v_dual_mul_f32 v17, v193, v133
	v_add_f32_e32 v7, v7, v19
	v_dual_add_f32 v9, v9, v35 :: v_dual_fma_f32 v31, v184, v124, -v31
	v_dual_mul_f32 v19, v195, v135 :: v_dual_fmac_f32 v23, v185, v124
	s_delay_alu instid0(VALU_DEP_3) | instskip(NEXT) | instid1(VALU_DEP_3)
	v_dual_add_f32 v7, v7, v21 :: v_dual_fma_f32 v11, v186, v126, -v11
	v_dual_add_f32 v9, v9, v33 :: v_dual_fmac_f32 v25, v187, v126
	v_dual_mul_f32 v27, v188, v129 :: v_dual_mul_f32 v29, v190, v131
	s_delay_alu instid0(VALU_DEP_3) | instskip(SKIP_1) | instid1(VALU_DEP_3)
	v_add_f32_e32 v7, v7, v23
	s_wait_loadcnt 0x4
	v_dual_add_f32 v9, v9, v31 :: v_dual_mov_b32 v110, v139
	s_delay_alu instid0(VALU_DEP_3) | instskip(NEXT) | instid1(VALU_DEP_2)
	v_dual_fmac_f32 v27, v189, v128 :: v_dual_fma_f32 v13, v188, v128, -v13
	v_dual_add_f32 v7, v7, v25 :: v_dual_add_f32 v9, v9, v11
	v_dual_fmac_f32 v29, v191, v130 :: v_dual_mul_f32 v207, v192, v133
	v_mul_f32_e32 v209, v194, v135
	s_delay_alu instid0(VALU_DEP_3) | instskip(SKIP_4) | instid1(VALU_DEP_3)
	v_dual_fma_f32 v11, v190, v130, -v15 :: v_dual_add_f32 v7, v7, v27
	s_wait_loadcnt 0x3
	v_dual_add_f32 v9, v9, v13 :: v_dual_mov_b32 v114, v143
	v_pk_mul_f32 v[108:109], v[152:153], v[136:137] op_sel:[1,1] op_sel_hi:[0,1]
	v_dual_fmac_f32 v207, v193, v132 :: v_dual_fma_f32 v206, v192, v132, -v17
	v_dual_add_f32 v117, v7, v29 :: v_dual_add_f32 v116, v9, v11
	v_dual_fmac_f32 v209, v195, v134 :: v_dual_fma_f32 v208, v194, v134, -v19
	s_delay_alu instid0(VALU_DEP_4) | instskip(SKIP_1) | instid1(VALU_DEP_4)
	v_pk_fma_f32 v[118:119], v[152:153], v[136:137], v[108:109] op_sel_hi:[1,0,1]
	v_pk_mul_f32 v[110:111], v[198:199], v[110:111] op_sel_hi:[1,0]
	v_pk_add_f32 v[116:117], v[116:117], v[206:207]
	v_pk_fma_f32 v[108:109], v[152:153], v[136:137], v[108:109] neg_lo:[0,0,1] neg_hi:[0,0,1]
	v_pk_mul_f32 v[112:113], v[156:157], v[140:141] op_sel:[1,1] op_sel_hi:[0,1]
	v_mov_b32_e32 v109, v119
	v_pk_fma_f32 v[118:119], v[154:155], v[138:139], v[110:111] op_sel_hi:[1,0,1]
	v_pk_add_f32 v[116:117], v[116:117], v[208:209]
	v_pk_fma_f32 v[110:111], v[154:155], v[138:139], v[110:111] neg_lo:[0,0,1] neg_hi:[0,0,1]
	v_pk_fma_f32 v[122:123], v[156:157], v[140:141], v[112:113] op_sel_hi:[1,0,1]
	v_pk_mul_f32 v[114:115], v[200:201], v[114:115] op_sel_hi:[1,0]
	v_mov_b32_e32 v111, v119
	v_pk_add_f32 v[108:109], v[116:117], v[108:109]
	s_wait_loadcnt 0x2
	v_pk_mul_f32 v[120:121], v[160:161], v[144:145] op_sel:[1,1] op_sel_hi:[0,1]
	v_mov_b32_e32 v116, v147
	v_pk_fma_f32 v[112:113], v[156:157], v[140:141], v[112:113] neg_lo:[0,0,1] neg_hi:[0,0,1]
	v_mov_b32_e32 v113, v123
	v_pk_fma_f32 v[118:119], v[158:159], v[142:143], v[114:115] op_sel_hi:[1,0,1]
	v_pk_add_f32 v[108:109], v[108:109], v[110:111]
	v_pk_fma_f32 v[110:111], v[160:161], v[144:145], v[120:121] op_sel_hi:[1,0,1]
	v_pk_mul_f32 v[116:117], v[202:203], v[116:117] op_sel_hi:[1,0]
	v_pk_fma_f32 v[114:115], v[158:159], v[142:143], v[114:115] neg_lo:[0,0,1] neg_hi:[0,0,1]
	v_mov_b32_e32 v115, v119
	v_pk_add_f32 v[108:109], v[108:109], v[112:113]
	v_pk_fma_f32 v[118:119], v[160:161], v[144:145], v[120:121] neg_lo:[0,0,1] neg_hi:[0,0,1]
	v_mov_b32_e32 v119, v111
	v_pk_fma_f32 v[110:111], v[162:163], v[146:147], v[116:117] op_sel_hi:[1,0,1]
	s_wait_loadcnt 0x1
	v_pk_mul_f32 v[112:113], v[164:165], v[148:149] op_sel:[1,1] op_sel_hi:[0,1]
	v_pk_add_f32 v[108:109], v[108:109], v[114:115]
	v_mov_b32_e32 v110, v151
	v_pk_fma_f32 v[116:117], v[162:163], v[146:147], v[116:117] neg_lo:[0,0,1] neg_hi:[0,0,1]
	v_mov_b32_e32 v117, v111
	v_pk_fma_f32 v[114:115], v[164:165], v[148:149], v[112:113] op_sel_hi:[1,0,1]
	v_pk_add_f32 v[108:109], v[108:109], v[118:119]
	v_pk_mul_f32 v[110:111], v[204:205], v[110:111] op_sel_hi:[1,0]
	v_pk_fma_f32 v[112:113], v[164:165], v[148:149], v[112:113] neg_lo:[0,0,1] neg_hi:[0,0,1]
	s_delay_alu instid0(VALU_DEP_4) | instskip(NEXT) | instid1(VALU_DEP_4)
	v_mov_b32_e32 v113, v115
	v_pk_add_f32 v[108:109], v[108:109], v[116:117]
	s_delay_alu instid0(VALU_DEP_4) | instskip(SKIP_1) | instid1(VALU_DEP_2)
	v_pk_fma_f32 v[114:115], v[166:167], v[150:151], v[110:111] op_sel_hi:[1,0,1]
	v_pk_fma_f32 v[110:111], v[166:167], v[150:151], v[110:111] neg_lo:[0,0,1] neg_hi:[0,0,1]
	v_mov_b32_e32 v111, v115
	s_delay_alu instid0(VALU_DEP_4) | instskip(NEXT) | instid1(VALU_DEP_1)
	v_pk_add_f32 v[108:109], v[108:109], v[112:113]
	v_pk_add_f32 v[108:109], v[108:109], v[110:111]
	s_wait_loadcnt 0x0
	s_delay_alu instid0(VALU_DEP_1)
	v_pk_add_f32 v[108:109], v[196:197], v[108:109] neg_lo:[0,1] neg_hi:[0,1]
	scratch_store_b64 off, v[108:109], off offset:240
	s_wait_xcnt 0x0
	v_cmpx_lt_u32_e32 29, v0
	s_cbranch_execz .LBB116_273
; %bb.272:
	scratch_load_b64 v[108:109], off, off offset:232
	v_mov_b64_e32 v[110:111], 0
	scratch_store_b64 off, v[110:111], off offset:232
	s_wait_loadcnt 0x0
	ds_store_b64 v1, v[108:109]
.LBB116_273:
	s_wait_xcnt 0x0
	s_or_b32 exec_lo, exec_lo, s0
	s_wait_storecnt_dscnt 0x0
	s_barrier_signal -1
	s_barrier_wait -1
	s_clause 0xc
	scratch_load_b128 v[108:111], off, off offset:240
	scratch_load_b128 v[112:115], off, off offset:256
	;; [unrolled: 1-line block ×11, first 2 shown]
	scratch_load_b64 v[196:197], off, off offset:416
	scratch_load_b64 v[198:199], off, off offset:232
	v_mov_b32_e32 v7, 0
	ds_load_b128 v[152:155], v7 offset:784
	ds_load_b128 v[156:159], v7 offset:800
	;; [unrolled: 1-line block ×11, first 2 shown]
	ds_load_b64 v[200:201], v7 offset:848
	s_mov_b32 s0, exec_lo
	s_wait_dscnt 0xb
	v_dual_mov_b32 v202, v155 :: v_dual_mov_b32 v203, v154
	s_wait_dscnt 0x8
	v_dual_mov_b32 v204, v159 :: v_dual_mov_b32 v209, v166
	v_dual_mov_b32 v205, v158 :: v_dual_mov_b32 v206, v163
	;; [unrolled: 1-line block ×3, first 2 shown]
	s_wait_loadcnt_dscnt 0xc07
	v_dual_mul_f32 v9, v168, v109 :: v_dual_mul_f32 v35, v169, v109
	v_dual_mul_f32 v37, v171, v111 :: v_dual_mul_f32 v11, v170, v111
	s_wait_loadcnt_dscnt 0xb06
	v_mul_f32_e32 v13, v172, v113
	s_wait_loadcnt_dscnt 0x904
	v_dual_mul_f32 v47, v181, v121 :: v_dual_fma_f32 v35, v168, v108, -v35
	v_dual_fmac_f32 v9, v169, v108 :: v_dual_mul_f32 v49, v183, v123
	v_dual_mul_f32 v39, v173, v113 :: v_dual_mul_f32 v41, v175, v115
	v_dual_fmac_f32 v11, v171, v110 :: v_dual_fma_f32 v37, v170, v110, -v37
	s_delay_alu instid0(VALU_DEP_3) | instskip(SKIP_4) | instid1(VALU_DEP_3)
	v_dual_add_f32 v9, 0, v9 :: v_dual_add_f32 v35, 0, v35
	v_dual_mul_f32 v15, v174, v115 :: v_dual_mul_f32 v17, v176, v117
	s_wait_loadcnt_dscnt 0x803
	v_dual_mul_f32 v51, v185, v125 :: v_dual_fma_f32 v39, v172, v112, -v39
	v_fmac_f32_e32 v13, v173, v112
	v_dual_add_f32 v9, v9, v11 :: v_dual_fmac_f32 v15, v175, v114
	v_add_f32_e32 v11, v35, v37
	v_dual_mul_f32 v43, v177, v117 :: v_dual_mul_f32 v45, v179, v119
	v_dual_mul_f32 v35, v187, v127 :: v_dual_fma_f32 v37, v174, v114, -v41
	s_delay_alu instid0(VALU_DEP_3) | instskip(SKIP_3) | instid1(VALU_DEP_3)
	v_dual_add_f32 v9, v9, v13 :: v_dual_add_f32 v11, v11, v39
	v_dual_mul_f32 v19, v178, v119 :: v_dual_mul_f32 v21, v180, v121
	s_wait_loadcnt_dscnt 0x701
	v_dual_mul_f32 v13, v193, v129 :: v_dual_fma_f32 v39, v176, v116, -v43
	v_dual_fmac_f32 v17, v177, v116 :: v_dual_add_f32 v11, v11, v37
	s_delay_alu instid0(VALU_DEP_3) | instskip(SKIP_1) | instid1(VALU_DEP_2)
	v_dual_add_f32 v9, v9, v15 :: v_dual_fmac_f32 v19, v179, v118
	v_dual_mul_f32 v15, v195, v131 :: v_dual_fma_f32 v37, v178, v118, -v45
	v_dual_add_f32 v11, v11, v39 :: v_dual_add_f32 v9, v9, v17
	v_dual_mul_f32 v23, v182, v123 :: v_dual_mul_f32 v25, v184, v125
	s_wait_loadcnt 0x6
	v_dual_mul_f32 v17, v189, v133 :: v_dual_fma_f32 v39, v180, v120, -v47
	s_delay_alu instid0(VALU_DEP_3) | instskip(NEXT) | instid1(VALU_DEP_3)
	v_dual_fmac_f32 v21, v181, v120 :: v_dual_add_f32 v11, v11, v37
	v_dual_add_f32 v9, v9, v19 :: v_dual_fmac_f32 v23, v183, v122
	v_dual_mul_f32 v19, v191, v135 :: v_dual_fma_f32 v37, v182, v122, -v49
	s_delay_alu instid0(VALU_DEP_2) | instskip(SKIP_3) | instid1(VALU_DEP_3)
	v_dual_add_f32 v11, v11, v39 :: v_dual_add_f32 v9, v9, v21
	v_dual_mul_f32 v27, v186, v127 :: v_dual_mul_f32 v29, v192, v129
	s_wait_loadcnt 0x5
	v_dual_mul_f32 v21, v153, v137 :: v_dual_fma_f32 v39, v184, v124, -v51
	v_dual_fmac_f32 v25, v185, v124 :: v_dual_add_f32 v11, v11, v37
	v_dual_add_f32 v9, v9, v23 :: v_dual_mov_b32 v108, v139
	v_fmac_f32_e32 v27, v187, v126
	s_delay_alu instid0(VALU_DEP_3) | instskip(NEXT) | instid1(VALU_DEP_3)
	v_dual_fma_f32 v23, v186, v126, -v35 :: v_dual_add_f32 v11, v11, v39
	v_dual_add_f32 v9, v9, v25 :: v_dual_mul_f32 v31, v194, v131
	v_dual_mul_f32 v33, v188, v133 :: v_dual_fmac_f32 v29, v193, v128
	s_delay_alu instid0(VALU_DEP_3) | instskip(SKIP_1) | instid1(VALU_DEP_3)
	v_dual_add_f32 v11, v11, v23 :: v_dual_fma_f32 v13, v192, v128, -v13
	s_wait_loadcnt 0x4
	v_dual_add_f32 v9, v9, v27 :: v_dual_mov_b32 v112, v143
	v_fma_f32 v15, v194, v130, -v15
	v_fmac_f32_e32 v31, v195, v130
	v_dual_add_f32 v11, v11, v13 :: v_dual_fmac_f32 v33, v189, v132
	s_delay_alu instid0(VALU_DEP_4) | instskip(SKIP_1) | instid1(VALU_DEP_3)
	v_dual_add_f32 v9, v9, v29 :: v_dual_mul_f32 v211, v190, v135
	v_mul_f32_e32 v213, v152, v137
	v_dual_fma_f32 v13, v188, v132, -v17 :: v_dual_add_f32 v11, v11, v15
	s_delay_alu instid0(VALU_DEP_3) | instskip(NEXT) | instid1(VALU_DEP_4)
	v_dual_fma_f32 v210, v190, v134, -v19 :: v_dual_add_f32 v9, v9, v31
	v_fmac_f32_e32 v211, v191, v134
	v_pk_mul_f32 v[108:109], v[202:203], v[108:109] op_sel_hi:[1,0]
	s_delay_alu instid0(VALU_DEP_4) | instskip(NEXT) | instid1(VALU_DEP_4)
	v_dual_add_f32 v116, v11, v13 :: v_dual_fmac_f32 v213, v153, v136
	v_add_f32_e32 v117, v9, v33
	v_pk_mul_f32 v[110:111], v[156:157], v[140:141] op_sel:[1,1] op_sel_hi:[0,1]
	s_wait_loadcnt 0x3
	v_dual_mov_b32 v118, v147 :: v_dual_fma_f32 v212, v152, v136, -v21
	v_pk_fma_f32 v[120:121], v[154:155], v[138:139], v[108:109] op_sel_hi:[1,0,1]
	v_pk_add_f32 v[116:117], v[116:117], v[210:211]
	v_pk_fma_f32 v[108:109], v[154:155], v[138:139], v[108:109] neg_lo:[0,0,1] neg_hi:[0,0,1]
	v_pk_fma_f32 v[122:123], v[156:157], v[140:141], v[110:111] op_sel_hi:[1,0,1]
	v_pk_mul_f32 v[112:113], v[204:205], v[112:113] op_sel_hi:[1,0]
	v_mov_b32_e32 v109, v121
	v_pk_add_f32 v[116:117], v[116:117], v[212:213]
	v_pk_fma_f32 v[110:111], v[156:157], v[140:141], v[110:111] neg_lo:[0,0,1] neg_hi:[0,0,1]
	v_pk_mul_f32 v[114:115], v[160:161], v[144:145] op_sel:[1,1] op_sel_hi:[0,1]
	v_mov_b32_e32 v111, v123
	v_pk_fma_f32 v[122:123], v[158:159], v[142:143], v[112:113] op_sel_hi:[1,0,1]
	v_pk_add_f32 v[108:109], v[116:117], v[108:109]
	v_pk_fma_f32 v[112:113], v[158:159], v[142:143], v[112:113] neg_lo:[0,0,1] neg_hi:[0,0,1]
	v_pk_fma_f32 v[116:117], v[160:161], v[144:145], v[114:115] op_sel_hi:[1,0,1]
	v_pk_mul_f32 v[118:119], v[206:207], v[118:119] op_sel_hi:[1,0]
	v_mov_b32_e32 v113, v123
	v_pk_add_f32 v[108:109], v[108:109], v[110:111]
	v_pk_fma_f32 v[114:115], v[160:161], v[144:145], v[114:115] neg_lo:[0,0,1] neg_hi:[0,0,1]
	s_wait_loadcnt 0x2
	v_pk_mul_f32 v[120:121], v[164:165], v[148:149] op_sel:[1,1] op_sel_hi:[0,1]
	v_dual_mov_b32 v110, v151 :: v_dual_mov_b32 v115, v117
	v_pk_fma_f32 v[116:117], v[162:163], v[146:147], v[118:119] op_sel_hi:[1,0,1]
	v_pk_add_f32 v[108:109], v[108:109], v[112:113]
	v_pk_fma_f32 v[118:119], v[162:163], v[146:147], v[118:119] neg_lo:[0,0,1] neg_hi:[0,0,1]
	v_pk_fma_f32 v[112:113], v[164:165], v[148:149], v[120:121] op_sel_hi:[1,0,1]
	v_pk_mul_f32 v[110:111], v[208:209], v[110:111] op_sel_hi:[1,0]
	v_mov_b32_e32 v119, v117
	v_pk_add_f32 v[108:109], v[108:109], v[114:115]
	v_pk_fma_f32 v[114:115], v[164:165], v[148:149], v[120:121] neg_lo:[0,0,1] neg_hi:[0,0,1]
	v_mov_b32_e32 v115, v113
	v_pk_fma_f32 v[112:113], v[166:167], v[150:151], v[110:111] op_sel_hi:[1,0,1]
	s_wait_loadcnt_dscnt 0x100
	v_pk_mul_f32 v[116:117], v[200:201], v[196:197] op_sel:[1,1] op_sel_hi:[0,1]
	v_pk_add_f32 v[108:109], v[108:109], v[118:119]
	v_pk_fma_f32 v[110:111], v[166:167], v[150:151], v[110:111] neg_lo:[0,0,1] neg_hi:[0,0,1]
	v_mov_b32_e32 v111, v113
	s_delay_alu instid0(VALU_DEP_4) | instskip(NEXT) | instid1(VALU_DEP_4)
	v_pk_fma_f32 v[112:113], v[200:201], v[196:197], v[116:117] op_sel_hi:[1,0,1]
	v_pk_add_f32 v[108:109], v[108:109], v[114:115]
	v_pk_fma_f32 v[114:115], v[200:201], v[196:197], v[116:117] neg_lo:[0,0,1] neg_hi:[0,0,1]
	s_delay_alu instid0(VALU_DEP_3) | instskip(NEXT) | instid1(VALU_DEP_3)
	v_mov_b32_e32 v115, v113
	v_pk_add_f32 v[108:109], v[108:109], v[110:111]
	s_delay_alu instid0(VALU_DEP_1) | instskip(SKIP_1) | instid1(VALU_DEP_1)
	v_pk_add_f32 v[108:109], v[108:109], v[114:115]
	s_wait_loadcnt 0x0
	v_pk_add_f32 v[108:109], v[198:199], v[108:109] neg_lo:[0,1] neg_hi:[0,1]
	scratch_store_b64 off, v[108:109], off offset:232
	s_wait_xcnt 0x0
	v_cmpx_lt_u32_e32 28, v0
	s_cbranch_execz .LBB116_275
; %bb.274:
	scratch_load_b64 v[108:109], off, off offset:224
	v_mov_b64_e32 v[110:111], 0
	scratch_store_b64 off, v[110:111], off offset:224
	s_wait_loadcnt 0x0
	ds_store_b64 v1, v[108:109]
.LBB116_275:
	s_wait_xcnt 0x0
	s_or_b32 exec_lo, exec_lo, s0
	s_wait_storecnt_dscnt 0x0
	s_barrier_signal -1
	s_barrier_wait -1
	s_clause 0xc
	scratch_load_b128 v[108:111], off, off offset:232
	scratch_load_b128 v[112:115], off, off offset:248
	;; [unrolled: 1-line block ×12, first 2 shown]
	scratch_load_b64 v[204:205], off, off offset:224
	ds_load_2addr_b64 v[156:159], v7 offset0:99 offset1:100
	ds_load_2addr_b64 v[160:163], v7 offset0:101 offset1:102
	;; [unrolled: 1-line block ×12, first 2 shown]
	s_mov_b32 s0, exec_lo
	s_wait_dscnt 0xb
	v_dual_mov_b32 v206, v159 :: v_dual_mov_b32 v207, v158
	s_wait_dscnt 0xa
	v_dual_mov_b32 v208, v163 :: v_dual_mov_b32 v209, v162
	;; [unrolled: 2-line block ×4, first 2 shown]
	s_wait_loadcnt_dscnt 0xc07
	v_dual_mul_f32 v7, v172, v109 :: v_dual_mul_f32 v9, v174, v111
	v_dual_mul_f32 v35, v173, v109 :: v_dual_mul_f32 v37, v175, v111
	s_wait_loadcnt_dscnt 0xb06
	v_dual_mul_f32 v11, v176, v113 :: v_dual_mul_f32 v13, v178, v115
	s_delay_alu instid0(VALU_DEP_3) | instskip(SKIP_3) | instid1(VALU_DEP_3)
	v_dual_fmac_f32 v7, v173, v108 :: v_dual_fmac_f32 v9, v175, v110
	s_wait_loadcnt_dscnt 0x904
	v_dual_fma_f32 v35, v172, v108, -v35 :: v_dual_mul_f32 v47, v185, v121
	v_dual_mul_f32 v39, v177, v113 :: v_dual_mul_f32 v41, v179, v115
	v_dual_fma_f32 v37, v174, v110, -v37 :: v_dual_add_f32 v7, 0, v7
	s_delay_alu instid0(VALU_DEP_3) | instskip(SKIP_1) | instid1(VALU_DEP_4)
	v_dual_add_f32 v35, 0, v35 :: v_dual_fmac_f32 v11, v177, v112
	v_dual_mul_f32 v15, v180, v117 :: v_dual_mul_f32 v17, v182, v119
	v_dual_mul_f32 v49, v187, v123 :: v_dual_fma_f32 v39, v176, v112, -v39
	s_delay_alu instid0(VALU_DEP_4) | instskip(NEXT) | instid1(VALU_DEP_3)
	v_add_f32_e32 v7, v7, v9
	v_dual_add_f32 v9, v35, v37 :: v_dual_fmac_f32 v15, v181, v116
	v_dual_mul_f32 v43, v181, v117 :: v_dual_mul_f32 v45, v183, v119
	s_wait_loadcnt_dscnt 0x803
	v_dual_mul_f32 v35, v189, v125 :: v_dual_fmac_f32 v13, v179, v114
	v_dual_fma_f32 v37, v178, v114, -v41 :: v_dual_add_f32 v7, v7, v11
	s_delay_alu instid0(VALU_DEP_3) | instskip(SKIP_1) | instid1(VALU_DEP_3)
	v_dual_add_f32 v9, v9, v39 :: v_dual_fma_f32 v39, v180, v116, -v43
	v_dual_mul_f32 v19, v184, v121 :: v_dual_mul_f32 v21, v186, v123
	v_add_f32_e32 v7, v7, v13
	s_delay_alu instid0(VALU_DEP_3) | instskip(SKIP_2) | instid1(VALU_DEP_3)
	v_dual_mul_f32 v11, v191, v127 :: v_dual_add_f32 v9, v9, v37
	s_wait_loadcnt_dscnt 0x702
	v_dual_mul_f32 v13, v193, v129 :: v_dual_fmac_f32 v17, v183, v118
	v_dual_fma_f32 v37, v182, v118, -v45 :: v_dual_add_f32 v7, v7, v15
	s_delay_alu instid0(VALU_DEP_3) | instskip(SKIP_1) | instid1(VALU_DEP_3)
	v_dual_add_f32 v9, v9, v39 :: v_dual_fma_f32 v39, v184, v120, -v47
	v_dual_mul_f32 v15, v195, v131 :: v_dual_fmac_f32 v19, v185, v120
	v_add_f32_e32 v7, v7, v17
	s_delay_alu instid0(VALU_DEP_3)
	v_dual_add_f32 v9, v9, v37 :: v_dual_fmac_f32 v21, v187, v122
	v_dual_mul_f32 v23, v188, v125 :: v_dual_mul_f32 v25, v190, v127
	s_wait_loadcnt_dscnt 0x601
	v_dual_fma_f32 v37, v186, v122, -v49 :: v_dual_mul_f32 v17, v197, v133
	v_add_f32_e32 v7, v7, v19
	v_dual_add_f32 v9, v9, v39 :: v_dual_fma_f32 v35, v188, v124, -v35
	v_dual_mul_f32 v19, v199, v135 :: v_dual_fmac_f32 v23, v189, v124
	s_delay_alu instid0(VALU_DEP_3) | instskip(NEXT) | instid1(VALU_DEP_3)
	v_dual_add_f32 v7, v7, v21 :: v_dual_fma_f32 v11, v190, v126, -v11
	v_dual_add_f32 v9, v9, v37 :: v_dual_fmac_f32 v25, v191, v126
	v_dual_mul_f32 v27, v192, v129 :: v_dual_mul_f32 v29, v194, v131
	s_wait_loadcnt_dscnt 0x500
	s_delay_alu instid0(VALU_DEP_3) | instskip(NEXT) | instid1(VALU_DEP_3)
	v_dual_mul_f32 v21, v201, v137 :: v_dual_add_f32 v7, v7, v23
	v_dual_add_f32 v9, v9, v35 :: v_dual_fma_f32 v13, v192, v128, -v13
	s_delay_alu instid0(VALU_DEP_3) | instskip(NEXT) | instid1(VALU_DEP_2)
	v_dual_mul_f32 v23, v203, v139 :: v_dual_fmac_f32 v27, v193, v128
	v_dual_add_f32 v7, v7, v25 :: v_dual_add_f32 v9, v9, v11
	v_dual_mul_f32 v31, v196, v133 :: v_dual_mul_f32 v33, v198, v135
	v_dual_fmac_f32 v29, v195, v130 :: v_dual_fma_f32 v11, v194, v130, -v15
	s_delay_alu instid0(VALU_DEP_3) | instskip(SKIP_1) | instid1(VALU_DEP_3)
	v_dual_add_f32 v7, v7, v27 :: v_dual_add_f32 v9, v9, v13
	s_wait_loadcnt 0x4
	v_dual_mov_b32 v110, v143 :: v_dual_fmac_f32 v31, v197, v132
	s_delay_alu instid0(VALU_DEP_2) | instskip(NEXT) | instid1(VALU_DEP_3)
	v_dual_fma_f32 v13, v196, v132, -v17 :: v_dual_add_f32 v7, v7, v29
	v_dual_add_f32 v9, v9, v11 :: v_dual_fmac_f32 v33, v199, v134
	v_dual_mul_f32 v215, v200, v137 :: v_dual_mul_f32 v217, v202, v139
	s_delay_alu instid0(VALU_DEP_3) | instskip(SKIP_1) | instid1(VALU_DEP_3)
	v_dual_fma_f32 v11, v198, v134, -v19 :: v_dual_add_f32 v7, v7, v31
	s_wait_loadcnt 0x3
	v_dual_add_f32 v9, v9, v13 :: v_dual_mov_b32 v114, v147
	v_pk_mul_f32 v[108:109], v[156:157], v[140:141] op_sel:[1,1] op_sel_hi:[0,1]
	v_dual_fmac_f32 v215, v201, v136 :: v_dual_fma_f32 v214, v200, v136, -v21
	s_delay_alu instid0(VALU_DEP_3) | instskip(SKIP_1) | instid1(VALU_DEP_4)
	v_dual_add_f32 v117, v7, v33 :: v_dual_add_f32 v116, v9, v11
	v_dual_fmac_f32 v217, v203, v138 :: v_dual_fma_f32 v216, v202, v138, -v23
	v_pk_fma_f32 v[118:119], v[156:157], v[140:141], v[108:109] op_sel_hi:[1,0,1]
	v_pk_mul_f32 v[110:111], v[206:207], v[110:111] op_sel_hi:[1,0]
	s_delay_alu instid0(VALU_DEP_4)
	v_pk_add_f32 v[116:117], v[116:117], v[214:215]
	v_pk_fma_f32 v[108:109], v[156:157], v[140:141], v[108:109] neg_lo:[0,0,1] neg_hi:[0,0,1]
	v_pk_mul_f32 v[112:113], v[160:161], v[144:145] op_sel:[1,1] op_sel_hi:[0,1]
	v_mov_b32_e32 v109, v119
	v_pk_fma_f32 v[118:119], v[158:159], v[142:143], v[110:111] op_sel_hi:[1,0,1]
	v_pk_add_f32 v[116:117], v[116:117], v[216:217]
	v_pk_fma_f32 v[110:111], v[158:159], v[142:143], v[110:111] neg_lo:[0,0,1] neg_hi:[0,0,1]
	v_pk_fma_f32 v[122:123], v[160:161], v[144:145], v[112:113] op_sel_hi:[1,0,1]
	v_pk_mul_f32 v[114:115], v[208:209], v[114:115] op_sel_hi:[1,0]
	v_mov_b32_e32 v111, v119
	v_pk_add_f32 v[108:109], v[116:117], v[108:109]
	s_wait_loadcnt 0x2
	v_pk_mul_f32 v[120:121], v[164:165], v[148:149] op_sel:[1,1] op_sel_hi:[0,1]
	v_mov_b32_e32 v116, v151
	v_pk_fma_f32 v[112:113], v[160:161], v[144:145], v[112:113] neg_lo:[0,0,1] neg_hi:[0,0,1]
	v_mov_b32_e32 v113, v123
	v_pk_fma_f32 v[118:119], v[162:163], v[146:147], v[114:115] op_sel_hi:[1,0,1]
	v_pk_add_f32 v[108:109], v[108:109], v[110:111]
	v_pk_fma_f32 v[110:111], v[164:165], v[148:149], v[120:121] op_sel_hi:[1,0,1]
	v_pk_mul_f32 v[116:117], v[210:211], v[116:117] op_sel_hi:[1,0]
	v_pk_fma_f32 v[114:115], v[162:163], v[146:147], v[114:115] neg_lo:[0,0,1] neg_hi:[0,0,1]
	v_mov_b32_e32 v115, v119
	v_pk_add_f32 v[108:109], v[108:109], v[112:113]
	v_pk_fma_f32 v[118:119], v[164:165], v[148:149], v[120:121] neg_lo:[0,0,1] neg_hi:[0,0,1]
	v_mov_b32_e32 v119, v111
	v_pk_fma_f32 v[110:111], v[166:167], v[150:151], v[116:117] op_sel_hi:[1,0,1]
	s_wait_loadcnt 0x1
	v_pk_mul_f32 v[112:113], v[168:169], v[152:153] op_sel:[1,1] op_sel_hi:[0,1]
	v_pk_add_f32 v[108:109], v[108:109], v[114:115]
	v_mov_b32_e32 v110, v155
	v_pk_fma_f32 v[116:117], v[166:167], v[150:151], v[116:117] neg_lo:[0,0,1] neg_hi:[0,0,1]
	v_mov_b32_e32 v117, v111
	v_pk_fma_f32 v[114:115], v[168:169], v[152:153], v[112:113] op_sel_hi:[1,0,1]
	v_pk_add_f32 v[108:109], v[108:109], v[118:119]
	v_pk_mul_f32 v[110:111], v[212:213], v[110:111] op_sel_hi:[1,0]
	v_pk_fma_f32 v[112:113], v[168:169], v[152:153], v[112:113] neg_lo:[0,0,1] neg_hi:[0,0,1]
	s_delay_alu instid0(VALU_DEP_4) | instskip(NEXT) | instid1(VALU_DEP_4)
	v_mov_b32_e32 v113, v115
	v_pk_add_f32 v[108:109], v[108:109], v[116:117]
	s_delay_alu instid0(VALU_DEP_4) | instskip(SKIP_1) | instid1(VALU_DEP_2)
	v_pk_fma_f32 v[114:115], v[170:171], v[154:155], v[110:111] op_sel_hi:[1,0,1]
	v_pk_fma_f32 v[110:111], v[170:171], v[154:155], v[110:111] neg_lo:[0,0,1] neg_hi:[0,0,1]
	v_mov_b32_e32 v111, v115
	s_delay_alu instid0(VALU_DEP_4) | instskip(NEXT) | instid1(VALU_DEP_1)
	v_pk_add_f32 v[108:109], v[108:109], v[112:113]
	v_pk_add_f32 v[108:109], v[108:109], v[110:111]
	s_wait_loadcnt 0x0
	s_delay_alu instid0(VALU_DEP_1)
	v_pk_add_f32 v[108:109], v[204:205], v[108:109] neg_lo:[0,1] neg_hi:[0,1]
	scratch_store_b64 off, v[108:109], off offset:224
	s_wait_xcnt 0x0
	v_cmpx_lt_u32_e32 27, v0
	s_cbranch_execz .LBB116_277
; %bb.276:
	scratch_load_b64 v[108:109], off, off offset:216
	v_mov_b64_e32 v[110:111], 0
	scratch_store_b64 off, v[110:111], off offset:216
	s_wait_loadcnt 0x0
	ds_store_b64 v1, v[108:109]
.LBB116_277:
	s_wait_xcnt 0x0
	s_or_b32 exec_lo, exec_lo, s0
	s_wait_storecnt_dscnt 0x0
	s_barrier_signal -1
	s_barrier_wait -1
	s_clause 0xd
	scratch_load_b128 v[108:111], off, off offset:224
	scratch_load_b128 v[112:115], off, off offset:240
	;; [unrolled: 1-line block ×12, first 2 shown]
	scratch_load_b64 v[204:205], off, off offset:416
	scratch_load_b64 v[206:207], off, off offset:216
	v_mov_b32_e32 v7, 0
	ds_load_b128 v[156:159], v7 offset:784
	ds_load_b128 v[160:163], v7 offset:800
	;; [unrolled: 1-line block ×12, first 2 shown]
	ds_load_b64 v[208:209], v7 offset:848
	s_mov_b32 s0, exec_lo
	s_wait_dscnt 0xc
	v_dual_mov_b32 v210, v159 :: v_dual_mov_b32 v211, v158
	s_wait_dscnt 0x9
	v_dual_mov_b32 v212, v163 :: v_dual_mov_b32 v217, v170
	v_dual_mov_b32 v213, v162 :: v_dual_mov_b32 v214, v167
	;; [unrolled: 1-line block ×3, first 2 shown]
	s_wait_loadcnt_dscnt 0xd08
	v_dual_mul_f32 v9, v172, v109 :: v_dual_mul_f32 v39, v173, v109
	v_dual_mul_f32 v41, v175, v111 :: v_dual_mul_f32 v11, v174, v111
	s_wait_loadcnt_dscnt 0xc07
	v_mul_f32_e32 v13, v176, v113
	s_wait_loadcnt_dscnt 0xa05
	v_dual_mul_f32 v51, v185, v121 :: v_dual_fma_f32 v39, v172, v108, -v39
	v_dual_fmac_f32 v9, v173, v108 :: v_dual_mul_f32 v53, v187, v123
	v_dual_mul_f32 v43, v177, v113 :: v_dual_mul_f32 v45, v179, v115
	v_dual_fmac_f32 v11, v175, v110 :: v_dual_fma_f32 v41, v174, v110, -v41
	s_delay_alu instid0(VALU_DEP_3) | instskip(SKIP_4) | instid1(VALU_DEP_3)
	v_dual_add_f32 v9, 0, v9 :: v_dual_add_f32 v39, 0, v39
	v_dual_mul_f32 v15, v178, v115 :: v_dual_mul_f32 v17, v180, v117
	s_wait_loadcnt_dscnt 0x904
	v_dual_mul_f32 v55, v189, v125 :: v_dual_fma_f32 v43, v176, v112, -v43
	v_fmac_f32_e32 v13, v177, v112
	v_dual_add_f32 v9, v9, v11 :: v_dual_fmac_f32 v15, v179, v114
	v_add_f32_e32 v11, v39, v41
	v_dual_mul_f32 v47, v181, v117 :: v_dual_mul_f32 v49, v183, v119
	v_dual_mul_f32 v39, v191, v127 :: v_dual_fma_f32 v41, v178, v114, -v45
	s_delay_alu instid0(VALU_DEP_3) | instskip(SKIP_3) | instid1(VALU_DEP_3)
	v_dual_add_f32 v9, v9, v13 :: v_dual_add_f32 v11, v11, v43
	v_dual_mul_f32 v19, v182, v119 :: v_dual_mul_f32 v21, v184, v121
	s_wait_loadcnt_dscnt 0x803
	v_dual_mul_f32 v13, v193, v129 :: v_dual_fma_f32 v43, v180, v116, -v47
	v_dual_fmac_f32 v17, v181, v116 :: v_dual_add_f32 v11, v11, v41
	s_delay_alu instid0(VALU_DEP_3) | instskip(SKIP_1) | instid1(VALU_DEP_2)
	v_dual_add_f32 v9, v9, v15 :: v_dual_fmac_f32 v19, v183, v118
	v_dual_mul_f32 v15, v195, v131 :: v_dual_fma_f32 v41, v182, v118, -v49
	v_dual_add_f32 v11, v11, v43 :: v_dual_add_f32 v9, v9, v17
	v_dual_mul_f32 v23, v186, v123 :: v_dual_mul_f32 v25, v188, v125
	s_wait_loadcnt_dscnt 0x702
	v_dual_mul_f32 v17, v197, v133 :: v_dual_fma_f32 v43, v184, v120, -v51
	s_delay_alu instid0(VALU_DEP_3) | instskip(NEXT) | instid1(VALU_DEP_3)
	v_dual_fmac_f32 v21, v185, v120 :: v_dual_add_f32 v11, v11, v41
	v_dual_add_f32 v9, v9, v19 :: v_dual_fmac_f32 v23, v187, v122
	v_dual_mul_f32 v19, v199, v135 :: v_dual_fma_f32 v41, v186, v122, -v53
	s_delay_alu instid0(VALU_DEP_2) | instskip(SKIP_3) | instid1(VALU_DEP_3)
	v_dual_add_f32 v11, v11, v43 :: v_dual_add_f32 v9, v9, v21
	v_dual_mul_f32 v27, v190, v127 :: v_dual_mul_f32 v29, v192, v129
	s_wait_loadcnt_dscnt 0x601
	v_dual_mul_f32 v21, v201, v137 :: v_dual_fma_f32 v43, v188, v124, -v55
	v_dual_fmac_f32 v25, v189, v124 :: v_dual_add_f32 v11, v11, v41
	s_delay_alu instid0(VALU_DEP_3) | instskip(SKIP_1) | instid1(VALU_DEP_2)
	v_dual_add_f32 v9, v9, v23 :: v_dual_fmac_f32 v27, v191, v126
	v_dual_mul_f32 v23, v203, v139 :: v_dual_fma_f32 v39, v190, v126, -v39
	v_dual_add_f32 v11, v11, v43 :: v_dual_add_f32 v9, v9, v25
	v_dual_mul_f32 v31, v194, v131 :: v_dual_mul_f32 v33, v196, v133
	s_wait_loadcnt 0x5
	v_dual_mul_f32 v25, v157, v141 :: v_dual_fma_f32 v13, v192, v128, -v13
	s_delay_alu instid0(VALU_DEP_3) | instskip(SKIP_2) | instid1(VALU_DEP_3)
	v_dual_fmac_f32 v29, v193, v128 :: v_dual_add_f32 v11, v11, v39
	v_dual_add_f32 v9, v9, v27 :: v_dual_mov_b32 v108, v143
	v_fmac_f32_e32 v31, v195, v130
	v_dual_fma_f32 v15, v194, v130, -v15 :: v_dual_add_f32 v11, v11, v13
	s_delay_alu instid0(VALU_DEP_3) | instskip(SKIP_1) | instid1(VALU_DEP_3)
	v_dual_add_f32 v9, v9, v29 :: v_dual_mul_f32 v35, v198, v135
	v_dual_mul_f32 v37, v200, v137 :: v_dual_fmac_f32 v33, v197, v132
	v_dual_add_f32 v11, v11, v15 :: v_dual_fma_f32 v13, v196, v132, -v17
	s_wait_loadcnt 0x4
	s_delay_alu instid0(VALU_DEP_3) | instskip(SKIP_3) | instid1(VALU_DEP_4)
	v_dual_add_f32 v9, v9, v31 :: v_dual_mov_b32 v112, v147
	v_fma_f32 v15, v198, v134, -v19
	v_fmac_f32_e32 v35, v199, v134
	v_dual_add_f32 v11, v11, v13 :: v_dual_fmac_f32 v37, v201, v136
	v_dual_add_f32 v9, v9, v33 :: v_dual_mul_f32 v219, v202, v139
	v_mul_f32_e32 v221, v156, v141
	s_delay_alu instid0(VALU_DEP_3) | instskip(NEXT) | instid1(VALU_DEP_3)
	v_dual_fma_f32 v13, v200, v136, -v21 :: v_dual_add_f32 v11, v11, v15
	v_dual_fma_f32 v218, v202, v138, -v23 :: v_dual_add_f32 v9, v9, v35
	s_delay_alu instid0(VALU_DEP_4) | instskip(SKIP_1) | instid1(VALU_DEP_4)
	v_fmac_f32_e32 v219, v203, v138
	v_pk_mul_f32 v[108:109], v[210:211], v[108:109] op_sel_hi:[1,0]
	v_dual_add_f32 v116, v11, v13 :: v_dual_fmac_f32 v221, v157, v140
	s_delay_alu instid0(VALU_DEP_4)
	v_add_f32_e32 v117, v9, v37
	v_pk_mul_f32 v[110:111], v[160:161], v[144:145] op_sel:[1,1] op_sel_hi:[0,1]
	s_wait_loadcnt 0x3
	v_dual_mov_b32 v118, v151 :: v_dual_fma_f32 v220, v156, v140, -v25
	v_pk_fma_f32 v[120:121], v[158:159], v[142:143], v[108:109] op_sel_hi:[1,0,1]
	v_pk_add_f32 v[116:117], v[116:117], v[218:219]
	v_pk_fma_f32 v[108:109], v[158:159], v[142:143], v[108:109] neg_lo:[0,0,1] neg_hi:[0,0,1]
	v_pk_fma_f32 v[122:123], v[160:161], v[144:145], v[110:111] op_sel_hi:[1,0,1]
	v_pk_mul_f32 v[112:113], v[212:213], v[112:113] op_sel_hi:[1,0]
	v_mov_b32_e32 v109, v121
	v_pk_add_f32 v[116:117], v[116:117], v[220:221]
	v_pk_fma_f32 v[110:111], v[160:161], v[144:145], v[110:111] neg_lo:[0,0,1] neg_hi:[0,0,1]
	v_pk_mul_f32 v[114:115], v[164:165], v[148:149] op_sel:[1,1] op_sel_hi:[0,1]
	v_mov_b32_e32 v111, v123
	v_pk_fma_f32 v[122:123], v[162:163], v[146:147], v[112:113] op_sel_hi:[1,0,1]
	v_pk_add_f32 v[108:109], v[116:117], v[108:109]
	v_pk_fma_f32 v[112:113], v[162:163], v[146:147], v[112:113] neg_lo:[0,0,1] neg_hi:[0,0,1]
	v_pk_fma_f32 v[116:117], v[164:165], v[148:149], v[114:115] op_sel_hi:[1,0,1]
	v_pk_mul_f32 v[118:119], v[214:215], v[118:119] op_sel_hi:[1,0]
	v_mov_b32_e32 v113, v123
	v_pk_add_f32 v[108:109], v[108:109], v[110:111]
	v_pk_fma_f32 v[114:115], v[164:165], v[148:149], v[114:115] neg_lo:[0,0,1] neg_hi:[0,0,1]
	s_wait_loadcnt 0x2
	v_pk_mul_f32 v[120:121], v[168:169], v[152:153] op_sel:[1,1] op_sel_hi:[0,1]
	v_dual_mov_b32 v110, v155 :: v_dual_mov_b32 v115, v117
	v_pk_fma_f32 v[116:117], v[166:167], v[150:151], v[118:119] op_sel_hi:[1,0,1]
	v_pk_add_f32 v[108:109], v[108:109], v[112:113]
	v_pk_fma_f32 v[118:119], v[166:167], v[150:151], v[118:119] neg_lo:[0,0,1] neg_hi:[0,0,1]
	v_pk_fma_f32 v[112:113], v[168:169], v[152:153], v[120:121] op_sel_hi:[1,0,1]
	v_pk_mul_f32 v[110:111], v[216:217], v[110:111] op_sel_hi:[1,0]
	v_mov_b32_e32 v119, v117
	v_pk_add_f32 v[108:109], v[108:109], v[114:115]
	v_pk_fma_f32 v[114:115], v[168:169], v[152:153], v[120:121] neg_lo:[0,0,1] neg_hi:[0,0,1]
	v_mov_b32_e32 v115, v113
	v_pk_fma_f32 v[112:113], v[170:171], v[154:155], v[110:111] op_sel_hi:[1,0,1]
	s_wait_loadcnt_dscnt 0x100
	v_pk_mul_f32 v[116:117], v[208:209], v[204:205] op_sel:[1,1] op_sel_hi:[0,1]
	v_pk_add_f32 v[108:109], v[108:109], v[118:119]
	v_pk_fma_f32 v[110:111], v[170:171], v[154:155], v[110:111] neg_lo:[0,0,1] neg_hi:[0,0,1]
	v_mov_b32_e32 v111, v113
	s_delay_alu instid0(VALU_DEP_4) | instskip(NEXT) | instid1(VALU_DEP_4)
	v_pk_fma_f32 v[112:113], v[208:209], v[204:205], v[116:117] op_sel_hi:[1,0,1]
	v_pk_add_f32 v[108:109], v[108:109], v[114:115]
	v_pk_fma_f32 v[114:115], v[208:209], v[204:205], v[116:117] neg_lo:[0,0,1] neg_hi:[0,0,1]
	s_delay_alu instid0(VALU_DEP_3) | instskip(NEXT) | instid1(VALU_DEP_3)
	v_mov_b32_e32 v115, v113
	v_pk_add_f32 v[108:109], v[108:109], v[110:111]
	s_delay_alu instid0(VALU_DEP_1) | instskip(SKIP_1) | instid1(VALU_DEP_1)
	v_pk_add_f32 v[108:109], v[108:109], v[114:115]
	s_wait_loadcnt 0x0
	v_pk_add_f32 v[108:109], v[206:207], v[108:109] neg_lo:[0,1] neg_hi:[0,1]
	scratch_store_b64 off, v[108:109], off offset:216
	s_wait_xcnt 0x0
	v_cmpx_lt_u32_e32 26, v0
	s_cbranch_execz .LBB116_279
; %bb.278:
	scratch_load_b64 v[108:109], off, off offset:208
	v_mov_b64_e32 v[110:111], 0
	scratch_store_b64 off, v[110:111], off offset:208
	s_wait_loadcnt 0x0
	ds_store_b64 v1, v[108:109]
.LBB116_279:
	s_wait_xcnt 0x0
	s_or_b32 exec_lo, exec_lo, s0
	s_wait_storecnt_dscnt 0x0
	s_barrier_signal -1
	s_barrier_wait -1
	s_clause 0xd
	scratch_load_b128 v[108:111], off, off offset:216
	scratch_load_b128 v[112:115], off, off offset:232
	;; [unrolled: 1-line block ×13, first 2 shown]
	scratch_load_b64 v[212:213], off, off offset:208
	ds_load_2addr_b64 v[160:163], v7 offset0:99 offset1:100
	ds_load_2addr_b64 v[164:167], v7 offset0:101 offset1:102
	;; [unrolled: 1-line block ×13, first 2 shown]
	s_mov_b32 s0, exec_lo
	s_wait_dscnt 0xc
	v_dual_mov_b32 v214, v163 :: v_dual_mov_b32 v215, v162
	s_wait_dscnt 0xb
	v_dual_mov_b32 v216, v167 :: v_dual_mov_b32 v217, v166
	;; [unrolled: 2-line block ×4, first 2 shown]
	s_wait_loadcnt_dscnt 0xd08
	v_dual_mul_f32 v7, v176, v109 :: v_dual_mul_f32 v9, v178, v111
	v_dual_mul_f32 v39, v177, v109 :: v_dual_mul_f32 v41, v179, v111
	s_wait_loadcnt_dscnt 0xc07
	v_dual_mul_f32 v11, v180, v113 :: v_dual_mul_f32 v13, v182, v115
	s_delay_alu instid0(VALU_DEP_3) | instskip(SKIP_3) | instid1(VALU_DEP_3)
	v_dual_fmac_f32 v7, v177, v108 :: v_dual_fmac_f32 v9, v179, v110
	s_wait_loadcnt_dscnt 0xa05
	v_dual_fma_f32 v39, v176, v108, -v39 :: v_dual_mul_f32 v51, v189, v121
	v_dual_mul_f32 v43, v181, v113 :: v_dual_mul_f32 v45, v183, v115
	v_dual_fma_f32 v41, v178, v110, -v41 :: v_dual_add_f32 v7, 0, v7
	s_delay_alu instid0(VALU_DEP_3) | instskip(SKIP_1) | instid1(VALU_DEP_4)
	v_dual_add_f32 v39, 0, v39 :: v_dual_fmac_f32 v11, v181, v112
	v_dual_mul_f32 v15, v184, v117 :: v_dual_mul_f32 v17, v186, v119
	v_dual_mul_f32 v53, v191, v123 :: v_dual_fma_f32 v43, v180, v112, -v43
	s_delay_alu instid0(VALU_DEP_4) | instskip(NEXT) | instid1(VALU_DEP_3)
	v_add_f32_e32 v7, v7, v9
	v_dual_add_f32 v9, v39, v41 :: v_dual_fmac_f32 v15, v185, v116
	v_dual_mul_f32 v47, v185, v117 :: v_dual_mul_f32 v49, v187, v119
	s_wait_loadcnt_dscnt 0x903
	v_dual_mul_f32 v39, v197, v125 :: v_dual_fmac_f32 v13, v183, v114
	v_dual_fma_f32 v41, v182, v114, -v45 :: v_dual_add_f32 v7, v7, v11
	s_delay_alu instid0(VALU_DEP_3) | instskip(SKIP_1) | instid1(VALU_DEP_3)
	v_dual_add_f32 v9, v9, v43 :: v_dual_fma_f32 v43, v184, v116, -v47
	v_dual_mul_f32 v19, v188, v121 :: v_dual_mul_f32 v21, v190, v123
	v_add_f32_e32 v7, v7, v13
	s_delay_alu instid0(VALU_DEP_3) | instskip(SKIP_2) | instid1(VALU_DEP_3)
	v_dual_mul_f32 v11, v199, v127 :: v_dual_add_f32 v9, v9, v41
	s_wait_loadcnt_dscnt 0x802
	v_dual_mul_f32 v13, v201, v129 :: v_dual_fmac_f32 v17, v187, v118
	v_dual_fma_f32 v41, v186, v118, -v49 :: v_dual_add_f32 v7, v7, v15
	s_delay_alu instid0(VALU_DEP_3) | instskip(SKIP_1) | instid1(VALU_DEP_3)
	v_dual_add_f32 v9, v9, v43 :: v_dual_fma_f32 v43, v188, v120, -v51
	v_dual_mul_f32 v15, v203, v131 :: v_dual_fmac_f32 v19, v189, v120
	v_add_f32_e32 v7, v7, v17
	s_delay_alu instid0(VALU_DEP_3)
	v_dual_add_f32 v9, v9, v41 :: v_dual_fmac_f32 v21, v191, v122
	v_dual_mul_f32 v23, v196, v125 :: v_dual_mul_f32 v25, v198, v127
	s_wait_loadcnt_dscnt 0x701
	v_dual_fma_f32 v41, v190, v122, -v53 :: v_dual_mul_f32 v17, v205, v133
	v_add_f32_e32 v7, v7, v19
	v_dual_add_f32 v9, v9, v43 :: v_dual_fma_f32 v39, v196, v124, -v39
	v_dual_mul_f32 v19, v207, v135 :: v_dual_fmac_f32 v23, v197, v124
	s_delay_alu instid0(VALU_DEP_3) | instskip(NEXT) | instid1(VALU_DEP_3)
	v_dual_add_f32 v7, v7, v21 :: v_dual_fma_f32 v11, v198, v126, -v11
	v_dual_add_f32 v9, v9, v41 :: v_dual_fmac_f32 v25, v199, v126
	v_dual_mul_f32 v27, v200, v129 :: v_dual_mul_f32 v29, v202, v131
	s_wait_loadcnt_dscnt 0x600
	s_delay_alu instid0(VALU_DEP_3) | instskip(NEXT) | instid1(VALU_DEP_3)
	v_dual_mul_f32 v21, v209, v137 :: v_dual_add_f32 v7, v7, v23
	v_dual_add_f32 v9, v9, v39 :: v_dual_fma_f32 v13, v200, v128, -v13
	s_delay_alu instid0(VALU_DEP_3) | instskip(NEXT) | instid1(VALU_DEP_2)
	v_dual_mul_f32 v23, v211, v139 :: v_dual_fmac_f32 v27, v201, v128
	v_dual_add_f32 v7, v7, v25 :: v_dual_add_f32 v9, v9, v11
	v_dual_mul_f32 v31, v204, v133 :: v_dual_mul_f32 v33, v206, v135
	s_wait_loadcnt 0x5
	v_dual_mul_f32 v11, v193, v141 :: v_dual_fmac_f32 v29, v203, v130
	s_delay_alu instid0(VALU_DEP_3) | instskip(SKIP_2) | instid1(VALU_DEP_2)
	v_dual_fma_f32 v15, v202, v130, -v15 :: v_dual_add_f32 v7, v7, v27
	v_dual_add_f32 v9, v9, v13 :: v_dual_mul_f32 v13, v195, v143
	v_dual_fmac_f32 v31, v205, v132 :: v_dual_fma_f32 v17, v204, v132, -v17
	v_dual_add_f32 v7, v7, v29 :: v_dual_add_f32 v9, v9, v15
	v_dual_mul_f32 v35, v208, v137 :: v_dual_mul_f32 v37, v210, v139
	v_dual_fmac_f32 v33, v207, v134 :: v_dual_fma_f32 v15, v206, v134, -v19
	s_delay_alu instid0(VALU_DEP_3) | instskip(SKIP_1) | instid1(VALU_DEP_3)
	v_dual_add_f32 v7, v7, v31 :: v_dual_add_f32 v9, v9, v17
	s_wait_loadcnt 0x4
	v_dual_mov_b32 v110, v147 :: v_dual_fmac_f32 v35, v209, v136
	s_delay_alu instid0(VALU_DEP_2) | instskip(NEXT) | instid1(VALU_DEP_3)
	v_dual_fma_f32 v17, v208, v136, -v21 :: v_dual_add_f32 v7, v7, v33
	v_dual_add_f32 v9, v9, v15 :: v_dual_fmac_f32 v37, v211, v138
	v_dual_mul_f32 v223, v192, v141 :: v_dual_mul_f32 v225, v194, v143
	s_delay_alu instid0(VALU_DEP_3) | instskip(SKIP_1) | instid1(VALU_DEP_3)
	v_dual_fma_f32 v15, v210, v138, -v23 :: v_dual_add_f32 v7, v7, v35
	s_wait_loadcnt 0x3
	v_dual_add_f32 v9, v9, v17 :: v_dual_mov_b32 v114, v151
	v_pk_mul_f32 v[108:109], v[160:161], v[144:145] op_sel:[1,1] op_sel_hi:[0,1]
	s_delay_alu instid0(VALU_DEP_3) | instskip(NEXT) | instid1(VALU_DEP_3)
	v_dual_fmac_f32 v223, v193, v140 :: v_dual_add_f32 v117, v7, v37
	v_dual_fma_f32 v222, v192, v140, -v11 :: v_dual_add_f32 v116, v9, v15
	v_fmac_f32_e32 v225, v195, v142
	s_delay_alu instid0(VALU_DEP_4)
	v_pk_fma_f32 v[118:119], v[160:161], v[144:145], v[108:109] op_sel_hi:[1,0,1]
	v_fma_f32 v224, v194, v142, -v13
	v_pk_mul_f32 v[110:111], v[214:215], v[110:111] op_sel_hi:[1,0]
	v_pk_add_f32 v[116:117], v[116:117], v[222:223]
	v_pk_fma_f32 v[108:109], v[160:161], v[144:145], v[108:109] neg_lo:[0,0,1] neg_hi:[0,0,1]
	v_pk_mul_f32 v[112:113], v[164:165], v[148:149] op_sel:[1,1] op_sel_hi:[0,1]
	v_mov_b32_e32 v109, v119
	v_pk_fma_f32 v[118:119], v[162:163], v[146:147], v[110:111] op_sel_hi:[1,0,1]
	v_pk_add_f32 v[116:117], v[116:117], v[224:225]
	v_pk_fma_f32 v[110:111], v[162:163], v[146:147], v[110:111] neg_lo:[0,0,1] neg_hi:[0,0,1]
	v_pk_fma_f32 v[122:123], v[164:165], v[148:149], v[112:113] op_sel_hi:[1,0,1]
	v_pk_mul_f32 v[114:115], v[216:217], v[114:115] op_sel_hi:[1,0]
	v_mov_b32_e32 v111, v119
	v_pk_add_f32 v[108:109], v[116:117], v[108:109]
	s_wait_loadcnt 0x2
	v_pk_mul_f32 v[120:121], v[168:169], v[152:153] op_sel:[1,1] op_sel_hi:[0,1]
	v_mov_b32_e32 v116, v155
	v_pk_fma_f32 v[112:113], v[164:165], v[148:149], v[112:113] neg_lo:[0,0,1] neg_hi:[0,0,1]
	v_pk_fma_f32 v[118:119], v[166:167], v[150:151], v[114:115] op_sel_hi:[1,0,1]
	v_mov_b32_e32 v113, v123
	v_pk_add_f32 v[108:109], v[108:109], v[110:111]
	v_pk_fma_f32 v[110:111], v[168:169], v[152:153], v[120:121] op_sel_hi:[1,0,1]
	v_pk_mul_f32 v[116:117], v[218:219], v[116:117] op_sel_hi:[1,0]
	v_pk_fma_f32 v[114:115], v[166:167], v[150:151], v[114:115] neg_lo:[0,0,1] neg_hi:[0,0,1]
	v_mov_b32_e32 v115, v119
	v_pk_add_f32 v[108:109], v[108:109], v[112:113]
	v_pk_fma_f32 v[118:119], v[168:169], v[152:153], v[120:121] neg_lo:[0,0,1] neg_hi:[0,0,1]
	v_mov_b32_e32 v119, v111
	v_pk_fma_f32 v[110:111], v[170:171], v[154:155], v[116:117] op_sel_hi:[1,0,1]
	s_wait_loadcnt 0x1
	v_pk_mul_f32 v[112:113], v[172:173], v[156:157] op_sel:[1,1] op_sel_hi:[0,1]
	v_pk_add_f32 v[108:109], v[108:109], v[114:115]
	v_mov_b32_e32 v110, v159
	v_pk_fma_f32 v[116:117], v[170:171], v[154:155], v[116:117] neg_lo:[0,0,1] neg_hi:[0,0,1]
	s_delay_alu instid0(VALU_DEP_4)
	v_pk_fma_f32 v[114:115], v[172:173], v[156:157], v[112:113] op_sel_hi:[1,0,1]
	v_mov_b32_e32 v117, v111
	v_pk_add_f32 v[108:109], v[108:109], v[118:119]
	v_pk_mul_f32 v[110:111], v[220:221], v[110:111] op_sel_hi:[1,0]
	v_pk_fma_f32 v[112:113], v[172:173], v[156:157], v[112:113] neg_lo:[0,0,1] neg_hi:[0,0,1]
	v_mov_b32_e32 v113, v115
	s_delay_alu instid0(VALU_DEP_4) | instskip(NEXT) | instid1(VALU_DEP_4)
	v_pk_add_f32 v[108:109], v[108:109], v[116:117]
	v_pk_fma_f32 v[114:115], v[174:175], v[158:159], v[110:111] op_sel_hi:[1,0,1]
	v_pk_fma_f32 v[110:111], v[174:175], v[158:159], v[110:111] neg_lo:[0,0,1] neg_hi:[0,0,1]
	s_delay_alu instid0(VALU_DEP_3) | instskip(NEXT) | instid1(VALU_DEP_3)
	v_pk_add_f32 v[108:109], v[108:109], v[112:113]
	v_mov_b32_e32 v111, v115
	s_delay_alu instid0(VALU_DEP_1) | instskip(SKIP_1) | instid1(VALU_DEP_1)
	v_pk_add_f32 v[108:109], v[108:109], v[110:111]
	s_wait_loadcnt 0x0
	v_pk_add_f32 v[108:109], v[212:213], v[108:109] neg_lo:[0,1] neg_hi:[0,1]
	scratch_store_b64 off, v[108:109], off offset:208
	s_wait_xcnt 0x0
	v_cmpx_lt_u32_e32 25, v0
	s_cbranch_execz .LBB116_281
; %bb.280:
	scratch_load_b64 v[108:109], off, off offset:200
	v_mov_b64_e32 v[110:111], 0
	scratch_store_b64 off, v[110:111], off offset:200
	s_wait_loadcnt 0x0
	ds_store_b64 v1, v[108:109]
.LBB116_281:
	s_wait_xcnt 0x0
	s_or_b32 exec_lo, exec_lo, s0
	s_wait_storecnt_dscnt 0x0
	s_barrier_signal -1
	s_barrier_wait -1
	s_clause 0xe
	scratch_load_b128 v[108:111], off, off offset:208
	scratch_load_b128 v[112:115], off, off offset:224
	;; [unrolled: 1-line block ×13, first 2 shown]
	scratch_load_b64 v[212:213], off, off offset:416
	scratch_load_b64 v[214:215], off, off offset:200
	v_mov_b32_e32 v7, 0
	ds_load_b128 v[160:163], v7 offset:784
	ds_load_b128 v[164:167], v7 offset:800
	;; [unrolled: 1-line block ×13, first 2 shown]
	ds_load_b64 v[216:217], v7 offset:848
	s_mov_b32 s0, exec_lo
	s_wait_dscnt 0xd
	v_dual_mov_b32 v218, v163 :: v_dual_mov_b32 v219, v162
	s_wait_dscnt 0xa
	v_dual_mov_b32 v220, v167 :: v_dual_mov_b32 v225, v174
	v_dual_mov_b32 v221, v166 :: v_dual_mov_b32 v222, v171
	;; [unrolled: 1-line block ×3, first 2 shown]
	s_wait_loadcnt_dscnt 0xe09
	v_dual_mul_f32 v9, v176, v109 :: v_dual_mul_f32 v43, v177, v109
	v_dual_mul_f32 v45, v179, v111 :: v_dual_mul_f32 v11, v178, v111
	s_wait_loadcnt_dscnt 0xd08
	v_mul_f32_e32 v13, v180, v113
	s_wait_loadcnt_dscnt 0xb05
	v_dual_mul_f32 v55, v193, v121 :: v_dual_fma_f32 v43, v176, v108, -v43
	v_dual_fmac_f32 v9, v177, v108 :: v_dual_mul_f32 v57, v195, v123
	v_dual_mul_f32 v47, v181, v113 :: v_dual_mul_f32 v49, v183, v115
	v_dual_fmac_f32 v11, v179, v110 :: v_dual_fma_f32 v45, v178, v110, -v45
	s_delay_alu instid0(VALU_DEP_3) | instskip(SKIP_4) | instid1(VALU_DEP_3)
	v_dual_add_f32 v9, 0, v9 :: v_dual_add_f32 v43, 0, v43
	v_dual_mul_f32 v15, v182, v115 :: v_dual_mul_f32 v17, v184, v117
	s_wait_loadcnt_dscnt 0xa04
	v_dual_mul_f32 v59, v197, v125 :: v_dual_fma_f32 v47, v180, v112, -v47
	v_fmac_f32_e32 v13, v181, v112
	v_dual_add_f32 v9, v9, v11 :: v_dual_fmac_f32 v15, v183, v114
	v_add_f32_e32 v11, v43, v45
	v_dual_mul_f32 v51, v185, v117 :: v_dual_mul_f32 v53, v187, v119
	v_dual_mul_f32 v43, v199, v127 :: v_dual_fma_f32 v45, v182, v114, -v49
	s_delay_alu instid0(VALU_DEP_3) | instskip(SKIP_3) | instid1(VALU_DEP_3)
	v_dual_add_f32 v9, v9, v13 :: v_dual_add_f32 v11, v11, v47
	v_dual_mul_f32 v19, v186, v119 :: v_dual_mul_f32 v21, v192, v121
	s_wait_loadcnt_dscnt 0x903
	v_dual_mul_f32 v13, v201, v129 :: v_dual_fma_f32 v47, v184, v116, -v51
	v_dual_fmac_f32 v17, v185, v116 :: v_dual_add_f32 v11, v11, v45
	s_delay_alu instid0(VALU_DEP_3) | instskip(SKIP_1) | instid1(VALU_DEP_2)
	v_dual_add_f32 v9, v9, v15 :: v_dual_fmac_f32 v19, v187, v118
	v_dual_mul_f32 v15, v203, v131 :: v_dual_fma_f32 v45, v186, v118, -v53
	v_dual_add_f32 v11, v11, v47 :: v_dual_add_f32 v9, v9, v17
	v_dual_mul_f32 v23, v194, v123 :: v_dual_mul_f32 v25, v196, v125
	s_wait_loadcnt_dscnt 0x802
	v_dual_mul_f32 v17, v205, v133 :: v_dual_fma_f32 v47, v192, v120, -v55
	s_delay_alu instid0(VALU_DEP_3) | instskip(NEXT) | instid1(VALU_DEP_3)
	v_dual_fmac_f32 v21, v193, v120 :: v_dual_add_f32 v11, v11, v45
	v_dual_add_f32 v9, v9, v19 :: v_dual_fmac_f32 v23, v195, v122
	v_dual_mul_f32 v19, v207, v135 :: v_dual_fma_f32 v45, v194, v122, -v57
	s_delay_alu instid0(VALU_DEP_2) | instskip(SKIP_3) | instid1(VALU_DEP_3)
	v_dual_add_f32 v11, v11, v47 :: v_dual_add_f32 v9, v9, v21
	v_dual_mul_f32 v27, v198, v127 :: v_dual_mul_f32 v29, v200, v129
	s_wait_loadcnt_dscnt 0x701
	v_dual_mul_f32 v21, v209, v137 :: v_dual_fma_f32 v47, v196, v124, -v59
	v_dual_fmac_f32 v25, v197, v124 :: v_dual_add_f32 v11, v11, v45
	s_delay_alu instid0(VALU_DEP_3) | instskip(SKIP_1) | instid1(VALU_DEP_2)
	v_dual_add_f32 v9, v9, v23 :: v_dual_fmac_f32 v27, v199, v126
	v_dual_mul_f32 v23, v211, v139 :: v_dual_fma_f32 v43, v198, v126, -v43
	v_dual_add_f32 v11, v11, v47 :: v_dual_add_f32 v9, v9, v25
	v_dual_mul_f32 v31, v202, v131 :: v_dual_mul_f32 v33, v204, v133
	s_wait_loadcnt 0x6
	v_dual_mul_f32 v25, v189, v141 :: v_dual_fma_f32 v13, v200, v128, -v13
	s_delay_alu instid0(VALU_DEP_3) | instskip(NEXT) | instid1(VALU_DEP_3)
	v_dual_fmac_f32 v29, v201, v128 :: v_dual_add_f32 v11, v11, v43
	v_dual_add_f32 v9, v9, v27 :: v_dual_fmac_f32 v31, v203, v130
	v_dual_mul_f32 v27, v191, v143 :: v_dual_fma_f32 v15, v202, v130, -v15
	s_delay_alu instid0(VALU_DEP_3) | instskip(NEXT) | instid1(VALU_DEP_3)
	v_dual_add_f32 v11, v11, v13 :: v_dual_fmac_f32 v33, v205, v132
	v_dual_add_f32 v9, v9, v29 :: v_dual_fma_f32 v17, v204, v132, -v17
	v_dual_mul_f32 v35, v206, v135 :: v_dual_mul_f32 v37, v208, v137
	s_wait_loadcnt 0x5
	s_delay_alu instid0(VALU_DEP_3) | instskip(NEXT) | instid1(VALU_DEP_3)
	v_dual_mul_f32 v13, v161, v145 :: v_dual_add_f32 v11, v11, v15
	v_dual_add_f32 v9, v9, v31 :: v_dual_mov_b32 v108, v147
	s_delay_alu instid0(VALU_DEP_3) | instskip(NEXT) | instid1(VALU_DEP_3)
	v_fmac_f32_e32 v35, v207, v134
	v_dual_fma_f32 v15, v206, v134, -v19 :: v_dual_add_f32 v11, v11, v17
	s_delay_alu instid0(VALU_DEP_3) | instskip(SKIP_1) | instid1(VALU_DEP_3)
	v_dual_add_f32 v9, v9, v33 :: v_dual_mul_f32 v39, v210, v139
	v_dual_mul_f32 v41, v188, v141 :: v_dual_fmac_f32 v37, v209, v136
	v_dual_add_f32 v11, v11, v15 :: v_dual_fma_f32 v17, v208, v136, -v21
	s_wait_loadcnt 0x4
	s_delay_alu instid0(VALU_DEP_3) | instskip(SKIP_3) | instid1(VALU_DEP_4)
	v_dual_add_f32 v9, v9, v35 :: v_dual_mov_b32 v112, v151
	v_fma_f32 v15, v210, v138, -v23
	v_fmac_f32_e32 v39, v211, v138
	v_dual_add_f32 v11, v11, v17 :: v_dual_fmac_f32 v41, v189, v140
	v_dual_add_f32 v9, v9, v37 :: v_dual_mul_f32 v227, v190, v143
	v_mul_f32_e32 v229, v160, v145
	s_delay_alu instid0(VALU_DEP_3) | instskip(NEXT) | instid1(VALU_DEP_3)
	v_dual_fma_f32 v17, v188, v140, -v25 :: v_dual_add_f32 v11, v11, v15
	v_dual_fma_f32 v226, v190, v142, -v27 :: v_dual_add_f32 v9, v9, v39
	s_delay_alu instid0(VALU_DEP_4) | instskip(SKIP_1) | instid1(VALU_DEP_4)
	v_fmac_f32_e32 v227, v191, v142
	v_pk_mul_f32 v[108:109], v[218:219], v[108:109] op_sel_hi:[1,0]
	v_dual_add_f32 v116, v11, v17 :: v_dual_fmac_f32 v229, v161, v144
	s_delay_alu instid0(VALU_DEP_4)
	v_add_f32_e32 v117, v9, v41
	v_pk_mul_f32 v[110:111], v[164:165], v[148:149] op_sel:[1,1] op_sel_hi:[0,1]
	s_wait_loadcnt 0x3
	v_dual_mov_b32 v118, v155 :: v_dual_fma_f32 v228, v160, v144, -v13
	v_pk_fma_f32 v[120:121], v[162:163], v[146:147], v[108:109] op_sel_hi:[1,0,1]
	v_pk_add_f32 v[116:117], v[116:117], v[226:227]
	v_pk_fma_f32 v[108:109], v[162:163], v[146:147], v[108:109] neg_lo:[0,0,1] neg_hi:[0,0,1]
	v_pk_fma_f32 v[122:123], v[164:165], v[148:149], v[110:111] op_sel_hi:[1,0,1]
	v_pk_mul_f32 v[112:113], v[220:221], v[112:113] op_sel_hi:[1,0]
	v_mov_b32_e32 v109, v121
	v_pk_add_f32 v[116:117], v[116:117], v[228:229]
	v_pk_fma_f32 v[110:111], v[164:165], v[148:149], v[110:111] neg_lo:[0,0,1] neg_hi:[0,0,1]
	v_pk_mul_f32 v[114:115], v[168:169], v[152:153] op_sel:[1,1] op_sel_hi:[0,1]
	v_mov_b32_e32 v111, v123
	v_pk_fma_f32 v[122:123], v[166:167], v[150:151], v[112:113] op_sel_hi:[1,0,1]
	v_pk_add_f32 v[108:109], v[116:117], v[108:109]
	v_pk_fma_f32 v[112:113], v[166:167], v[150:151], v[112:113] neg_lo:[0,0,1] neg_hi:[0,0,1]
	v_pk_fma_f32 v[116:117], v[168:169], v[152:153], v[114:115] op_sel_hi:[1,0,1]
	v_pk_mul_f32 v[118:119], v[222:223], v[118:119] op_sel_hi:[1,0]
	v_mov_b32_e32 v113, v123
	v_pk_add_f32 v[108:109], v[108:109], v[110:111]
	v_pk_fma_f32 v[114:115], v[168:169], v[152:153], v[114:115] neg_lo:[0,0,1] neg_hi:[0,0,1]
	s_wait_loadcnt 0x2
	v_pk_mul_f32 v[120:121], v[172:173], v[156:157] op_sel:[1,1] op_sel_hi:[0,1]
	v_dual_mov_b32 v110, v159 :: v_dual_mov_b32 v115, v117
	v_pk_fma_f32 v[116:117], v[170:171], v[154:155], v[118:119] op_sel_hi:[1,0,1]
	v_pk_add_f32 v[108:109], v[108:109], v[112:113]
	v_pk_fma_f32 v[118:119], v[170:171], v[154:155], v[118:119] neg_lo:[0,0,1] neg_hi:[0,0,1]
	v_pk_fma_f32 v[112:113], v[172:173], v[156:157], v[120:121] op_sel_hi:[1,0,1]
	v_pk_mul_f32 v[110:111], v[224:225], v[110:111] op_sel_hi:[1,0]
	v_mov_b32_e32 v119, v117
	v_pk_add_f32 v[108:109], v[108:109], v[114:115]
	v_pk_fma_f32 v[114:115], v[172:173], v[156:157], v[120:121] neg_lo:[0,0,1] neg_hi:[0,0,1]
	v_mov_b32_e32 v115, v113
	v_pk_fma_f32 v[112:113], v[174:175], v[158:159], v[110:111] op_sel_hi:[1,0,1]
	s_wait_loadcnt_dscnt 0x100
	v_pk_mul_f32 v[116:117], v[216:217], v[212:213] op_sel:[1,1] op_sel_hi:[0,1]
	v_pk_add_f32 v[108:109], v[108:109], v[118:119]
	v_pk_fma_f32 v[110:111], v[174:175], v[158:159], v[110:111] neg_lo:[0,0,1] neg_hi:[0,0,1]
	v_mov_b32_e32 v111, v113
	s_delay_alu instid0(VALU_DEP_4) | instskip(NEXT) | instid1(VALU_DEP_4)
	v_pk_fma_f32 v[112:113], v[216:217], v[212:213], v[116:117] op_sel_hi:[1,0,1]
	v_pk_add_f32 v[108:109], v[108:109], v[114:115]
	v_pk_fma_f32 v[114:115], v[216:217], v[212:213], v[116:117] neg_lo:[0,0,1] neg_hi:[0,0,1]
	s_delay_alu instid0(VALU_DEP_3) | instskip(NEXT) | instid1(VALU_DEP_3)
	v_mov_b32_e32 v115, v113
	v_pk_add_f32 v[108:109], v[108:109], v[110:111]
	s_delay_alu instid0(VALU_DEP_1) | instskip(SKIP_1) | instid1(VALU_DEP_1)
	v_pk_add_f32 v[108:109], v[108:109], v[114:115]
	s_wait_loadcnt 0x0
	v_pk_add_f32 v[108:109], v[214:215], v[108:109] neg_lo:[0,1] neg_hi:[0,1]
	scratch_store_b64 off, v[108:109], off offset:200
	s_wait_xcnt 0x0
	v_cmpx_lt_u32_e32 24, v0
	s_cbranch_execz .LBB116_283
; %bb.282:
	scratch_load_b64 v[108:109], off, off offset:192
	v_mov_b64_e32 v[110:111], 0
	scratch_store_b64 off, v[110:111], off offset:192
	s_wait_loadcnt 0x0
	ds_store_b64 v1, v[108:109]
.LBB116_283:
	s_wait_xcnt 0x0
	s_or_b32 exec_lo, exec_lo, s0
	s_wait_storecnt_dscnt 0x0
	s_barrier_signal -1
	s_barrier_wait -1
	s_clause 0xe
	scratch_load_b128 v[108:111], off, off offset:200
	scratch_load_b128 v[112:115], off, off offset:216
	;; [unrolled: 1-line block ×14, first 2 shown]
	scratch_load_b64 v[220:221], off, off offset:192
	ds_load_2addr_b64 v[164:167], v7 offset0:99 offset1:100
	ds_load_2addr_b64 v[168:171], v7 offset0:101 offset1:102
	;; [unrolled: 1-line block ×14, first 2 shown]
	s_mov_b32 s0, exec_lo
	s_wait_dscnt 0xd
	v_dual_mov_b32 v222, v167 :: v_dual_mov_b32 v223, v166
	s_wait_dscnt 0xc
	v_dual_mov_b32 v224, v171 :: v_dual_mov_b32 v225, v170
	;; [unrolled: 2-line block ×4, first 2 shown]
	s_wait_loadcnt_dscnt 0xe09
	v_dual_mul_f32 v7, v180, v109 :: v_dual_mul_f32 v9, v182, v111
	v_dual_mul_f32 v43, v181, v109 :: v_dual_mul_f32 v45, v183, v111
	s_wait_loadcnt_dscnt 0xd08
	v_dual_mul_f32 v11, v184, v113 :: v_dual_mul_f32 v13, v186, v115
	s_delay_alu instid0(VALU_DEP_3) | instskip(SKIP_3) | instid1(VALU_DEP_3)
	v_dual_fmac_f32 v7, v181, v108 :: v_dual_fmac_f32 v9, v183, v110
	s_wait_loadcnt_dscnt 0xb06
	v_dual_fma_f32 v43, v180, v108, -v43 :: v_dual_mul_f32 v55, v193, v121
	v_dual_mul_f32 v47, v185, v113 :: v_dual_mul_f32 v49, v187, v115
	v_dual_fma_f32 v45, v182, v110, -v45 :: v_dual_add_f32 v7, 0, v7
	s_delay_alu instid0(VALU_DEP_3) | instskip(SKIP_1) | instid1(VALU_DEP_4)
	v_dual_add_f32 v43, 0, v43 :: v_dual_fmac_f32 v11, v185, v112
	v_dual_mul_f32 v15, v188, v117 :: v_dual_mul_f32 v17, v190, v119
	v_dual_mul_f32 v57, v195, v123 :: v_dual_fma_f32 v47, v184, v112, -v47
	s_delay_alu instid0(VALU_DEP_4) | instskip(NEXT) | instid1(VALU_DEP_3)
	v_add_f32_e32 v7, v7, v9
	v_dual_add_f32 v9, v43, v45 :: v_dual_fmac_f32 v15, v189, v116
	v_dual_mul_f32 v51, v189, v117 :: v_dual_mul_f32 v53, v191, v119
	s_wait_loadcnt_dscnt 0xa05
	v_dual_mul_f32 v43, v197, v125 :: v_dual_fmac_f32 v13, v187, v114
	v_dual_fma_f32 v45, v186, v114, -v49 :: v_dual_add_f32 v7, v7, v11
	s_delay_alu instid0(VALU_DEP_3) | instskip(SKIP_1) | instid1(VALU_DEP_3)
	v_dual_add_f32 v9, v9, v47 :: v_dual_fma_f32 v47, v188, v116, -v51
	v_dual_mul_f32 v19, v192, v121 :: v_dual_mul_f32 v21, v194, v123
	v_add_f32_e32 v7, v7, v13
	s_delay_alu instid0(VALU_DEP_3) | instskip(SKIP_2) | instid1(VALU_DEP_3)
	v_dual_mul_f32 v11, v199, v127 :: v_dual_add_f32 v9, v9, v45
	s_wait_loadcnt_dscnt 0x904
	v_dual_mul_f32 v13, v201, v129 :: v_dual_fmac_f32 v17, v191, v118
	v_dual_fma_f32 v45, v190, v118, -v53 :: v_dual_add_f32 v7, v7, v15
	s_delay_alu instid0(VALU_DEP_3) | instskip(SKIP_1) | instid1(VALU_DEP_3)
	v_dual_add_f32 v9, v9, v47 :: v_dual_fma_f32 v47, v192, v120, -v55
	v_dual_mul_f32 v15, v203, v131 :: v_dual_fmac_f32 v19, v193, v120
	v_add_f32_e32 v7, v7, v17
	s_delay_alu instid0(VALU_DEP_3)
	v_dual_add_f32 v9, v9, v45 :: v_dual_fmac_f32 v21, v195, v122
	v_dual_mul_f32 v23, v196, v125 :: v_dual_mul_f32 v25, v198, v127
	s_wait_loadcnt_dscnt 0x803
	v_dual_fma_f32 v45, v194, v122, -v57 :: v_dual_mul_f32 v17, v205, v133
	v_add_f32_e32 v7, v7, v19
	v_dual_add_f32 v9, v9, v47 :: v_dual_fma_f32 v43, v196, v124, -v43
	v_dual_mul_f32 v19, v207, v135 :: v_dual_fmac_f32 v23, v197, v124
	s_delay_alu instid0(VALU_DEP_3) | instskip(NEXT) | instid1(VALU_DEP_3)
	v_dual_add_f32 v7, v7, v21 :: v_dual_fma_f32 v11, v198, v126, -v11
	v_dual_add_f32 v9, v9, v45 :: v_dual_fmac_f32 v25, v199, v126
	v_dual_mul_f32 v27, v200, v129 :: v_dual_mul_f32 v29, v202, v131
	s_wait_loadcnt_dscnt 0x702
	s_delay_alu instid0(VALU_DEP_3) | instskip(NEXT) | instid1(VALU_DEP_3)
	v_dual_mul_f32 v21, v209, v137 :: v_dual_add_f32 v7, v7, v23
	v_dual_add_f32 v9, v9, v43 :: v_dual_fma_f32 v13, v200, v128, -v13
	s_delay_alu instid0(VALU_DEP_3) | instskip(NEXT) | instid1(VALU_DEP_2)
	v_dual_mul_f32 v23, v211, v139 :: v_dual_fmac_f32 v27, v201, v128
	v_dual_add_f32 v7, v7, v25 :: v_dual_add_f32 v9, v9, v11
	v_dual_mul_f32 v31, v204, v133 :: v_dual_mul_f32 v33, v206, v135
	s_wait_loadcnt_dscnt 0x601
	v_dual_mul_f32 v11, v213, v141 :: v_dual_fmac_f32 v29, v203, v130
	s_delay_alu instid0(VALU_DEP_3) | instskip(SKIP_2) | instid1(VALU_DEP_2)
	v_dual_fma_f32 v15, v202, v130, -v15 :: v_dual_add_f32 v7, v7, v27
	v_dual_add_f32 v9, v9, v13 :: v_dual_mul_f32 v13, v215, v143
	v_dual_fmac_f32 v31, v205, v132 :: v_dual_fma_f32 v17, v204, v132, -v17
	v_dual_add_f32 v7, v7, v29 :: v_dual_add_f32 v9, v9, v15
	v_dual_mul_f32 v35, v208, v137 :: v_dual_mul_f32 v37, v210, v139
	s_wait_loadcnt_dscnt 0x500
	v_dual_mul_f32 v15, v217, v145 :: v_dual_fmac_f32 v33, v207, v134
	s_delay_alu instid0(VALU_DEP_3) | instskip(SKIP_2) | instid1(VALU_DEP_2)
	v_dual_fma_f32 v19, v206, v134, -v19 :: v_dual_add_f32 v7, v7, v31
	v_dual_add_f32 v9, v9, v17 :: v_dual_mul_f32 v17, v219, v147
	v_dual_fmac_f32 v35, v209, v136 :: v_dual_fma_f32 v21, v208, v136, -v21
	v_dual_add_f32 v7, v7, v33 :: v_dual_add_f32 v9, v9, v19
	v_dual_mul_f32 v39, v212, v141 :: v_dual_mul_f32 v41, v214, v143
	v_dual_fmac_f32 v37, v211, v138 :: v_dual_fma_f32 v19, v210, v138, -v23
	s_delay_alu instid0(VALU_DEP_3) | instskip(SKIP_1) | instid1(VALU_DEP_3)
	v_dual_add_f32 v7, v7, v35 :: v_dual_add_f32 v9, v9, v21
	s_wait_loadcnt 0x4
	v_dual_mov_b32 v110, v151 :: v_dual_fmac_f32 v39, v213, v140
	s_delay_alu instid0(VALU_DEP_2) | instskip(NEXT) | instid1(VALU_DEP_3)
	v_dual_fma_f32 v11, v212, v140, -v11 :: v_dual_add_f32 v7, v7, v37
	v_dual_add_f32 v9, v9, v19 :: v_dual_fmac_f32 v41, v215, v142
	v_dual_mul_f32 v231, v216, v145 :: v_dual_mul_f32 v233, v218, v147
	s_delay_alu instid0(VALU_DEP_3) | instskip(SKIP_1) | instid1(VALU_DEP_3)
	v_dual_fma_f32 v13, v214, v142, -v13 :: v_dual_add_f32 v7, v7, v39
	s_wait_loadcnt 0x3
	v_dual_add_f32 v9, v9, v11 :: v_dual_mov_b32 v114, v155
	v_pk_mul_f32 v[108:109], v[164:165], v[148:149] op_sel:[1,1] op_sel_hi:[0,1]
	s_delay_alu instid0(VALU_DEP_3) | instskip(NEXT) | instid1(VALU_DEP_3)
	v_dual_fmac_f32 v231, v217, v144 :: v_dual_add_f32 v117, v7, v41
	v_dual_fma_f32 v230, v216, v144, -v15 :: v_dual_add_f32 v116, v9, v13
	v_fmac_f32_e32 v233, v219, v146
	s_delay_alu instid0(VALU_DEP_4)
	v_pk_fma_f32 v[118:119], v[164:165], v[148:149], v[108:109] op_sel_hi:[1,0,1]
	v_fma_f32 v232, v218, v146, -v17
	v_pk_mul_f32 v[110:111], v[222:223], v[110:111] op_sel_hi:[1,0]
	v_pk_add_f32 v[116:117], v[116:117], v[230:231]
	v_pk_fma_f32 v[108:109], v[164:165], v[148:149], v[108:109] neg_lo:[0,0,1] neg_hi:[0,0,1]
	v_pk_mul_f32 v[112:113], v[168:169], v[152:153] op_sel:[1,1] op_sel_hi:[0,1]
	v_mov_b32_e32 v109, v119
	v_pk_fma_f32 v[118:119], v[166:167], v[150:151], v[110:111] op_sel_hi:[1,0,1]
	v_pk_add_f32 v[116:117], v[116:117], v[232:233]
	v_pk_fma_f32 v[110:111], v[166:167], v[150:151], v[110:111] neg_lo:[0,0,1] neg_hi:[0,0,1]
	v_pk_fma_f32 v[122:123], v[168:169], v[152:153], v[112:113] op_sel_hi:[1,0,1]
	v_pk_mul_f32 v[114:115], v[224:225], v[114:115] op_sel_hi:[1,0]
	v_mov_b32_e32 v111, v119
	v_pk_add_f32 v[108:109], v[116:117], v[108:109]
	s_wait_loadcnt 0x2
	v_pk_mul_f32 v[120:121], v[172:173], v[156:157] op_sel:[1,1] op_sel_hi:[0,1]
	v_mov_b32_e32 v116, v159
	v_pk_fma_f32 v[112:113], v[168:169], v[152:153], v[112:113] neg_lo:[0,0,1] neg_hi:[0,0,1]
	v_pk_fma_f32 v[118:119], v[170:171], v[154:155], v[114:115] op_sel_hi:[1,0,1]
	v_mov_b32_e32 v113, v123
	v_pk_add_f32 v[108:109], v[108:109], v[110:111]
	v_pk_fma_f32 v[110:111], v[172:173], v[156:157], v[120:121] op_sel_hi:[1,0,1]
	v_pk_mul_f32 v[116:117], v[226:227], v[116:117] op_sel_hi:[1,0]
	v_pk_fma_f32 v[114:115], v[170:171], v[154:155], v[114:115] neg_lo:[0,0,1] neg_hi:[0,0,1]
	v_mov_b32_e32 v115, v119
	v_pk_add_f32 v[108:109], v[108:109], v[112:113]
	v_pk_fma_f32 v[118:119], v[172:173], v[156:157], v[120:121] neg_lo:[0,0,1] neg_hi:[0,0,1]
	v_mov_b32_e32 v119, v111
	v_pk_fma_f32 v[110:111], v[174:175], v[158:159], v[116:117] op_sel_hi:[1,0,1]
	s_wait_loadcnt 0x1
	v_pk_mul_f32 v[112:113], v[176:177], v[160:161] op_sel:[1,1] op_sel_hi:[0,1]
	v_pk_add_f32 v[108:109], v[108:109], v[114:115]
	v_mov_b32_e32 v110, v163
	v_pk_fma_f32 v[116:117], v[174:175], v[158:159], v[116:117] neg_lo:[0,0,1] neg_hi:[0,0,1]
	s_delay_alu instid0(VALU_DEP_4)
	v_pk_fma_f32 v[114:115], v[176:177], v[160:161], v[112:113] op_sel_hi:[1,0,1]
	v_mov_b32_e32 v117, v111
	v_pk_add_f32 v[108:109], v[108:109], v[118:119]
	v_pk_mul_f32 v[110:111], v[228:229], v[110:111] op_sel_hi:[1,0]
	v_pk_fma_f32 v[112:113], v[176:177], v[160:161], v[112:113] neg_lo:[0,0,1] neg_hi:[0,0,1]
	v_mov_b32_e32 v113, v115
	s_delay_alu instid0(VALU_DEP_4) | instskip(NEXT) | instid1(VALU_DEP_4)
	v_pk_add_f32 v[108:109], v[108:109], v[116:117]
	v_pk_fma_f32 v[114:115], v[178:179], v[162:163], v[110:111] op_sel_hi:[1,0,1]
	v_pk_fma_f32 v[110:111], v[178:179], v[162:163], v[110:111] neg_lo:[0,0,1] neg_hi:[0,0,1]
	s_delay_alu instid0(VALU_DEP_3) | instskip(NEXT) | instid1(VALU_DEP_3)
	v_pk_add_f32 v[108:109], v[108:109], v[112:113]
	v_mov_b32_e32 v111, v115
	s_delay_alu instid0(VALU_DEP_1) | instskip(SKIP_1) | instid1(VALU_DEP_1)
	v_pk_add_f32 v[108:109], v[108:109], v[110:111]
	s_wait_loadcnt 0x0
	v_pk_add_f32 v[108:109], v[220:221], v[108:109] neg_lo:[0,1] neg_hi:[0,1]
	scratch_store_b64 off, v[108:109], off offset:192
	s_wait_xcnt 0x0
	v_cmpx_lt_u32_e32 23, v0
	s_cbranch_execz .LBB116_285
; %bb.284:
	scratch_load_b64 v[108:109], off, off offset:184
	v_mov_b64_e32 v[110:111], 0
	scratch_store_b64 off, v[110:111], off offset:184
	s_wait_loadcnt 0x0
	ds_store_b64 v1, v[108:109]
.LBB116_285:
	s_wait_xcnt 0x0
	s_or_b32 exec_lo, exec_lo, s0
	s_wait_storecnt_dscnt 0x0
	s_barrier_signal -1
	s_barrier_wait -1
	s_clause 0xf
	scratch_load_b128 v[108:111], off, off offset:192
	scratch_load_b128 v[112:115], off, off offset:208
	;; [unrolled: 1-line block ×14, first 2 shown]
	scratch_load_b64 v[220:221], off, off offset:416
	scratch_load_b64 v[222:223], off, off offset:184
	v_mov_b32_e32 v7, 0
	ds_load_b128 v[164:167], v7 offset:784
	ds_load_b128 v[168:171], v7 offset:800
	;; [unrolled: 1-line block ×14, first 2 shown]
	ds_load_b64 v[224:225], v7 offset:848
	s_mov_b32 s0, exec_lo
	s_wait_dscnt 0xe
	v_dual_mov_b32 v226, v167 :: v_dual_mov_b32 v227, v166
	s_wait_dscnt 0xb
	v_dual_mov_b32 v228, v171 :: v_dual_mov_b32 v233, v178
	v_dual_mov_b32 v229, v170 :: v_dual_mov_b32 v230, v175
	;; [unrolled: 1-line block ×3, first 2 shown]
	s_wait_loadcnt_dscnt 0xf0a
	v_dual_mul_f32 v9, v180, v109 :: v_dual_mul_f32 v47, v181, v109
	v_dual_mul_f32 v49, v183, v111 :: v_dual_mul_f32 v11, v182, v111
	s_wait_loadcnt_dscnt 0xe09
	v_mul_f32_e32 v13, v184, v113
	s_wait_loadcnt_dscnt 0xc07
	v_dual_mul_f32 v59, v193, v121 :: v_dual_fma_f32 v47, v180, v108, -v47
	v_dual_fmac_f32 v9, v181, v108 :: v_dual_mul_f32 v61, v195, v123
	v_dual_mul_f32 v51, v185, v113 :: v_dual_mul_f32 v53, v187, v115
	v_dual_fmac_f32 v11, v183, v110 :: v_dual_fma_f32 v49, v182, v110, -v49
	s_delay_alu instid0(VALU_DEP_3) | instskip(SKIP_4) | instid1(VALU_DEP_3)
	v_dual_add_f32 v9, 0, v9 :: v_dual_add_f32 v47, 0, v47
	v_dual_mul_f32 v15, v186, v115 :: v_dual_mul_f32 v17, v188, v117
	s_wait_loadcnt_dscnt 0xb06
	v_dual_mul_f32 v63, v197, v125 :: v_dual_fma_f32 v51, v184, v112, -v51
	v_fmac_f32_e32 v13, v185, v112
	v_dual_add_f32 v9, v9, v11 :: v_dual_fmac_f32 v15, v187, v114
	v_add_f32_e32 v11, v47, v49
	v_dual_mul_f32 v55, v189, v117 :: v_dual_mul_f32 v57, v191, v119
	v_dual_mul_f32 v47, v199, v127 :: v_dual_fma_f32 v49, v186, v114, -v53
	s_delay_alu instid0(VALU_DEP_3) | instskip(SKIP_3) | instid1(VALU_DEP_3)
	v_dual_add_f32 v9, v9, v13 :: v_dual_add_f32 v11, v11, v51
	v_dual_mul_f32 v19, v190, v119 :: v_dual_mul_f32 v21, v192, v121
	s_wait_loadcnt_dscnt 0xa05
	v_dual_mul_f32 v13, v201, v129 :: v_dual_fma_f32 v51, v188, v116, -v55
	v_dual_fmac_f32 v17, v189, v116 :: v_dual_add_f32 v11, v11, v49
	s_delay_alu instid0(VALU_DEP_3) | instskip(SKIP_1) | instid1(VALU_DEP_2)
	v_dual_add_f32 v9, v9, v15 :: v_dual_fmac_f32 v19, v191, v118
	v_dual_mul_f32 v15, v203, v131 :: v_dual_fma_f32 v49, v190, v118, -v57
	v_dual_add_f32 v11, v11, v51 :: v_dual_add_f32 v9, v9, v17
	v_dual_mul_f32 v23, v194, v123 :: v_dual_mul_f32 v25, v196, v125
	s_wait_loadcnt_dscnt 0x904
	v_dual_mul_f32 v17, v205, v133 :: v_dual_fma_f32 v51, v192, v120, -v59
	s_delay_alu instid0(VALU_DEP_3) | instskip(NEXT) | instid1(VALU_DEP_3)
	v_dual_fmac_f32 v21, v193, v120 :: v_dual_add_f32 v11, v11, v49
	v_dual_add_f32 v9, v9, v19 :: v_dual_fmac_f32 v23, v195, v122
	v_dual_mul_f32 v19, v207, v135 :: v_dual_fma_f32 v49, v194, v122, -v61
	s_delay_alu instid0(VALU_DEP_2) | instskip(SKIP_3) | instid1(VALU_DEP_3)
	v_dual_add_f32 v11, v11, v51 :: v_dual_add_f32 v9, v9, v21
	v_dual_mul_f32 v27, v198, v127 :: v_dual_mul_f32 v29, v200, v129
	s_wait_loadcnt_dscnt 0x803
	v_dual_mul_f32 v21, v209, v137 :: v_dual_fma_f32 v51, v196, v124, -v63
	v_dual_fmac_f32 v25, v197, v124 :: v_dual_add_f32 v11, v11, v49
	s_delay_alu instid0(VALU_DEP_3) | instskip(SKIP_1) | instid1(VALU_DEP_2)
	v_dual_add_f32 v9, v9, v23 :: v_dual_fmac_f32 v27, v199, v126
	v_dual_mul_f32 v23, v211, v139 :: v_dual_fma_f32 v47, v198, v126, -v47
	v_dual_add_f32 v11, v11, v51 :: v_dual_add_f32 v9, v9, v25
	v_dual_mul_f32 v31, v202, v131 :: v_dual_mul_f32 v33, v204, v133
	s_wait_loadcnt_dscnt 0x702
	v_dual_mul_f32 v25, v213, v141 :: v_dual_fma_f32 v13, v200, v128, -v13
	s_delay_alu instid0(VALU_DEP_3) | instskip(NEXT) | instid1(VALU_DEP_3)
	v_dual_fmac_f32 v29, v201, v128 :: v_dual_add_f32 v11, v11, v47
	v_dual_add_f32 v9, v9, v27 :: v_dual_fmac_f32 v31, v203, v130
	v_dual_mul_f32 v27, v215, v143 :: v_dual_fma_f32 v15, v202, v130, -v15
	s_delay_alu instid0(VALU_DEP_3) | instskip(NEXT) | instid1(VALU_DEP_3)
	v_dual_add_f32 v11, v11, v13 :: v_dual_fmac_f32 v33, v205, v132
	v_dual_add_f32 v9, v9, v29 :: v_dual_fma_f32 v17, v204, v132, -v17
	v_dual_mul_f32 v35, v206, v135 :: v_dual_mul_f32 v37, v208, v137
	s_wait_loadcnt_dscnt 0x601
	s_delay_alu instid0(VALU_DEP_3) | instskip(NEXT) | instid1(VALU_DEP_2)
	v_dual_mul_f32 v13, v217, v145 :: v_dual_add_f32 v11, v11, v15
	v_dual_add_f32 v9, v9, v31 :: v_dual_fmac_f32 v35, v207, v134
	v_dual_mul_f32 v15, v219, v147 :: v_dual_fma_f32 v19, v206, v134, -v19
	s_delay_alu instid0(VALU_DEP_3) | instskip(NEXT) | instid1(VALU_DEP_3)
	v_dual_add_f32 v11, v11, v17 :: v_dual_fmac_f32 v37, v209, v136
	v_dual_add_f32 v9, v9, v33 :: v_dual_fma_f32 v21, v208, v136, -v21
	v_dual_mul_f32 v39, v210, v139 :: v_dual_mul_f32 v41, v212, v141
	s_wait_loadcnt 0x5
	s_delay_alu instid0(VALU_DEP_3) | instskip(NEXT) | instid1(VALU_DEP_3)
	v_dual_mul_f32 v17, v165, v149 :: v_dual_add_f32 v11, v11, v19
	v_dual_add_f32 v9, v9, v35 :: v_dual_mov_b32 v108, v151
	s_delay_alu instid0(VALU_DEP_3) | instskip(NEXT) | instid1(VALU_DEP_3)
	v_fmac_f32_e32 v39, v211, v138
	v_dual_fma_f32 v19, v210, v138, -v23 :: v_dual_add_f32 v11, v11, v21
	s_delay_alu instid0(VALU_DEP_3) | instskip(SKIP_1) | instid1(VALU_DEP_3)
	v_dual_add_f32 v9, v9, v37 :: v_dual_mul_f32 v43, v214, v143
	v_dual_mul_f32 v45, v216, v145 :: v_dual_fmac_f32 v41, v213, v140
	v_dual_add_f32 v11, v11, v19 :: v_dual_fma_f32 v21, v212, v140, -v25
	s_wait_loadcnt 0x4
	s_delay_alu instid0(VALU_DEP_3) | instskip(SKIP_3) | instid1(VALU_DEP_4)
	v_dual_add_f32 v9, v9, v39 :: v_dual_mov_b32 v112, v155
	v_fma_f32 v19, v214, v142, -v27
	v_fmac_f32_e32 v43, v215, v142
	v_dual_add_f32 v11, v11, v21 :: v_dual_fmac_f32 v45, v217, v144
	v_dual_add_f32 v9, v9, v41 :: v_dual_mul_f32 v235, v218, v147
	v_mul_f32_e32 v237, v164, v149
	s_delay_alu instid0(VALU_DEP_3) | instskip(NEXT) | instid1(VALU_DEP_3)
	v_dual_fma_f32 v13, v216, v144, -v13 :: v_dual_add_f32 v11, v11, v19
	v_dual_fma_f32 v234, v218, v146, -v15 :: v_dual_add_f32 v9, v9, v43
	s_delay_alu instid0(VALU_DEP_4) | instskip(SKIP_1) | instid1(VALU_DEP_4)
	v_fmac_f32_e32 v235, v219, v146
	v_pk_mul_f32 v[108:109], v[226:227], v[108:109] op_sel_hi:[1,0]
	v_dual_add_f32 v116, v11, v13 :: v_dual_fmac_f32 v237, v165, v148
	s_delay_alu instid0(VALU_DEP_4)
	v_add_f32_e32 v117, v9, v45
	v_pk_mul_f32 v[110:111], v[168:169], v[152:153] op_sel:[1,1] op_sel_hi:[0,1]
	s_wait_loadcnt 0x3
	v_dual_mov_b32 v118, v159 :: v_dual_fma_f32 v236, v164, v148, -v17
	v_pk_fma_f32 v[120:121], v[166:167], v[150:151], v[108:109] op_sel_hi:[1,0,1]
	v_pk_add_f32 v[116:117], v[116:117], v[234:235]
	v_pk_fma_f32 v[108:109], v[166:167], v[150:151], v[108:109] neg_lo:[0,0,1] neg_hi:[0,0,1]
	v_pk_fma_f32 v[122:123], v[168:169], v[152:153], v[110:111] op_sel_hi:[1,0,1]
	v_pk_mul_f32 v[112:113], v[228:229], v[112:113] op_sel_hi:[1,0]
	v_mov_b32_e32 v109, v121
	v_pk_add_f32 v[116:117], v[116:117], v[236:237]
	v_pk_fma_f32 v[110:111], v[168:169], v[152:153], v[110:111] neg_lo:[0,0,1] neg_hi:[0,0,1]
	v_pk_mul_f32 v[114:115], v[172:173], v[156:157] op_sel:[1,1] op_sel_hi:[0,1]
	v_mov_b32_e32 v111, v123
	v_pk_fma_f32 v[122:123], v[170:171], v[154:155], v[112:113] op_sel_hi:[1,0,1]
	v_pk_add_f32 v[108:109], v[116:117], v[108:109]
	v_pk_fma_f32 v[112:113], v[170:171], v[154:155], v[112:113] neg_lo:[0,0,1] neg_hi:[0,0,1]
	v_pk_fma_f32 v[116:117], v[172:173], v[156:157], v[114:115] op_sel_hi:[1,0,1]
	v_pk_mul_f32 v[118:119], v[230:231], v[118:119] op_sel_hi:[1,0]
	v_mov_b32_e32 v113, v123
	v_pk_add_f32 v[108:109], v[108:109], v[110:111]
	v_pk_fma_f32 v[114:115], v[172:173], v[156:157], v[114:115] neg_lo:[0,0,1] neg_hi:[0,0,1]
	s_wait_loadcnt 0x2
	v_pk_mul_f32 v[120:121], v[176:177], v[160:161] op_sel:[1,1] op_sel_hi:[0,1]
	v_dual_mov_b32 v110, v163 :: v_dual_mov_b32 v115, v117
	v_pk_fma_f32 v[116:117], v[174:175], v[158:159], v[118:119] op_sel_hi:[1,0,1]
	v_pk_add_f32 v[108:109], v[108:109], v[112:113]
	v_pk_fma_f32 v[118:119], v[174:175], v[158:159], v[118:119] neg_lo:[0,0,1] neg_hi:[0,0,1]
	v_pk_fma_f32 v[112:113], v[176:177], v[160:161], v[120:121] op_sel_hi:[1,0,1]
	v_pk_mul_f32 v[110:111], v[232:233], v[110:111] op_sel_hi:[1,0]
	v_mov_b32_e32 v119, v117
	v_pk_add_f32 v[108:109], v[108:109], v[114:115]
	v_pk_fma_f32 v[114:115], v[176:177], v[160:161], v[120:121] neg_lo:[0,0,1] neg_hi:[0,0,1]
	v_mov_b32_e32 v115, v113
	v_pk_fma_f32 v[112:113], v[178:179], v[162:163], v[110:111] op_sel_hi:[1,0,1]
	s_wait_loadcnt_dscnt 0x100
	v_pk_mul_f32 v[116:117], v[224:225], v[220:221] op_sel:[1,1] op_sel_hi:[0,1]
	v_pk_add_f32 v[108:109], v[108:109], v[118:119]
	v_pk_fma_f32 v[110:111], v[178:179], v[162:163], v[110:111] neg_lo:[0,0,1] neg_hi:[0,0,1]
	v_mov_b32_e32 v111, v113
	s_delay_alu instid0(VALU_DEP_4) | instskip(NEXT) | instid1(VALU_DEP_4)
	v_pk_fma_f32 v[112:113], v[224:225], v[220:221], v[116:117] op_sel_hi:[1,0,1]
	v_pk_add_f32 v[108:109], v[108:109], v[114:115]
	v_pk_fma_f32 v[114:115], v[224:225], v[220:221], v[116:117] neg_lo:[0,0,1] neg_hi:[0,0,1]
	s_delay_alu instid0(VALU_DEP_3) | instskip(NEXT) | instid1(VALU_DEP_3)
	v_mov_b32_e32 v115, v113
	v_pk_add_f32 v[108:109], v[108:109], v[110:111]
	s_delay_alu instid0(VALU_DEP_1) | instskip(SKIP_1) | instid1(VALU_DEP_1)
	v_pk_add_f32 v[108:109], v[108:109], v[114:115]
	s_wait_loadcnt 0x0
	v_pk_add_f32 v[108:109], v[222:223], v[108:109] neg_lo:[0,1] neg_hi:[0,1]
	scratch_store_b64 off, v[108:109], off offset:184
	s_wait_xcnt 0x0
	v_cmpx_lt_u32_e32 22, v0
	s_cbranch_execz .LBB116_287
; %bb.286:
	scratch_load_b64 v[108:109], off, off offset:176
	v_mov_b64_e32 v[110:111], 0
	scratch_store_b64 off, v[110:111], off offset:176
	s_wait_loadcnt 0x0
	ds_store_b64 v1, v[108:109]
.LBB116_287:
	s_wait_xcnt 0x0
	s_or_b32 exec_lo, exec_lo, s0
	s_wait_storecnt_dscnt 0x0
	s_barrier_signal -1
	s_barrier_wait -1
	s_clause 0xf
	scratch_load_b128 v[108:111], off, off offset:184
	scratch_load_b128 v[112:115], off, off offset:200
	;; [unrolled: 1-line block ×15, first 2 shown]
	scratch_load_b64 v[228:229], off, off offset:176
	ds_load_2addr_b64 v[168:171], v7 offset0:99 offset1:100
	ds_load_2addr_b64 v[172:175], v7 offset0:101 offset1:102
	;; [unrolled: 1-line block ×15, first 2 shown]
	s_mov_b32 s0, exec_lo
	s_wait_dscnt 0xe
	v_dual_mov_b32 v230, v171 :: v_dual_mov_b32 v231, v170
	s_wait_dscnt 0xd
	v_dual_mov_b32 v232, v175 :: v_dual_mov_b32 v233, v174
	s_wait_dscnt 0xc
	v_dual_mov_b32 v234, v179 :: v_dual_mov_b32 v235, v178
	s_wait_dscnt 0xb
	v_dual_mov_b32 v236, v183 :: v_dual_mov_b32 v237, v182
	s_wait_loadcnt_dscnt 0xf0a
	v_dual_mul_f32 v7, v184, v109 :: v_dual_mul_f32 v9, v186, v111
	v_dual_mul_f32 v47, v185, v109 :: v_dual_mul_f32 v49, v187, v111
	s_wait_loadcnt_dscnt 0xe09
	v_dual_mul_f32 v11, v188, v113 :: v_dual_mul_f32 v13, v190, v115
	s_delay_alu instid0(VALU_DEP_3) | instskip(SKIP_3) | instid1(VALU_DEP_3)
	v_dual_fmac_f32 v7, v185, v108 :: v_dual_fmac_f32 v9, v187, v110
	s_wait_loadcnt_dscnt 0xc06
	v_dual_fma_f32 v47, v184, v108, -v47 :: v_dual_mul_f32 v59, v201, v121
	v_dual_mul_f32 v51, v189, v113 :: v_dual_mul_f32 v53, v191, v115
	v_dual_fma_f32 v49, v186, v110, -v49 :: v_dual_add_f32 v7, 0, v7
	s_delay_alu instid0(VALU_DEP_3) | instskip(SKIP_1) | instid1(VALU_DEP_4)
	v_dual_add_f32 v47, 0, v47 :: v_dual_fmac_f32 v11, v189, v112
	v_dual_mul_f32 v15, v196, v117 :: v_dual_mul_f32 v17, v198, v119
	v_dual_mul_f32 v61, v203, v123 :: v_dual_fma_f32 v51, v188, v112, -v51
	s_delay_alu instid0(VALU_DEP_4) | instskip(NEXT) | instid1(VALU_DEP_3)
	v_add_f32_e32 v7, v7, v9
	v_dual_add_f32 v9, v47, v49 :: v_dual_fmac_f32 v15, v197, v116
	v_dual_mul_f32 v55, v197, v117 :: v_dual_mul_f32 v57, v199, v119
	s_wait_loadcnt_dscnt 0xb05
	v_dual_mul_f32 v47, v205, v125 :: v_dual_fmac_f32 v13, v191, v114
	v_dual_fma_f32 v49, v190, v114, -v53 :: v_dual_add_f32 v7, v7, v11
	s_delay_alu instid0(VALU_DEP_3) | instskip(SKIP_1) | instid1(VALU_DEP_3)
	v_dual_add_f32 v9, v9, v51 :: v_dual_fma_f32 v51, v196, v116, -v55
	v_dual_mul_f32 v19, v200, v121 :: v_dual_mul_f32 v21, v202, v123
	v_add_f32_e32 v7, v7, v13
	s_delay_alu instid0(VALU_DEP_3) | instskip(SKIP_2) | instid1(VALU_DEP_3)
	v_dual_mul_f32 v11, v207, v127 :: v_dual_add_f32 v9, v9, v49
	s_wait_loadcnt_dscnt 0xa04
	v_dual_mul_f32 v13, v209, v129 :: v_dual_fmac_f32 v17, v199, v118
	v_dual_fma_f32 v49, v198, v118, -v57 :: v_dual_add_f32 v7, v7, v15
	s_delay_alu instid0(VALU_DEP_3) | instskip(SKIP_1) | instid1(VALU_DEP_3)
	v_dual_add_f32 v9, v9, v51 :: v_dual_fma_f32 v51, v200, v120, -v59
	v_dual_mul_f32 v15, v211, v131 :: v_dual_fmac_f32 v19, v201, v120
	v_add_f32_e32 v7, v7, v17
	s_delay_alu instid0(VALU_DEP_3)
	v_dual_add_f32 v9, v9, v49 :: v_dual_fmac_f32 v21, v203, v122
	v_dual_mul_f32 v23, v204, v125 :: v_dual_mul_f32 v25, v206, v127
	s_wait_loadcnt_dscnt 0x903
	v_dual_fma_f32 v49, v202, v122, -v61 :: v_dual_mul_f32 v17, v213, v133
	v_add_f32_e32 v7, v7, v19
	v_dual_add_f32 v9, v9, v51 :: v_dual_fma_f32 v47, v204, v124, -v47
	v_dual_mul_f32 v19, v215, v135 :: v_dual_fmac_f32 v23, v205, v124
	s_delay_alu instid0(VALU_DEP_3) | instskip(NEXT) | instid1(VALU_DEP_3)
	v_dual_add_f32 v7, v7, v21 :: v_dual_fma_f32 v11, v206, v126, -v11
	v_dual_add_f32 v9, v9, v49 :: v_dual_fmac_f32 v25, v207, v126
	v_dual_mul_f32 v27, v208, v129 :: v_dual_mul_f32 v29, v210, v131
	s_wait_loadcnt_dscnt 0x802
	s_delay_alu instid0(VALU_DEP_3) | instskip(NEXT) | instid1(VALU_DEP_3)
	v_dual_mul_f32 v21, v217, v137 :: v_dual_add_f32 v7, v7, v23
	v_dual_add_f32 v9, v9, v47 :: v_dual_fma_f32 v13, v208, v128, -v13
	s_delay_alu instid0(VALU_DEP_3) | instskip(NEXT) | instid1(VALU_DEP_2)
	v_dual_mul_f32 v23, v219, v139 :: v_dual_fmac_f32 v27, v209, v128
	v_dual_add_f32 v7, v7, v25 :: v_dual_add_f32 v9, v9, v11
	v_dual_mul_f32 v31, v212, v133 :: v_dual_mul_f32 v33, v214, v135
	s_wait_loadcnt_dscnt 0x701
	v_dual_mul_f32 v11, v221, v141 :: v_dual_fmac_f32 v29, v211, v130
	s_delay_alu instid0(VALU_DEP_3) | instskip(SKIP_2) | instid1(VALU_DEP_2)
	v_dual_fma_f32 v15, v210, v130, -v15 :: v_dual_add_f32 v7, v7, v27
	v_dual_add_f32 v9, v9, v13 :: v_dual_mul_f32 v13, v223, v143
	v_dual_fmac_f32 v31, v213, v132 :: v_dual_fma_f32 v17, v212, v132, -v17
	v_dual_add_f32 v7, v7, v29 :: v_dual_add_f32 v9, v9, v15
	v_dual_mul_f32 v35, v216, v137 :: v_dual_mul_f32 v37, v218, v139
	s_wait_loadcnt_dscnt 0x600
	v_dual_mul_f32 v15, v225, v145 :: v_dual_fmac_f32 v33, v215, v134
	s_delay_alu instid0(VALU_DEP_3) | instskip(SKIP_2) | instid1(VALU_DEP_2)
	v_dual_fma_f32 v19, v214, v134, -v19 :: v_dual_add_f32 v7, v7, v31
	v_dual_add_f32 v9, v9, v17 :: v_dual_mul_f32 v17, v227, v147
	v_dual_fmac_f32 v35, v217, v136 :: v_dual_fma_f32 v21, v216, v136, -v21
	v_dual_add_f32 v7, v7, v33 :: v_dual_add_f32 v9, v9, v19
	v_dual_mul_f32 v39, v220, v141 :: v_dual_mul_f32 v41, v222, v143
	s_wait_loadcnt 0x5
	v_dual_mul_f32 v19, v193, v149 :: v_dual_fmac_f32 v37, v219, v138
	s_delay_alu instid0(VALU_DEP_3) | instskip(SKIP_2) | instid1(VALU_DEP_3)
	v_dual_fma_f32 v23, v218, v138, -v23 :: v_dual_add_f32 v7, v7, v35
	v_dual_add_f32 v9, v9, v21 :: v_dual_mul_f32 v21, v195, v151
	v_fmac_f32_e32 v39, v221, v140
	v_dual_fma_f32 v11, v220, v140, -v11 :: v_dual_add_f32 v7, v7, v37
	s_delay_alu instid0(VALU_DEP_3) | instskip(SKIP_1) | instid1(VALU_DEP_3)
	v_dual_add_f32 v9, v9, v23 :: v_dual_mul_f32 v43, v224, v145
	v_dual_mul_f32 v45, v226, v147 :: v_dual_fmac_f32 v41, v223, v142
	v_dual_fma_f32 v13, v222, v142, -v13 :: v_dual_add_f32 v7, v7, v39
	s_wait_loadcnt 0x4
	s_delay_alu instid0(VALU_DEP_3) | instskip(SKIP_1) | instid1(VALU_DEP_3)
	v_dual_add_f32 v9, v9, v11 :: v_dual_mov_b32 v110, v155
	v_fmac_f32_e32 v43, v225, v144
	v_dual_fma_f32 v11, v224, v144, -v15 :: v_dual_add_f32 v7, v7, v41
	s_delay_alu instid0(VALU_DEP_3) | instskip(SKIP_1) | instid1(VALU_DEP_3)
	v_dual_add_f32 v9, v9, v13 :: v_dual_fmac_f32 v45, v227, v146
	v_dual_mul_f32 v239, v192, v149 :: v_dual_mul_f32 v241, v194, v151
	v_dual_fma_f32 v13, v226, v146, -v17 :: v_dual_add_f32 v7, v7, v43
	s_wait_loadcnt 0x3
	s_delay_alu instid0(VALU_DEP_3) | instskip(SKIP_1) | instid1(VALU_DEP_3)
	v_dual_add_f32 v9, v9, v11 :: v_dual_mov_b32 v114, v159
	v_pk_mul_f32 v[108:109], v[168:169], v[152:153] op_sel:[1,1] op_sel_hi:[0,1]
	v_dual_fmac_f32 v239, v193, v148 :: v_dual_add_f32 v117, v7, v45
	s_delay_alu instid0(VALU_DEP_3) | instskip(SKIP_1) | instid1(VALU_DEP_4)
	v_dual_fma_f32 v238, v192, v148, -v19 :: v_dual_add_f32 v116, v9, v13
	v_fmac_f32_e32 v241, v195, v150
	v_pk_fma_f32 v[118:119], v[168:169], v[152:153], v[108:109] op_sel_hi:[1,0,1]
	v_fma_f32 v240, v194, v150, -v21
	v_pk_mul_f32 v[110:111], v[230:231], v[110:111] op_sel_hi:[1,0]
	v_pk_add_f32 v[116:117], v[116:117], v[238:239]
	v_pk_fma_f32 v[108:109], v[168:169], v[152:153], v[108:109] neg_lo:[0,0,1] neg_hi:[0,0,1]
	v_pk_mul_f32 v[112:113], v[172:173], v[156:157] op_sel:[1,1] op_sel_hi:[0,1]
	v_mov_b32_e32 v109, v119
	v_pk_fma_f32 v[118:119], v[170:171], v[154:155], v[110:111] op_sel_hi:[1,0,1]
	v_pk_add_f32 v[116:117], v[116:117], v[240:241]
	v_pk_fma_f32 v[110:111], v[170:171], v[154:155], v[110:111] neg_lo:[0,0,1] neg_hi:[0,0,1]
	v_pk_fma_f32 v[122:123], v[172:173], v[156:157], v[112:113] op_sel_hi:[1,0,1]
	v_pk_mul_f32 v[114:115], v[232:233], v[114:115] op_sel_hi:[1,0]
	v_mov_b32_e32 v111, v119
	v_pk_add_f32 v[108:109], v[116:117], v[108:109]
	s_wait_loadcnt 0x2
	v_pk_mul_f32 v[120:121], v[176:177], v[160:161] op_sel:[1,1] op_sel_hi:[0,1]
	v_mov_b32_e32 v116, v163
	v_pk_fma_f32 v[112:113], v[172:173], v[156:157], v[112:113] neg_lo:[0,0,1] neg_hi:[0,0,1]
	v_pk_fma_f32 v[118:119], v[174:175], v[158:159], v[114:115] op_sel_hi:[1,0,1]
	v_mov_b32_e32 v113, v123
	v_pk_add_f32 v[108:109], v[108:109], v[110:111]
	v_pk_fma_f32 v[110:111], v[176:177], v[160:161], v[120:121] op_sel_hi:[1,0,1]
	v_pk_mul_f32 v[116:117], v[234:235], v[116:117] op_sel_hi:[1,0]
	v_pk_fma_f32 v[114:115], v[174:175], v[158:159], v[114:115] neg_lo:[0,0,1] neg_hi:[0,0,1]
	v_mov_b32_e32 v115, v119
	v_pk_add_f32 v[108:109], v[108:109], v[112:113]
	v_pk_fma_f32 v[118:119], v[176:177], v[160:161], v[120:121] neg_lo:[0,0,1] neg_hi:[0,0,1]
	v_mov_b32_e32 v119, v111
	v_pk_fma_f32 v[110:111], v[178:179], v[162:163], v[116:117] op_sel_hi:[1,0,1]
	s_wait_loadcnt 0x1
	v_pk_mul_f32 v[112:113], v[180:181], v[164:165] op_sel:[1,1] op_sel_hi:[0,1]
	v_pk_add_f32 v[108:109], v[108:109], v[114:115]
	v_mov_b32_e32 v110, v167
	v_pk_fma_f32 v[116:117], v[178:179], v[162:163], v[116:117] neg_lo:[0,0,1] neg_hi:[0,0,1]
	s_delay_alu instid0(VALU_DEP_4)
	v_pk_fma_f32 v[114:115], v[180:181], v[164:165], v[112:113] op_sel_hi:[1,0,1]
	v_mov_b32_e32 v117, v111
	v_pk_add_f32 v[108:109], v[108:109], v[118:119]
	v_pk_mul_f32 v[110:111], v[236:237], v[110:111] op_sel_hi:[1,0]
	v_pk_fma_f32 v[112:113], v[180:181], v[164:165], v[112:113] neg_lo:[0,0,1] neg_hi:[0,0,1]
	v_mov_b32_e32 v113, v115
	s_delay_alu instid0(VALU_DEP_4) | instskip(NEXT) | instid1(VALU_DEP_4)
	v_pk_add_f32 v[108:109], v[108:109], v[116:117]
	v_pk_fma_f32 v[114:115], v[182:183], v[166:167], v[110:111] op_sel_hi:[1,0,1]
	v_pk_fma_f32 v[110:111], v[182:183], v[166:167], v[110:111] neg_lo:[0,0,1] neg_hi:[0,0,1]
	s_delay_alu instid0(VALU_DEP_3) | instskip(NEXT) | instid1(VALU_DEP_3)
	v_pk_add_f32 v[108:109], v[108:109], v[112:113]
	v_mov_b32_e32 v111, v115
	s_delay_alu instid0(VALU_DEP_1) | instskip(SKIP_1) | instid1(VALU_DEP_1)
	v_pk_add_f32 v[108:109], v[108:109], v[110:111]
	s_wait_loadcnt 0x0
	v_pk_add_f32 v[108:109], v[228:229], v[108:109] neg_lo:[0,1] neg_hi:[0,1]
	scratch_store_b64 off, v[108:109], off offset:176
	s_wait_xcnt 0x0
	v_cmpx_lt_u32_e32 21, v0
	s_cbranch_execz .LBB116_289
; %bb.288:
	scratch_load_b64 v[108:109], off, off offset:168
	v_mov_b64_e32 v[110:111], 0
	scratch_store_b64 off, v[110:111], off offset:168
	s_wait_loadcnt 0x0
	ds_store_b64 v1, v[108:109]
.LBB116_289:
	s_wait_xcnt 0x0
	s_or_b32 exec_lo, exec_lo, s0
	s_wait_storecnt_dscnt 0x0
	s_barrier_signal -1
	s_barrier_wait -1
	s_clause 0x10
	scratch_load_b128 v[108:111], off, off offset:176
	scratch_load_b128 v[112:115], off, off offset:192
	scratch_load_b128 v[116:119], off, off offset:208
	scratch_load_b128 v[120:123], off, off offset:224
	scratch_load_b128 v[124:127], off, off offset:240
	scratch_load_b128 v[128:131], off, off offset:256
	scratch_load_b128 v[132:135], off, off offset:272
	scratch_load_b128 v[136:139], off, off offset:288
	scratch_load_b128 v[140:143], off, off offset:304
	scratch_load_b128 v[144:147], off, off offset:320
	scratch_load_b128 v[148:151], off, off offset:336
	scratch_load_b128 v[152:155], off, off offset:352
	scratch_load_b128 v[156:159], off, off offset:368
	scratch_load_b128 v[160:163], off, off offset:384
	scratch_load_b128 v[164:167], off, off offset:400
	scratch_load_b64 v[228:229], off, off offset:416
	scratch_load_b64 v[230:231], off, off offset:168
	v_mov_b32_e32 v7, 0
	ds_load_b128 v[168:171], v7 offset:784
	ds_load_b128 v[172:175], v7 offset:800
	ds_load_b128 v[176:179], v7 offset:816
	ds_load_b128 v[180:183], v7 offset:832
	ds_load_b128 v[184:187], v7 offset:608
	ds_load_b128 v[188:191], v7 offset:768
	ds_load_b128 v[192:195], v7 offset:624
	ds_load_b128 v[196:199], v7 offset:640
	ds_load_b128 v[200:203], v7 offset:656
	ds_load_b128 v[204:207], v7 offset:672
	ds_load_b128 v[208:211], v7 offset:688
	ds_load_b128 v[212:215], v7 offset:704
	ds_load_b128 v[216:219], v7 offset:720
	ds_load_b128 v[220:223], v7 offset:736
	ds_load_b128 v[224:227], v7 offset:752
	ds_load_b64 v[232:233], v7 offset:848
	s_mov_b32 s0, exec_lo
	s_wait_dscnt 0xf
	v_dual_mov_b32 v234, v171 :: v_dual_mov_b32 v235, v170
	s_wait_dscnt 0xc
	v_dual_mov_b32 v236, v175 :: v_dual_mov_b32 v241, v182
	v_dual_mov_b32 v237, v174 :: v_dual_mov_b32 v238, v179
	;; [unrolled: 1-line block ×3, first 2 shown]
	s_wait_loadcnt_dscnt 0x100b
	v_dual_mul_f32 v9, v184, v109 :: v_dual_mul_f32 v51, v185, v109
	v_dual_mul_f32 v53, v187, v111 :: v_dual_mul_f32 v11, v186, v111
	s_wait_loadcnt_dscnt 0xf09
	v_mul_f32_e32 v13, v192, v113
	s_wait_loadcnt_dscnt 0xd07
	v_dual_mul_f32 v63, v201, v121 :: v_dual_fma_f32 v51, v184, v108, -v51
	v_dual_fmac_f32 v9, v185, v108 :: v_dual_mul_f32 v65, v203, v123
	v_dual_mul_f32 v55, v193, v113 :: v_dual_mul_f32 v57, v195, v115
	v_dual_fmac_f32 v11, v187, v110 :: v_dual_fma_f32 v53, v186, v110, -v53
	s_delay_alu instid0(VALU_DEP_3) | instskip(SKIP_4) | instid1(VALU_DEP_3)
	v_dual_add_f32 v9, 0, v9 :: v_dual_add_f32 v51, 0, v51
	v_dual_mul_f32 v15, v194, v115 :: v_dual_mul_f32 v17, v196, v117
	s_wait_loadcnt_dscnt 0xc06
	v_dual_mul_f32 v67, v205, v125 :: v_dual_fma_f32 v55, v192, v112, -v55
	v_fmac_f32_e32 v13, v193, v112
	v_dual_add_f32 v9, v9, v11 :: v_dual_fmac_f32 v15, v195, v114
	v_add_f32_e32 v11, v51, v53
	v_dual_mul_f32 v59, v197, v117 :: v_dual_mul_f32 v61, v199, v119
	v_dual_mul_f32 v51, v207, v127 :: v_dual_fma_f32 v53, v194, v114, -v57
	s_delay_alu instid0(VALU_DEP_3) | instskip(SKIP_3) | instid1(VALU_DEP_3)
	v_dual_add_f32 v9, v9, v13 :: v_dual_add_f32 v11, v11, v55
	v_dual_mul_f32 v19, v198, v119 :: v_dual_mul_f32 v21, v200, v121
	s_wait_loadcnt_dscnt 0xb05
	v_dual_mul_f32 v13, v209, v129 :: v_dual_fma_f32 v55, v196, v116, -v59
	v_dual_fmac_f32 v17, v197, v116 :: v_dual_add_f32 v11, v11, v53
	s_delay_alu instid0(VALU_DEP_3) | instskip(SKIP_1) | instid1(VALU_DEP_2)
	v_dual_add_f32 v9, v9, v15 :: v_dual_fmac_f32 v19, v199, v118
	v_dual_mul_f32 v15, v211, v131 :: v_dual_fma_f32 v53, v198, v118, -v61
	v_dual_add_f32 v11, v11, v55 :: v_dual_add_f32 v9, v9, v17
	v_dual_mul_f32 v23, v202, v123 :: v_dual_mul_f32 v25, v204, v125
	s_wait_loadcnt_dscnt 0xa04
	v_dual_mul_f32 v17, v213, v133 :: v_dual_fma_f32 v55, v200, v120, -v63
	s_delay_alu instid0(VALU_DEP_3) | instskip(NEXT) | instid1(VALU_DEP_3)
	v_dual_fmac_f32 v21, v201, v120 :: v_dual_add_f32 v11, v11, v53
	v_dual_add_f32 v9, v9, v19 :: v_dual_fmac_f32 v23, v203, v122
	v_dual_mul_f32 v19, v215, v135 :: v_dual_fma_f32 v53, v202, v122, -v65
	s_delay_alu instid0(VALU_DEP_2) | instskip(SKIP_3) | instid1(VALU_DEP_3)
	v_dual_add_f32 v11, v11, v55 :: v_dual_add_f32 v9, v9, v21
	v_dual_mul_f32 v27, v206, v127 :: v_dual_mul_f32 v29, v208, v129
	s_wait_loadcnt_dscnt 0x903
	v_dual_mul_f32 v21, v217, v137 :: v_dual_fma_f32 v55, v204, v124, -v67
	v_dual_fmac_f32 v25, v205, v124 :: v_dual_add_f32 v11, v11, v53
	s_delay_alu instid0(VALU_DEP_3) | instskip(SKIP_1) | instid1(VALU_DEP_2)
	v_dual_add_f32 v9, v9, v23 :: v_dual_fmac_f32 v27, v207, v126
	v_dual_mul_f32 v23, v219, v139 :: v_dual_fma_f32 v51, v206, v126, -v51
	v_dual_add_f32 v11, v11, v55 :: v_dual_add_f32 v9, v9, v25
	v_dual_mul_f32 v31, v210, v131 :: v_dual_mul_f32 v33, v212, v133
	s_wait_loadcnt_dscnt 0x802
	v_dual_mul_f32 v25, v221, v141 :: v_dual_fma_f32 v13, v208, v128, -v13
	s_delay_alu instid0(VALU_DEP_3) | instskip(NEXT) | instid1(VALU_DEP_3)
	v_dual_fmac_f32 v29, v209, v128 :: v_dual_add_f32 v11, v11, v51
	v_dual_add_f32 v9, v9, v27 :: v_dual_fmac_f32 v31, v211, v130
	v_dual_mul_f32 v27, v223, v143 :: v_dual_fma_f32 v15, v210, v130, -v15
	s_delay_alu instid0(VALU_DEP_3) | instskip(NEXT) | instid1(VALU_DEP_3)
	v_dual_add_f32 v11, v11, v13 :: v_dual_fmac_f32 v33, v213, v132
	v_dual_add_f32 v9, v9, v29 :: v_dual_fma_f32 v17, v212, v132, -v17
	v_dual_mul_f32 v35, v214, v135 :: v_dual_mul_f32 v37, v216, v137
	s_wait_loadcnt_dscnt 0x701
	s_delay_alu instid0(VALU_DEP_3) | instskip(NEXT) | instid1(VALU_DEP_2)
	v_dual_mul_f32 v13, v225, v145 :: v_dual_add_f32 v11, v11, v15
	v_dual_add_f32 v9, v9, v31 :: v_dual_fmac_f32 v35, v215, v134
	v_dual_mul_f32 v15, v227, v147 :: v_dual_fma_f32 v19, v214, v134, -v19
	s_delay_alu instid0(VALU_DEP_3) | instskip(NEXT) | instid1(VALU_DEP_3)
	v_dual_add_f32 v11, v11, v17 :: v_dual_fmac_f32 v37, v217, v136
	v_dual_add_f32 v9, v9, v33 :: v_dual_fma_f32 v21, v216, v136, -v21
	v_dual_mul_f32 v39, v218, v139 :: v_dual_mul_f32 v41, v220, v141
	s_wait_loadcnt 0x6
	s_delay_alu instid0(VALU_DEP_3) | instskip(NEXT) | instid1(VALU_DEP_2)
	v_dual_mul_f32 v17, v189, v149 :: v_dual_add_f32 v11, v11, v19
	v_dual_add_f32 v9, v9, v35 :: v_dual_fmac_f32 v39, v219, v138
	v_dual_mul_f32 v19, v191, v151 :: v_dual_fma_f32 v23, v218, v138, -v23
	s_delay_alu instid0(VALU_DEP_3) | instskip(NEXT) | instid1(VALU_DEP_3)
	v_dual_add_f32 v11, v11, v21 :: v_dual_fmac_f32 v41, v221, v140
	v_dual_add_f32 v9, v9, v37 :: v_dual_fma_f32 v25, v220, v140, -v25
	v_dual_mul_f32 v43, v222, v143 :: v_dual_mul_f32 v45, v224, v145
	s_wait_loadcnt 0x5
	s_delay_alu instid0(VALU_DEP_3) | instskip(NEXT) | instid1(VALU_DEP_3)
	v_dual_mul_f32 v21, v169, v153 :: v_dual_add_f32 v11, v11, v23
	v_dual_add_f32 v9, v9, v39 :: v_dual_mov_b32 v108, v155
	s_delay_alu instid0(VALU_DEP_3) | instskip(NEXT) | instid1(VALU_DEP_3)
	v_fmac_f32_e32 v43, v223, v142
	v_dual_fma_f32 v23, v222, v142, -v27 :: v_dual_add_f32 v11, v11, v25
	s_delay_alu instid0(VALU_DEP_3) | instskip(SKIP_1) | instid1(VALU_DEP_3)
	v_dual_add_f32 v9, v9, v41 :: v_dual_mul_f32 v47, v226, v147
	v_dual_mul_f32 v49, v188, v149 :: v_dual_fmac_f32 v45, v225, v144
	v_dual_add_f32 v11, v11, v23 :: v_dual_fma_f32 v13, v224, v144, -v13
	s_wait_loadcnt 0x4
	s_delay_alu instid0(VALU_DEP_3) | instskip(SKIP_3) | instid1(VALU_DEP_4)
	v_dual_add_f32 v9, v9, v43 :: v_dual_mov_b32 v112, v159
	v_fma_f32 v15, v226, v146, -v15
	v_fmac_f32_e32 v47, v227, v146
	v_dual_add_f32 v11, v11, v13 :: v_dual_fmac_f32 v49, v189, v148
	v_dual_add_f32 v9, v9, v45 :: v_dual_mul_f32 v243, v190, v151
	v_mul_f32_e32 v245, v168, v153
	s_delay_alu instid0(VALU_DEP_3) | instskip(NEXT) | instid1(VALU_DEP_3)
	v_dual_fma_f32 v13, v188, v148, -v17 :: v_dual_add_f32 v11, v11, v15
	v_dual_fma_f32 v242, v190, v150, -v19 :: v_dual_add_f32 v9, v9, v47
	s_delay_alu instid0(VALU_DEP_4) | instskip(SKIP_1) | instid1(VALU_DEP_4)
	v_fmac_f32_e32 v243, v191, v150
	v_pk_mul_f32 v[108:109], v[234:235], v[108:109] op_sel_hi:[1,0]
	v_dual_add_f32 v116, v11, v13 :: v_dual_fmac_f32 v245, v169, v152
	s_delay_alu instid0(VALU_DEP_4)
	v_add_f32_e32 v117, v9, v49
	v_pk_mul_f32 v[110:111], v[172:173], v[156:157] op_sel:[1,1] op_sel_hi:[0,1]
	s_wait_loadcnt 0x3
	v_dual_mov_b32 v118, v163 :: v_dual_fma_f32 v244, v168, v152, -v21
	v_pk_fma_f32 v[120:121], v[170:171], v[154:155], v[108:109] op_sel_hi:[1,0,1]
	v_pk_add_f32 v[116:117], v[116:117], v[242:243]
	v_pk_fma_f32 v[108:109], v[170:171], v[154:155], v[108:109] neg_lo:[0,0,1] neg_hi:[0,0,1]
	v_pk_fma_f32 v[122:123], v[172:173], v[156:157], v[110:111] op_sel_hi:[1,0,1]
	v_pk_mul_f32 v[112:113], v[236:237], v[112:113] op_sel_hi:[1,0]
	v_mov_b32_e32 v109, v121
	v_pk_add_f32 v[116:117], v[116:117], v[244:245]
	v_pk_fma_f32 v[110:111], v[172:173], v[156:157], v[110:111] neg_lo:[0,0,1] neg_hi:[0,0,1]
	v_pk_mul_f32 v[114:115], v[176:177], v[160:161] op_sel:[1,1] op_sel_hi:[0,1]
	v_mov_b32_e32 v111, v123
	v_pk_fma_f32 v[122:123], v[174:175], v[158:159], v[112:113] op_sel_hi:[1,0,1]
	v_pk_add_f32 v[108:109], v[116:117], v[108:109]
	v_pk_fma_f32 v[112:113], v[174:175], v[158:159], v[112:113] neg_lo:[0,0,1] neg_hi:[0,0,1]
	v_pk_fma_f32 v[116:117], v[176:177], v[160:161], v[114:115] op_sel_hi:[1,0,1]
	v_pk_mul_f32 v[118:119], v[238:239], v[118:119] op_sel_hi:[1,0]
	v_mov_b32_e32 v113, v123
	v_pk_add_f32 v[108:109], v[108:109], v[110:111]
	v_pk_fma_f32 v[114:115], v[176:177], v[160:161], v[114:115] neg_lo:[0,0,1] neg_hi:[0,0,1]
	s_wait_loadcnt 0x2
	v_pk_mul_f32 v[120:121], v[180:181], v[164:165] op_sel:[1,1] op_sel_hi:[0,1]
	v_dual_mov_b32 v110, v167 :: v_dual_mov_b32 v115, v117
	v_pk_fma_f32 v[116:117], v[178:179], v[162:163], v[118:119] op_sel_hi:[1,0,1]
	v_pk_add_f32 v[108:109], v[108:109], v[112:113]
	v_pk_fma_f32 v[118:119], v[178:179], v[162:163], v[118:119] neg_lo:[0,0,1] neg_hi:[0,0,1]
	v_pk_fma_f32 v[112:113], v[180:181], v[164:165], v[120:121] op_sel_hi:[1,0,1]
	v_pk_mul_f32 v[110:111], v[240:241], v[110:111] op_sel_hi:[1,0]
	v_mov_b32_e32 v119, v117
	v_pk_add_f32 v[108:109], v[108:109], v[114:115]
	v_pk_fma_f32 v[114:115], v[180:181], v[164:165], v[120:121] neg_lo:[0,0,1] neg_hi:[0,0,1]
	v_mov_b32_e32 v115, v113
	v_pk_fma_f32 v[112:113], v[182:183], v[166:167], v[110:111] op_sel_hi:[1,0,1]
	s_wait_loadcnt_dscnt 0x100
	v_pk_mul_f32 v[116:117], v[232:233], v[228:229] op_sel:[1,1] op_sel_hi:[0,1]
	v_pk_add_f32 v[108:109], v[108:109], v[118:119]
	v_pk_fma_f32 v[110:111], v[182:183], v[166:167], v[110:111] neg_lo:[0,0,1] neg_hi:[0,0,1]
	v_mov_b32_e32 v111, v113
	s_delay_alu instid0(VALU_DEP_4) | instskip(NEXT) | instid1(VALU_DEP_4)
	v_pk_fma_f32 v[112:113], v[232:233], v[228:229], v[116:117] op_sel_hi:[1,0,1]
	v_pk_add_f32 v[108:109], v[108:109], v[114:115]
	v_pk_fma_f32 v[114:115], v[232:233], v[228:229], v[116:117] neg_lo:[0,0,1] neg_hi:[0,0,1]
	s_delay_alu instid0(VALU_DEP_3) | instskip(NEXT) | instid1(VALU_DEP_3)
	v_mov_b32_e32 v115, v113
	v_pk_add_f32 v[108:109], v[108:109], v[110:111]
	s_delay_alu instid0(VALU_DEP_1) | instskip(SKIP_1) | instid1(VALU_DEP_1)
	v_pk_add_f32 v[108:109], v[108:109], v[114:115]
	s_wait_loadcnt 0x0
	v_pk_add_f32 v[108:109], v[230:231], v[108:109] neg_lo:[0,1] neg_hi:[0,1]
	scratch_store_b64 off, v[108:109], off offset:168
	s_wait_xcnt 0x0
	v_cmpx_lt_u32_e32 20, v0
	s_cbranch_execz .LBB116_291
; %bb.290:
	scratch_load_b64 v[108:109], off, off offset:160
	v_mov_b64_e32 v[110:111], 0
	scratch_store_b64 off, v[110:111], off offset:160
	s_wait_loadcnt 0x0
	ds_store_b64 v1, v[108:109]
.LBB116_291:
	s_wait_xcnt 0x0
	s_or_b32 exec_lo, exec_lo, s0
	s_wait_storecnt_dscnt 0x0
	s_barrier_signal -1
	s_barrier_wait -1
	s_clause 0x10
	scratch_load_b128 v[108:111], off, off offset:168
	scratch_load_b128 v[112:115], off, off offset:184
	;; [unrolled: 1-line block ×16, first 2 shown]
	scratch_load_b64 v[236:237], off, off offset:160
	ds_load_2addr_b64 v[172:175], v7 offset0:99 offset1:100
	ds_load_2addr_b64 v[176:179], v7 offset0:101 offset1:102
	ds_load_2addr_b64 v[180:183], v7 offset0:103 offset1:104
	ds_load_2addr_b64 v[184:187], v7 offset0:105 offset1:106
	ds_load_2addr_b64 v[188:191], v7 offset0:75 offset1:76
	ds_load_2addr_b64 v[192:195], v7 offset0:77 offset1:78
	ds_load_2addr_b64 v[196:199], v7 offset0:79 offset1:80
	ds_load_2addr_b64 v[200:203], v7 offset0:81 offset1:82
	ds_load_2addr_b64 v[204:207], v7 offset0:83 offset1:84
	ds_load_2addr_b64 v[208:211], v7 offset0:85 offset1:86
	ds_load_2addr_b64 v[212:215], v7 offset0:87 offset1:88
	ds_load_2addr_b64 v[216:219], v7 offset0:89 offset1:90
	ds_load_2addr_b64 v[220:223], v7 offset0:91 offset1:92
	ds_load_2addr_b64 v[224:227], v7 offset0:93 offset1:94
	ds_load_2addr_b64 v[228:231], v7 offset0:95 offset1:96
	ds_load_2addr_b64 v[232:235], v7 offset0:97 offset1:98
	s_mov_b32 s0, exec_lo
	s_wait_dscnt 0xf
	v_dual_mov_b32 v238, v175 :: v_dual_mov_b32 v239, v174
	s_wait_dscnt 0xe
	v_dual_mov_b32 v240, v179 :: v_dual_mov_b32 v241, v178
	;; [unrolled: 2-line block ×4, first 2 shown]
	s_wait_loadcnt_dscnt 0x100b
	v_dual_mul_f32 v7, v188, v109 :: v_dual_mul_f32 v9, v190, v111
	v_dual_mul_f32 v51, v189, v109 :: v_dual_mul_f32 v53, v191, v111
	s_wait_loadcnt_dscnt 0xf0a
	v_dual_mul_f32 v11, v192, v113 :: v_dual_mul_f32 v13, v194, v115
	s_delay_alu instid0(VALU_DEP_3) | instskip(SKIP_3) | instid1(VALU_DEP_3)
	v_dual_fmac_f32 v7, v189, v108 :: v_dual_fmac_f32 v9, v191, v110
	s_wait_loadcnt_dscnt 0xd08
	v_dual_fma_f32 v51, v188, v108, -v51 :: v_dual_mul_f32 v63, v201, v121
	v_dual_mul_f32 v55, v193, v113 :: v_dual_mul_f32 v57, v195, v115
	v_dual_fma_f32 v53, v190, v110, -v53 :: v_dual_add_f32 v7, 0, v7
	s_delay_alu instid0(VALU_DEP_3) | instskip(SKIP_1) | instid1(VALU_DEP_4)
	v_dual_add_f32 v51, 0, v51 :: v_dual_fmac_f32 v11, v193, v112
	v_dual_mul_f32 v15, v196, v117 :: v_dual_mul_f32 v17, v198, v119
	v_dual_mul_f32 v65, v203, v123 :: v_dual_fma_f32 v55, v192, v112, -v55
	s_delay_alu instid0(VALU_DEP_4) | instskip(NEXT) | instid1(VALU_DEP_3)
	v_add_f32_e32 v7, v7, v9
	v_dual_add_f32 v9, v51, v53 :: v_dual_fmac_f32 v15, v197, v116
	v_dual_mul_f32 v59, v197, v117 :: v_dual_mul_f32 v61, v199, v119
	s_wait_loadcnt_dscnt 0xc07
	v_dual_mul_f32 v51, v205, v125 :: v_dual_fmac_f32 v13, v195, v114
	v_dual_fma_f32 v53, v194, v114, -v57 :: v_dual_add_f32 v7, v7, v11
	s_delay_alu instid0(VALU_DEP_3) | instskip(SKIP_1) | instid1(VALU_DEP_3)
	v_dual_add_f32 v9, v9, v55 :: v_dual_fma_f32 v55, v196, v116, -v59
	v_dual_mul_f32 v19, v200, v121 :: v_dual_mul_f32 v21, v202, v123
	v_add_f32_e32 v7, v7, v13
	s_delay_alu instid0(VALU_DEP_3) | instskip(SKIP_2) | instid1(VALU_DEP_3)
	v_dual_mul_f32 v11, v207, v127 :: v_dual_add_f32 v9, v9, v53
	s_wait_loadcnt_dscnt 0xb06
	v_dual_mul_f32 v13, v209, v129 :: v_dual_fmac_f32 v17, v199, v118
	v_dual_fma_f32 v53, v198, v118, -v61 :: v_dual_add_f32 v7, v7, v15
	s_delay_alu instid0(VALU_DEP_3) | instskip(SKIP_1) | instid1(VALU_DEP_3)
	v_dual_add_f32 v9, v9, v55 :: v_dual_fma_f32 v55, v200, v120, -v63
	v_dual_mul_f32 v15, v211, v131 :: v_dual_fmac_f32 v19, v201, v120
	v_add_f32_e32 v7, v7, v17
	s_delay_alu instid0(VALU_DEP_3)
	v_dual_add_f32 v9, v9, v53 :: v_dual_fmac_f32 v21, v203, v122
	v_dual_mul_f32 v23, v204, v125 :: v_dual_mul_f32 v25, v206, v127
	s_wait_loadcnt_dscnt 0xa05
	v_dual_fma_f32 v53, v202, v122, -v65 :: v_dual_mul_f32 v17, v213, v133
	v_add_f32_e32 v7, v7, v19
	v_dual_add_f32 v9, v9, v55 :: v_dual_fma_f32 v51, v204, v124, -v51
	v_dual_mul_f32 v19, v215, v135 :: v_dual_fmac_f32 v23, v205, v124
	s_delay_alu instid0(VALU_DEP_3) | instskip(NEXT) | instid1(VALU_DEP_3)
	v_dual_add_f32 v7, v7, v21 :: v_dual_fma_f32 v11, v206, v126, -v11
	v_dual_add_f32 v9, v9, v53 :: v_dual_fmac_f32 v25, v207, v126
	v_dual_mul_f32 v27, v208, v129 :: v_dual_mul_f32 v29, v210, v131
	s_wait_loadcnt_dscnt 0x904
	s_delay_alu instid0(VALU_DEP_3) | instskip(NEXT) | instid1(VALU_DEP_3)
	v_dual_mul_f32 v21, v217, v137 :: v_dual_add_f32 v7, v7, v23
	v_dual_add_f32 v9, v9, v51 :: v_dual_fma_f32 v13, v208, v128, -v13
	s_delay_alu instid0(VALU_DEP_3) | instskip(NEXT) | instid1(VALU_DEP_2)
	v_dual_mul_f32 v23, v219, v139 :: v_dual_fmac_f32 v27, v209, v128
	v_dual_add_f32 v7, v7, v25 :: v_dual_add_f32 v9, v9, v11
	v_dual_mul_f32 v31, v212, v133 :: v_dual_mul_f32 v33, v214, v135
	s_wait_loadcnt_dscnt 0x803
	v_dual_mul_f32 v11, v221, v141 :: v_dual_fmac_f32 v29, v211, v130
	s_delay_alu instid0(VALU_DEP_3) | instskip(SKIP_2) | instid1(VALU_DEP_2)
	v_dual_fma_f32 v15, v210, v130, -v15 :: v_dual_add_f32 v7, v7, v27
	v_dual_add_f32 v9, v9, v13 :: v_dual_mul_f32 v13, v223, v143
	v_dual_fmac_f32 v31, v213, v132 :: v_dual_fma_f32 v17, v212, v132, -v17
	v_dual_add_f32 v7, v7, v29 :: v_dual_add_f32 v9, v9, v15
	v_dual_mul_f32 v35, v216, v137 :: v_dual_mul_f32 v37, v218, v139
	s_wait_loadcnt_dscnt 0x702
	v_dual_mul_f32 v15, v225, v145 :: v_dual_fmac_f32 v33, v215, v134
	s_delay_alu instid0(VALU_DEP_3) | instskip(SKIP_2) | instid1(VALU_DEP_2)
	v_dual_fma_f32 v19, v214, v134, -v19 :: v_dual_add_f32 v7, v7, v31
	v_dual_add_f32 v9, v9, v17 :: v_dual_mul_f32 v17, v227, v147
	v_dual_fmac_f32 v35, v217, v136 :: v_dual_fma_f32 v21, v216, v136, -v21
	v_dual_add_f32 v7, v7, v33 :: v_dual_add_f32 v9, v9, v19
	v_dual_mul_f32 v39, v220, v141 :: v_dual_mul_f32 v41, v222, v143
	s_wait_loadcnt_dscnt 0x601
	v_dual_mul_f32 v19, v229, v149 :: v_dual_fmac_f32 v37, v219, v138
	s_delay_alu instid0(VALU_DEP_3) | instskip(SKIP_2) | instid1(VALU_DEP_3)
	v_dual_fma_f32 v23, v218, v138, -v23 :: v_dual_add_f32 v7, v7, v35
	v_dual_add_f32 v9, v9, v21 :: v_dual_mul_f32 v21, v231, v151
	v_fmac_f32_e32 v39, v221, v140
	v_dual_fma_f32 v11, v220, v140, -v11 :: v_dual_add_f32 v7, v7, v37
	s_delay_alu instid0(VALU_DEP_3)
	v_dual_add_f32 v9, v9, v23 :: v_dual_mul_f32 v43, v224, v145
	s_wait_loadcnt_dscnt 0x500
	v_dual_mul_f32 v45, v226, v147 :: v_dual_mul_f32 v23, v233, v153
	v_fmac_f32_e32 v41, v223, v142
	v_dual_fma_f32 v13, v222, v142, -v13 :: v_dual_add_f32 v7, v7, v39
	v_dual_add_f32 v9, v9, v11 :: v_dual_fma_f32 v15, v224, v144, -v15
	v_dual_mul_f32 v11, v235, v155 :: v_dual_fmac_f32 v43, v225, v144
	s_delay_alu instid0(VALU_DEP_3) | instskip(NEXT) | instid1(VALU_DEP_3)
	v_add_f32_e32 v7, v7, v41
	v_dual_add_f32 v9, v9, v13 :: v_dual_fmac_f32 v45, v227, v146
	v_dual_mul_f32 v47, v228, v149 :: v_dual_mul_f32 v49, v230, v151
	s_delay_alu instid0(VALU_DEP_3) | instskip(SKIP_1) | instid1(VALU_DEP_3)
	v_dual_fma_f32 v13, v226, v146, -v17 :: v_dual_add_f32 v7, v7, v43
	s_wait_loadcnt 0x4
	v_dual_add_f32 v9, v9, v15 :: v_dual_mov_b32 v110, v159
	s_delay_alu instid0(VALU_DEP_3) | instskip(NEXT) | instid1(VALU_DEP_3)
	v_fmac_f32_e32 v47, v229, v148
	v_dual_fma_f32 v15, v228, v148, -v19 :: v_dual_add_f32 v7, v7, v45
	s_delay_alu instid0(VALU_DEP_3) | instskip(SKIP_1) | instid1(VALU_DEP_3)
	v_dual_add_f32 v9, v9, v13 :: v_dual_fmac_f32 v49, v231, v150
	v_dual_mul_f32 v247, v232, v153 :: v_dual_mul_f32 v249, v234, v155
	v_dual_fma_f32 v13, v230, v150, -v21 :: v_dual_add_f32 v7, v7, v47
	s_wait_loadcnt 0x3
	s_delay_alu instid0(VALU_DEP_3) | instskip(SKIP_1) | instid1(VALU_DEP_3)
	v_dual_add_f32 v9, v9, v15 :: v_dual_mov_b32 v114, v163
	v_pk_mul_f32 v[108:109], v[172:173], v[156:157] op_sel:[1,1] op_sel_hi:[0,1]
	v_dual_fmac_f32 v247, v233, v152 :: v_dual_add_f32 v117, v7, v49
	s_delay_alu instid0(VALU_DEP_3) | instskip(SKIP_1) | instid1(VALU_DEP_4)
	v_dual_fma_f32 v246, v232, v152, -v23 :: v_dual_add_f32 v116, v9, v13
	v_dual_fmac_f32 v249, v235, v154 :: v_dual_fma_f32 v248, v234, v154, -v11
	v_pk_fma_f32 v[118:119], v[172:173], v[156:157], v[108:109] op_sel_hi:[1,0,1]
	v_pk_mul_f32 v[110:111], v[238:239], v[110:111] op_sel_hi:[1,0]
	s_delay_alu instid0(VALU_DEP_4)
	v_pk_add_f32 v[116:117], v[116:117], v[246:247]
	v_pk_fma_f32 v[108:109], v[172:173], v[156:157], v[108:109] neg_lo:[0,0,1] neg_hi:[0,0,1]
	v_pk_mul_f32 v[112:113], v[176:177], v[160:161] op_sel:[1,1] op_sel_hi:[0,1]
	v_mov_b32_e32 v109, v119
	v_pk_fma_f32 v[118:119], v[174:175], v[158:159], v[110:111] op_sel_hi:[1,0,1]
	v_pk_add_f32 v[116:117], v[116:117], v[248:249]
	v_pk_fma_f32 v[110:111], v[174:175], v[158:159], v[110:111] neg_lo:[0,0,1] neg_hi:[0,0,1]
	v_pk_fma_f32 v[122:123], v[176:177], v[160:161], v[112:113] op_sel_hi:[1,0,1]
	v_pk_mul_f32 v[114:115], v[240:241], v[114:115] op_sel_hi:[1,0]
	v_mov_b32_e32 v111, v119
	v_pk_add_f32 v[108:109], v[116:117], v[108:109]
	s_wait_loadcnt 0x2
	v_pk_mul_f32 v[120:121], v[180:181], v[164:165] op_sel:[1,1] op_sel_hi:[0,1]
	v_mov_b32_e32 v116, v167
	v_pk_fma_f32 v[112:113], v[176:177], v[160:161], v[112:113] neg_lo:[0,0,1] neg_hi:[0,0,1]
	v_mov_b32_e32 v113, v123
	v_pk_fma_f32 v[118:119], v[178:179], v[162:163], v[114:115] op_sel_hi:[1,0,1]
	v_pk_add_f32 v[108:109], v[108:109], v[110:111]
	v_pk_fma_f32 v[110:111], v[180:181], v[164:165], v[120:121] op_sel_hi:[1,0,1]
	v_pk_mul_f32 v[116:117], v[242:243], v[116:117] op_sel_hi:[1,0]
	v_pk_fma_f32 v[114:115], v[178:179], v[162:163], v[114:115] neg_lo:[0,0,1] neg_hi:[0,0,1]
	v_mov_b32_e32 v115, v119
	v_pk_add_f32 v[108:109], v[108:109], v[112:113]
	v_pk_fma_f32 v[118:119], v[180:181], v[164:165], v[120:121] neg_lo:[0,0,1] neg_hi:[0,0,1]
	v_mov_b32_e32 v119, v111
	v_pk_fma_f32 v[110:111], v[182:183], v[166:167], v[116:117] op_sel_hi:[1,0,1]
	s_wait_loadcnt 0x1
	v_pk_mul_f32 v[112:113], v[184:185], v[168:169] op_sel:[1,1] op_sel_hi:[0,1]
	v_pk_add_f32 v[108:109], v[108:109], v[114:115]
	v_mov_b32_e32 v110, v171
	v_pk_fma_f32 v[116:117], v[182:183], v[166:167], v[116:117] neg_lo:[0,0,1] neg_hi:[0,0,1]
	v_mov_b32_e32 v117, v111
	v_pk_fma_f32 v[114:115], v[184:185], v[168:169], v[112:113] op_sel_hi:[1,0,1]
	v_pk_add_f32 v[108:109], v[108:109], v[118:119]
	v_pk_mul_f32 v[110:111], v[244:245], v[110:111] op_sel_hi:[1,0]
	v_pk_fma_f32 v[112:113], v[184:185], v[168:169], v[112:113] neg_lo:[0,0,1] neg_hi:[0,0,1]
	s_delay_alu instid0(VALU_DEP_4) | instskip(NEXT) | instid1(VALU_DEP_4)
	v_mov_b32_e32 v113, v115
	v_pk_add_f32 v[108:109], v[108:109], v[116:117]
	s_delay_alu instid0(VALU_DEP_4) | instskip(SKIP_1) | instid1(VALU_DEP_2)
	v_pk_fma_f32 v[114:115], v[186:187], v[170:171], v[110:111] op_sel_hi:[1,0,1]
	v_pk_fma_f32 v[110:111], v[186:187], v[170:171], v[110:111] neg_lo:[0,0,1] neg_hi:[0,0,1]
	v_mov_b32_e32 v111, v115
	s_delay_alu instid0(VALU_DEP_4) | instskip(NEXT) | instid1(VALU_DEP_1)
	v_pk_add_f32 v[108:109], v[108:109], v[112:113]
	v_pk_add_f32 v[108:109], v[108:109], v[110:111]
	s_wait_loadcnt 0x0
	s_delay_alu instid0(VALU_DEP_1)
	v_pk_add_f32 v[108:109], v[236:237], v[108:109] neg_lo:[0,1] neg_hi:[0,1]
	scratch_store_b64 off, v[108:109], off offset:160
	s_wait_xcnt 0x0
	v_cmpx_lt_u32_e32 19, v0
	s_cbranch_execz .LBB116_293
; %bb.292:
	scratch_load_b64 v[108:109], off, off offset:152
	v_mov_b64_e32 v[110:111], 0
	scratch_store_b64 off, v[110:111], off offset:152
	s_wait_loadcnt 0x0
	ds_store_b64 v1, v[108:109]
.LBB116_293:
	s_wait_xcnt 0x0
	s_or_b32 exec_lo, exec_lo, s0
	s_wait_storecnt_dscnt 0x0
	s_barrier_signal -1
	s_barrier_wait -1
	s_clause 0x11
	scratch_load_b128 v[108:111], off, off offset:160
	scratch_load_b128 v[112:115], off, off offset:176
	;; [unrolled: 1-line block ×16, first 2 shown]
	scratch_load_b64 v[236:237], off, off offset:416
	scratch_load_b64 v[238:239], off, off offset:152
	v_mov_b32_e32 v7, 0
	ds_load_b128 v[172:175], v7 offset:784
	ds_load_b128 v[176:179], v7 offset:800
	ds_load_b128 v[180:183], v7 offset:816
	ds_load_b128 v[184:187], v7 offset:832
	ds_load_b128 v[188:191], v7 offset:592
	ds_load_b128 v[192:195], v7 offset:608
	ds_load_b128 v[196:199], v7 offset:624
	ds_load_b128 v[200:203], v7 offset:640
	ds_load_b128 v[204:207], v7 offset:656
	ds_load_b128 v[208:211], v7 offset:672
	ds_load_b128 v[212:215], v7 offset:688
	ds_load_b128 v[216:219], v7 offset:704
	ds_load_b128 v[220:223], v7 offset:720
	ds_load_b128 v[224:227], v7 offset:736
	ds_load_b128 v[228:231], v7 offset:752
	ds_load_b128 v[232:235], v7 offset:768
	ds_load_b64 v[240:241], v7 offset:848
	s_mov_b32 s0, exec_lo
	s_wait_dscnt 0x10
	v_dual_mov_b32 v242, v175 :: v_dual_mov_b32 v243, v174
	s_wait_dscnt 0xd
	v_dual_mov_b32 v244, v179 :: v_dual_mov_b32 v249, v186
	v_dual_mov_b32 v245, v178 :: v_dual_mov_b32 v246, v183
	;; [unrolled: 1-line block ×3, first 2 shown]
	s_wait_loadcnt_dscnt 0x110c
	v_dual_mul_f32 v9, v188, v109 :: v_dual_mul_f32 v55, v189, v109
	v_dual_mul_f32 v57, v191, v111 :: v_dual_mul_f32 v11, v190, v111
	s_wait_loadcnt_dscnt 0x100b
	v_mul_f32_e32 v13, v192, v113
	s_wait_loadcnt_dscnt 0xe09
	v_dual_mul_f32 v67, v201, v121 :: v_dual_fma_f32 v55, v188, v108, -v55
	v_dual_fmac_f32 v9, v189, v108 :: v_dual_mul_f32 v69, v203, v123
	v_dual_mul_f32 v59, v193, v113 :: v_dual_mul_f32 v61, v195, v115
	v_dual_fmac_f32 v11, v191, v110 :: v_dual_fma_f32 v57, v190, v110, -v57
	s_delay_alu instid0(VALU_DEP_3) | instskip(SKIP_4) | instid1(VALU_DEP_3)
	v_dual_add_f32 v9, 0, v9 :: v_dual_add_f32 v55, 0, v55
	v_dual_mul_f32 v15, v194, v115 :: v_dual_mul_f32 v17, v196, v117
	s_wait_loadcnt_dscnt 0xd08
	v_dual_mul_f32 v71, v205, v125 :: v_dual_fma_f32 v59, v192, v112, -v59
	v_fmac_f32_e32 v13, v193, v112
	v_dual_add_f32 v9, v9, v11 :: v_dual_fmac_f32 v15, v195, v114
	v_add_f32_e32 v11, v55, v57
	v_dual_mul_f32 v63, v197, v117 :: v_dual_mul_f32 v65, v199, v119
	v_dual_mul_f32 v55, v207, v127 :: v_dual_fma_f32 v57, v194, v114, -v61
	s_delay_alu instid0(VALU_DEP_3) | instskip(SKIP_3) | instid1(VALU_DEP_3)
	v_dual_add_f32 v9, v9, v13 :: v_dual_add_f32 v11, v11, v59
	v_dual_mul_f32 v19, v198, v119 :: v_dual_mul_f32 v21, v200, v121
	s_wait_loadcnt_dscnt 0xc07
	v_dual_mul_f32 v13, v209, v129 :: v_dual_fma_f32 v59, v196, v116, -v63
	v_dual_fmac_f32 v17, v197, v116 :: v_dual_add_f32 v11, v11, v57
	s_delay_alu instid0(VALU_DEP_3) | instskip(SKIP_1) | instid1(VALU_DEP_2)
	v_dual_add_f32 v9, v9, v15 :: v_dual_fmac_f32 v19, v199, v118
	v_dual_mul_f32 v15, v211, v131 :: v_dual_fma_f32 v57, v198, v118, -v65
	v_dual_add_f32 v11, v11, v59 :: v_dual_add_f32 v9, v9, v17
	v_dual_mul_f32 v23, v202, v123 :: v_dual_mul_f32 v25, v204, v125
	s_wait_loadcnt_dscnt 0xb06
	v_dual_mul_f32 v17, v213, v133 :: v_dual_fma_f32 v59, v200, v120, -v67
	s_delay_alu instid0(VALU_DEP_3) | instskip(NEXT) | instid1(VALU_DEP_3)
	v_dual_fmac_f32 v21, v201, v120 :: v_dual_add_f32 v11, v11, v57
	v_dual_add_f32 v9, v9, v19 :: v_dual_fmac_f32 v23, v203, v122
	v_dual_mul_f32 v19, v215, v135 :: v_dual_fma_f32 v57, v202, v122, -v69
	s_delay_alu instid0(VALU_DEP_2) | instskip(SKIP_3) | instid1(VALU_DEP_3)
	v_dual_add_f32 v11, v11, v59 :: v_dual_add_f32 v9, v9, v21
	v_dual_mul_f32 v27, v206, v127 :: v_dual_mul_f32 v29, v208, v129
	s_wait_loadcnt_dscnt 0xa05
	v_dual_mul_f32 v21, v217, v137 :: v_dual_fma_f32 v59, v204, v124, -v71
	v_dual_fmac_f32 v25, v205, v124 :: v_dual_add_f32 v11, v11, v57
	s_delay_alu instid0(VALU_DEP_3) | instskip(SKIP_1) | instid1(VALU_DEP_2)
	v_dual_add_f32 v9, v9, v23 :: v_dual_fmac_f32 v27, v207, v126
	v_dual_mul_f32 v23, v219, v139 :: v_dual_fma_f32 v55, v206, v126, -v55
	v_dual_add_f32 v11, v11, v59 :: v_dual_add_f32 v9, v9, v25
	v_dual_mul_f32 v31, v210, v131 :: v_dual_mul_f32 v33, v212, v133
	s_wait_loadcnt_dscnt 0x904
	v_dual_mul_f32 v25, v221, v141 :: v_dual_fma_f32 v13, v208, v128, -v13
	s_delay_alu instid0(VALU_DEP_3) | instskip(NEXT) | instid1(VALU_DEP_3)
	v_dual_fmac_f32 v29, v209, v128 :: v_dual_add_f32 v11, v11, v55
	v_dual_add_f32 v9, v9, v27 :: v_dual_fmac_f32 v31, v211, v130
	v_dual_mul_f32 v27, v223, v143 :: v_dual_fma_f32 v15, v210, v130, -v15
	s_delay_alu instid0(VALU_DEP_3) | instskip(NEXT) | instid1(VALU_DEP_3)
	v_dual_add_f32 v11, v11, v13 :: v_dual_fmac_f32 v33, v213, v132
	v_dual_add_f32 v9, v9, v29 :: v_dual_fma_f32 v17, v212, v132, -v17
	v_dual_mul_f32 v35, v214, v135 :: v_dual_mul_f32 v37, v216, v137
	s_wait_loadcnt_dscnt 0x803
	s_delay_alu instid0(VALU_DEP_3) | instskip(NEXT) | instid1(VALU_DEP_2)
	v_dual_mul_f32 v13, v225, v145 :: v_dual_add_f32 v11, v11, v15
	v_dual_add_f32 v9, v9, v31 :: v_dual_fmac_f32 v35, v215, v134
	v_dual_mul_f32 v15, v227, v147 :: v_dual_fma_f32 v19, v214, v134, -v19
	s_delay_alu instid0(VALU_DEP_3) | instskip(NEXT) | instid1(VALU_DEP_3)
	v_dual_add_f32 v11, v11, v17 :: v_dual_fmac_f32 v37, v217, v136
	v_dual_add_f32 v9, v9, v33 :: v_dual_fma_f32 v21, v216, v136, -v21
	v_dual_mul_f32 v39, v218, v139 :: v_dual_mul_f32 v41, v220, v141
	s_wait_loadcnt_dscnt 0x702
	s_delay_alu instid0(VALU_DEP_3) | instskip(NEXT) | instid1(VALU_DEP_2)
	v_dual_mul_f32 v17, v229, v149 :: v_dual_add_f32 v11, v11, v19
	;; [unrolled: 9-line block ×3, first 2 shown]
	v_dual_add_f32 v9, v9, v39 :: v_dual_fmac_f32 v43, v223, v142
	v_dual_mul_f32 v23, v235, v155 :: v_dual_fma_f32 v27, v222, v142, -v27
	s_delay_alu instid0(VALU_DEP_3) | instskip(NEXT) | instid1(VALU_DEP_3)
	v_dual_add_f32 v11, v11, v25 :: v_dual_fmac_f32 v45, v225, v144
	v_dual_add_f32 v9, v9, v41 :: v_dual_fma_f32 v13, v224, v144, -v13
	v_dual_mul_f32 v47, v226, v147 :: v_dual_mul_f32 v49, v228, v149
	s_wait_loadcnt 0x5
	s_delay_alu instid0(VALU_DEP_3) | instskip(NEXT) | instid1(VALU_DEP_3)
	v_dual_mul_f32 v25, v173, v157 :: v_dual_add_f32 v11, v11, v27
	v_dual_add_f32 v9, v9, v43 :: v_dual_mov_b32 v108, v159
	s_delay_alu instid0(VALU_DEP_3) | instskip(NEXT) | instid1(VALU_DEP_3)
	v_fmac_f32_e32 v47, v227, v146
	v_dual_fma_f32 v15, v226, v146, -v15 :: v_dual_add_f32 v11, v11, v13
	s_delay_alu instid0(VALU_DEP_3) | instskip(SKIP_1) | instid1(VALU_DEP_3)
	v_dual_add_f32 v9, v9, v45 :: v_dual_mul_f32 v51, v230, v151
	v_dual_mul_f32 v53, v232, v153 :: v_dual_fmac_f32 v49, v229, v148
	v_dual_add_f32 v11, v11, v15 :: v_dual_fma_f32 v13, v228, v148, -v17
	s_wait_loadcnt 0x4
	s_delay_alu instid0(VALU_DEP_3) | instskip(SKIP_3) | instid1(VALU_DEP_4)
	v_dual_add_f32 v9, v9, v47 :: v_dual_mov_b32 v112, v163
	v_fma_f32 v15, v230, v150, -v19
	v_fmac_f32_e32 v51, v231, v150
	v_dual_add_f32 v11, v11, v13 :: v_dual_fmac_f32 v53, v233, v152
	v_dual_add_f32 v9, v9, v49 :: v_dual_mul_f32 v251, v234, v155
	v_mul_f32_e32 v253, v172, v157
	s_delay_alu instid0(VALU_DEP_3) | instskip(NEXT) | instid1(VALU_DEP_3)
	v_dual_fma_f32 v13, v232, v152, -v21 :: v_dual_add_f32 v11, v11, v15
	v_dual_fma_f32 v250, v234, v154, -v23 :: v_dual_add_f32 v9, v9, v51
	s_delay_alu instid0(VALU_DEP_4) | instskip(SKIP_1) | instid1(VALU_DEP_4)
	v_fmac_f32_e32 v251, v235, v154
	v_pk_mul_f32 v[108:109], v[242:243], v[108:109] op_sel_hi:[1,0]
	v_dual_add_f32 v116, v11, v13 :: v_dual_fmac_f32 v253, v173, v156
	s_delay_alu instid0(VALU_DEP_4)
	v_add_f32_e32 v117, v9, v53
	v_pk_mul_f32 v[110:111], v[176:177], v[160:161] op_sel:[1,1] op_sel_hi:[0,1]
	s_wait_loadcnt 0x3
	v_dual_mov_b32 v118, v167 :: v_dual_fma_f32 v252, v172, v156, -v25
	v_pk_fma_f32 v[120:121], v[174:175], v[158:159], v[108:109] op_sel_hi:[1,0,1]
	v_pk_add_f32 v[116:117], v[116:117], v[250:251]
	v_pk_fma_f32 v[108:109], v[174:175], v[158:159], v[108:109] neg_lo:[0,0,1] neg_hi:[0,0,1]
	v_pk_fma_f32 v[122:123], v[176:177], v[160:161], v[110:111] op_sel_hi:[1,0,1]
	v_pk_mul_f32 v[112:113], v[244:245], v[112:113] op_sel_hi:[1,0]
	v_mov_b32_e32 v109, v121
	v_pk_add_f32 v[116:117], v[116:117], v[252:253]
	v_pk_fma_f32 v[110:111], v[176:177], v[160:161], v[110:111] neg_lo:[0,0,1] neg_hi:[0,0,1]
	v_pk_mul_f32 v[114:115], v[180:181], v[164:165] op_sel:[1,1] op_sel_hi:[0,1]
	v_mov_b32_e32 v111, v123
	v_pk_fma_f32 v[122:123], v[178:179], v[162:163], v[112:113] op_sel_hi:[1,0,1]
	v_pk_add_f32 v[108:109], v[116:117], v[108:109]
	v_pk_fma_f32 v[112:113], v[178:179], v[162:163], v[112:113] neg_lo:[0,0,1] neg_hi:[0,0,1]
	v_pk_fma_f32 v[116:117], v[180:181], v[164:165], v[114:115] op_sel_hi:[1,0,1]
	v_pk_mul_f32 v[118:119], v[246:247], v[118:119] op_sel_hi:[1,0]
	v_mov_b32_e32 v113, v123
	v_pk_add_f32 v[108:109], v[108:109], v[110:111]
	v_pk_fma_f32 v[114:115], v[180:181], v[164:165], v[114:115] neg_lo:[0,0,1] neg_hi:[0,0,1]
	s_wait_loadcnt 0x2
	v_pk_mul_f32 v[120:121], v[184:185], v[168:169] op_sel:[1,1] op_sel_hi:[0,1]
	v_dual_mov_b32 v110, v171 :: v_dual_mov_b32 v115, v117
	v_pk_fma_f32 v[116:117], v[182:183], v[166:167], v[118:119] op_sel_hi:[1,0,1]
	v_pk_add_f32 v[108:109], v[108:109], v[112:113]
	v_pk_fma_f32 v[118:119], v[182:183], v[166:167], v[118:119] neg_lo:[0,0,1] neg_hi:[0,0,1]
	v_pk_fma_f32 v[112:113], v[184:185], v[168:169], v[120:121] op_sel_hi:[1,0,1]
	v_pk_mul_f32 v[110:111], v[248:249], v[110:111] op_sel_hi:[1,0]
	v_mov_b32_e32 v119, v117
	v_pk_add_f32 v[108:109], v[108:109], v[114:115]
	v_pk_fma_f32 v[114:115], v[184:185], v[168:169], v[120:121] neg_lo:[0,0,1] neg_hi:[0,0,1]
	v_mov_b32_e32 v115, v113
	v_pk_fma_f32 v[112:113], v[186:187], v[170:171], v[110:111] op_sel_hi:[1,0,1]
	s_wait_loadcnt_dscnt 0x100
	v_pk_mul_f32 v[116:117], v[240:241], v[236:237] op_sel:[1,1] op_sel_hi:[0,1]
	v_pk_add_f32 v[108:109], v[108:109], v[118:119]
	v_pk_fma_f32 v[110:111], v[186:187], v[170:171], v[110:111] neg_lo:[0,0,1] neg_hi:[0,0,1]
	v_mov_b32_e32 v111, v113
	s_delay_alu instid0(VALU_DEP_4) | instskip(NEXT) | instid1(VALU_DEP_4)
	v_pk_fma_f32 v[112:113], v[240:241], v[236:237], v[116:117] op_sel_hi:[1,0,1]
	v_pk_add_f32 v[108:109], v[108:109], v[114:115]
	v_pk_fma_f32 v[114:115], v[240:241], v[236:237], v[116:117] neg_lo:[0,0,1] neg_hi:[0,0,1]
	s_delay_alu instid0(VALU_DEP_3) | instskip(NEXT) | instid1(VALU_DEP_3)
	v_mov_b32_e32 v115, v113
	v_pk_add_f32 v[108:109], v[108:109], v[110:111]
	s_delay_alu instid0(VALU_DEP_1) | instskip(SKIP_1) | instid1(VALU_DEP_1)
	v_pk_add_f32 v[108:109], v[108:109], v[114:115]
	s_wait_loadcnt 0x0
	v_pk_add_f32 v[108:109], v[238:239], v[108:109] neg_lo:[0,1] neg_hi:[0,1]
	scratch_store_b64 off, v[108:109], off offset:152
	s_wait_xcnt 0x0
	v_cmpx_lt_u32_e32 18, v0
	s_cbranch_execz .LBB116_295
; %bb.294:
	scratch_load_b64 v[108:109], off, off offset:144
	v_mov_b64_e32 v[110:111], 0
	scratch_store_b64 off, v[110:111], off offset:144
	s_wait_loadcnt 0x0
	ds_store_b64 v1, v[108:109]
.LBB116_295:
	s_wait_xcnt 0x0
	s_or_b32 exec_lo, exec_lo, s0
	s_wait_storecnt_dscnt 0x0
	s_barrier_signal -1
	s_barrier_wait -1
	s_clause 0x11
	scratch_load_b128 v[108:111], off, off offset:152
	scratch_load_b128 v[112:115], off, off offset:168
	;; [unrolled: 1-line block ×17, first 2 shown]
	scratch_load_b64 v[244:245], off, off offset:144
	ds_load_2addr_b64 v[176:179], v7 offset0:99 offset1:100
	ds_load_2addr_b64 v[180:183], v7 offset0:101 offset1:102
	;; [unrolled: 1-line block ×17, first 2 shown]
	s_mov_b32 s0, exec_lo
	s_wait_dscnt 0x10
	v_dual_mov_b32 v246, v179 :: v_dual_mov_b32 v247, v178
	s_wait_dscnt 0xf
	v_dual_mov_b32 v248, v183 :: v_dual_mov_b32 v249, v182
	;; [unrolled: 2-line block ×4, first 2 shown]
	s_wait_loadcnt_dscnt 0x110b
	v_dual_mul_f32 v7, v196, v109 :: v_dual_mul_f32 v9, v198, v111
	s_wait_loadcnt_dscnt 0x100a
	v_dual_mul_f32 v55, v197, v109 :: v_dual_mul_f32 v61, v203, v115
	s_wait_loadcnt_dscnt 0xf09
	v_mul_f32_e32 v63, v205, v117
	v_dual_fmac_f32 v7, v197, v108 :: v_dual_fmac_f32 v9, v199, v110
	s_delay_alu instid0(VALU_DEP_3)
	v_dual_fma_f32 v55, v196, v108, -v55 :: v_dual_mul_f32 v57, v199, v111
	v_dual_mul_f32 v11, v200, v113 :: v_dual_mul_f32 v13, v202, v115
	v_dual_mul_f32 v59, v201, v113 :: v_dual_mul_f32 v65, v207, v119
	s_wait_loadcnt 0x5
	v_mul_f32_e32 v255, v192, v157
	s_wait_dscnt 0x8
	v_dual_mul_f32 v67, v209, v121 :: v_dual_fma_f32 v57, v198, v110, -v57
	v_dual_add_f32 v7, 0, v7 :: v_dual_fmac_f32 v11, v201, v112
	v_dual_add_f32 v55, 0, v55 :: v_dual_fma_f32 v59, v200, v112, -v59
	v_dual_mul_f32 v15, v204, v117 :: v_dual_mul_f32 v17, v206, v119
	s_delay_alu instid0(VALU_DEP_3) | instskip(NEXT) | instid1(VALU_DEP_3)
	v_add_f32_e32 v7, v7, v9
	v_dual_add_f32 v9, v55, v57 :: v_dual_fma_f32 v57, v202, v114, -v61
	s_delay_alu instid0(VALU_DEP_3) | instskip(NEXT) | instid1(VALU_DEP_3)
	v_dual_fmac_f32 v15, v205, v116 :: v_dual_fmac_f32 v13, v203, v114
	v_add_f32_e32 v7, v7, v11
	s_delay_alu instid0(VALU_DEP_3)
	v_add_f32_e32 v9, v9, v59
	s_wait_dscnt 0x7
	v_dual_mul_f32 v11, v215, v127 :: v_dual_fma_f32 v59, v204, v116, -v63
	v_dual_mul_f32 v19, v208, v121 :: v_dual_mul_f32 v21, v210, v123
	v_add_f32_e32 v7, v7, v13
	v_add_f32_e32 v9, v9, v57
	s_wait_dscnt 0x6
	v_dual_mul_f32 v13, v217, v129 :: v_dual_fmac_f32 v17, v207, v118
	s_delay_alu instid0(VALU_DEP_3) | instskip(SKIP_3) | instid1(VALU_DEP_2)
	v_dual_fma_f32 v57, v206, v118, -v65 :: v_dual_add_f32 v7, v7, v15
	v_fmac_f32_e32 v19, v209, v120
	v_dual_add_f32 v9, v9, v59 :: v_dual_fma_f32 v59, v208, v120, -v67
	v_dual_mul_f32 v69, v211, v123 :: v_dual_mul_f32 v55, v213, v125
	v_dual_mul_f32 v15, v219, v131 :: v_dual_add_f32 v9, v9, v57
	s_delay_alu instid0(VALU_DEP_2) | instskip(SKIP_3) | instid1(VALU_DEP_2)
	v_dual_add_f32 v7, v7, v17 :: v_dual_fma_f32 v57, v210, v122, -v69
	v_dual_mul_f32 v23, v212, v125 :: v_dual_mul_f32 v25, v214, v127
	s_wait_dscnt 0x5
	v_dual_mul_f32 v17, v221, v133 :: v_dual_fmac_f32 v21, v211, v122
	v_dual_add_f32 v7, v7, v19 :: v_dual_fmac_f32 v23, v213, v124
	v_dual_add_f32 v9, v9, v59 :: v_dual_fma_f32 v55, v212, v124, -v55
	v_mul_f32_e32 v19, v223, v135
	s_delay_alu instid0(VALU_DEP_3) | instskip(NEXT) | instid1(VALU_DEP_3)
	v_dual_add_f32 v7, v7, v21 :: v_dual_fma_f32 v11, v214, v126, -v11
	v_add_f32_e32 v9, v9, v57
	v_dual_mul_f32 v27, v216, v129 :: v_dual_mul_f32 v29, v218, v131
	s_wait_dscnt 0x4
	v_dual_mul_f32 v21, v225, v137 :: v_dual_fmac_f32 v25, v215, v126
	s_delay_alu instid0(VALU_DEP_2) | instskip(SKIP_2) | instid1(VALU_DEP_2)
	v_dual_add_f32 v7, v7, v23 :: v_dual_fmac_f32 v27, v217, v128
	v_dual_add_f32 v9, v9, v55 :: v_dual_fma_f32 v13, v216, v128, -v13
	v_dual_mul_f32 v31, v220, v133 :: v_dual_mul_f32 v33, v222, v135
	v_dual_add_f32 v7, v7, v25 :: v_dual_add_f32 v9, v9, v11
	v_dual_fmac_f32 v29, v219, v130 :: v_dual_fma_f32 v15, v218, v130, -v15
	s_delay_alu instid0(VALU_DEP_2) | instskip(SKIP_1) | instid1(VALU_DEP_3)
	v_dual_fmac_f32 v31, v221, v132 :: v_dual_add_f32 v7, v7, v27
	s_wait_dscnt 0x3
	v_dual_add_f32 v9, v9, v13 :: v_dual_mul_f32 v13, v231, v143
	v_fma_f32 v17, v220, v132, -v17
	v_dual_mul_f32 v35, v224, v137 :: v_dual_mul_f32 v37, v226, v139
	s_delay_alu instid0(VALU_DEP_3) | instskip(SKIP_2) | instid1(VALU_DEP_2)
	v_dual_add_f32 v7, v7, v29 :: v_dual_add_f32 v9, v9, v15
	s_wait_dscnt 0x2
	v_dual_fmac_f32 v33, v223, v134 :: v_dual_mul_f32 v15, v233, v145
	v_dual_fma_f32 v19, v222, v134, -v19 :: v_dual_add_f32 v7, v7, v31
	s_delay_alu instid0(VALU_DEP_3) | instskip(SKIP_2) | instid1(VALU_DEP_3)
	v_dual_add_f32 v9, v9, v17 :: v_dual_mul_f32 v23, v227, v139
	v_dual_mul_f32 v11, v229, v141 :: v_dual_mul_f32 v17, v235, v147
	v_dual_fmac_f32 v35, v225, v136 :: v_dual_fma_f32 v21, v224, v136, -v21
	v_dual_add_f32 v7, v7, v33 :: v_dual_add_f32 v9, v9, v19
	v_dual_fmac_f32 v37, v227, v138 :: v_dual_mul_f32 v39, v228, v141
	s_wait_dscnt 0x1
	v_dual_mul_f32 v41, v230, v143 :: v_dual_mul_f32 v19, v237, v149
	s_delay_alu instid0(VALU_DEP_3) | instskip(SKIP_2) | instid1(VALU_DEP_3)
	v_dual_fma_f32 v23, v226, v138, -v23 :: v_dual_add_f32 v7, v7, v35
	v_dual_add_f32 v9, v9, v21 :: v_dual_mul_f32 v21, v239, v151
	v_fmac_f32_e32 v39, v229, v140
	v_dual_fma_f32 v11, v228, v140, -v11 :: v_dual_add_f32 v7, v7, v37
	s_delay_alu instid0(VALU_DEP_3) | instskip(SKIP_3) | instid1(VALU_DEP_2)
	v_dual_add_f32 v9, v9, v23 :: v_dual_fmac_f32 v41, v231, v142
	v_dual_mul_f32 v43, v232, v145 :: v_dual_mul_f32 v45, v234, v147
	s_wait_dscnt 0x0
	v_dual_mul_f32 v23, v241, v153 :: v_dual_fma_f32 v13, v230, v142, -v13
	v_dual_add_f32 v7, v7, v39 :: v_dual_fmac_f32 v43, v233, v144
	v_dual_add_f32 v9, v9, v11 :: v_dual_fma_f32 v15, v232, v144, -v15
	v_mul_f32_e32 v11, v243, v155
	s_delay_alu instid0(VALU_DEP_3) | instskip(NEXT) | instid1(VALU_DEP_3)
	v_dual_add_f32 v7, v7, v41 :: v_dual_fma_f32 v17, v234, v146, -v17
	v_add_f32_e32 v9, v9, v13
	v_dual_mul_f32 v47, v236, v149 :: v_dual_mul_f32 v49, v238, v151
	v_dual_mul_f32 v13, v193, v157 :: v_dual_fmac_f32 v45, v235, v146
	s_delay_alu instid0(VALU_DEP_2) | instskip(NEXT) | instid1(VALU_DEP_4)
	v_dual_add_f32 v7, v7, v43 :: v_dual_fmac_f32 v47, v237, v148
	v_dual_add_f32 v9, v9, v15 :: v_dual_fma_f32 v19, v236, v148, -v19
	v_mul_f32_e32 v15, v195, v159
	s_delay_alu instid0(VALU_DEP_3) | instskip(SKIP_1) | instid1(VALU_DEP_4)
	v_add_f32_e32 v7, v7, v45
	v_dual_mul_f32 v51, v240, v153 :: v_dual_mul_f32 v53, v242, v155
	v_dual_add_f32 v9, v9, v17 :: v_dual_fmac_f32 v49, v239, v150
	s_delay_alu instid0(VALU_DEP_3) | instskip(NEXT) | instid1(VALU_DEP_3)
	v_dual_fma_f32 v17, v238, v150, -v21 :: v_dual_add_f32 v7, v7, v47
	v_fmac_f32_e32 v51, v241, v152
	s_wait_loadcnt 0x4
	s_delay_alu instid0(VALU_DEP_3) | instskip(NEXT) | instid1(VALU_DEP_3)
	v_dual_add_f32 v9, v9, v19 :: v_dual_mov_b32 v110, v163
	v_dual_fma_f32 v19, v240, v152, -v23 :: v_dual_add_f32 v7, v7, v49
	s_delay_alu instid0(VALU_DEP_2) | instskip(SKIP_2) | instid1(VALU_DEP_4)
	v_dual_fma_f32 v11, v242, v154, -v11 :: v_dual_add_f32 v9, v9, v17
	v_fmac_f32_e32 v53, v243, v154
	v_pk_mul_f32 v[108:109], v[176:177], v[160:161] op_sel:[1,1] op_sel_hi:[0,1]
	v_dual_add_f32 v7, v7, v51 :: v_dual_fmac_f32 v255, v193, v156
	s_wait_loadcnt 0x3
	v_dual_add_f32 v9, v9, v19 :: v_dual_mov_b32 v114, v167
	s_set_vgpr_msb 64                       ;  msbs: dst=1 src0=0 src1=0 src2=0
	v_dual_mul_f32 v1 /*v257*/, v194, v159 :: v_dual_fma_f32 v0 /*v256*/, v194, v158, -v15
	s_set_vgpr_msb 0                        ;  msbs: dst=0 src0=0 src1=0 src2=0
	v_dual_fma_f32 v254, v192, v156, -v13 :: v_dual_add_f32 v117, v7, v53
	v_pk_fma_f32 v[118:119], v[176:177], v[160:161], v[108:109] op_sel_hi:[1,0,1]
	v_add_f32_e32 v116, v9, v11
	v_pk_fma_f32 v[108:109], v[176:177], v[160:161], v[108:109] neg_lo:[0,0,1] neg_hi:[0,0,1]
	s_set_vgpr_msb 64                       ;  msbs: dst=1 src0=0 src1=0 src2=0
	v_fmac_f32_e32 v1 /*v257*/, v195, v158
	s_set_vgpr_msb 0                        ;  msbs: dst=0 src0=0 src1=0 src2=0
	v_pk_mul_f32 v[110:111], v[246:247], v[110:111] op_sel_hi:[1,0]
	v_mov_b32_e32 v109, v119
	v_pk_add_f32 v[116:117], v[116:117], v[254:255]
	v_pk_mul_f32 v[112:113], v[180:181], v[164:165] op_sel:[1,1] op_sel_hi:[0,1]
	v_pk_mul_f32 v[114:115], v[248:249], v[114:115] op_sel_hi:[1,0]
	v_pk_fma_f32 v[118:119], v[178:179], v[162:163], v[110:111] op_sel_hi:[1,0,1]
	v_pk_fma_f32 v[110:111], v[178:179], v[162:163], v[110:111] neg_lo:[0,0,1] neg_hi:[0,0,1]
	s_set_vgpr_msb 4                        ;  msbs: dst=0 src0=0 src1=1 src2=0
	v_pk_add_f32 v[116:117], v[116:117], v[0:1] /*v[256:257]*/
	s_set_vgpr_msb 0                        ;  msbs: dst=0 src0=0 src1=0 src2=0
	v_pk_fma_f32 v[122:123], v[180:181], v[164:165], v[112:113] op_sel_hi:[1,0,1]
	s_wait_loadcnt 0x2
	v_pk_mul_f32 v[120:121], v[184:185], v[168:169] op_sel:[1,1] op_sel_hi:[0,1]
	v_mov_b32_e32 v111, v119
	v_pk_fma_f32 v[112:113], v[180:181], v[164:165], v[112:113] neg_lo:[0,0,1] neg_hi:[0,0,1]
	v_pk_add_f32 v[108:109], v[116:117], v[108:109]
	v_mov_b32_e32 v116, v171
	v_pk_fma_f32 v[118:119], v[182:183], v[166:167], v[114:115] op_sel_hi:[1,0,1]
	v_mov_b32_e32 v113, v123
	v_pk_fma_f32 v[114:115], v[182:183], v[166:167], v[114:115] neg_lo:[0,0,1] neg_hi:[0,0,1]
	v_pk_add_f32 v[108:109], v[108:109], v[110:111]
	v_pk_fma_f32 v[110:111], v[184:185], v[168:169], v[120:121] op_sel_hi:[1,0,1]
	v_pk_mul_f32 v[116:117], v[250:251], v[116:117] op_sel_hi:[1,0]
	v_mov_b32_e32 v115, v119
	v_pk_fma_f32 v[118:119], v[184:185], v[168:169], v[120:121] neg_lo:[0,0,1] neg_hi:[0,0,1]
	v_pk_add_f32 v[108:109], v[108:109], v[112:113]
	v_mov_b32_e32 v119, v111
	v_pk_fma_f32 v[110:111], v[186:187], v[170:171], v[116:117] op_sel_hi:[1,0,1]
	s_wait_loadcnt 0x1
	v_pk_mul_f32 v[112:113], v[188:189], v[172:173] op_sel:[1,1] op_sel_hi:[0,1]
	v_mov_b32_e32 v110, v175
	v_pk_add_f32 v[108:109], v[108:109], v[114:115]
	v_pk_fma_f32 v[116:117], v[186:187], v[170:171], v[116:117] neg_lo:[0,0,1] neg_hi:[0,0,1]
	s_delay_alu instid0(VALU_DEP_4) | instskip(SKIP_1) | instid1(VALU_DEP_4)
	v_pk_fma_f32 v[114:115], v[188:189], v[172:173], v[112:113] op_sel_hi:[1,0,1]
	v_mov_b32_e32 v117, v111
	v_pk_add_f32 v[108:109], v[108:109], v[118:119]
	v_pk_mul_f32 v[110:111], v[252:253], v[110:111] op_sel_hi:[1,0]
	v_pk_fma_f32 v[112:113], v[188:189], v[172:173], v[112:113] neg_lo:[0,0,1] neg_hi:[0,0,1]
	v_mov_b32_e32 v113, v115
	s_delay_alu instid0(VALU_DEP_4) | instskip(NEXT) | instid1(VALU_DEP_4)
	v_pk_add_f32 v[108:109], v[108:109], v[116:117]
	v_pk_fma_f32 v[114:115], v[190:191], v[174:175], v[110:111] op_sel_hi:[1,0,1]
	v_pk_fma_f32 v[110:111], v[190:191], v[174:175], v[110:111] neg_lo:[0,0,1] neg_hi:[0,0,1]
	s_delay_alu instid0(VALU_DEP_3) | instskip(NEXT) | instid1(VALU_DEP_3)
	v_pk_add_f32 v[108:109], v[108:109], v[112:113]
	v_mov_b32_e32 v111, v115
	s_delay_alu instid0(VALU_DEP_1) | instskip(SKIP_1) | instid1(VALU_DEP_1)
	v_pk_add_f32 v[108:109], v[108:109], v[110:111]
	s_wait_loadcnt 0x0
	v_pk_add_f32 v[108:109], v[244:245], v[108:109] neg_lo:[0,1] neg_hi:[0,1]
	scratch_store_b64 off, v[108:109], off offset:144
	s_wait_xcnt 0x0
	v_cmpx_lt_u32_e32 17, v0
	s_cbranch_execz .LBB116_297
; %bb.296:
	scratch_load_b64 v[108:109], off, off offset:136
	v_mov_b64_e32 v[110:111], 0
	scratch_store_b64 off, v[110:111], off offset:136
	s_wait_loadcnt 0x0
	ds_store_b64 v1, v[108:109]
.LBB116_297:
	s_wait_xcnt 0x0
	s_or_b32 exec_lo, exec_lo, s0
	s_wait_storecnt_dscnt 0x0
	s_barrier_signal -1
	s_barrier_wait -1
	s_clause 0x12
	scratch_load_b128 v[108:111], off, off offset:144
	scratch_load_b128 v[112:115], off, off offset:160
	;; [unrolled: 1-line block ×17, first 2 shown]
	scratch_load_b64 v[244:245], off, off offset:416
	scratch_load_b64 v[246:247], off, off offset:136
	v_mov_b32_e32 v7, 0
	ds_load_b128 v[176:179], v7 offset:784
	ds_load_b128 v[180:183], v7 offset:800
	;; [unrolled: 1-line block ×17, first 2 shown]
	ds_load_b64 v[248:249], v7 offset:848
	s_mov_b32 s0, exec_lo
	s_wait_dscnt 0x11
	v_dual_mov_b32 v250, v179 :: v_dual_mov_b32 v251, v178
	s_wait_dscnt 0xf
	v_dual_mov_b32 v252, v183 :: v_dual_mov_b32 v255, v186
	v_dual_mov_b32 v253, v182 :: v_dual_mov_b32 v254, v187
	s_wait_dscnt 0xd
	s_set_vgpr_msb 64                       ;  msbs: dst=1 src0=0 src1=0 src2=0
	v_dual_mov_b32 v0 /*v256*/, v195 :: v_dual_mov_b32 v1 /*v257*/, v194
	s_wait_loadcnt_dscnt 0x120c
	s_set_vgpr_msb 0                        ;  msbs: dst=0 src0=0 src1=0 src2=0
	v_dual_mul_f32 v9, v196, v109 :: v_dual_mul_f32 v59, v197, v109
	v_dual_mul_f32 v61, v199, v111 :: v_dual_mul_f32 v11, v198, v111
	s_wait_loadcnt_dscnt 0x110b
	v_mul_f32_e32 v13, v200, v113
	s_wait_loadcnt_dscnt 0xf09
	v_dual_mul_f32 v71, v209, v121 :: v_dual_fma_f32 v59, v196, v108, -v59
	v_dual_fmac_f32 v9, v197, v108 :: v_dual_mul_f32 v73, v211, v123
	v_dual_mul_f32 v63, v201, v113 :: v_dual_mul_f32 v65, v203, v115
	v_dual_fmac_f32 v11, v199, v110 :: v_dual_fma_f32 v61, v198, v110, -v61
	s_delay_alu instid0(VALU_DEP_3) | instskip(SKIP_4) | instid1(VALU_DEP_3)
	v_dual_add_f32 v9, 0, v9 :: v_dual_add_f32 v59, 0, v59
	v_dual_mul_f32 v15, v202, v115 :: v_dual_mul_f32 v17, v204, v117
	s_wait_loadcnt_dscnt 0xe08
	v_dual_mul_f32 v75, v213, v125 :: v_dual_fma_f32 v63, v200, v112, -v63
	v_fmac_f32_e32 v13, v201, v112
	v_dual_add_f32 v9, v9, v11 :: v_dual_fmac_f32 v15, v203, v114
	v_add_f32_e32 v11, v59, v61
	v_dual_mul_f32 v67, v205, v117 :: v_dual_mul_f32 v69, v207, v119
	v_dual_mul_f32 v59, v215, v127 :: v_dual_fma_f32 v61, v202, v114, -v65
	s_delay_alu instid0(VALU_DEP_3) | instskip(SKIP_3) | instid1(VALU_DEP_3)
	v_dual_add_f32 v9, v9, v13 :: v_dual_add_f32 v11, v11, v63
	v_dual_mul_f32 v19, v206, v119 :: v_dual_mul_f32 v21, v208, v121
	s_wait_loadcnt_dscnt 0xd07
	v_dual_mul_f32 v13, v217, v129 :: v_dual_fma_f32 v63, v204, v116, -v67
	v_dual_fmac_f32 v17, v205, v116 :: v_dual_add_f32 v11, v11, v61
	s_delay_alu instid0(VALU_DEP_3) | instskip(SKIP_1) | instid1(VALU_DEP_2)
	v_dual_add_f32 v9, v9, v15 :: v_dual_fmac_f32 v19, v207, v118
	v_dual_mul_f32 v15, v219, v131 :: v_dual_fma_f32 v61, v206, v118, -v69
	v_dual_add_f32 v11, v11, v63 :: v_dual_add_f32 v9, v9, v17
	v_dual_mul_f32 v23, v210, v123 :: v_dual_mul_f32 v25, v212, v125
	s_wait_loadcnt_dscnt 0xc06
	v_dual_mul_f32 v17, v221, v133 :: v_dual_fma_f32 v63, v208, v120, -v71
	s_delay_alu instid0(VALU_DEP_3) | instskip(NEXT) | instid1(VALU_DEP_3)
	v_dual_fmac_f32 v21, v209, v120 :: v_dual_add_f32 v11, v11, v61
	v_dual_add_f32 v9, v9, v19 :: v_dual_fmac_f32 v23, v211, v122
	v_dual_mul_f32 v19, v223, v135 :: v_dual_fma_f32 v61, v210, v122, -v73
	s_delay_alu instid0(VALU_DEP_2) | instskip(SKIP_3) | instid1(VALU_DEP_3)
	v_dual_add_f32 v11, v11, v63 :: v_dual_add_f32 v9, v9, v21
	v_dual_mul_f32 v27, v214, v127 :: v_dual_mul_f32 v29, v216, v129
	s_wait_loadcnt_dscnt 0xb05
	v_dual_mul_f32 v21, v225, v137 :: v_dual_fma_f32 v63, v212, v124, -v75
	v_dual_fmac_f32 v25, v213, v124 :: v_dual_add_f32 v11, v11, v61
	s_delay_alu instid0(VALU_DEP_3) | instskip(SKIP_1) | instid1(VALU_DEP_2)
	v_dual_add_f32 v9, v9, v23 :: v_dual_fmac_f32 v27, v215, v126
	v_dual_mul_f32 v23, v227, v139 :: v_dual_fma_f32 v59, v214, v126, -v59
	v_dual_add_f32 v11, v11, v63 :: v_dual_add_f32 v9, v9, v25
	v_dual_mul_f32 v31, v218, v131 :: v_dual_mul_f32 v33, v220, v133
	s_wait_loadcnt_dscnt 0xa04
	v_dual_mul_f32 v25, v229, v141 :: v_dual_fma_f32 v13, v216, v128, -v13
	s_delay_alu instid0(VALU_DEP_3) | instskip(NEXT) | instid1(VALU_DEP_3)
	v_dual_fmac_f32 v29, v217, v128 :: v_dual_add_f32 v11, v11, v59
	v_dual_add_f32 v9, v9, v27 :: v_dual_fmac_f32 v31, v219, v130
	v_dual_mul_f32 v27, v231, v143 :: v_dual_fma_f32 v15, v218, v130, -v15
	s_delay_alu instid0(VALU_DEP_3) | instskip(NEXT) | instid1(VALU_DEP_3)
	v_dual_add_f32 v11, v11, v13 :: v_dual_fmac_f32 v33, v221, v132
	v_dual_add_f32 v9, v9, v29 :: v_dual_fma_f32 v17, v220, v132, -v17
	v_dual_mul_f32 v35, v222, v135 :: v_dual_mul_f32 v37, v224, v137
	s_wait_loadcnt_dscnt 0x903
	s_delay_alu instid0(VALU_DEP_3) | instskip(NEXT) | instid1(VALU_DEP_2)
	v_dual_mul_f32 v13, v233, v145 :: v_dual_add_f32 v11, v11, v15
	v_dual_add_f32 v9, v9, v31 :: v_dual_fmac_f32 v35, v223, v134
	v_dual_mul_f32 v15, v235, v147 :: v_dual_fma_f32 v19, v222, v134, -v19
	s_delay_alu instid0(VALU_DEP_3) | instskip(NEXT) | instid1(VALU_DEP_3)
	v_dual_add_f32 v11, v11, v17 :: v_dual_fmac_f32 v37, v225, v136
	v_dual_add_f32 v9, v9, v33 :: v_dual_fma_f32 v21, v224, v136, -v21
	v_dual_mul_f32 v39, v226, v139 :: v_dual_mul_f32 v41, v228, v141
	s_wait_loadcnt_dscnt 0x802
	s_delay_alu instid0(VALU_DEP_3) | instskip(NEXT) | instid1(VALU_DEP_2)
	v_dual_mul_f32 v17, v237, v149 :: v_dual_add_f32 v11, v11, v19
	;; [unrolled: 9-line block ×3, first 2 shown]
	v_dual_add_f32 v9, v9, v39 :: v_dual_fmac_f32 v43, v231, v142
	v_dual_mul_f32 v23, v243, v155 :: v_dual_fma_f32 v27, v230, v142, -v27
	s_delay_alu instid0(VALU_DEP_3) | instskip(NEXT) | instid1(VALU_DEP_3)
	v_dual_add_f32 v11, v11, v25 :: v_dual_fmac_f32 v45, v233, v144
	v_dual_add_f32 v9, v9, v41 :: v_dual_fma_f32 v13, v232, v144, -v13
	v_dual_mul_f32 v47, v234, v147 :: v_dual_mul_f32 v49, v236, v149
	s_wait_loadcnt 0x6
	s_delay_alu instid0(VALU_DEP_3) | instskip(NEXT) | instid1(VALU_DEP_2)
	v_dual_mul_f32 v25, v189, v157 :: v_dual_add_f32 v11, v11, v27
	v_dual_add_f32 v9, v9, v43 :: v_dual_fmac_f32 v47, v235, v146
	v_dual_mul_f32 v27, v191, v159 :: v_dual_fma_f32 v15, v234, v146, -v15
	s_delay_alu instid0(VALU_DEP_3) | instskip(NEXT) | instid1(VALU_DEP_3)
	v_dual_add_f32 v11, v11, v13 :: v_dual_fmac_f32 v49, v237, v148
	v_dual_add_f32 v9, v9, v45 :: v_dual_fma_f32 v17, v236, v148, -v17
	v_dual_mul_f32 v51, v238, v151 :: v_dual_mul_f32 v53, v240, v153
	s_wait_loadcnt 0x5
	s_delay_alu instid0(VALU_DEP_3) | instskip(NEXT) | instid1(VALU_DEP_3)
	v_dual_mul_f32 v13, v177, v161 :: v_dual_add_f32 v11, v11, v15
	v_dual_add_f32 v9, v9, v47 :: v_dual_mov_b32 v108, v163
	s_delay_alu instid0(VALU_DEP_3) | instskip(NEXT) | instid1(VALU_DEP_3)
	v_fmac_f32_e32 v51, v239, v150
	v_dual_fma_f32 v15, v238, v150, -v19 :: v_dual_add_f32 v11, v11, v17
	s_delay_alu instid0(VALU_DEP_3) | instskip(SKIP_1) | instid1(VALU_DEP_3)
	v_dual_add_f32 v9, v9, v49 :: v_dual_mul_f32 v55, v242, v155
	v_dual_mul_f32 v57, v188, v157 :: v_dual_fmac_f32 v53, v241, v152
	v_dual_add_f32 v11, v11, v15 :: v_dual_fma_f32 v17, v240, v152, -v21
	s_wait_loadcnt 0x4
	s_delay_alu instid0(VALU_DEP_3) | instskip(SKIP_3) | instid1(VALU_DEP_4)
	v_dual_add_f32 v9, v9, v51 :: v_dual_mov_b32 v112, v167
	v_fma_f32 v15, v242, v154, -v23
	v_fmac_f32_e32 v55, v243, v154
	v_dual_add_f32 v11, v11, v17 :: v_dual_fmac_f32 v57, v189, v156
	v_add_f32_e32 v9, v9, v53
	s_set_vgpr_msb 64                       ;  msbs: dst=1 src0=0 src1=0 src2=0
	v_dual_mul_f32 v3 /*v259*/, v190, v159 :: v_dual_mul_f32 v5 /*v261*/, v176, v161
	s_set_vgpr_msb 0                        ;  msbs: dst=0 src0=0 src1=0 src2=0
	v_fma_f32 v17, v188, v156, -v25
	v_pk_mul_f32 v[108:109], v[250:251], v[108:109] op_sel_hi:[1,0]
	v_add_f32_e32 v9, v9, v55
	v_add_f32_e32 v11, v11, v15
	s_set_vgpr_msb 64                       ;  msbs: dst=1 src0=0 src1=0 src2=0
	v_dual_fmac_f32 v3 /*v259*/, v191, v158 :: v_dual_fmac_f32 v5 /*v261*/, v177, v160
	v_dual_fma_f32 v2 /*v258*/, v190, v158, -v27 :: v_dual_fma_f32 v4 /*v260*/, v176, v160, -v13
	s_set_vgpr_msb 0                        ;  msbs: dst=0 src0=0 src1=0 src2=0
	v_add_f32_e32 v117, v9, v57
	v_pk_fma_f32 v[120:121], v[178:179], v[162:163], v[108:109] op_sel_hi:[1,0,1]
	v_add_f32_e32 v116, v11, v17
	v_pk_fma_f32 v[108:109], v[178:179], v[162:163], v[108:109] neg_lo:[0,0,1] neg_hi:[0,0,1]
	v_pk_mul_f32 v[110:111], v[180:181], v[164:165] op_sel:[1,1] op_sel_hi:[0,1]
	v_pk_mul_f32 v[112:113], v[252:253], v[112:113] op_sel_hi:[1,0]
	v_mov_b32_e32 v109, v121
	s_set_vgpr_msb 4                        ;  msbs: dst=0 src0=0 src1=1 src2=0
	v_pk_add_f32 v[116:117], v[116:117], v[2:3] /*v[258:259]*/
	s_wait_loadcnt 0x3
	s_set_vgpr_msb 0                        ;  msbs: dst=0 src0=0 src1=0 src2=0
	v_pk_mul_f32 v[114:115], v[184:185], v[168:169] op_sel:[1,1] op_sel_hi:[0,1]
	v_pk_fma_f32 v[122:123], v[180:181], v[164:165], v[110:111] op_sel_hi:[1,0,1]
	v_pk_fma_f32 v[110:111], v[180:181], v[164:165], v[110:111] neg_lo:[0,0,1] neg_hi:[0,0,1]
	v_mov_b32_e32 v118, v171
	s_set_vgpr_msb 4                        ;  msbs: dst=0 src0=0 src1=1 src2=0
	v_pk_add_f32 v[116:117], v[116:117], v[4:5] /*v[260:261]*/
	s_wait_loadcnt 0x2
	s_set_vgpr_msb 0                        ;  msbs: dst=0 src0=0 src1=0 src2=0
	v_pk_mul_f32 v[120:121], v[192:193], v[172:173] op_sel:[1,1] op_sel_hi:[0,1]
	v_mov_b32_e32 v111, v123
	v_pk_fma_f32 v[122:123], v[182:183], v[166:167], v[112:113] op_sel_hi:[1,0,1]
	v_pk_fma_f32 v[112:113], v[182:183], v[166:167], v[112:113] neg_lo:[0,0,1] neg_hi:[0,0,1]
	v_pk_add_f32 v[108:109], v[116:117], v[108:109]
	v_pk_fma_f32 v[116:117], v[184:185], v[168:169], v[114:115] op_sel_hi:[1,0,1]
	v_pk_mul_f32 v[118:119], v[254:255], v[118:119] op_sel_hi:[1,0]
	v_mov_b32_e32 v113, v123
	v_pk_fma_f32 v[114:115], v[184:185], v[168:169], v[114:115] neg_lo:[0,0,1] neg_hi:[0,0,1]
	v_pk_add_f32 v[108:109], v[108:109], v[110:111]
	v_dual_mov_b32 v110, v175 :: v_dual_mov_b32 v115, v117
	v_pk_fma_f32 v[116:117], v[186:187], v[170:171], v[118:119] op_sel_hi:[1,0,1]
	v_pk_fma_f32 v[118:119], v[186:187], v[170:171], v[118:119] neg_lo:[0,0,1] neg_hi:[0,0,1]
	s_delay_alu instid0(VALU_DEP_4)
	v_pk_add_f32 v[108:109], v[108:109], v[112:113]
	v_pk_fma_f32 v[112:113], v[192:193], v[172:173], v[120:121] op_sel_hi:[1,0,1]
	s_set_vgpr_msb 1                        ;  msbs: dst=0 src0=1 src1=0 src2=0
	v_pk_mul_f32 v[110:111], v[0:1] /*v[256:257]*/, v[110:111] op_sel_hi:[1,0]
	s_set_vgpr_msb 0                        ;  msbs: dst=0 src0=0 src1=0 src2=0
	v_mov_b32_e32 v119, v117
	s_wait_loadcnt_dscnt 0x100
	v_pk_mul_f32 v[116:117], v[248:249], v[244:245] op_sel:[1,1] op_sel_hi:[0,1]
	v_pk_add_f32 v[108:109], v[108:109], v[114:115]
	v_pk_fma_f32 v[114:115], v[192:193], v[172:173], v[120:121] neg_lo:[0,0,1] neg_hi:[0,0,1]
	v_mov_b32_e32 v115, v113
	v_pk_fma_f32 v[112:113], v[194:195], v[174:175], v[110:111] op_sel_hi:[1,0,1]
	v_pk_fma_f32 v[110:111], v[194:195], v[174:175], v[110:111] neg_lo:[0,0,1] neg_hi:[0,0,1]
	v_pk_add_f32 v[108:109], v[108:109], v[118:119]
	s_delay_alu instid0(VALU_DEP_3) | instskip(SKIP_1) | instid1(VALU_DEP_3)
	v_mov_b32_e32 v111, v113
	v_pk_fma_f32 v[112:113], v[248:249], v[244:245], v[116:117] op_sel_hi:[1,0,1]
	v_pk_add_f32 v[108:109], v[108:109], v[114:115]
	v_pk_fma_f32 v[114:115], v[248:249], v[244:245], v[116:117] neg_lo:[0,0,1] neg_hi:[0,0,1]
	s_delay_alu instid0(VALU_DEP_3) | instskip(NEXT) | instid1(VALU_DEP_3)
	v_mov_b32_e32 v115, v113
	v_pk_add_f32 v[108:109], v[108:109], v[110:111]
	s_delay_alu instid0(VALU_DEP_1) | instskip(SKIP_1) | instid1(VALU_DEP_1)
	v_pk_add_f32 v[108:109], v[108:109], v[114:115]
	s_wait_loadcnt 0x0
	v_pk_add_f32 v[108:109], v[246:247], v[108:109] neg_lo:[0,1] neg_hi:[0,1]
	scratch_store_b64 off, v[108:109], off offset:136
	s_wait_xcnt 0x0
	v_cmpx_lt_u32_e32 16, v0
	s_cbranch_execz .LBB116_299
; %bb.298:
	scratch_load_b64 v[108:109], off, off offset:128
	v_mov_b64_e32 v[110:111], 0
	scratch_store_b64 off, v[110:111], off offset:128
	s_wait_loadcnt 0x0
	ds_store_b64 v1, v[108:109]
.LBB116_299:
	s_wait_xcnt 0x0
	s_or_b32 exec_lo, exec_lo, s0
	s_wait_storecnt_dscnt 0x0
	s_barrier_signal -1
	s_barrier_wait -1
	s_clause 0x12
	scratch_load_b128 v[108:111], off, off offset:136
	scratch_load_b128 v[112:115], off, off offset:152
	scratch_load_b128 v[116:119], off, off offset:168
	scratch_load_b128 v[120:123], off, off offset:184
	scratch_load_b128 v[124:127], off, off offset:200
	scratch_load_b128 v[128:131], off, off offset:216
	scratch_load_b128 v[132:135], off, off offset:232
	scratch_load_b128 v[136:139], off, off offset:248
	scratch_load_b128 v[140:143], off, off offset:264
	scratch_load_b128 v[144:147], off, off offset:280
	scratch_load_b128 v[148:151], off, off offset:296
	scratch_load_b128 v[152:155], off, off offset:312
	scratch_load_b128 v[156:159], off, off offset:328
	scratch_load_b128 v[160:163], off, off offset:344
	scratch_load_b128 v[164:167], off, off offset:360
	scratch_load_b128 v[168:171], off, off offset:376
	scratch_load_b128 v[172:175], off, off offset:392
	scratch_load_b128 v[176:179], off, off offset:408
	scratch_load_b64 v[252:253], off, off offset:128
	ds_load_2addr_b64 v[180:183], v7 offset0:99 offset1:100
	ds_load_2addr_b64 v[184:187], v7 offset0:101 offset1:102
	;; [unrolled: 1-line block ×18, first 2 shown]
	s_mov_b32 s0, exec_lo
	s_wait_dscnt 0x11
	v_dual_mov_b32 v254, v183 :: v_dual_mov_b32 v255, v182
	s_wait_dscnt 0x10
	s_set_vgpr_msb 64                       ;  msbs: dst=1 src0=0 src1=0 src2=0
	v_dual_mov_b32 v0 /*v256*/, v187 :: v_dual_mov_b32 v1 /*v257*/, v186
	s_wait_dscnt 0xf
	v_dual_mov_b32 v2 /*v258*/, v191 :: v_dual_mov_b32 v3 /*v259*/, v190
	s_wait_dscnt 0xe
	v_dual_mov_b32 v4 /*v260*/, v195 :: v_dual_mov_b32 v5 /*v261*/, v194
	s_wait_loadcnt_dscnt 0x120d
	s_set_vgpr_msb 0                        ;  msbs: dst=0 src0=0 src1=0 src2=0
	v_dual_mul_f32 v7, v196, v109 :: v_dual_mul_f32 v9, v198, v111
	v_dual_mul_f32 v59, v197, v109 :: v_dual_mul_f32 v61, v199, v111
	s_wait_loadcnt_dscnt 0x110c
	v_dual_mul_f32 v11, v200, v113 :: v_dual_mul_f32 v13, v202, v115
	s_delay_alu instid0(VALU_DEP_3) | instskip(SKIP_3) | instid1(VALU_DEP_3)
	v_dual_fmac_f32 v7, v197, v108 :: v_dual_fmac_f32 v9, v199, v110
	s_wait_loadcnt_dscnt 0xf0a
	v_dual_fma_f32 v59, v196, v108, -v59 :: v_dual_mul_f32 v71, v209, v121
	v_dual_mul_f32 v63, v201, v113 :: v_dual_mul_f32 v65, v203, v115
	v_dual_fma_f32 v61, v198, v110, -v61 :: v_dual_add_f32 v7, 0, v7
	s_delay_alu instid0(VALU_DEP_3) | instskip(SKIP_1) | instid1(VALU_DEP_4)
	v_dual_add_f32 v59, 0, v59 :: v_dual_fmac_f32 v11, v201, v112
	v_dual_mul_f32 v15, v204, v117 :: v_dual_mul_f32 v17, v206, v119
	v_dual_mul_f32 v73, v211, v123 :: v_dual_fma_f32 v63, v200, v112, -v63
	s_delay_alu instid0(VALU_DEP_4) | instskip(NEXT) | instid1(VALU_DEP_3)
	v_add_f32_e32 v7, v7, v9
	v_dual_add_f32 v9, v59, v61 :: v_dual_fmac_f32 v15, v205, v116
	v_dual_mul_f32 v67, v205, v117 :: v_dual_mul_f32 v69, v207, v119
	s_wait_loadcnt_dscnt 0xe09
	v_dual_mul_f32 v59, v213, v125 :: v_dual_fmac_f32 v13, v203, v114
	v_dual_fma_f32 v61, v202, v114, -v65 :: v_dual_add_f32 v7, v7, v11
	s_delay_alu instid0(VALU_DEP_3) | instskip(SKIP_1) | instid1(VALU_DEP_3)
	v_dual_add_f32 v9, v9, v63 :: v_dual_fma_f32 v63, v204, v116, -v67
	v_dual_mul_f32 v19, v208, v121 :: v_dual_mul_f32 v21, v210, v123
	v_add_f32_e32 v7, v7, v13
	s_delay_alu instid0(VALU_DEP_3) | instskip(SKIP_2) | instid1(VALU_DEP_3)
	v_dual_mul_f32 v11, v215, v127 :: v_dual_add_f32 v9, v9, v61
	s_wait_loadcnt_dscnt 0xd08
	v_dual_mul_f32 v13, v217, v129 :: v_dual_fmac_f32 v17, v207, v118
	v_dual_fma_f32 v61, v206, v118, -v69 :: v_dual_add_f32 v7, v7, v15
	s_delay_alu instid0(VALU_DEP_3) | instskip(SKIP_1) | instid1(VALU_DEP_3)
	v_dual_add_f32 v9, v9, v63 :: v_dual_fma_f32 v63, v208, v120, -v71
	v_dual_mul_f32 v15, v219, v131 :: v_dual_fmac_f32 v19, v209, v120
	v_add_f32_e32 v7, v7, v17
	s_delay_alu instid0(VALU_DEP_3)
	v_dual_add_f32 v9, v9, v61 :: v_dual_fmac_f32 v21, v211, v122
	v_dual_mul_f32 v23, v212, v125 :: v_dual_mul_f32 v25, v214, v127
	s_wait_loadcnt_dscnt 0xc07
	v_dual_fma_f32 v61, v210, v122, -v73 :: v_dual_mul_f32 v17, v221, v133
	v_add_f32_e32 v7, v7, v19
	v_dual_add_f32 v9, v9, v63 :: v_dual_fma_f32 v59, v212, v124, -v59
	v_dual_mul_f32 v19, v223, v135 :: v_dual_fmac_f32 v23, v213, v124
	s_delay_alu instid0(VALU_DEP_3) | instskip(NEXT) | instid1(VALU_DEP_3)
	v_dual_add_f32 v7, v7, v21 :: v_dual_fma_f32 v11, v214, v126, -v11
	v_dual_add_f32 v9, v9, v61 :: v_dual_fmac_f32 v25, v215, v126
	v_dual_mul_f32 v27, v216, v129 :: v_dual_mul_f32 v29, v218, v131
	s_wait_loadcnt_dscnt 0xb06
	s_delay_alu instid0(VALU_DEP_3) | instskip(NEXT) | instid1(VALU_DEP_3)
	v_dual_mul_f32 v21, v225, v137 :: v_dual_add_f32 v7, v7, v23
	v_dual_add_f32 v9, v9, v59 :: v_dual_fma_f32 v13, v216, v128, -v13
	s_delay_alu instid0(VALU_DEP_3) | instskip(NEXT) | instid1(VALU_DEP_2)
	v_dual_mul_f32 v23, v227, v139 :: v_dual_fmac_f32 v27, v217, v128
	v_dual_add_f32 v7, v7, v25 :: v_dual_add_f32 v9, v9, v11
	v_dual_mul_f32 v31, v220, v133 :: v_dual_mul_f32 v33, v222, v135
	s_wait_loadcnt_dscnt 0xa05
	v_dual_mul_f32 v11, v229, v141 :: v_dual_fmac_f32 v29, v219, v130
	s_delay_alu instid0(VALU_DEP_3) | instskip(SKIP_2) | instid1(VALU_DEP_2)
	v_dual_fma_f32 v15, v218, v130, -v15 :: v_dual_add_f32 v7, v7, v27
	v_dual_add_f32 v9, v9, v13 :: v_dual_mul_f32 v13, v231, v143
	v_dual_fmac_f32 v31, v221, v132 :: v_dual_fma_f32 v17, v220, v132, -v17
	v_dual_add_f32 v7, v7, v29 :: v_dual_add_f32 v9, v9, v15
	v_dual_mul_f32 v35, v224, v137 :: v_dual_mul_f32 v37, v226, v139
	s_wait_loadcnt_dscnt 0x904
	v_dual_mul_f32 v15, v233, v145 :: v_dual_fmac_f32 v33, v223, v134
	s_delay_alu instid0(VALU_DEP_3) | instskip(SKIP_2) | instid1(VALU_DEP_2)
	v_dual_fma_f32 v19, v222, v134, -v19 :: v_dual_add_f32 v7, v7, v31
	v_dual_add_f32 v9, v9, v17 :: v_dual_mul_f32 v17, v235, v147
	v_dual_fmac_f32 v35, v225, v136 :: v_dual_fma_f32 v21, v224, v136, -v21
	v_dual_add_f32 v7, v7, v33 :: v_dual_add_f32 v9, v9, v19
	v_dual_mul_f32 v39, v228, v141 :: v_dual_mul_f32 v41, v230, v143
	s_wait_loadcnt_dscnt 0x803
	v_dual_mul_f32 v19, v237, v149 :: v_dual_fmac_f32 v37, v227, v138
	s_delay_alu instid0(VALU_DEP_3) | instskip(SKIP_2) | instid1(VALU_DEP_3)
	v_dual_fma_f32 v23, v226, v138, -v23 :: v_dual_add_f32 v7, v7, v35
	v_dual_add_f32 v9, v9, v21 :: v_dual_mul_f32 v21, v239, v151
	v_fmac_f32_e32 v39, v229, v140
	v_dual_fma_f32 v11, v228, v140, -v11 :: v_dual_add_f32 v7, v7, v37
	s_delay_alu instid0(VALU_DEP_3)
	v_dual_add_f32 v9, v9, v23 :: v_dual_mul_f32 v43, v232, v145
	s_wait_loadcnt_dscnt 0x702
	v_dual_mul_f32 v45, v234, v147 :: v_dual_mul_f32 v23, v241, v153
	v_fmac_f32_e32 v41, v231, v142
	v_dual_fma_f32 v13, v230, v142, -v13 :: v_dual_add_f32 v7, v7, v39
	v_dual_add_f32 v9, v9, v11 :: v_dual_fma_f32 v15, v232, v144, -v15
	v_dual_mul_f32 v11, v243, v155 :: v_dual_fmac_f32 v43, v233, v144
	s_delay_alu instid0(VALU_DEP_3) | instskip(NEXT) | instid1(VALU_DEP_3)
	v_dual_add_f32 v7, v7, v41 :: v_dual_fma_f32 v17, v234, v146, -v17
	v_dual_add_f32 v9, v9, v13 :: v_dual_fmac_f32 v45, v235, v146
	v_dual_mul_f32 v47, v236, v149 :: v_dual_mul_f32 v49, v238, v151
	s_wait_loadcnt_dscnt 0x601
	s_delay_alu instid0(VALU_DEP_3) | instskip(NEXT) | instid1(VALU_DEP_3)
	v_dual_mul_f32 v13, v245, v157 :: v_dual_add_f32 v7, v7, v43
	v_dual_add_f32 v9, v9, v15 :: v_dual_fma_f32 v19, v236, v148, -v19
	s_delay_alu instid0(VALU_DEP_3) | instskip(NEXT) | instid1(VALU_DEP_3)
	v_dual_mul_f32 v15, v247, v159 :: v_dual_fmac_f32 v47, v237, v148
	v_dual_add_f32 v7, v7, v45 :: v_dual_fma_f32 v21, v238, v150, -v21
	s_delay_alu instid0(VALU_DEP_3) | instskip(SKIP_2) | instid1(VALU_DEP_3)
	v_dual_add_f32 v9, v9, v17 :: v_dual_fmac_f32 v49, v239, v150
	v_dual_mul_f32 v51, v240, v153 :: v_dual_mul_f32 v53, v242, v155
	s_wait_loadcnt_dscnt 0x500
	v_dual_mul_f32 v17, v249, v161 :: v_dual_add_f32 v7, v7, v47
	s_delay_alu instid0(VALU_DEP_3) | instskip(NEXT) | instid1(VALU_DEP_3)
	v_dual_add_f32 v9, v9, v19 :: v_dual_fma_f32 v23, v240, v152, -v23
	v_dual_mul_f32 v19, v251, v163 :: v_dual_fmac_f32 v51, v241, v152
	s_delay_alu instid0(VALU_DEP_3) | instskip(NEXT) | instid1(VALU_DEP_3)
	v_dual_add_f32 v7, v7, v49 :: v_dual_fma_f32 v11, v242, v154, -v11
	v_dual_add_f32 v9, v9, v21 :: v_dual_fmac_f32 v53, v243, v154
	v_dual_mul_f32 v55, v244, v157 :: v_dual_mul_f32 v57, v246, v159
	s_delay_alu instid0(VALU_DEP_3) | instskip(SKIP_1) | instid1(VALU_DEP_3)
	v_add_f32_e32 v7, v7, v51
	s_wait_loadcnt 0x4
	v_dual_add_f32 v9, v9, v23 :: v_dual_mov_b32 v110, v167
	s_delay_alu instid0(VALU_DEP_3) | instskip(NEXT) | instid1(VALU_DEP_2)
	v_dual_fmac_f32 v55, v245, v156 :: v_dual_fma_f32 v13, v244, v156, -v13
	v_dual_add_f32 v7, v7, v53 :: v_dual_add_f32 v9, v9, v11
	v_fmac_f32_e32 v57, v247, v158
	s_set_vgpr_msb 64                       ;  msbs: dst=1 src0=0 src1=0 src2=0
	v_dual_mul_f32 v7 /*v263*/, v248, v161 :: v_dual_mul_f32 v9 /*v265*/, v250, v163
	s_set_vgpr_msb 0                        ;  msbs: dst=0 src0=0 src1=0 src2=0
	v_dual_fma_f32 v11, v246, v158, -v15 :: v_dual_add_f32 v7, v7, v55
	s_wait_loadcnt 0x3
	v_dual_add_f32 v9, v9, v13 :: v_dual_mov_b32 v114, v171
	v_pk_mul_f32 v[108:109], v[180:181], v[164:165] op_sel:[1,1] op_sel_hi:[0,1]
	s_set_vgpr_msb 64                       ;  msbs: dst=1 src0=0 src1=0 src2=0
	v_dual_fmac_f32 v7 /*v263*/, v249, v160 :: v_dual_fmac_f32 v9 /*v265*/, v251, v162
	v_dual_fma_f32 v6 /*v262*/, v248, v160, -v17 :: v_dual_fma_f32 v8 /*v264*/, v250, v162, -v19
	s_set_vgpr_msb 0                        ;  msbs: dst=0 src0=0 src1=0 src2=0
	v_dual_add_f32 v117, v7, v57 :: v_dual_add_f32 v116, v9, v11
	v_pk_fma_f32 v[118:119], v[180:181], v[164:165], v[108:109] op_sel_hi:[1,0,1]
	v_pk_mul_f32 v[110:111], v[254:255], v[110:111] op_sel_hi:[1,0]
	v_pk_fma_f32 v[108:109], v[180:181], v[164:165], v[108:109] neg_lo:[0,0,1] neg_hi:[0,0,1]
	v_pk_mul_f32 v[112:113], v[184:185], v[168:169] op_sel:[1,1] op_sel_hi:[0,1]
	s_set_vgpr_msb 4                        ;  msbs: dst=0 src0=0 src1=1 src2=0
	v_pk_add_f32 v[116:117], v[116:117], v[6:7] /*v[262:263]*/
	v_mov_b32_e32 v109, v119
	s_set_vgpr_msb 0                        ;  msbs: dst=0 src0=0 src1=0 src2=0
	v_pk_fma_f32 v[118:119], v[182:183], v[166:167], v[110:111] op_sel_hi:[1,0,1]
	v_pk_fma_f32 v[110:111], v[182:183], v[166:167], v[110:111] neg_lo:[0,0,1] neg_hi:[0,0,1]
	v_pk_fma_f32 v[122:123], v[184:185], v[168:169], v[112:113] op_sel_hi:[1,0,1]
	s_set_vgpr_msb 4                        ;  msbs: dst=0 src0=0 src1=1 src2=0
	v_pk_add_f32 v[116:117], v[116:117], v[8:9] /*v[264:265]*/
	s_set_vgpr_msb 1                        ;  msbs: dst=0 src0=1 src1=0 src2=0
	v_pk_mul_f32 v[114:115], v[0:1] /*v[256:257]*/, v[114:115] op_sel_hi:[1,0]
	s_set_vgpr_msb 0                        ;  msbs: dst=0 src0=0 src1=0 src2=0
	v_mov_b32_e32 v111, v119
	s_wait_loadcnt 0x2
	v_pk_mul_f32 v[120:121], v[188:189], v[172:173] op_sel:[1,1] op_sel_hi:[0,1]
	v_pk_fma_f32 v[112:113], v[184:185], v[168:169], v[112:113] neg_lo:[0,0,1] neg_hi:[0,0,1]
	v_pk_add_f32 v[108:109], v[116:117], v[108:109]
	v_dual_mov_b32 v116, v175 :: v_dual_mov_b32 v113, v123
	v_pk_fma_f32 v[118:119], v[186:187], v[170:171], v[114:115] op_sel_hi:[1,0,1]
	v_pk_fma_f32 v[114:115], v[186:187], v[170:171], v[114:115] neg_lo:[0,0,1] neg_hi:[0,0,1]
	s_delay_alu instid0(VALU_DEP_4)
	v_pk_add_f32 v[108:109], v[108:109], v[110:111]
	v_pk_fma_f32 v[110:111], v[188:189], v[172:173], v[120:121] op_sel_hi:[1,0,1]
	s_set_vgpr_msb 1                        ;  msbs: dst=0 src0=1 src1=0 src2=0
	v_pk_mul_f32 v[116:117], v[2:3] /*v[258:259]*/, v[116:117] op_sel_hi:[1,0]
	s_set_vgpr_msb 0                        ;  msbs: dst=0 src0=0 src1=0 src2=0
	v_mov_b32_e32 v115, v119
	v_pk_fma_f32 v[118:119], v[188:189], v[172:173], v[120:121] neg_lo:[0,0,1] neg_hi:[0,0,1]
	v_pk_add_f32 v[108:109], v[108:109], v[112:113]
	v_mov_b32_e32 v119, v111
	v_pk_fma_f32 v[110:111], v[190:191], v[174:175], v[116:117] op_sel_hi:[1,0,1]
	s_wait_loadcnt 0x1
	v_pk_mul_f32 v[112:113], v[192:193], v[176:177] op_sel:[1,1] op_sel_hi:[0,1]
	v_mov_b32_e32 v110, v179
	v_pk_add_f32 v[108:109], v[108:109], v[114:115]
	v_pk_fma_f32 v[116:117], v[190:191], v[174:175], v[116:117] neg_lo:[0,0,1] neg_hi:[0,0,1]
	v_mov_b32_e32 v117, v111
	v_pk_fma_f32 v[114:115], v[192:193], v[176:177], v[112:113] op_sel_hi:[1,0,1]
	s_set_vgpr_msb 1                        ;  msbs: dst=0 src0=1 src1=0 src2=0
	v_pk_mul_f32 v[110:111], v[4:5] /*v[260:261]*/, v[110:111] op_sel_hi:[1,0]
	s_set_vgpr_msb 0                        ;  msbs: dst=0 src0=0 src1=0 src2=0
	v_pk_add_f32 v[108:109], v[108:109], v[118:119]
	v_pk_fma_f32 v[112:113], v[192:193], v[176:177], v[112:113] neg_lo:[0,0,1] neg_hi:[0,0,1]
	v_mov_b32_e32 v113, v115
	v_pk_fma_f32 v[114:115], v[194:195], v[178:179], v[110:111] op_sel_hi:[1,0,1]
	s_delay_alu instid0(VALU_DEP_4) | instskip(SKIP_1) | instid1(VALU_DEP_3)
	v_pk_add_f32 v[108:109], v[108:109], v[116:117]
	v_pk_fma_f32 v[110:111], v[194:195], v[178:179], v[110:111] neg_lo:[0,0,1] neg_hi:[0,0,1]
	v_mov_b32_e32 v111, v115
	s_delay_alu instid0(VALU_DEP_3) | instskip(NEXT) | instid1(VALU_DEP_1)
	v_pk_add_f32 v[108:109], v[108:109], v[112:113]
	v_pk_add_f32 v[108:109], v[108:109], v[110:111]
	s_wait_loadcnt 0x0
	s_delay_alu instid0(VALU_DEP_1)
	v_pk_add_f32 v[108:109], v[252:253], v[108:109] neg_lo:[0,1] neg_hi:[0,1]
	scratch_store_b64 off, v[108:109], off offset:128
	s_wait_xcnt 0x0
	v_cmpx_lt_u32_e32 15, v0
	s_cbranch_execz .LBB116_301
; %bb.300:
	scratch_load_b64 v[108:109], off, off offset:120
	v_mov_b64_e32 v[110:111], 0
	scratch_store_b64 off, v[110:111], off offset:120
	s_wait_loadcnt 0x0
	ds_store_b64 v1, v[108:109]
.LBB116_301:
	s_wait_xcnt 0x0
	s_or_b32 exec_lo, exec_lo, s0
	s_wait_storecnt_dscnt 0x0
	s_barrier_signal -1
	s_barrier_wait -1
	s_clause 0x13
	scratch_load_b128 v[108:111], off, off offset:128
	scratch_load_b128 v[112:115], off, off offset:144
	;; [unrolled: 1-line block ×18, first 2 shown]
	scratch_load_b64 v[252:253], off, off offset:416
	scratch_load_b64 v[254:255], off, off offset:120
	v_mov_b32_e32 v7, 0
	ds_load_b128 v[180:183], v7 offset:784
	ds_load_b128 v[184:187], v7 offset:800
	;; [unrolled: 1-line block ×18, first 2 shown]
	s_set_vgpr_msb 64                       ;  msbs: dst=1 src0=0 src1=0 src2=0
	ds_load_b64 v[0:1] /*v[256:257]*/, v7 offset:848
	s_mov_b32 s0, exec_lo
	s_wait_dscnt 0x12
	v_dual_mov_b32 v2 /*v258*/, v183 :: v_dual_mov_b32 v3 /*v259*/, v182
	s_wait_dscnt 0x11
	v_dual_mov_b32 v4 /*v260*/, v187 :: v_dual_mov_b32 v5 /*v261*/, v186
	;; [unrolled: 2-line block ×4, first 2 shown]
	s_wait_loadcnt 0x13
	s_set_vgpr_msb 0                        ;  msbs: dst=0 src0=0 src1=0 src2=0
	v_dual_mul_f32 v9, v192, v109 :: v_dual_mul_f32 v63, v193, v109
	v_dual_mul_f32 v65, v195, v111 :: v_dual_mul_f32 v11, v194, v111
	s_wait_loadcnt 0x12
	v_mul_f32_e32 v13, v196, v113
	s_wait_loadcnt_dscnt 0x100b
	v_dual_mul_f32 v75, v209, v121 :: v_dual_fma_f32 v63, v192, v108, -v63
	v_dual_fmac_f32 v9, v193, v108 :: v_dual_mul_f32 v77, v211, v123
	v_dual_mul_f32 v67, v197, v113 :: v_dual_mul_f32 v69, v199, v115
	v_dual_fmac_f32 v11, v195, v110 :: v_dual_fma_f32 v65, v194, v110, -v65
	s_delay_alu instid0(VALU_DEP_3) | instskip(SKIP_4) | instid1(VALU_DEP_3)
	v_dual_add_f32 v9, 0, v9 :: v_dual_add_f32 v63, 0, v63
	v_dual_mul_f32 v15, v198, v115 :: v_dual_mul_f32 v17, v204, v117
	s_wait_loadcnt_dscnt 0xf0a
	v_dual_mul_f32 v79, v213, v125 :: v_dual_fma_f32 v67, v196, v112, -v67
	v_fmac_f32_e32 v13, v197, v112
	v_dual_add_f32 v9, v9, v11 :: v_dual_fmac_f32 v15, v199, v114
	v_add_f32_e32 v11, v63, v65
	v_dual_mul_f32 v71, v205, v117 :: v_dual_mul_f32 v73, v207, v119
	v_dual_mul_f32 v63, v215, v127 :: v_dual_fma_f32 v65, v198, v114, -v69
	s_delay_alu instid0(VALU_DEP_3) | instskip(SKIP_3) | instid1(VALU_DEP_3)
	v_dual_add_f32 v9, v9, v13 :: v_dual_add_f32 v11, v11, v67
	v_dual_mul_f32 v19, v206, v119 :: v_dual_mul_f32 v21, v208, v121
	s_wait_loadcnt_dscnt 0xe09
	v_dual_mul_f32 v13, v217, v129 :: v_dual_fma_f32 v67, v204, v116, -v71
	v_dual_fmac_f32 v17, v205, v116 :: v_dual_add_f32 v11, v11, v65
	s_delay_alu instid0(VALU_DEP_3) | instskip(SKIP_1) | instid1(VALU_DEP_2)
	v_dual_add_f32 v9, v9, v15 :: v_dual_fmac_f32 v19, v207, v118
	v_dual_mul_f32 v15, v219, v131 :: v_dual_fma_f32 v65, v206, v118, -v73
	v_dual_add_f32 v11, v11, v67 :: v_dual_add_f32 v9, v9, v17
	v_dual_mul_f32 v23, v210, v123 :: v_dual_mul_f32 v25, v212, v125
	s_wait_loadcnt_dscnt 0xd08
	v_dual_mul_f32 v17, v221, v133 :: v_dual_fma_f32 v67, v208, v120, -v75
	s_delay_alu instid0(VALU_DEP_3) | instskip(NEXT) | instid1(VALU_DEP_3)
	v_dual_fmac_f32 v21, v209, v120 :: v_dual_add_f32 v11, v11, v65
	v_dual_add_f32 v9, v9, v19 :: v_dual_fmac_f32 v23, v211, v122
	v_dual_mul_f32 v19, v223, v135 :: v_dual_fma_f32 v65, v210, v122, -v77
	s_delay_alu instid0(VALU_DEP_2) | instskip(SKIP_3) | instid1(VALU_DEP_3)
	v_dual_add_f32 v11, v11, v67 :: v_dual_add_f32 v9, v9, v21
	v_dual_mul_f32 v27, v214, v127 :: v_dual_mul_f32 v29, v216, v129
	s_wait_loadcnt_dscnt 0xc07
	v_dual_mul_f32 v21, v225, v137 :: v_dual_fma_f32 v67, v212, v124, -v79
	v_dual_fmac_f32 v25, v213, v124 :: v_dual_add_f32 v11, v11, v65
	s_delay_alu instid0(VALU_DEP_3) | instskip(SKIP_1) | instid1(VALU_DEP_2)
	v_dual_add_f32 v9, v9, v23 :: v_dual_fmac_f32 v27, v215, v126
	v_dual_mul_f32 v23, v227, v139 :: v_dual_fma_f32 v63, v214, v126, -v63
	v_dual_add_f32 v11, v11, v67 :: v_dual_add_f32 v9, v9, v25
	v_dual_mul_f32 v31, v218, v131 :: v_dual_mul_f32 v33, v220, v133
	s_wait_loadcnt_dscnt 0xb06
	v_dual_mul_f32 v25, v229, v141 :: v_dual_fma_f32 v13, v216, v128, -v13
	s_delay_alu instid0(VALU_DEP_3) | instskip(NEXT) | instid1(VALU_DEP_3)
	v_dual_fmac_f32 v29, v217, v128 :: v_dual_add_f32 v11, v11, v63
	v_dual_add_f32 v9, v9, v27 :: v_dual_fmac_f32 v31, v219, v130
	v_dual_mul_f32 v27, v231, v143 :: v_dual_fma_f32 v15, v218, v130, -v15
	s_delay_alu instid0(VALU_DEP_3) | instskip(NEXT) | instid1(VALU_DEP_3)
	v_dual_add_f32 v11, v11, v13 :: v_dual_fmac_f32 v33, v221, v132
	v_dual_add_f32 v9, v9, v29 :: v_dual_fma_f32 v17, v220, v132, -v17
	v_dual_mul_f32 v35, v222, v135 :: v_dual_mul_f32 v37, v224, v137
	s_wait_loadcnt_dscnt 0xa05
	s_delay_alu instid0(VALU_DEP_3) | instskip(NEXT) | instid1(VALU_DEP_2)
	v_dual_mul_f32 v13, v233, v145 :: v_dual_add_f32 v11, v11, v15
	v_dual_add_f32 v9, v9, v31 :: v_dual_fmac_f32 v35, v223, v134
	v_dual_mul_f32 v15, v235, v147 :: v_dual_fma_f32 v19, v222, v134, -v19
	s_delay_alu instid0(VALU_DEP_3) | instskip(NEXT) | instid1(VALU_DEP_3)
	v_dual_add_f32 v11, v11, v17 :: v_dual_fmac_f32 v37, v225, v136
	v_dual_add_f32 v9, v9, v33 :: v_dual_fma_f32 v21, v224, v136, -v21
	v_dual_mul_f32 v39, v226, v139 :: v_dual_mul_f32 v41, v228, v141
	s_wait_loadcnt_dscnt 0x904
	s_delay_alu instid0(VALU_DEP_3) | instskip(NEXT) | instid1(VALU_DEP_2)
	v_dual_mul_f32 v17, v237, v149 :: v_dual_add_f32 v11, v11, v19
	;; [unrolled: 9-line block ×5, first 2 shown]
	v_dual_add_f32 v9, v9, v47 :: v_dual_fmac_f32 v51, v239, v150
	v_dual_mul_f32 v15, v251, v163 :: v_dual_fma_f32 v19, v238, v150, -v19
	s_delay_alu instid0(VALU_DEP_3) | instskip(NEXT) | instid1(VALU_DEP_3)
	v_dual_add_f32 v11, v11, v17 :: v_dual_fmac_f32 v53, v241, v152
	v_dual_add_f32 v9, v9, v49 :: v_dual_fma_f32 v21, v240, v152, -v21
	v_dual_mul_f32 v55, v242, v155 :: v_dual_mul_f32 v57, v244, v157
	s_wait_loadcnt 0x5
	s_delay_alu instid0(VALU_DEP_3) | instskip(NEXT) | instid1(VALU_DEP_3)
	v_dual_mul_f32 v17, v181, v165 :: v_dual_add_f32 v11, v11, v19
	v_dual_add_f32 v9, v9, v51 :: v_dual_mov_b32 v108, v167
	s_delay_alu instid0(VALU_DEP_3) | instskip(NEXT) | instid1(VALU_DEP_3)
	v_fmac_f32_e32 v55, v243, v154
	v_dual_fma_f32 v19, v242, v154, -v23 :: v_dual_add_f32 v11, v11, v21
	s_delay_alu instid0(VALU_DEP_3) | instskip(SKIP_1) | instid1(VALU_DEP_3)
	v_dual_add_f32 v9, v9, v53 :: v_dual_mul_f32 v59, v246, v159
	v_dual_mul_f32 v61, v248, v161 :: v_dual_fmac_f32 v57, v245, v156
	v_dual_add_f32 v11, v11, v19 :: v_dual_fma_f32 v21, v244, v156, -v25
	s_wait_loadcnt 0x4
	s_delay_alu instid0(VALU_DEP_3) | instskip(SKIP_3) | instid1(VALU_DEP_4)
	v_dual_add_f32 v9, v9, v55 :: v_dual_mov_b32 v112, v171
	v_fma_f32 v19, v246, v158, -v27
	v_fmac_f32_e32 v59, v247, v158
	v_dual_add_f32 v11, v11, v21 :: v_dual_fmac_f32 v61, v249, v160
	v_add_f32_e32 v9, v9, v57
	s_set_vgpr_msb 64                       ;  msbs: dst=1 src0=0 src1=0 src2=0
	v_dual_mul_f32 v11 /*v267*/, v250, v163 :: v_dual_mul_f32 v13 /*v269*/, v180, v165
	s_set_vgpr_msb 0                        ;  msbs: dst=0 src0=0 src1=0 src2=0
	v_fma_f32 v13, v248, v160, -v13
	s_set_vgpr_msb 1                        ;  msbs: dst=0 src0=1 src1=0 src2=0
	v_pk_mul_f32 v[108:109], v[2:3] /*v[258:259]*/, v[108:109] op_sel_hi:[1,0]
	s_set_vgpr_msb 0                        ;  msbs: dst=0 src0=0 src1=0 src2=0
	v_add_f32_e32 v9, v9, v59
	v_add_f32_e32 v11, v11, v19
	s_set_vgpr_msb 64                       ;  msbs: dst=1 src0=0 src1=0 src2=0
	v_dual_fmac_f32 v11 /*v267*/, v251, v162 :: v_dual_fmac_f32 v13 /*v269*/, v181, v164
	v_dual_fma_f32 v10 /*v266*/, v250, v162, -v15 :: v_dual_fma_f32 v12 /*v268*/, v180, v164, -v17
	s_set_vgpr_msb 0                        ;  msbs: dst=0 src0=0 src1=0 src2=0
	v_add_f32_e32 v117, v9, v61
	v_pk_fma_f32 v[120:121], v[182:183], v[166:167], v[108:109] op_sel_hi:[1,0,1]
	v_add_f32_e32 v116, v11, v13
	v_pk_fma_f32 v[108:109], v[182:183], v[166:167], v[108:109] neg_lo:[0,0,1] neg_hi:[0,0,1]
	v_pk_mul_f32 v[110:111], v[184:185], v[168:169] op_sel:[1,1] op_sel_hi:[0,1]
	s_set_vgpr_msb 1                        ;  msbs: dst=0 src0=1 src1=0 src2=0
	v_pk_mul_f32 v[112:113], v[4:5] /*v[260:261]*/, v[112:113] op_sel_hi:[1,0]
	s_set_vgpr_msb 4                        ;  msbs: dst=0 src0=0 src1=1 src2=0
	v_mov_b32_e32 v109, v121
	v_pk_add_f32 v[116:117], v[116:117], v[10:11] /*v[266:267]*/
	s_wait_loadcnt 0x3
	s_set_vgpr_msb 0                        ;  msbs: dst=0 src0=0 src1=0 src2=0
	v_pk_mul_f32 v[114:115], v[188:189], v[172:173] op_sel:[1,1] op_sel_hi:[0,1]
	v_pk_fma_f32 v[122:123], v[184:185], v[168:169], v[110:111] op_sel_hi:[1,0,1]
	v_pk_fma_f32 v[110:111], v[184:185], v[168:169], v[110:111] neg_lo:[0,0,1] neg_hi:[0,0,1]
	v_mov_b32_e32 v118, v175
	s_set_vgpr_msb 4                        ;  msbs: dst=0 src0=0 src1=1 src2=0
	v_pk_add_f32 v[116:117], v[116:117], v[12:13] /*v[268:269]*/
	s_wait_loadcnt 0x2
	s_set_vgpr_msb 0                        ;  msbs: dst=0 src0=0 src1=0 src2=0
	v_pk_mul_f32 v[120:121], v[200:201], v[176:177] op_sel:[1,1] op_sel_hi:[0,1]
	v_mov_b32_e32 v111, v123
	v_pk_fma_f32 v[122:123], v[186:187], v[170:171], v[112:113] op_sel_hi:[1,0,1]
	v_pk_fma_f32 v[112:113], v[186:187], v[170:171], v[112:113] neg_lo:[0,0,1] neg_hi:[0,0,1]
	v_pk_add_f32 v[108:109], v[116:117], v[108:109]
	v_pk_fma_f32 v[116:117], v[188:189], v[172:173], v[114:115] op_sel_hi:[1,0,1]
	s_set_vgpr_msb 1                        ;  msbs: dst=0 src0=1 src1=0 src2=0
	v_pk_mul_f32 v[118:119], v[6:7] /*v[262:263]*/, v[118:119] op_sel_hi:[1,0]
	s_set_vgpr_msb 0                        ;  msbs: dst=0 src0=0 src1=0 src2=0
	v_mov_b32_e32 v113, v123
	v_pk_fma_f32 v[114:115], v[188:189], v[172:173], v[114:115] neg_lo:[0,0,1] neg_hi:[0,0,1]
	v_pk_add_f32 v[108:109], v[108:109], v[110:111]
	v_dual_mov_b32 v110, v179 :: v_dual_mov_b32 v115, v117
	v_pk_fma_f32 v[116:117], v[190:191], v[174:175], v[118:119] op_sel_hi:[1,0,1]
	v_pk_fma_f32 v[118:119], v[190:191], v[174:175], v[118:119] neg_lo:[0,0,1] neg_hi:[0,0,1]
	s_delay_alu instid0(VALU_DEP_4)
	v_pk_add_f32 v[108:109], v[108:109], v[112:113]
	v_pk_fma_f32 v[112:113], v[200:201], v[176:177], v[120:121] op_sel_hi:[1,0,1]
	s_set_vgpr_msb 1                        ;  msbs: dst=0 src0=1 src1=0 src2=0
	v_pk_mul_f32 v[110:111], v[8:9] /*v[264:265]*/, v[110:111] op_sel_hi:[1,0]
	s_set_vgpr_msb 0                        ;  msbs: dst=0 src0=0 src1=0 src2=0
	v_mov_b32_e32 v119, v117
	s_wait_loadcnt_dscnt 0x100
	s_set_vgpr_msb 1                        ;  msbs: dst=0 src0=1 src1=0 src2=0
	v_pk_mul_f32 v[116:117], v[0:1] /*v[256:257]*/, v[252:253] op_sel:[1,1] op_sel_hi:[0,1]
	s_set_vgpr_msb 0                        ;  msbs: dst=0 src0=0 src1=0 src2=0
	v_pk_add_f32 v[108:109], v[108:109], v[114:115]
	v_pk_fma_f32 v[114:115], v[200:201], v[176:177], v[120:121] neg_lo:[0,0,1] neg_hi:[0,0,1]
	v_mov_b32_e32 v115, v113
	v_pk_fma_f32 v[112:113], v[202:203], v[178:179], v[110:111] op_sel_hi:[1,0,1]
	v_pk_fma_f32 v[110:111], v[202:203], v[178:179], v[110:111] neg_lo:[0,0,1] neg_hi:[0,0,1]
	v_pk_add_f32 v[108:109], v[108:109], v[118:119]
	s_delay_alu instid0(VALU_DEP_3)
	v_mov_b32_e32 v111, v113
	s_set_vgpr_msb 1                        ;  msbs: dst=0 src0=1 src1=0 src2=0
	v_pk_fma_f32 v[112:113], v[0:1] /*v[256:257]*/, v[252:253], v[116:117] op_sel_hi:[1,0,1]
	s_set_vgpr_msb 0                        ;  msbs: dst=0 src0=0 src1=0 src2=0
	v_pk_add_f32 v[108:109], v[108:109], v[114:115]
	s_set_vgpr_msb 1                        ;  msbs: dst=0 src0=1 src1=0 src2=0
	v_pk_fma_f32 v[114:115], v[0:1] /*v[256:257]*/, v[252:253], v[116:117] neg_lo:[0,0,1] neg_hi:[0,0,1]
	s_set_vgpr_msb 0                        ;  msbs: dst=0 src0=0 src1=0 src2=0
	v_mov_b32_e32 v115, v113
	v_pk_add_f32 v[108:109], v[108:109], v[110:111]
	s_delay_alu instid0(VALU_DEP_1) | instskip(SKIP_1) | instid1(VALU_DEP_1)
	v_pk_add_f32 v[108:109], v[108:109], v[114:115]
	s_wait_loadcnt 0x0
	v_pk_add_f32 v[108:109], v[254:255], v[108:109] neg_lo:[0,1] neg_hi:[0,1]
	scratch_store_b64 off, v[108:109], off offset:120
	s_wait_xcnt 0x0
	v_cmpx_lt_u32_e32 14, v0
	s_cbranch_execz .LBB116_303
; %bb.302:
	scratch_load_b64 v[108:109], off, off offset:112
	v_mov_b64_e32 v[110:111], 0
	scratch_store_b64 off, v[110:111], off offset:112
	s_wait_loadcnt 0x0
	ds_store_b64 v1, v[108:109]
.LBB116_303:
	s_wait_xcnt 0x0
	s_or_b32 exec_lo, exec_lo, s0
	s_wait_storecnt_dscnt 0x0
	s_barrier_signal -1
	s_barrier_wait -1
	s_clause 0x14
	scratch_load_b128 v[108:111], off, off offset:120
	scratch_load_b128 v[112:115], off, off offset:136
	;; [unrolled: 1-line block ×19, first 2 shown]
	s_set_vgpr_msb 64                       ;  msbs: dst=1 src0=0 src1=0 src2=0
	scratch_load_b64 v[4:5] /*v[260:261]*/, off, off offset:112
	s_set_vgpr_msb 0                        ;  msbs: dst=0 src0=0 src1=0 src2=0
	ds_load_2addr_b64 v[184:187], v7 offset0:99 offset1:100
	ds_load_2addr_b64 v[188:191], v7 offset0:101 offset1:102
	;; [unrolled: 1-line block ×18, first 2 shown]
	s_set_vgpr_msb 64                       ;  msbs: dst=1 src0=0 src1=0 src2=0
	ds_load_2addr_b64 v[0:3] /*v[256:259]*/, v7 offset0:95 offset1:96
	s_mov_b32 s0, exec_lo
	s_wait_dscnt 0x12
	v_dual_mov_b32 v6 /*v262*/, v187 :: v_dual_mov_b32 v7 /*v263*/, v186
	s_wait_dscnt 0x11
	v_dual_mov_b32 v8 /*v264*/, v191 :: v_dual_mov_b32 v9 /*v265*/, v190
	;; [unrolled: 2-line block ×4, first 2 shown]
	s_wait_loadcnt_dscnt 0x130d
	s_set_vgpr_msb 0                        ;  msbs: dst=0 src0=0 src1=0 src2=0
	v_dual_mul_f32 v7, v204, v109 :: v_dual_mul_f32 v9, v206, v111
	v_dual_mul_f32 v63, v205, v109 :: v_dual_mul_f32 v65, v207, v111
	s_wait_loadcnt_dscnt 0x120c
	v_dual_mul_f32 v11, v208, v113 :: v_dual_mul_f32 v13, v210, v115
	s_delay_alu instid0(VALU_DEP_3) | instskip(SKIP_3) | instid1(VALU_DEP_3)
	v_dual_fmac_f32 v7, v205, v108 :: v_dual_fmac_f32 v9, v207, v110
	s_wait_loadcnt_dscnt 0x100a
	v_dual_fma_f32 v63, v204, v108, -v63 :: v_dual_mul_f32 v75, v217, v121
	v_dual_mul_f32 v67, v209, v113 :: v_dual_mul_f32 v69, v211, v115
	v_dual_fma_f32 v65, v206, v110, -v65 :: v_dual_add_f32 v7, 0, v7
	s_delay_alu instid0(VALU_DEP_3) | instskip(SKIP_1) | instid1(VALU_DEP_4)
	v_dual_add_f32 v63, 0, v63 :: v_dual_fmac_f32 v11, v209, v112
	v_dual_mul_f32 v15, v212, v117 :: v_dual_mul_f32 v17, v214, v119
	v_dual_mul_f32 v77, v219, v123 :: v_dual_fma_f32 v67, v208, v112, -v67
	s_delay_alu instid0(VALU_DEP_4) | instskip(NEXT) | instid1(VALU_DEP_3)
	v_add_f32_e32 v7, v7, v9
	v_dual_add_f32 v9, v63, v65 :: v_dual_fmac_f32 v15, v213, v116
	v_dual_mul_f32 v71, v213, v117 :: v_dual_mul_f32 v73, v215, v119
	s_wait_loadcnt_dscnt 0xf09
	v_dual_mul_f32 v63, v221, v125 :: v_dual_fmac_f32 v13, v211, v114
	v_dual_fma_f32 v65, v210, v114, -v69 :: v_dual_add_f32 v7, v7, v11
	s_delay_alu instid0(VALU_DEP_3) | instskip(SKIP_1) | instid1(VALU_DEP_3)
	v_dual_add_f32 v9, v9, v67 :: v_dual_fma_f32 v67, v212, v116, -v71
	v_dual_mul_f32 v19, v216, v121 :: v_dual_mul_f32 v21, v218, v123
	v_add_f32_e32 v7, v7, v13
	s_delay_alu instid0(VALU_DEP_3) | instskip(SKIP_2) | instid1(VALU_DEP_3)
	v_dual_mul_f32 v11, v223, v127 :: v_dual_add_f32 v9, v9, v65
	s_wait_loadcnt_dscnt 0xe08
	v_dual_mul_f32 v13, v225, v129 :: v_dual_fmac_f32 v17, v215, v118
	v_dual_fma_f32 v65, v214, v118, -v73 :: v_dual_add_f32 v7, v7, v15
	s_delay_alu instid0(VALU_DEP_3) | instskip(SKIP_1) | instid1(VALU_DEP_3)
	v_dual_add_f32 v9, v9, v67 :: v_dual_fma_f32 v67, v216, v120, -v75
	v_dual_mul_f32 v15, v227, v131 :: v_dual_fmac_f32 v19, v217, v120
	v_add_f32_e32 v7, v7, v17
	s_delay_alu instid0(VALU_DEP_3)
	v_dual_add_f32 v9, v9, v65 :: v_dual_fmac_f32 v21, v219, v122
	v_dual_mul_f32 v23, v220, v125 :: v_dual_mul_f32 v25, v222, v127
	s_wait_loadcnt_dscnt 0xd07
	v_dual_fma_f32 v65, v218, v122, -v77 :: v_dual_mul_f32 v17, v229, v133
	v_add_f32_e32 v7, v7, v19
	v_dual_add_f32 v9, v9, v67 :: v_dual_fma_f32 v63, v220, v124, -v63
	v_dual_mul_f32 v19, v231, v135 :: v_dual_fmac_f32 v23, v221, v124
	s_delay_alu instid0(VALU_DEP_3) | instskip(NEXT) | instid1(VALU_DEP_3)
	v_dual_add_f32 v7, v7, v21 :: v_dual_fma_f32 v11, v222, v126, -v11
	v_dual_add_f32 v9, v9, v65 :: v_dual_fmac_f32 v25, v223, v126
	v_dual_mul_f32 v27, v224, v129 :: v_dual_mul_f32 v29, v226, v131
	s_wait_loadcnt_dscnt 0xc06
	s_delay_alu instid0(VALU_DEP_3) | instskip(NEXT) | instid1(VALU_DEP_3)
	v_dual_mul_f32 v21, v233, v137 :: v_dual_add_f32 v7, v7, v23
	v_dual_add_f32 v9, v9, v63 :: v_dual_fma_f32 v13, v224, v128, -v13
	s_delay_alu instid0(VALU_DEP_3) | instskip(NEXT) | instid1(VALU_DEP_2)
	v_dual_mul_f32 v23, v235, v139 :: v_dual_fmac_f32 v27, v225, v128
	v_dual_add_f32 v7, v7, v25 :: v_dual_add_f32 v9, v9, v11
	v_dual_mul_f32 v31, v228, v133 :: v_dual_mul_f32 v33, v230, v135
	s_wait_loadcnt_dscnt 0xb05
	v_dual_mul_f32 v11, v237, v141 :: v_dual_fmac_f32 v29, v227, v130
	s_delay_alu instid0(VALU_DEP_3) | instskip(SKIP_2) | instid1(VALU_DEP_2)
	v_dual_fma_f32 v15, v226, v130, -v15 :: v_dual_add_f32 v7, v7, v27
	v_dual_add_f32 v9, v9, v13 :: v_dual_mul_f32 v13, v239, v143
	v_dual_fmac_f32 v31, v229, v132 :: v_dual_fma_f32 v17, v228, v132, -v17
	v_dual_add_f32 v7, v7, v29 :: v_dual_add_f32 v9, v9, v15
	v_dual_mul_f32 v35, v232, v137 :: v_dual_mul_f32 v37, v234, v139
	s_wait_loadcnt_dscnt 0xa04
	v_dual_mul_f32 v15, v241, v145 :: v_dual_fmac_f32 v33, v231, v134
	s_delay_alu instid0(VALU_DEP_3) | instskip(SKIP_2) | instid1(VALU_DEP_2)
	v_dual_fma_f32 v19, v230, v134, -v19 :: v_dual_add_f32 v7, v7, v31
	v_dual_add_f32 v9, v9, v17 :: v_dual_mul_f32 v17, v243, v147
	v_dual_fmac_f32 v35, v233, v136 :: v_dual_fma_f32 v21, v232, v136, -v21
	v_dual_add_f32 v7, v7, v33 :: v_dual_add_f32 v9, v9, v19
	v_dual_mul_f32 v39, v236, v141 :: v_dual_mul_f32 v41, v238, v143
	s_wait_loadcnt_dscnt 0x903
	v_dual_mul_f32 v19, v245, v149 :: v_dual_fmac_f32 v37, v235, v138
	s_delay_alu instid0(VALU_DEP_3) | instskip(SKIP_2) | instid1(VALU_DEP_3)
	v_dual_fma_f32 v23, v234, v138, -v23 :: v_dual_add_f32 v7, v7, v35
	v_dual_add_f32 v9, v9, v21 :: v_dual_mul_f32 v21, v247, v151
	v_fmac_f32_e32 v39, v237, v140
	v_dual_fma_f32 v11, v236, v140, -v11 :: v_dual_add_f32 v7, v7, v37
	s_delay_alu instid0(VALU_DEP_3)
	v_dual_add_f32 v9, v9, v23 :: v_dual_mul_f32 v43, v240, v145
	s_wait_loadcnt_dscnt 0x802
	v_dual_mul_f32 v45, v242, v147 :: v_dual_mul_f32 v23, v249, v153
	v_fmac_f32_e32 v41, v239, v142
	v_dual_fma_f32 v13, v238, v142, -v13 :: v_dual_add_f32 v7, v7, v39
	v_dual_add_f32 v9, v9, v11 :: v_dual_fma_f32 v15, v240, v144, -v15
	v_dual_mul_f32 v11, v251, v155 :: v_dual_fmac_f32 v43, v241, v144
	s_delay_alu instid0(VALU_DEP_3) | instskip(NEXT) | instid1(VALU_DEP_3)
	v_dual_add_f32 v7, v7, v41 :: v_dual_fma_f32 v17, v242, v146, -v17
	v_dual_add_f32 v9, v9, v13 :: v_dual_fmac_f32 v45, v243, v146
	v_dual_mul_f32 v47, v244, v149 :: v_dual_mul_f32 v49, v246, v151
	s_wait_loadcnt_dscnt 0x701
	s_delay_alu instid0(VALU_DEP_3) | instskip(NEXT) | instid1(VALU_DEP_3)
	v_dual_mul_f32 v13, v253, v157 :: v_dual_add_f32 v7, v7, v43
	v_dual_add_f32 v9, v9, v15 :: v_dual_fma_f32 v19, v244, v148, -v19
	s_delay_alu instid0(VALU_DEP_3) | instskip(NEXT) | instid1(VALU_DEP_3)
	v_dual_mul_f32 v15, v255, v159 :: v_dual_fmac_f32 v47, v245, v148
	v_dual_add_f32 v7, v7, v45 :: v_dual_fma_f32 v21, v246, v150, -v21
	s_delay_alu instid0(VALU_DEP_3) | instskip(SKIP_1) | instid1(VALU_DEP_3)
	v_dual_add_f32 v9, v9, v17 :: v_dual_fmac_f32 v49, v247, v150
	v_dual_mul_f32 v51, v248, v153 :: v_dual_mul_f32 v53, v250, v155
	v_add_f32_e32 v7, v7, v47
	s_delay_alu instid0(VALU_DEP_3) | instskip(NEXT) | instid1(VALU_DEP_3)
	v_dual_add_f32 v9, v9, v19 :: v_dual_fma_f32 v23, v248, v152, -v23
	v_dual_fmac_f32 v51, v249, v152 :: v_dual_mul_f32 v55, v252, v157
	s_delay_alu instid0(VALU_DEP_3) | instskip(NEXT) | instid1(VALU_DEP_3)
	v_dual_mul_f32 v57, v254, v159 :: v_dual_add_f32 v7, v7, v49
	v_dual_fma_f32 v11, v250, v154, -v11 :: v_dual_add_f32 v9, v9, v21
	s_wait_loadcnt 0x5
	v_dual_fmac_f32 v53, v251, v154 :: v_dual_mul_f32 v21, v193, v165
	s_delay_alu instid0(VALU_DEP_3) | instskip(NEXT) | instid1(VALU_DEP_3)
	v_dual_add_f32 v7, v7, v51 :: v_dual_fmac_f32 v55, v253, v156
	v_dual_add_f32 v9, v9, v23 :: v_dual_fma_f32 v13, v252, v156, -v13
	v_mul_f32_e32 v23, v195, v167
	s_delay_alu instid0(VALU_DEP_3)
	v_add_f32_e32 v7, v7, v53
	s_wait_dscnt 0x0
	s_set_vgpr_msb 1                        ;  msbs: dst=0 src0=1 src1=0 src2=0
	v_dual_mul_f32 v59, v0 /*v256*/, v161 :: v_dual_mul_f32 v61, v2 /*v258*/, v163
	s_set_vgpr_msb 0                        ;  msbs: dst=0 src0=0 src1=0 src2=0
	v_add_f32_e32 v9, v9, v11
	s_set_vgpr_msb 1                        ;  msbs: dst=0 src0=1 src1=0 src2=0
	v_dual_mul_f32 v17, v1 /*v257*/, v161 :: v_dual_mul_f32 v19, v3 /*v259*/, v163
	s_set_vgpr_msb 0                        ;  msbs: dst=0 src0=0 src1=0 src2=0
	v_dual_fmac_f32 v57, v255, v158 :: v_dual_fma_f32 v11, v254, v158, -v15
	v_dual_add_f32 v7, v7, v55 :: v_dual_add_f32 v9, v9, v13
	s_wait_loadcnt 0x4
	v_mov_b32_e32 v110, v171
	s_set_vgpr_msb 1                        ;  msbs: dst=0 src0=1 src1=0 src2=0
	v_dual_fmac_f32 v59, v1 /*v257*/, v160 :: v_dual_fma_f32 v13, v0 /*v256*/, v160, -v17
	v_fmac_f32_e32 v61, v3 /*v259*/, v162
	s_set_vgpr_msb 0                        ;  msbs: dst=0 src0=0 src1=0 src2=0
	v_add_f32_e32 v9, v9, v11
	s_set_vgpr_msb 1                        ;  msbs: dst=0 src0=1 src1=0 src2=0
	v_fma_f32 v11, v2 /*v258*/, v162, -v19
	s_wait_loadcnt 0x3
	s_set_vgpr_msb 0                        ;  msbs: dst=0 src0=0 src1=0 src2=0
	v_mov_b32_e32 v114, v175
	s_set_vgpr_msb 64                       ;  msbs: dst=1 src0=0 src1=0 src2=0
	v_dual_mul_f32 v15 /*v271*/, v192, v165 :: v_dual_mul_f32 v17 /*v273*/, v194, v167
	s_set_vgpr_msb 0                        ;  msbs: dst=0 src0=0 src1=0 src2=0
	v_add_f32_e32 v9, v9, v13
	v_add_f32_e32 v7, v7, v57
	v_pk_mul_f32 v[108:109], v[184:185], v[168:169] op_sel:[1,1] op_sel_hi:[0,1]
	s_set_vgpr_msb 64                       ;  msbs: dst=1 src0=0 src1=0 src2=0
	v_dual_fmac_f32 v15 /*v271*/, v193, v164 :: v_dual_fmac_f32 v17 /*v273*/, v195, v166
	s_set_vgpr_msb 0                        ;  msbs: dst=0 src0=0 src1=0 src2=0
	v_add_f32_e32 v116, v9, v11
	v_add_f32_e32 v7, v7, v59
	s_set_vgpr_msb 64                       ;  msbs: dst=1 src0=0 src1=0 src2=0
	v_dual_fma_f32 v14 /*v270*/, v192, v164, -v21 :: v_dual_fma_f32 v16 /*v272*/, v194, v166, -v23
	s_set_vgpr_msb 0                        ;  msbs: dst=0 src0=0 src1=0 src2=0
	v_pk_fma_f32 v[118:119], v[184:185], v[168:169], v[108:109] op_sel_hi:[1,0,1]
	s_set_vgpr_msb 1                        ;  msbs: dst=0 src0=1 src1=0 src2=0
	v_pk_mul_f32 v[110:111], v[6:7] /*v[262:263]*/, v[110:111] op_sel_hi:[1,0]
	s_set_vgpr_msb 0                        ;  msbs: dst=0 src0=0 src1=0 src2=0
	v_add_f32_e32 v117, v7, v61
	v_pk_fma_f32 v[108:109], v[184:185], v[168:169], v[108:109] neg_lo:[0,0,1] neg_hi:[0,0,1]
	v_pk_mul_f32 v[112:113], v[188:189], v[172:173] op_sel:[1,1] op_sel_hi:[0,1]
	v_mov_b32_e32 v109, v119
	v_pk_fma_f32 v[118:119], v[186:187], v[170:171], v[110:111] op_sel_hi:[1,0,1]
	s_set_vgpr_msb 4                        ;  msbs: dst=0 src0=0 src1=1 src2=0
	v_pk_add_f32 v[116:117], v[116:117], v[14:15] /*v[270:271]*/
	s_set_vgpr_msb 0                        ;  msbs: dst=0 src0=0 src1=0 src2=0
	v_pk_fma_f32 v[110:111], v[186:187], v[170:171], v[110:111] neg_lo:[0,0,1] neg_hi:[0,0,1]
	v_pk_fma_f32 v[122:123], v[188:189], v[172:173], v[112:113] op_sel_hi:[1,0,1]
	s_set_vgpr_msb 1                        ;  msbs: dst=0 src0=1 src1=0 src2=0
	v_pk_mul_f32 v[114:115], v[8:9] /*v[264:265]*/, v[114:115] op_sel_hi:[1,0]
	s_set_vgpr_msb 4                        ;  msbs: dst=0 src0=0 src1=1 src2=0
	v_mov_b32_e32 v111, v119
	v_pk_add_f32 v[116:117], v[116:117], v[16:17] /*v[272:273]*/
	s_wait_loadcnt 0x2
	s_set_vgpr_msb 0                        ;  msbs: dst=0 src0=0 src1=0 src2=0
	v_pk_mul_f32 v[120:121], v[196:197], v[176:177] op_sel:[1,1] op_sel_hi:[0,1]
	v_pk_fma_f32 v[112:113], v[188:189], v[172:173], v[112:113] neg_lo:[0,0,1] neg_hi:[0,0,1]
	v_mov_b32_e32 v113, v123
	v_pk_fma_f32 v[118:119], v[190:191], v[174:175], v[114:115] op_sel_hi:[1,0,1]
	v_pk_add_f32 v[108:109], v[116:117], v[108:109]
	v_mov_b32_e32 v116, v179
	v_pk_fma_f32 v[114:115], v[190:191], v[174:175], v[114:115] neg_lo:[0,0,1] neg_hi:[0,0,1]
	s_delay_alu instid0(VALU_DEP_3)
	v_pk_add_f32 v[108:109], v[108:109], v[110:111]
	v_pk_fma_f32 v[110:111], v[196:197], v[176:177], v[120:121] op_sel_hi:[1,0,1]
	s_set_vgpr_msb 1                        ;  msbs: dst=0 src0=1 src1=0 src2=0
	v_pk_mul_f32 v[116:117], v[10:11] /*v[266:267]*/, v[116:117] op_sel_hi:[1,0]
	s_set_vgpr_msb 0                        ;  msbs: dst=0 src0=0 src1=0 src2=0
	v_mov_b32_e32 v115, v119
	v_pk_fma_f32 v[118:119], v[196:197], v[176:177], v[120:121] neg_lo:[0,0,1] neg_hi:[0,0,1]
	v_pk_add_f32 v[108:109], v[108:109], v[112:113]
	v_mov_b32_e32 v119, v111
	v_pk_fma_f32 v[110:111], v[198:199], v[178:179], v[116:117] op_sel_hi:[1,0,1]
	s_wait_loadcnt 0x1
	v_pk_mul_f32 v[112:113], v[200:201], v[180:181] op_sel:[1,1] op_sel_hi:[0,1]
	v_mov_b32_e32 v110, v183
	v_pk_add_f32 v[108:109], v[108:109], v[114:115]
	v_pk_fma_f32 v[116:117], v[198:199], v[178:179], v[116:117] neg_lo:[0,0,1] neg_hi:[0,0,1]
	v_mov_b32_e32 v117, v111
	v_pk_fma_f32 v[114:115], v[200:201], v[180:181], v[112:113] op_sel_hi:[1,0,1]
	s_set_vgpr_msb 1                        ;  msbs: dst=0 src0=1 src1=0 src2=0
	v_pk_mul_f32 v[110:111], v[12:13] /*v[268:269]*/, v[110:111] op_sel_hi:[1,0]
	s_set_vgpr_msb 0                        ;  msbs: dst=0 src0=0 src1=0 src2=0
	v_pk_add_f32 v[108:109], v[108:109], v[118:119]
	v_pk_fma_f32 v[112:113], v[200:201], v[180:181], v[112:113] neg_lo:[0,0,1] neg_hi:[0,0,1]
	v_mov_b32_e32 v113, v115
	v_pk_fma_f32 v[114:115], v[202:203], v[182:183], v[110:111] op_sel_hi:[1,0,1]
	s_delay_alu instid0(VALU_DEP_4) | instskip(SKIP_1) | instid1(VALU_DEP_3)
	v_pk_add_f32 v[108:109], v[108:109], v[116:117]
	v_pk_fma_f32 v[110:111], v[202:203], v[182:183], v[110:111] neg_lo:[0,0,1] neg_hi:[0,0,1]
	v_mov_b32_e32 v111, v115
	s_delay_alu instid0(VALU_DEP_3) | instskip(NEXT) | instid1(VALU_DEP_1)
	v_pk_add_f32 v[108:109], v[108:109], v[112:113]
	v_pk_add_f32 v[108:109], v[108:109], v[110:111]
	s_wait_loadcnt 0x0
	s_set_vgpr_msb 1                        ;  msbs: dst=0 src0=1 src1=0 src2=0
	s_delay_alu instid0(VALU_DEP_1)
	v_pk_add_f32 v[108:109], v[4:5] /*v[260:261]*/, v[108:109] neg_lo:[0,1] neg_hi:[0,1]
	scratch_store_b64 off, v[108:109], off offset:112
	s_wait_xcnt 0x0
	v_cmpx_lt_u32_e32 13, v0
	s_set_vgpr_msb 0                        ;  msbs: dst=0 src0=0 src1=0 src2=0
	s_cbranch_execz .LBB116_305
; %bb.304:
	scratch_load_b64 v[108:109], off, off offset:104
	v_mov_b64_e32 v[110:111], 0
	scratch_store_b64 off, v[110:111], off offset:104
	s_wait_loadcnt 0x0
	ds_store_b64 v1, v[108:109]
.LBB116_305:
	s_wait_xcnt 0x0
	s_or_b32 exec_lo, exec_lo, s0
	s_wait_storecnt_dscnt 0x0
	s_barrier_signal -1
	s_barrier_wait -1
	s_clause 0x15
	scratch_load_b128 v[108:111], off, off offset:112
	scratch_load_b128 v[112:115], off, off offset:128
	;; [unrolled: 1-line block ×19, first 2 shown]
	s_set_vgpr_msb 64                       ;  msbs: dst=1 src0=0 src1=0 src2=0
	scratch_load_b64 v[4:5] /*v[260:261]*/, off, off offset:416
	scratch_load_b64 v[6:7] /*v[262:263]*/, off, off offset:104
	s_set_vgpr_msb 0                        ;  msbs: dst=0 src0=0 src1=0 src2=0
	v_mov_b32_e32 v7, 0
	ds_load_b128 v[184:187], v7 offset:784
	ds_load_b128 v[188:191], v7 offset:768
	ds_load_b128 v[192:195], v7 offset:800
	ds_load_b128 v[196:199], v7 offset:816
	ds_load_b128 v[200:203], v7 offset:544
	ds_load_b128 v[204:207], v7 offset:560
	ds_load_b128 v[208:211], v7 offset:832
	ds_load_b128 v[212:215], v7 offset:576
	ds_load_b128 v[216:219], v7 offset:592
	ds_load_b128 v[220:223], v7 offset:608
	ds_load_b128 v[224:227], v7 offset:624
	ds_load_b128 v[228:231], v7 offset:640
	ds_load_b128 v[232:235], v7 offset:656
	ds_load_b128 v[236:239], v7 offset:672
	ds_load_b128 v[240:243], v7 offset:688
	ds_load_b128 v[244:247], v7 offset:704
	ds_load_b128 v[248:251], v7 offset:720
	ds_load_b128 v[252:255], v7 offset:736
	s_set_vgpr_msb 64                       ;  msbs: dst=1 src0=0 src1=0 src2=0
	ds_load_b128 v[0:3] /*v[256:259]*/, v7 offset:752
	ds_load_b64 v[8:9] /*v[264:265]*/, v7 offset:848
	s_wait_dscnt 0x13
	v_dual_mov_b32 v10 /*v266*/, v187 :: v_dual_mov_b32 v11 /*v267*/, v186
	s_wait_dscnt 0x11
	v_dual_mov_b32 v12 /*v268*/, v195 :: v_dual_mov_b32 v13 /*v269*/, v194
	;; [unrolled: 2-line block ×4, first 2 shown]
	s_mov_b32 s0, exec_lo
	s_wait_loadcnt 0x14
	s_set_vgpr_msb 0                        ;  msbs: dst=0 src0=0 src1=0 src2=0
	v_dual_mul_f32 v9, v200, v109 :: v_dual_mul_f32 v67, v201, v109
	v_dual_mul_f32 v69, v203, v111 :: v_dual_mul_f32 v11, v202, v111
	s_wait_loadcnt 0x13
	v_mul_f32_e32 v13, v204, v113
	s_wait_loadcnt_dscnt 0x110b
	v_dual_mul_f32 v79, v217, v121 :: v_dual_fma_f32 v67, v200, v108, -v67
	v_dual_fmac_f32 v9, v201, v108 :: v_dual_mul_f32 v81, v219, v123
	v_dual_mul_f32 v71, v205, v113 :: v_dual_mul_f32 v73, v207, v115
	v_dual_fmac_f32 v11, v203, v110 :: v_dual_fma_f32 v69, v202, v110, -v69
	s_delay_alu instid0(VALU_DEP_3) | instskip(SKIP_4) | instid1(VALU_DEP_3)
	v_dual_add_f32 v9, 0, v9 :: v_dual_add_f32 v67, 0, v67
	v_dual_mul_f32 v15, v206, v115 :: v_dual_mul_f32 v17, v212, v117
	s_wait_loadcnt_dscnt 0x100a
	v_dual_mul_f32 v83, v221, v125 :: v_dual_fma_f32 v71, v204, v112, -v71
	v_fmac_f32_e32 v13, v205, v112
	v_dual_add_f32 v9, v9, v11 :: v_dual_fmac_f32 v15, v207, v114
	v_add_f32_e32 v11, v67, v69
	v_dual_mul_f32 v75, v213, v117 :: v_dual_mul_f32 v77, v215, v119
	v_dual_mul_f32 v67, v223, v127 :: v_dual_fma_f32 v69, v206, v114, -v73
	s_delay_alu instid0(VALU_DEP_3) | instskip(SKIP_3) | instid1(VALU_DEP_3)
	v_dual_add_f32 v9, v9, v13 :: v_dual_add_f32 v11, v11, v71
	v_dual_mul_f32 v19, v214, v119 :: v_dual_mul_f32 v21, v216, v121
	s_wait_loadcnt_dscnt 0xf09
	v_dual_mul_f32 v13, v225, v129 :: v_dual_fma_f32 v71, v212, v116, -v75
	v_dual_fmac_f32 v17, v213, v116 :: v_dual_add_f32 v11, v11, v69
	s_delay_alu instid0(VALU_DEP_3) | instskip(SKIP_1) | instid1(VALU_DEP_2)
	v_dual_add_f32 v9, v9, v15 :: v_dual_fmac_f32 v19, v215, v118
	v_dual_mul_f32 v15, v227, v131 :: v_dual_fma_f32 v69, v214, v118, -v77
	v_dual_add_f32 v11, v11, v71 :: v_dual_add_f32 v9, v9, v17
	v_dual_mul_f32 v23, v218, v123 :: v_dual_mul_f32 v25, v220, v125
	s_wait_loadcnt_dscnt 0xe08
	v_dual_mul_f32 v17, v229, v133 :: v_dual_fma_f32 v71, v216, v120, -v79
	s_delay_alu instid0(VALU_DEP_3) | instskip(NEXT) | instid1(VALU_DEP_3)
	v_dual_fmac_f32 v21, v217, v120 :: v_dual_add_f32 v11, v11, v69
	v_dual_add_f32 v9, v9, v19 :: v_dual_fmac_f32 v23, v219, v122
	v_dual_mul_f32 v19, v231, v135 :: v_dual_fma_f32 v69, v218, v122, -v81
	s_delay_alu instid0(VALU_DEP_2) | instskip(SKIP_3) | instid1(VALU_DEP_3)
	v_dual_add_f32 v11, v11, v71 :: v_dual_add_f32 v9, v9, v21
	v_dual_mul_f32 v27, v222, v127 :: v_dual_mul_f32 v29, v224, v129
	s_wait_loadcnt_dscnt 0xd07
	v_dual_mul_f32 v21, v233, v137 :: v_dual_fma_f32 v71, v220, v124, -v83
	v_dual_fmac_f32 v25, v221, v124 :: v_dual_add_f32 v11, v11, v69
	s_delay_alu instid0(VALU_DEP_3) | instskip(SKIP_1) | instid1(VALU_DEP_2)
	v_dual_add_f32 v9, v9, v23 :: v_dual_fmac_f32 v27, v223, v126
	v_dual_mul_f32 v23, v235, v139 :: v_dual_fma_f32 v67, v222, v126, -v67
	v_dual_add_f32 v11, v11, v71 :: v_dual_add_f32 v9, v9, v25
	v_dual_mul_f32 v31, v226, v131 :: v_dual_mul_f32 v33, v228, v133
	s_wait_loadcnt_dscnt 0xc06
	v_dual_mul_f32 v25, v237, v141 :: v_dual_fma_f32 v13, v224, v128, -v13
	s_delay_alu instid0(VALU_DEP_3) | instskip(NEXT) | instid1(VALU_DEP_3)
	v_dual_fmac_f32 v29, v225, v128 :: v_dual_add_f32 v11, v11, v67
	v_dual_add_f32 v9, v9, v27 :: v_dual_fmac_f32 v31, v227, v130
	v_dual_mul_f32 v27, v239, v143 :: v_dual_fma_f32 v15, v226, v130, -v15
	s_delay_alu instid0(VALU_DEP_3) | instskip(NEXT) | instid1(VALU_DEP_3)
	v_dual_add_f32 v11, v11, v13 :: v_dual_fmac_f32 v33, v229, v132
	v_dual_add_f32 v9, v9, v29 :: v_dual_fma_f32 v17, v228, v132, -v17
	v_dual_mul_f32 v35, v230, v135 :: v_dual_mul_f32 v37, v232, v137
	s_wait_loadcnt_dscnt 0xb05
	s_delay_alu instid0(VALU_DEP_3) | instskip(NEXT) | instid1(VALU_DEP_2)
	v_dual_mul_f32 v13, v241, v145 :: v_dual_add_f32 v11, v11, v15
	v_dual_add_f32 v9, v9, v31 :: v_dual_fmac_f32 v35, v231, v134
	v_dual_mul_f32 v15, v243, v147 :: v_dual_fma_f32 v19, v230, v134, -v19
	s_delay_alu instid0(VALU_DEP_3) | instskip(NEXT) | instid1(VALU_DEP_3)
	v_dual_add_f32 v11, v11, v17 :: v_dual_fmac_f32 v37, v233, v136
	v_dual_add_f32 v9, v9, v33 :: v_dual_fma_f32 v21, v232, v136, -v21
	v_dual_mul_f32 v39, v234, v139 :: v_dual_mul_f32 v41, v236, v141
	s_wait_loadcnt_dscnt 0xa04
	s_delay_alu instid0(VALU_DEP_3) | instskip(NEXT) | instid1(VALU_DEP_2)
	v_dual_mul_f32 v17, v245, v149 :: v_dual_add_f32 v11, v11, v19
	;; [unrolled: 9-line block ×4, first 2 shown]
	v_dual_add_f32 v9, v9, v43 :: v_dual_fmac_f32 v47, v243, v146
	v_dual_mul_f32 v27, v255, v159 :: v_dual_fma_f32 v15, v242, v146, -v15
	s_delay_alu instid0(VALU_DEP_3) | instskip(NEXT) | instid1(VALU_DEP_3)
	v_dual_add_f32 v11, v11, v13 :: v_dual_fmac_f32 v49, v245, v148
	v_dual_add_f32 v9, v9, v45 :: v_dual_fma_f32 v17, v244, v148, -v17
	v_dual_mul_f32 v51, v246, v151 :: v_dual_mul_f32 v53, v248, v153
	s_delay_alu instid0(VALU_DEP_3) | instskip(NEXT) | instid1(VALU_DEP_2)
	v_dual_add_f32 v11, v11, v15 :: v_dual_fma_f32 v19, v246, v150, -v19
	v_dual_add_f32 v9, v9, v47 :: v_dual_fmac_f32 v51, v247, v150
	v_dual_mul_f32 v55, v250, v155 :: v_dual_mul_f32 v57, v252, v157
	s_delay_alu instid0(VALU_DEP_3) | instskip(NEXT) | instid1(VALU_DEP_3)
	v_dual_add_f32 v11, v11, v17 :: v_dual_fmac_f32 v53, v249, v152
	v_dual_add_f32 v9, v9, v49 :: v_dual_fma_f32 v21, v248, v152, -v21
	s_wait_loadcnt 0x6
	s_delay_alu instid0(VALU_DEP_2) | instskip(SKIP_1) | instid1(VALU_DEP_3)
	v_dual_mul_f32 v17, v189, v165 :: v_dual_add_f32 v11, v11, v19
	v_dual_mul_f32 v19, v191, v167 :: v_dual_fma_f32 v23, v250, v154, -v23
	v_dual_add_f32 v9, v9, v51 :: v_dual_fmac_f32 v55, v251, v154
	s_delay_alu instid0(VALU_DEP_3) | instskip(SKIP_1) | instid1(VALU_DEP_3)
	v_dual_add_f32 v11, v11, v21 :: v_dual_fmac_f32 v57, v253, v156
	v_dual_mul_f32 v59, v254, v159 :: v_dual_mul_f32 v65, v188, v165
	v_dual_add_f32 v9, v9, v53 :: v_dual_fma_f32 v25, v252, v156, -v25
	s_wait_loadcnt 0x5
	s_delay_alu instid0(VALU_DEP_3)
	v_dual_mul_f32 v21, v185, v169 :: v_dual_add_f32 v11, v11, v23
	s_wait_dscnt 0x1
	s_set_vgpr_msb 1                        ;  msbs: dst=0 src0=1 src1=0 src2=0
	v_dual_mul_f32 v61, v0 /*v256*/, v161 :: v_dual_mul_f32 v63, v2 /*v258*/, v163
	s_set_vgpr_msb 0                        ;  msbs: dst=0 src0=0 src1=0 src2=0
	v_dual_add_f32 v9, v9, v55 :: v_dual_mov_b32 v108, v171
	s_set_vgpr_msb 1                        ;  msbs: dst=0 src0=1 src1=0 src2=0
	v_dual_mul_f32 v13, v1 /*v257*/, v161 :: v_dual_mul_f32 v15, v3 /*v259*/, v163
	s_set_vgpr_msb 0                        ;  msbs: dst=0 src0=0 src1=0 src2=0
	s_delay_alu instid0(VALU_DEP_2)
	v_dual_fmac_f32 v59, v255, v158 :: v_dual_add_f32 v9, v9, v57
	v_dual_fma_f32 v23, v254, v158, -v27 :: v_dual_add_f32 v11, v11, v25
	s_set_vgpr_msb 1                        ;  msbs: dst=0 src0=1 src1=0 src2=0
	v_dual_fmac_f32 v61, v1 /*v257*/, v160 :: v_dual_fmac_f32 v63, v3 /*v259*/, v162
	v_dual_fma_f32 v13, v0 /*v256*/, v160, -v13 :: v_dual_fma_f32 v15, v2 /*v258*/, v162, -v15
	s_wait_loadcnt 0x4
	s_set_vgpr_msb 0                        ;  msbs: dst=0 src0=0 src1=0 src2=0
	v_dual_add_f32 v9, v9, v59 :: v_dual_mov_b32 v112, v175
	v_add_f32_e32 v11, v11, v23
	s_set_vgpr_msb 64                       ;  msbs: dst=1 src0=0 src1=0 src2=0
	v_dual_mul_f32 v19 /*v275*/, v190, v167 :: v_dual_mul_f32 v21 /*v277*/, v184, v169
	s_set_vgpr_msb 0                        ;  msbs: dst=0 src0=0 src1=0 src2=0
	v_add_f32_e32 v9, v9, v61
	v_dual_fmac_f32 v65, v189, v164 :: v_dual_add_f32 v11, v11, v13
	v_fma_f32 v13, v188, v164, -v17
	s_set_vgpr_msb 1                        ;  msbs: dst=0 src0=1 src1=0 src2=0
	v_pk_mul_f32 v[108:109], v[10:11] /*v[266:267]*/, v[108:109] op_sel_hi:[1,0]
	s_set_vgpr_msb 0                        ;  msbs: dst=0 src0=0 src1=0 src2=0
	v_add_f32_e32 v9, v9, v63
	s_set_vgpr_msb 64                       ;  msbs: dst=1 src0=0 src1=0 src2=0
	v_dual_fmac_f32 v19 /*v275*/, v191, v166 :: v_dual_fmac_f32 v21 /*v277*/, v185, v168
	s_set_vgpr_msb 0                        ;  msbs: dst=0 src0=0 src1=0 src2=0
	v_add_f32_e32 v11, v11, v15
	s_set_vgpr_msb 64                       ;  msbs: dst=1 src0=0 src1=0 src2=0
	v_dual_fma_f32 v18 /*v274*/, v190, v166, -v19 :: v_dual_fma_f32 v20 /*v276*/, v184, v168, -v21
	s_set_vgpr_msb 0                        ;  msbs: dst=0 src0=0 src1=0 src2=0
	v_add_f32_e32 v117, v9, v65
	v_pk_fma_f32 v[120:121], v[186:187], v[170:171], v[108:109] op_sel_hi:[1,0,1]
	v_add_f32_e32 v116, v11, v13
	v_pk_fma_f32 v[108:109], v[186:187], v[170:171], v[108:109] neg_lo:[0,0,1] neg_hi:[0,0,1]
	v_pk_mul_f32 v[110:111], v[192:193], v[172:173] op_sel:[1,1] op_sel_hi:[0,1]
	s_set_vgpr_msb 1                        ;  msbs: dst=0 src0=1 src1=0 src2=0
	v_pk_mul_f32 v[112:113], v[12:13] /*v[268:269]*/, v[112:113] op_sel_hi:[1,0]
	s_set_vgpr_msb 4                        ;  msbs: dst=0 src0=0 src1=1 src2=0
	v_mov_b32_e32 v109, v121
	v_pk_add_f32 v[116:117], v[116:117], v[18:19] /*v[274:275]*/
	s_wait_loadcnt 0x3
	s_set_vgpr_msb 0                        ;  msbs: dst=0 src0=0 src1=0 src2=0
	v_pk_mul_f32 v[114:115], v[196:197], v[176:177] op_sel:[1,1] op_sel_hi:[0,1]
	v_pk_fma_f32 v[122:123], v[192:193], v[172:173], v[110:111] op_sel_hi:[1,0,1]
	v_pk_fma_f32 v[110:111], v[192:193], v[172:173], v[110:111] neg_lo:[0,0,1] neg_hi:[0,0,1]
	v_mov_b32_e32 v118, v179
	s_set_vgpr_msb 4                        ;  msbs: dst=0 src0=0 src1=1 src2=0
	v_pk_add_f32 v[116:117], v[116:117], v[20:21] /*v[276:277]*/
	s_wait_loadcnt 0x2
	s_set_vgpr_msb 0                        ;  msbs: dst=0 src0=0 src1=0 src2=0
	v_pk_mul_f32 v[120:121], v[208:209], v[180:181] op_sel:[1,1] op_sel_hi:[0,1]
	v_mov_b32_e32 v111, v123
	v_pk_fma_f32 v[122:123], v[194:195], v[174:175], v[112:113] op_sel_hi:[1,0,1]
	v_pk_fma_f32 v[112:113], v[194:195], v[174:175], v[112:113] neg_lo:[0,0,1] neg_hi:[0,0,1]
	v_pk_add_f32 v[108:109], v[116:117], v[108:109]
	v_pk_fma_f32 v[116:117], v[196:197], v[176:177], v[114:115] op_sel_hi:[1,0,1]
	s_set_vgpr_msb 1                        ;  msbs: dst=0 src0=1 src1=0 src2=0
	v_pk_mul_f32 v[118:119], v[14:15] /*v[270:271]*/, v[118:119] op_sel_hi:[1,0]
	s_set_vgpr_msb 0                        ;  msbs: dst=0 src0=0 src1=0 src2=0
	v_mov_b32_e32 v113, v123
	v_pk_fma_f32 v[114:115], v[196:197], v[176:177], v[114:115] neg_lo:[0,0,1] neg_hi:[0,0,1]
	v_pk_add_f32 v[108:109], v[108:109], v[110:111]
	v_dual_mov_b32 v110, v183 :: v_dual_mov_b32 v115, v117
	v_pk_fma_f32 v[116:117], v[198:199], v[178:179], v[118:119] op_sel_hi:[1,0,1]
	v_pk_fma_f32 v[118:119], v[198:199], v[178:179], v[118:119] neg_lo:[0,0,1] neg_hi:[0,0,1]
	s_delay_alu instid0(VALU_DEP_4)
	v_pk_add_f32 v[108:109], v[108:109], v[112:113]
	v_pk_fma_f32 v[112:113], v[208:209], v[180:181], v[120:121] op_sel_hi:[1,0,1]
	s_set_vgpr_msb 1                        ;  msbs: dst=0 src0=1 src1=0 src2=0
	v_pk_mul_f32 v[110:111], v[16:17] /*v[272:273]*/, v[110:111] op_sel_hi:[1,0]
	s_set_vgpr_msb 0                        ;  msbs: dst=0 src0=0 src1=0 src2=0
	v_mov_b32_e32 v119, v117
	s_wait_loadcnt_dscnt 0x100
	s_set_vgpr_msb 5                        ;  msbs: dst=0 src0=1 src1=1 src2=0
	v_pk_mul_f32 v[116:117], v[8:9] /*v[264:265]*/, v[4:5] /*v[260:261]*/ op_sel:[1,1] op_sel_hi:[0,1]
	s_set_vgpr_msb 0                        ;  msbs: dst=0 src0=0 src1=0 src2=0
	v_pk_add_f32 v[108:109], v[108:109], v[114:115]
	v_pk_fma_f32 v[114:115], v[208:209], v[180:181], v[120:121] neg_lo:[0,0,1] neg_hi:[0,0,1]
	v_mov_b32_e32 v115, v113
	v_pk_fma_f32 v[112:113], v[210:211], v[182:183], v[110:111] op_sel_hi:[1,0,1]
	v_pk_fma_f32 v[110:111], v[210:211], v[182:183], v[110:111] neg_lo:[0,0,1] neg_hi:[0,0,1]
	v_pk_add_f32 v[108:109], v[108:109], v[118:119]
	s_delay_alu instid0(VALU_DEP_3)
	v_mov_b32_e32 v111, v113
	s_set_vgpr_msb 5                        ;  msbs: dst=0 src0=1 src1=1 src2=0
	v_pk_fma_f32 v[112:113], v[8:9] /*v[264:265]*/, v[4:5] /*v[260:261]*/, v[116:117] op_sel_hi:[1,0,1]
	s_set_vgpr_msb 0                        ;  msbs: dst=0 src0=0 src1=0 src2=0
	v_pk_add_f32 v[108:109], v[108:109], v[114:115]
	s_set_vgpr_msb 5                        ;  msbs: dst=0 src0=1 src1=1 src2=0
	v_pk_fma_f32 v[114:115], v[8:9] /*v[264:265]*/, v[4:5] /*v[260:261]*/, v[116:117] neg_lo:[0,0,1] neg_hi:[0,0,1]
	s_set_vgpr_msb 0                        ;  msbs: dst=0 src0=0 src1=0 src2=0
	v_mov_b32_e32 v115, v113
	v_pk_add_f32 v[108:109], v[108:109], v[110:111]
	s_delay_alu instid0(VALU_DEP_1) | instskip(SKIP_2) | instid1(VALU_DEP_1)
	v_pk_add_f32 v[108:109], v[108:109], v[114:115]
	s_wait_loadcnt 0x0
	s_set_vgpr_msb 1                        ;  msbs: dst=0 src0=1 src1=0 src2=0
	v_pk_add_f32 v[108:109], v[6:7] /*v[262:263]*/, v[108:109] neg_lo:[0,1] neg_hi:[0,1]
	scratch_store_b64 off, v[108:109], off offset:104
	s_wait_xcnt 0x0
	v_cmpx_lt_u32_e32 12, v0
	s_set_vgpr_msb 0                        ;  msbs: dst=0 src0=0 src1=0 src2=0
	s_cbranch_execz .LBB116_307
; %bb.306:
	scratch_load_b64 v[108:109], off, off offset:96
	v_mov_b64_e32 v[110:111], 0
	scratch_store_b64 off, v[110:111], off offset:96
	s_wait_loadcnt 0x0
	ds_store_b64 v1, v[108:109]
.LBB116_307:
	s_wait_xcnt 0x0
	s_or_b32 exec_lo, exec_lo, s0
	s_wait_storecnt_dscnt 0x0
	s_barrier_signal -1
	s_barrier_wait -1
	s_clause 0xf
	scratch_load_b128 v[112:115], off, off offset:104
	scratch_load_b128 v[120:123], off, off offset:120
	;; [unrolled: 1-line block ×16, first 2 shown]
	ds_load_2addr_b64 v[108:111], v7 offset0:67 offset1:68
	ds_load_2addr_b64 v[116:119], v7 offset0:69 offset1:70
	;; [unrolled: 1-line block ×16, first 2 shown]
	s_clause 0x3
	scratch_load_b128 v[236:239], off, off offset:360
	scratch_load_b128 v[240:243], off, off offset:376
	;; [unrolled: 1-line block ×4, first 2 shown]
	s_mov_b32 s0, exec_lo
	s_wait_loadcnt_dscnt 0x130f
	v_dual_mul_f32 v9, v108, v113 :: v_dual_mul_f32 v11, v110, v115
	s_wait_loadcnt_dscnt 0x100c
	s_delay_alu instid0(VALU_DEP_1) | instskip(NEXT) | instid1(VALU_DEP_2)
	v_dual_mul_f32 v255, v228, v233 :: v_dual_fmac_f32 v9, v109, v112
	v_fmac_f32_e32 v11, v111, v114
	s_delay_alu instid0(VALU_DEP_2) | instskip(NEXT) | instid1(VALU_DEP_1)
	v_dual_fmac_f32 v255, v229, v232 :: v_dual_add_f32 v9, 0, v9
	v_dual_add_f32 v9, v9, v11 :: v_dual_mul_f32 v11, v116, v121
	s_delay_alu instid0(VALU_DEP_1) | instskip(NEXT) | instid1(VALU_DEP_1)
	v_fmac_f32_e32 v11, v117, v120
	v_add_f32_e32 v9, v9, v11
	v_mul_f32_e32 v11, v118, v123
	s_delay_alu instid0(VALU_DEP_1) | instskip(SKIP_1) | instid1(VALU_DEP_1)
	v_fmac_f32_e32 v11, v119, v122
	s_wait_loadcnt_dscnt 0xf0b
	v_dual_add_f32 v9, v9, v11 :: v_dual_mul_f32 v11, v124, v129
	s_delay_alu instid0(VALU_DEP_1) | instskip(NEXT) | instid1(VALU_DEP_1)
	v_fmac_f32_e32 v11, v125, v128
	v_add_f32_e32 v9, v9, v11
	v_mul_f32_e32 v11, v126, v131
	s_delay_alu instid0(VALU_DEP_1) | instskip(SKIP_1) | instid1(VALU_DEP_1)
	v_fmac_f32_e32 v11, v127, v130
	s_wait_loadcnt_dscnt 0xe0a
	;; [unrolled: 8-line block ×12, first 2 shown]
	v_dual_add_f32 v9, v9, v11 :: v_dual_mul_f32 v11, v212, v217
	s_delay_alu instid0(VALU_DEP_1) | instskip(NEXT) | instid1(VALU_DEP_1)
	v_fmac_f32_e32 v11, v213, v216
	v_add_f32_e32 v9, v9, v11
	v_mul_f32_e32 v11, v214, v219
	s_delay_alu instid0(VALU_DEP_1) | instskip(NEXT) | instid1(VALU_DEP_1)
	v_fmac_f32_e32 v11, v215, v218
	v_dual_add_f32 v9, v9, v11 :: v_dual_mul_f32 v11, v220, v225
	s_delay_alu instid0(VALU_DEP_1) | instskip(NEXT) | instid1(VALU_DEP_1)
	v_fmac_f32_e32 v11, v221, v224
	v_add_f32_e32 v9, v9, v11
	v_mul_f32_e32 v11, v222, v227
	s_delay_alu instid0(VALU_DEP_1) | instskip(NEXT) | instid1(VALU_DEP_1)
	v_fmac_f32_e32 v11, v223, v226
	v_add_f32_e32 v253, v9, v11
	v_dual_mul_f32 v9, v109, v113 :: v_dual_mul_f32 v11, v111, v115
	s_delay_alu instid0(VALU_DEP_1) | instskip(NEXT) | instid1(VALU_DEP_1)
	v_dual_fma_f32 v9, v108, v112, -v9 :: v_dual_fma_f32 v11, v110, v114, -v11
	v_add_f32_e32 v9, 0, v9
	s_delay_alu instid0(VALU_DEP_1) | instskip(SKIP_1) | instid1(VALU_DEP_1)
	v_add_f32_e32 v9, v9, v11
	v_mul_f32_e32 v11, v117, v121
	v_fma_f32 v11, v116, v120, -v11
	s_delay_alu instid0(VALU_DEP_1) | instskip(SKIP_1) | instid1(VALU_DEP_1)
	v_add_f32_e32 v9, v9, v11
	v_mul_f32_e32 v11, v119, v123
	v_fma_f32 v11, v118, v122, -v11
	ds_load_2addr_b64 v[108:111], v7 offset0:99 offset1:100
	ds_load_2addr_b64 v[112:115], v7 offset0:101 offset1:102
	;; [unrolled: 1-line block ×4, first 2 shown]
	v_add_f32_e32 v9, v9, v11
	v_mul_f32_e32 v11, v125, v129
	s_delay_alu instid0(VALU_DEP_1) | instskip(NEXT) | instid1(VALU_DEP_1)
	v_fma_f32 v11, v124, v128, -v11
	v_add_f32_e32 v9, v9, v11
	v_mul_f32_e32 v11, v127, v131
	s_delay_alu instid0(VALU_DEP_1) | instskip(SKIP_2) | instid1(VALU_DEP_2)
	v_fma_f32 v11, v126, v130, -v11
	s_wait_loadcnt_dscnt 0x303
	v_pk_mul_f32 v[126:127], v[108:109], v[236:237] op_sel:[1,1] op_sel_hi:[0,1]
	v_add_f32_e32 v9, v9, v11
	v_mul_f32_e32 v11, v133, v137
	s_delay_alu instid0(VALU_DEP_3) | instskip(SKIP_1) | instid1(VALU_DEP_3)
	v_pk_fma_f32 v[128:129], v[108:109], v[236:237], v[126:127] neg_lo:[0,0,1] neg_hi:[0,0,1]
	v_pk_fma_f32 v[108:109], v[108:109], v[236:237], v[126:127] op_sel_hi:[1,0,1]
	v_dual_mov_b32 v126, v239 :: v_dual_fma_f32 v11, v132, v136, -v11
	s_delay_alu instid0(VALU_DEP_2) | instskip(NEXT) | instid1(VALU_DEP_2)
	v_mov_b32_e32 v129, v109
	v_add_f32_e32 v9, v9, v11
	v_mul_f32_e32 v11, v135, v139
	s_delay_alu instid0(VALU_DEP_1) | instskip(NEXT) | instid1(VALU_DEP_1)
	v_fma_f32 v11, v134, v138, -v11
	v_add_f32_e32 v9, v9, v11
	v_mul_f32_e32 v11, v141, v145
	s_delay_alu instid0(VALU_DEP_1) | instskip(NEXT) | instid1(VALU_DEP_1)
	v_fma_f32 v11, v140, v144, -v11
	;; [unrolled: 4-line block ×23, first 2 shown]
	v_add_f32_e32 v252, v9, v11
	v_mul_f32_e32 v9, v229, v233
	s_delay_alu instid0(VALU_DEP_1) | instskip(SKIP_3) | instid1(VALU_DEP_2)
	v_dual_fma_f32 v254, v228, v232, -v9 :: v_dual_mul_f32 v9, v231, v235
	s_set_vgpr_msb 64                       ;  msbs: dst=1 src0=0 src1=0 src2=0
	v_mul_f32_e32 v1 /*v257*/, v230, v235
	s_set_vgpr_msb 0                        ;  msbs: dst=0 src0=0 src1=0 src2=0
	v_pk_add_f32 v[124:125], v[252:253], v[254:255]
	s_set_vgpr_msb 64                       ;  msbs: dst=1 src0=0 src1=0 src2=0
	v_fma_f32 v0 /*v256*/, v230, v234, -v9
	v_fmac_f32_e32 v1 /*v257*/, v231, v234
	s_set_vgpr_msb 4                        ;  msbs: dst=0 src0=0 src1=1 src2=0
	s_delay_alu instid0(VALU_DEP_1) | instskip(SKIP_1) | instid1(VALU_DEP_1)
	v_pk_add_f32 v[124:125], v[124:125], v[0:1] /*v[256:257]*/
	s_set_vgpr_msb 0                        ;  msbs: dst=0 src0=0 src1=0 src2=0
	v_pk_add_f32 v[108:109], v[124:125], v[128:129]
	v_dual_mov_b32 v124, v111 :: v_dual_mov_b32 v125, v110
	s_delay_alu instid0(VALU_DEP_1) | instskip(NEXT) | instid1(VALU_DEP_1)
	v_pk_mul_f32 v[124:125], v[124:125], v[126:127] op_sel_hi:[1,0]
	v_pk_fma_f32 v[126:127], v[110:111], v[238:239], v[124:125] neg_lo:[0,0,1] neg_hi:[0,0,1]
	v_pk_fma_f32 v[110:111], v[110:111], v[238:239], v[124:125] op_sel_hi:[1,0,1]
	s_delay_alu instid0(VALU_DEP_1) | instskip(SKIP_2) | instid1(VALU_DEP_2)
	v_mov_b32_e32 v127, v111
	s_wait_loadcnt_dscnt 0x202
	v_pk_mul_f32 v[110:111], v[112:113], v[240:241] op_sel:[1,1] op_sel_hi:[0,1]
	v_pk_add_f32 v[108:109], v[108:109], v[126:127]
	s_delay_alu instid0(VALU_DEP_2) | instskip(SKIP_2) | instid1(VALU_DEP_2)
	v_pk_fma_f32 v[124:125], v[112:113], v[240:241], v[110:111] neg_lo:[0,0,1] neg_hi:[0,0,1]
	v_pk_fma_f32 v[110:111], v[112:113], v[240:241], v[110:111] op_sel_hi:[1,0,1]
	v_dual_mov_b32 v110, v115 :: v_dual_mov_b32 v112, v243
	v_dual_mov_b32 v125, v111 :: v_dual_mov_b32 v111, v114
	s_delay_alu instid0(VALU_DEP_1) | instskip(NEXT) | instid1(VALU_DEP_2)
	v_pk_add_f32 v[108:109], v[108:109], v[124:125]
	v_pk_mul_f32 v[110:111], v[110:111], v[112:113] op_sel_hi:[1,0]
	s_delay_alu instid0(VALU_DEP_1) | instskip(SKIP_1) | instid1(VALU_DEP_1)
	v_pk_fma_f32 v[112:113], v[114:115], v[242:243], v[110:111] neg_lo:[0,0,1] neg_hi:[0,0,1]
	v_pk_fma_f32 v[110:111], v[114:115], v[242:243], v[110:111] op_sel_hi:[1,0,1]
	v_mov_b32_e32 v113, v111
	s_wait_loadcnt_dscnt 0x101
	v_pk_mul_f32 v[110:111], v[116:117], v[244:245] op_sel:[1,1] op_sel_hi:[0,1]
	s_delay_alu instid0(VALU_DEP_2) | instskip(NEXT) | instid1(VALU_DEP_2)
	v_pk_add_f32 v[108:109], v[108:109], v[112:113]
	v_pk_fma_f32 v[112:113], v[116:117], v[244:245], v[110:111] neg_lo:[0,0,1] neg_hi:[0,0,1]
	v_pk_fma_f32 v[110:111], v[116:117], v[244:245], v[110:111] op_sel_hi:[1,0,1]
	s_delay_alu instid0(VALU_DEP_1) | instskip(SKIP_1) | instid1(VALU_DEP_2)
	v_dual_mov_b32 v110, v119 :: v_dual_mov_b32 v113, v111
	v_mov_b32_e32 v111, v118
	v_pk_add_f32 v[108:109], v[108:109], v[112:113]
	v_mov_b32_e32 v112, v247
	s_delay_alu instid0(VALU_DEP_1) | instskip(NEXT) | instid1(VALU_DEP_1)
	v_pk_mul_f32 v[110:111], v[110:111], v[112:113] op_sel_hi:[1,0]
	v_pk_fma_f32 v[112:113], v[118:119], v[246:247], v[110:111] neg_lo:[0,0,1] neg_hi:[0,0,1]
	v_pk_fma_f32 v[110:111], v[118:119], v[246:247], v[110:111] op_sel_hi:[1,0,1]
	s_delay_alu instid0(VALU_DEP_1) | instskip(SKIP_2) | instid1(VALU_DEP_2)
	v_mov_b32_e32 v113, v111
	s_wait_loadcnt_dscnt 0x0
	v_pk_mul_f32 v[110:111], v[120:121], v[248:249] op_sel:[1,1] op_sel_hi:[0,1]
	v_pk_add_f32 v[108:109], v[108:109], v[112:113]
	s_delay_alu instid0(VALU_DEP_2) | instskip(SKIP_1) | instid1(VALU_DEP_1)
	v_pk_fma_f32 v[112:113], v[120:121], v[248:249], v[110:111] neg_lo:[0,0,1] neg_hi:[0,0,1]
	v_pk_fma_f32 v[110:111], v[120:121], v[248:249], v[110:111] op_sel_hi:[1,0,1]
	v_dual_mov_b32 v110, v123 :: v_dual_mov_b32 v113, v111
	v_mov_b32_e32 v111, v122
	s_delay_alu instid0(VALU_DEP_2) | instskip(SKIP_1) | instid1(VALU_DEP_1)
	v_pk_add_f32 v[108:109], v[108:109], v[112:113]
	v_mov_b32_e32 v112, v251
	v_pk_mul_f32 v[110:111], v[110:111], v[112:113] op_sel_hi:[1,0]
	s_delay_alu instid0(VALU_DEP_1) | instskip(SKIP_1) | instid1(VALU_DEP_1)
	v_pk_fma_f32 v[112:113], v[122:123], v[250:251], v[110:111] neg_lo:[0,0,1] neg_hi:[0,0,1]
	v_pk_fma_f32 v[110:111], v[122:123], v[250:251], v[110:111] op_sel_hi:[1,0,1]
	v_mov_b32_e32 v113, v111
	scratch_load_b64 v[110:111], off, off offset:96
	v_pk_add_f32 v[108:109], v[108:109], v[112:113]
	s_wait_loadcnt 0x0
	s_delay_alu instid0(VALU_DEP_1)
	v_pk_add_f32 v[108:109], v[110:111], v[108:109] neg_lo:[0,1] neg_hi:[0,1]
	scratch_store_b64 off, v[108:109], off offset:96
	s_wait_xcnt 0x0
	v_cmpx_lt_u32_e32 11, v0
	s_cbranch_execz .LBB116_309
; %bb.308:
	scratch_load_b64 v[108:109], off, off offset:88
	v_mov_b64_e32 v[110:111], 0
	scratch_store_b64 off, v[110:111], off offset:88
	s_wait_loadcnt 0x0
	ds_store_b64 v1, v[108:109]
.LBB116_309:
	s_wait_xcnt 0x0
	s_or_b32 exec_lo, exec_lo, s0
	v_mov_b32_e32 v7, 0
	s_wait_storecnt_dscnt 0x0
	s_barrier_signal -1
	s_barrier_wait -1
	ds_load_b128 v[108:111], v7 offset:528
	ds_load_b128 v[112:115], v7 offset:544
	ds_load_b128 v[116:119], v7 offset:560
	ds_load_b128 v[120:123], v7 offset:576
	s_clause 0x10
	scratch_load_b128 v[124:127], off, off offset:96
	scratch_load_b128 v[128:131], off, off offset:112
	scratch_load_b128 v[132:135], off, off offset:128
	scratch_load_b128 v[136:139], off, off offset:144
	scratch_load_b128 v[144:147], off, off offset:160
	scratch_load_b128 v[152:155], off, off offset:176
	scratch_load_b128 v[160:163], off, off offset:192
	scratch_load_b128 v[168:171], off, off offset:208
	scratch_load_b128 v[176:179], off, off offset:224
	scratch_load_b128 v[184:187], off, off offset:240
	scratch_load_b128 v[192:195], off, off offset:256
	scratch_load_b128 v[200:203], off, off offset:272
	scratch_load_b128 v[208:211], off, off offset:288
	scratch_load_b128 v[216:219], off, off offset:304
	scratch_load_b128 v[224:227], off, off offset:320
	scratch_load_b128 v[232:235], off, off offset:336
	scratch_load_b128 v[240:243], off, off offset:352
	s_mov_b32 s0, exec_lo
	s_wait_loadcnt_dscnt 0x1003
	v_mul_f32_e32 v9, v108, v125
	ds_load_b128 v[220:223], v7 offset:752
	ds_load_b128 v[228:231], v7 offset:768
	;; [unrolled: 1-line block ×4, first 2 shown]
	v_dual_fmac_f32 v9, v109, v124 :: v_dual_mul_f32 v11, v110, v127
	ds_load_b128 v[236:239], v7 offset:784
	ds_load_b128 v[156:159], v7 offset:624
	;; [unrolled: 1-line block ×3, first 2 shown]
	v_dual_add_f32 v9, 0, v9 :: v_dual_fmac_f32 v11, v111, v126
	ds_load_b128 v[172:175], v7 offset:656
	ds_load_b128 v[180:183], v7 offset:672
	;; [unrolled: 1-line block ×4, first 2 shown]
	s_wait_loadcnt_dscnt 0xf0d
	v_dual_add_f32 v9, v9, v11 :: v_dual_mul_f32 v11, v112, v129
	ds_load_b128 v[204:207], v7 offset:720
	ds_load_b128 v[212:215], v7 offset:736
	s_clause 0x4
	scratch_load_b128 v[244:247], off, off offset:368
	scratch_load_b128 v[248:251], off, off offset:384
	;; [unrolled: 1-line block ×3, first 2 shown]
	s_set_vgpr_msb 64                       ;  msbs: dst=1 src0=0 src1=0 src2=0
	scratch_load_b64 v[6:7] /*v[262:263]*/, off, off offset:416
	s_set_vgpr_msb 0                        ;  msbs: dst=0 src0=0 src1=0 src2=0
	v_fmac_f32_e32 v11, v113, v128
	s_wait_loadcnt_dscnt 0x408
	s_set_vgpr_msb 64                       ;  msbs: dst=1 src0=0 src1=0 src2=0
	v_dual_mul_f32 v3 /*v259*/, v230, v235 :: v_dual_mul_f32 v5 /*v261*/, v236, v241
	s_set_vgpr_msb 0                        ;  msbs: dst=0 src0=0 src1=0 src2=0
	v_add_f32_e32 v9, v9, v11
	v_mul_f32_e32 v11, v114, v131
	s_set_vgpr_msb 64                       ;  msbs: dst=1 src0=0 src1=0 src2=0
	v_dual_fmac_f32 v3 /*v259*/, v231, v234 :: v_dual_fmac_f32 v5 /*v261*/, v237, v240
	s_set_vgpr_msb 0                        ;  msbs: dst=0 src0=0 src1=0 src2=0
	s_delay_alu instid0(VALU_DEP_2) | instskip(NEXT) | instid1(VALU_DEP_1)
	v_fmac_f32_e32 v11, v115, v130
	v_dual_add_f32 v9, v9, v11 :: v_dual_mul_f32 v11, v116, v133
	s_delay_alu instid0(VALU_DEP_1) | instskip(NEXT) | instid1(VALU_DEP_1)
	v_fmac_f32_e32 v11, v117, v132
	v_add_f32_e32 v9, v9, v11
	v_mul_f32_e32 v11, v118, v135
	s_delay_alu instid0(VALU_DEP_1) | instskip(NEXT) | instid1(VALU_DEP_1)
	v_fmac_f32_e32 v11, v119, v134
	v_dual_add_f32 v9, v9, v11 :: v_dual_mul_f32 v11, v120, v137
	s_delay_alu instid0(VALU_DEP_1) | instskip(NEXT) | instid1(VALU_DEP_1)
	v_fmac_f32_e32 v11, v121, v136
	v_add_f32_e32 v9, v9, v11
	v_mul_f32_e32 v11, v122, v139
	s_delay_alu instid0(VALU_DEP_1) | instskip(NEXT) | instid1(VALU_DEP_1)
	;; [unrolled: 7-line block ×3, first 2 shown]
	v_fmac_f32_e32 v11, v143, v146
	v_dual_add_f32 v9, v9, v11 :: v_dual_mul_f32 v11, v148, v153
	s_delay_alu instid0(VALU_DEP_1) | instskip(NEXT) | instid1(VALU_DEP_1)
	v_fmac_f32_e32 v11, v149, v152
	v_add_f32_e32 v9, v9, v11
	v_mul_f32_e32 v11, v150, v155
	s_delay_alu instid0(VALU_DEP_1) | instskip(SKIP_1) | instid1(VALU_DEP_1)
	v_fmac_f32_e32 v11, v151, v154
	s_wait_dscnt 0x7
	v_dual_add_f32 v9, v9, v11 :: v_dual_mul_f32 v11, v156, v161
	s_delay_alu instid0(VALU_DEP_1) | instskip(NEXT) | instid1(VALU_DEP_1)
	v_fmac_f32_e32 v11, v157, v160
	v_add_f32_e32 v9, v9, v11
	v_mul_f32_e32 v11, v158, v163
	s_delay_alu instid0(VALU_DEP_1) | instskip(SKIP_1) | instid1(VALU_DEP_1)
	v_fmac_f32_e32 v11, v159, v162
	s_wait_dscnt 0x6
	;; [unrolled: 8-line block ×8, first 2 shown]
	v_dual_add_f32 v9, v9, v11 :: v_dual_mul_f32 v11, v212, v217
	s_delay_alu instid0(VALU_DEP_1) | instskip(NEXT) | instid1(VALU_DEP_1)
	v_fmac_f32_e32 v11, v213, v216
	v_add_f32_e32 v9, v9, v11
	v_mul_f32_e32 v11, v214, v219
	s_delay_alu instid0(VALU_DEP_1) | instskip(NEXT) | instid1(VALU_DEP_1)
	v_fmac_f32_e32 v11, v215, v218
	v_dual_add_f32 v9, v9, v11 :: v_dual_mul_f32 v11, v220, v225
	s_delay_alu instid0(VALU_DEP_1) | instskip(NEXT) | instid1(VALU_DEP_1)
	v_fmac_f32_e32 v11, v221, v224
	v_add_f32_e32 v9, v9, v11
	v_mul_f32_e32 v11, v222, v227
	s_delay_alu instid0(VALU_DEP_1) | instskip(NEXT) | instid1(VALU_DEP_1)
	v_fmac_f32_e32 v11, v223, v226
	v_dual_add_f32 v9, v9, v11 :: v_dual_mul_f32 v11, v228, v233
	s_delay_alu instid0(VALU_DEP_1) | instskip(SKIP_1) | instid1(VALU_DEP_1)
	v_fmac_f32_e32 v11, v229, v232
	s_set_vgpr_msb 64                       ;  msbs: dst=1 src0=0 src1=0 src2=0
	v_add_f32_e32 v1 /*v257*/, v9, v11
	s_set_vgpr_msb 0                        ;  msbs: dst=0 src0=0 src1=0 src2=0
	v_dual_mul_f32 v9, v109, v125 :: v_dual_mul_f32 v11, v111, v127
	s_delay_alu instid0(VALU_DEP_1) | instskip(NEXT) | instid1(VALU_DEP_2)
	v_dual_mov_b32 v125, v238 :: v_dual_fma_f32 v9, v108, v124, -v9
	v_dual_fma_f32 v11, v110, v126, -v11 :: v_dual_mov_b32 v124, v239
	s_delay_alu instid0(VALU_DEP_2) | instskip(NEXT) | instid1(VALU_DEP_1)
	v_dual_mov_b32 v126, v243 :: v_dual_add_f32 v9, 0, v9
	v_pk_mul_f32 v[124:125], v[124:125], v[126:127] op_sel_hi:[1,0]
	s_delay_alu instid0(VALU_DEP_2) | instskip(SKIP_1) | instid1(VALU_DEP_3)
	v_add_f32_e32 v9, v9, v11
	v_mul_f32_e32 v11, v113, v129
	v_pk_fma_f32 v[126:127], v[238:239], v[242:243], v[124:125] neg_lo:[0,0,1] neg_hi:[0,0,1]
	v_pk_fma_f32 v[124:125], v[238:239], v[242:243], v[124:125] op_sel_hi:[1,0,1]
	s_delay_alu instid0(VALU_DEP_1) | instskip(NEXT) | instid1(VALU_DEP_1)
	v_dual_fma_f32 v11, v112, v128, -v11 :: v_dual_mov_b32 v127, v125
	v_add_f32_e32 v9, v9, v11
	v_mul_f32_e32 v11, v115, v131
	s_delay_alu instid0(VALU_DEP_1) | instskip(NEXT) | instid1(VALU_DEP_1)
	v_fma_f32 v11, v114, v130, -v11
	v_add_f32_e32 v9, v9, v11
	v_mul_f32_e32 v11, v117, v133
	s_delay_alu instid0(VALU_DEP_1) | instskip(NEXT) | instid1(VALU_DEP_1)
	v_fma_f32 v11, v116, v132, -v11
	;; [unrolled: 4-line block ×3, first 2 shown]
	v_add_f32_e32 v9, v9, v11
	v_mul_f32_e32 v11, v121, v137
	s_delay_alu instid0(VALU_DEP_1)
	v_fma_f32 v11, v120, v136, -v11
	ds_load_b128 v[108:111], v7 offset:800
	ds_load_b128 v[112:115], v7 offset:816
	;; [unrolled: 1-line block ×3, first 2 shown]
	ds_load_b64 v[120:121], v7 offset:848
	v_add_f32_e32 v9, v9, v11
	v_mul_f32_e32 v11, v123, v139
	s_delay_alu instid0(VALU_DEP_1) | instskip(NEXT) | instid1(VALU_DEP_1)
	v_fma_f32 v11, v122, v138, -v11
	v_add_f32_e32 v9, v9, v11
	v_mul_f32_e32 v11, v141, v145
	s_wait_loadcnt_dscnt 0x303
	v_pk_mul_f32 v[124:125], v[108:109], v[244:245] op_sel:[1,1] op_sel_hi:[0,1]
	s_delay_alu instid0(VALU_DEP_2) | instskip(NEXT) | instid1(VALU_DEP_1)
	v_fma_f32 v11, v140, v144, -v11
	v_add_f32_e32 v9, v9, v11
	v_mul_f32_e32 v11, v143, v147
	s_delay_alu instid0(VALU_DEP_1) | instskip(NEXT) | instid1(VALU_DEP_1)
	v_fma_f32 v11, v142, v146, -v11
	v_add_f32_e32 v9, v9, v11
	v_mul_f32_e32 v11, v149, v153
	s_delay_alu instid0(VALU_DEP_1) | instskip(NEXT) | instid1(VALU_DEP_1)
	;; [unrolled: 4-line block ×21, first 2 shown]
	v_fma_f32 v11, v222, v226, -v11
	v_add_f32_e32 v9, v9, v11
	v_mul_f32_e32 v11, v229, v233
	s_delay_alu instid0(VALU_DEP_1) | instskip(SKIP_1) | instid1(VALU_DEP_1)
	v_fma_f32 v11, v228, v232, -v11
	s_set_vgpr_msb 64                       ;  msbs: dst=1 src0=0 src1=0 src2=0
	v_add_f32_e32 v0 /*v256*/, v9, v11
	s_set_vgpr_msb 0                        ;  msbs: dst=0 src0=0 src1=0 src2=0
	v_mul_f32_e32 v9, v231, v235
	s_set_vgpr_msb 64                       ;  msbs: dst=1 src0=0 src1=0 src2=0
	s_delay_alu instid0(VALU_DEP_1) | instskip(SKIP_3) | instid1(VALU_DEP_2)
	v_fma_f32 v2 /*v258*/, v230, v234, -v9
	s_set_vgpr_msb 0                        ;  msbs: dst=0 src0=0 src1=0 src2=0
	v_mul_f32_e32 v9, v237, v241
	s_set_vgpr_msb 5                        ;  msbs: dst=0 src0=1 src1=1 src2=0
	v_pk_add_f32 v[122:123], v[0:1] /*v[256:257]*/, v[2:3] /*v[258:259]*/
	s_set_vgpr_msb 64                       ;  msbs: dst=1 src0=0 src1=0 src2=0
	s_delay_alu instid0(VALU_DEP_2) | instskip(SKIP_1) | instid1(VALU_DEP_1)
	v_fma_f32 v4 /*v260*/, v236, v240, -v9
	s_set_vgpr_msb 4                        ;  msbs: dst=0 src0=0 src1=1 src2=0
	v_pk_add_f32 v[122:123], v[122:123], v[4:5] /*v[260:261]*/
	s_set_vgpr_msb 0                        ;  msbs: dst=0 src0=0 src1=0 src2=0
	s_delay_alu instid0(VALU_DEP_1) | instskip(SKIP_2) | instid1(VALU_DEP_1)
	v_pk_add_f32 v[122:123], v[122:123], v[126:127]
	v_pk_fma_f32 v[126:127], v[108:109], v[244:245], v[124:125] neg_lo:[0,0,1] neg_hi:[0,0,1]
	v_pk_fma_f32 v[108:109], v[108:109], v[244:245], v[124:125] op_sel_hi:[1,0,1]
	v_dual_mov_b32 v124, v247 :: v_dual_mov_b32 v127, v109
	s_delay_alu instid0(VALU_DEP_1) | instskip(SKIP_1) | instid1(VALU_DEP_1)
	v_pk_add_f32 v[108:109], v[122:123], v[126:127]
	v_dual_mov_b32 v122, v111 :: v_dual_mov_b32 v123, v110
	v_pk_mul_f32 v[122:123], v[122:123], v[124:125] op_sel_hi:[1,0]
	s_delay_alu instid0(VALU_DEP_1) | instskip(SKIP_1) | instid1(VALU_DEP_1)
	v_pk_fma_f32 v[124:125], v[110:111], v[246:247], v[122:123] neg_lo:[0,0,1] neg_hi:[0,0,1]
	v_pk_fma_f32 v[110:111], v[110:111], v[246:247], v[122:123] op_sel_hi:[1,0,1]
	v_mov_b32_e32 v125, v111
	s_wait_loadcnt_dscnt 0x202
	v_pk_mul_f32 v[110:111], v[112:113], v[248:249] op_sel:[1,1] op_sel_hi:[0,1]
	s_delay_alu instid0(VALU_DEP_2) | instskip(NEXT) | instid1(VALU_DEP_2)
	v_pk_add_f32 v[108:109], v[108:109], v[124:125]
	v_pk_fma_f32 v[122:123], v[112:113], v[248:249], v[110:111] neg_lo:[0,0,1] neg_hi:[0,0,1]
	v_pk_fma_f32 v[110:111], v[112:113], v[248:249], v[110:111] op_sel_hi:[1,0,1]
	v_dual_mov_b32 v110, v115 :: v_dual_mov_b32 v112, v251
	s_delay_alu instid0(VALU_DEP_2) | instskip(NEXT) | instid1(VALU_DEP_1)
	v_dual_mov_b32 v123, v111 :: v_dual_mov_b32 v111, v114
	v_pk_add_f32 v[108:109], v[108:109], v[122:123]
	s_delay_alu instid0(VALU_DEP_2) | instskip(NEXT) | instid1(VALU_DEP_1)
	v_pk_mul_f32 v[110:111], v[110:111], v[112:113] op_sel_hi:[1,0]
	v_pk_fma_f32 v[112:113], v[114:115], v[250:251], v[110:111] neg_lo:[0,0,1] neg_hi:[0,0,1]
	v_pk_fma_f32 v[110:111], v[114:115], v[250:251], v[110:111] op_sel_hi:[1,0,1]
	s_delay_alu instid0(VALU_DEP_1) | instskip(SKIP_2) | instid1(VALU_DEP_2)
	v_mov_b32_e32 v113, v111
	s_wait_loadcnt_dscnt 0x101
	v_pk_mul_f32 v[110:111], v[116:117], v[252:253] op_sel:[1,1] op_sel_hi:[0,1]
	v_pk_add_f32 v[108:109], v[108:109], v[112:113]
	s_delay_alu instid0(VALU_DEP_2) | instskip(SKIP_1) | instid1(VALU_DEP_1)
	v_pk_fma_f32 v[112:113], v[116:117], v[252:253], v[110:111] neg_lo:[0,0,1] neg_hi:[0,0,1]
	v_pk_fma_f32 v[110:111], v[116:117], v[252:253], v[110:111] op_sel_hi:[1,0,1]
	v_dual_mov_b32 v110, v119 :: v_dual_mov_b32 v113, v111
	v_mov_b32_e32 v111, v118
	s_delay_alu instid0(VALU_DEP_2) | instskip(SKIP_1) | instid1(VALU_DEP_1)
	v_pk_add_f32 v[108:109], v[108:109], v[112:113]
	v_mov_b32_e32 v112, v255
	v_pk_mul_f32 v[110:111], v[110:111], v[112:113] op_sel_hi:[1,0]
	s_delay_alu instid0(VALU_DEP_1) | instskip(SKIP_1) | instid1(VALU_DEP_1)
	v_pk_fma_f32 v[112:113], v[118:119], v[254:255], v[110:111] neg_lo:[0,0,1] neg_hi:[0,0,1]
	v_pk_fma_f32 v[110:111], v[118:119], v[254:255], v[110:111] op_sel_hi:[1,0,1]
	v_mov_b32_e32 v113, v111
	s_wait_loadcnt_dscnt 0x0
	s_set_vgpr_msb 4                        ;  msbs: dst=0 src0=0 src1=1 src2=0
	v_pk_mul_f32 v[110:111], v[120:121], v[6:7] /*v[262:263]*/ op_sel:[1,1] op_sel_hi:[0,1]
	s_set_vgpr_msb 0                        ;  msbs: dst=0 src0=0 src1=0 src2=0
	v_pk_add_f32 v[108:109], v[108:109], v[112:113]
	s_set_vgpr_msb 4                        ;  msbs: dst=0 src0=0 src1=1 src2=0
	s_delay_alu instid0(VALU_DEP_2) | instskip(SKIP_1) | instid1(VALU_DEP_1)
	v_pk_fma_f32 v[112:113], v[120:121], v[6:7] /*v[262:263]*/, v[110:111] neg_lo:[0,0,1] neg_hi:[0,0,1]
	v_pk_fma_f32 v[110:111], v[120:121], v[6:7] /*v[262:263]*/, v[110:111] op_sel_hi:[1,0,1]
	v_mov_b32_e32 v113, v111
	scratch_load_b64 v[110:111], off, off offset:88
	s_set_vgpr_msb 0                        ;  msbs: dst=0 src0=0 src1=0 src2=0
	v_pk_add_f32 v[108:109], v[108:109], v[112:113]
	s_wait_loadcnt 0x0
	s_delay_alu instid0(VALU_DEP_1)
	v_pk_add_f32 v[108:109], v[110:111], v[108:109] neg_lo:[0,1] neg_hi:[0,1]
	scratch_store_b64 off, v[108:109], off offset:88
	s_wait_xcnt 0x0
	v_cmpx_lt_u32_e32 10, v0
	s_cbranch_execz .LBB116_311
; %bb.310:
	scratch_load_b64 v[108:109], off, off offset:80
	v_mov_b64_e32 v[110:111], 0
	scratch_store_b64 off, v[110:111], off offset:80
	s_wait_loadcnt 0x0
	ds_store_b64 v1, v[108:109]
.LBB116_311:
	s_wait_xcnt 0x0
	s_or_b32 exec_lo, exec_lo, s0
	s_wait_storecnt_dscnt 0x0
	s_barrier_signal -1
	s_barrier_wait -1
	s_clause 0xf
	scratch_load_b128 v[112:115], off, off offset:88
	scratch_load_b128 v[120:123], off, off offset:104
	;; [unrolled: 1-line block ×16, first 2 shown]
	ds_load_2addr_b64 v[108:111], v7 offset0:65 offset1:66
	ds_load_2addr_b64 v[116:119], v7 offset0:67 offset1:68
	;; [unrolled: 1-line block ×7, first 2 shown]
	scratch_load_b128 v[240:243], off, off offset:344
	ds_load_2addr_b64 v[156:159], v7 offset0:77 offset1:78
	ds_load_2addr_b64 v[164:167], v7 offset0:79 offset1:80
	;; [unrolled: 1-line block ×10, first 2 shown]
	s_clause 0x4
	scratch_load_b128 v[244:247], off, off offset:360
	scratch_load_b128 v[248:251], off, off offset:376
	;; [unrolled: 1-line block ×3, first 2 shown]
	s_set_vgpr_msb 64                       ;  msbs: dst=1 src0=0 src1=0 src2=0
	scratch_load_b128 v[0:3] /*v[256:259]*/, off, off offset:408
	s_mov_b32 s0, exec_lo
	s_wait_loadcnt_dscnt 0x1410
	s_set_vgpr_msb 0                        ;  msbs: dst=0 src0=0 src1=0 src2=0
	v_dual_mul_f32 v9, v108, v113 :: v_dual_mul_f32 v11, v110, v115
	s_delay_alu instid0(VALU_DEP_1) | instskip(NEXT) | instid1(VALU_DEP_1)
	v_dual_fmac_f32 v9, v109, v112 :: v_dual_fmac_f32 v11, v111, v114
	v_add_f32_e32 v9, 0, v9
	s_wait_loadcnt_dscnt 0x130f
	s_delay_alu instid0(VALU_DEP_1) | instskip(NEXT) | instid1(VALU_DEP_1)
	v_dual_add_f32 v9, v9, v11 :: v_dual_mul_f32 v11, v116, v121
	v_fmac_f32_e32 v11, v117, v120
	s_wait_loadcnt_dscnt 0x40a
	s_set_vgpr_msb 64                       ;  msbs: dst=1 src0=0 src1=0 src2=0
	v_dual_mul_f32 v7 /*v263*/, v236, v241 :: v_dual_mul_f32 v9 /*v265*/, v238, v243
	s_set_vgpr_msb 0                        ;  msbs: dst=0 src0=0 src1=0 src2=0
	v_add_f32_e32 v9, v9, v11
	v_mul_f32_e32 v11, v118, v123
	s_set_vgpr_msb 64                       ;  msbs: dst=1 src0=0 src1=0 src2=0
	v_fmac_f32_e32 v7 /*v263*/, v237, v240
	s_set_vgpr_msb 0                        ;  msbs: dst=0 src0=0 src1=0 src2=0
	s_delay_alu instid0(VALU_DEP_2) | instskip(NEXT) | instid1(VALU_DEP_1)
	v_fmac_f32_e32 v11, v119, v122
	v_dual_add_f32 v9, v9, v11 :: v_dual_mul_f32 v11, v124, v129
	s_delay_alu instid0(VALU_DEP_1) | instskip(NEXT) | instid1(VALU_DEP_1)
	v_fmac_f32_e32 v11, v125, v128
	v_add_f32_e32 v9, v9, v11
	v_mul_f32_e32 v11, v126, v131
	s_delay_alu instid0(VALU_DEP_1) | instskip(NEXT) | instid1(VALU_DEP_1)
	v_fmac_f32_e32 v11, v127, v130
	v_dual_add_f32 v9, v9, v11 :: v_dual_mul_f32 v11, v132, v137
	s_delay_alu instid0(VALU_DEP_1) | instskip(NEXT) | instid1(VALU_DEP_1)
	v_fmac_f32_e32 v11, v133, v136
	v_add_f32_e32 v9, v9, v11
	v_mul_f32_e32 v11, v134, v139
	s_delay_alu instid0(VALU_DEP_1) | instskip(NEXT) | instid1(VALU_DEP_1)
	;; [unrolled: 7-line block ×3, first 2 shown]
	v_fmac_f32_e32 v11, v143, v146
	v_dual_add_f32 v9, v9, v11 :: v_dual_mul_f32 v11, v148, v153
	s_delay_alu instid0(VALU_DEP_1) | instskip(NEXT) | instid1(VALU_DEP_1)
	v_fmac_f32_e32 v11, v149, v152
	v_add_f32_e32 v9, v9, v11
	v_mul_f32_e32 v11, v150, v155
	s_delay_alu instid0(VALU_DEP_1) | instskip(SKIP_1) | instid1(VALU_DEP_1)
	v_fmac_f32_e32 v11, v151, v154
	s_wait_dscnt 0x9
	v_dual_add_f32 v9, v9, v11 :: v_dual_mul_f32 v11, v156, v161
	s_delay_alu instid0(VALU_DEP_1) | instskip(NEXT) | instid1(VALU_DEP_1)
	v_fmac_f32_e32 v11, v157, v160
	v_add_f32_e32 v9, v9, v11
	v_mul_f32_e32 v11, v158, v163
	s_delay_alu instid0(VALU_DEP_1) | instskip(SKIP_1) | instid1(VALU_DEP_1)
	v_fmac_f32_e32 v11, v159, v162
	s_wait_dscnt 0x8
	;; [unrolled: 8-line block ×10, first 2 shown]
	v_dual_add_f32 v9, v9, v11 :: v_dual_mul_f32 v11, v228, v233
	s_delay_alu instid0(VALU_DEP_1) | instskip(NEXT) | instid1(VALU_DEP_1)
	v_fmac_f32_e32 v11, v229, v232
	v_add_f32_e32 v9, v9, v11
	v_mul_f32_e32 v11, v230, v235
	s_delay_alu instid0(VALU_DEP_1) | instskip(SKIP_1) | instid1(VALU_DEP_1)
	v_fmac_f32_e32 v11, v231, v234
	s_set_vgpr_msb 64                       ;  msbs: dst=1 src0=0 src1=0 src2=0
	v_add_f32_e32 v5 /*v261*/, v9, v11
	s_set_vgpr_msb 0                        ;  msbs: dst=0 src0=0 src1=0 src2=0
	v_dual_mul_f32 v9, v109, v113 :: v_dual_mul_f32 v11, v111, v115
	s_delay_alu instid0(VALU_DEP_1) | instskip(NEXT) | instid1(VALU_DEP_1)
	v_dual_fma_f32 v9, v108, v112, -v9 :: v_dual_fma_f32 v11, v110, v114, -v11
	v_add_f32_e32 v9, 0, v9
	s_delay_alu instid0(VALU_DEP_1) | instskip(SKIP_1) | instid1(VALU_DEP_1)
	v_add_f32_e32 v9, v9, v11
	v_mul_f32_e32 v11, v117, v121
	v_fma_f32 v11, v116, v120, -v11
	s_delay_alu instid0(VALU_DEP_1) | instskip(SKIP_1) | instid1(VALU_DEP_1)
	v_add_f32_e32 v9, v9, v11
	v_mul_f32_e32 v11, v119, v123
	v_fma_f32 v11, v118, v122, -v11
	ds_load_2addr_b64 v[108:111], v7 offset0:99 offset1:100
	ds_load_2addr_b64 v[112:115], v7 offset0:101 offset1:102
	;; [unrolled: 1-line block ×4, first 2 shown]
	v_add_f32_e32 v9, v9, v11
	v_mul_f32_e32 v11, v125, v129
	s_delay_alu instid0(VALU_DEP_1) | instskip(NEXT) | instid1(VALU_DEP_1)
	v_fma_f32 v11, v124, v128, -v11
	v_add_f32_e32 v9, v9, v11
	v_mul_f32_e32 v11, v127, v131
	s_delay_alu instid0(VALU_DEP_1) | instskip(SKIP_2) | instid1(VALU_DEP_2)
	v_fma_f32 v11, v126, v130, -v11
	s_wait_loadcnt_dscnt 0x303
	v_pk_mul_f32 v[126:127], v[108:109], v[244:245] op_sel:[1,1] op_sel_hi:[0,1]
	v_add_f32_e32 v9, v9, v11
	v_mul_f32_e32 v11, v133, v137
	s_delay_alu instid0(VALU_DEP_3) | instskip(SKIP_1) | instid1(VALU_DEP_3)
	v_pk_fma_f32 v[128:129], v[108:109], v[244:245], v[126:127] neg_lo:[0,0,1] neg_hi:[0,0,1]
	v_pk_fma_f32 v[108:109], v[108:109], v[244:245], v[126:127] op_sel_hi:[1,0,1]
	v_dual_mov_b32 v126, v247 :: v_dual_fma_f32 v11, v132, v136, -v11
	s_delay_alu instid0(VALU_DEP_2) | instskip(NEXT) | instid1(VALU_DEP_2)
	v_mov_b32_e32 v129, v109
	v_add_f32_e32 v9, v9, v11
	v_mul_f32_e32 v11, v135, v139
	s_delay_alu instid0(VALU_DEP_1) | instskip(NEXT) | instid1(VALU_DEP_1)
	v_fma_f32 v11, v134, v138, -v11
	v_add_f32_e32 v9, v9, v11
	v_mul_f32_e32 v11, v141, v145
	s_delay_alu instid0(VALU_DEP_1) | instskip(NEXT) | instid1(VALU_DEP_1)
	v_fma_f32 v11, v140, v144, -v11
	;; [unrolled: 4-line block ×24, first 2 shown]
	v_add_f32_e32 v9, v9, v11
	v_mul_f32_e32 v11, v231, v235
	s_delay_alu instid0(VALU_DEP_1) | instskip(SKIP_1) | instid1(VALU_DEP_1)
	v_fma_f32 v11, v230, v234, -v11
	s_set_vgpr_msb 64                       ;  msbs: dst=1 src0=0 src1=0 src2=0
	v_dual_fmac_f32 v9 /*v265*/, v239, v242 :: v_dual_add_f32 v4 /*v260*/, v9, v11
	s_set_vgpr_msb 0                        ;  msbs: dst=0 src0=0 src1=0 src2=0
	v_mul_f32_e32 v9, v237, v241
	s_set_vgpr_msb 64                       ;  msbs: dst=1 src0=0 src1=0 src2=0
	s_delay_alu instid0(VALU_DEP_1) | instskip(SKIP_3) | instid1(VALU_DEP_1)
	v_fma_f32 v6 /*v262*/, v236, v240, -v9
	s_set_vgpr_msb 0                        ;  msbs: dst=0 src0=0 src1=0 src2=0
	v_mul_f32_e32 v9, v239, v243
	s_set_vgpr_msb 64                       ;  msbs: dst=1 src0=0 src1=0 src2=0
	v_fma_f32 v8 /*v264*/, v238, v242, -v9
	s_set_vgpr_msb 5                        ;  msbs: dst=0 src0=1 src1=1 src2=0
	v_pk_add_f32 v[124:125], v[4:5] /*v[260:261]*/, v[6:7] /*v[262:263]*/
	s_set_vgpr_msb 4                        ;  msbs: dst=0 src0=0 src1=1 src2=0
	s_delay_alu instid0(VALU_DEP_1) | instskip(SKIP_1) | instid1(VALU_DEP_1)
	v_pk_add_f32 v[124:125], v[124:125], v[8:9] /*v[264:265]*/
	s_set_vgpr_msb 0                        ;  msbs: dst=0 src0=0 src1=0 src2=0
	v_pk_add_f32 v[108:109], v[124:125], v[128:129]
	v_dual_mov_b32 v124, v111 :: v_dual_mov_b32 v125, v110
	s_delay_alu instid0(VALU_DEP_1) | instskip(NEXT) | instid1(VALU_DEP_1)
	v_pk_mul_f32 v[124:125], v[124:125], v[126:127] op_sel_hi:[1,0]
	v_pk_fma_f32 v[126:127], v[110:111], v[246:247], v[124:125] neg_lo:[0,0,1] neg_hi:[0,0,1]
	v_pk_fma_f32 v[110:111], v[110:111], v[246:247], v[124:125] op_sel_hi:[1,0,1]
	s_delay_alu instid0(VALU_DEP_1) | instskip(SKIP_2) | instid1(VALU_DEP_2)
	v_mov_b32_e32 v127, v111
	s_wait_loadcnt_dscnt 0x202
	v_pk_mul_f32 v[110:111], v[112:113], v[248:249] op_sel:[1,1] op_sel_hi:[0,1]
	v_pk_add_f32 v[108:109], v[108:109], v[126:127]
	s_delay_alu instid0(VALU_DEP_2) | instskip(SKIP_2) | instid1(VALU_DEP_2)
	v_pk_fma_f32 v[124:125], v[112:113], v[248:249], v[110:111] neg_lo:[0,0,1] neg_hi:[0,0,1]
	v_pk_fma_f32 v[110:111], v[112:113], v[248:249], v[110:111] op_sel_hi:[1,0,1]
	v_dual_mov_b32 v110, v115 :: v_dual_mov_b32 v112, v251
	v_dual_mov_b32 v125, v111 :: v_dual_mov_b32 v111, v114
	s_delay_alu instid0(VALU_DEP_1) | instskip(NEXT) | instid1(VALU_DEP_2)
	v_pk_add_f32 v[108:109], v[108:109], v[124:125]
	v_pk_mul_f32 v[110:111], v[110:111], v[112:113] op_sel_hi:[1,0]
	s_delay_alu instid0(VALU_DEP_1) | instskip(SKIP_1) | instid1(VALU_DEP_1)
	v_pk_fma_f32 v[112:113], v[114:115], v[250:251], v[110:111] neg_lo:[0,0,1] neg_hi:[0,0,1]
	v_pk_fma_f32 v[110:111], v[114:115], v[250:251], v[110:111] op_sel_hi:[1,0,1]
	v_mov_b32_e32 v113, v111
	s_wait_loadcnt_dscnt 0x101
	v_pk_mul_f32 v[110:111], v[116:117], v[252:253] op_sel:[1,1] op_sel_hi:[0,1]
	s_delay_alu instid0(VALU_DEP_2) | instskip(NEXT) | instid1(VALU_DEP_2)
	v_pk_add_f32 v[108:109], v[108:109], v[112:113]
	v_pk_fma_f32 v[112:113], v[116:117], v[252:253], v[110:111] neg_lo:[0,0,1] neg_hi:[0,0,1]
	v_pk_fma_f32 v[110:111], v[116:117], v[252:253], v[110:111] op_sel_hi:[1,0,1]
	s_delay_alu instid0(VALU_DEP_1) | instskip(SKIP_1) | instid1(VALU_DEP_2)
	v_dual_mov_b32 v110, v119 :: v_dual_mov_b32 v113, v111
	v_mov_b32_e32 v111, v118
	v_pk_add_f32 v[108:109], v[108:109], v[112:113]
	v_mov_b32_e32 v112, v255
	s_delay_alu instid0(VALU_DEP_1) | instskip(NEXT) | instid1(VALU_DEP_1)
	v_pk_mul_f32 v[110:111], v[110:111], v[112:113] op_sel_hi:[1,0]
	v_pk_fma_f32 v[112:113], v[118:119], v[254:255], v[110:111] neg_lo:[0,0,1] neg_hi:[0,0,1]
	v_pk_fma_f32 v[110:111], v[118:119], v[254:255], v[110:111] op_sel_hi:[1,0,1]
	s_delay_alu instid0(VALU_DEP_1)
	v_mov_b32_e32 v113, v111
	s_wait_loadcnt_dscnt 0x0
	s_set_vgpr_msb 4                        ;  msbs: dst=0 src0=0 src1=1 src2=0
	v_pk_mul_f32 v[110:111], v[120:121], v[0:1] /*v[256:257]*/ op_sel:[1,1] op_sel_hi:[0,1]
	s_set_vgpr_msb 0                        ;  msbs: dst=0 src0=0 src1=0 src2=0
	v_pk_add_f32 v[108:109], v[108:109], v[112:113]
	s_set_vgpr_msb 4                        ;  msbs: dst=0 src0=0 src1=1 src2=0
	s_delay_alu instid0(VALU_DEP_2) | instskip(SKIP_1) | instid1(VALU_DEP_1)
	v_pk_fma_f32 v[112:113], v[120:121], v[0:1] /*v[256:257]*/, v[110:111] neg_lo:[0,0,1] neg_hi:[0,0,1]
	v_pk_fma_f32 v[110:111], v[120:121], v[0:1] /*v[256:257]*/, v[110:111] op_sel_hi:[1,0,1]
	v_dual_mov_b32 v110, v123 :: v_dual_mov_b32 v113, v111
	v_mov_b32_e32 v111, v122
	s_set_vgpr_msb 0                        ;  msbs: dst=0 src0=0 src1=0 src2=0
	s_delay_alu instid0(VALU_DEP_2) | instskip(SKIP_3) | instid1(VALU_DEP_1)
	v_pk_add_f32 v[108:109], v[108:109], v[112:113]
	s_set_vgpr_msb 1                        ;  msbs: dst=0 src0=1 src1=0 src2=0
	v_mov_b32_e32 v112, v3 /*v259*/
	s_set_vgpr_msb 0                        ;  msbs: dst=0 src0=0 src1=0 src2=0
	v_pk_mul_f32 v[110:111], v[110:111], v[112:113] op_sel_hi:[1,0]
	s_set_vgpr_msb 4                        ;  msbs: dst=0 src0=0 src1=1 src2=0
	s_delay_alu instid0(VALU_DEP_1) | instskip(SKIP_1) | instid1(VALU_DEP_1)
	v_pk_fma_f32 v[112:113], v[122:123], v[2:3] /*v[258:259]*/, v[110:111] neg_lo:[0,0,1] neg_hi:[0,0,1]
	v_pk_fma_f32 v[110:111], v[122:123], v[2:3] /*v[258:259]*/, v[110:111] op_sel_hi:[1,0,1]
	v_mov_b32_e32 v113, v111
	scratch_load_b64 v[110:111], off, off offset:80
	s_set_vgpr_msb 0                        ;  msbs: dst=0 src0=0 src1=0 src2=0
	v_pk_add_f32 v[108:109], v[108:109], v[112:113]
	s_wait_loadcnt 0x0
	s_delay_alu instid0(VALU_DEP_1)
	v_pk_add_f32 v[108:109], v[110:111], v[108:109] neg_lo:[0,1] neg_hi:[0,1]
	scratch_store_b64 off, v[108:109], off offset:80
	s_wait_xcnt 0x0
	v_cmpx_lt_u32_e32 9, v0
	s_cbranch_execz .LBB116_313
; %bb.312:
	scratch_load_b64 v[108:109], off, off offset:72
	v_mov_b64_e32 v[110:111], 0
	scratch_store_b64 off, v[110:111], off offset:72
	s_wait_loadcnt 0x0
	ds_store_b64 v1, v[108:109]
.LBB116_313:
	s_wait_xcnt 0x0
	s_or_b32 exec_lo, exec_lo, s0
	v_mov_b32_e32 v7, 0
	s_wait_storecnt_dscnt 0x0
	s_barrier_signal -1
	s_barrier_wait -1
	ds_load_b128 v[108:111], v7 offset:512
	ds_load_b128 v[112:115], v7 offset:528
	ds_load_b128 v[116:119], v7 offset:544
	ds_load_b128 v[120:123], v7 offset:560
	s_clause 0x11
	scratch_load_b128 v[124:127], off, off offset:80
	scratch_load_b128 v[128:131], off, off offset:96
	;; [unrolled: 1-line block ×18, first 2 shown]
	s_mov_b32 s0, exec_lo
	s_wait_loadcnt_dscnt 0x1103
	v_mul_f32_e32 v9, v108, v125
	ds_load_b128 v[236:239], v7 offset:768
	ds_load_b128 v[244:247], v7 offset:784
	ds_load_b128 v[140:143], v7 offset:576
	ds_load_b128 v[148:151], v7 offset:592
	v_dual_fmac_f32 v9, v109, v124 :: v_dual_mul_f32 v11, v110, v127
	ds_load_b128 v[156:159], v7 offset:608
	ds_load_b128 v[164:167], v7 offset:624
	;; [unrolled: 1-line block ×4, first 2 shown]
	v_dual_add_f32 v9, 0, v9 :: v_dual_fmac_f32 v11, v111, v126
	ds_load_b128 v[188:191], v7 offset:672
	ds_load_b128 v[196:199], v7 offset:688
	;; [unrolled: 1-line block ×4, first 2 shown]
	s_wait_loadcnt_dscnt 0x100e
	v_dual_add_f32 v9, v9, v11 :: v_dual_mul_f32 v11, v112, v129
	ds_load_b128 v[220:223], v7 offset:736
	ds_load_b128 v[228:231], v7 offset:752
	s_clause 0x4
	scratch_load_b128 v[252:255], off, off offset:368
	s_set_vgpr_msb 64                       ;  msbs: dst=1 src0=0 src1=0 src2=0
	scratch_load_b128 v[0:3] /*v[256:259]*/, off, off offset:384
	scratch_load_b128 v[4:7] /*v[260:263]*/, off, off offset:400
	scratch_load_b64 v[14:15] /*v[270:271]*/, off, off offset:416
	s_wait_loadcnt_dscnt 0x40c
	v_dual_mul_f32 v11 /*v267*/, v238, v243 :: v_dual_mul_f32 v13 /*v269*/, v244, v249
	s_set_vgpr_msb 0                        ;  msbs: dst=0 src0=0 src1=0 src2=0
	v_fmac_f32_e32 v11, v113, v128
	s_set_vgpr_msb 64                       ;  msbs: dst=1 src0=0 src1=0 src2=0
	s_delay_alu instid0(VALU_DEP_2) | instskip(SKIP_1) | instid1(VALU_DEP_2)
	v_dual_fmac_f32 v11 /*v267*/, v239, v242 :: v_dual_fmac_f32 v13 /*v269*/, v245, v248
	s_set_vgpr_msb 0                        ;  msbs: dst=0 src0=0 src1=0 src2=0
	v_add_f32_e32 v9, v9, v11
	v_mul_f32_e32 v11, v114, v131
	s_delay_alu instid0(VALU_DEP_1) | instskip(NEXT) | instid1(VALU_DEP_1)
	v_fmac_f32_e32 v11, v115, v130
	v_dual_add_f32 v9, v9, v11 :: v_dual_mul_f32 v11, v116, v133
	s_delay_alu instid0(VALU_DEP_1) | instskip(NEXT) | instid1(VALU_DEP_1)
	v_fmac_f32_e32 v11, v117, v132
	v_add_f32_e32 v9, v9, v11
	v_mul_f32_e32 v11, v118, v135
	s_delay_alu instid0(VALU_DEP_1) | instskip(NEXT) | instid1(VALU_DEP_1)
	v_fmac_f32_e32 v11, v119, v134
	v_dual_add_f32 v9, v9, v11 :: v_dual_mul_f32 v11, v120, v137
	s_delay_alu instid0(VALU_DEP_1) | instskip(NEXT) | instid1(VALU_DEP_1)
	v_fmac_f32_e32 v11, v121, v136
	v_add_f32_e32 v9, v9, v11
	v_mul_f32_e32 v11, v122, v139
	s_delay_alu instid0(VALU_DEP_1) | instskip(SKIP_1) | instid1(VALU_DEP_1)
	v_fmac_f32_e32 v11, v123, v138
	s_wait_dscnt 0xb
	v_dual_add_f32 v9, v9, v11 :: v_dual_mul_f32 v11, v140, v145
	s_delay_alu instid0(VALU_DEP_1) | instskip(NEXT) | instid1(VALU_DEP_1)
	v_fmac_f32_e32 v11, v141, v144
	v_add_f32_e32 v9, v9, v11
	v_mul_f32_e32 v11, v142, v147
	s_delay_alu instid0(VALU_DEP_1) | instskip(SKIP_1) | instid1(VALU_DEP_1)
	v_fmac_f32_e32 v11, v143, v146
	s_wait_dscnt 0xa
	;; [unrolled: 8-line block ×12, first 2 shown]
	v_dual_add_f32 v9, v9, v11 :: v_dual_mul_f32 v11, v228, v233
	s_delay_alu instid0(VALU_DEP_1) | instskip(NEXT) | instid1(VALU_DEP_1)
	v_fmac_f32_e32 v11, v229, v232
	v_add_f32_e32 v9, v9, v11
	v_mul_f32_e32 v11, v230, v235
	s_delay_alu instid0(VALU_DEP_1) | instskip(NEXT) | instid1(VALU_DEP_1)
	v_fmac_f32_e32 v11, v231, v234
	v_dual_add_f32 v9, v9, v11 :: v_dual_mul_f32 v11, v236, v241
	s_delay_alu instid0(VALU_DEP_1) | instskip(SKIP_1) | instid1(VALU_DEP_1)
	v_fmac_f32_e32 v11, v237, v240
	s_set_vgpr_msb 64                       ;  msbs: dst=1 src0=0 src1=0 src2=0
	v_add_f32_e32 v9 /*v265*/, v9, v11
	s_set_vgpr_msb 0                        ;  msbs: dst=0 src0=0 src1=0 src2=0
	v_dual_mul_f32 v9, v109, v125 :: v_dual_mul_f32 v11, v111, v127
	s_delay_alu instid0(VALU_DEP_1) | instskip(NEXT) | instid1(VALU_DEP_2)
	v_dual_mov_b32 v125, v246 :: v_dual_fma_f32 v9, v108, v124, -v9
	v_dual_fma_f32 v11, v110, v126, -v11 :: v_dual_mov_b32 v124, v247
	s_delay_alu instid0(VALU_DEP_2) | instskip(NEXT) | instid1(VALU_DEP_1)
	v_dual_mov_b32 v126, v251 :: v_dual_add_f32 v9, 0, v9
	v_pk_mul_f32 v[124:125], v[124:125], v[126:127] op_sel_hi:[1,0]
	s_delay_alu instid0(VALU_DEP_2) | instskip(SKIP_1) | instid1(VALU_DEP_3)
	v_add_f32_e32 v9, v9, v11
	v_mul_f32_e32 v11, v113, v129
	v_pk_fma_f32 v[126:127], v[246:247], v[250:251], v[124:125] neg_lo:[0,0,1] neg_hi:[0,0,1]
	v_pk_fma_f32 v[124:125], v[246:247], v[250:251], v[124:125] op_sel_hi:[1,0,1]
	s_delay_alu instid0(VALU_DEP_1) | instskip(NEXT) | instid1(VALU_DEP_1)
	v_dual_fma_f32 v11, v112, v128, -v11 :: v_dual_mov_b32 v127, v125
	v_add_f32_e32 v9, v9, v11
	v_mul_f32_e32 v11, v115, v131
	s_delay_alu instid0(VALU_DEP_1) | instskip(NEXT) | instid1(VALU_DEP_1)
	v_fma_f32 v11, v114, v130, -v11
	v_add_f32_e32 v9, v9, v11
	v_mul_f32_e32 v11, v117, v133
	s_delay_alu instid0(VALU_DEP_1) | instskip(NEXT) | instid1(VALU_DEP_1)
	v_fma_f32 v11, v116, v132, -v11
	;; [unrolled: 4-line block ×3, first 2 shown]
	v_add_f32_e32 v9, v9, v11
	v_mul_f32_e32 v11, v121, v137
	s_delay_alu instid0(VALU_DEP_1)
	v_fma_f32 v11, v120, v136, -v11
	ds_load_b128 v[108:111], v7 offset:800
	ds_load_b128 v[112:115], v7 offset:816
	;; [unrolled: 1-line block ×3, first 2 shown]
	ds_load_b64 v[120:121], v7 offset:848
	v_add_f32_e32 v9, v9, v11
	v_mul_f32_e32 v11, v123, v139
	s_delay_alu instid0(VALU_DEP_1) | instskip(NEXT) | instid1(VALU_DEP_1)
	v_fma_f32 v11, v122, v138, -v11
	v_add_f32_e32 v9, v9, v11
	v_mul_f32_e32 v11, v141, v145
	s_wait_loadcnt_dscnt 0x303
	v_pk_mul_f32 v[124:125], v[108:109], v[252:253] op_sel:[1,1] op_sel_hi:[0,1]
	s_delay_alu instid0(VALU_DEP_2) | instskip(NEXT) | instid1(VALU_DEP_1)
	v_fma_f32 v11, v140, v144, -v11
	v_add_f32_e32 v9, v9, v11
	v_mul_f32_e32 v11, v143, v147
	s_delay_alu instid0(VALU_DEP_1) | instskip(NEXT) | instid1(VALU_DEP_1)
	v_fma_f32 v11, v142, v146, -v11
	v_add_f32_e32 v9, v9, v11
	v_mul_f32_e32 v11, v149, v153
	s_delay_alu instid0(VALU_DEP_1) | instskip(NEXT) | instid1(VALU_DEP_1)
	;; [unrolled: 4-line block ×23, first 2 shown]
	v_fma_f32 v11, v230, v234, -v11
	v_add_f32_e32 v9, v9, v11
	v_mul_f32_e32 v11, v237, v241
	s_delay_alu instid0(VALU_DEP_1) | instskip(SKIP_1) | instid1(VALU_DEP_1)
	v_fma_f32 v11, v236, v240, -v11
	s_set_vgpr_msb 64                       ;  msbs: dst=1 src0=0 src1=0 src2=0
	v_add_f32_e32 v8 /*v264*/, v9, v11
	s_set_vgpr_msb 0                        ;  msbs: dst=0 src0=0 src1=0 src2=0
	v_mul_f32_e32 v9, v239, v243
	s_set_vgpr_msb 64                       ;  msbs: dst=1 src0=0 src1=0 src2=0
	s_delay_alu instid0(VALU_DEP_1) | instskip(SKIP_3) | instid1(VALU_DEP_2)
	v_fma_f32 v10 /*v266*/, v238, v242, -v9
	s_set_vgpr_msb 0                        ;  msbs: dst=0 src0=0 src1=0 src2=0
	v_mul_f32_e32 v9, v245, v249
	s_set_vgpr_msb 5                        ;  msbs: dst=0 src0=1 src1=1 src2=0
	v_pk_add_f32 v[122:123], v[8:9] /*v[264:265]*/, v[10:11] /*v[266:267]*/
	s_set_vgpr_msb 64                       ;  msbs: dst=1 src0=0 src1=0 src2=0
	s_delay_alu instid0(VALU_DEP_2) | instskip(SKIP_1) | instid1(VALU_DEP_1)
	v_fma_f32 v12 /*v268*/, v244, v248, -v9
	s_set_vgpr_msb 4                        ;  msbs: dst=0 src0=0 src1=1 src2=0
	v_pk_add_f32 v[122:123], v[122:123], v[12:13] /*v[268:269]*/
	s_set_vgpr_msb 0                        ;  msbs: dst=0 src0=0 src1=0 src2=0
	s_delay_alu instid0(VALU_DEP_1) | instskip(SKIP_2) | instid1(VALU_DEP_1)
	v_pk_add_f32 v[122:123], v[122:123], v[126:127]
	v_pk_fma_f32 v[126:127], v[108:109], v[252:253], v[124:125] neg_lo:[0,0,1] neg_hi:[0,0,1]
	v_pk_fma_f32 v[108:109], v[108:109], v[252:253], v[124:125] op_sel_hi:[1,0,1]
	v_dual_mov_b32 v124, v255 :: v_dual_mov_b32 v127, v109
	s_delay_alu instid0(VALU_DEP_1) | instskip(SKIP_1) | instid1(VALU_DEP_1)
	v_pk_add_f32 v[108:109], v[122:123], v[126:127]
	v_dual_mov_b32 v122, v111 :: v_dual_mov_b32 v123, v110
	v_pk_mul_f32 v[122:123], v[122:123], v[124:125] op_sel_hi:[1,0]
	s_delay_alu instid0(VALU_DEP_1) | instskip(SKIP_1) | instid1(VALU_DEP_1)
	v_pk_fma_f32 v[124:125], v[110:111], v[254:255], v[122:123] neg_lo:[0,0,1] neg_hi:[0,0,1]
	v_pk_fma_f32 v[110:111], v[110:111], v[254:255], v[122:123] op_sel_hi:[1,0,1]
	v_mov_b32_e32 v125, v111
	s_wait_loadcnt_dscnt 0x202
	s_set_vgpr_msb 4                        ;  msbs: dst=0 src0=0 src1=1 src2=0
	v_pk_mul_f32 v[110:111], v[112:113], v[0:1] /*v[256:257]*/ op_sel:[1,1] op_sel_hi:[0,1]
	s_set_vgpr_msb 0                        ;  msbs: dst=0 src0=0 src1=0 src2=0
	v_pk_add_f32 v[108:109], v[108:109], v[124:125]
	s_set_vgpr_msb 4                        ;  msbs: dst=0 src0=0 src1=1 src2=0
	s_delay_alu instid0(VALU_DEP_2)
	v_pk_fma_f32 v[122:123], v[112:113], v[0:1] /*v[256:257]*/, v[110:111] neg_lo:[0,0,1] neg_hi:[0,0,1]
	v_pk_fma_f32 v[110:111], v[112:113], v[0:1] /*v[256:257]*/, v[110:111] op_sel_hi:[1,0,1]
	v_mov_b32_e32 v110, v115
	s_set_vgpr_msb 1                        ;  msbs: dst=0 src0=1 src1=0 src2=0
	v_mov_b32_e32 v112, v3 /*v259*/
	s_set_vgpr_msb 0                        ;  msbs: dst=0 src0=0 src1=0 src2=0
	v_dual_mov_b32 v123, v111 :: v_dual_mov_b32 v111, v114
	s_delay_alu instid0(VALU_DEP_1) | instskip(NEXT) | instid1(VALU_DEP_2)
	v_pk_add_f32 v[108:109], v[108:109], v[122:123]
	v_pk_mul_f32 v[110:111], v[110:111], v[112:113] op_sel_hi:[1,0]
	s_set_vgpr_msb 4                        ;  msbs: dst=0 src0=0 src1=1 src2=0
	s_delay_alu instid0(VALU_DEP_1) | instskip(SKIP_1) | instid1(VALU_DEP_1)
	v_pk_fma_f32 v[112:113], v[114:115], v[2:3] /*v[258:259]*/, v[110:111] neg_lo:[0,0,1] neg_hi:[0,0,1]
	v_pk_fma_f32 v[110:111], v[114:115], v[2:3] /*v[258:259]*/, v[110:111] op_sel_hi:[1,0,1]
	v_mov_b32_e32 v113, v111
	s_wait_loadcnt_dscnt 0x101
	v_pk_mul_f32 v[110:111], v[116:117], v[4:5] /*v[260:261]*/ op_sel:[1,1] op_sel_hi:[0,1]
	s_set_vgpr_msb 0                        ;  msbs: dst=0 src0=0 src1=0 src2=0
	s_delay_alu instid0(VALU_DEP_2) | instskip(SKIP_1) | instid1(VALU_DEP_2)
	v_pk_add_f32 v[108:109], v[108:109], v[112:113]
	s_set_vgpr_msb 4                        ;  msbs: dst=0 src0=0 src1=1 src2=0
	v_pk_fma_f32 v[112:113], v[116:117], v[4:5] /*v[260:261]*/, v[110:111] neg_lo:[0,0,1] neg_hi:[0,0,1]
	v_pk_fma_f32 v[110:111], v[116:117], v[4:5] /*v[260:261]*/, v[110:111] op_sel_hi:[1,0,1]
	s_delay_alu instid0(VALU_DEP_1) | instskip(SKIP_2) | instid1(VALU_DEP_2)
	v_dual_mov_b32 v110, v119 :: v_dual_mov_b32 v113, v111
	v_mov_b32_e32 v111, v118
	s_set_vgpr_msb 0                        ;  msbs: dst=0 src0=0 src1=0 src2=0
	v_pk_add_f32 v[108:109], v[108:109], v[112:113]
	s_set_vgpr_msb 1                        ;  msbs: dst=0 src0=1 src1=0 src2=0
	v_mov_b32_e32 v112, v7 /*v263*/
	s_set_vgpr_msb 0                        ;  msbs: dst=0 src0=0 src1=0 src2=0
	s_delay_alu instid0(VALU_DEP_1) | instskip(SKIP_1) | instid1(VALU_DEP_1)
	v_pk_mul_f32 v[110:111], v[110:111], v[112:113] op_sel_hi:[1,0]
	s_set_vgpr_msb 4                        ;  msbs: dst=0 src0=0 src1=1 src2=0
	v_pk_fma_f32 v[112:113], v[118:119], v[6:7] /*v[262:263]*/, v[110:111] neg_lo:[0,0,1] neg_hi:[0,0,1]
	v_pk_fma_f32 v[110:111], v[118:119], v[6:7] /*v[262:263]*/, v[110:111] op_sel_hi:[1,0,1]
	s_delay_alu instid0(VALU_DEP_1) | instskip(SKIP_3) | instid1(VALU_DEP_2)
	v_mov_b32_e32 v113, v111
	s_wait_loadcnt_dscnt 0x0
	v_pk_mul_f32 v[110:111], v[120:121], v[14:15] /*v[270:271]*/ op_sel:[1,1] op_sel_hi:[0,1]
	s_set_vgpr_msb 0                        ;  msbs: dst=0 src0=0 src1=0 src2=0
	v_pk_add_f32 v[108:109], v[108:109], v[112:113]
	s_set_vgpr_msb 4                        ;  msbs: dst=0 src0=0 src1=1 src2=0
	s_delay_alu instid0(VALU_DEP_2) | instskip(SKIP_1) | instid1(VALU_DEP_1)
	v_pk_fma_f32 v[112:113], v[120:121], v[14:15] /*v[270:271]*/, v[110:111] neg_lo:[0,0,1] neg_hi:[0,0,1]
	v_pk_fma_f32 v[110:111], v[120:121], v[14:15] /*v[270:271]*/, v[110:111] op_sel_hi:[1,0,1]
	v_mov_b32_e32 v113, v111
	scratch_load_b64 v[110:111], off, off offset:72
	s_set_vgpr_msb 0                        ;  msbs: dst=0 src0=0 src1=0 src2=0
	v_pk_add_f32 v[108:109], v[108:109], v[112:113]
	s_wait_loadcnt 0x0
	s_delay_alu instid0(VALU_DEP_1)
	v_pk_add_f32 v[108:109], v[110:111], v[108:109] neg_lo:[0,1] neg_hi:[0,1]
	scratch_store_b64 off, v[108:109], off offset:72
	s_wait_xcnt 0x0
	v_cmpx_lt_u32_e32 8, v0
	s_cbranch_execz .LBB116_315
; %bb.314:
	scratch_load_b64 v[108:109], off, off offset:64
	v_mov_b64_e32 v[110:111], 0
	scratch_store_b64 off, v[110:111], off offset:64
	s_wait_loadcnt 0x0
	ds_store_b64 v1, v[108:109]
.LBB116_315:
	s_wait_xcnt 0x0
	s_or_b32 exec_lo, exec_lo, s0
	s_wait_storecnt_dscnt 0x0
	s_barrier_signal -1
	s_barrier_wait -1
	s_clause 0xf
	scratch_load_b128 v[112:115], off, off offset:72
	scratch_load_b128 v[120:123], off, off offset:88
	;; [unrolled: 1-line block ×16, first 2 shown]
	ds_load_2addr_b64 v[108:111], v7 offset0:63 offset1:64
	ds_load_2addr_b64 v[116:119], v7 offset0:65 offset1:66
	s_clause 0x1
	scratch_load_b128 v[240:243], off, off offset:328
	scratch_load_b128 v[248:251], off, off offset:344
	ds_load_2addr_b64 v[124:127], v7 offset0:67 offset1:68
	ds_load_2addr_b64 v[132:135], v7 offset0:69 offset1:70
	;; [unrolled: 1-line block ×16, first 2 shown]
	s_clause 0x4
	scratch_load_b128 v[252:255], off, off offset:360
	s_set_vgpr_msb 64                       ;  msbs: dst=1 src0=0 src1=0 src2=0
	scratch_load_b128 v[0:3] /*v[256:259]*/, off, off offset:376
	scratch_load_b128 v[4:7] /*v[260:263]*/, off, off offset:392
	;; [unrolled: 1-line block ×3, first 2 shown]
	s_mov_b32 s0, exec_lo
	s_wait_loadcnt_dscnt 0x1511
	s_set_vgpr_msb 0                        ;  msbs: dst=0 src0=0 src1=0 src2=0
	v_dual_mul_f32 v9, v108, v113 :: v_dual_mul_f32 v11, v110, v115
	s_delay_alu instid0(VALU_DEP_1) | instskip(NEXT) | instid1(VALU_DEP_1)
	v_dual_fmac_f32 v9, v109, v112 :: v_dual_fmac_f32 v11, v111, v114
	v_add_f32_e32 v9, 0, v9
	s_wait_loadcnt_dscnt 0x1410
	s_delay_alu instid0(VALU_DEP_1)
	v_dual_add_f32 v9, v9, v11 :: v_dual_mul_f32 v11, v116, v121
	s_wait_loadcnt_dscnt 0x40a
	s_set_vgpr_msb 64                       ;  msbs: dst=1 src0=0 src1=0 src2=0
	v_dual_mul_f32 v15 /*v271*/, v244, v249 :: v_dual_mul_f32 v17 /*v273*/, v246, v251
	s_set_vgpr_msb 0                        ;  msbs: dst=0 src0=0 src1=0 src2=0
	v_fmac_f32_e32 v11, v117, v120
	s_set_vgpr_msb 64                       ;  msbs: dst=1 src0=0 src1=0 src2=0
	s_delay_alu instid0(VALU_DEP_2) | instskip(SKIP_1) | instid1(VALU_DEP_2)
	v_fmac_f32_e32 v15 /*v271*/, v245, v248
	s_set_vgpr_msb 0                        ;  msbs: dst=0 src0=0 src1=0 src2=0
	v_add_f32_e32 v9, v9, v11
	v_mul_f32_e32 v11, v118, v123
	s_delay_alu instid0(VALU_DEP_1) | instskip(NEXT) | instid1(VALU_DEP_1)
	v_fmac_f32_e32 v11, v119, v122
	v_dual_add_f32 v9, v9, v11 :: v_dual_mul_f32 v11, v124, v129
	s_delay_alu instid0(VALU_DEP_1) | instskip(NEXT) | instid1(VALU_DEP_1)
	v_fmac_f32_e32 v11, v125, v128
	v_add_f32_e32 v9, v9, v11
	v_mul_f32_e32 v11, v126, v131
	s_delay_alu instid0(VALU_DEP_1) | instskip(NEXT) | instid1(VALU_DEP_1)
	v_fmac_f32_e32 v11, v127, v130
	v_dual_add_f32 v9, v9, v11 :: v_dual_mul_f32 v11, v132, v137
	s_delay_alu instid0(VALU_DEP_1) | instskip(NEXT) | instid1(VALU_DEP_1)
	v_fmac_f32_e32 v11, v133, v136
	;; [unrolled: 7-line block ×4, first 2 shown]
	v_add_f32_e32 v9, v9, v11
	v_mul_f32_e32 v11, v150, v155
	s_delay_alu instid0(VALU_DEP_1) | instskip(SKIP_1) | instid1(VALU_DEP_1)
	v_fmac_f32_e32 v11, v151, v154
	s_wait_dscnt 0x9
	v_dual_add_f32 v9, v9, v11 :: v_dual_mul_f32 v11, v156, v161
	s_delay_alu instid0(VALU_DEP_1) | instskip(NEXT) | instid1(VALU_DEP_1)
	v_fmac_f32_e32 v11, v157, v160
	v_add_f32_e32 v9, v9, v11
	v_mul_f32_e32 v11, v158, v163
	s_delay_alu instid0(VALU_DEP_1) | instskip(SKIP_1) | instid1(VALU_DEP_1)
	v_fmac_f32_e32 v11, v159, v162
	s_wait_dscnt 0x8
	v_dual_add_f32 v9, v9, v11 :: v_dual_mul_f32 v11, v164, v169
	s_delay_alu instid0(VALU_DEP_1) | instskip(NEXT) | instid1(VALU_DEP_1)
	v_fmac_f32_e32 v11, v165, v168
	;; [unrolled: 8-line block ×10, first 2 shown]
	v_add_f32_e32 v9, v9, v11
	v_mul_f32_e32 v11, v230, v235
	s_delay_alu instid0(VALU_DEP_1) | instskip(NEXT) | instid1(VALU_DEP_1)
	v_fmac_f32_e32 v11, v231, v234
	v_dual_add_f32 v9, v9, v11 :: v_dual_mul_f32 v11, v236, v241
	s_delay_alu instid0(VALU_DEP_1) | instskip(NEXT) | instid1(VALU_DEP_1)
	v_fmac_f32_e32 v11, v237, v240
	v_add_f32_e32 v9, v9, v11
	v_mul_f32_e32 v11, v238, v243
	s_delay_alu instid0(VALU_DEP_1) | instskip(SKIP_1) | instid1(VALU_DEP_1)
	v_fmac_f32_e32 v11, v239, v242
	s_set_vgpr_msb 64                       ;  msbs: dst=1 src0=0 src1=0 src2=0
	v_add_f32_e32 v13 /*v269*/, v9, v11
	s_set_vgpr_msb 0                        ;  msbs: dst=0 src0=0 src1=0 src2=0
	v_dual_mul_f32 v9, v109, v113 :: v_dual_mul_f32 v11, v111, v115
	s_delay_alu instid0(VALU_DEP_1) | instskip(NEXT) | instid1(VALU_DEP_1)
	v_dual_fma_f32 v9, v108, v112, -v9 :: v_dual_fma_f32 v11, v110, v114, -v11
	v_add_f32_e32 v9, 0, v9
	s_delay_alu instid0(VALU_DEP_1) | instskip(SKIP_1) | instid1(VALU_DEP_1)
	v_add_f32_e32 v9, v9, v11
	v_mul_f32_e32 v11, v117, v121
	v_fma_f32 v11, v116, v120, -v11
	s_delay_alu instid0(VALU_DEP_1) | instskip(SKIP_1) | instid1(VALU_DEP_1)
	v_add_f32_e32 v9, v9, v11
	v_mul_f32_e32 v11, v119, v123
	v_fma_f32 v11, v118, v122, -v11
	ds_load_2addr_b64 v[108:111], v7 offset0:99 offset1:100
	ds_load_2addr_b64 v[112:115], v7 offset0:101 offset1:102
	;; [unrolled: 1-line block ×4, first 2 shown]
	v_add_f32_e32 v9, v9, v11
	v_mul_f32_e32 v11, v125, v129
	s_delay_alu instid0(VALU_DEP_1) | instskip(NEXT) | instid1(VALU_DEP_1)
	v_fma_f32 v11, v124, v128, -v11
	v_add_f32_e32 v9, v9, v11
	v_mul_f32_e32 v11, v127, v131
	s_delay_alu instid0(VALU_DEP_1) | instskip(SKIP_2) | instid1(VALU_DEP_2)
	v_fma_f32 v11, v126, v130, -v11
	s_wait_loadcnt_dscnt 0x303
	v_pk_mul_f32 v[126:127], v[108:109], v[252:253] op_sel:[1,1] op_sel_hi:[0,1]
	v_add_f32_e32 v9, v9, v11
	v_mul_f32_e32 v11, v133, v137
	s_delay_alu instid0(VALU_DEP_3) | instskip(SKIP_1) | instid1(VALU_DEP_3)
	v_pk_fma_f32 v[128:129], v[108:109], v[252:253], v[126:127] neg_lo:[0,0,1] neg_hi:[0,0,1]
	v_pk_fma_f32 v[108:109], v[108:109], v[252:253], v[126:127] op_sel_hi:[1,0,1]
	v_dual_mov_b32 v126, v255 :: v_dual_fma_f32 v11, v132, v136, -v11
	s_delay_alu instid0(VALU_DEP_2) | instskip(NEXT) | instid1(VALU_DEP_2)
	v_mov_b32_e32 v129, v109
	v_add_f32_e32 v9, v9, v11
	v_mul_f32_e32 v11, v135, v139
	s_delay_alu instid0(VALU_DEP_1) | instskip(NEXT) | instid1(VALU_DEP_1)
	v_fma_f32 v11, v134, v138, -v11
	v_add_f32_e32 v9, v9, v11
	v_mul_f32_e32 v11, v141, v145
	s_delay_alu instid0(VALU_DEP_1) | instskip(NEXT) | instid1(VALU_DEP_1)
	v_fma_f32 v11, v140, v144, -v11
	;; [unrolled: 4-line block ×26, first 2 shown]
	v_add_f32_e32 v9, v9, v11
	v_mul_f32_e32 v11, v239, v243
	s_delay_alu instid0(VALU_DEP_1) | instskip(SKIP_1) | instid1(VALU_DEP_1)
	v_fma_f32 v11, v238, v242, -v11
	s_set_vgpr_msb 64                       ;  msbs: dst=1 src0=0 src1=0 src2=0
	v_dual_fmac_f32 v17 /*v273*/, v247, v250 :: v_dual_add_f32 v12 /*v268*/, v9, v11
	s_set_vgpr_msb 0                        ;  msbs: dst=0 src0=0 src1=0 src2=0
	v_mul_f32_e32 v9, v245, v249
	s_set_vgpr_msb 64                       ;  msbs: dst=1 src0=0 src1=0 src2=0
	s_delay_alu instid0(VALU_DEP_1) | instskip(SKIP_3) | instid1(VALU_DEP_1)
	v_fma_f32 v14 /*v270*/, v244, v248, -v9
	s_set_vgpr_msb 0                        ;  msbs: dst=0 src0=0 src1=0 src2=0
	v_mul_f32_e32 v9, v247, v251
	s_set_vgpr_msb 64                       ;  msbs: dst=1 src0=0 src1=0 src2=0
	v_fma_f32 v16 /*v272*/, v246, v250, -v9
	s_set_vgpr_msb 5                        ;  msbs: dst=0 src0=1 src1=1 src2=0
	v_pk_add_f32 v[124:125], v[12:13] /*v[268:269]*/, v[14:15] /*v[270:271]*/
	s_set_vgpr_msb 4                        ;  msbs: dst=0 src0=0 src1=1 src2=0
	s_delay_alu instid0(VALU_DEP_1) | instskip(SKIP_1) | instid1(VALU_DEP_1)
	v_pk_add_f32 v[124:125], v[124:125], v[16:17] /*v[272:273]*/
	s_set_vgpr_msb 0                        ;  msbs: dst=0 src0=0 src1=0 src2=0
	v_pk_add_f32 v[108:109], v[124:125], v[128:129]
	v_dual_mov_b32 v124, v111 :: v_dual_mov_b32 v125, v110
	s_delay_alu instid0(VALU_DEP_1) | instskip(NEXT) | instid1(VALU_DEP_1)
	v_pk_mul_f32 v[124:125], v[124:125], v[126:127] op_sel_hi:[1,0]
	v_pk_fma_f32 v[126:127], v[110:111], v[254:255], v[124:125] neg_lo:[0,0,1] neg_hi:[0,0,1]
	v_pk_fma_f32 v[110:111], v[110:111], v[254:255], v[124:125] op_sel_hi:[1,0,1]
	s_delay_alu instid0(VALU_DEP_1)
	v_mov_b32_e32 v127, v111
	s_wait_loadcnt_dscnt 0x202
	s_set_vgpr_msb 4                        ;  msbs: dst=0 src0=0 src1=1 src2=0
	v_pk_mul_f32 v[110:111], v[112:113], v[0:1] /*v[256:257]*/ op_sel:[1,1] op_sel_hi:[0,1]
	s_set_vgpr_msb 0                        ;  msbs: dst=0 src0=0 src1=0 src2=0
	v_pk_add_f32 v[108:109], v[108:109], v[126:127]
	s_set_vgpr_msb 4                        ;  msbs: dst=0 src0=0 src1=1 src2=0
	s_delay_alu instid0(VALU_DEP_2)
	v_pk_fma_f32 v[124:125], v[112:113], v[0:1] /*v[256:257]*/, v[110:111] neg_lo:[0,0,1] neg_hi:[0,0,1]
	v_pk_fma_f32 v[110:111], v[112:113], v[0:1] /*v[256:257]*/, v[110:111] op_sel_hi:[1,0,1]
	v_mov_b32_e32 v110, v115
	s_set_vgpr_msb 1                        ;  msbs: dst=0 src0=1 src1=0 src2=0
	v_mov_b32_e32 v112, v3 /*v259*/
	s_set_vgpr_msb 0                        ;  msbs: dst=0 src0=0 src1=0 src2=0
	v_dual_mov_b32 v125, v111 :: v_dual_mov_b32 v111, v114
	s_delay_alu instid0(VALU_DEP_1) | instskip(NEXT) | instid1(VALU_DEP_2)
	v_pk_add_f32 v[108:109], v[108:109], v[124:125]
	v_pk_mul_f32 v[110:111], v[110:111], v[112:113] op_sel_hi:[1,0]
	s_set_vgpr_msb 4                        ;  msbs: dst=0 src0=0 src1=1 src2=0
	s_delay_alu instid0(VALU_DEP_1) | instskip(SKIP_1) | instid1(VALU_DEP_1)
	v_pk_fma_f32 v[112:113], v[114:115], v[2:3] /*v[258:259]*/, v[110:111] neg_lo:[0,0,1] neg_hi:[0,0,1]
	v_pk_fma_f32 v[110:111], v[114:115], v[2:3] /*v[258:259]*/, v[110:111] op_sel_hi:[1,0,1]
	v_mov_b32_e32 v113, v111
	s_wait_loadcnt_dscnt 0x101
	v_pk_mul_f32 v[110:111], v[116:117], v[4:5] /*v[260:261]*/ op_sel:[1,1] op_sel_hi:[0,1]
	s_set_vgpr_msb 0                        ;  msbs: dst=0 src0=0 src1=0 src2=0
	s_delay_alu instid0(VALU_DEP_2) | instskip(SKIP_1) | instid1(VALU_DEP_2)
	v_pk_add_f32 v[108:109], v[108:109], v[112:113]
	s_set_vgpr_msb 4                        ;  msbs: dst=0 src0=0 src1=1 src2=0
	v_pk_fma_f32 v[112:113], v[116:117], v[4:5] /*v[260:261]*/, v[110:111] neg_lo:[0,0,1] neg_hi:[0,0,1]
	v_pk_fma_f32 v[110:111], v[116:117], v[4:5] /*v[260:261]*/, v[110:111] op_sel_hi:[1,0,1]
	s_delay_alu instid0(VALU_DEP_1) | instskip(SKIP_2) | instid1(VALU_DEP_2)
	v_dual_mov_b32 v110, v119 :: v_dual_mov_b32 v113, v111
	v_mov_b32_e32 v111, v118
	s_set_vgpr_msb 0                        ;  msbs: dst=0 src0=0 src1=0 src2=0
	v_pk_add_f32 v[108:109], v[108:109], v[112:113]
	s_set_vgpr_msb 1                        ;  msbs: dst=0 src0=1 src1=0 src2=0
	v_mov_b32_e32 v112, v7 /*v263*/
	s_set_vgpr_msb 0                        ;  msbs: dst=0 src0=0 src1=0 src2=0
	s_delay_alu instid0(VALU_DEP_1) | instskip(SKIP_1) | instid1(VALU_DEP_1)
	v_pk_mul_f32 v[110:111], v[110:111], v[112:113] op_sel_hi:[1,0]
	s_set_vgpr_msb 4                        ;  msbs: dst=0 src0=0 src1=1 src2=0
	v_pk_fma_f32 v[112:113], v[118:119], v[6:7] /*v[262:263]*/, v[110:111] neg_lo:[0,0,1] neg_hi:[0,0,1]
	v_pk_fma_f32 v[110:111], v[118:119], v[6:7] /*v[262:263]*/, v[110:111] op_sel_hi:[1,0,1]
	s_delay_alu instid0(VALU_DEP_1) | instskip(SKIP_3) | instid1(VALU_DEP_2)
	v_mov_b32_e32 v113, v111
	s_wait_loadcnt_dscnt 0x0
	v_pk_mul_f32 v[110:111], v[120:121], v[8:9] /*v[264:265]*/ op_sel:[1,1] op_sel_hi:[0,1]
	s_set_vgpr_msb 0                        ;  msbs: dst=0 src0=0 src1=0 src2=0
	v_pk_add_f32 v[108:109], v[108:109], v[112:113]
	s_set_vgpr_msb 4                        ;  msbs: dst=0 src0=0 src1=1 src2=0
	s_delay_alu instid0(VALU_DEP_2) | instskip(SKIP_1) | instid1(VALU_DEP_1)
	v_pk_fma_f32 v[112:113], v[120:121], v[8:9] /*v[264:265]*/, v[110:111] neg_lo:[0,0,1] neg_hi:[0,0,1]
	v_pk_fma_f32 v[110:111], v[120:121], v[8:9] /*v[264:265]*/, v[110:111] op_sel_hi:[1,0,1]
	v_dual_mov_b32 v110, v123 :: v_dual_mov_b32 v113, v111
	v_mov_b32_e32 v111, v122
	s_set_vgpr_msb 0                        ;  msbs: dst=0 src0=0 src1=0 src2=0
	s_delay_alu instid0(VALU_DEP_2) | instskip(SKIP_3) | instid1(VALU_DEP_1)
	v_pk_add_f32 v[108:109], v[108:109], v[112:113]
	s_set_vgpr_msb 1                        ;  msbs: dst=0 src0=1 src1=0 src2=0
	v_mov_b32_e32 v112, v11 /*v267*/
	s_set_vgpr_msb 0                        ;  msbs: dst=0 src0=0 src1=0 src2=0
	v_pk_mul_f32 v[110:111], v[110:111], v[112:113] op_sel_hi:[1,0]
	s_set_vgpr_msb 4                        ;  msbs: dst=0 src0=0 src1=1 src2=0
	s_delay_alu instid0(VALU_DEP_1) | instskip(SKIP_1) | instid1(VALU_DEP_1)
	v_pk_fma_f32 v[112:113], v[122:123], v[10:11] /*v[266:267]*/, v[110:111] neg_lo:[0,0,1] neg_hi:[0,0,1]
	v_pk_fma_f32 v[110:111], v[122:123], v[10:11] /*v[266:267]*/, v[110:111] op_sel_hi:[1,0,1]
	v_mov_b32_e32 v113, v111
	scratch_load_b64 v[110:111], off, off offset:64
	s_set_vgpr_msb 0                        ;  msbs: dst=0 src0=0 src1=0 src2=0
	v_pk_add_f32 v[108:109], v[108:109], v[112:113]
	s_wait_loadcnt 0x0
	s_delay_alu instid0(VALU_DEP_1)
	v_pk_add_f32 v[108:109], v[110:111], v[108:109] neg_lo:[0,1] neg_hi:[0,1]
	scratch_store_b64 off, v[108:109], off offset:64
	s_wait_xcnt 0x0
	v_cmpx_lt_u32_e32 7, v0
	s_cbranch_execz .LBB116_317
; %bb.316:
	scratch_load_b64 v[108:109], off, off offset:56
	v_mov_b64_e32 v[110:111], 0
	scratch_store_b64 off, v[110:111], off offset:56
	s_wait_loadcnt 0x0
	ds_store_b64 v1, v[108:109]
.LBB116_317:
	s_wait_xcnt 0x0
	s_or_b32 exec_lo, exec_lo, s0
	v_mov_b32_e32 v7, 0
	s_wait_storecnt_dscnt 0x0
	s_barrier_signal -1
	s_barrier_wait -1
	ds_load_b128 v[108:111], v7 offset:496
	ds_load_b128 v[112:115], v7 offset:512
	;; [unrolled: 1-line block ×4, first 2 shown]
	s_clause 0x13
	scratch_load_b128 v[124:127], off, off offset:64
	scratch_load_b128 v[128:131], off, off offset:80
	;; [unrolled: 1-line block ×18, first 2 shown]
	s_set_vgpr_msb 64                       ;  msbs: dst=1 src0=0 src1=0 src2=0
	scratch_load_b128 v[0:3] /*v[256:259]*/, off, off offset:352
	s_mov_b32 s0, exec_lo
	s_wait_loadcnt_dscnt 0x1203
	s_set_vgpr_msb 0                        ;  msbs: dst=0 src0=0 src1=0 src2=0
	v_mul_f32_e32 v9, v108, v125
	ds_load_b128 v[236:239], v7 offset:752
	ds_load_b128 v[244:247], v7 offset:768
	;; [unrolled: 1-line block ×4, first 2 shown]
	v_dual_fmac_f32 v9, v109, v124 :: v_dual_mul_f32 v11, v110, v127
	ds_load_b128 v[252:255], v7 offset:784
	ds_load_b128 v[156:159], v7 offset:592
	;; [unrolled: 1-line block ×3, first 2 shown]
	v_dual_add_f32 v9, 0, v9 :: v_dual_fmac_f32 v11, v111, v126
	ds_load_b128 v[172:175], v7 offset:624
	ds_load_b128 v[180:183], v7 offset:640
	;; [unrolled: 1-line block ×4, first 2 shown]
	s_wait_loadcnt_dscnt 0x110d
	v_dual_add_f32 v9, v9, v11 :: v_dual_mul_f32 v11, v112, v129
	ds_load_b128 v[204:207], v7 offset:688
	ds_load_b128 v[212:215], v7 offset:704
	;; [unrolled: 1-line block ×4, first 2 shown]
	v_fmac_f32_e32 v11, v113, v128
	s_wait_loadcnt_dscnt 0x10d
	s_set_vgpr_msb 64                       ;  msbs: dst=1 src0=0 src1=0 src2=0
	v_mul_f32_e32 v19 /*v275*/, v246, v251
	s_clause 0x3
	scratch_load_b128 v[4:7] /*v[260:263]*/, off, off offset:368
	scratch_load_b128 v[8:11] /*v[264:267]*/, off, off offset:384
	;; [unrolled: 1-line block ×3, first 2 shown]
	scratch_load_b64 v[22:23] /*v[278:279]*/, off, off offset:416
	s_set_vgpr_msb 0                        ;  msbs: dst=0 src0=0 src1=0 src2=0
	v_add_f32_e32 v9, v9, v11
	v_mul_f32_e32 v11, v114, v131
	s_delay_alu instid0(VALU_DEP_1) | instskip(NEXT) | instid1(VALU_DEP_1)
	v_fmac_f32_e32 v11, v115, v130
	v_dual_add_f32 v9, v9, v11 :: v_dual_mul_f32 v11, v116, v133
	s_delay_alu instid0(VALU_DEP_1) | instskip(NEXT) | instid1(VALU_DEP_1)
	v_fmac_f32_e32 v11, v117, v132
	v_add_f32_e32 v9, v9, v11
	v_mul_f32_e32 v11, v118, v135
	s_delay_alu instid0(VALU_DEP_1) | instskip(NEXT) | instid1(VALU_DEP_1)
	v_fmac_f32_e32 v11, v119, v134
	v_dual_add_f32 v9, v9, v11 :: v_dual_mul_f32 v11, v120, v137
	s_delay_alu instid0(VALU_DEP_1) | instskip(NEXT) | instid1(VALU_DEP_1)
	v_fmac_f32_e32 v11, v121, v136
	v_add_f32_e32 v9, v9, v11
	v_mul_f32_e32 v11, v122, v139
	s_delay_alu instid0(VALU_DEP_1) | instskip(SKIP_1) | instid1(VALU_DEP_1)
	v_fmac_f32_e32 v11, v123, v138
	s_wait_dscnt 0xc
	v_dual_add_f32 v9, v9, v11 :: v_dual_mul_f32 v11, v140, v145
	s_delay_alu instid0(VALU_DEP_1) | instskip(NEXT) | instid1(VALU_DEP_1)
	v_fmac_f32_e32 v11, v141, v144
	v_add_f32_e32 v9, v9, v11
	v_mul_f32_e32 v11, v142, v147
	s_delay_alu instid0(VALU_DEP_1) | instskip(SKIP_1) | instid1(VALU_DEP_1)
	v_fmac_f32_e32 v11, v143, v146
	s_wait_dscnt 0xb
	;; [unrolled: 8-line block ×12, first 2 shown]
	v_dual_add_f32 v9, v9, v11 :: v_dual_mul_f32 v11, v228, v233
	s_delay_alu instid0(VALU_DEP_1) | instskip(NEXT) | instid1(VALU_DEP_1)
	v_fmac_f32_e32 v11, v229, v232
	v_add_f32_e32 v9, v9, v11
	v_mul_f32_e32 v11, v230, v235
	s_delay_alu instid0(VALU_DEP_1) | instskip(NEXT) | instid1(VALU_DEP_1)
	v_fmac_f32_e32 v11, v231, v234
	v_dual_add_f32 v9, v9, v11 :: v_dual_mul_f32 v11, v236, v241
	s_delay_alu instid0(VALU_DEP_1) | instskip(NEXT) | instid1(VALU_DEP_1)
	v_fmac_f32_e32 v11, v237, v240
	v_add_f32_e32 v9, v9, v11
	v_mul_f32_e32 v11, v238, v243
	s_delay_alu instid0(VALU_DEP_1) | instskip(NEXT) | instid1(VALU_DEP_1)
	v_fmac_f32_e32 v11, v239, v242
	v_dual_add_f32 v9, v9, v11 :: v_dual_mul_f32 v11, v244, v249
	s_delay_alu instid0(VALU_DEP_1) | instskip(SKIP_1) | instid1(VALU_DEP_1)
	v_fmac_f32_e32 v11, v245, v248
	s_set_vgpr_msb 64                       ;  msbs: dst=1 src0=0 src1=0 src2=0
	v_add_f32_e32 v17 /*v273*/, v9, v11
	s_set_vgpr_msb 0                        ;  msbs: dst=0 src0=0 src1=0 src2=0
	v_dual_mul_f32 v9, v109, v125 :: v_dual_mul_f32 v11, v111, v127
	s_delay_alu instid0(VALU_DEP_1) | instskip(NEXT) | instid1(VALU_DEP_2)
	v_dual_mov_b32 v125, v254 :: v_dual_fma_f32 v9, v108, v124, -v9
	v_dual_fma_f32 v11, v110, v126, -v11 :: v_dual_mov_b32 v124, v255
	s_wait_loadcnt 0x4
	s_set_vgpr_msb 1                        ;  msbs: dst=0 src0=1 src1=0 src2=0
	s_delay_alu instid0(VALU_DEP_2) | instskip(SKIP_1) | instid1(VALU_DEP_1)
	v_dual_mov_b32 v126, v3 /*v259*/ :: v_dual_add_f32 v9, 0, v9
	s_set_vgpr_msb 0                        ;  msbs: dst=0 src0=0 src1=0 src2=0
	v_pk_mul_f32 v[124:125], v[124:125], v[126:127] op_sel_hi:[1,0]
	s_delay_alu instid0(VALU_DEP_2) | instskip(SKIP_2) | instid1(VALU_DEP_3)
	v_add_f32_e32 v9, v9, v11
	v_mul_f32_e32 v11, v113, v129
	s_set_vgpr_msb 4                        ;  msbs: dst=0 src0=0 src1=1 src2=0
	v_pk_fma_f32 v[126:127], v[254:255], v[2:3] /*v[258:259]*/, v[124:125] neg_lo:[0,0,1] neg_hi:[0,0,1]
	v_pk_fma_f32 v[124:125], v[254:255], v[2:3] /*v[258:259]*/, v[124:125] op_sel_hi:[1,0,1]
	s_set_vgpr_msb 0                        ;  msbs: dst=0 src0=0 src1=0 src2=0
	s_delay_alu instid0(VALU_DEP_1) | instskip(NEXT) | instid1(VALU_DEP_1)
	v_dual_fma_f32 v11, v112, v128, -v11 :: v_dual_mov_b32 v127, v125
	v_add_f32_e32 v9, v9, v11
	v_mul_f32_e32 v11, v115, v131
	s_delay_alu instid0(VALU_DEP_1) | instskip(NEXT) | instid1(VALU_DEP_1)
	v_fma_f32 v11, v114, v130, -v11
	v_add_f32_e32 v9, v9, v11
	v_mul_f32_e32 v11, v117, v133
	s_delay_alu instid0(VALU_DEP_1) | instskip(NEXT) | instid1(VALU_DEP_1)
	v_fma_f32 v11, v116, v132, -v11
	v_add_f32_e32 v9, v9, v11
	v_mul_f32_e32 v11, v119, v135
	s_delay_alu instid0(VALU_DEP_1) | instskip(NEXT) | instid1(VALU_DEP_1)
	v_fma_f32 v11, v118, v134, -v11
	v_add_f32_e32 v9, v9, v11
	v_mul_f32_e32 v11, v121, v137
	s_delay_alu instid0(VALU_DEP_1)
	v_fma_f32 v11, v120, v136, -v11
	ds_load_b128 v[108:111], v7 offset:800
	ds_load_b128 v[112:115], v7 offset:816
	;; [unrolled: 1-line block ×3, first 2 shown]
	ds_load_b64 v[120:121], v7 offset:848
	v_add_f32_e32 v9, v9, v11
	v_mul_f32_e32 v11, v123, v139
	s_delay_alu instid0(VALU_DEP_1) | instskip(NEXT) | instid1(VALU_DEP_1)
	v_fma_f32 v11, v122, v138, -v11
	v_add_f32_e32 v9, v9, v11
	v_mul_f32_e32 v11, v141, v145
	s_wait_loadcnt_dscnt 0x303
	s_set_vgpr_msb 4                        ;  msbs: dst=0 src0=0 src1=1 src2=0
	v_pk_mul_f32 v[124:125], v[108:109], v[4:5] /*v[260:261]*/ op_sel:[1,1] op_sel_hi:[0,1]
	s_set_vgpr_msb 0                        ;  msbs: dst=0 src0=0 src1=0 src2=0
	v_fma_f32 v11, v140, v144, -v11
	s_delay_alu instid0(VALU_DEP_1) | instskip(SKIP_1) | instid1(VALU_DEP_1)
	v_add_f32_e32 v9, v9, v11
	v_mul_f32_e32 v11, v143, v147
	v_fma_f32 v11, v142, v146, -v11
	s_delay_alu instid0(VALU_DEP_1) | instskip(SKIP_1) | instid1(VALU_DEP_1)
	v_add_f32_e32 v9, v9, v11
	v_mul_f32_e32 v11, v149, v153
	;; [unrolled: 4-line block ×26, first 2 shown]
	v_fma_f32 v11, v244, v248, -v11
	s_set_vgpr_msb 64                       ;  msbs: dst=1 src0=0 src1=0 src2=0
	s_delay_alu instid0(VALU_DEP_1) | instskip(SKIP_3) | instid1(VALU_DEP_1)
	v_add_f32_e32 v16 /*v272*/, v9, v11
	s_set_vgpr_msb 0                        ;  msbs: dst=0 src0=0 src1=0 src2=0
	v_mul_f32_e32 v9, v247, v251
	s_set_vgpr_msb 64                       ;  msbs: dst=1 src0=0 src1=0 src2=0
	v_fma_f32 v18 /*v274*/, v246, v250, -v9
	v_fmac_f32_e32 v19 /*v275*/, v247, v250
	s_set_vgpr_msb 4                        ;  msbs: dst=0 src0=0 src1=1 src2=0
	v_mul_f32_e32 v9, v253, v1 /*v257*/
	s_set_vgpr_msb 0x44                     ;  msbs: dst=1 src0=0 src1=1 src2=0
	v_mul_f32_e32 v21 /*v277*/, v252, v1 /*v257*/
	s_set_vgpr_msb 5                        ;  msbs: dst=0 src0=1 src1=1 src2=0
	v_pk_add_f32 v[122:123], v[16:17] /*v[272:273]*/, v[18:19] /*v[274:275]*/
	s_set_vgpr_msb 0x44                     ;  msbs: dst=1 src0=0 src1=1 src2=0
	v_fma_f32 v20 /*v276*/, v252, v0 /*v256*/, -v9
	v_fmac_f32_e32 v21 /*v277*/, v253, v0 /*v256*/
	s_set_vgpr_msb 4                        ;  msbs: dst=0 src0=0 src1=1 src2=0
	s_delay_alu instid0(VALU_DEP_1) | instskip(SKIP_1) | instid1(VALU_DEP_1)
	v_pk_add_f32 v[122:123], v[122:123], v[20:21] /*v[276:277]*/
	s_set_vgpr_msb 0                        ;  msbs: dst=0 src0=0 src1=0 src2=0
	v_pk_add_f32 v[122:123], v[122:123], v[126:127]
	s_set_vgpr_msb 4                        ;  msbs: dst=0 src0=0 src1=1 src2=0
	v_pk_fma_f32 v[126:127], v[108:109], v[4:5] /*v[260:261]*/, v[124:125] neg_lo:[0,0,1] neg_hi:[0,0,1]
	v_pk_fma_f32 v[108:109], v[108:109], v[4:5] /*v[260:261]*/, v[124:125] op_sel_hi:[1,0,1]
	s_set_vgpr_msb 1                        ;  msbs: dst=0 src0=1 src1=0 src2=0
	v_mov_b32_e32 v124, v7 /*v263*/
	s_set_vgpr_msb 0                        ;  msbs: dst=0 src0=0 src1=0 src2=0
	s_delay_alu instid0(VALU_DEP_2) | instskip(NEXT) | instid1(VALU_DEP_1)
	v_mov_b32_e32 v127, v109
	v_pk_add_f32 v[108:109], v[122:123], v[126:127]
	v_dual_mov_b32 v122, v111 :: v_dual_mov_b32 v123, v110
	s_delay_alu instid0(VALU_DEP_1) | instskip(SKIP_1) | instid1(VALU_DEP_1)
	v_pk_mul_f32 v[122:123], v[122:123], v[124:125] op_sel_hi:[1,0]
	s_set_vgpr_msb 4                        ;  msbs: dst=0 src0=0 src1=1 src2=0
	v_pk_fma_f32 v[124:125], v[110:111], v[6:7] /*v[262:263]*/, v[122:123] neg_lo:[0,0,1] neg_hi:[0,0,1]
	v_pk_fma_f32 v[110:111], v[110:111], v[6:7] /*v[262:263]*/, v[122:123] op_sel_hi:[1,0,1]
	s_delay_alu instid0(VALU_DEP_1) | instskip(SKIP_3) | instid1(VALU_DEP_2)
	v_mov_b32_e32 v125, v111
	s_wait_loadcnt_dscnt 0x202
	v_pk_mul_f32 v[110:111], v[112:113], v[8:9] /*v[264:265]*/ op_sel:[1,1] op_sel_hi:[0,1]
	s_set_vgpr_msb 0                        ;  msbs: dst=0 src0=0 src1=0 src2=0
	v_pk_add_f32 v[108:109], v[108:109], v[124:125]
	s_set_vgpr_msb 4                        ;  msbs: dst=0 src0=0 src1=1 src2=0
	s_delay_alu instid0(VALU_DEP_2)
	v_pk_fma_f32 v[122:123], v[112:113], v[8:9] /*v[264:265]*/, v[110:111] neg_lo:[0,0,1] neg_hi:[0,0,1]
	v_pk_fma_f32 v[110:111], v[112:113], v[8:9] /*v[264:265]*/, v[110:111] op_sel_hi:[1,0,1]
	v_mov_b32_e32 v110, v115
	s_set_vgpr_msb 1                        ;  msbs: dst=0 src0=1 src1=0 src2=0
	v_mov_b32_e32 v112, v11 /*v267*/
	s_set_vgpr_msb 0                        ;  msbs: dst=0 src0=0 src1=0 src2=0
	v_dual_mov_b32 v123, v111 :: v_dual_mov_b32 v111, v114
	s_delay_alu instid0(VALU_DEP_1) | instskip(NEXT) | instid1(VALU_DEP_2)
	v_pk_add_f32 v[108:109], v[108:109], v[122:123]
	v_pk_mul_f32 v[110:111], v[110:111], v[112:113] op_sel_hi:[1,0]
	s_set_vgpr_msb 4                        ;  msbs: dst=0 src0=0 src1=1 src2=0
	s_delay_alu instid0(VALU_DEP_1) | instskip(SKIP_1) | instid1(VALU_DEP_1)
	v_pk_fma_f32 v[112:113], v[114:115], v[10:11] /*v[266:267]*/, v[110:111] neg_lo:[0,0,1] neg_hi:[0,0,1]
	v_pk_fma_f32 v[110:111], v[114:115], v[10:11] /*v[266:267]*/, v[110:111] op_sel_hi:[1,0,1]
	v_mov_b32_e32 v113, v111
	s_wait_loadcnt_dscnt 0x101
	v_pk_mul_f32 v[110:111], v[116:117], v[12:13] /*v[268:269]*/ op_sel:[1,1] op_sel_hi:[0,1]
	s_set_vgpr_msb 0                        ;  msbs: dst=0 src0=0 src1=0 src2=0
	s_delay_alu instid0(VALU_DEP_2) | instskip(SKIP_1) | instid1(VALU_DEP_2)
	v_pk_add_f32 v[108:109], v[108:109], v[112:113]
	s_set_vgpr_msb 4                        ;  msbs: dst=0 src0=0 src1=1 src2=0
	v_pk_fma_f32 v[112:113], v[116:117], v[12:13] /*v[268:269]*/, v[110:111] neg_lo:[0,0,1] neg_hi:[0,0,1]
	v_pk_fma_f32 v[110:111], v[116:117], v[12:13] /*v[268:269]*/, v[110:111] op_sel_hi:[1,0,1]
	s_delay_alu instid0(VALU_DEP_1) | instskip(SKIP_2) | instid1(VALU_DEP_2)
	v_dual_mov_b32 v110, v119 :: v_dual_mov_b32 v113, v111
	v_mov_b32_e32 v111, v118
	s_set_vgpr_msb 0                        ;  msbs: dst=0 src0=0 src1=0 src2=0
	v_pk_add_f32 v[108:109], v[108:109], v[112:113]
	s_set_vgpr_msb 1                        ;  msbs: dst=0 src0=1 src1=0 src2=0
	v_mov_b32_e32 v112, v15 /*v271*/
	s_set_vgpr_msb 0                        ;  msbs: dst=0 src0=0 src1=0 src2=0
	s_delay_alu instid0(VALU_DEP_1) | instskip(SKIP_1) | instid1(VALU_DEP_1)
	v_pk_mul_f32 v[110:111], v[110:111], v[112:113] op_sel_hi:[1,0]
	s_set_vgpr_msb 4                        ;  msbs: dst=0 src0=0 src1=1 src2=0
	v_pk_fma_f32 v[112:113], v[118:119], v[14:15] /*v[270:271]*/, v[110:111] neg_lo:[0,0,1] neg_hi:[0,0,1]
	v_pk_fma_f32 v[110:111], v[118:119], v[14:15] /*v[270:271]*/, v[110:111] op_sel_hi:[1,0,1]
	s_delay_alu instid0(VALU_DEP_1) | instskip(SKIP_3) | instid1(VALU_DEP_2)
	v_mov_b32_e32 v113, v111
	s_wait_loadcnt_dscnt 0x0
	v_pk_mul_f32 v[110:111], v[120:121], v[22:23] /*v[278:279]*/ op_sel:[1,1] op_sel_hi:[0,1]
	s_set_vgpr_msb 0                        ;  msbs: dst=0 src0=0 src1=0 src2=0
	v_pk_add_f32 v[108:109], v[108:109], v[112:113]
	s_set_vgpr_msb 4                        ;  msbs: dst=0 src0=0 src1=1 src2=0
	s_delay_alu instid0(VALU_DEP_2) | instskip(SKIP_1) | instid1(VALU_DEP_1)
	v_pk_fma_f32 v[112:113], v[120:121], v[22:23] /*v[278:279]*/, v[110:111] neg_lo:[0,0,1] neg_hi:[0,0,1]
	v_pk_fma_f32 v[110:111], v[120:121], v[22:23] /*v[278:279]*/, v[110:111] op_sel_hi:[1,0,1]
	v_mov_b32_e32 v113, v111
	scratch_load_b64 v[110:111], off, off offset:56
	s_set_vgpr_msb 0                        ;  msbs: dst=0 src0=0 src1=0 src2=0
	v_pk_add_f32 v[108:109], v[108:109], v[112:113]
	s_wait_loadcnt 0x0
	s_delay_alu instid0(VALU_DEP_1)
	v_pk_add_f32 v[108:109], v[110:111], v[108:109] neg_lo:[0,1] neg_hi:[0,1]
	scratch_store_b64 off, v[108:109], off offset:56
	s_wait_xcnt 0x0
	v_cmpx_lt_u32_e32 6, v0
	s_cbranch_execz .LBB116_319
; %bb.318:
	scratch_load_b64 v[108:109], off, off offset:48
	v_mov_b64_e32 v[110:111], 0
	scratch_store_b64 off, v[110:111], off offset:48
	s_wait_loadcnt 0x0
	ds_store_b64 v1, v[108:109]
.LBB116_319:
	s_wait_xcnt 0x0
	s_or_b32 exec_lo, exec_lo, s0
	s_wait_storecnt_dscnt 0x0
	s_barrier_signal -1
	s_barrier_wait -1
	s_clause 0xf
	scratch_load_b128 v[112:115], off, off offset:56
	scratch_load_b128 v[120:123], off, off offset:72
	;; [unrolled: 1-line block ×16, first 2 shown]
	ds_load_2addr_b64 v[108:111], v7 offset0:61 offset1:62
	ds_load_2addr_b64 v[116:119], v7 offset0:63 offset1:64
	s_clause 0x1
	scratch_load_b128 v[240:243], off, off offset:312
	scratch_load_b128 v[248:251], off, off offset:328
	ds_load_2addr_b64 v[124:127], v7 offset0:65 offset1:66
	ds_load_2addr_b64 v[132:135], v7 offset0:67 offset1:68
	;; [unrolled: 1-line block ×16, first 2 shown]
	s_set_vgpr_msb 64                       ;  msbs: dst=1 src0=0 src1=0 src2=0
	scratch_load_b128 v[0:3] /*v[256:259]*/, off, off offset:344
	s_set_vgpr_msb 0                        ;  msbs: dst=0 src0=0 src1=0 src2=0
	ds_load_2addr_b64 v[252:255], v7 offset0:97 offset1:98
	s_set_vgpr_msb 64                       ;  msbs: dst=1 src0=0 src1=0 src2=0
	s_clause 0x3
	scratch_load_b128 v[4:7] /*v[260:263]*/, off, off offset:360
	scratch_load_b128 v[8:11] /*v[264:267]*/, off, off offset:376
	;; [unrolled: 1-line block ×4, first 2 shown]
	s_mov_b32 s0, exec_lo
	s_wait_loadcnt_dscnt 0x1612
	s_set_vgpr_msb 0                        ;  msbs: dst=0 src0=0 src1=0 src2=0
	v_dual_mul_f32 v9, v108, v113 :: v_dual_mul_f32 v11, v110, v115
	s_delay_alu instid0(VALU_DEP_1) | instskip(NEXT) | instid1(VALU_DEP_1)
	v_dual_fmac_f32 v9, v109, v112 :: v_dual_fmac_f32 v11, v111, v114
	v_add_f32_e32 v9, 0, v9
	s_wait_loadcnt_dscnt 0x1511
	s_delay_alu instid0(VALU_DEP_1) | instskip(NEXT) | instid1(VALU_DEP_1)
	v_dual_add_f32 v9, v9, v11 :: v_dual_mul_f32 v11, v116, v121
	v_fmac_f32_e32 v11, v117, v120
	s_delay_alu instid0(VALU_DEP_1) | instskip(SKIP_1) | instid1(VALU_DEP_1)
	v_add_f32_e32 v9, v9, v11
	v_mul_f32_e32 v11, v118, v123
	v_fmac_f32_e32 v11, v119, v122
	s_wait_loadcnt_dscnt 0x400
	s_set_vgpr_msb 0x44                     ;  msbs: dst=1 src0=0 src1=1 src2=0
	v_dual_mul_f32 v23 /*v279*/, v252, v1 /*v257*/ :: v_dual_mul_f32 v25 /*v281*/, v254, v3 /*v259*/
	s_set_vgpr_msb 0                        ;  msbs: dst=0 src0=0 src1=0 src2=0
	v_dual_add_f32 v9, v9, v11 :: v_dual_mul_f32 v11, v124, v129
	s_set_vgpr_msb 0x44                     ;  msbs: dst=1 src0=0 src1=1 src2=0
	s_delay_alu instid0(VALU_DEP_2) | instskip(SKIP_1) | instid1(VALU_DEP_2)
	v_dual_fmac_f32 v23 /*v279*/, v253, v0 /*v256*/ :: v_dual_fmac_f32 v25 /*v281*/, v255, v2 /*v258*/
	s_set_vgpr_msb 0                        ;  msbs: dst=0 src0=0 src1=0 src2=0
	v_fmac_f32_e32 v11, v125, v128
	s_delay_alu instid0(VALU_DEP_1) | instskip(SKIP_1) | instid1(VALU_DEP_1)
	v_add_f32_e32 v9, v9, v11
	v_mul_f32_e32 v11, v126, v131
	v_fmac_f32_e32 v11, v127, v130
	s_delay_alu instid0(VALU_DEP_1) | instskip(NEXT) | instid1(VALU_DEP_1)
	v_dual_add_f32 v9, v9, v11 :: v_dual_mul_f32 v11, v132, v137
	v_fmac_f32_e32 v11, v133, v136
	s_delay_alu instid0(VALU_DEP_1) | instskip(SKIP_1) | instid1(VALU_DEP_1)
	v_add_f32_e32 v9, v9, v11
	v_mul_f32_e32 v11, v134, v139
	v_fmac_f32_e32 v11, v135, v138
	s_delay_alu instid0(VALU_DEP_1) | instskip(NEXT) | instid1(VALU_DEP_1)
	v_dual_add_f32 v9, v9, v11 :: v_dual_mul_f32 v11, v140, v145
	v_fmac_f32_e32 v11, v141, v144
	s_delay_alu instid0(VALU_DEP_1) | instskip(SKIP_1) | instid1(VALU_DEP_1)
	v_add_f32_e32 v9, v9, v11
	v_mul_f32_e32 v11, v142, v147
	v_fmac_f32_e32 v11, v143, v146
	s_delay_alu instid0(VALU_DEP_1) | instskip(NEXT) | instid1(VALU_DEP_1)
	v_dual_add_f32 v9, v9, v11 :: v_dual_mul_f32 v11, v148, v153
	v_fmac_f32_e32 v11, v149, v152
	s_delay_alu instid0(VALU_DEP_1) | instskip(SKIP_1) | instid1(VALU_DEP_1)
	v_add_f32_e32 v9, v9, v11
	v_mul_f32_e32 v11, v150, v155
	v_fmac_f32_e32 v11, v151, v154
	s_delay_alu instid0(VALU_DEP_1) | instskip(NEXT) | instid1(VALU_DEP_1)
	v_dual_add_f32 v9, v9, v11 :: v_dual_mul_f32 v11, v156, v161
	v_fmac_f32_e32 v11, v157, v160
	s_delay_alu instid0(VALU_DEP_1) | instskip(SKIP_1) | instid1(VALU_DEP_1)
	v_add_f32_e32 v9, v9, v11
	v_mul_f32_e32 v11, v158, v163
	v_fmac_f32_e32 v11, v159, v162
	s_delay_alu instid0(VALU_DEP_1) | instskip(NEXT) | instid1(VALU_DEP_1)
	v_dual_add_f32 v9, v9, v11 :: v_dual_mul_f32 v11, v164, v169
	v_fmac_f32_e32 v11, v165, v168
	s_delay_alu instid0(VALU_DEP_1) | instskip(SKIP_1) | instid1(VALU_DEP_1)
	v_add_f32_e32 v9, v9, v11
	v_mul_f32_e32 v11, v166, v171
	v_fmac_f32_e32 v11, v167, v170
	s_delay_alu instid0(VALU_DEP_1) | instskip(NEXT) | instid1(VALU_DEP_1)
	v_dual_add_f32 v9, v9, v11 :: v_dual_mul_f32 v11, v172, v177
	v_fmac_f32_e32 v11, v173, v176
	s_delay_alu instid0(VALU_DEP_1) | instskip(SKIP_1) | instid1(VALU_DEP_1)
	v_add_f32_e32 v9, v9, v11
	v_mul_f32_e32 v11, v174, v179
	v_fmac_f32_e32 v11, v175, v178
	s_delay_alu instid0(VALU_DEP_1) | instskip(NEXT) | instid1(VALU_DEP_1)
	v_dual_add_f32 v9, v9, v11 :: v_dual_mul_f32 v11, v180, v185
	v_fmac_f32_e32 v11, v181, v184
	s_delay_alu instid0(VALU_DEP_1) | instskip(SKIP_1) | instid1(VALU_DEP_1)
	v_add_f32_e32 v9, v9, v11
	v_mul_f32_e32 v11, v182, v187
	v_fmac_f32_e32 v11, v183, v186
	s_delay_alu instid0(VALU_DEP_1) | instskip(NEXT) | instid1(VALU_DEP_1)
	v_dual_add_f32 v9, v9, v11 :: v_dual_mul_f32 v11, v188, v193
	v_fmac_f32_e32 v11, v189, v192
	s_delay_alu instid0(VALU_DEP_1) | instskip(SKIP_1) | instid1(VALU_DEP_1)
	v_add_f32_e32 v9, v9, v11
	v_mul_f32_e32 v11, v190, v195
	v_fmac_f32_e32 v11, v191, v194
	s_delay_alu instid0(VALU_DEP_1) | instskip(NEXT) | instid1(VALU_DEP_1)
	v_dual_add_f32 v9, v9, v11 :: v_dual_mul_f32 v11, v196, v201
	v_fmac_f32_e32 v11, v197, v200
	s_delay_alu instid0(VALU_DEP_1) | instskip(SKIP_1) | instid1(VALU_DEP_1)
	v_add_f32_e32 v9, v9, v11
	v_mul_f32_e32 v11, v198, v203
	v_fmac_f32_e32 v11, v199, v202
	s_delay_alu instid0(VALU_DEP_1) | instskip(NEXT) | instid1(VALU_DEP_1)
	v_dual_add_f32 v9, v9, v11 :: v_dual_mul_f32 v11, v204, v209
	v_fmac_f32_e32 v11, v205, v208
	s_delay_alu instid0(VALU_DEP_1) | instskip(SKIP_1) | instid1(VALU_DEP_1)
	v_add_f32_e32 v9, v9, v11
	v_mul_f32_e32 v11, v206, v211
	v_fmac_f32_e32 v11, v207, v210
	s_delay_alu instid0(VALU_DEP_1) | instskip(NEXT) | instid1(VALU_DEP_1)
	v_dual_add_f32 v9, v9, v11 :: v_dual_mul_f32 v11, v212, v217
	v_fmac_f32_e32 v11, v213, v216
	s_delay_alu instid0(VALU_DEP_1) | instskip(SKIP_1) | instid1(VALU_DEP_1)
	v_add_f32_e32 v9, v9, v11
	v_mul_f32_e32 v11, v214, v219
	v_fmac_f32_e32 v11, v215, v218
	s_delay_alu instid0(VALU_DEP_1) | instskip(NEXT) | instid1(VALU_DEP_1)
	v_dual_add_f32 v9, v9, v11 :: v_dual_mul_f32 v11, v220, v225
	v_fmac_f32_e32 v11, v221, v224
	s_delay_alu instid0(VALU_DEP_1) | instskip(SKIP_1) | instid1(VALU_DEP_1)
	v_add_f32_e32 v9, v9, v11
	v_mul_f32_e32 v11, v222, v227
	v_fmac_f32_e32 v11, v223, v226
	s_delay_alu instid0(VALU_DEP_1) | instskip(NEXT) | instid1(VALU_DEP_1)
	v_dual_add_f32 v9, v9, v11 :: v_dual_mul_f32 v11, v228, v233
	v_fmac_f32_e32 v11, v229, v232
	s_delay_alu instid0(VALU_DEP_1) | instskip(SKIP_1) | instid1(VALU_DEP_1)
	v_add_f32_e32 v9, v9, v11
	v_mul_f32_e32 v11, v230, v235
	v_fmac_f32_e32 v11, v231, v234
	s_delay_alu instid0(VALU_DEP_1) | instskip(NEXT) | instid1(VALU_DEP_1)
	v_dual_add_f32 v9, v9, v11 :: v_dual_mul_f32 v11, v236, v241
	v_fmac_f32_e32 v11, v237, v240
	s_delay_alu instid0(VALU_DEP_1) | instskip(SKIP_1) | instid1(VALU_DEP_1)
	v_add_f32_e32 v9, v9, v11
	v_mul_f32_e32 v11, v238, v243
	v_fmac_f32_e32 v11, v239, v242
	s_delay_alu instid0(VALU_DEP_1) | instskip(NEXT) | instid1(VALU_DEP_1)
	v_dual_add_f32 v9, v9, v11 :: v_dual_mul_f32 v11, v244, v249
	v_fmac_f32_e32 v11, v245, v248
	s_delay_alu instid0(VALU_DEP_1) | instskip(SKIP_1) | instid1(VALU_DEP_1)
	v_add_f32_e32 v9, v9, v11
	v_mul_f32_e32 v11, v246, v251
	v_fmac_f32_e32 v11, v247, v250
	s_set_vgpr_msb 64                       ;  msbs: dst=1 src0=0 src1=0 src2=0
	s_delay_alu instid0(VALU_DEP_1) | instskip(SKIP_2) | instid1(VALU_DEP_1)
	v_add_f32_e32 v21 /*v277*/, v9, v11
	s_set_vgpr_msb 0                        ;  msbs: dst=0 src0=0 src1=0 src2=0
	v_dual_mul_f32 v9, v109, v113 :: v_dual_mul_f32 v11, v111, v115
	v_dual_fma_f32 v9, v108, v112, -v9 :: v_dual_fma_f32 v11, v110, v114, -v11
	s_delay_alu instid0(VALU_DEP_1) | instskip(NEXT) | instid1(VALU_DEP_1)
	v_add_f32_e32 v9, 0, v9
	v_add_f32_e32 v9, v9, v11
	v_mul_f32_e32 v11, v117, v121
	s_delay_alu instid0(VALU_DEP_1) | instskip(NEXT) | instid1(VALU_DEP_1)
	v_fma_f32 v11, v116, v120, -v11
	v_add_f32_e32 v9, v9, v11
	v_mul_f32_e32 v11, v119, v123
	s_delay_alu instid0(VALU_DEP_1)
	v_fma_f32 v11, v118, v122, -v11
	ds_load_2addr_b64 v[108:111], v7 offset0:99 offset1:100
	ds_load_2addr_b64 v[112:115], v7 offset0:101 offset1:102
	;; [unrolled: 1-line block ×4, first 2 shown]
	v_add_f32_e32 v9, v9, v11
	v_mul_f32_e32 v11, v125, v129
	s_delay_alu instid0(VALU_DEP_1) | instskip(NEXT) | instid1(VALU_DEP_1)
	v_fma_f32 v11, v124, v128, -v11
	v_add_f32_e32 v9, v9, v11
	v_mul_f32_e32 v11, v127, v131
	s_delay_alu instid0(VALU_DEP_1)
	v_fma_f32 v11, v126, v130, -v11
	s_wait_loadcnt_dscnt 0x303
	s_set_vgpr_msb 4                        ;  msbs: dst=0 src0=0 src1=1 src2=0
	v_pk_mul_f32 v[126:127], v[108:109], v[4:5] /*v[260:261]*/ op_sel:[1,1] op_sel_hi:[0,1]
	s_set_vgpr_msb 0                        ;  msbs: dst=0 src0=0 src1=0 src2=0
	v_add_f32_e32 v9, v9, v11
	v_mul_f32_e32 v11, v133, v137
	s_set_vgpr_msb 4                        ;  msbs: dst=0 src0=0 src1=1 src2=0
	v_pk_fma_f32 v[128:129], v[108:109], v[4:5] /*v[260:261]*/, v[126:127] neg_lo:[0,0,1] neg_hi:[0,0,1]
	v_pk_fma_f32 v[108:109], v[108:109], v[4:5] /*v[260:261]*/, v[126:127] op_sel_hi:[1,0,1]
	s_set_vgpr_msb 1                        ;  msbs: dst=0 src0=1 src1=0 src2=0
	v_mov_b32_e32 v126, v7 /*v263*/
	s_set_vgpr_msb 0                        ;  msbs: dst=0 src0=0 src1=0 src2=0
	s_delay_alu instid0(VALU_DEP_2) | instskip(NEXT) | instid1(VALU_DEP_1)
	v_dual_fma_f32 v11, v132, v136, -v11 :: v_dual_mov_b32 v129, v109
	v_add_f32_e32 v9, v9, v11
	v_mul_f32_e32 v11, v135, v139
	s_delay_alu instid0(VALU_DEP_1) | instskip(NEXT) | instid1(VALU_DEP_1)
	v_fma_f32 v11, v134, v138, -v11
	v_add_f32_e32 v9, v9, v11
	v_mul_f32_e32 v11, v141, v145
	s_delay_alu instid0(VALU_DEP_1) | instskip(NEXT) | instid1(VALU_DEP_1)
	v_fma_f32 v11, v140, v144, -v11
	;; [unrolled: 4-line block ×28, first 2 shown]
	v_add_f32_e32 v9, v9, v11
	v_mul_f32_e32 v11, v247, v251
	s_delay_alu instid0(VALU_DEP_1) | instskip(SKIP_1) | instid1(VALU_DEP_1)
	v_fma_f32 v11, v246, v250, -v11
	s_set_vgpr_msb 64                       ;  msbs: dst=1 src0=0 src1=0 src2=0
	v_add_f32_e32 v20 /*v276*/, v9, v11
	s_set_vgpr_msb 4                        ;  msbs: dst=0 src0=0 src1=1 src2=0
	v_mul_f32_e32 v9, v253, v1 /*v257*/
	s_set_vgpr_msb 0x44                     ;  msbs: dst=1 src0=0 src1=1 src2=0
	s_delay_alu instid0(VALU_DEP_1) | instskip(SKIP_3) | instid1(VALU_DEP_1)
	v_fma_f32 v22 /*v278*/, v252, v0 /*v256*/, -v9
	s_set_vgpr_msb 4                        ;  msbs: dst=0 src0=0 src1=1 src2=0
	v_mul_f32_e32 v9, v255, v3 /*v259*/
	s_set_vgpr_msb 0x44                     ;  msbs: dst=1 src0=0 src1=1 src2=0
	v_fma_f32 v24 /*v280*/, v254, v2 /*v258*/, -v9
	s_set_vgpr_msb 5                        ;  msbs: dst=0 src0=1 src1=1 src2=0
	v_pk_add_f32 v[124:125], v[20:21] /*v[276:277]*/, v[22:23] /*v[278:279]*/
	s_set_vgpr_msb 4                        ;  msbs: dst=0 src0=0 src1=1 src2=0
	s_delay_alu instid0(VALU_DEP_1) | instskip(SKIP_1) | instid1(VALU_DEP_1)
	v_pk_add_f32 v[124:125], v[124:125], v[24:25] /*v[280:281]*/
	s_set_vgpr_msb 0                        ;  msbs: dst=0 src0=0 src1=0 src2=0
	v_pk_add_f32 v[108:109], v[124:125], v[128:129]
	v_dual_mov_b32 v124, v111 :: v_dual_mov_b32 v125, v110
	s_delay_alu instid0(VALU_DEP_1) | instskip(SKIP_1) | instid1(VALU_DEP_1)
	v_pk_mul_f32 v[124:125], v[124:125], v[126:127] op_sel_hi:[1,0]
	s_set_vgpr_msb 4                        ;  msbs: dst=0 src0=0 src1=1 src2=0
	v_pk_fma_f32 v[126:127], v[110:111], v[6:7] /*v[262:263]*/, v[124:125] neg_lo:[0,0,1] neg_hi:[0,0,1]
	v_pk_fma_f32 v[110:111], v[110:111], v[6:7] /*v[262:263]*/, v[124:125] op_sel_hi:[1,0,1]
	s_delay_alu instid0(VALU_DEP_1) | instskip(SKIP_3) | instid1(VALU_DEP_2)
	v_mov_b32_e32 v127, v111
	s_wait_loadcnt_dscnt 0x202
	v_pk_mul_f32 v[110:111], v[112:113], v[8:9] /*v[264:265]*/ op_sel:[1,1] op_sel_hi:[0,1]
	s_set_vgpr_msb 0                        ;  msbs: dst=0 src0=0 src1=0 src2=0
	v_pk_add_f32 v[108:109], v[108:109], v[126:127]
	s_set_vgpr_msb 4                        ;  msbs: dst=0 src0=0 src1=1 src2=0
	s_delay_alu instid0(VALU_DEP_2)
	v_pk_fma_f32 v[124:125], v[112:113], v[8:9] /*v[264:265]*/, v[110:111] neg_lo:[0,0,1] neg_hi:[0,0,1]
	v_pk_fma_f32 v[110:111], v[112:113], v[8:9] /*v[264:265]*/, v[110:111] op_sel_hi:[1,0,1]
	v_mov_b32_e32 v110, v115
	s_set_vgpr_msb 1                        ;  msbs: dst=0 src0=1 src1=0 src2=0
	v_mov_b32_e32 v112, v11 /*v267*/
	s_set_vgpr_msb 0                        ;  msbs: dst=0 src0=0 src1=0 src2=0
	v_dual_mov_b32 v125, v111 :: v_dual_mov_b32 v111, v114
	s_delay_alu instid0(VALU_DEP_1) | instskip(NEXT) | instid1(VALU_DEP_2)
	v_pk_add_f32 v[108:109], v[108:109], v[124:125]
	v_pk_mul_f32 v[110:111], v[110:111], v[112:113] op_sel_hi:[1,0]
	s_set_vgpr_msb 4                        ;  msbs: dst=0 src0=0 src1=1 src2=0
	s_delay_alu instid0(VALU_DEP_1) | instskip(SKIP_1) | instid1(VALU_DEP_1)
	v_pk_fma_f32 v[112:113], v[114:115], v[10:11] /*v[266:267]*/, v[110:111] neg_lo:[0,0,1] neg_hi:[0,0,1]
	v_pk_fma_f32 v[110:111], v[114:115], v[10:11] /*v[266:267]*/, v[110:111] op_sel_hi:[1,0,1]
	v_mov_b32_e32 v113, v111
	s_wait_loadcnt_dscnt 0x101
	v_pk_mul_f32 v[110:111], v[116:117], v[12:13] /*v[268:269]*/ op_sel:[1,1] op_sel_hi:[0,1]
	s_set_vgpr_msb 0                        ;  msbs: dst=0 src0=0 src1=0 src2=0
	s_delay_alu instid0(VALU_DEP_2) | instskip(SKIP_1) | instid1(VALU_DEP_2)
	v_pk_add_f32 v[108:109], v[108:109], v[112:113]
	s_set_vgpr_msb 4                        ;  msbs: dst=0 src0=0 src1=1 src2=0
	v_pk_fma_f32 v[112:113], v[116:117], v[12:13] /*v[268:269]*/, v[110:111] neg_lo:[0,0,1] neg_hi:[0,0,1]
	v_pk_fma_f32 v[110:111], v[116:117], v[12:13] /*v[268:269]*/, v[110:111] op_sel_hi:[1,0,1]
	s_delay_alu instid0(VALU_DEP_1) | instskip(SKIP_2) | instid1(VALU_DEP_2)
	v_dual_mov_b32 v110, v119 :: v_dual_mov_b32 v113, v111
	v_mov_b32_e32 v111, v118
	s_set_vgpr_msb 0                        ;  msbs: dst=0 src0=0 src1=0 src2=0
	v_pk_add_f32 v[108:109], v[108:109], v[112:113]
	s_set_vgpr_msb 1                        ;  msbs: dst=0 src0=1 src1=0 src2=0
	v_mov_b32_e32 v112, v15 /*v271*/
	s_set_vgpr_msb 0                        ;  msbs: dst=0 src0=0 src1=0 src2=0
	s_delay_alu instid0(VALU_DEP_1) | instskip(SKIP_1) | instid1(VALU_DEP_1)
	v_pk_mul_f32 v[110:111], v[110:111], v[112:113] op_sel_hi:[1,0]
	s_set_vgpr_msb 4                        ;  msbs: dst=0 src0=0 src1=1 src2=0
	v_pk_fma_f32 v[112:113], v[118:119], v[14:15] /*v[270:271]*/, v[110:111] neg_lo:[0,0,1] neg_hi:[0,0,1]
	v_pk_fma_f32 v[110:111], v[118:119], v[14:15] /*v[270:271]*/, v[110:111] op_sel_hi:[1,0,1]
	s_delay_alu instid0(VALU_DEP_1) | instskip(SKIP_3) | instid1(VALU_DEP_2)
	v_mov_b32_e32 v113, v111
	s_wait_loadcnt_dscnt 0x0
	v_pk_mul_f32 v[110:111], v[120:121], v[16:17] /*v[272:273]*/ op_sel:[1,1] op_sel_hi:[0,1]
	s_set_vgpr_msb 0                        ;  msbs: dst=0 src0=0 src1=0 src2=0
	v_pk_add_f32 v[108:109], v[108:109], v[112:113]
	s_set_vgpr_msb 4                        ;  msbs: dst=0 src0=0 src1=1 src2=0
	s_delay_alu instid0(VALU_DEP_2) | instskip(SKIP_1) | instid1(VALU_DEP_1)
	v_pk_fma_f32 v[112:113], v[120:121], v[16:17] /*v[272:273]*/, v[110:111] neg_lo:[0,0,1] neg_hi:[0,0,1]
	v_pk_fma_f32 v[110:111], v[120:121], v[16:17] /*v[272:273]*/, v[110:111] op_sel_hi:[1,0,1]
	v_dual_mov_b32 v110, v123 :: v_dual_mov_b32 v113, v111
	v_mov_b32_e32 v111, v122
	s_set_vgpr_msb 0                        ;  msbs: dst=0 src0=0 src1=0 src2=0
	s_delay_alu instid0(VALU_DEP_2) | instskip(SKIP_3) | instid1(VALU_DEP_1)
	v_pk_add_f32 v[108:109], v[108:109], v[112:113]
	s_set_vgpr_msb 1                        ;  msbs: dst=0 src0=1 src1=0 src2=0
	v_mov_b32_e32 v112, v19 /*v275*/
	s_set_vgpr_msb 0                        ;  msbs: dst=0 src0=0 src1=0 src2=0
	v_pk_mul_f32 v[110:111], v[110:111], v[112:113] op_sel_hi:[1,0]
	s_set_vgpr_msb 4                        ;  msbs: dst=0 src0=0 src1=1 src2=0
	s_delay_alu instid0(VALU_DEP_1) | instskip(SKIP_1) | instid1(VALU_DEP_1)
	v_pk_fma_f32 v[112:113], v[122:123], v[18:19] /*v[274:275]*/, v[110:111] neg_lo:[0,0,1] neg_hi:[0,0,1]
	v_pk_fma_f32 v[110:111], v[122:123], v[18:19] /*v[274:275]*/, v[110:111] op_sel_hi:[1,0,1]
	v_mov_b32_e32 v113, v111
	scratch_load_b64 v[110:111], off, off offset:48
	s_set_vgpr_msb 0                        ;  msbs: dst=0 src0=0 src1=0 src2=0
	v_pk_add_f32 v[108:109], v[108:109], v[112:113]
	s_wait_loadcnt 0x0
	s_delay_alu instid0(VALU_DEP_1)
	v_pk_add_f32 v[108:109], v[110:111], v[108:109] neg_lo:[0,1] neg_hi:[0,1]
	scratch_store_b64 off, v[108:109], off offset:48
	s_wait_xcnt 0x0
	v_cmpx_lt_u32_e32 5, v0
	s_cbranch_execz .LBB116_321
; %bb.320:
	scratch_load_b64 v[108:109], off, off offset:40
	v_mov_b64_e32 v[110:111], 0
	scratch_store_b64 off, v[110:111], off offset:40
	s_wait_loadcnt 0x0
	ds_store_b64 v1, v[108:109]
.LBB116_321:
	s_wait_xcnt 0x0
	s_or_b32 exec_lo, exec_lo, s0
	v_mov_b32_e32 v7, 0
	s_wait_storecnt_dscnt 0x0
	s_barrier_signal -1
	s_barrier_wait -1
	ds_load_b128 v[108:111], v7 offset:480
	ds_load_b128 v[112:115], v7 offset:496
	;; [unrolled: 1-line block ×4, first 2 shown]
	s_clause 0x14
	scratch_load_b128 v[124:127], off, off offset:48
	scratch_load_b128 v[128:131], off, off offset:64
	;; [unrolled: 1-line block ×18, first 2 shown]
	s_set_vgpr_msb 64                       ;  msbs: dst=1 src0=0 src1=0 src2=0
	scratch_load_b128 v[0:3] /*v[256:259]*/, off, off offset:336
	scratch_load_b128 v[8:11] /*v[264:267]*/, off, off offset:352
	s_mov_b32 s0, exec_lo
	s_wait_loadcnt_dscnt 0x1303
	s_set_vgpr_msb 0                        ;  msbs: dst=0 src0=0 src1=0 src2=0
	v_mul_f32_e32 v9, v108, v125
	ds_load_b128 v[140:143], v7 offset:544
	ds_load_b128 v[148:151], v7 offset:560
	;; [unrolled: 1-line block ×4, first 2 shown]
	v_dual_fmac_f32 v9, v109, v124 :: v_dual_mul_f32 v11, v110, v127
	ds_load_b128 v[172:175], v7 offset:608
	ds_load_b128 v[180:183], v7 offset:624
	;; [unrolled: 1-line block ×4, first 2 shown]
	v_dual_add_f32 v9, 0, v9 :: v_dual_fmac_f32 v11, v111, v126
	ds_load_b128 v[204:207], v7 offset:672
	ds_load_b128 v[212:215], v7 offset:688
	;; [unrolled: 1-line block ×4, first 2 shown]
	s_wait_loadcnt_dscnt 0x120e
	v_dual_add_f32 v9, v9, v11 :: v_dual_mul_f32 v11, v112, v129
	ds_load_b128 v[236:239], v7 offset:736
	ds_load_b128 v[244:247], v7 offset:752
	;; [unrolled: 1-line block ×3, first 2 shown]
	s_set_vgpr_msb 64                       ;  msbs: dst=1 src0=0 src1=0 src2=0
	ds_load_b128 v[4:7] /*v[260:263]*/, v7 offset:784
	s_set_vgpr_msb 0                        ;  msbs: dst=0 src0=0 src1=0 src2=0
	v_fmac_f32_e32 v11, v113, v128
	s_set_vgpr_msb 64                       ;  msbs: dst=1 src0=0 src1=0 src2=0
	s_clause 0x3
	scratch_load_b128 v[12:15] /*v[268:271]*/, off, off offset:368
	scratch_load_b128 v[16:19] /*v[272:275]*/, off, off offset:384
	;; [unrolled: 1-line block ×3, first 2 shown]
	scratch_load_b64 v[30:31] /*v[286:287]*/, off, off offset:416
	s_set_vgpr_msb 0                        ;  msbs: dst=0 src0=0 src1=0 src2=0
	v_add_f32_e32 v9, v9, v11
	v_mul_f32_e32 v11, v114, v131
	s_delay_alu instid0(VALU_DEP_1) | instskip(SKIP_1) | instid1(VALU_DEP_1)
	v_fmac_f32_e32 v11, v115, v130
	s_wait_loadcnt_dscnt 0x1511
	v_dual_add_f32 v9, v9, v11 :: v_dual_mul_f32 v11, v116, v133
	s_delay_alu instid0(VALU_DEP_1) | instskip(NEXT) | instid1(VALU_DEP_1)
	v_fmac_f32_e32 v11, v117, v132
	v_add_f32_e32 v9, v9, v11
	v_mul_f32_e32 v11, v118, v135
	s_delay_alu instid0(VALU_DEP_1) | instskip(SKIP_1) | instid1(VALU_DEP_1)
	v_fmac_f32_e32 v11, v119, v134
	s_wait_loadcnt_dscnt 0x1410
	v_dual_add_f32 v9, v9, v11 :: v_dual_mul_f32 v11, v120, v137
	s_delay_alu instid0(VALU_DEP_1) | instskip(NEXT) | instid1(VALU_DEP_1)
	v_fmac_f32_e32 v11, v121, v136
	;; [unrolled: 8-line block ×16, first 2 shown]
	v_add_f32_e32 v9, v9, v11
	v_mul_f32_e32 v11, v246, v251
	s_delay_alu instid0(VALU_DEP_1) | instskip(NEXT) | instid1(VALU_DEP_1)
	v_fmac_f32_e32 v11, v247, v250
	v_add_f32_e32 v9, v9, v11
	s_wait_loadcnt_dscnt 0x501
	s_set_vgpr_msb 4                        ;  msbs: dst=0 src0=0 src1=1 src2=0
	v_mul_f32_e32 v11, v252, v1 /*v257*/
	s_delay_alu instid0(VALU_DEP_1) | instskip(SKIP_1) | instid1(VALU_DEP_1)
	v_fmac_f32_e32 v11, v253, v0 /*v256*/
	s_set_vgpr_msb 64                       ;  msbs: dst=1 src0=0 src1=0 src2=0
	v_add_f32_e32 v25 /*v281*/, v9, v11
	s_set_vgpr_msb 0                        ;  msbs: dst=0 src0=0 src1=0 src2=0
	v_dual_mul_f32 v9, v109, v125 :: v_dual_mul_f32 v11, v111, v127
	s_wait_dscnt 0x0
	s_set_vgpr_msb 1                        ;  msbs: dst=0 src0=1 src1=0 src2=0
	v_mov_b32_e32 v125, v6 /*v262*/
	s_set_vgpr_msb 0                        ;  msbs: dst=0 src0=0 src1=0 src2=0
	v_dual_fma_f32 v9, v108, v124, -v9 :: v_dual_fma_f32 v11, v110, v126, -v11
	s_wait_loadcnt 0x4
	s_set_vgpr_msb 1                        ;  msbs: dst=0 src0=1 src1=0 src2=0
	v_dual_mov_b32 v126, v11 /*v267*/ :: v_dual_mov_b32 v124, v7 /*v263*/
	s_delay_alu instid0(VALU_DEP_2) | instskip(SKIP_1) | instid1(VALU_DEP_2)
	v_add_f32_e32 v9, 0, v9
	s_set_vgpr_msb 0                        ;  msbs: dst=0 src0=0 src1=0 src2=0
	v_pk_mul_f32 v[124:125], v[124:125], v[126:127] op_sel_hi:[1,0]
	s_delay_alu instid0(VALU_DEP_2) | instskip(SKIP_2) | instid1(VALU_DEP_3)
	v_add_f32_e32 v9, v9, v11
	v_mul_f32_e32 v11, v113, v129
	s_set_vgpr_msb 5                        ;  msbs: dst=0 src0=1 src1=1 src2=0
	v_pk_fma_f32 v[126:127], v[6:7] /*v[262:263]*/, v[10:11] /*v[266:267]*/, v[124:125] neg_lo:[0,0,1] neg_hi:[0,0,1]
	v_pk_fma_f32 v[124:125], v[6:7] /*v[262:263]*/, v[10:11] /*v[266:267]*/, v[124:125] op_sel_hi:[1,0,1]
	s_set_vgpr_msb 0                        ;  msbs: dst=0 src0=0 src1=0 src2=0
	s_delay_alu instid0(VALU_DEP_1) | instskip(NEXT) | instid1(VALU_DEP_1)
	v_dual_fma_f32 v11, v112, v128, -v11 :: v_dual_mov_b32 v127, v125
	v_add_f32_e32 v9, v9, v11
	v_mul_f32_e32 v11, v115, v131
	s_delay_alu instid0(VALU_DEP_1) | instskip(NEXT) | instid1(VALU_DEP_1)
	v_fma_f32 v11, v114, v130, -v11
	v_add_f32_e32 v9, v9, v11
	v_mul_f32_e32 v11, v117, v133
	s_delay_alu instid0(VALU_DEP_1) | instskip(NEXT) | instid1(VALU_DEP_1)
	v_fma_f32 v11, v116, v132, -v11
	;; [unrolled: 4-line block ×3, first 2 shown]
	v_add_f32_e32 v9, v9, v11
	v_mul_f32_e32 v11, v121, v137
	s_delay_alu instid0(VALU_DEP_1)
	v_fma_f32 v11, v120, v136, -v11
	ds_load_b128 v[108:111], v7 offset:800
	ds_load_b128 v[112:115], v7 offset:816
	;; [unrolled: 1-line block ×3, first 2 shown]
	ds_load_b64 v[120:121], v7 offset:848
	v_add_f32_e32 v9, v9, v11
	v_mul_f32_e32 v11, v123, v139
	s_delay_alu instid0(VALU_DEP_1) | instskip(NEXT) | instid1(VALU_DEP_1)
	v_fma_f32 v11, v122, v138, -v11
	v_add_f32_e32 v9, v9, v11
	v_mul_f32_e32 v11, v141, v145
	s_wait_loadcnt_dscnt 0x303
	s_set_vgpr_msb 4                        ;  msbs: dst=0 src0=0 src1=1 src2=0
	v_pk_mul_f32 v[124:125], v[108:109], v[12:13] /*v[268:269]*/ op_sel:[1,1] op_sel_hi:[0,1]
	s_set_vgpr_msb 0                        ;  msbs: dst=0 src0=0 src1=0 src2=0
	v_fma_f32 v11, v140, v144, -v11
	s_delay_alu instid0(VALU_DEP_1) | instskip(SKIP_1) | instid1(VALU_DEP_1)
	v_add_f32_e32 v9, v9, v11
	v_mul_f32_e32 v11, v143, v147
	v_fma_f32 v11, v142, v146, -v11
	s_delay_alu instid0(VALU_DEP_1) | instskip(SKIP_1) | instid1(VALU_DEP_1)
	v_add_f32_e32 v9, v9, v11
	v_mul_f32_e32 v11, v149, v153
	;; [unrolled: 4-line block ×27, first 2 shown]
	v_fma_f32 v11, v246, v250, -v11
	s_delay_alu instid0(VALU_DEP_1) | instskip(SKIP_2) | instid1(VALU_DEP_1)
	v_add_f32_e32 v9, v9, v11
	s_set_vgpr_msb 4                        ;  msbs: dst=0 src0=0 src1=1 src2=0
	v_mul_f32_e32 v11, v253, v1 /*v257*/
	v_fma_f32 v11, v252, v0 /*v256*/, -v11
	s_set_vgpr_msb 64                       ;  msbs: dst=1 src0=0 src1=0 src2=0
	s_delay_alu instid0(VALU_DEP_1) | instskip(SKIP_3) | instid1(VALU_DEP_1)
	v_add_f32_e32 v24 /*v280*/, v9, v11
	s_set_vgpr_msb 4                        ;  msbs: dst=0 src0=0 src1=1 src2=0
	v_mul_f32_e32 v9, v255, v3 /*v259*/
	s_set_vgpr_msb 0x44                     ;  msbs: dst=1 src0=0 src1=1 src2=0
	v_dual_mul_f32 v27 /*v283*/, v254, v3 /*v259*/ :: v_dual_fma_f32 v26 /*v282*/, v254, v2 /*v258*/, -v9
	s_set_vgpr_msb 5                        ;  msbs: dst=0 src0=1 src1=1 src2=0
	v_mul_f32_e32 v9, v5 /*v261*/, v9 /*v265*/
	s_set_vgpr_msb 0x44                     ;  msbs: dst=1 src0=0 src1=1 src2=0
	s_delay_alu instid0(VALU_DEP_2) | instskip(SKIP_1) | instid1(VALU_DEP_2)
	v_fmac_f32_e32 v27 /*v283*/, v255, v2 /*v258*/
	s_set_vgpr_msb 0x45                     ;  msbs: dst=1 src0=1 src1=1 src2=0
	v_dual_mul_f32 v29 /*v285*/, v4 /*v260*/, v9 /*v265*/ :: v_dual_fma_f32 v28 /*v284*/, v4 /*v260*/, v8 /*v264*/, -v9
	s_set_vgpr_msb 5                        ;  msbs: dst=0 src0=1 src1=1 src2=0
	s_delay_alu instid0(VALU_DEP_2) | instskip(SKIP_1) | instid1(VALU_DEP_2)
	v_pk_add_f32 v[122:123], v[24:25] /*v[280:281]*/, v[26:27] /*v[282:283]*/
	s_set_vgpr_msb 0x45                     ;  msbs: dst=1 src0=1 src1=1 src2=0
	v_fmac_f32_e32 v29 /*v285*/, v5 /*v261*/, v8 /*v264*/
	s_set_vgpr_msb 4                        ;  msbs: dst=0 src0=0 src1=1 src2=0
	s_delay_alu instid0(VALU_DEP_1) | instskip(SKIP_1) | instid1(VALU_DEP_1)
	v_pk_add_f32 v[122:123], v[122:123], v[28:29] /*v[284:285]*/
	s_set_vgpr_msb 0                        ;  msbs: dst=0 src0=0 src1=0 src2=0
	v_pk_add_f32 v[122:123], v[122:123], v[126:127]
	s_set_vgpr_msb 4                        ;  msbs: dst=0 src0=0 src1=1 src2=0
	v_pk_fma_f32 v[126:127], v[108:109], v[12:13] /*v[268:269]*/, v[124:125] neg_lo:[0,0,1] neg_hi:[0,0,1]
	v_pk_fma_f32 v[108:109], v[108:109], v[12:13] /*v[268:269]*/, v[124:125] op_sel_hi:[1,0,1]
	s_set_vgpr_msb 1                        ;  msbs: dst=0 src0=1 src1=0 src2=0
	v_mov_b32_e32 v124, v15 /*v271*/
	s_set_vgpr_msb 0                        ;  msbs: dst=0 src0=0 src1=0 src2=0
	s_delay_alu instid0(VALU_DEP_2) | instskip(NEXT) | instid1(VALU_DEP_1)
	v_mov_b32_e32 v127, v109
	v_pk_add_f32 v[108:109], v[122:123], v[126:127]
	v_dual_mov_b32 v122, v111 :: v_dual_mov_b32 v123, v110
	s_delay_alu instid0(VALU_DEP_1) | instskip(SKIP_1) | instid1(VALU_DEP_1)
	v_pk_mul_f32 v[122:123], v[122:123], v[124:125] op_sel_hi:[1,0]
	s_set_vgpr_msb 4                        ;  msbs: dst=0 src0=0 src1=1 src2=0
	v_pk_fma_f32 v[124:125], v[110:111], v[14:15] /*v[270:271]*/, v[122:123] neg_lo:[0,0,1] neg_hi:[0,0,1]
	v_pk_fma_f32 v[110:111], v[110:111], v[14:15] /*v[270:271]*/, v[122:123] op_sel_hi:[1,0,1]
	s_delay_alu instid0(VALU_DEP_1) | instskip(SKIP_3) | instid1(VALU_DEP_2)
	v_mov_b32_e32 v125, v111
	s_wait_loadcnt_dscnt 0x202
	v_pk_mul_f32 v[110:111], v[112:113], v[16:17] /*v[272:273]*/ op_sel:[1,1] op_sel_hi:[0,1]
	s_set_vgpr_msb 0                        ;  msbs: dst=0 src0=0 src1=0 src2=0
	v_pk_add_f32 v[108:109], v[108:109], v[124:125]
	s_set_vgpr_msb 4                        ;  msbs: dst=0 src0=0 src1=1 src2=0
	s_delay_alu instid0(VALU_DEP_2)
	v_pk_fma_f32 v[122:123], v[112:113], v[16:17] /*v[272:273]*/, v[110:111] neg_lo:[0,0,1] neg_hi:[0,0,1]
	v_pk_fma_f32 v[110:111], v[112:113], v[16:17] /*v[272:273]*/, v[110:111] op_sel_hi:[1,0,1]
	v_mov_b32_e32 v110, v115
	s_set_vgpr_msb 1                        ;  msbs: dst=0 src0=1 src1=0 src2=0
	v_mov_b32_e32 v112, v19 /*v275*/
	s_set_vgpr_msb 0                        ;  msbs: dst=0 src0=0 src1=0 src2=0
	v_dual_mov_b32 v123, v111 :: v_dual_mov_b32 v111, v114
	s_delay_alu instid0(VALU_DEP_1) | instskip(NEXT) | instid1(VALU_DEP_2)
	v_pk_add_f32 v[108:109], v[108:109], v[122:123]
	v_pk_mul_f32 v[110:111], v[110:111], v[112:113] op_sel_hi:[1,0]
	s_set_vgpr_msb 4                        ;  msbs: dst=0 src0=0 src1=1 src2=0
	s_delay_alu instid0(VALU_DEP_1) | instskip(SKIP_1) | instid1(VALU_DEP_1)
	v_pk_fma_f32 v[112:113], v[114:115], v[18:19] /*v[274:275]*/, v[110:111] neg_lo:[0,0,1] neg_hi:[0,0,1]
	v_pk_fma_f32 v[110:111], v[114:115], v[18:19] /*v[274:275]*/, v[110:111] op_sel_hi:[1,0,1]
	v_mov_b32_e32 v113, v111
	s_wait_loadcnt_dscnt 0x101
	v_pk_mul_f32 v[110:111], v[116:117], v[20:21] /*v[276:277]*/ op_sel:[1,1] op_sel_hi:[0,1]
	s_set_vgpr_msb 0                        ;  msbs: dst=0 src0=0 src1=0 src2=0
	s_delay_alu instid0(VALU_DEP_2) | instskip(SKIP_1) | instid1(VALU_DEP_2)
	v_pk_add_f32 v[108:109], v[108:109], v[112:113]
	s_set_vgpr_msb 4                        ;  msbs: dst=0 src0=0 src1=1 src2=0
	v_pk_fma_f32 v[112:113], v[116:117], v[20:21] /*v[276:277]*/, v[110:111] neg_lo:[0,0,1] neg_hi:[0,0,1]
	v_pk_fma_f32 v[110:111], v[116:117], v[20:21] /*v[276:277]*/, v[110:111] op_sel_hi:[1,0,1]
	s_delay_alu instid0(VALU_DEP_1) | instskip(SKIP_2) | instid1(VALU_DEP_2)
	v_dual_mov_b32 v110, v119 :: v_dual_mov_b32 v113, v111
	v_mov_b32_e32 v111, v118
	s_set_vgpr_msb 0                        ;  msbs: dst=0 src0=0 src1=0 src2=0
	v_pk_add_f32 v[108:109], v[108:109], v[112:113]
	s_set_vgpr_msb 1                        ;  msbs: dst=0 src0=1 src1=0 src2=0
	v_mov_b32_e32 v112, v23 /*v279*/
	s_set_vgpr_msb 0                        ;  msbs: dst=0 src0=0 src1=0 src2=0
	s_delay_alu instid0(VALU_DEP_1) | instskip(SKIP_1) | instid1(VALU_DEP_1)
	v_pk_mul_f32 v[110:111], v[110:111], v[112:113] op_sel_hi:[1,0]
	s_set_vgpr_msb 4                        ;  msbs: dst=0 src0=0 src1=1 src2=0
	v_pk_fma_f32 v[112:113], v[118:119], v[22:23] /*v[278:279]*/, v[110:111] neg_lo:[0,0,1] neg_hi:[0,0,1]
	v_pk_fma_f32 v[110:111], v[118:119], v[22:23] /*v[278:279]*/, v[110:111] op_sel_hi:[1,0,1]
	s_delay_alu instid0(VALU_DEP_1) | instskip(SKIP_3) | instid1(VALU_DEP_2)
	v_mov_b32_e32 v113, v111
	s_wait_loadcnt_dscnt 0x0
	v_pk_mul_f32 v[110:111], v[120:121], v[30:31] /*v[286:287]*/ op_sel:[1,1] op_sel_hi:[0,1]
	s_set_vgpr_msb 0                        ;  msbs: dst=0 src0=0 src1=0 src2=0
	v_pk_add_f32 v[108:109], v[108:109], v[112:113]
	s_set_vgpr_msb 4                        ;  msbs: dst=0 src0=0 src1=1 src2=0
	s_delay_alu instid0(VALU_DEP_2) | instskip(SKIP_1) | instid1(VALU_DEP_1)
	v_pk_fma_f32 v[112:113], v[120:121], v[30:31] /*v[286:287]*/, v[110:111] neg_lo:[0,0,1] neg_hi:[0,0,1]
	v_pk_fma_f32 v[110:111], v[120:121], v[30:31] /*v[286:287]*/, v[110:111] op_sel_hi:[1,0,1]
	v_mov_b32_e32 v113, v111
	scratch_load_b64 v[110:111], off, off offset:40
	s_set_vgpr_msb 0                        ;  msbs: dst=0 src0=0 src1=0 src2=0
	v_pk_add_f32 v[108:109], v[108:109], v[112:113]
	s_wait_loadcnt 0x0
	s_delay_alu instid0(VALU_DEP_1)
	v_pk_add_f32 v[108:109], v[110:111], v[108:109] neg_lo:[0,1] neg_hi:[0,1]
	scratch_store_b64 off, v[108:109], off offset:40
	s_wait_xcnt 0x0
	v_cmpx_lt_u32_e32 4, v0
	s_cbranch_execz .LBB116_323
; %bb.322:
	scratch_load_b64 v[108:109], off, off offset:32
	v_mov_b64_e32 v[110:111], 0
	scratch_store_b64 off, v[110:111], off offset:32
	s_wait_loadcnt 0x0
	ds_store_b64 v1, v[108:109]
.LBB116_323:
	s_wait_xcnt 0x0
	s_or_b32 exec_lo, exec_lo, s0
	s_wait_storecnt_dscnt 0x0
	s_barrier_signal -1
	s_barrier_wait -1
	s_clause 0x17
	scratch_load_b128 v[108:111], off, off offset:40
	scratch_load_b128 v[112:115], off, off offset:56
	;; [unrolled: 1-line block ×24, first 2 shown]
	ds_load_2addr_b64 v[204:207], v7 offset0:59 offset1:60
	ds_load_2addr_b64 v[208:211], v7 offset0:61 offset1:62
	;; [unrolled: 1-line block ×6, first 2 shown]
	s_set_vgpr_msb 64                       ;  msbs: dst=1 src0=0 src1=0 src2=0
	scratch_load_b64 v[44:45] /*v[300:301]*/, off, off offset:32
	s_set_vgpr_msb 0                        ;  msbs: dst=0 src0=0 src1=0 src2=0
	ds_load_2addr_b64 v[228:231], v7 offset0:67 offset1:68
	ds_load_2addr_b64 v[232:235], v7 offset0:69 offset1:70
	;; [unrolled: 1-line block ×7, first 2 shown]
	s_set_vgpr_msb 64                       ;  msbs: dst=1 src0=0 src1=0 src2=0
	ds_load_2addr_b64 v[0:3] /*v[256:259]*/, v7 offset0:77 offset1:78
	ds_load_2addr_b64 v[4:7] /*v[260:263]*/, v7 offset0:79 offset1:80
	;; [unrolled: 1-line block ×11, first 2 shown]
	s_mov_b32 s0, exec_lo
	s_wait_dscnt 0xf
	v_dual_mov_b32 v50 /*v306*/, v239 :: v_dual_mov_b32 v51 /*v307*/, v238
	s_wait_dscnt 0xe
	v_dual_mov_b32 v52 /*v308*/, v243 :: v_dual_mov_b32 v53 /*v309*/, v242
	v_dual_mov_b32 v46 /*v302*/, v223 :: v_dual_mov_b32 v47 /*v303*/, v222
	;; [unrolled: 1-line block ×3, first 2 shown]
	s_wait_loadcnt 0x18
	s_set_vgpr_msb 0                        ;  msbs: dst=0 src0=0 src1=0 src2=0
	v_dual_mul_f32 v7, v204, v109 :: v_dual_mul_f32 v9, v206, v111
	v_dual_mul_f32 v83, v205, v109 :: v_dual_mul_f32 v85, v207, v111
	s_wait_loadcnt 0x17
	v_dual_mul_f32 v11, v208, v113 :: v_dual_mul_f32 v13, v210, v115
	s_delay_alu instid0(VALU_DEP_3) | instskip(SKIP_3) | instid1(VALU_DEP_3)
	v_dual_fmac_f32 v7, v205, v108 :: v_dual_fmac_f32 v9, v207, v110
	s_wait_loadcnt 0x15
	v_dual_fma_f32 v83, v204, v108, -v83 :: v_dual_mul_f32 v95, v217, v121
	v_dual_mul_f32 v87, v209, v113 :: v_dual_mul_f32 v89, v211, v115
	v_dual_fma_f32 v85, v206, v110, -v85 :: v_dual_add_f32 v7, 0, v7
	s_delay_alu instid0(VALU_DEP_3) | instskip(SKIP_1) | instid1(VALU_DEP_4)
	v_dual_add_f32 v83, 0, v83 :: v_dual_fmac_f32 v11, v209, v112
	v_dual_mul_f32 v15, v212, v117 :: v_dual_mul_f32 v17, v214, v119
	v_dual_mul_f32 v97, v219, v123 :: v_dual_fma_f32 v87, v208, v112, -v87
	s_delay_alu instid0(VALU_DEP_4) | instskip(NEXT) | instid1(VALU_DEP_3)
	v_add_f32_e32 v7, v7, v9
	v_dual_add_f32 v9, v83, v85 :: v_dual_fmac_f32 v15, v213, v116
	v_dual_mul_f32 v91, v213, v117 :: v_dual_mul_f32 v93, v215, v119
	s_wait_loadcnt 0x14
	v_dual_mul_f32 v83, v229, v125 :: v_dual_fmac_f32 v13, v211, v114
	v_dual_fma_f32 v85, v210, v114, -v89 :: v_dual_add_f32 v7, v7, v11
	s_delay_alu instid0(VALU_DEP_3) | instskip(SKIP_1) | instid1(VALU_DEP_3)
	v_dual_add_f32 v9, v9, v87 :: v_dual_fma_f32 v87, v212, v116, -v91
	v_dual_mul_f32 v19, v216, v121 :: v_dual_mul_f32 v21, v218, v123
	v_add_f32_e32 v7, v7, v13
	s_delay_alu instid0(VALU_DEP_3) | instskip(SKIP_2) | instid1(VALU_DEP_3)
	v_dual_mul_f32 v11, v231, v127 :: v_dual_add_f32 v9, v9, v85
	s_wait_loadcnt 0x13
	v_dual_mul_f32 v13, v233, v129 :: v_dual_fmac_f32 v17, v215, v118
	v_dual_fma_f32 v85, v214, v118, -v93 :: v_dual_add_f32 v7, v7, v15
	s_delay_alu instid0(VALU_DEP_3) | instskip(SKIP_1) | instid1(VALU_DEP_3)
	v_dual_add_f32 v9, v9, v87 :: v_dual_fma_f32 v87, v216, v120, -v95
	v_dual_mul_f32 v15, v235, v131 :: v_dual_fmac_f32 v19, v217, v120
	v_add_f32_e32 v7, v7, v17
	s_delay_alu instid0(VALU_DEP_3)
	v_dual_add_f32 v9, v9, v85 :: v_dual_fmac_f32 v21, v219, v122
	v_dual_mul_f32 v23, v228, v125 :: v_dual_mul_f32 v25, v230, v127
	s_wait_loadcnt_dscnt 0x120d
	v_dual_fma_f32 v85, v218, v122, -v97 :: v_dual_mul_f32 v17, v245, v133
	v_add_f32_e32 v7, v7, v19
	v_dual_add_f32 v9, v9, v87 :: v_dual_fma_f32 v83, v228, v124, -v83
	v_dual_mul_f32 v19, v247, v135 :: v_dual_fmac_f32 v23, v229, v124
	s_delay_alu instid0(VALU_DEP_3) | instskip(NEXT) | instid1(VALU_DEP_3)
	v_dual_add_f32 v7, v7, v21 :: v_dual_fma_f32 v11, v230, v126, -v11
	v_dual_add_f32 v9, v9, v85 :: v_dual_fmac_f32 v25, v231, v126
	v_dual_mul_f32 v27, v232, v129 :: v_dual_mul_f32 v29, v234, v131
	s_wait_loadcnt_dscnt 0x110c
	s_delay_alu instid0(VALU_DEP_3) | instskip(NEXT) | instid1(VALU_DEP_3)
	v_dual_mul_f32 v21, v249, v137 :: v_dual_add_f32 v7, v7, v23
	v_dual_add_f32 v9, v9, v83 :: v_dual_fma_f32 v13, v232, v128, -v13
	s_delay_alu instid0(VALU_DEP_3) | instskip(NEXT) | instid1(VALU_DEP_2)
	v_dual_mul_f32 v23, v251, v139 :: v_dual_fmac_f32 v27, v233, v128
	v_dual_add_f32 v7, v7, v25 :: v_dual_add_f32 v9, v9, v11
	v_dual_mul_f32 v31, v244, v133 :: v_dual_mul_f32 v33, v246, v135
	s_wait_loadcnt_dscnt 0x100b
	v_dual_mul_f32 v11, v253, v141 :: v_dual_fmac_f32 v29, v235, v130
	s_delay_alu instid0(VALU_DEP_3) | instskip(SKIP_2) | instid1(VALU_DEP_2)
	v_dual_fma_f32 v15, v234, v130, -v15 :: v_dual_add_f32 v7, v7, v27
	v_dual_add_f32 v9, v9, v13 :: v_dual_mul_f32 v13, v255, v143
	v_dual_fmac_f32 v31, v245, v132 :: v_dual_fma_f32 v17, v244, v132, -v17
	v_dual_add_f32 v7, v7, v29 :: v_dual_add_f32 v9, v9, v15
	v_dual_mul_f32 v35, v248, v137 :: v_dual_mul_f32 v37, v250, v139
	v_dual_fmac_f32 v33, v247, v134 :: v_dual_fma_f32 v19, v246, v134, -v19
	s_delay_alu instid0(VALU_DEP_3) | instskip(NEXT) | instid1(VALU_DEP_3)
	v_dual_add_f32 v7, v7, v31 :: v_dual_add_f32 v9, v9, v17
	v_dual_fmac_f32 v35, v249, v136 :: v_dual_fma_f32 v21, v248, v136, -v21
	v_dual_mul_f32 v39, v252, v141 :: v_dual_mul_f32 v41, v254, v143
	s_delay_alu instid0(VALU_DEP_3)
	v_dual_add_f32 v7, v7, v33 :: v_dual_add_f32 v9, v9, v19
	v_dual_fmac_f32 v37, v251, v138 :: v_dual_fma_f32 v23, v250, v138, -v23
	s_wait_loadcnt_dscnt 0xf0a
	s_set_vgpr_msb 1                        ;  msbs: dst=0 src0=1 src1=0 src2=0
	v_dual_mul_f32 v43, v0 /*v256*/, v145 :: v_dual_mul_f32 v45, v2 /*v258*/, v147
	s_set_vgpr_msb 0                        ;  msbs: dst=0 src0=0 src1=0 src2=0
	v_dual_add_f32 v7, v7, v35 :: v_dual_add_f32 v9, v9, v21
	v_fmac_f32_e32 v39, v253, v140
	v_fma_f32 v11, v252, v140, -v11
	s_set_vgpr_msb 1                        ;  msbs: dst=0 src0=1 src1=0 src2=0
	v_dual_mul_f32 v15, v1 /*v257*/, v145 :: v_dual_mul_f32 v17, v3 /*v259*/, v147
	s_set_vgpr_msb 0                        ;  msbs: dst=0 src0=0 src1=0 src2=0
	v_dual_add_f32 v7, v7, v37 :: v_dual_add_f32 v9, v9, v23
	v_fmac_f32_e32 v41, v255, v142
	v_fma_f32 v13, v254, v142, -v13
	s_set_vgpr_msb 1                        ;  msbs: dst=0 src0=1 src1=0 src2=0
	v_dual_fmac_f32 v43, v1 /*v257*/, v144 :: v_dual_fmac_f32 v45, v3 /*v259*/, v146
	s_set_vgpr_msb 0                        ;  msbs: dst=0 src0=0 src1=0 src2=0
	v_add_f32_e32 v7, v7, v39
	v_add_f32_e32 v9, v9, v11
	s_set_vgpr_msb 1                        ;  msbs: dst=0 src0=1 src1=0 src2=0
	v_fma_f32 v15, v0 /*v256*/, v144, -v15
	s_wait_loadcnt_dscnt 0xe09
	v_dual_mul_f32 v47, v4 /*v260*/, v149 :: v_dual_mul_f32 v49, v6 /*v262*/, v151
	v_dual_mul_f32 v19, v5 /*v261*/, v149 :: v_dual_mul_f32 v21, v7 /*v263*/, v151
	s_set_vgpr_msb 0                        ;  msbs: dst=0 src0=0 src1=0 src2=0
	v_add_f32_e32 v9, v9, v13
	s_wait_loadcnt_dscnt 0xc07
	s_set_vgpr_msb 1                        ;  msbs: dst=0 src0=1 src1=0 src2=0
	v_mul_f32_e32 v13, v13 /*v269*/, v157
	s_set_vgpr_msb 0                        ;  msbs: dst=0 src0=0 src1=0 src2=0
	v_add_f32_e32 v7, v7, v41
	s_set_vgpr_msb 1                        ;  msbs: dst=0 src0=1 src1=0 src2=0
	v_dual_fma_f32 v17, v2 /*v258*/, v146, -v17 :: v_dual_fmac_f32 v47, v5 /*v261*/, v148
	v_fmac_f32_e32 v49, v7 /*v263*/, v150
	s_set_vgpr_msb 0                        ;  msbs: dst=0 src0=0 src1=0 src2=0
	v_add_f32_e32 v9, v9, v15
	v_add_f32_e32 v7, v7, v43
	s_set_vgpr_msb 1                        ;  msbs: dst=0 src0=1 src1=0 src2=0
	v_dual_mul_f32 v15, v15 /*v271*/, v159 :: v_dual_fma_f32 v19, v4 /*v260*/, v148, -v19
	v_dual_mul_f32 v51, v8 /*v264*/, v153 :: v_dual_mul_f32 v53, v10 /*v266*/, v155
	s_set_vgpr_msb 0                        ;  msbs: dst=0 src0=0 src1=0 src2=0
	v_add_f32_e32 v9, v9, v17
	s_wait_loadcnt_dscnt 0xb06
	s_set_vgpr_msb 1                        ;  msbs: dst=0 src0=1 src1=0 src2=0
	v_mul_f32_e32 v17, v17 /*v273*/, v161
	s_set_vgpr_msb 0                        ;  msbs: dst=0 src0=0 src1=0 src2=0
	v_add_f32_e32 v7, v7, v45
	s_set_vgpr_msb 1                        ;  msbs: dst=0 src0=1 src1=0 src2=0
	v_dual_mul_f32 v23, v9 /*v265*/, v153 :: v_dual_mul_f32 v11, v11 /*v267*/, v155
	v_fma_f32 v21, v6 /*v262*/, v150, -v21
	s_set_vgpr_msb 0                        ;  msbs: dst=0 src0=0 src1=0 src2=0
	v_add_f32_e32 v9, v9, v19
	v_add_f32_e32 v7, v7, v47
	s_set_vgpr_msb 1                        ;  msbs: dst=0 src0=1 src1=0 src2=0
	v_dual_mul_f32 v19, v19 /*v275*/, v163 :: v_dual_fmac_f32 v51, v9 /*v265*/, v152
	v_dual_fmac_f32 v53, v11 /*v267*/, v154 :: v_dual_fma_f32 v23, v8 /*v264*/, v152, -v23
	s_set_vgpr_msb 0                        ;  msbs: dst=0 src0=0 src1=0 src2=0
	v_add_f32_e32 v9, v9, v21
	s_wait_loadcnt_dscnt 0xa05
	s_set_vgpr_msb 1                        ;  msbs: dst=0 src0=1 src1=0 src2=0
	v_mul_f32_e32 v21, v21 /*v277*/, v165
	s_set_vgpr_msb 0                        ;  msbs: dst=0 src0=0 src1=0 src2=0
	v_add_f32_e32 v7, v7, v49
	s_set_vgpr_msb 1                        ;  msbs: dst=0 src0=1 src1=0 src2=0
	v_dual_mul_f32 v55, v12 /*v268*/, v157 :: v_dual_mul_f32 v57, v14 /*v270*/, v159
	v_fma_f32 v11, v10 /*v266*/, v154, -v11
	s_set_vgpr_msb 0                        ;  msbs: dst=0 src0=0 src1=0 src2=0
	v_add_f32_e32 v9, v9, v23
	v_add_f32_e32 v7, v7, v51
	s_set_vgpr_msb 1                        ;  msbs: dst=0 src0=1 src1=0 src2=0
	v_dual_mul_f32 v23, v23 /*v279*/, v167 :: v_dual_fmac_f32 v55, v13 /*v269*/, v156
	v_fma_f32 v13, v12 /*v268*/, v156, -v13
	s_set_vgpr_msb 0                        ;  msbs: dst=0 src0=0 src1=0 src2=0
	v_dual_add_f32 v9, v9, v11 :: v_dual_add_f32 v7, v7, v53
	s_set_vgpr_msb 1                        ;  msbs: dst=0 src0=1 src1=0 src2=0
	v_dual_mul_f32 v59, v16 /*v272*/, v161 :: v_dual_mul_f32 v61, v18 /*v274*/, v163
	s_wait_loadcnt_dscnt 0x904
	v_dual_mul_f32 v11, v25 /*v281*/, v169 :: v_dual_fmac_f32 v57, v15 /*v271*/, v158
	v_fma_f32 v15, v14 /*v270*/, v158, -v15
	s_set_vgpr_msb 0                        ;  msbs: dst=0 src0=0 src1=0 src2=0
	v_dual_add_f32 v7, v7, v55 :: v_dual_add_f32 v9, v9, v13
	s_set_vgpr_msb 1                        ;  msbs: dst=0 src0=1 src1=0 src2=0
	v_dual_mul_f32 v13, v27 /*v283*/, v171 :: v_dual_fmac_f32 v59, v17 /*v273*/, v160
	v_fma_f32 v17, v16 /*v272*/, v160, -v17
	s_set_vgpr_msb 0                        ;  msbs: dst=0 src0=0 src1=0 src2=0
	v_dual_add_f32 v7, v7, v57 :: v_dual_add_f32 v9, v9, v15
	s_set_vgpr_msb 1                        ;  msbs: dst=0 src0=1 src1=0 src2=0
	v_dual_mul_f32 v63, v20 /*v276*/, v165 :: v_dual_mul_f32 v65, v22 /*v278*/, v167
	s_wait_loadcnt_dscnt 0x803
	v_dual_mul_f32 v15, v29 /*v285*/, v173 :: v_dual_fmac_f32 v61, v19 /*v275*/, v162
	v_fma_f32 v19, v18 /*v274*/, v162, -v19
	s_set_vgpr_msb 0                        ;  msbs: dst=0 src0=0 src1=0 src2=0
	v_dual_add_f32 v7, v7, v59 :: v_dual_add_f32 v9, v9, v17
	;; [unrolled: 12-line block ×3, first 2 shown]
	s_set_vgpr_msb 1                        ;  msbs: dst=0 src0=1 src1=0 src2=0
	v_dual_mul_f32 v21, v35 /*v291*/, v179 :: v_dual_fmac_f32 v67, v25 /*v281*/, v168
	v_dual_fmac_f32 v69, v27 /*v283*/, v170 :: v_dual_fma_f32 v11, v24 /*v280*/, v168, -v11
	s_set_vgpr_msb 0                        ;  msbs: dst=0 src0=0 src1=0 src2=0
	v_dual_add_f32 v7, v7, v65 :: v_dual_add_f32 v9, v9, v23
	s_set_vgpr_msb 1                        ;  msbs: dst=0 src0=1 src1=0 src2=0
	v_dual_mul_f32 v71, v28 /*v284*/, v173 :: v_dual_mul_f32 v73, v30 /*v286*/, v175
	s_wait_loadcnt_dscnt 0x601
	v_dual_mul_f32 v23, v37 /*v293*/, v181 :: v_dual_fma_f32 v13, v26 /*v282*/, v170, -v13
	s_set_vgpr_msb 0                        ;  msbs: dst=0 src0=0 src1=0 src2=0
	v_add_f32_e32 v9, v9, v11
	s_set_vgpr_msb 1                        ;  msbs: dst=0 src0=1 src1=0 src2=0
	v_mul_f32_e32 v11, v39 /*v295*/, v183
	s_set_vgpr_msb 0                        ;  msbs: dst=0 src0=0 src1=0 src2=0
	v_add_f32_e32 v7, v7, v67
	s_set_vgpr_msb 1                        ;  msbs: dst=0 src0=1 src1=0 src2=0
	v_dual_fmac_f32 v71, v29 /*v285*/, v172 :: v_dual_fmac_f32 v73, v31 /*v287*/, v174
	v_fma_f32 v15, v28 /*v284*/, v172, -v15
	s_set_vgpr_msb 0                        ;  msbs: dst=0 src0=0 src1=0 src2=0
	v_add_f32_e32 v9, v9, v13
	v_add_f32_e32 v7, v7, v69
	s_set_vgpr_msb 1                        ;  msbs: dst=0 src0=1 src1=0 src2=0
	v_dual_mul_f32 v75, v32 /*v288*/, v177 :: v_dual_mul_f32 v77, v34 /*v290*/, v179
	s_wait_loadcnt_dscnt 0x500
	v_dual_mul_f32 v13, v41 /*v297*/, v185 :: v_dual_fma_f32 v17, v30 /*v286*/, v174, -v17
	s_set_vgpr_msb 0                        ;  msbs: dst=0 src0=0 src1=0 src2=0
	v_add_f32_e32 v9, v9, v15
	s_set_vgpr_msb 1                        ;  msbs: dst=0 src0=1 src1=0 src2=0
	v_mul_f32_e32 v15, v43 /*v299*/, v187
	s_set_vgpr_msb 0                        ;  msbs: dst=0 src0=0 src1=0 src2=0
	v_add_f32_e32 v7, v7, v71
	s_set_vgpr_msb 1                        ;  msbs: dst=0 src0=1 src1=0 src2=0
	v_dual_fmac_f32 v75, v33 /*v289*/, v176 :: v_dual_fmac_f32 v77, v35 /*v291*/, v178
	v_fma_f32 v19, v32 /*v288*/, v176, -v19
	s_set_vgpr_msb 0                        ;  msbs: dst=0 src0=0 src1=0 src2=0
	v_add_f32_e32 v9, v9, v17
	v_add_f32_e32 v7, v7, v73
	s_set_vgpr_msb 1                        ;  msbs: dst=0 src0=1 src1=0 src2=0
	v_dual_mul_f32 v79, v36 /*v292*/, v181 :: v_dual_mul_f32 v81, v38 /*v294*/, v183
	v_fma_f32 v17, v34 /*v290*/, v178, -v21
	s_wait_loadcnt 0x4
	s_set_vgpr_msb 0                        ;  msbs: dst=0 src0=0 src1=0 src2=0
	v_dual_add_f32 v9, v9, v19 :: v_dual_mov_b32 v110, v191
	v_add_f32_e32 v7, v7, v75
	s_set_vgpr_msb 1                        ;  msbs: dst=0 src0=1 src1=0 src2=0
	v_dual_fmac_f32 v79, v37 /*v293*/, v180 :: v_dual_fmac_f32 v81, v39 /*v295*/, v182
	v_fma_f32 v19, v36 /*v292*/, v180, -v23
	s_set_vgpr_msb 0                        ;  msbs: dst=0 src0=0 src1=0 src2=0
	v_add_f32_e32 v9, v9, v17
	v_add_f32_e32 v7, v7, v77
	s_set_vgpr_msb 0x41                     ;  msbs: dst=1 src0=1 src1=0 src2=0
	v_dual_mul_f32 v55 /*v311*/, v40 /*v296*/, v185 :: v_dual_mul_f32 v57 /*v313*/, v42 /*v298*/, v187
	s_set_vgpr_msb 1                        ;  msbs: dst=0 src0=1 src1=0 src2=0
	v_fma_f32 v11, v38 /*v294*/, v182, -v11
	s_set_vgpr_msb 0                        ;  msbs: dst=0 src0=0 src1=0 src2=0
	v_add_f32_e32 v9, v9, v19
	v_add_f32_e32 v7, v7, v79
	v_pk_mul_f32 v[108:109], v[220:221], v[188:189] op_sel:[1,1] op_sel_hi:[0,1]
	s_wait_loadcnt 0x3
	v_mov_b32_e32 v114, v195
	s_set_vgpr_msb 0x41                     ;  msbs: dst=1 src0=1 src1=0 src2=0
	v_dual_fmac_f32 v55 /*v311*/, v41 /*v297*/, v184 :: v_dual_fmac_f32 v57 /*v313*/, v43 /*v299*/, v186
	v_dual_fma_f32 v54 /*v310*/, v40 /*v296*/, v184, -v13 :: v_dual_fma_f32 v56 /*v312*/, v42 /*v298*/, v186, -v15
	s_set_vgpr_msb 0                        ;  msbs: dst=0 src0=0 src1=0 src2=0
	v_dual_add_f32 v117, v7, v81 :: v_dual_add_f32 v116, v9, v11
	v_pk_fma_f32 v[118:119], v[220:221], v[188:189], v[108:109] op_sel_hi:[1,0,1]
	s_set_vgpr_msb 1                        ;  msbs: dst=0 src0=1 src1=0 src2=0
	v_pk_mul_f32 v[110:111], v[46:47] /*v[302:303]*/, v[110:111] op_sel_hi:[1,0]
	s_set_vgpr_msb 0                        ;  msbs: dst=0 src0=0 src1=0 src2=0
	v_pk_fma_f32 v[108:109], v[220:221], v[188:189], v[108:109] neg_lo:[0,0,1] neg_hi:[0,0,1]
	v_pk_mul_f32 v[112:113], v[224:225], v[192:193] op_sel:[1,1] op_sel_hi:[0,1]
	s_set_vgpr_msb 4                        ;  msbs: dst=0 src0=0 src1=1 src2=0
	v_pk_add_f32 v[116:117], v[116:117], v[54:55] /*v[310:311]*/
	v_mov_b32_e32 v109, v119
	s_set_vgpr_msb 0                        ;  msbs: dst=0 src0=0 src1=0 src2=0
	v_pk_fma_f32 v[118:119], v[222:223], v[190:191], v[110:111] op_sel_hi:[1,0,1]
	v_pk_fma_f32 v[110:111], v[222:223], v[190:191], v[110:111] neg_lo:[0,0,1] neg_hi:[0,0,1]
	v_pk_fma_f32 v[122:123], v[224:225], v[192:193], v[112:113] op_sel_hi:[1,0,1]
	s_set_vgpr_msb 4                        ;  msbs: dst=0 src0=0 src1=1 src2=0
	v_pk_add_f32 v[116:117], v[116:117], v[56:57] /*v[312:313]*/
	s_set_vgpr_msb 1                        ;  msbs: dst=0 src0=1 src1=0 src2=0
	v_pk_mul_f32 v[114:115], v[48:49] /*v[304:305]*/, v[114:115] op_sel_hi:[1,0]
	s_set_vgpr_msb 0                        ;  msbs: dst=0 src0=0 src1=0 src2=0
	v_mov_b32_e32 v111, v119
	s_wait_loadcnt 0x2
	v_pk_mul_f32 v[120:121], v[236:237], v[196:197] op_sel:[1,1] op_sel_hi:[0,1]
	v_pk_fma_f32 v[112:113], v[224:225], v[192:193], v[112:113] neg_lo:[0,0,1] neg_hi:[0,0,1]
	v_pk_add_f32 v[108:109], v[116:117], v[108:109]
	v_dual_mov_b32 v116, v199 :: v_dual_mov_b32 v113, v123
	v_pk_fma_f32 v[118:119], v[226:227], v[194:195], v[114:115] op_sel_hi:[1,0,1]
	v_pk_fma_f32 v[114:115], v[226:227], v[194:195], v[114:115] neg_lo:[0,0,1] neg_hi:[0,0,1]
	s_delay_alu instid0(VALU_DEP_4)
	v_pk_add_f32 v[108:109], v[108:109], v[110:111]
	v_pk_fma_f32 v[110:111], v[236:237], v[196:197], v[120:121] op_sel_hi:[1,0,1]
	s_set_vgpr_msb 1                        ;  msbs: dst=0 src0=1 src1=0 src2=0
	v_pk_mul_f32 v[116:117], v[50:51] /*v[306:307]*/, v[116:117] op_sel_hi:[1,0]
	s_set_vgpr_msb 0                        ;  msbs: dst=0 src0=0 src1=0 src2=0
	v_mov_b32_e32 v115, v119
	v_pk_fma_f32 v[118:119], v[236:237], v[196:197], v[120:121] neg_lo:[0,0,1] neg_hi:[0,0,1]
	v_pk_add_f32 v[108:109], v[108:109], v[112:113]
	v_mov_b32_e32 v119, v111
	v_pk_fma_f32 v[110:111], v[238:239], v[198:199], v[116:117] op_sel_hi:[1,0,1]
	s_wait_loadcnt 0x1
	v_pk_mul_f32 v[112:113], v[240:241], v[200:201] op_sel:[1,1] op_sel_hi:[0,1]
	v_mov_b32_e32 v110, v203
	v_pk_add_f32 v[108:109], v[108:109], v[114:115]
	v_pk_fma_f32 v[116:117], v[238:239], v[198:199], v[116:117] neg_lo:[0,0,1] neg_hi:[0,0,1]
	v_mov_b32_e32 v117, v111
	v_pk_fma_f32 v[114:115], v[240:241], v[200:201], v[112:113] op_sel_hi:[1,0,1]
	s_set_vgpr_msb 1                        ;  msbs: dst=0 src0=1 src1=0 src2=0
	v_pk_mul_f32 v[110:111], v[52:53] /*v[308:309]*/, v[110:111] op_sel_hi:[1,0]
	s_set_vgpr_msb 0                        ;  msbs: dst=0 src0=0 src1=0 src2=0
	v_pk_add_f32 v[108:109], v[108:109], v[118:119]
	v_pk_fma_f32 v[112:113], v[240:241], v[200:201], v[112:113] neg_lo:[0,0,1] neg_hi:[0,0,1]
	v_mov_b32_e32 v113, v115
	v_pk_fma_f32 v[114:115], v[242:243], v[202:203], v[110:111] op_sel_hi:[1,0,1]
	s_delay_alu instid0(VALU_DEP_4) | instskip(SKIP_1) | instid1(VALU_DEP_3)
	v_pk_add_f32 v[108:109], v[108:109], v[116:117]
	v_pk_fma_f32 v[110:111], v[242:243], v[202:203], v[110:111] neg_lo:[0,0,1] neg_hi:[0,0,1]
	v_mov_b32_e32 v111, v115
	s_delay_alu instid0(VALU_DEP_3) | instskip(NEXT) | instid1(VALU_DEP_1)
	v_pk_add_f32 v[108:109], v[108:109], v[112:113]
	v_pk_add_f32 v[108:109], v[108:109], v[110:111]
	s_wait_loadcnt 0x0
	s_set_vgpr_msb 1                        ;  msbs: dst=0 src0=1 src1=0 src2=0
	s_delay_alu instid0(VALU_DEP_1)
	v_pk_add_f32 v[108:109], v[44:45] /*v[300:301]*/, v[108:109] neg_lo:[0,1] neg_hi:[0,1]
	scratch_store_b64 off, v[108:109], off offset:32
	s_wait_xcnt 0x0
	v_cmpx_lt_u32_e32 3, v0
	s_set_vgpr_msb 0                        ;  msbs: dst=0 src0=0 src1=0 src2=0
	s_cbranch_execz .LBB116_325
; %bb.324:
	scratch_load_b64 v[108:109], off, off offset:24
	v_mov_b64_e32 v[110:111], 0
	scratch_store_b64 off, v[110:111], off offset:24
	s_wait_loadcnt 0x0
	ds_store_b64 v1, v[108:109]
.LBB116_325:
	s_wait_xcnt 0x0
	s_or_b32 exec_lo, exec_lo, s0
	s_wait_storecnt_dscnt 0x0
	s_barrier_signal -1
	s_barrier_wait -1
	s_clause 0x1a
	scratch_load_b128 v[108:111], off, off offset:32
	scratch_load_b128 v[112:115], off, off offset:48
	;; [unrolled: 1-line block ×24, first 2 shown]
	s_set_vgpr_msb 64                       ;  msbs: dst=1 src0=0 src1=0 src2=0
	scratch_load_b64 v[44:45] /*v[300:301]*/, off, off offset:416
	scratch_load_b64 v[46:47] /*v[302:303]*/, off, off offset:24
	s_set_vgpr_msb 0                        ;  msbs: dst=0 src0=0 src1=0 src2=0
	v_mov_b32_e32 v7, 0
	ds_load_b128 v[204:207], v7 offset:464
	ds_load_b128 v[208:211], v7 offset:480
	;; [unrolled: 1-line block ×13, first 2 shown]
	s_set_vgpr_msb 64                       ;  msbs: dst=1 src0=0 src1=0 src2=0
	ds_load_b128 v[0:3] /*v[256:259]*/, v7 offset:608
	ds_load_b128 v[4:7] /*v[260:263]*/, v7 offset:624
	;; [unrolled: 1-line block ×11, first 2 shown]
	ds_load_b64 v[48:49] /*v[304:305]*/, v7 offset:848
	s_wait_dscnt 0x14
	v_dual_mov_b32 v50 /*v306*/, v223 :: v_dual_mov_b32 v51 /*v307*/, v222
	s_wait_dscnt 0x11
	v_dual_mov_b32 v52 /*v308*/, v235 :: v_dual_mov_b32 v53 /*v309*/, v234
	;; [unrolled: 2-line block ×4, first 2 shown]
	s_mov_b32 s0, exec_lo
	s_wait_loadcnt 0x19
	s_set_vgpr_msb 0                        ;  msbs: dst=0 src0=0 src1=0 src2=0
	v_dual_mul_f32 v9, v204, v109 :: v_dual_mul_f32 v11, v206, v111
	s_wait_loadcnt 0x18
	v_dual_mul_f32 v13, v208, v113 :: v_dual_mul_f32 v89, v207, v111
	v_mul_f32_e32 v91, v209, v113
	s_delay_alu instid0(VALU_DEP_3) | instskip(SKIP_1) | instid1(VALU_DEP_3)
	v_dual_mul_f32 v87, v205, v109 :: v_dual_fmac_f32 v9, v205, v108
	s_wait_loadcnt 0x16
	v_dual_mul_f32 v101, v219, v123 :: v_dual_fma_f32 v89, v206, v110, -v89
	s_wait_loadcnt_dscnt 0x110c
	s_delay_alu instid0(VALU_DEP_2) | instskip(SKIP_2) | instid1(VALU_DEP_3)
	v_dual_mul_f32 v43, v254, v143 :: v_dual_fma_f32 v87, v204, v108, -v87
	v_dual_fmac_f32 v11, v207, v110 :: v_dual_add_f32 v9, 0, v9
	v_dual_mul_f32 v15, v210, v115 :: v_dual_mul_f32 v17, v212, v117
	v_add_f32_e32 v87, 0, v87
	v_dual_mul_f32 v93, v211, v115 :: v_dual_mul_f32 v95, v213, v117
	v_dual_mul_f32 v103, v225, v125 :: v_dual_fma_f32 v91, v208, v112, -v91
	s_wait_loadcnt_dscnt 0x601
	s_set_vgpr_msb 1                        ;  msbs: dst=0 src0=1 src1=0 src2=0
	v_mul_f32_e32 v85, v40 /*v296*/, v185
	s_set_vgpr_msb 0                        ;  msbs: dst=0 src0=0 src1=0 src2=0
	v_fmac_f32_e32 v13, v209, v112
	v_dual_add_f32 v9, v9, v11 :: v_dual_fmac_f32 v15, v211, v114
	v_add_f32_e32 v11, v87, v89
	v_dual_mul_f32 v87, v227, v127 :: v_dual_fma_f32 v89, v210, v114, -v93
	s_delay_alu instid0(VALU_DEP_3) | instskip(NEXT) | instid1(VALU_DEP_3)
	v_dual_add_f32 v9, v9, v13 :: v_dual_mul_f32 v19, v214, v119
	v_dual_mul_f32 v21, v216, v121 :: v_dual_add_f32 v11, v11, v91
	v_dual_mul_f32 v97, v215, v119 :: v_dual_mul_f32 v99, v217, v121
	v_dual_mul_f32 v13, v229, v129 :: v_dual_fma_f32 v91, v212, v116, -v95
	s_delay_alu instid0(VALU_DEP_3) | instskip(SKIP_1) | instid1(VALU_DEP_4)
	v_dual_fmac_f32 v17, v213, v116 :: v_dual_add_f32 v11, v11, v89
	v_dual_add_f32 v9, v9, v15 :: v_dual_fmac_f32 v19, v215, v118
	v_dual_mul_f32 v15, v231, v131 :: v_dual_fma_f32 v89, v214, v118, -v97
	s_delay_alu instid0(VALU_DEP_2) | instskip(SKIP_2) | instid1(VALU_DEP_3)
	v_dual_add_f32 v11, v11, v91 :: v_dual_add_f32 v9, v9, v17
	v_dual_mul_f32 v23, v218, v123 :: v_dual_mul_f32 v25, v224, v125
	v_dual_mul_f32 v17, v241, v133 :: v_dual_fma_f32 v91, v216, v120, -v99
	v_dual_fmac_f32 v21, v217, v120 :: v_dual_add_f32 v11, v11, v89
	s_delay_alu instid0(VALU_DEP_3) | instskip(SKIP_1) | instid1(VALU_DEP_2)
	v_dual_add_f32 v9, v9, v19 :: v_dual_fmac_f32 v23, v219, v122
	v_dual_mul_f32 v19, v243, v135 :: v_dual_fma_f32 v89, v218, v122, -v101
	v_dual_add_f32 v11, v11, v91 :: v_dual_add_f32 v9, v9, v21
	v_dual_mul_f32 v27, v226, v127 :: v_dual_mul_f32 v29, v228, v129
	v_dual_mul_f32 v21, v245, v137 :: v_dual_fma_f32 v91, v224, v124, -v103
	s_delay_alu instid0(VALU_DEP_3) | instskip(NEXT) | instid1(VALU_DEP_3)
	v_dual_fmac_f32 v25, v225, v124 :: v_dual_add_f32 v11, v11, v89
	v_dual_add_f32 v9, v9, v23 :: v_dual_fmac_f32 v27, v227, v126
	v_dual_mul_f32 v23, v247, v139 :: v_dual_fma_f32 v87, v226, v126, -v87
	s_delay_alu instid0(VALU_DEP_2) | instskip(SKIP_2) | instid1(VALU_DEP_3)
	v_dual_add_f32 v11, v11, v91 :: v_dual_add_f32 v9, v9, v25
	v_dual_mul_f32 v31, v230, v131 :: v_dual_mul_f32 v33, v240, v133
	v_dual_mul_f32 v25, v253, v141 :: v_dual_fma_f32 v13, v228, v128, -v13
	v_dual_fmac_f32 v29, v229, v128 :: v_dual_add_f32 v11, v11, v87
	s_delay_alu instid0(VALU_DEP_3) | instskip(SKIP_1) | instid1(VALU_DEP_3)
	v_dual_add_f32 v9, v9, v27 :: v_dual_fmac_f32 v31, v231, v130
	v_dual_mul_f32 v27, v255, v143 :: v_dual_fma_f32 v15, v230, v130, -v15
	v_dual_add_f32 v11, v11, v13 :: v_dual_fmac_f32 v33, v241, v132
	s_delay_alu instid0(VALU_DEP_3) | instskip(SKIP_1) | instid1(VALU_DEP_3)
	v_dual_add_f32 v9, v9, v29 :: v_dual_fma_f32 v17, v240, v132, -v17
	v_dual_mul_f32 v35, v242, v135 :: v_dual_mul_f32 v37, v244, v137
	v_dual_add_f32 v11, v11, v15 :: v_dual_fma_f32 v19, v242, v134, -v19
	s_delay_alu instid0(VALU_DEP_2) | instskip(SKIP_1) | instid1(VALU_DEP_3)
	v_dual_add_f32 v9, v9, v31 :: v_dual_fmac_f32 v35, v243, v134
	v_dual_mul_f32 v39, v246, v139 :: v_dual_mul_f32 v41, v252, v141
	v_dual_add_f32 v11, v11, v17 :: v_dual_fmac_f32 v37, v245, v136
	s_delay_alu instid0(VALU_DEP_3) | instskip(NEXT) | instid1(VALU_DEP_3)
	v_dual_add_f32 v9, v9, v33 :: v_dual_fma_f32 v21, v244, v136, -v21
	v_fmac_f32_e32 v39, v247, v138
	s_delay_alu instid0(VALU_DEP_3) | instskip(NEXT) | instid1(VALU_DEP_3)
	v_dual_add_f32 v11, v11, v19 :: v_dual_fma_f32 v23, v246, v138, -v23
	v_add_f32_e32 v9, v9, v35
	v_fmac_f32_e32 v41, v253, v140
	s_delay_alu instid0(VALU_DEP_3)
	v_dual_fma_f32 v25, v252, v140, -v25 :: v_dual_add_f32 v11, v11, v21
	s_set_vgpr_msb 1                        ;  msbs: dst=0 src0=1 src1=0 src2=0
	v_dual_mul_f32 v45, v0 /*v256*/, v145 :: v_dual_mul_f32 v47, v2 /*v258*/, v147
	s_set_vgpr_msb 0                        ;  msbs: dst=0 src0=0 src1=0 src2=0
	v_add_f32_e32 v9, v9, v37
	s_set_vgpr_msb 1                        ;  msbs: dst=0 src0=1 src1=0 src2=0
	v_dual_mul_f32 v13, v1 /*v257*/, v145 :: v_dual_mul_f32 v15, v3 /*v259*/, v147
	s_set_vgpr_msb 0                        ;  msbs: dst=0 src0=0 src1=0 src2=0
	v_dual_add_f32 v11, v11, v23 :: v_dual_fma_f32 v27, v254, v142, -v27
	v_dual_add_f32 v9, v9, v39 :: v_dual_fmac_f32 v43, v255, v142
	s_set_vgpr_msb 1                        ;  msbs: dst=0 src0=1 src1=0 src2=0
	v_dual_mul_f32 v49, v4 /*v260*/, v149 :: v_dual_mul_f32 v51, v6 /*v262*/, v151
	s_set_vgpr_msb 0                        ;  msbs: dst=0 src0=0 src1=0 src2=0
	v_add_f32_e32 v11, v11, v25
	v_add_f32_e32 v9, v9, v41
	s_set_vgpr_msb 1                        ;  msbs: dst=0 src0=1 src1=0 src2=0
	v_dual_mul_f32 v25, v13 /*v269*/, v157 :: v_dual_fma_f32 v13, v0 /*v256*/, v144, -v13
	v_fmac_f32_e32 v45, v1 /*v257*/, v144
	s_set_vgpr_msb 0                        ;  msbs: dst=0 src0=0 src1=0 src2=0
	v_add_f32_e32 v11, v11, v27
	v_add_f32_e32 v9, v9, v43
	s_set_vgpr_msb 1                        ;  msbs: dst=0 src0=1 src1=0 src2=0
	v_dual_mul_f32 v17, v5 /*v261*/, v149 :: v_dual_mul_f32 v19, v7 /*v263*/, v151
	v_mul_f32_e32 v27, v15 /*v271*/, v159
	v_fmac_f32_e32 v47, v3 /*v259*/, v146
	v_dual_fma_f32 v15, v2 /*v258*/, v146, -v15 :: v_dual_fmac_f32 v49, v5 /*v261*/, v148
	s_set_vgpr_msb 0                        ;  msbs: dst=0 src0=0 src1=0 src2=0
	v_add_f32_e32 v11, v11, v13
	v_add_f32_e32 v9, v9, v45
	s_set_vgpr_msb 1                        ;  msbs: dst=0 src0=1 src1=0 src2=0
	v_dual_mul_f32 v53, v8 /*v264*/, v153 :: v_dual_mul_f32 v55, v10 /*v266*/, v155
	v_dual_mul_f32 v13, v17 /*v273*/, v161 :: v_dual_fma_f32 v17, v4 /*v260*/, v148, -v17
	s_set_vgpr_msb 0                        ;  msbs: dst=0 src0=0 src1=0 src2=0
	v_add_f32_e32 v11, v11, v15
	v_add_f32_e32 v9, v9, v47
	s_set_vgpr_msb 1                        ;  msbs: dst=0 src0=1 src1=0 src2=0
	v_dual_mul_f32 v21, v9 /*v265*/, v153 :: v_dual_mul_f32 v23, v11 /*v267*/, v155
	v_mul_f32_e32 v15, v19 /*v275*/, v163
	v_fmac_f32_e32 v51, v7 /*v263*/, v150
	v_dual_fma_f32 v19, v6 /*v262*/, v150, -v19 :: v_dual_fmac_f32 v53, v9 /*v265*/, v152
	s_set_vgpr_msb 0                        ;  msbs: dst=0 src0=0 src1=0 src2=0
	v_add_f32_e32 v11, v11, v17
	v_add_f32_e32 v9, v9, v49
	s_set_vgpr_msb 1                        ;  msbs: dst=0 src0=1 src1=0 src2=0
	v_dual_mul_f32 v57, v12 /*v268*/, v157 :: v_dual_mul_f32 v59, v14 /*v270*/, v159
	v_dual_mul_f32 v17, v21 /*v277*/, v165 :: v_dual_fma_f32 v21, v8 /*v264*/, v152, -v21
	s_set_vgpr_msb 0                        ;  msbs: dst=0 src0=0 src1=0 src2=0
	v_add_f32_e32 v11, v11, v19
	v_add_f32_e32 v9, v9, v51
	s_set_vgpr_msb 1                        ;  msbs: dst=0 src0=1 src1=0 src2=0
	v_mul_f32_e32 v19, v23 /*v279*/, v167
	v_fmac_f32_e32 v55, v11 /*v267*/, v154
	v_dual_fma_f32 v23, v10 /*v266*/, v154, -v23 :: v_dual_fmac_f32 v57, v13 /*v269*/, v156
	s_set_vgpr_msb 0                        ;  msbs: dst=0 src0=0 src1=0 src2=0
	v_add_f32_e32 v11, v11, v21
	v_add_f32_e32 v9, v9, v53
	s_set_vgpr_msb 1                        ;  msbs: dst=0 src0=1 src1=0 src2=0
	v_dual_mul_f32 v61, v16 /*v272*/, v161 :: v_dual_mul_f32 v63, v18 /*v274*/, v163
	v_dual_mul_f32 v21, v25 /*v281*/, v169 :: v_dual_fma_f32 v25, v12 /*v268*/, v156, -v25
	s_set_vgpr_msb 0                        ;  msbs: dst=0 src0=0 src1=0 src2=0
	v_add_f32_e32 v11, v11, v23
	v_add_f32_e32 v9, v9, v55
	s_set_vgpr_msb 1                        ;  msbs: dst=0 src0=1 src1=0 src2=0
	v_mul_f32_e32 v23, v27 /*v283*/, v171
	v_fmac_f32_e32 v59, v15 /*v271*/, v158
	v_dual_fma_f32 v27, v14 /*v270*/, v158, -v27 :: v_dual_fmac_f32 v61, v17 /*v273*/, v160
	s_set_vgpr_msb 0                        ;  msbs: dst=0 src0=0 src1=0 src2=0
	v_add_f32_e32 v11, v11, v25
	v_add_f32_e32 v9, v9, v57
	s_set_vgpr_msb 1                        ;  msbs: dst=0 src0=1 src1=0 src2=0
	v_dual_mul_f32 v65, v20 /*v276*/, v165 :: v_dual_mul_f32 v67, v22 /*v278*/, v167
	v_dual_mul_f32 v25, v29 /*v285*/, v173 :: v_dual_fma_f32 v13, v16 /*v272*/, v160, -v13
	s_set_vgpr_msb 0                        ;  msbs: dst=0 src0=0 src1=0 src2=0
	v_add_f32_e32 v11, v11, v27
	v_add_f32_e32 v9, v9, v59
	s_set_vgpr_msb 1                        ;  msbs: dst=0 src0=1 src1=0 src2=0
	v_mul_f32_e32 v27, v31 /*v287*/, v175
	v_fmac_f32_e32 v63, v19 /*v275*/, v162
	v_dual_fma_f32 v15, v18 /*v274*/, v162, -v15 :: v_dual_fmac_f32 v65, v21 /*v277*/, v164
	s_set_vgpr_msb 0                        ;  msbs: dst=0 src0=0 src1=0 src2=0
	v_add_f32_e32 v11, v11, v13
	v_add_f32_e32 v9, v9, v61
	s_set_vgpr_msb 1                        ;  msbs: dst=0 src0=1 src1=0 src2=0
	v_dual_mul_f32 v69, v24 /*v280*/, v169 :: v_dual_mul_f32 v71, v26 /*v282*/, v171
	v_dual_mul_f32 v13, v33 /*v289*/, v177 :: v_dual_fma_f32 v17, v20 /*v276*/, v164, -v17
	s_set_vgpr_msb 0                        ;  msbs: dst=0 src0=0 src1=0 src2=0
	v_add_f32_e32 v11, v11, v15
	v_add_f32_e32 v9, v9, v63
	s_set_vgpr_msb 1                        ;  msbs: dst=0 src0=1 src1=0 src2=0
	v_mul_f32_e32 v15, v35 /*v291*/, v179
	v_fmac_f32_e32 v67, v23 /*v279*/, v166
	v_dual_fma_f32 v19, v22 /*v278*/, v166, -v19 :: v_dual_fmac_f32 v69, v25 /*v281*/, v168
	s_set_vgpr_msb 0                        ;  msbs: dst=0 src0=0 src1=0 src2=0
	v_add_f32_e32 v11, v11, v17
	v_add_f32_e32 v9, v9, v65
	s_set_vgpr_msb 1                        ;  msbs: dst=0 src0=1 src1=0 src2=0
	v_dual_mul_f32 v73, v28 /*v284*/, v173 :: v_dual_mul_f32 v75, v30 /*v286*/, v175
	v_dual_mul_f32 v17, v37 /*v293*/, v181 :: v_dual_fma_f32 v21, v24 /*v280*/, v168, -v21
	s_set_vgpr_msb 0                        ;  msbs: dst=0 src0=0 src1=0 src2=0
	v_add_f32_e32 v11, v11, v19
	v_add_f32_e32 v9, v9, v67
	s_set_vgpr_msb 1                        ;  msbs: dst=0 src0=1 src1=0 src2=0
	v_mul_f32_e32 v19, v39 /*v295*/, v183
	v_fmac_f32_e32 v71, v27 /*v283*/, v170
	v_dual_fma_f32 v23, v26 /*v282*/, v170, -v23 :: v_dual_fmac_f32 v73, v29 /*v285*/, v172
	s_set_vgpr_msb 0                        ;  msbs: dst=0 src0=0 src1=0 src2=0
	v_add_f32_e32 v11, v11, v21
	v_add_f32_e32 v9, v9, v69
	s_set_vgpr_msb 1                        ;  msbs: dst=0 src0=1 src1=0 src2=0
	v_dual_mul_f32 v77, v32 /*v288*/, v177 :: v_dual_mul_f32 v79, v34 /*v290*/, v179
	v_dual_mul_f32 v21, v41 /*v297*/, v185 :: v_dual_fma_f32 v25, v28 /*v284*/, v172, -v25
	s_set_vgpr_msb 0                        ;  msbs: dst=0 src0=0 src1=0 src2=0
	v_add_f32_e32 v11, v11, v23
	v_add_f32_e32 v9, v9, v71
	s_set_vgpr_msb 1                        ;  msbs: dst=0 src0=1 src1=0 src2=0
	v_mul_f32_e32 v23, v43 /*v299*/, v187
	v_dual_fmac_f32 v75, v31 /*v287*/, v174 :: v_dual_fmac_f32 v77, v33 /*v289*/, v176
	v_dual_fma_f32 v27, v30 /*v286*/, v174, -v27 :: v_dual_fma_f32 v13, v32 /*v288*/, v176, -v13
	s_set_vgpr_msb 0                        ;  msbs: dst=0 src0=0 src1=0 src2=0
	v_add_f32_e32 v11, v11, v25
	v_add_f32_e32 v9, v9, v73
	s_set_vgpr_msb 1                        ;  msbs: dst=0 src0=1 src1=0 src2=0
	v_dual_mul_f32 v81, v36 /*v292*/, v181 :: v_dual_mul_f32 v83, v38 /*v294*/, v183
	v_fmac_f32_e32 v79, v35 /*v291*/, v178
	s_set_vgpr_msb 0                        ;  msbs: dst=0 src0=0 src1=0 src2=0
	v_add_f32_e32 v11, v11, v27
	v_add_f32_e32 v9, v9, v75
	s_set_vgpr_msb 1                        ;  msbs: dst=0 src0=1 src1=0 src2=0
	v_dual_fma_f32 v15, v34 /*v290*/, v178, -v15 :: v_dual_fmac_f32 v81, v37 /*v293*/, v180
	s_wait_loadcnt 0x5
	s_set_vgpr_msb 0                        ;  msbs: dst=0 src0=0 src1=0 src2=0
	v_dual_mul_f32 v25, v221, v189 :: v_dual_mov_b32 v108, v191
	v_add_f32_e32 v11, v11, v13
	s_set_vgpr_msb 1                        ;  msbs: dst=0 src0=1 src1=0 src2=0
	v_fma_f32 v13, v36 /*v292*/, v180, -v17
	s_set_vgpr_msb 0                        ;  msbs: dst=0 src0=0 src1=0 src2=0
	v_add_f32_e32 v9, v9, v77
	s_set_vgpr_msb 1                        ;  msbs: dst=0 src0=1 src1=0 src2=0
	v_dual_fmac_f32 v83, v39 /*v295*/, v182 :: v_dual_fmac_f32 v85, v41 /*v297*/, v184
	s_set_vgpr_msb 0                        ;  msbs: dst=0 src0=0 src1=0 src2=0
	v_add_f32_e32 v11, v11, v15
	s_set_vgpr_msb 1                        ;  msbs: dst=0 src0=1 src1=0 src2=0
	v_fma_f32 v15, v38 /*v294*/, v182, -v19
	s_wait_loadcnt 0x4
	s_set_vgpr_msb 0                        ;  msbs: dst=0 src0=0 src1=0 src2=0
	v_dual_add_f32 v9, v9, v79 :: v_dual_mov_b32 v112, v195
	s_set_vgpr_msb 0x41                     ;  msbs: dst=1 src0=1 src1=0 src2=0
	v_dual_mul_f32 v59 /*v315*/, v42 /*v298*/, v187 :: v_dual_fma_f32 v58 /*v314*/, v42 /*v298*/, v186, -v23
	s_set_vgpr_msb 1                        ;  msbs: dst=0 src0=1 src1=0 src2=0
	v_pk_mul_f32 v[108:109], v[50:51] /*v[306:307]*/, v[108:109] op_sel_hi:[1,0]
	s_set_vgpr_msb 0                        ;  msbs: dst=0 src0=0 src1=0 src2=0
	v_add_f32_e32 v9, v9, v81
	v_add_f32_e32 v11, v11, v13
	s_set_vgpr_msb 1                        ;  msbs: dst=0 src0=1 src1=0 src2=0
	v_fma_f32 v13, v40 /*v296*/, v184, -v21
	s_set_vgpr_msb 64                       ;  msbs: dst=1 src0=0 src1=0 src2=0
	v_dual_mul_f32 v61 /*v317*/, v220, v189 :: v_dual_fma_f32 v60 /*v316*/, v220, v188, -v25
	s_set_vgpr_msb 0                        ;  msbs: dst=0 src0=0 src1=0 src2=0
	v_add_f32_e32 v9, v9, v83
	v_add_f32_e32 v11, v11, v15
	s_set_vgpr_msb 0x41                     ;  msbs: dst=1 src0=1 src1=0 src2=0
	v_fmac_f32_e32 v59 /*v315*/, v43 /*v299*/, v186
	s_set_vgpr_msb 0                        ;  msbs: dst=0 src0=0 src1=0 src2=0
	v_pk_fma_f32 v[120:121], v[222:223], v[190:191], v[108:109] op_sel_hi:[1,0,1]
	v_pk_fma_f32 v[108:109], v[222:223], v[190:191], v[108:109] neg_lo:[0,0,1] neg_hi:[0,0,1]
	v_add_f32_e32 v117, v9, v85
	v_add_f32_e32 v116, v11, v13
	v_pk_mul_f32 v[110:111], v[232:233], v[192:193] op_sel:[1,1] op_sel_hi:[0,1]
	s_set_vgpr_msb 64                       ;  msbs: dst=1 src0=0 src1=0 src2=0
	v_fmac_f32_e32 v61 /*v317*/, v221, v188
	s_set_vgpr_msb 0                        ;  msbs: dst=0 src0=0 src1=0 src2=0
	v_mov_b32_e32 v109, v121
	s_set_vgpr_msb 1                        ;  msbs: dst=0 src0=1 src1=0 src2=0
	v_pk_mul_f32 v[112:113], v[52:53] /*v[308:309]*/, v[112:113] op_sel_hi:[1,0]
	s_set_vgpr_msb 4                        ;  msbs: dst=0 src0=0 src1=1 src2=0
	v_pk_add_f32 v[116:117], v[116:117], v[58:59] /*v[314:315]*/
	s_set_vgpr_msb 0                        ;  msbs: dst=0 src0=0 src1=0 src2=0
	v_pk_fma_f32 v[122:123], v[232:233], v[192:193], v[110:111] op_sel_hi:[1,0,1]
	v_pk_fma_f32 v[110:111], v[232:233], v[192:193], v[110:111] neg_lo:[0,0,1] neg_hi:[0,0,1]
	s_wait_loadcnt 0x3
	v_pk_mul_f32 v[114:115], v[236:237], v[196:197] op_sel:[1,1] op_sel_hi:[0,1]
	v_mov_b32_e32 v118, v199
	s_set_vgpr_msb 4                        ;  msbs: dst=0 src0=0 src1=1 src2=0
	v_pk_add_f32 v[116:117], v[116:117], v[60:61] /*v[316:317]*/
	v_mov_b32_e32 v111, v123
	s_set_vgpr_msb 0                        ;  msbs: dst=0 src0=0 src1=0 src2=0
	v_pk_fma_f32 v[122:123], v[234:235], v[194:195], v[112:113] op_sel_hi:[1,0,1]
	v_pk_fma_f32 v[112:113], v[234:235], v[194:195], v[112:113] neg_lo:[0,0,1] neg_hi:[0,0,1]
	s_set_vgpr_msb 1                        ;  msbs: dst=0 src0=1 src1=0 src2=0
	v_pk_mul_f32 v[118:119], v[54:55] /*v[310:311]*/, v[118:119] op_sel_hi:[1,0]
	s_set_vgpr_msb 0                        ;  msbs: dst=0 src0=0 src1=0 src2=0
	v_pk_add_f32 v[108:109], v[116:117], v[108:109]
	v_pk_fma_f32 v[116:117], v[236:237], v[196:197], v[114:115] op_sel_hi:[1,0,1]
	v_mov_b32_e32 v113, v123
	v_pk_fma_f32 v[114:115], v[236:237], v[196:197], v[114:115] neg_lo:[0,0,1] neg_hi:[0,0,1]
	s_wait_loadcnt 0x2
	v_pk_mul_f32 v[120:121], v[248:249], v[200:201] op_sel:[1,1] op_sel_hi:[0,1]
	v_pk_add_f32 v[108:109], v[108:109], v[110:111]
	v_dual_mov_b32 v110, v203 :: v_dual_mov_b32 v115, v117
	v_pk_fma_f32 v[116:117], v[238:239], v[198:199], v[118:119] op_sel_hi:[1,0,1]
	v_pk_fma_f32 v[118:119], v[238:239], v[198:199], v[118:119] neg_lo:[0,0,1] neg_hi:[0,0,1]
	s_delay_alu instid0(VALU_DEP_4)
	v_pk_add_f32 v[108:109], v[108:109], v[112:113]
	v_pk_fma_f32 v[112:113], v[248:249], v[200:201], v[120:121] op_sel_hi:[1,0,1]
	s_set_vgpr_msb 1                        ;  msbs: dst=0 src0=1 src1=0 src2=0
	v_pk_mul_f32 v[110:111], v[56:57] /*v[312:313]*/, v[110:111] op_sel_hi:[1,0]
	s_set_vgpr_msb 0                        ;  msbs: dst=0 src0=0 src1=0 src2=0
	v_mov_b32_e32 v119, v117
	s_wait_loadcnt_dscnt 0x100
	s_set_vgpr_msb 5                        ;  msbs: dst=0 src0=1 src1=1 src2=0
	v_pk_mul_f32 v[116:117], v[48:49] /*v[304:305]*/, v[44:45] /*v[300:301]*/ op_sel:[1,1] op_sel_hi:[0,1]
	s_set_vgpr_msb 0                        ;  msbs: dst=0 src0=0 src1=0 src2=0
	v_pk_add_f32 v[108:109], v[108:109], v[114:115]
	v_pk_fma_f32 v[114:115], v[248:249], v[200:201], v[120:121] neg_lo:[0,0,1] neg_hi:[0,0,1]
	v_mov_b32_e32 v115, v113
	v_pk_fma_f32 v[112:113], v[250:251], v[202:203], v[110:111] op_sel_hi:[1,0,1]
	v_pk_fma_f32 v[110:111], v[250:251], v[202:203], v[110:111] neg_lo:[0,0,1] neg_hi:[0,0,1]
	v_pk_add_f32 v[108:109], v[108:109], v[118:119]
	s_delay_alu instid0(VALU_DEP_3)
	v_mov_b32_e32 v111, v113
	s_set_vgpr_msb 5                        ;  msbs: dst=0 src0=1 src1=1 src2=0
	v_pk_fma_f32 v[112:113], v[48:49] /*v[304:305]*/, v[44:45] /*v[300:301]*/, v[116:117] op_sel_hi:[1,0,1]
	s_set_vgpr_msb 0                        ;  msbs: dst=0 src0=0 src1=0 src2=0
	v_pk_add_f32 v[108:109], v[108:109], v[114:115]
	s_set_vgpr_msb 5                        ;  msbs: dst=0 src0=1 src1=1 src2=0
	v_pk_fma_f32 v[114:115], v[48:49] /*v[304:305]*/, v[44:45] /*v[300:301]*/, v[116:117] neg_lo:[0,0,1] neg_hi:[0,0,1]
	s_set_vgpr_msb 0                        ;  msbs: dst=0 src0=0 src1=0 src2=0
	v_mov_b32_e32 v115, v113
	v_pk_add_f32 v[108:109], v[108:109], v[110:111]
	s_delay_alu instid0(VALU_DEP_1) | instskip(SKIP_2) | instid1(VALU_DEP_1)
	v_pk_add_f32 v[108:109], v[108:109], v[114:115]
	s_wait_loadcnt 0x0
	s_set_vgpr_msb 1                        ;  msbs: dst=0 src0=1 src1=0 src2=0
	v_pk_add_f32 v[108:109], v[46:47] /*v[302:303]*/, v[108:109] neg_lo:[0,1] neg_hi:[0,1]
	scratch_store_b64 off, v[108:109], off offset:24
	s_wait_xcnt 0x0
	v_cmpx_lt_u32_e32 2, v0
	s_set_vgpr_msb 0                        ;  msbs: dst=0 src0=0 src1=0 src2=0
	s_cbranch_execz .LBB116_327
; %bb.326:
	scratch_load_b64 v[108:109], off, off offset:16
	v_mov_b64_e32 v[110:111], 0
	scratch_store_b64 off, v[110:111], off offset:16
	s_wait_loadcnt 0x0
	ds_store_b64 v1, v[108:109]
.LBB116_327:
	s_wait_xcnt 0x0
	s_or_b32 exec_lo, exec_lo, s0
	s_wait_storecnt_dscnt 0x0
	s_barrier_signal -1
	s_barrier_wait -1
	s_clause 0x18
	scratch_load_b128 v[108:111], off, off offset:24
	scratch_load_b128 v[112:115], off, off offset:40
	;; [unrolled: 1-line block ×25, first 2 shown]
	ds_load_2addr_b64 v[208:211], v7 offset0:57 offset1:58
	ds_load_2addr_b64 v[212:215], v7 offset0:59 offset1:60
	;; [unrolled: 1-line block ×12, first 2 shown]
	s_set_vgpr_msb 64                       ;  msbs: dst=1 src0=0 src1=0 src2=0
	ds_load_2addr_b64 v[0:3] /*v[256:259]*/, v7 offset0:105 offset1:106
	ds_load_2addr_b64 v[4:7] /*v[260:263]*/, v7 offset0:73 offset1:74
	;; [unrolled: 1-line block ×7, first 2 shown]
	scratch_load_b64 v[52:53] /*v[308:309]*/, off, off offset:16
	ds_load_2addr_b64 v[28:31] /*v[284:287]*/, v7 offset0:85 offset1:86
	ds_load_2addr_b64 v[32:35] /*v[288:291]*/, v7 offset0:87 offset1:88
	;; [unrolled: 1-line block ×6, first 2 shown]
	s_mov_b32 s0, exec_lo
	s_wait_dscnt 0x13
	v_dual_mov_b32 v54 /*v310*/, v231 :: v_dual_mov_b32 v55 /*v311*/, v230
	s_wait_dscnt 0x10
	v_dual_mov_b32 v56 /*v312*/, v243 :: v_dual_mov_b32 v57 /*v313*/, v242
	s_wait_dscnt 0xf
	v_dual_mov_b32 v58 /*v314*/, v247 :: v_dual_mov_b32 v59 /*v315*/, v246
	s_wait_dscnt 0xc
	s_set_vgpr_msb 0x41                     ;  msbs: dst=1 src0=1 src1=0 src2=0
	v_dual_mov_b32 v60 /*v316*/, v3 /*v259*/ :: v_dual_mov_b32 v61 /*v317*/, v2 /*v258*/
	s_wait_loadcnt 0x19
	s_set_vgpr_msb 0                        ;  msbs: dst=0 src0=0 src1=0 src2=0
	v_dual_mul_f32 v7, v208, v109 :: v_dual_mul_f32 v9, v210, v111
	v_dual_mul_f32 v87, v209, v109 :: v_dual_mul_f32 v89, v211, v111
	s_wait_loadcnt 0x18
	v_dual_mul_f32 v11, v212, v113 :: v_dual_mul_f32 v13, v214, v115
	s_delay_alu instid0(VALU_DEP_3) | instskip(SKIP_3) | instid1(VALU_DEP_3)
	v_dual_fmac_f32 v7, v209, v108 :: v_dual_fmac_f32 v9, v211, v110
	s_wait_loadcnt 0x16
	v_dual_fma_f32 v87, v208, v108, -v87 :: v_dual_mul_f32 v99, v221, v121
	v_dual_mul_f32 v91, v213, v113 :: v_dual_mul_f32 v93, v215, v115
	v_dual_fma_f32 v89, v210, v110, -v89 :: v_dual_add_f32 v7, 0, v7
	s_delay_alu instid0(VALU_DEP_3) | instskip(SKIP_1) | instid1(VALU_DEP_4)
	v_dual_add_f32 v87, 0, v87 :: v_dual_fmac_f32 v11, v213, v112
	v_dual_mul_f32 v15, v216, v117 :: v_dual_mul_f32 v17, v218, v119
	v_dual_mul_f32 v101, v223, v123 :: v_dual_fma_f32 v91, v212, v112, -v91
	s_delay_alu instid0(VALU_DEP_4) | instskip(NEXT) | instid1(VALU_DEP_3)
	v_add_f32_e32 v7, v7, v9
	v_dual_add_f32 v9, v87, v89 :: v_dual_fmac_f32 v15, v217, v116
	v_dual_mul_f32 v95, v217, v117 :: v_dual_mul_f32 v97, v219, v119
	s_wait_loadcnt 0x15
	v_dual_mul_f32 v87, v233, v125 :: v_dual_fmac_f32 v13, v215, v114
	v_dual_fma_f32 v89, v214, v114, -v93 :: v_dual_add_f32 v7, v7, v11
	s_delay_alu instid0(VALU_DEP_3) | instskip(SKIP_1) | instid1(VALU_DEP_3)
	v_dual_add_f32 v9, v9, v91 :: v_dual_fma_f32 v91, v216, v116, -v95
	v_dual_mul_f32 v19, v220, v121 :: v_dual_mul_f32 v21, v222, v123
	v_add_f32_e32 v7, v7, v13
	s_delay_alu instid0(VALU_DEP_3) | instskip(SKIP_2) | instid1(VALU_DEP_3)
	v_dual_mul_f32 v11, v235, v127 :: v_dual_add_f32 v9, v9, v89
	s_wait_loadcnt 0x14
	v_dual_mul_f32 v13, v237, v129 :: v_dual_fmac_f32 v17, v219, v118
	v_dual_fma_f32 v89, v218, v118, -v97 :: v_dual_add_f32 v7, v7, v15
	s_delay_alu instid0(VALU_DEP_3) | instskip(SKIP_1) | instid1(VALU_DEP_3)
	v_dual_add_f32 v9, v9, v91 :: v_dual_fma_f32 v91, v220, v120, -v99
	v_dual_mul_f32 v15, v239, v131 :: v_dual_fmac_f32 v19, v221, v120
	v_add_f32_e32 v7, v7, v17
	s_delay_alu instid0(VALU_DEP_3)
	v_dual_add_f32 v9, v9, v89 :: v_dual_fmac_f32 v21, v223, v122
	v_dual_mul_f32 v23, v232, v125 :: v_dual_mul_f32 v25, v234, v127
	s_wait_loadcnt 0x13
	v_dual_fma_f32 v89, v222, v122, -v101 :: v_dual_mul_f32 v17, v249, v133
	v_add_f32_e32 v7, v7, v19
	v_dual_add_f32 v9, v9, v91 :: v_dual_fma_f32 v87, v232, v124, -v87
	v_dual_mul_f32 v19, v251, v135 :: v_dual_fmac_f32 v23, v233, v124
	s_delay_alu instid0(VALU_DEP_3) | instskip(NEXT) | instid1(VALU_DEP_3)
	v_dual_add_f32 v7, v7, v21 :: v_dual_fma_f32 v11, v234, v126, -v11
	v_dual_add_f32 v9, v9, v89 :: v_dual_fmac_f32 v25, v235, v126
	v_dual_mul_f32 v27, v236, v129 :: v_dual_mul_f32 v29, v238, v131
	s_wait_loadcnt 0x12
	s_delay_alu instid0(VALU_DEP_3) | instskip(NEXT) | instid1(VALU_DEP_3)
	v_dual_mul_f32 v21, v253, v137 :: v_dual_add_f32 v7, v7, v23
	v_dual_add_f32 v9, v9, v87 :: v_dual_fma_f32 v13, v236, v128, -v13
	s_delay_alu instid0(VALU_DEP_3) | instskip(NEXT) | instid1(VALU_DEP_2)
	v_dual_mul_f32 v23, v255, v139 :: v_dual_fmac_f32 v27, v237, v128
	v_dual_add_f32 v7, v7, v25 :: v_dual_add_f32 v9, v9, v11
	v_dual_mul_f32 v31, v248, v133 :: v_dual_mul_f32 v33, v250, v135
	v_dual_fmac_f32 v29, v239, v130 :: v_dual_fma_f32 v15, v238, v130, -v15
	s_delay_alu instid0(VALU_DEP_3) | instskip(NEXT) | instid1(VALU_DEP_3)
	v_dual_add_f32 v7, v7, v27 :: v_dual_add_f32 v9, v9, v13
	v_dual_fmac_f32 v31, v249, v132 :: v_dual_fma_f32 v17, v248, v132, -v17
	v_dual_mul_f32 v35, v252, v137 :: v_dual_mul_f32 v37, v254, v139
	s_delay_alu instid0(VALU_DEP_3) | instskip(SKIP_1) | instid1(VALU_DEP_3)
	v_dual_add_f32 v7, v7, v29 :: v_dual_add_f32 v9, v9, v15
	v_dual_fmac_f32 v33, v251, v134 :: v_dual_fma_f32 v19, v250, v134, -v19
	v_dual_fmac_f32 v35, v253, v136 :: v_dual_fma_f32 v21, v252, v136, -v21
	s_delay_alu instid0(VALU_DEP_3)
	v_dual_add_f32 v7, v7, v31 :: v_dual_add_f32 v9, v9, v17
	s_wait_loadcnt_dscnt 0x110b
	s_set_vgpr_msb 1                        ;  msbs: dst=0 src0=1 src1=0 src2=0
	v_dual_mul_f32 v11, v5 /*v261*/, v141 :: v_dual_mul_f32 v13, v7 /*v263*/, v143
	s_set_vgpr_msb 0                        ;  msbs: dst=0 src0=0 src1=0 src2=0
	v_dual_fmac_f32 v37, v255, v138 :: v_dual_fma_f32 v23, v254, v138, -v23
	v_dual_add_f32 v7, v7, v33 :: v_dual_add_f32 v9, v9, v19
	s_set_vgpr_msb 1                        ;  msbs: dst=0 src0=1 src1=0 src2=0
	v_dual_mul_f32 v39, v4 /*v260*/, v141 :: v_dual_mul_f32 v41, v6 /*v262*/, v143
	v_fma_f32 v11, v4 /*v260*/, v140, -v11
	s_set_vgpr_msb 0                        ;  msbs: dst=0 src0=0 src1=0 src2=0
	v_dual_add_f32 v7, v7, v35 :: v_dual_add_f32 v9, v9, v21
	s_wait_loadcnt_dscnt 0x100a
	s_set_vgpr_msb 1                        ;  msbs: dst=0 src0=1 src1=0 src2=0
	v_dual_mul_f32 v15, v9 /*v265*/, v145 :: v_dual_mul_f32 v17, v11 /*v267*/, v147
	v_dual_fmac_f32 v39, v5 /*v261*/, v140 :: v_dual_fmac_f32 v41, v7 /*v263*/, v142
	s_set_vgpr_msb 0                        ;  msbs: dst=0 src0=0 src1=0 src2=0
	v_dual_add_f32 v7, v7, v37 :: v_dual_add_f32 v9, v9, v23
	s_wait_loadcnt_dscnt 0xe08
	s_set_vgpr_msb 1                        ;  msbs: dst=0 src0=1 src1=0 src2=0
	v_dual_mul_f32 v23, v17 /*v273*/, v153 :: v_dual_fma_f32 v13, v6 /*v262*/, v142, -v13
	v_dual_mul_f32 v43, v8 /*v264*/, v145 :: v_dual_mul_f32 v45, v10 /*v266*/, v147
	s_set_vgpr_msb 0                        ;  msbs: dst=0 src0=0 src1=0 src2=0
	v_add_f32_e32 v9, v9, v11
	s_set_vgpr_msb 1                        ;  msbs: dst=0 src0=1 src1=0 src2=0
	v_mul_f32_e32 v11, v19 /*v275*/, v155
	s_set_vgpr_msb 0                        ;  msbs: dst=0 src0=0 src1=0 src2=0
	v_add_f32_e32 v7, v7, v39
	s_set_vgpr_msb 1                        ;  msbs: dst=0 src0=1 src1=0 src2=0
	v_dual_fma_f32 v15, v8 /*v264*/, v144, -v15 :: v_dual_mul_f32 v19, v13 /*v269*/, v149
	v_mul_f32_e32 v21, v15 /*v271*/, v151
	s_set_vgpr_msb 0                        ;  msbs: dst=0 src0=0 src1=0 src2=0
	v_add_f32_e32 v9, v9, v13
	s_set_vgpr_msb 1                        ;  msbs: dst=0 src0=1 src1=0 src2=0
	v_dual_fmac_f32 v43, v9 /*v265*/, v144 :: v_dual_fmac_f32 v45, v11 /*v267*/, v146
	s_set_vgpr_msb 0                        ;  msbs: dst=0 src0=0 src1=0 src2=0
	v_add_f32_e32 v7, v7, v41
	s_wait_loadcnt_dscnt 0xd07
	s_set_vgpr_msb 1                        ;  msbs: dst=0 src0=1 src1=0 src2=0
	v_dual_mul_f32 v13, v21 /*v277*/, v157 :: v_dual_fma_f32 v17, v10 /*v266*/, v146, -v17
	s_set_vgpr_msb 0                        ;  msbs: dst=0 src0=0 src1=0 src2=0
	v_add_f32_e32 v9, v9, v15
	s_set_vgpr_msb 1                        ;  msbs: dst=0 src0=1 src1=0 src2=0
	v_dual_mul_f32 v47, v12 /*v268*/, v149 :: v_dual_mul_f32 v49, v14 /*v270*/, v151
	v_mul_f32_e32 v15, v23 /*v279*/, v159
	s_set_vgpr_msb 0                        ;  msbs: dst=0 src0=0 src1=0 src2=0
	v_dual_add_f32 v7, v7, v43 :: v_dual_add_f32 v9, v9, v17
	s_wait_loadcnt_dscnt 0xc06
	s_set_vgpr_msb 1                        ;  msbs: dst=0 src0=1 src1=0 src2=0
	v_dual_fma_f32 v19, v12 /*v268*/, v148, -v19 :: v_dual_mul_f32 v17, v25 /*v281*/, v161
	v_dual_fmac_f32 v47, v13 /*v269*/, v148 :: v_dual_fmac_f32 v49, v15 /*v271*/, v150
	s_set_vgpr_msb 0                        ;  msbs: dst=0 src0=0 src1=0 src2=0
	v_add_f32_e32 v7, v7, v45
	s_set_vgpr_msb 1                        ;  msbs: dst=0 src0=1 src1=0 src2=0
	v_fma_f32 v21, v14 /*v270*/, v150, -v21
	s_set_vgpr_msb 0                        ;  msbs: dst=0 src0=0 src1=0 src2=0
	v_add_f32_e32 v9, v9, v19
	s_set_vgpr_msb 1                        ;  msbs: dst=0 src0=1 src1=0 src2=0
	v_dual_mul_f32 v51, v16 /*v272*/, v153 :: v_dual_mul_f32 v53, v18 /*v274*/, v155
	v_mul_f32_e32 v19, v27 /*v283*/, v163
	s_set_vgpr_msb 0                        ;  msbs: dst=0 src0=0 src1=0 src2=0
	v_dual_add_f32 v7, v7, v47 :: v_dual_add_f32 v9, v9, v21
	s_wait_loadcnt_dscnt 0xb05
	s_set_vgpr_msb 1                        ;  msbs: dst=0 src0=1 src1=0 src2=0
	v_dual_fma_f32 v23, v16 /*v272*/, v152, -v23 :: v_dual_mul_f32 v21, v29 /*v285*/, v165
	v_dual_mul_f32 v55, v20 /*v276*/, v157 :: v_dual_mul_f32 v57, v22 /*v278*/, v159
	v_dual_mul_f32 v59, v24 /*v280*/, v161 :: v_dual_mul_f32 v61, v26 /*v282*/, v163
	v_dual_fmac_f32 v51, v17 /*v273*/, v152 :: v_dual_fmac_f32 v53, v19 /*v275*/, v154
	v_fma_f32 v11, v18 /*v274*/, v154, -v11
	s_set_vgpr_msb 0                        ;  msbs: dst=0 src0=0 src1=0 src2=0
	v_dual_add_f32 v9, v9, v23 :: v_dual_add_f32 v7, v7, v49
	s_set_vgpr_msb 1                        ;  msbs: dst=0 src0=1 src1=0 src2=0
	v_dual_mul_f32 v23, v31 /*v287*/, v167 :: v_dual_fmac_f32 v55, v21 /*v277*/, v156
	v_fma_f32 v13, v20 /*v276*/, v156, -v13
	v_dual_fmac_f32 v57, v23 /*v279*/, v158 :: v_dual_fmac_f32 v59, v25 /*v281*/, v160
	s_set_vgpr_msb 0                        ;  msbs: dst=0 src0=0 src1=0 src2=0
	v_add_f32_e32 v9, v9, v11
	s_set_vgpr_msb 1                        ;  msbs: dst=0 src0=1 src1=0 src2=0
	v_dual_mul_f32 v63, v28 /*v284*/, v165 :: v_dual_mul_f32 v65, v30 /*v286*/, v167
	s_set_vgpr_msb 0                        ;  msbs: dst=0 src0=0 src1=0 src2=0
	v_add_f32_e32 v7, v7, v51
	s_wait_loadcnt_dscnt 0xa04
	s_set_vgpr_msb 1                        ;  msbs: dst=0 src0=1 src1=0 src2=0
	v_dual_mul_f32 v11, v33 /*v289*/, v169 :: v_dual_fma_f32 v15, v22 /*v278*/, v158, -v15
	s_set_vgpr_msb 0                        ;  msbs: dst=0 src0=0 src1=0 src2=0
	v_add_f32_e32 v9, v9, v13
	s_set_vgpr_msb 1                        ;  msbs: dst=0 src0=1 src1=0 src2=0
	v_dual_mul_f32 v13, v35 /*v291*/, v171 :: v_dual_fma_f32 v17, v24 /*v280*/, v160, -v17
	s_set_vgpr_msb 0                        ;  msbs: dst=0 src0=0 src1=0 src2=0
	v_add_f32_e32 v7, v7, v53
	s_set_vgpr_msb 1                        ;  msbs: dst=0 src0=1 src1=0 src2=0
	v_dual_fmac_f32 v61, v27 /*v283*/, v162 :: v_dual_fmac_f32 v63, v29 /*v285*/, v164
	s_set_vgpr_msb 0                        ;  msbs: dst=0 src0=0 src1=0 src2=0
	v_add_f32_e32 v9, v9, v15
	s_set_vgpr_msb 1                        ;  msbs: dst=0 src0=1 src1=0 src2=0
	v_dual_mul_f32 v67, v32 /*v288*/, v169 :: v_dual_mul_f32 v69, v34 /*v290*/, v171
	s_set_vgpr_msb 0                        ;  msbs: dst=0 src0=0 src1=0 src2=0
	v_add_f32_e32 v7, v7, v55
	s_wait_loadcnt_dscnt 0x903
	s_set_vgpr_msb 1                        ;  msbs: dst=0 src0=1 src1=0 src2=0
	v_dual_mul_f32 v15, v37 /*v293*/, v173 :: v_dual_fma_f32 v19, v26 /*v282*/, v162, -v19
	s_set_vgpr_msb 0                        ;  msbs: dst=0 src0=0 src1=0 src2=0
	v_add_f32_e32 v9, v9, v17
	s_set_vgpr_msb 1                        ;  msbs: dst=0 src0=1 src1=0 src2=0
	v_dual_mul_f32 v17, v39 /*v295*/, v175 :: v_dual_fma_f32 v21, v28 /*v284*/, v164, -v21
	s_set_vgpr_msb 0                        ;  msbs: dst=0 src0=0 src1=0 src2=0
	v_add_f32_e32 v7, v7, v57
	s_set_vgpr_msb 1                        ;  msbs: dst=0 src0=1 src1=0 src2=0
	v_dual_fmac_f32 v65, v31 /*v287*/, v166 :: v_dual_fmac_f32 v67, v33 /*v289*/, v168
	s_set_vgpr_msb 0                        ;  msbs: dst=0 src0=0 src1=0 src2=0
	v_add_f32_e32 v9, v9, v19
	s_set_vgpr_msb 1                        ;  msbs: dst=0 src0=1 src1=0 src2=0
	v_dual_mul_f32 v71, v36 /*v292*/, v173 :: v_dual_mul_f32 v73, v38 /*v294*/, v175
	s_set_vgpr_msb 0                        ;  msbs: dst=0 src0=0 src1=0 src2=0
	v_add_f32_e32 v7, v7, v59
	s_wait_loadcnt_dscnt 0x802
	s_set_vgpr_msb 1                        ;  msbs: dst=0 src0=1 src1=0 src2=0
	v_dual_mul_f32 v19, v41 /*v297*/, v177 :: v_dual_fma_f32 v23, v30 /*v286*/, v166, -v23
	s_set_vgpr_msb 0                        ;  msbs: dst=0 src0=0 src1=0 src2=0
	v_add_f32_e32 v9, v9, v21
	s_set_vgpr_msb 1                        ;  msbs: dst=0 src0=1 src1=0 src2=0
	v_dual_mul_f32 v75, v40 /*v296*/, v177 :: v_dual_mul_f32 v77, v42 /*v298*/, v179
	s_set_vgpr_msb 0                        ;  msbs: dst=0 src0=0 src1=0 src2=0
	v_add_f32_e32 v7, v7, v61
	s_set_vgpr_msb 1                        ;  msbs: dst=0 src0=1 src1=0 src2=0
	v_dual_mul_f32 v21, v43 /*v299*/, v179 :: v_dual_fma_f32 v11, v32 /*v288*/, v168, -v11
	v_dual_fmac_f32 v69, v35 /*v291*/, v170 :: v_dual_fmac_f32 v71, v37 /*v293*/, v172
	s_set_vgpr_msb 0                        ;  msbs: dst=0 src0=0 src1=0 src2=0
	v_add_f32_e32 v9, v9, v23
	s_wait_loadcnt_dscnt 0x701
	s_set_vgpr_msb 1                        ;  msbs: dst=0 src0=1 src1=0 src2=0
	v_dual_mul_f32 v23, v45 /*v301*/, v181 :: v_dual_fma_f32 v13, v34 /*v290*/, v170, -v13
	v_dual_fmac_f32 v73, v39 /*v295*/, v174 :: v_dual_fmac_f32 v75, v41 /*v297*/, v176
	s_set_vgpr_msb 0                        ;  msbs: dst=0 src0=0 src1=0 src2=0
	v_add_f32_e32 v9, v9, v11
	v_add_f32_e32 v7, v7, v63
	s_set_vgpr_msb 1                        ;  msbs: dst=0 src0=1 src1=0 src2=0
	v_dual_mul_f32 v79, v44 /*v300*/, v181 :: v_dual_mul_f32 v81, v46 /*v302*/, v183
	v_dual_mul_f32 v11, v47 /*v303*/, v183 :: v_dual_fma_f32 v15, v36 /*v292*/, v172, -v15
	s_set_vgpr_msb 0                        ;  msbs: dst=0 src0=0 src1=0 src2=0
	v_add_f32_e32 v9, v9, v13
	v_add_f32_e32 v7, v7, v65
	s_wait_loadcnt_dscnt 0x600
	s_set_vgpr_msb 1                        ;  msbs: dst=0 src0=1 src1=0 src2=0
	v_dual_mul_f32 v13, v49 /*v305*/, v185 :: v_dual_fma_f32 v17, v38 /*v294*/, v174, -v17
	v_dual_fmac_f32 v77, v43 /*v299*/, v178 :: v_dual_fmac_f32 v79, v45 /*v301*/, v180
	s_set_vgpr_msb 0                        ;  msbs: dst=0 src0=0 src1=0 src2=0
	v_add_f32_e32 v9, v9, v15
	v_add_f32_e32 v7, v7, v67
	s_set_vgpr_msb 1                        ;  msbs: dst=0 src0=1 src1=0 src2=0
	v_dual_mul_f32 v15, v51 /*v307*/, v187 :: v_dual_fma_f32 v19, v40 /*v296*/, v176, -v19
	v_dual_fma_f32 v21, v42 /*v298*/, v178, -v21 :: v_dual_fma_f32 v23, v44 /*v300*/, v180, -v23
	s_set_vgpr_msb 0                        ;  msbs: dst=0 src0=0 src1=0 src2=0
	v_add_f32_e32 v9, v9, v17
	v_add_f32_e32 v7, v7, v69
	s_wait_loadcnt 0x4
	v_dual_mul_f32 v17, v225, v189 :: v_dual_mov_b32 v110, v195
	s_set_vgpr_msb 1                        ;  msbs: dst=0 src0=1 src1=0 src2=0
	v_dual_mul_f32 v83, v48 /*v304*/, v185 :: v_dual_mul_f32 v85, v50 /*v306*/, v187
	s_set_vgpr_msb 0                        ;  msbs: dst=0 src0=0 src1=0 src2=0
	v_add_f32_e32 v7, v7, v71
	v_add_f32_e32 v9, v9, v19
	s_set_vgpr_msb 1                        ;  msbs: dst=0 src0=1 src1=0 src2=0
	v_dual_fmac_f32 v81, v47 /*v303*/, v182 :: v_dual_fma_f32 v11, v46 /*v302*/, v182, -v11
	v_dual_fmac_f32 v83, v49 /*v305*/, v184 :: v_dual_fma_f32 v13, v48 /*v304*/, v184, -v13
	s_set_vgpr_msb 0                        ;  msbs: dst=0 src0=0 src1=0 src2=0
	v_add_f32_e32 v7, v7, v73
	v_add_f32_e32 v9, v9, v21
	s_set_vgpr_msb 64                       ;  msbs: dst=1 src0=0 src1=0 src2=0
	v_dual_mul_f32 v63 /*v319*/, v224, v189 :: v_dual_mul_f32 v65 /*v321*/, v226, v191
	s_set_vgpr_msb 1                        ;  msbs: dst=0 src0=1 src1=0 src2=0
	v_fmac_f32_e32 v85, v51 /*v307*/, v186
	s_set_vgpr_msb 0                        ;  msbs: dst=0 src0=0 src1=0 src2=0
	v_add_f32_e32 v7, v7, v75
	s_wait_loadcnt 0x3
	v_mov_b32_e32 v114, v199
	v_pk_mul_f32 v[108:109], v[228:229], v[192:193] op_sel:[1,1] op_sel_hi:[0,1]
	s_set_vgpr_msb 64                       ;  msbs: dst=1 src0=0 src1=0 src2=0
	v_dual_fmac_f32 v63 /*v319*/, v225, v188 :: v_dual_fmac_f32 v65 /*v321*/, v227, v190
	s_set_vgpr_msb 0                        ;  msbs: dst=0 src0=0 src1=0 src2=0
	v_add_f32_e32 v7, v7, v77
	s_set_vgpr_msb 1                        ;  msbs: dst=0 src0=1 src1=0 src2=0
	v_pk_mul_f32 v[110:111], v[54:55] /*v[310:311]*/, v[110:111] op_sel_hi:[1,0]
	s_set_vgpr_msb 0                        ;  msbs: dst=0 src0=0 src1=0 src2=0
	v_pk_fma_f32 v[118:119], v[228:229], v[192:193], v[108:109] op_sel_hi:[1,0,1]
	v_pk_fma_f32 v[108:109], v[228:229], v[192:193], v[108:109] neg_lo:[0,0,1] neg_hi:[0,0,1]
	v_pk_mul_f32 v[112:113], v[240:241], v[196:197] op_sel:[1,1] op_sel_hi:[0,1]
	v_add_f32_e32 v7, v7, v79
	s_delay_alu instid0(VALU_DEP_4) | instskip(SKIP_2) | instid1(VALU_DEP_3)
	v_dual_add_f32 v9, v9, v23 :: v_dual_mov_b32 v109, v119
	v_pk_fma_f32 v[118:119], v[230:231], v[194:195], v[110:111] op_sel_hi:[1,0,1]
	v_pk_fma_f32 v[110:111], v[230:231], v[194:195], v[110:111] neg_lo:[0,0,1] neg_hi:[0,0,1]
	v_dual_add_f32 v7, v7, v81 :: v_dual_add_f32 v9, v9, v11
	v_mul_f32_e32 v19, v227, v191
	s_set_vgpr_msb 1                        ;  msbs: dst=0 src0=1 src1=0 src2=0
	v_fma_f32 v11, v50 /*v306*/, v186, -v15
	s_set_vgpr_msb 0                        ;  msbs: dst=0 src0=0 src1=0 src2=0
	v_pk_fma_f32 v[122:123], v[240:241], v[196:197], v[112:113] op_sel_hi:[1,0,1]
	v_dual_add_f32 v7, v7, v83 :: v_dual_add_f32 v9, v9, v13
	s_set_vgpr_msb 64                       ;  msbs: dst=1 src0=0 src1=0 src2=0
	v_dual_fma_f32 v62 /*v318*/, v224, v188, -v17 :: v_dual_fma_f32 v64 /*v320*/, v226, v190, -v19
	s_set_vgpr_msb 1                        ;  msbs: dst=0 src0=1 src1=0 src2=0
	v_pk_mul_f32 v[114:115], v[56:57] /*v[312:313]*/, v[114:115] op_sel_hi:[1,0]
	s_set_vgpr_msb 0                        ;  msbs: dst=0 src0=0 src1=0 src2=0
	v_dual_add_f32 v117, v7, v85 :: v_dual_add_f32 v116, v9, v11
	v_mov_b32_e32 v111, v119
	s_wait_loadcnt 0x2
	v_pk_mul_f32 v[120:121], v[244:245], v[200:201] op_sel:[1,1] op_sel_hi:[0,1]
	v_pk_fma_f32 v[112:113], v[240:241], v[196:197], v[112:113] neg_lo:[0,0,1] neg_hi:[0,0,1]
	v_mov_b32_e32 v113, v123
	s_set_vgpr_msb 4                        ;  msbs: dst=0 src0=0 src1=1 src2=0
	v_pk_add_f32 v[116:117], v[116:117], v[62:63] /*v[318:319]*/
	s_set_vgpr_msb 0                        ;  msbs: dst=0 src0=0 src1=0 src2=0
	v_pk_fma_f32 v[118:119], v[242:243], v[198:199], v[114:115] op_sel_hi:[1,0,1]
	v_pk_fma_f32 v[114:115], v[242:243], v[198:199], v[114:115] neg_lo:[0,0,1] neg_hi:[0,0,1]
	s_set_vgpr_msb 4                        ;  msbs: dst=0 src0=0 src1=1 src2=0
	v_pk_add_f32 v[116:117], v[116:117], v[64:65] /*v[320:321]*/
	s_set_vgpr_msb 0                        ;  msbs: dst=0 src0=0 src1=0 src2=0
	s_delay_alu instid0(VALU_DEP_1) | instskip(SKIP_1) | instid1(VALU_DEP_2)
	v_pk_add_f32 v[108:109], v[116:117], v[108:109]
	v_mov_b32_e32 v116, v203
	v_pk_add_f32 v[108:109], v[108:109], v[110:111]
	v_pk_fma_f32 v[110:111], v[244:245], v[200:201], v[120:121] op_sel_hi:[1,0,1]
	s_set_vgpr_msb 1                        ;  msbs: dst=0 src0=1 src1=0 src2=0
	s_delay_alu instid0(VALU_DEP_3)
	v_pk_mul_f32 v[116:117], v[58:59] /*v[314:315]*/, v[116:117] op_sel_hi:[1,0]
	s_set_vgpr_msb 0                        ;  msbs: dst=0 src0=0 src1=0 src2=0
	v_mov_b32_e32 v115, v119
	v_pk_fma_f32 v[118:119], v[244:245], v[200:201], v[120:121] neg_lo:[0,0,1] neg_hi:[0,0,1]
	v_pk_add_f32 v[108:109], v[108:109], v[112:113]
	v_mov_b32_e32 v119, v111
	v_pk_fma_f32 v[110:111], v[246:247], v[202:203], v[116:117] op_sel_hi:[1,0,1]
	s_wait_loadcnt 0x1
	s_set_vgpr_msb 1                        ;  msbs: dst=0 src0=1 src1=0 src2=0
	v_pk_mul_f32 v[112:113], v[0:1] /*v[256:257]*/, v[204:205] op_sel:[1,1] op_sel_hi:[0,1]
	s_set_vgpr_msb 0                        ;  msbs: dst=0 src0=0 src1=0 src2=0
	v_mov_b32_e32 v110, v207
	v_pk_add_f32 v[108:109], v[108:109], v[114:115]
	v_pk_fma_f32 v[116:117], v[246:247], v[202:203], v[116:117] neg_lo:[0,0,1] neg_hi:[0,0,1]
	v_mov_b32_e32 v117, v111
	s_set_vgpr_msb 1                        ;  msbs: dst=0 src0=1 src1=0 src2=0
	v_pk_fma_f32 v[114:115], v[0:1] /*v[256:257]*/, v[204:205], v[112:113] op_sel_hi:[1,0,1]
	v_pk_mul_f32 v[110:111], v[60:61] /*v[316:317]*/, v[110:111] op_sel_hi:[1,0]
	s_set_vgpr_msb 0                        ;  msbs: dst=0 src0=0 src1=0 src2=0
	v_pk_add_f32 v[108:109], v[108:109], v[118:119]
	s_set_vgpr_msb 1                        ;  msbs: dst=0 src0=1 src1=0 src2=0
	v_pk_fma_f32 v[112:113], v[0:1] /*v[256:257]*/, v[204:205], v[112:113] neg_lo:[0,0,1] neg_hi:[0,0,1]
	s_set_vgpr_msb 0                        ;  msbs: dst=0 src0=0 src1=0 src2=0
	v_mov_b32_e32 v113, v115
	s_set_vgpr_msb 1                        ;  msbs: dst=0 src0=1 src1=0 src2=0
	v_pk_fma_f32 v[114:115], v[2:3] /*v[258:259]*/, v[206:207], v[110:111] op_sel_hi:[1,0,1]
	s_set_vgpr_msb 0                        ;  msbs: dst=0 src0=0 src1=0 src2=0
	v_pk_add_f32 v[108:109], v[108:109], v[116:117]
	s_set_vgpr_msb 1                        ;  msbs: dst=0 src0=1 src1=0 src2=0
	v_pk_fma_f32 v[110:111], v[2:3] /*v[258:259]*/, v[206:207], v[110:111] neg_lo:[0,0,1] neg_hi:[0,0,1]
	s_set_vgpr_msb 0                        ;  msbs: dst=0 src0=0 src1=0 src2=0
	v_mov_b32_e32 v111, v115
	v_pk_add_f32 v[108:109], v[108:109], v[112:113]
	s_delay_alu instid0(VALU_DEP_1) | instskip(SKIP_2) | instid1(VALU_DEP_1)
	v_pk_add_f32 v[108:109], v[108:109], v[110:111]
	s_wait_loadcnt 0x0
	s_set_vgpr_msb 1                        ;  msbs: dst=0 src0=1 src1=0 src2=0
	v_pk_add_f32 v[108:109], v[52:53] /*v[308:309]*/, v[108:109] neg_lo:[0,1] neg_hi:[0,1]
	scratch_store_b64 off, v[108:109], off offset:16
	s_wait_xcnt 0x0
	v_cmpx_lt_u32_e32 1, v0
	s_set_vgpr_msb 0                        ;  msbs: dst=0 src0=0 src1=0 src2=0
	s_cbranch_execz .LBB116_329
; %bb.328:
	scratch_load_b64 v[108:109], off, off offset:8
	v_mov_b64_e32 v[110:111], 0
	scratch_store_b64 off, v[110:111], off offset:8
	s_wait_loadcnt 0x0
	ds_store_b64 v1, v[108:109]
.LBB116_329:
	s_wait_xcnt 0x0
	s_or_b32 exec_lo, exec_lo, s0
	s_wait_storecnt_dscnt 0x0
	s_barrier_signal -1
	s_barrier_wait -1
	s_clause 0x16
	scratch_load_b128 v[110:113], off, off offset:16
	scratch_load_b128 v[114:117], off, off offset:32
	;; [unrolled: 1-line block ×23, first 2 shown]
	v_dual_mov_b32 v108, 0 :: v_dual_ashrrev_i32 v55, 31, v54
	s_clause 0x4
	scratch_load_b128 v[202:205], off, off offset:384
	scratch_load_b128 v[206:209], off, off offset:400
	s_set_vgpr_msb 64                       ;  msbs: dst=1 src0=0 src1=0 src2=0
	scratch_load_b64 v[54:55] /*v[310:311]*/, off, off offset:416
	scratch_load_b64 v[56:57] /*v[312:313]*/, off, off offset:8
	s_set_vgpr_msb 0                        ;  msbs: dst=0 src0=0 src1=0 src2=0
	ds_load_b128 v[210:213], v108 offset:448
	ds_load_b128 v[214:217], v108 offset:464
	ds_load_b128 v[218:221], v108 offset:480
	ds_load_b128 v[222:225], v108 offset:496
	ds_load_b128 v[226:229], v108 offset:768
	ds_load_b128 v[230:233], v108 offset:784
	ds_load_b128 v[234:237], v108 offset:512
	ds_load_b128 v[238:241], v108 offset:528
	ds_load_b128 v[242:245], v108 offset:800
	ds_load_b128 v[246:249], v108 offset:816
	ds_load_b128 v[250:253], v108 offset:544
	ds_load_b128 v[254:257], v108 offset:560
	s_set_vgpr_msb 64                       ;  msbs: dst=1 src0=0 src1=0 src2=0
	ds_load_b128 v[2:5] /*v[258:261]*/, v108 offset:832
	ds_load_b128 v[6:9] /*v[262:265]*/, v108 offset:576
	;; [unrolled: 1-line block ×13, first 2 shown]
	ds_load_b64 v[58:59] /*v[314:315]*/, v108 offset:848
	s_wait_dscnt 0x14
	v_dual_mov_b32 v60 /*v316*/, v233 :: v_dual_mov_b32 v61 /*v317*/, v232
	s_wait_dscnt 0x11
	v_dual_mov_b32 v62 /*v318*/, v245 :: v_dual_mov_b32 v63 /*v319*/, v244
	s_wait_dscnt 0x10
	v_dual_mov_b32 v64 /*v320*/, v249 :: v_dual_mov_b32 v65 /*v321*/, v248
	s_wait_dscnt 0xd
	s_set_vgpr_msb 0x41                     ;  msbs: dst=1 src0=1 src1=0 src2=0
	v_dual_mov_b32 v66 /*v322*/, v5 /*v261*/ :: v_dual_mov_b32 v67 /*v323*/, v4 /*v260*/
	s_set_vgpr_msb 0                        ;  msbs: dst=0 src0=0 src1=0 src2=0
	v_dual_ashrrev_i32 v7, 31, v6 :: v_dual_ashrrev_i32 v9, 31, v8
	v_dual_ashrrev_i32 v11, 31, v10 :: v_dual_ashrrev_i32 v13, 31, v12
	;; [unrolled: 1-line block ×19, first 2 shown]
	s_mov_b32 s0, exec_lo
	s_wait_loadcnt 0x1a
	v_dual_mul_f32 v89, v211, v111 :: v_dual_mul_f32 v91, v213, v113
	v_dual_mul_f32 v85, v210, v111 :: v_dual_mul_f32 v87, v212, v113
	s_wait_loadcnt 0x19
	v_dual_mul_f32 v93, v214, v115 :: v_dual_mul_f32 v95, v216, v117
	s_delay_alu instid0(VALU_DEP_3)
	v_dual_fma_f32 v89, v210, v110, -v89 :: v_dual_fma_f32 v91, v212, v112, -v91
	v_dual_mul_f32 v101, v215, v115 :: v_dual_mul_f32 v103, v217, v117
	s_wait_loadcnt 0x17
	v_dual_mul_f32 v109, v222, v123 :: v_dual_mul_f32 v111, v224, v125
	v_dual_mul_f32 v113, v223, v123 :: v_dual_mul_f32 v115, v225, v125
	v_dual_add_f32 v89, 0, v89 :: v_dual_mul_f32 v97, v218, v119
	v_dual_mul_f32 v99, v220, v121 :: v_dual_mul_f32 v105, v219, v119
	s_wait_loadcnt 0x16
	v_dual_mul_f32 v107, v221, v121 :: v_dual_mul_f32 v117, v235, v127
	v_dual_mul_f32 v119, v237, v129 :: v_dual_fma_f32 v101, v214, v114, -v101
	v_dual_fma_f32 v103, v216, v116, -v103 :: v_dual_fmac_f32 v109, v223, v122
	v_dual_fmac_f32 v111, v225, v124 :: v_dual_fma_f32 v113, v222, v122, -v113
	v_fma_f32 v115, v224, v124, -v115
	s_wait_loadcnt_dscnt 0x110b
	s_set_vgpr_msb 1                        ;  msbs: dst=0 src0=1 src1=0 src2=0
	v_mul_f32_e32 v124, v11 /*v267*/, v147
	s_set_vgpr_msb 0                        ;  msbs: dst=0 src0=0 src1=0 src2=0
	v_add_f32_e32 v89, v89, v91
	v_dual_mul_f32 v121, v238, v131 :: v_dual_mul_f32 v123, v240, v133
	v_dual_fmac_f32 v85, v211, v110 :: v_dual_fmac_f32 v87, v213, v112
	s_delay_alu instid0(VALU_DEP_2) | instskip(SKIP_3) | instid1(VALU_DEP_4)
	v_dual_add_f32 v89, v89, v101 :: v_dual_fmac_f32 v121, v239, v130
	v_dual_fmac_f32 v93, v215, v114 :: v_dual_fmac_f32 v95, v217, v116
	v_dual_mul_f32 v114, v239, v131 :: v_dual_mul_f32 v116, v241, v133
	v_dual_fmac_f32 v99, v221, v120 :: v_dual_fma_f32 v105, v218, v118, -v105
	v_add_f32_e32 v89, v89, v103
	v_dual_mul_f32 v110, v234, v127 :: v_dual_mul_f32 v112, v236, v129
	v_dual_mul_f32 v129, v251, v135 :: v_dual_mul_f32 v131, v253, v137
	v_dual_fma_f32 v107, v220, v120, -v107 :: v_dual_add_f32 v85, 0, v85
	s_wait_loadcnt_dscnt 0x100a
	s_set_vgpr_msb 1                        ;  msbs: dst=0 src0=1 src1=0 src2=0
	v_mul_f32_e32 v122, v14 /*v270*/, v151
	s_set_vgpr_msb 0                        ;  msbs: dst=0 src0=0 src1=0 src2=0
	v_dual_add_f32 v89, v89, v105 :: v_dual_mul_f32 v133, v254, v139
	v_fmac_f32_e32 v97, v219, v118
	v_mul_f32_e32 v118, v255, v139
	v_dual_add_f32 v85, v85, v87 :: v_dual_fmac_f32 v110, v235, v126
	s_delay_alu instid0(VALU_DEP_4)
	v_dual_add_f32 v89, v89, v107 :: v_dual_fmac_f32 v133, v255, v138
	s_wait_loadcnt_dscnt 0xf09
	s_set_vgpr_msb 1                        ;  msbs: dst=0 src0=1 src1=0 src2=0
	v_mul_f32_e32 v101, v20 /*v276*/, v157
	s_set_vgpr_msb 0                        ;  msbs: dst=0 src0=0 src1=0 src2=0
	v_add_f32_e32 v85, v85, v93
	s_set_vgpr_msb 1                        ;  msbs: dst=0 src0=1 src1=0 src2=0
	v_mul_f32_e32 v93, v18 /*v274*/, v155
	s_set_vgpr_msb 0                        ;  msbs: dst=0 src0=0 src1=0 src2=0
	v_add_f32_e32 v89, v89, v113
	s_wait_loadcnt_dscnt 0xb05
	s_set_vgpr_msb 1                        ;  msbs: dst=0 src0=1 src1=0 src2=0
	v_dual_mul_f32 v211, v34 /*v290*/, v171 :: v_dual_mul_f32 v107, v21 /*v277*/, v157
	s_set_vgpr_msb 0                        ;  msbs: dst=0 src0=0 src1=0 src2=0
	v_dual_add_f32 v85, v85, v95 :: v_dual_fma_f32 v113, v234, v126, -v117
	v_add_f32_e32 v89, v89, v115
	v_dual_mul_f32 v125, v250, v135 :: v_dual_mul_f32 v127, v252, v137
	s_set_vgpr_msb 1                        ;  msbs: dst=0 src0=1 src1=0 src2=0
	v_dual_fmac_f32 v101, v21 /*v277*/, v156 :: v_dual_fma_f32 v107, v20 /*v276*/, v156, -v107
	s_set_vgpr_msb 0                        ;  msbs: dst=0 src0=0 src1=0 src2=0
	v_dual_add_f32 v89, v89, v113 :: v_dual_fma_f32 v113, v238, v130, -v114
	v_dual_add_f32 v85, v85, v97 :: v_dual_fmac_f32 v125, v251, v134
	v_fmac_f32_e32 v112, v237, v128
	v_fmac_f32_e32 v123, v241, v132
	;; [unrolled: 1-line block ×3, first 2 shown]
	s_delay_alu instid0(VALU_DEP_4)
	v_add_f32_e32 v85, v85, v99
	s_set_vgpr_msb 1                        ;  msbs: dst=0 src0=1 src1=0 src2=0
	v_dual_mul_f32 v99, v19 /*v275*/, v155 :: v_dual_mul_f32 v155, v36 /*v292*/, v173
	v_dual_fmac_f32 v93, v19 /*v275*/, v154 :: v_dual_mul_f32 v135, v0 /*v256*/, v141
	v_mul_f32_e32 v120, v1 /*v257*/, v141
	s_set_vgpr_msb 0                        ;  msbs: dst=0 src0=0 src1=0 src2=0
	v_add_f32_e32 v85, v85, v109
	s_set_vgpr_msb 1                        ;  msbs: dst=0 src0=1 src1=0 src2=0
	v_fma_f32 v99, v18 /*v274*/, v154, -v99
	v_dual_mul_f32 v137, v6 /*v262*/, v143 :: v_dual_mul_f32 v139, v8 /*v264*/, v145
	v_fmac_f32_e32 v135, v1 /*v257*/, v140
	s_set_vgpr_msb 0                        ;  msbs: dst=0 src0=0 src1=0 src2=0
	v_add_f32_e32 v85, v85, v111
	s_set_vgpr_msb 1                        ;  msbs: dst=0 src0=1 src1=0 src2=0
	v_dual_mul_f32 v141, v7 /*v263*/, v143 :: v_dual_mul_f32 v143, v9 /*v265*/, v145
	v_dual_fmac_f32 v137, v7 /*v263*/, v142 :: v_dual_fmac_f32 v139, v9 /*v265*/, v144
	s_set_vgpr_msb 0                        ;  msbs: dst=0 src0=0 src1=0 src2=0
	v_add_f32_e32 v85, v85, v110
	s_set_vgpr_msb 1                        ;  msbs: dst=0 src0=1 src1=0 src2=0
	v_dual_mul_f32 v145, v10 /*v266*/, v147 :: v_dual_mul_f32 v210, v12 /*v268*/, v149
	v_dual_mul_f32 v147, v13 /*v269*/, v149 :: v_dual_mul_f32 v91, v15 /*v271*/, v151
	s_set_vgpr_msb 0                        ;  msbs: dst=0 src0=0 src1=0 src2=0
	v_add_f32_e32 v85, v85, v112
	s_set_vgpr_msb 1                        ;  msbs: dst=0 src0=1 src1=0 src2=0
	v_dual_fmac_f32 v145, v11 /*v267*/, v146 :: v_dual_fmac_f32 v210, v13 /*v269*/, v148
	v_dual_mul_f32 v87, v16 /*v272*/, v153 :: v_dual_mul_f32 v149, v17 /*v273*/, v153
	s_set_vgpr_msb 0                        ;  msbs: dst=0 src0=0 src1=0 src2=0
	v_add_f32_e32 v85, v85, v121
	s_set_vgpr_msb 1                        ;  msbs: dst=0 src0=1 src1=0 src2=0
	v_dual_fmac_f32 v122, v15 /*v271*/, v150 :: v_dual_mul_f32 v151, v22 /*v278*/, v159
	v_dual_mul_f32 v95, v24 /*v280*/, v161 :: v_dual_fmac_f32 v87, v17 /*v273*/, v152
	s_set_vgpr_msb 0                        ;  msbs: dst=0 src0=0 src1=0 src2=0
	v_add_f32_e32 v85, v85, v123
	s_set_vgpr_msb 1                        ;  msbs: dst=0 src0=1 src1=0 src2=0
	v_dual_mul_f32 v103, v26 /*v282*/, v163 :: v_dual_mul_f32 v153, v28 /*v284*/, v165
	v_fmac_f32_e32 v151, v23 /*v279*/, v158
	v_fmac_f32_e32 v95, v25 /*v281*/, v160
	s_set_vgpr_msb 0                        ;  msbs: dst=0 src0=0 src1=0 src2=0
	v_dual_add_f32 v85, v85, v125 :: v_dual_fma_f32 v111, v236, v128, -v119
	s_set_vgpr_msb 1                        ;  msbs: dst=0 src0=1 src1=0 src2=0
	v_dual_fmac_f32 v103, v27 /*v283*/, v162 :: v_dual_mul_f32 v97, v30 /*v286*/, v167
	v_mul_f32_e32 v105, v32 /*v288*/, v169
	s_set_vgpr_msb 0                        ;  msbs: dst=0 src0=0 src1=0 src2=0
	v_add_f32_e32 v85, v85, v127
	s_wait_loadcnt_dscnt 0xa04
	s_set_vgpr_msb 1                        ;  msbs: dst=0 src0=1 src1=0 src2=0
	v_dual_fmac_f32 v153, v29 /*v285*/, v164 :: v_dual_mul_f32 v109, v38 /*v294*/, v175
	v_dual_mul_f32 v157, v40 /*v296*/, v177 :: v_dual_fmac_f32 v97, v31 /*v287*/, v166
	s_set_vgpr_msb 0                        ;  msbs: dst=0 src0=0 src1=0 src2=0
	v_dual_add_f32 v85, v85, v133 :: v_dual_fma_f32 v112, v250, v134, -v129
	s_wait_loadcnt 0x6
	v_mul_f32_e32 v123, v226, v191
	s_wait_dscnt 0x2
	s_set_vgpr_msb 1                        ;  msbs: dst=0 src0=1 src1=0 src2=0
	v_dual_mul_f32 v114, v46 /*v302*/, v183 :: v_dual_fmac_f32 v105, v33 /*v289*/, v168
	s_set_vgpr_msb 0                        ;  msbs: dst=0 src0=0 src1=0 src2=0
	v_add_f32_e32 v85, v85, v135
	s_set_vgpr_msb 1                        ;  msbs: dst=0 src0=1 src1=0 src2=0
	v_dual_fmac_f32 v109, v39 /*v295*/, v174 :: v_dual_mul_f32 v115, v42 /*v298*/, v179
	s_wait_dscnt 0x1
	v_dual_mul_f32 v110, v44 /*v300*/, v181 :: v_dual_mul_f32 v117, v50 /*v306*/, v187
	v_mul_f32_e32 v121, v52 /*v308*/, v189
	s_set_vgpr_msb 0                        ;  msbs: dst=0 src0=0 src1=0 src2=0
	v_add_f32_e32 v85, v85, v137
	s_set_vgpr_msb 1                        ;  msbs: dst=0 src0=1 src1=0 src2=0
	v_dual_fmac_f32 v115, v43 /*v299*/, v178 :: v_dual_fmac_f32 v110, v45 /*v301*/, v180
	v_fmac_f32_e32 v117, v51 /*v307*/, v186
	v_fmac_f32_e32 v121, v53 /*v309*/, v188
	s_set_vgpr_msb 0                        ;  msbs: dst=0 src0=0 src1=0 src2=0
	v_dual_add_f32 v85, v85, v139 :: v_dual_fmac_f32 v123, v227, v190
	s_set_vgpr_msb 1                        ;  msbs: dst=0 src0=1 src1=0 src2=0
	v_dual_fma_f32 v119, v10 /*v266*/, v146, -v124 :: v_dual_fma_f32 v124, v16 /*v272*/, v152, -v149
	v_fma_f32 v91, v14 /*v270*/, v150, -v91
	s_set_vgpr_msb 0                        ;  msbs: dst=0 src0=0 src1=0 src2=0
	v_add_f32_e32 v85, v85, v145
	s_set_vgpr_msb 1                        ;  msbs: dst=0 src0=1 src1=0 src2=0
	v_fmac_f32_e32 v211, v35 /*v291*/, v170
	s_set_vgpr_msb 0                        ;  msbs: dst=0 src0=0 src1=0 src2=0
	s_delay_alu instid0(VALU_DEP_2) | instskip(NEXT) | instid1(VALU_DEP_1)
	v_add_f32_e32 v85, v85, v210
	v_add_f32_e32 v85, v85, v122
	s_delay_alu instid0(VALU_DEP_1) | instskip(NEXT) | instid1(VALU_DEP_1)
	v_add_f32_e32 v85, v85, v87
	v_add_f32_e32 v85, v85, v93
	s_set_vgpr_msb 1                        ;  msbs: dst=0 src0=1 src1=0 src2=0
	v_mul_f32_e32 v93, v35 /*v291*/, v171
	s_set_vgpr_msb 0                        ;  msbs: dst=0 src0=0 src1=0 src2=0
	s_delay_alu instid0(VALU_DEP_2) | instskip(SKIP_1) | instid1(VALU_DEP_2)
	v_add_f32_e32 v85, v85, v101
	s_set_vgpr_msb 1                        ;  msbs: dst=0 src0=1 src1=0 src2=0
	v_dual_mul_f32 v101, v37 /*v293*/, v173 :: v_dual_fma_f32 v93, v34 /*v290*/, v170, -v93
	s_set_vgpr_msb 0                        ;  msbs: dst=0 src0=0 src1=0 src2=0
	v_dual_add_f32 v89, v89, v111 :: v_dual_fma_f32 v111, v240, v132, -v116
	v_add_f32_e32 v85, v85, v151
	s_set_vgpr_msb 1                        ;  msbs: dst=0 src0=1 src1=0 src2=0
	v_dual_fmac_f32 v155, v37 /*v293*/, v172 :: v_dual_mul_f32 v116, v48 /*v304*/, v185
	s_set_vgpr_msb 0                        ;  msbs: dst=0 src0=0 src1=0 src2=0
	v_add_f32_e32 v89, v89, v113
	s_set_vgpr_msb 1                        ;  msbs: dst=0 src0=1 src1=0 src2=0
	v_fma_f32 v113, v0 /*v256*/, v140, -v120
	s_set_vgpr_msb 0                        ;  msbs: dst=0 src0=0 src1=0 src2=0
	v_add_f32_e32 v85, v85, v95
	s_set_vgpr_msb 1                        ;  msbs: dst=0 src0=1 src1=0 src2=0
	v_dual_mul_f32 v95, v41 /*v297*/, v177 :: v_dual_fmac_f32 v157, v41 /*v297*/, v176
	v_fma_f32 v120, v12 /*v268*/, v148, -v147
	v_fmac_f32_e32 v116, v49 /*v305*/, v184
	s_set_vgpr_msb 0                        ;  msbs: dst=0 src0=0 src1=0 src2=0
	v_add_f32_e32 v85, v85, v103
	s_set_vgpr_msb 1                        ;  msbs: dst=0 src0=1 src1=0 src2=0
	v_dual_fma_f32 v95, v40 /*v296*/, v176, -v95 :: v_dual_fmac_f32 v114, v47 /*v303*/, v182
	s_set_vgpr_msb 0                        ;  msbs: dst=0 src0=0 src1=0 src2=0
	s_delay_alu instid0(VALU_DEP_2) | instskip(NEXT) | instid1(VALU_DEP_1)
	v_add_f32_e32 v85, v85, v153
	v_add_f32_e32 v85, v85, v97
	s_set_vgpr_msb 1                        ;  msbs: dst=0 src0=1 src1=0 src2=0
	v_fma_f32 v97, v36 /*v292*/, v172, -v101
	s_set_vgpr_msb 0                        ;  msbs: dst=0 src0=0 src1=0 src2=0
	v_dual_add_f32 v89, v89, v111 :: v_dual_fma_f32 v111, v252, v136, -v131
	s_delay_alu instid0(VALU_DEP_1) | instskip(SKIP_3) | instid1(VALU_DEP_2)
	v_dual_add_f32 v89, v89, v112 :: v_dual_fma_f32 v112, v254, v138, -v118
	s_set_vgpr_msb 1                        ;  msbs: dst=0 src0=1 src1=0 src2=0
	v_fma_f32 v118, v8 /*v264*/, v144, -v143
	s_set_vgpr_msb 0                        ;  msbs: dst=0 src0=0 src1=0 src2=0
	v_dual_add_f32 v89, v89, v111 :: v_dual_mul_f32 v111, v228, v193
	s_delay_alu instid0(VALU_DEP_1)
	v_add_f32_e32 v89, v89, v112
	s_set_vgpr_msb 1                        ;  msbs: dst=0 src0=1 src1=0 src2=0
	v_fma_f32 v112, v6 /*v262*/, v142, -v141
	s_set_vgpr_msb 0                        ;  msbs: dst=0 src0=0 src1=0 src2=0
	v_fmac_f32_e32 v111, v229, v192
	s_wait_loadcnt 0x5
	v_dual_add_f32 v89, v89, v113 :: v_dual_mul_f32 v113, v230, v195
	s_delay_alu instid0(VALU_DEP_1) | instskip(SKIP_3) | instid1(VALU_DEP_2)
	v_add_f32_e32 v89, v89, v112
	s_set_vgpr_msb 1                        ;  msbs: dst=0 src0=1 src1=0 src2=0
	v_mul_f32_e32 v112, v23 /*v279*/, v159
	s_set_vgpr_msb 0                        ;  msbs: dst=0 src0=0 src1=0 src2=0
	v_add_f32_e32 v89, v89, v118
	s_set_vgpr_msb 1                        ;  msbs: dst=0 src0=1 src1=0 src2=0
	v_mul_f32_e32 v118, v25 /*v281*/, v161
	s_set_vgpr_msb 0                        ;  msbs: dst=0 src0=0 src1=0 src2=0
	s_delay_alu instid0(VALU_DEP_2) | instskip(SKIP_3) | instid1(VALU_DEP_2)
	v_add_f32_e32 v89, v89, v119
	s_set_vgpr_msb 1                        ;  msbs: dst=0 src0=1 src1=0 src2=0
	v_mul_f32_e32 v119, v27 /*v283*/, v163
	s_set_vgpr_msb 0                        ;  msbs: dst=0 src0=0 src1=0 src2=0
	v_add_f32_e32 v89, v89, v120
	s_set_vgpr_msb 1                        ;  msbs: dst=0 src0=1 src1=0 src2=0
	v_mul_f32_e32 v120, v29 /*v285*/, v165
	s_set_vgpr_msb 0                        ;  msbs: dst=0 src0=0 src1=0 src2=0
	s_delay_alu instid0(VALU_DEP_2) | instskip(SKIP_3) | instid1(VALU_DEP_2)
	v_add_f32_e32 v89, v89, v91
	s_set_vgpr_msb 1                        ;  msbs: dst=0 src0=1 src1=0 src2=0
	v_mul_f32_e32 v91, v31 /*v287*/, v167
	s_set_vgpr_msb 0                        ;  msbs: dst=0 src0=0 src1=0 src2=0
	v_add_f32_e32 v87, v89, v124
	s_set_vgpr_msb 1                        ;  msbs: dst=0 src0=1 src1=0 src2=0
	v_dual_mul_f32 v89, v33 /*v289*/, v169 :: v_dual_mul_f32 v103, v43 /*v299*/, v179
	v_fma_f32 v91, v30 /*v286*/, v166, -v91
	s_wait_loadcnt 0x3
	s_set_vgpr_msb 0                        ;  msbs: dst=0 src0=0 src1=0 src2=0
	v_dual_mov_b32 v124, v205 :: v_dual_add_f32 v87, v87, v99
	s_set_vgpr_msb 1                        ;  msbs: dst=0 src0=1 src1=0 src2=0
	v_fma_f32 v99, v22 /*v278*/, v158, -v112
	v_dual_fma_f32 v112, v26 /*v282*/, v162, -v119 :: v_dual_fma_f32 v89, v32 /*v288*/, v168, -v89
	v_fma_f32 v101, v42 /*v298*/, v178, -v103
	s_set_vgpr_msb 0                        ;  msbs: dst=0 src0=0 src1=0 src2=0
	v_add_f32_e32 v87, v87, v107
	s_set_vgpr_msb 1                        ;  msbs: dst=0 src0=1 src1=0 src2=0
	v_fma_f32 v107, v24 /*v280*/, v160, -v118
	s_set_vgpr_msb 0                        ;  msbs: dst=0 src0=0 src1=0 src2=0
	v_pk_mul_f32 v[118:119], v[246:247], v[202:203] op_sel:[1,1] op_sel_hi:[0,1]
	v_add_f32_e32 v87, v87, v99
	s_set_vgpr_msb 1                        ;  msbs: dst=0 src0=1 src1=0 src2=0
	v_mul_f32_e32 v99, v39 /*v295*/, v175
	s_set_vgpr_msb 0                        ;  msbs: dst=0 src0=0 src1=0 src2=0
	s_delay_alu instid0(VALU_DEP_2) | instskip(SKIP_1) | instid1(VALU_DEP_2)
	v_add_f32_e32 v87, v87, v107
	s_set_vgpr_msb 1                        ;  msbs: dst=0 src0=1 src1=0 src2=0
	v_dual_fma_f32 v107, v28 /*v284*/, v164, -v120 :: v_dual_fma_f32 v99, v38 /*v294*/, v174, -v99
	s_set_vgpr_msb 0                        ;  msbs: dst=0 src0=0 src1=0 src2=0
	s_delay_alu instid0(VALU_DEP_2) | instskip(NEXT) | instid1(VALU_DEP_1)
	v_dual_add_f32 v87, v87, v112 :: v_dual_mov_b32 v112, v197
	v_add_f32_e32 v87, v87, v107
	s_set_vgpr_msb 1                        ;  msbs: dst=0 src0=1 src1=0 src2=0
	v_mul_f32_e32 v107, v45 /*v301*/, v181
	s_set_vgpr_msb 0                        ;  msbs: dst=0 src0=0 src1=0 src2=0
	s_delay_alu instid0(VALU_DEP_2) | instskip(SKIP_1) | instid1(VALU_DEP_2)
	v_add_f32_e32 v87, v87, v91
	s_set_vgpr_msb 1                        ;  msbs: dst=0 src0=1 src1=0 src2=0
	v_dual_fma_f32 v103, v44 /*v300*/, v180, -v107 :: v_dual_mul_f32 v91, v47 /*v303*/, v183
	s_set_vgpr_msb 0                        ;  msbs: dst=0 src0=0 src1=0 src2=0
	s_delay_alu instid0(VALU_DEP_2) | instskip(SKIP_1) | instid1(VALU_DEP_2)
	v_dual_ashrrev_i32 v107, 31, v106 :: v_dual_add_f32 v87, v87, v89
	s_set_vgpr_msb 1                        ;  msbs: dst=0 src0=1 src1=0 src2=0
	v_dual_mul_f32 v89, v49 /*v305*/, v185 :: v_dual_fma_f32 v91, v46 /*v302*/, v182, -v91
	s_set_vgpr_msb 0                        ;  msbs: dst=0 src0=0 src1=0 src2=0
	s_delay_alu instid0(VALU_DEP_2) | instskip(SKIP_1) | instid1(VALU_DEP_2)
	v_add_f32_e32 v87, v87, v93
	s_set_vgpr_msb 1                        ;  msbs: dst=0 src0=1 src1=0 src2=0
	v_dual_mul_f32 v93, v51 /*v307*/, v187 :: v_dual_fma_f32 v89, v48 /*v304*/, v184, -v89
	s_set_vgpr_msb 0                        ;  msbs: dst=0 src0=0 src1=0 src2=0
	s_delay_alu instid0(VALU_DEP_2) | instskip(SKIP_3) | instid1(VALU_DEP_2)
	v_add_f32_e32 v87, v87, v97
	s_set_vgpr_msb 1                        ;  msbs: dst=0 src0=1 src1=0 src2=0
	v_mul_f32_e32 v97, v53 /*v309*/, v189
	s_set_vgpr_msb 0                        ;  msbs: dst=0 src0=0 src1=0 src2=0
	v_add_f32_e32 v87, v87, v99
	v_mul_f32_e32 v99, v227, v191
	s_delay_alu instid0(VALU_DEP_2) | instskip(NEXT) | instid1(VALU_DEP_1)
	v_dual_add_f32 v87, v87, v95 :: v_dual_mul_f32 v95, v229, v193
	v_add_f32_e32 v87, v87, v101
	v_mul_f32_e32 v101, v231, v195
	s_delay_alu instid0(VALU_DEP_2) | instskip(SKIP_1) | instid1(VALU_DEP_2)
	v_dual_add_f32 v87, v87, v103 :: v_dual_ashrrev_i32 v103, 31, v102
	v_dual_add_f32 v85, v85, v105 :: v_dual_ashrrev_i32 v105, 31, v104
	v_add_f32_e32 v87, v87, v91
	s_set_vgpr_msb 1                        ;  msbs: dst=0 src0=1 src1=0 src2=0
	v_fma_f32 v91, v50 /*v306*/, v186, -v93
	s_set_vgpr_msb 0                        ;  msbs: dst=0 src0=0 src1=0 src2=0
	v_dual_add_f32 v85, v85, v211 :: v_dual_ashrrev_i32 v93, 31, v92
	v_add_f32_e32 v87, v87, v89
	s_set_vgpr_msb 1                        ;  msbs: dst=0 src0=1 src1=0 src2=0
	v_fma_f32 v89, v52 /*v308*/, v188, -v97
	s_set_vgpr_msb 0                        ;  msbs: dst=0 src0=0 src1=0 src2=0
	v_dual_add_f32 v85, v85, v155 :: v_dual_ashrrev_i32 v97, 31, v96
	v_dual_add_f32 v87, v87, v91 :: v_dual_fma_f32 v91, v226, v190, -v99
	s_delay_alu instid0(VALU_DEP_2) | instskip(NEXT) | instid1(VALU_DEP_2)
	v_dual_add_f32 v85, v85, v109 :: v_dual_ashrrev_i32 v99, 31, v98
	v_dual_add_f32 v87, v87, v89 :: v_dual_ashrrev_i32 v89, 31, v88
	s_delay_alu instid0(VALU_DEP_1) | instskip(NEXT) | instid1(VALU_DEP_1)
	v_dual_add_f32 v85, v85, v157 :: v_dual_add_f32 v122, v87, v91
	v_dual_ashrrev_i32 v87, 31, v86 :: v_dual_add_f32 v85, v85, v115
	v_ashrrev_i32_e32 v91, 31, v90
	s_delay_alu instid0(VALU_DEP_2) | instskip(SKIP_1) | instid1(VALU_DEP_2)
	v_dual_add_f32 v85, v85, v110 :: v_dual_fma_f32 v110, v228, v192, -v95
	v_ashrrev_i32_e32 v95, 31, v94
	v_add_f32_e32 v85, v85, v114
	v_pk_mul_f32 v[114:115], v[242:243], v[198:199] op_sel:[1,1] op_sel_hi:[0,1]
	s_delay_alu instid0(VALU_DEP_2) | instskip(SKIP_1) | instid1(VALU_DEP_2)
	v_add_f32_e32 v85, v85, v116
	v_mov_b32_e32 v116, v201
	v_add_f32_e32 v85, v85, v117
	s_delay_alu instid0(VALU_DEP_1)
	v_add_f32_e32 v85, v85, v121
	s_set_vgpr_msb 1                        ;  msbs: dst=0 src0=1 src1=0 src2=0
	v_pk_mul_f32 v[120:121], v[60:61] /*v[316:317]*/, v[112:113] op_sel_hi:[1,0]
	s_set_vgpr_msb 0                        ;  msbs: dst=0 src0=0 src1=0 src2=0
	v_fmac_f32_e32 v113, v231, v194
	v_dual_fma_f32 v112, v230, v194, -v101 :: v_dual_ashrrev_i32 v101, 31, v100
	v_add_f32_e32 v123, v85, v123
	v_pk_fma_f32 v[126:127], v[232:233], v[196:197], v[120:121] op_sel_hi:[1,0,1]
	v_pk_fma_f32 v[120:121], v[232:233], v[196:197], v[120:121] neg_lo:[0,0,1] neg_hi:[0,0,1]
	v_ashrrev_i32_e32 v85, 31, v84
	s_set_vgpr_msb 1                        ;  msbs: dst=0 src0=1 src1=0 src2=0
	v_pk_mul_f32 v[116:117], v[62:63] /*v[318:319]*/, v[116:117] op_sel_hi:[1,0]
	s_set_vgpr_msb 0                        ;  msbs: dst=0 src0=0 src1=0 src2=0
	v_pk_add_f32 v[110:111], v[122:123], v[110:111]
	v_pk_fma_f32 v[122:123], v[242:243], v[198:199], v[114:115] op_sel_hi:[1,0,1]
	v_mov_b32_e32 v121, v127
	v_pk_fma_f32 v[114:115], v[242:243], v[198:199], v[114:115] neg_lo:[0,0,1] neg_hi:[0,0,1]
	s_delay_alu instid0(VALU_DEP_4) | instskip(NEXT) | instid1(VALU_DEP_4)
	v_pk_add_f32 v[110:111], v[110:111], v[112:113]
	v_mov_b32_e32 v115, v123
	v_pk_fma_f32 v[122:123], v[244:245], v[200:201], v[116:117] op_sel_hi:[1,0,1]
	v_pk_fma_f32 v[116:117], v[244:245], v[200:201], v[116:117] neg_lo:[0,0,1] neg_hi:[0,0,1]
	s_wait_loadcnt 0x2
	s_set_vgpr_msb 1                        ;  msbs: dst=0 src0=1 src1=0 src2=0
	v_pk_mul_f32 v[112:113], v[2:3] /*v[258:259]*/, v[206:207] op_sel:[1,1] op_sel_hi:[0,1]
	s_set_vgpr_msb 0                        ;  msbs: dst=0 src0=0 src1=0 src2=0
	v_pk_add_f32 v[110:111], v[110:111], v[120:121]
	v_pk_fma_f32 v[120:121], v[246:247], v[202:203], v[118:119] op_sel_hi:[1,0,1]
	v_mov_b32_e32 v117, v123
	v_pk_fma_f32 v[118:119], v[246:247], v[202:203], v[118:119] neg_lo:[0,0,1] neg_hi:[0,0,1]
	s_delay_alu instid0(VALU_DEP_4)
	v_pk_add_f32 v[110:111], v[110:111], v[114:115]
	v_mov_b32_e32 v114, v209
	s_set_vgpr_msb 1                        ;  msbs: dst=0 src0=1 src1=0 src2=0
	v_pk_mul_f32 v[124:125], v[64:65] /*v[320:321]*/, v[124:125] op_sel_hi:[1,0]
	s_set_vgpr_msb 0                        ;  msbs: dst=0 src0=0 src1=0 src2=0
	v_mov_b32_e32 v119, v121
	v_pk_add_f32 v[110:111], v[110:111], v[116:117]
	s_set_vgpr_msb 1                        ;  msbs: dst=0 src0=1 src1=0 src2=0
	v_pk_fma_f32 v[116:117], v[2:3] /*v[258:259]*/, v[206:207], v[112:113] op_sel_hi:[1,0,1]
	s_set_vgpr_msb 0                        ;  msbs: dst=0 src0=0 src1=0 src2=0
	v_pk_fma_f32 v[120:121], v[248:249], v[204:205], v[124:125] op_sel_hi:[1,0,1]
	v_pk_fma_f32 v[122:123], v[248:249], v[204:205], v[124:125] neg_lo:[0,0,1] neg_hi:[0,0,1]
	s_set_vgpr_msb 1                        ;  msbs: dst=0 src0=1 src1=0 src2=0
	v_pk_mul_f32 v[114:115], v[66:67] /*v[322:323]*/, v[114:115] op_sel_hi:[1,0]
	v_pk_fma_f32 v[112:113], v[2:3] /*v[258:259]*/, v[206:207], v[112:113] neg_lo:[0,0,1] neg_hi:[0,0,1]
	s_set_vgpr_msb 0                        ;  msbs: dst=0 src0=0 src1=0 src2=0
	v_dual_mov_b32 v113, v117 :: v_dual_mov_b32 v123, v121
	v_pk_add_f32 v[110:111], v[110:111], v[118:119]
	s_set_vgpr_msb 1                        ;  msbs: dst=0 src0=1 src1=0 src2=0
	v_pk_fma_f32 v[116:117], v[4:5] /*v[260:261]*/, v[208:209], v[114:115] op_sel_hi:[1,0,1]
	s_wait_loadcnt_dscnt 0x100
	s_set_vgpr_msb 5                        ;  msbs: dst=0 src0=1 src1=1 src2=0
	v_pk_mul_f32 v[118:119], v[58:59] /*v[314:315]*/, v[54:55] /*v[310:311]*/ op_sel:[1,1] op_sel_hi:[0,1]
	s_set_vgpr_msb 1                        ;  msbs: dst=0 src0=1 src1=0 src2=0
	v_pk_fma_f32 v[114:115], v[4:5] /*v[260:261]*/, v[208:209], v[114:115] neg_lo:[0,0,1] neg_hi:[0,0,1]
	s_set_vgpr_msb 0                        ;  msbs: dst=0 src0=0 src1=0 src2=0
	v_pk_add_f32 v[110:111], v[110:111], v[122:123]
	v_mov_b32_e32 v115, v117
	s_set_vgpr_msb 5                        ;  msbs: dst=0 src0=1 src1=1 src2=0
	v_pk_fma_f32 v[116:117], v[58:59] /*v[314:315]*/, v[54:55] /*v[310:311]*/, v[118:119] neg_lo:[0,0,1] neg_hi:[0,0,1]
	s_set_vgpr_msb 0                        ;  msbs: dst=0 src0=0 src1=0 src2=0
	v_pk_add_f32 v[110:111], v[110:111], v[112:113]
	s_set_vgpr_msb 5                        ;  msbs: dst=0 src0=1 src1=1 src2=0
	v_pk_fma_f32 v[112:113], v[58:59] /*v[314:315]*/, v[54:55] /*v[310:311]*/, v[118:119] op_sel_hi:[1,0,1]
	s_set_vgpr_msb 0                        ;  msbs: dst=0 src0=0 src1=0 src2=0
	s_delay_alu instid0(VALU_DEP_2) | instskip(NEXT) | instid1(VALU_DEP_2)
	v_pk_add_f32 v[110:111], v[110:111], v[114:115]
	v_mov_b32_e32 v117, v113
	s_delay_alu instid0(VALU_DEP_1) | instskip(SKIP_2) | instid1(VALU_DEP_1)
	v_pk_add_f32 v[110:111], v[110:111], v[116:117]
	s_wait_loadcnt 0x0
	s_set_vgpr_msb 1                        ;  msbs: dst=0 src0=1 src1=0 src2=0
	v_pk_add_f32 v[110:111], v[56:57] /*v[312:313]*/, v[110:111] neg_lo:[0,1] neg_hi:[0,1]
	scratch_store_b64 off, v[110:111], off offset:8
	s_wait_xcnt 0x0
	v_cmpx_ne_u32_e32 0, v0
	s_set_vgpr_msb 0                        ;  msbs: dst=0 src0=0 src1=0 src2=0
	s_cbranch_execz .LBB116_331
; %bb.330:
	scratch_load_b64 v[110:111], off, off
	v_mov_b64_e32 v[112:113], 0
	scratch_store_b64 off, v[112:113], off
	s_wait_loadcnt 0x0
	ds_store_b64 v1, v[110:111]
.LBB116_331:
	s_wait_xcnt 0x0
	s_or_b32 exec_lo, exec_lo, s0
	s_wait_storecnt_dscnt 0x0
	s_barrier_signal -1
	s_barrier_wait -1
	s_clause 0xf
	scratch_load_b128 v[114:117], off, off offset:8
	scratch_load_b128 v[122:125], off, off offset:24
	;; [unrolled: 1-line block ×16, first 2 shown]
	ds_load_2addr_b64 v[110:113], v108 offset0:55 offset1:56
	ds_load_2addr_b64 v[118:121], v108 offset0:57 offset1:58
	s_clause 0x1
	scratch_load_b128 v[242:245], off, off offset:264
	scratch_load_b128 v[250:253], off, off offset:280
	ds_load_2addr_b64 v[126:129], v108 offset0:59 offset1:60
	ds_load_2addr_b64 v[134:137], v108 offset0:61 offset1:62
	s_set_vgpr_msb 64                       ;  msbs: dst=1 src0=0 src1=0 src2=0
	s_clause 0x1
	scratch_load_b128 v[2:5] /*v[258:261]*/, off, off offset:296
	scratch_load_b128 v[10:13] /*v[266:269]*/, off, off offset:312
	s_set_vgpr_msb 0                        ;  msbs: dst=0 src0=0 src1=0 src2=0
	ds_load_2addr_b64 v[142:145], v108 offset0:63 offset1:64
	ds_load_2addr_b64 v[150:153], v108 offset0:65 offset1:66
	s_set_vgpr_msb 64                       ;  msbs: dst=1 src0=0 src1=0 src2=0
	s_clause 0x1
	scratch_load_b128 v[18:21] /*v[274:277]*/, off, off offset:328
	scratch_load_b128 v[26:29] /*v[282:285]*/, off, off offset:344
	s_set_vgpr_msb 0                        ;  msbs: dst=0 src0=0 src1=0 src2=0
	ds_load_2addr_b64 v[158:161], v108 offset0:67 offset1:68
	ds_load_2addr_b64 v[166:169], v108 offset0:69 offset1:70
	;; [unrolled: 1-line block ×13, first 2 shown]
	s_set_vgpr_msb 64                       ;  msbs: dst=1 src0=0 src1=0 src2=0
	ds_load_2addr_b64 v[6:9] /*v[262:265]*/, v108 offset0:93 offset1:94
	ds_load_2addr_b64 v[14:17] /*v[270:273]*/, v108 offset0:95 offset1:96
	;; [unrolled: 1-line block ×3, first 2 shown]
	s_clause 0x3
	scratch_load_b128 v[30:33] /*v[286:289]*/, off, off offset:360
	scratch_load_b128 v[34:37] /*v[290:293]*/, off, off offset:376
	;; [unrolled: 1-line block ×4, first 2 shown]
	s_and_b32 vcc_lo, exec_lo, s12
	s_wait_loadcnt_dscnt 0x1915
	s_set_vgpr_msb 0                        ;  msbs: dst=0 src0=0 src1=0 src2=0
	v_dual_mul_f32 v0, v110, v115 :: v_dual_mul_f32 v1, v112, v117
	s_delay_alu instid0(VALU_DEP_1) | instskip(NEXT) | instid1(VALU_DEP_2)
	v_dual_mul_f32 v109, v113, v117 :: v_dual_fmac_f32 v0, v111, v114
	v_fmac_f32_e32 v1, v113, v116
	s_delay_alu instid0(VALU_DEP_2) | instskip(NEXT) | instid1(VALU_DEP_3)
	v_fma_f32 v109, v112, v116, -v109
	v_add_f32_e32 v0, 0, v0
	s_wait_loadcnt_dscnt 0x1814
	s_delay_alu instid0(VALU_DEP_1) | instskip(NEXT) | instid1(VALU_DEP_1)
	v_dual_add_f32 v0, v0, v1 :: v_dual_mul_f32 v1, v118, v123
	v_fmac_f32_e32 v1, v119, v122
	s_delay_alu instid0(VALU_DEP_1)
	v_add_f32_e32 v0, v0, v1
	v_mul_f32_e32 v1, v120, v125
	s_wait_loadcnt_dscnt 0x400
	s_set_vgpr_msb 0x45                     ;  msbs: dst=1 src0=1 src1=1 src2=0
	v_dual_mul_f32 v47 /*v303*/, v22 /*v278*/, v27 /*v283*/ :: v_dual_mul_f32 v49 /*v305*/, v24 /*v280*/, v29 /*v285*/
	s_set_vgpr_msb 0                        ;  msbs: dst=0 src0=0 src1=0 src2=0
	v_fmac_f32_e32 v1, v121, v124
	s_set_vgpr_msb 0x45                     ;  msbs: dst=1 src0=1 src1=1 src2=0
	s_delay_alu instid0(VALU_DEP_2) | instskip(SKIP_1) | instid1(VALU_DEP_2)
	v_dual_fmac_f32 v47 /*v303*/, v23 /*v279*/, v26 /*v282*/ :: v_dual_fmac_f32 v49 /*v305*/, v25 /*v281*/, v28 /*v284*/
	s_set_vgpr_msb 0                        ;  msbs: dst=0 src0=0 src1=0 src2=0
	v_dual_add_f32 v0, v0, v1 :: v_dual_mul_f32 v1, v126, v131
	s_delay_alu instid0(VALU_DEP_1) | instskip(NEXT) | instid1(VALU_DEP_1)
	v_fmac_f32_e32 v1, v127, v130
	v_add_f32_e32 v0, v0, v1
	v_mul_f32_e32 v1, v128, v133
	s_delay_alu instid0(VALU_DEP_1) | instskip(NEXT) | instid1(VALU_DEP_1)
	v_fmac_f32_e32 v1, v129, v132
	v_dual_add_f32 v0, v0, v1 :: v_dual_mul_f32 v1, v134, v139
	s_delay_alu instid0(VALU_DEP_1) | instskip(NEXT) | instid1(VALU_DEP_1)
	v_fmac_f32_e32 v1, v135, v138
	v_add_f32_e32 v0, v0, v1
	v_mul_f32_e32 v1, v136, v141
	s_delay_alu instid0(VALU_DEP_1) | instskip(NEXT) | instid1(VALU_DEP_1)
	v_fmac_f32_e32 v1, v137, v140
	;; [unrolled: 7-line block ×16, first 2 shown]
	v_add_f32_e32 v0, v0, v1
	s_set_vgpr_msb 4                        ;  msbs: dst=0 src0=0 src1=1 src2=0
	v_mul_f32_e32 v1, v254, v3 /*v259*/
	s_delay_alu instid0(VALU_DEP_1) | instskip(SKIP_1) | instid1(VALU_DEP_1)
	v_fmac_f32_e32 v1, v255, v2 /*v258*/
	s_set_vgpr_msb 0                        ;  msbs: dst=0 src0=0 src1=0 src2=0
	v_add_f32_e32 v0, v0, v1
	s_set_vgpr_msb 5                        ;  msbs: dst=0 src0=1 src1=1 src2=0
	v_mul_f32_e32 v1, v0 /*v256*/, v5 /*v261*/
	s_delay_alu instid0(VALU_DEP_1) | instskip(SKIP_1) | instid1(VALU_DEP_1)
	v_fmac_f32_e32 v1, v1 /*v257*/, v4 /*v260*/
	s_set_vgpr_msb 0                        ;  msbs: dst=0 src0=0 src1=0 src2=0
	v_add_f32_e32 v0, v0, v1
	s_set_vgpr_msb 5                        ;  msbs: dst=0 src0=1 src1=1 src2=0
	v_mul_f32_e32 v1, v6 /*v262*/, v11 /*v267*/
	s_delay_alu instid0(VALU_DEP_1) | instskip(SKIP_1) | instid1(VALU_DEP_1)
	v_fmac_f32_e32 v1, v7 /*v263*/, v10 /*v266*/
	;; [unrolled: 6-line block ×5, first 2 shown]
	s_set_vgpr_msb 0                        ;  msbs: dst=0 src0=0 src1=0 src2=0
	v_dual_add_f32 v1, v0, v1 :: v_dual_mul_f32 v0, v111, v115
	s_delay_alu instid0(VALU_DEP_1) | instskip(NEXT) | instid1(VALU_DEP_1)
	v_fma_f32 v0, v110, v114, -v0
	v_add_f32_e32 v0, 0, v0
	s_delay_alu instid0(VALU_DEP_1) | instskip(NEXT) | instid1(VALU_DEP_1)
	v_dual_add_f32 v0, v0, v109 :: v_dual_mul_f32 v109, v119, v123
	v_fma_f32 v109, v118, v122, -v109
	s_delay_alu instid0(VALU_DEP_1) | instskip(SKIP_1) | instid1(VALU_DEP_1)
	v_add_f32_e32 v0, v0, v109
	v_mul_f32_e32 v109, v121, v125
	v_fma_f32 v109, v120, v124, -v109
	ds_load_2addr_b64 v[110:113], v108 offset0:99 offset1:100
	ds_load_2addr_b64 v[114:117], v108 offset0:101 offset1:102
	;; [unrolled: 1-line block ×4, first 2 shown]
	v_dual_add_f32 v0, v0, v109 :: v_dual_mul_f32 v109, v127, v131
	s_delay_alu instid0(VALU_DEP_1) | instskip(NEXT) | instid1(VALU_DEP_1)
	v_fma_f32 v109, v126, v130, -v109
	v_add_f32_e32 v0, v0, v109
	v_mul_f32_e32 v109, v129, v133
	s_delay_alu instid0(VALU_DEP_1) | instskip(NEXT) | instid1(VALU_DEP_1)
	v_fma_f32 v109, v128, v132, -v109
	v_dual_add_f32 v0, v0, v109 :: v_dual_mul_f32 v109, v135, v139
	s_delay_alu instid0(VALU_DEP_1) | instskip(NEXT) | instid1(VALU_DEP_1)
	v_fma_f32 v109, v134, v138, -v109
	v_add_f32_e32 v0, v0, v109
	v_mul_f32_e32 v109, v137, v141
	s_delay_alu instid0(VALU_DEP_1) | instskip(NEXT) | instid1(VALU_DEP_1)
	v_fma_f32 v109, v136, v140, -v109
	;; [unrolled: 7-line block ×16, first 2 shown]
	v_add_f32_e32 v0, v0, v109
	s_set_vgpr_msb 4                        ;  msbs: dst=0 src0=0 src1=1 src2=0
	v_mul_f32_e32 v109, v255, v3 /*v259*/
	s_delay_alu instid0(VALU_DEP_1) | instskip(SKIP_1) | instid1(VALU_DEP_1)
	v_fma_f32 v109, v254, v2 /*v258*/, -v109
	s_set_vgpr_msb 0                        ;  msbs: dst=0 src0=0 src1=0 src2=0
	v_add_f32_e32 v0, v0, v109
	s_set_vgpr_msb 5                        ;  msbs: dst=0 src0=1 src1=1 src2=0
	v_mul_f32_e32 v109, v1 /*v257*/, v5 /*v261*/
	s_delay_alu instid0(VALU_DEP_1) | instskip(SKIP_1) | instid1(VALU_DEP_1)
	v_fma_f32 v109, v0 /*v256*/, v4 /*v260*/, -v109
	s_set_vgpr_msb 0                        ;  msbs: dst=0 src0=0 src1=0 src2=0
	v_add_f32_e32 v0, v0, v109
	s_set_vgpr_msb 5                        ;  msbs: dst=0 src0=1 src1=1 src2=0
	v_mul_f32_e32 v109, v7 /*v263*/, v11 /*v267*/
	s_delay_alu instid0(VALU_DEP_1) | instskip(SKIP_1) | instid1(VALU_DEP_1)
	v_fma_f32 v109, v6 /*v262*/, v10 /*v266*/, -v109
	;; [unrolled: 6-line block ×5, first 2 shown]
	s_set_vgpr_msb 0                        ;  msbs: dst=0 src0=0 src1=0 src2=0
	v_add_f32_e32 v0, v0, v109
	s_set_vgpr_msb 5                        ;  msbs: dst=0 src0=1 src1=1 src2=0
	v_mul_f32_e32 v109, v23 /*v279*/, v27 /*v283*/
	s_set_vgpr_msb 0x45                     ;  msbs: dst=1 src0=1 src1=1 src2=0
	s_delay_alu instid0(VALU_DEP_1) | instskip(SKIP_3) | instid1(VALU_DEP_1)
	v_fma_f32 v46 /*v302*/, v22 /*v278*/, v26 /*v282*/, -v109
	s_set_vgpr_msb 5                        ;  msbs: dst=0 src0=1 src1=1 src2=0
	v_mul_f32_e32 v109, v25 /*v281*/, v29 /*v285*/
	s_set_vgpr_msb 0x45                     ;  msbs: dst=1 src0=1 src1=1 src2=0
	v_fma_f32 v48 /*v304*/, v24 /*v280*/, v28 /*v284*/, -v109
	s_wait_loadcnt_dscnt 0x303
	s_set_vgpr_msb 4                        ;  msbs: dst=0 src0=0 src1=1 src2=0
	v_pk_mul_f32 v[108:109], v[110:111], v[30:31] /*v[286:287]*/ op_sel:[1,1] op_sel_hi:[0,1]
	v_pk_add_f32 v[0:1], v[0:1], v[46:47] /*v[302:303]*/
	s_delay_alu instid0(VALU_DEP_2)
	v_pk_fma_f32 v[126:127], v[110:111], v[30:31] /*v[286:287]*/, v[108:109] neg_lo:[0,0,1] neg_hi:[0,0,1]
	v_pk_fma_f32 v[108:109], v[110:111], v[30:31] /*v[286:287]*/, v[108:109] op_sel_hi:[1,0,1]
	v_mov_b32_e32 v108, v113
	s_set_vgpr_msb 1                        ;  msbs: dst=0 src0=1 src1=0 src2=0
	v_mov_b32_e32 v110, v33 /*v289*/
	s_set_vgpr_msb 4                        ;  msbs: dst=0 src0=0 src1=1 src2=0
	v_pk_add_f32 v[0:1], v[0:1], v[48:49] /*v[304:305]*/
	v_dual_mov_b32 v127, v109 :: v_dual_mov_b32 v109, v112
	s_set_vgpr_msb 0                        ;  msbs: dst=0 src0=0 src1=0 src2=0
	s_delay_alu instid0(VALU_DEP_1) | instskip(NEXT) | instid1(VALU_DEP_2)
	v_pk_add_f32 v[0:1], v[0:1], v[126:127]
	v_pk_mul_f32 v[108:109], v[108:109], v[110:111] op_sel_hi:[1,0]
	s_set_vgpr_msb 4                        ;  msbs: dst=0 src0=0 src1=1 src2=0
	s_delay_alu instid0(VALU_DEP_1) | instskip(SKIP_1) | instid1(VALU_DEP_1)
	v_pk_fma_f32 v[110:111], v[112:113], v[32:33] /*v[288:289]*/, v[108:109] neg_lo:[0,0,1] neg_hi:[0,0,1]
	v_pk_fma_f32 v[108:109], v[112:113], v[32:33] /*v[288:289]*/, v[108:109] op_sel_hi:[1,0,1]
	v_mov_b32_e32 v111, v109
	s_wait_loadcnt_dscnt 0x202
	v_pk_mul_f32 v[108:109], v[114:115], v[34:35] /*v[290:291]*/ op_sel:[1,1] op_sel_hi:[0,1]
	s_set_vgpr_msb 0                        ;  msbs: dst=0 src0=0 src1=0 src2=0
	s_delay_alu instid0(VALU_DEP_2) | instskip(SKIP_1) | instid1(VALU_DEP_2)
	v_pk_add_f32 v[0:1], v[0:1], v[110:111]
	s_set_vgpr_msb 4                        ;  msbs: dst=0 src0=0 src1=1 src2=0
	v_pk_fma_f32 v[110:111], v[114:115], v[34:35] /*v[290:291]*/, v[108:109] neg_lo:[0,0,1] neg_hi:[0,0,1]
	v_pk_fma_f32 v[108:109], v[114:115], v[34:35] /*v[290:291]*/, v[108:109] op_sel_hi:[1,0,1]
	s_delay_alu instid0(VALU_DEP_1) | instskip(SKIP_2) | instid1(VALU_DEP_2)
	v_dual_mov_b32 v108, v117 :: v_dual_mov_b32 v111, v109
	v_mov_b32_e32 v109, v116
	s_set_vgpr_msb 0                        ;  msbs: dst=0 src0=0 src1=0 src2=0
	v_pk_add_f32 v[0:1], v[0:1], v[110:111]
	s_set_vgpr_msb 1                        ;  msbs: dst=0 src0=1 src1=0 src2=0
	v_mov_b32_e32 v110, v37 /*v293*/
	s_set_vgpr_msb 0                        ;  msbs: dst=0 src0=0 src1=0 src2=0
	s_delay_alu instid0(VALU_DEP_1) | instskip(SKIP_1) | instid1(VALU_DEP_1)
	v_pk_mul_f32 v[108:109], v[108:109], v[110:111] op_sel_hi:[1,0]
	s_set_vgpr_msb 4                        ;  msbs: dst=0 src0=0 src1=1 src2=0
	v_pk_fma_f32 v[110:111], v[116:117], v[36:37] /*v[292:293]*/, v[108:109] neg_lo:[0,0,1] neg_hi:[0,0,1]
	v_pk_fma_f32 v[108:109], v[116:117], v[36:37] /*v[292:293]*/, v[108:109] op_sel_hi:[1,0,1]
	s_delay_alu instid0(VALU_DEP_1) | instskip(SKIP_3) | instid1(VALU_DEP_2)
	v_mov_b32_e32 v111, v109
	s_wait_loadcnt_dscnt 0x101
	v_pk_mul_f32 v[108:109], v[118:119], v[38:39] /*v[294:295]*/ op_sel:[1,1] op_sel_hi:[0,1]
	s_set_vgpr_msb 0                        ;  msbs: dst=0 src0=0 src1=0 src2=0
	v_pk_add_f32 v[0:1], v[0:1], v[110:111]
	s_set_vgpr_msb 4                        ;  msbs: dst=0 src0=0 src1=1 src2=0
	s_delay_alu instid0(VALU_DEP_2) | instskip(SKIP_1) | instid1(VALU_DEP_1)
	v_pk_fma_f32 v[110:111], v[118:119], v[38:39] /*v[294:295]*/, v[108:109] neg_lo:[0,0,1] neg_hi:[0,0,1]
	v_pk_fma_f32 v[108:109], v[118:119], v[38:39] /*v[294:295]*/, v[108:109] op_sel_hi:[1,0,1]
	v_dual_mov_b32 v108, v121 :: v_dual_mov_b32 v111, v109
	v_mov_b32_e32 v109, v120
	s_set_vgpr_msb 0                        ;  msbs: dst=0 src0=0 src1=0 src2=0
	s_delay_alu instid0(VALU_DEP_2) | instskip(SKIP_3) | instid1(VALU_DEP_1)
	v_pk_add_f32 v[0:1], v[0:1], v[110:111]
	s_set_vgpr_msb 1                        ;  msbs: dst=0 src0=1 src1=0 src2=0
	v_mov_b32_e32 v110, v41 /*v297*/
	s_set_vgpr_msb 0                        ;  msbs: dst=0 src0=0 src1=0 src2=0
	v_pk_mul_f32 v[108:109], v[108:109], v[110:111] op_sel_hi:[1,0]
	s_set_vgpr_msb 4                        ;  msbs: dst=0 src0=0 src1=1 src2=0
	s_delay_alu instid0(VALU_DEP_1) | instskip(SKIP_1) | instid1(VALU_DEP_1)
	v_pk_fma_f32 v[110:111], v[120:121], v[40:41] /*v[296:297]*/, v[108:109] neg_lo:[0,0,1] neg_hi:[0,0,1]
	v_pk_fma_f32 v[108:109], v[120:121], v[40:41] /*v[296:297]*/, v[108:109] op_sel_hi:[1,0,1]
	v_mov_b32_e32 v111, v109
	s_wait_loadcnt_dscnt 0x0
	v_pk_mul_f32 v[108:109], v[122:123], v[42:43] /*v[298:299]*/ op_sel:[1,1] op_sel_hi:[0,1]
	s_set_vgpr_msb 0                        ;  msbs: dst=0 src0=0 src1=0 src2=0
	s_delay_alu instid0(VALU_DEP_2) | instskip(SKIP_1) | instid1(VALU_DEP_2)
	v_pk_add_f32 v[0:1], v[0:1], v[110:111]
	s_set_vgpr_msb 4                        ;  msbs: dst=0 src0=0 src1=1 src2=0
	v_pk_fma_f32 v[110:111], v[122:123], v[42:43] /*v[298:299]*/, v[108:109] neg_lo:[0,0,1] neg_hi:[0,0,1]
	v_pk_fma_f32 v[108:109], v[122:123], v[42:43] /*v[298:299]*/, v[108:109] op_sel_hi:[1,0,1]
	s_delay_alu instid0(VALU_DEP_1) | instskip(SKIP_2) | instid1(VALU_DEP_2)
	v_dual_mov_b32 v108, v125 :: v_dual_mov_b32 v111, v109
	v_mov_b32_e32 v109, v124
	s_set_vgpr_msb 0                        ;  msbs: dst=0 src0=0 src1=0 src2=0
	v_pk_add_f32 v[0:1], v[0:1], v[110:111]
	s_set_vgpr_msb 1                        ;  msbs: dst=0 src0=1 src1=0 src2=0
	v_mov_b32_e32 v110, v45 /*v301*/
	s_set_vgpr_msb 0                        ;  msbs: dst=0 src0=0 src1=0 src2=0
	s_delay_alu instid0(VALU_DEP_1) | instskip(SKIP_1) | instid1(VALU_DEP_1)
	v_pk_mul_f32 v[108:109], v[108:109], v[110:111] op_sel_hi:[1,0]
	s_set_vgpr_msb 4                        ;  msbs: dst=0 src0=0 src1=1 src2=0
	v_pk_fma_f32 v[110:111], v[124:125], v[44:45] /*v[300:301]*/, v[108:109] neg_lo:[0,0,1] neg_hi:[0,0,1]
	v_pk_fma_f32 v[108:109], v[124:125], v[44:45] /*v[300:301]*/, v[108:109] op_sel_hi:[1,0,1]
	s_delay_alu instid0(VALU_DEP_1) | instskip(SKIP_4) | instid1(VALU_DEP_1)
	v_mov_b32_e32 v111, v109
	scratch_load_b64 v[108:109], off, off
	s_set_vgpr_msb 0                        ;  msbs: dst=0 src0=0 src1=0 src2=0
	v_pk_add_f32 v[0:1], v[0:1], v[110:111]
	s_wait_loadcnt 0x0
	v_pk_add_f32 v[108:109], v[108:109], v[0:1] neg_lo:[0,1] neg_hi:[0,1]
	scratch_store_b64 off, v[108:109], off
	s_cbranch_vccz .LBB116_436
; %bb.332:
	v_mov_b32_e32 v0, 0
	global_load_b32 v1, v0, s[8:9] offset:204
	s_wait_loadcnt 0x0
	v_cmp_ne_u32_e32 vcc_lo, 52, v1
	s_cbranch_vccz .LBB116_334
; %bb.333:
	v_lshlrev_b32_e32 v1, 3, v1
	scratch_load_b64 v[108:109], v1, off offset:-8
	scratch_load_b64 v[110:111], off, off offset:408
	s_wait_loadcnt 0x1
	scratch_store_b64 off, v[108:109], off offset:408
	s_wait_loadcnt 0x0
	scratch_store_b64 v1, v[110:111], off offset:-8
.LBB116_334:
	global_load_b32 v0, v0, s[8:9] offset:200
	s_wait_loadcnt 0x0
	v_cmp_eq_u32_e32 vcc_lo, 51, v0
	s_cbranch_vccnz .LBB116_336
; %bb.335:
	s_wait_xcnt 0x0
	v_lshlrev_b32_e32 v0, 3, v0
	s_delay_alu instid0(VALU_DEP_1)
	v_mov_b32_e32 v110, v0
	scratch_load_b64 v[0:1], v110, off offset:-8
	scratch_load_b64 v[108:109], off, off offset:400
	s_wait_loadcnt 0x1
	scratch_store_b64 off, v[0:1], off offset:400
	s_wait_loadcnt 0x0
	scratch_store_b64 v110, v[108:109], off offset:-8
.LBB116_336:
	s_wait_xcnt 0x0
	v_mov_b32_e32 v0, 0
	global_load_b32 v1, v0, s[8:9] offset:196
	s_wait_loadcnt 0x0
	v_cmp_eq_u32_e32 vcc_lo, 50, v1
	s_cbranch_vccnz .LBB116_338
; %bb.337:
	v_lshlrev_b32_e32 v1, 3, v1
	scratch_load_b64 v[108:109], v1, off offset:-8
	scratch_load_b64 v[110:111], off, off offset:392
	s_wait_loadcnt 0x1
	scratch_store_b64 off, v[108:109], off offset:392
	s_wait_loadcnt 0x0
	scratch_store_b64 v1, v[110:111], off offset:-8
.LBB116_338:
	global_load_b32 v0, v0, s[8:9] offset:192
	s_wait_loadcnt 0x0
	v_cmp_eq_u32_e32 vcc_lo, 49, v0
	s_cbranch_vccnz .LBB116_340
; %bb.339:
	s_wait_xcnt 0x0
	v_lshlrev_b32_e32 v0, 3, v0
	s_delay_alu instid0(VALU_DEP_1)
	v_mov_b32_e32 v110, v0
	scratch_load_b64 v[0:1], v110, off offset:-8
	scratch_load_b64 v[108:109], off, off offset:384
	s_wait_loadcnt 0x1
	scratch_store_b64 off, v[0:1], off offset:384
	s_wait_loadcnt 0x0
	scratch_store_b64 v110, v[108:109], off offset:-8
.LBB116_340:
	s_wait_xcnt 0x0
	v_mov_b32_e32 v0, 0
	global_load_b32 v1, v0, s[8:9] offset:188
	s_wait_loadcnt 0x0
	v_cmp_eq_u32_e32 vcc_lo, 48, v1
	s_cbranch_vccnz .LBB116_342
; %bb.341:
	v_lshlrev_b32_e32 v1, 3, v1
	scratch_load_b64 v[108:109], v1, off offset:-8
	scratch_load_b64 v[110:111], off, off offset:376
	s_wait_loadcnt 0x1
	scratch_store_b64 off, v[108:109], off offset:376
	s_wait_loadcnt 0x0
	scratch_store_b64 v1, v[110:111], off offset:-8
.LBB116_342:
	;; [unrolled: 31-line block ×25, first 2 shown]
	global_load_b32 v0, v0, s[8:9]
	scratch_load_b64 v[108:109], off, off
	s_wait_loadcnt 0x1
	v_cmp_eq_u32_e32 vcc_lo, 1, v0
	s_cbranch_vccnz .LBB116_436
; %bb.435:
	s_wait_xcnt 0x1
	v_lshlrev_b32_e32 v0, 3, v0
	s_delay_alu instid0(VALU_DEP_1)
	v_mov_b32_e32 v110, v0
	scratch_load_b64 v[0:1], v110, off offset:-8
	s_wait_loadcnt 0x0
	scratch_store_b64 off, v[0:1], off
	scratch_store_b64 v110, v[108:109], off offset:-8
	scratch_load_b64 v[108:109], off, off
.LBB116_436:
	s_wait_loadcnt 0x0
	flat_store_b64 v[2:3], v[108:109]
	scratch_load_b64 v[2:3], off, off offset:8
	v_lshl_add_u64 v[158:159], v[6:7], 3, s[2:3]
	v_lshl_add_u64 v[156:157], v[8:9], 3, s[2:3]
	;; [unrolled: 1-line block ×51, first 2 shown]
	s_wait_loadcnt 0x0
	flat_store_b64 v[4:5], v[2:3]
	scratch_load_b64 v[2:3], off, off offset:16
	s_wait_loadcnt 0x0
	flat_store_b64 v[158:159], v[2:3]
	scratch_load_b64 v[2:3], off, off offset:24
	;; [unrolled: 3-line block ×51, first 2 shown]
	s_wait_loadcnt 0x0
	flat_store_b64 v[0:1], v[2:3]
	s_sendmsg sendmsg(MSG_DEALLOC_VGPRS)
	s_endpgm
	.section	.rodata,"a",@progbits
	.p2align	6, 0x0
	.amdhsa_kernel _ZN9rocsolver6v33100L18getri_kernel_smallILi53E19rocblas_complex_numIfEPKPS3_EEvT1_iilPiilS8_bb
		.amdhsa_group_segment_fixed_size 856
		.amdhsa_private_segment_fixed_size 432
		.amdhsa_kernarg_size 60
		.amdhsa_user_sgpr_count 2
		.amdhsa_user_sgpr_dispatch_ptr 0
		.amdhsa_user_sgpr_queue_ptr 0
		.amdhsa_user_sgpr_kernarg_segment_ptr 1
		.amdhsa_user_sgpr_dispatch_id 0
		.amdhsa_user_sgpr_kernarg_preload_length 0
		.amdhsa_user_sgpr_kernarg_preload_offset 0
		.amdhsa_user_sgpr_private_segment_size 0
		.amdhsa_wavefront_size32 1
		.amdhsa_uses_dynamic_stack 0
		.amdhsa_enable_private_segment 1
		.amdhsa_system_sgpr_workgroup_id_x 1
		.amdhsa_system_sgpr_workgroup_id_y 0
		.amdhsa_system_sgpr_workgroup_id_z 0
		.amdhsa_system_sgpr_workgroup_info 0
		.amdhsa_system_vgpr_workitem_id 0
		.amdhsa_next_free_vgpr 324
		.amdhsa_next_free_sgpr 19
		.amdhsa_named_barrier_count 0
		.amdhsa_reserve_vcc 1
		.amdhsa_float_round_mode_32 0
		.amdhsa_float_round_mode_16_64 0
		.amdhsa_float_denorm_mode_32 3
		.amdhsa_float_denorm_mode_16_64 3
		.amdhsa_fp16_overflow 0
		.amdhsa_memory_ordered 1
		.amdhsa_forward_progress 1
		.amdhsa_inst_pref_size 255
		.amdhsa_round_robin_scheduling 0
		.amdhsa_exception_fp_ieee_invalid_op 0
		.amdhsa_exception_fp_denorm_src 0
		.amdhsa_exception_fp_ieee_div_zero 0
		.amdhsa_exception_fp_ieee_overflow 0
		.amdhsa_exception_fp_ieee_underflow 0
		.amdhsa_exception_fp_ieee_inexact 0
		.amdhsa_exception_int_div_zero 0
	.end_amdhsa_kernel
	.section	.text._ZN9rocsolver6v33100L18getri_kernel_smallILi53E19rocblas_complex_numIfEPKPS3_EEvT1_iilPiilS8_bb,"axG",@progbits,_ZN9rocsolver6v33100L18getri_kernel_smallILi53E19rocblas_complex_numIfEPKPS3_EEvT1_iilPiilS8_bb,comdat
.Lfunc_end116:
	.size	_ZN9rocsolver6v33100L18getri_kernel_smallILi53E19rocblas_complex_numIfEPKPS3_EEvT1_iilPiilS8_bb, .Lfunc_end116-_ZN9rocsolver6v33100L18getri_kernel_smallILi53E19rocblas_complex_numIfEPKPS3_EEvT1_iilPiilS8_bb
                                        ; -- End function
	.set _ZN9rocsolver6v33100L18getri_kernel_smallILi53E19rocblas_complex_numIfEPKPS3_EEvT1_iilPiilS8_bb.num_vgpr, 324
	.set _ZN9rocsolver6v33100L18getri_kernel_smallILi53E19rocblas_complex_numIfEPKPS3_EEvT1_iilPiilS8_bb.num_agpr, 0
	.set _ZN9rocsolver6v33100L18getri_kernel_smallILi53E19rocblas_complex_numIfEPKPS3_EEvT1_iilPiilS8_bb.numbered_sgpr, 19
	.set _ZN9rocsolver6v33100L18getri_kernel_smallILi53E19rocblas_complex_numIfEPKPS3_EEvT1_iilPiilS8_bb.num_named_barrier, 0
	.set _ZN9rocsolver6v33100L18getri_kernel_smallILi53E19rocblas_complex_numIfEPKPS3_EEvT1_iilPiilS8_bb.private_seg_size, 432
	.set _ZN9rocsolver6v33100L18getri_kernel_smallILi53E19rocblas_complex_numIfEPKPS3_EEvT1_iilPiilS8_bb.uses_vcc, 1
	.set _ZN9rocsolver6v33100L18getri_kernel_smallILi53E19rocblas_complex_numIfEPKPS3_EEvT1_iilPiilS8_bb.uses_flat_scratch, 1
	.set _ZN9rocsolver6v33100L18getri_kernel_smallILi53E19rocblas_complex_numIfEPKPS3_EEvT1_iilPiilS8_bb.has_dyn_sized_stack, 0
	.set _ZN9rocsolver6v33100L18getri_kernel_smallILi53E19rocblas_complex_numIfEPKPS3_EEvT1_iilPiilS8_bb.has_recursion, 0
	.set _ZN9rocsolver6v33100L18getri_kernel_smallILi53E19rocblas_complex_numIfEPKPS3_EEvT1_iilPiilS8_bb.has_indirect_call, 0
	.section	.AMDGPU.csdata,"",@progbits
; Kernel info:
; codeLenInByte = 104680
; TotalNumSgprs: 21
; NumVgprs: 324
; ScratchSize: 432
; MemoryBound: 0
; FloatMode: 240
; IeeeMode: 1
; LDSByteSize: 856 bytes/workgroup (compile time only)
; SGPRBlocks: 0
; VGPRBlocks: 20
; NumSGPRsForWavesPerEU: 21
; NumVGPRsForWavesPerEU: 324
; NamedBarCnt: 0
; Occupancy: 3
; WaveLimiterHint : 1
; COMPUTE_PGM_RSRC2:SCRATCH_EN: 1
; COMPUTE_PGM_RSRC2:USER_SGPR: 2
; COMPUTE_PGM_RSRC2:TRAP_HANDLER: 0
; COMPUTE_PGM_RSRC2:TGID_X_EN: 1
; COMPUTE_PGM_RSRC2:TGID_Y_EN: 0
; COMPUTE_PGM_RSRC2:TGID_Z_EN: 0
; COMPUTE_PGM_RSRC2:TIDIG_COMP_CNT: 0
	.section	.text._ZN9rocsolver6v33100L18getri_kernel_smallILi54E19rocblas_complex_numIfEPKPS3_EEvT1_iilPiilS8_bb,"axG",@progbits,_ZN9rocsolver6v33100L18getri_kernel_smallILi54E19rocblas_complex_numIfEPKPS3_EEvT1_iilPiilS8_bb,comdat
	.globl	_ZN9rocsolver6v33100L18getri_kernel_smallILi54E19rocblas_complex_numIfEPKPS3_EEvT1_iilPiilS8_bb ; -- Begin function _ZN9rocsolver6v33100L18getri_kernel_smallILi54E19rocblas_complex_numIfEPKPS3_EEvT1_iilPiilS8_bb
	.p2align	8
	.type	_ZN9rocsolver6v33100L18getri_kernel_smallILi54E19rocblas_complex_numIfEPKPS3_EEvT1_iilPiilS8_bb,@function
_ZN9rocsolver6v33100L18getri_kernel_smallILi54E19rocblas_complex_numIfEPKPS3_EEvT1_iilPiilS8_bb: ; @_ZN9rocsolver6v33100L18getri_kernel_smallILi54E19rocblas_complex_numIfEPKPS3_EEvT1_iilPiilS8_bb
; %bb.0:
	s_mov_b32 s2, exec_lo
	v_cmpx_gt_u32_e32 54, v0
	s_cbranch_execz .LBB117_230
; %bb.1:
	s_clause 0x1
	s_load_b32 s13, s[0:1], 0x38
	s_load_b64 s[2:3], s[0:1], 0x0
	s_getreg_b32 s6, hwreg(HW_REG_IB_STS2, 6, 4)
	s_wait_kmcnt 0x0
	s_bitcmp1_b32 s13, 8
	s_cselect_b32 s12, -1, 0
	s_bfe_u32 s4, ttmp6, 0x4000c
	s_and_b32 s5, ttmp6, 15
	s_add_co_i32 s4, s4, 1
	s_delay_alu instid0(SALU_CYCLE_1) | instskip(NEXT) | instid1(SALU_CYCLE_1)
	s_mul_i32 s4, ttmp9, s4
	s_add_co_i32 s5, s5, s4
	s_cmp_eq_u32 s6, 0
	s_cselect_b32 s10, ttmp9, s5
	s_load_b128 s[4:7], s[0:1], 0x28
	s_ashr_i32 s11, s10, 31
	s_delay_alu instid0(SALU_CYCLE_1) | instskip(NEXT) | instid1(SALU_CYCLE_1)
	s_lshl_b64 s[8:9], s[10:11], 3
	s_add_nc_u64 s[2:3], s[2:3], s[8:9]
	s_bfe_u32 s8, s13, 0x10008
	s_load_b64 s[2:3], s[2:3], 0x0
	s_cmp_eq_u32 s8, 0
                                        ; implicit-def: $sgpr8_sgpr9
	s_cbranch_scc1 .LBB117_3
; %bb.2:
	s_load_b96 s[16:18], s[0:1], 0x18
	s_wait_kmcnt 0x0
	s_mul_u64 s[4:5], s[4:5], s[10:11]
	s_delay_alu instid0(SALU_CYCLE_1) | instskip(SKIP_4) | instid1(SALU_CYCLE_1)
	s_lshl_b64 s[4:5], s[4:5], 2
	s_ashr_i32 s9, s18, 31
	s_mov_b32 s8, s18
	s_add_nc_u64 s[4:5], s[16:17], s[4:5]
	s_lshl_b64 s[8:9], s[8:9], 2
	s_add_nc_u64 s[8:9], s[4:5], s[8:9]
.LBB117_3:
	s_wait_kmcnt 0x0
	s_clause 0x1
	s_load_b64 s[4:5], s[0:1], 0x8
	s_load_b32 s13, s[0:1], 0x38
	v_dual_mov_b32 v111, 0 :: v_dual_lshlrev_b32 v110, 3, v0
	s_wait_kmcnt 0x0
	s_ashr_i32 s1, s4, 31
	s_mov_b32 s0, s4
	s_delay_alu instid0(SALU_CYCLE_1) | instskip(NEXT) | instid1(SALU_CYCLE_1)
	s_lshl_b64 s[0:1], s[0:1], 3
	s_add_nc_u64 s[2:3], s[2:3], s[0:1]
	s_ashr_i32 s1, s5, 31
	flat_load_b64 v[6:7], v0, s[2:3] scale_offset
	v_add_nc_u64_e32 v[2:3], s[2:3], v[110:111]
	s_mov_b32 s0, s5
	s_bitcmp0_b32 s13, 0
	s_delay_alu instid0(VALU_DEP_1)
	v_lshl_add_u64 v[4:5], s[0:1], 3, v[2:3]
	s_mov_b32 s1, -1
	s_wait_loadcnt_dscnt 0x0
	scratch_store_b64 off, v[6:7], off
	flat_load_b64 v[8:9], v[4:5]
	s_wait_xcnt 0x1
	v_add3_u32 v6, s5, s5, v0
	s_wait_loadcnt_dscnt 0x0
	scratch_store_b64 off, v[8:9], off offset:8
	flat_load_b64 v[10:11], v6, s[2:3] scale_offset
	s_wait_xcnt 0x1
	v_add_nc_u32_e32 v8, s5, v6
	s_wait_loadcnt_dscnt 0x0
	scratch_store_b64 off, v[10:11], off offset:16
	flat_load_b64 v[12:13], v8, s[2:3] scale_offset
	s_wait_xcnt 0x1
	v_add_nc_u32_e32 v10, s5, v8
	;; [unrolled: 5-line block ×51, first 2 shown]
	s_wait_loadcnt_dscnt 0x0
	scratch_store_b64 off, v[112:113], off offset:416
	flat_load_b64 v[112:113], v108, s[2:3] scale_offset
	s_wait_loadcnt_dscnt 0x0
	scratch_store_b64 off, v[112:113], off offset:424
	s_cbranch_scc1 .LBB117_228
; %bb.4:
	v_cmp_eq_u32_e64 s0, 0, v0
	s_wait_xcnt 0x0
	s_and_saveexec_b32 s1, s0
; %bb.5:
	v_mov_b32_e32 v1, 0
	ds_store_b32 v1, v1 offset:864
; %bb.6:
	s_or_b32 exec_lo, exec_lo, s1
	s_wait_storecnt_dscnt 0x0
	s_barrier_signal -1
	s_barrier_wait -1
	scratch_load_b64 v[112:113], v0, off scale_offset
	s_wait_loadcnt 0x0
	v_cmp_eq_f32_e32 vcc_lo, 0, v112
	v_cmp_eq_f32_e64 s1, 0, v113
	s_and_b32 s1, vcc_lo, s1
	s_delay_alu instid0(SALU_CYCLE_1)
	s_and_saveexec_b32 s4, s1
	s_cbranch_execz .LBB117_10
; %bb.7:
	v_mov_b32_e32 v1, 0
	s_mov_b32 s5, 0
	ds_load_b32 v7, v1 offset:864
	s_wait_dscnt 0x0
	v_readfirstlane_b32 s1, v7
	v_add_nc_u32_e32 v7, 1, v0
	s_cmp_eq_u32 s1, 0
	s_delay_alu instid0(VALU_DEP_1) | instskip(SKIP_1) | instid1(SALU_CYCLE_1)
	v_cmp_gt_i32_e32 vcc_lo, s1, v7
	s_cselect_b32 s13, -1, 0
	s_or_b32 s13, s13, vcc_lo
	s_delay_alu instid0(SALU_CYCLE_1)
	s_and_b32 exec_lo, exec_lo, s13
	s_cbranch_execz .LBB117_10
; %bb.8:
	v_mov_b32_e32 v9, s1
.LBB117_9:                              ; =>This Inner Loop Header: Depth=1
	ds_cmpstore_rtn_b32 v9, v1, v7, v9 offset:864
	s_wait_dscnt 0x0
	v_cmp_ne_u32_e32 vcc_lo, 0, v9
	v_cmp_le_i32_e64 s1, v9, v7
	s_and_b32 s1, vcc_lo, s1
	s_delay_alu instid0(SALU_CYCLE_1) | instskip(NEXT) | instid1(SALU_CYCLE_1)
	s_and_b32 s1, exec_lo, s1
	s_or_b32 s5, s1, s5
	s_delay_alu instid0(SALU_CYCLE_1)
	s_and_not1_b32 exec_lo, exec_lo, s5
	s_cbranch_execnz .LBB117_9
.LBB117_10:
	s_or_b32 exec_lo, exec_lo, s4
	v_mov_b32_e32 v1, 0
	s_barrier_signal -1
	s_barrier_wait -1
	ds_load_b32 v7, v1 offset:864
	s_and_saveexec_b32 s1, s0
	s_cbranch_execz .LBB117_12
; %bb.11:
	s_lshl_b64 s[4:5], s[10:11], 2
	s_delay_alu instid0(SALU_CYCLE_1)
	s_add_nc_u64 s[4:5], s[6:7], s[4:5]
	s_wait_dscnt 0x0
	global_store_b32 v1, v7, s[4:5]
.LBB117_12:
	s_wait_xcnt 0x0
	s_or_b32 exec_lo, exec_lo, s1
	s_wait_dscnt 0x0
	v_cmp_ne_u32_e32 vcc_lo, 0, v7
	s_mov_b32 s1, 0
	s_cbranch_vccnz .LBB117_228
; %bb.13:
	v_lshl_add_u32 v7, v0, 3, 0
                                        ; implicit-def: $vgpr115
                                        ; implicit-def: $vgpr116
	scratch_load_b64 v[112:113], v7, off
	s_wait_loadcnt 0x0
	v_cmp_ngt_f32_e64 s1, |v112|, |v113|
	s_wait_xcnt 0x0
	s_and_saveexec_b32 s4, s1
	s_delay_alu instid0(SALU_CYCLE_1)
	s_xor_b32 s1, exec_lo, s4
	s_cbranch_execz .LBB117_15
; %bb.14:
	v_div_scale_f32 v1, null, v113, v113, v112
	v_div_scale_f32 v13, vcc_lo, v112, v113, v112
	s_delay_alu instid0(VALU_DEP_2) | instskip(SKIP_1) | instid1(TRANS32_DEP_1)
	v_rcp_f32_e32 v9, v1
	v_nop
	v_fma_f32 v11, -v1, v9, 1.0
	s_delay_alu instid0(VALU_DEP_1) | instskip(NEXT) | instid1(VALU_DEP_1)
	v_fmac_f32_e32 v9, v11, v9
	v_mul_f32_e32 v11, v13, v9
	s_delay_alu instid0(VALU_DEP_1) | instskip(NEXT) | instid1(VALU_DEP_1)
	v_fma_f32 v15, -v1, v11, v13
	v_fmac_f32_e32 v11, v15, v9
	s_delay_alu instid0(VALU_DEP_1) | instskip(NEXT) | instid1(VALU_DEP_1)
	v_fma_f32 v1, -v1, v11, v13
	v_div_fmas_f32 v1, v1, v9, v11
	s_delay_alu instid0(VALU_DEP_1) | instskip(NEXT) | instid1(VALU_DEP_1)
	v_div_fixup_f32 v1, v1, v113, v112
	v_fmac_f32_e32 v113, v112, v1
	s_delay_alu instid0(VALU_DEP_1) | instskip(NEXT) | instid1(VALU_DEP_1)
	v_div_scale_f32 v9, null, v113, v113, -1.0
	v_rcp_f32_e32 v11, v9
	v_nop
	s_delay_alu instid0(TRANS32_DEP_1) | instskip(NEXT) | instid1(VALU_DEP_1)
	v_fma_f32 v13, -v9, v11, 1.0
	v_fmac_f32_e32 v11, v13, v11
	v_div_scale_f32 v13, vcc_lo, -1.0, v113, -1.0
	s_delay_alu instid0(VALU_DEP_1) | instskip(NEXT) | instid1(VALU_DEP_1)
	v_mul_f32_e32 v15, v13, v11
	v_fma_f32 v17, -v9, v15, v13
	s_delay_alu instid0(VALU_DEP_1) | instskip(NEXT) | instid1(VALU_DEP_1)
	v_fmac_f32_e32 v15, v17, v11
	v_fma_f32 v9, -v9, v15, v13
	s_delay_alu instid0(VALU_DEP_1) | instskip(NEXT) | instid1(VALU_DEP_1)
	v_div_fmas_f32 v9, v9, v11, v15
	v_div_fixup_f32 v115, v9, v113, -1.0
                                        ; implicit-def: $vgpr112_vgpr113
	s_delay_alu instid0(VALU_DEP_1) | instskip(NEXT) | instid1(VALU_DEP_1)
	v_mul_f32_e32 v116, v1, v115
	v_xor_b32_e32 v114, 0x80000000, v116
.LBB117_15:
	s_and_not1_saveexec_b32 s1, s1
	s_cbranch_execz .LBB117_17
; %bb.16:
	v_div_scale_f32 v1, null, v112, v112, v113
	v_div_scale_f32 v13, vcc_lo, v113, v112, v113
	s_delay_alu instid0(VALU_DEP_2) | instskip(SKIP_1) | instid1(TRANS32_DEP_1)
	v_rcp_f32_e32 v9, v1
	v_nop
	v_fma_f32 v11, -v1, v9, 1.0
	s_delay_alu instid0(VALU_DEP_1) | instskip(NEXT) | instid1(VALU_DEP_1)
	v_fmac_f32_e32 v9, v11, v9
	v_mul_f32_e32 v11, v13, v9
	s_delay_alu instid0(VALU_DEP_1) | instskip(NEXT) | instid1(VALU_DEP_1)
	v_fma_f32 v15, -v1, v11, v13
	v_fmac_f32_e32 v11, v15, v9
	s_delay_alu instid0(VALU_DEP_1) | instskip(NEXT) | instid1(VALU_DEP_1)
	v_fma_f32 v1, -v1, v11, v13
	v_div_fmas_f32 v1, v1, v9, v11
	s_delay_alu instid0(VALU_DEP_1) | instskip(NEXT) | instid1(VALU_DEP_1)
	v_div_fixup_f32 v1, v1, v112, v113
	v_fmac_f32_e32 v112, v113, v1
	s_delay_alu instid0(VALU_DEP_1) | instskip(SKIP_1) | instid1(VALU_DEP_2)
	v_div_scale_f32 v9, null, v112, v112, 1.0
	v_div_scale_f32 v15, vcc_lo, 1.0, v112, 1.0
	v_rcp_f32_e32 v11, v9
	v_nop
	s_delay_alu instid0(TRANS32_DEP_1) | instskip(NEXT) | instid1(VALU_DEP_1)
	v_fma_f32 v13, -v9, v11, 1.0
	v_fmac_f32_e32 v11, v13, v11
	s_delay_alu instid0(VALU_DEP_1) | instskip(NEXT) | instid1(VALU_DEP_1)
	v_mul_f32_e32 v13, v15, v11
	v_fma_f32 v17, -v9, v13, v15
	s_delay_alu instid0(VALU_DEP_1) | instskip(NEXT) | instid1(VALU_DEP_1)
	v_fmac_f32_e32 v13, v17, v11
	v_fma_f32 v9, -v9, v13, v15
	s_delay_alu instid0(VALU_DEP_1) | instskip(NEXT) | instid1(VALU_DEP_1)
	v_div_fmas_f32 v9, v9, v11, v13
	v_div_fixup_f32 v114, v9, v112, 1.0
	s_delay_alu instid0(VALU_DEP_1)
	v_xor_b32_e32 v116, 0x80000000, v114
	v_mul_f32_e64 v115, v1, -v114
.LBB117_17:
	s_or_b32 exec_lo, exec_lo, s1
	scratch_store_b64 v7, v[114:115], off
	scratch_load_b64 v[112:113], off, off offset:8
	v_xor_b32_e32 v117, 0x80000000, v115
	v_add_nc_u32_e32 v1, 0x1b0, v110
	s_wait_loadcnt 0x0
	ds_store_2addr_b64 v110, v[116:117], v[112:113] offset1:54
	s_wait_storecnt_dscnt 0x0
	s_barrier_signal -1
	s_barrier_wait -1
	s_wait_xcnt 0x0
	s_and_saveexec_b32 s1, s0
	s_cbranch_execz .LBB117_19
; %bb.18:
	scratch_load_b64 v[112:113], v7, off
	ds_load_b64 v[114:115], v1
	s_wait_loadcnt_dscnt 0x0
	v_pk_mul_f32 v[118:119], v[114:115], v[112:113] op_sel:[1,1] op_sel_hi:[0,1]
	s_delay_alu instid0(VALU_DEP_1) | instskip(SKIP_2) | instid1(VALU_DEP_3)
	v_pk_fma_f32 v[120:121], v[114:115], v[112:113], v[118:119] op_sel_hi:[1,0,1]
	v_mov_b32_e32 v9, 0
	v_pk_fma_f32 v[112:113], v[114:115], v[112:113], v[118:119] neg_lo:[0,0,1] neg_hi:[0,0,1]
	v_mov_b32_e32 v113, v121
	ds_load_b64 v[116:117], v9 offset:8
	v_pk_add_f32 v[112:113], v[112:113], 0 op_sel_hi:[1,0]
	s_wait_dscnt 0x0
	s_delay_alu instid0(VALU_DEP_1) | instskip(NEXT) | instid1(VALU_DEP_1)
	v_pk_mul_f32 v[114:115], v[112:113], v[116:117] op_sel:[1,1] op_sel_hi:[0,1]
	v_pk_fma_f32 v[118:119], v[112:113], v[116:117], v[114:115] op_sel_hi:[1,0,1]
	v_pk_fma_f32 v[112:113], v[112:113], v[116:117], v[114:115] neg_lo:[0,0,1] neg_hi:[0,0,1]
	s_delay_alu instid0(VALU_DEP_2)
	v_mov_b32_e32 v113, v119
	scratch_store_b64 off, v[112:113], off offset:8
.LBB117_19:
	s_wait_xcnt 0x0
	s_or_b32 exec_lo, exec_lo, s1
	s_wait_storecnt 0x0
	s_barrier_signal -1
	s_barrier_wait -1
	scratch_load_b64 v[112:113], off, off offset:16
	s_mov_b32 s1, exec_lo
	s_wait_loadcnt 0x0
	ds_store_b64 v1, v[112:113]
	s_wait_dscnt 0x0
	s_barrier_signal -1
	s_barrier_wait -1
	v_cmpx_gt_u32_e32 2, v0
	s_cbranch_execz .LBB117_23
; %bb.20:
	scratch_load_b64 v[112:113], v7, off
	ds_load_b64 v[114:115], v1
	s_wait_loadcnt_dscnt 0x0
	v_pk_mul_f32 v[116:117], v[114:115], v[112:113] op_sel:[1,1] op_sel_hi:[0,1]
	s_delay_alu instid0(VALU_DEP_1) | instskip(SKIP_1) | instid1(VALU_DEP_2)
	v_pk_fma_f32 v[118:119], v[114:115], v[112:113], v[116:117] op_sel_hi:[1,0,1]
	v_pk_fma_f32 v[112:113], v[114:115], v[112:113], v[116:117] neg_lo:[0,0,1] neg_hi:[0,0,1]
	v_mov_b32_e32 v113, v119
	s_delay_alu instid0(VALU_DEP_1)
	v_pk_add_f32 v[112:113], v[112:113], 0 op_sel_hi:[1,0]
	s_and_saveexec_b32 s4, s0
	s_cbranch_execz .LBB117_22
; %bb.21:
	scratch_load_b64 v[114:115], off, off offset:8
	v_mov_b32_e32 v7, 0
	ds_load_b64 v[116:117], v7 offset:440
	s_wait_loadcnt_dscnt 0x0
	v_pk_mul_f32 v[118:119], v[116:117], v[114:115] op_sel:[1,1] op_sel_hi:[0,1]
	s_delay_alu instid0(VALU_DEP_1) | instskip(SKIP_1) | instid1(VALU_DEP_2)
	v_pk_fma_f32 v[120:121], v[116:117], v[114:115], v[118:119] op_sel_hi:[1,0,1]
	v_pk_fma_f32 v[114:115], v[116:117], v[114:115], v[118:119] neg_lo:[0,0,1] neg_hi:[0,0,1]
	v_mov_b32_e32 v115, v121
	s_delay_alu instid0(VALU_DEP_1)
	v_pk_add_f32 v[112:113], v[112:113], v[114:115]
.LBB117_22:
	s_or_b32 exec_lo, exec_lo, s4
	v_mov_b32_e32 v7, 0
	ds_load_b64 v[114:115], v7 offset:16
	s_wait_dscnt 0x0
	v_pk_mul_f32 v[116:117], v[112:113], v[114:115] op_sel:[1,1] op_sel_hi:[0,1]
	s_delay_alu instid0(VALU_DEP_1) | instskip(SKIP_1) | instid1(VALU_DEP_2)
	v_pk_fma_f32 v[118:119], v[112:113], v[114:115], v[116:117] op_sel_hi:[1,0,1]
	v_pk_fma_f32 v[112:113], v[112:113], v[114:115], v[116:117] neg_lo:[0,0,1] neg_hi:[0,0,1]
	v_mov_b32_e32 v113, v119
	scratch_store_b64 off, v[112:113], off offset:16
.LBB117_23:
	s_wait_xcnt 0x0
	s_or_b32 exec_lo, exec_lo, s1
	s_wait_storecnt 0x0
	s_barrier_signal -1
	s_barrier_wait -1
	scratch_load_b64 v[112:113], off, off offset:24
	v_add_nc_u32_e32 v7, -1, v0
	s_mov_b32 s0, exec_lo
	s_wait_loadcnt 0x0
	ds_store_b64 v1, v[112:113]
	s_wait_dscnt 0x0
	s_barrier_signal -1
	s_barrier_wait -1
	v_cmpx_gt_u32_e32 3, v0
	s_cbranch_execz .LBB117_27
; %bb.24:
	v_dual_mov_b32 v112, 0 :: v_dual_add_nc_u32 v9, -1, v0
	v_add_nc_u32_e32 v11, 0x1b0, v110
	v_mov_b32_e32 v13, v110
	s_mov_b32 s1, 0
	s_delay_alu instid0(VALU_DEP_3)
	v_mov_b32_e32 v113, v112
.LBB117_25:                             ; =>This Inner Loop Header: Depth=1
	scratch_load_b64 v[114:115], v13, off
	ds_load_b64 v[116:117], v11
	s_wait_xcnt 0x0
	v_dual_add_nc_u32 v11, 8, v11 :: v_dual_add_nc_u32 v13, 8, v13
	s_wait_loadcnt_dscnt 0x0
	v_pk_mul_f32 v[118:119], v[116:117], v[114:115] op_sel:[1,1] op_sel_hi:[0,1]
	s_delay_alu instid0(VALU_DEP_1) | instskip(SKIP_2) | instid1(VALU_DEP_3)
	v_pk_fma_f32 v[120:121], v[116:117], v[114:115], v[118:119] op_sel_hi:[1,0,1]
	v_add_nc_u32_e32 v9, 1, v9
	v_pk_fma_f32 v[114:115], v[116:117], v[114:115], v[118:119] neg_lo:[0,0,1] neg_hi:[0,0,1]
	v_mov_b32_e32 v115, v121
	s_delay_alu instid0(VALU_DEP_3) | instskip(NEXT) | instid1(VALU_DEP_2)
	v_cmp_lt_u32_e32 vcc_lo, 1, v9
	v_pk_add_f32 v[112:113], v[112:113], v[114:115]
	s_or_b32 s1, vcc_lo, s1
	s_delay_alu instid0(SALU_CYCLE_1)
	s_and_not1_b32 exec_lo, exec_lo, s1
	s_cbranch_execnz .LBB117_25
; %bb.26:
	s_or_b32 exec_lo, exec_lo, s1
	v_mov_b32_e32 v9, 0
	ds_load_b64 v[114:115], v9 offset:24
	s_wait_dscnt 0x0
	v_pk_mul_f32 v[116:117], v[112:113], v[114:115] op_sel:[1,1] op_sel_hi:[0,1]
	s_delay_alu instid0(VALU_DEP_1) | instskip(SKIP_1) | instid1(VALU_DEP_2)
	v_pk_fma_f32 v[118:119], v[112:113], v[114:115], v[116:117] op_sel_hi:[1,0,1]
	v_pk_fma_f32 v[112:113], v[112:113], v[114:115], v[116:117] neg_lo:[0,0,1] neg_hi:[0,0,1]
	v_mov_b32_e32 v113, v119
	scratch_store_b64 off, v[112:113], off offset:24
.LBB117_27:
	s_wait_xcnt 0x0
	s_or_b32 exec_lo, exec_lo, s0
	s_wait_storecnt 0x0
	s_barrier_signal -1
	s_barrier_wait -1
	scratch_load_b64 v[112:113], off, off offset:32
	s_mov_b32 s0, exec_lo
	s_wait_loadcnt 0x0
	ds_store_b64 v1, v[112:113]
	s_wait_dscnt 0x0
	s_barrier_signal -1
	s_barrier_wait -1
	v_cmpx_gt_u32_e32 4, v0
	s_cbranch_execz .LBB117_31
; %bb.28:
	v_dual_mov_b32 v112, 0 :: v_dual_add_nc_u32 v9, -1, v0
	v_add_nc_u32_e32 v11, 0x1b0, v110
	v_mov_b32_e32 v13, v110
	s_mov_b32 s1, 0
	s_delay_alu instid0(VALU_DEP_3)
	v_mov_b32_e32 v113, v112
.LBB117_29:                             ; =>This Inner Loop Header: Depth=1
	scratch_load_b64 v[114:115], v13, off
	ds_load_b64 v[116:117], v11
	s_wait_xcnt 0x0
	v_dual_add_nc_u32 v11, 8, v11 :: v_dual_add_nc_u32 v13, 8, v13
	s_wait_loadcnt_dscnt 0x0
	v_pk_mul_f32 v[118:119], v[116:117], v[114:115] op_sel:[1,1] op_sel_hi:[0,1]
	s_delay_alu instid0(VALU_DEP_1) | instskip(SKIP_2) | instid1(VALU_DEP_3)
	v_pk_fma_f32 v[120:121], v[116:117], v[114:115], v[118:119] op_sel_hi:[1,0,1]
	v_add_nc_u32_e32 v9, 1, v9
	v_pk_fma_f32 v[114:115], v[116:117], v[114:115], v[118:119] neg_lo:[0,0,1] neg_hi:[0,0,1]
	v_mov_b32_e32 v115, v121
	s_delay_alu instid0(VALU_DEP_3) | instskip(NEXT) | instid1(VALU_DEP_2)
	v_cmp_lt_u32_e32 vcc_lo, 2, v9
	v_pk_add_f32 v[112:113], v[112:113], v[114:115]
	s_or_b32 s1, vcc_lo, s1
	s_delay_alu instid0(SALU_CYCLE_1)
	s_and_not1_b32 exec_lo, exec_lo, s1
	s_cbranch_execnz .LBB117_29
; %bb.30:
	s_or_b32 exec_lo, exec_lo, s1
	v_mov_b32_e32 v9, 0
	ds_load_b64 v[114:115], v9 offset:32
	s_wait_dscnt 0x0
	v_pk_mul_f32 v[116:117], v[112:113], v[114:115] op_sel:[1,1] op_sel_hi:[0,1]
	s_delay_alu instid0(VALU_DEP_1) | instskip(SKIP_1) | instid1(VALU_DEP_2)
	v_pk_fma_f32 v[118:119], v[112:113], v[114:115], v[116:117] op_sel_hi:[1,0,1]
	v_pk_fma_f32 v[112:113], v[112:113], v[114:115], v[116:117] neg_lo:[0,0,1] neg_hi:[0,0,1]
	v_mov_b32_e32 v113, v119
	scratch_store_b64 off, v[112:113], off offset:32
.LBB117_31:
	s_wait_xcnt 0x0
	s_or_b32 exec_lo, exec_lo, s0
	s_wait_storecnt 0x0
	s_barrier_signal -1
	s_barrier_wait -1
	scratch_load_b64 v[112:113], off, off offset:40
	;; [unrolled: 52-line block ×19, first 2 shown]
	s_mov_b32 s0, exec_lo
	s_wait_loadcnt 0x0
	ds_store_b64 v1, v[112:113]
	s_wait_dscnt 0x0
	s_barrier_signal -1
	s_barrier_wait -1
	v_cmpx_gt_u32_e32 22, v0
	s_cbranch_execz .LBB117_103
; %bb.100:
	v_dual_mov_b32 v112, 0 :: v_dual_add_nc_u32 v9, -1, v0
	v_add_nc_u32_e32 v11, 0x1b0, v110
	v_mov_b32_e32 v13, v110
	s_mov_b32 s1, 0
	s_delay_alu instid0(VALU_DEP_3)
	v_mov_b32_e32 v113, v112
.LBB117_101:                            ; =>This Inner Loop Header: Depth=1
	scratch_load_b64 v[114:115], v13, off
	ds_load_b64 v[116:117], v11
	s_wait_xcnt 0x0
	v_dual_add_nc_u32 v11, 8, v11 :: v_dual_add_nc_u32 v13, 8, v13
	s_wait_loadcnt_dscnt 0x0
	v_pk_mul_f32 v[118:119], v[116:117], v[114:115] op_sel:[1,1] op_sel_hi:[0,1]
	s_delay_alu instid0(VALU_DEP_1) | instskip(SKIP_2) | instid1(VALU_DEP_3)
	v_pk_fma_f32 v[120:121], v[116:117], v[114:115], v[118:119] op_sel_hi:[1,0,1]
	v_add_nc_u32_e32 v9, 1, v9
	v_pk_fma_f32 v[114:115], v[116:117], v[114:115], v[118:119] neg_lo:[0,0,1] neg_hi:[0,0,1]
	v_mov_b32_e32 v115, v121
	s_delay_alu instid0(VALU_DEP_3) | instskip(NEXT) | instid1(VALU_DEP_2)
	v_cmp_lt_u32_e32 vcc_lo, 20, v9
	v_pk_add_f32 v[112:113], v[112:113], v[114:115]
	s_or_b32 s1, vcc_lo, s1
	s_delay_alu instid0(SALU_CYCLE_1)
	s_and_not1_b32 exec_lo, exec_lo, s1
	s_cbranch_execnz .LBB117_101
; %bb.102:
	s_or_b32 exec_lo, exec_lo, s1
	v_mov_b32_e32 v9, 0
	ds_load_b64 v[114:115], v9 offset:176
	s_wait_dscnt 0x0
	v_pk_mul_f32 v[116:117], v[112:113], v[114:115] op_sel:[1,1] op_sel_hi:[0,1]
	s_delay_alu instid0(VALU_DEP_1) | instskip(SKIP_1) | instid1(VALU_DEP_2)
	v_pk_fma_f32 v[118:119], v[112:113], v[114:115], v[116:117] op_sel_hi:[1,0,1]
	v_pk_fma_f32 v[112:113], v[112:113], v[114:115], v[116:117] neg_lo:[0,0,1] neg_hi:[0,0,1]
	v_mov_b32_e32 v113, v119
	scratch_store_b64 off, v[112:113], off offset:176
.LBB117_103:
	s_wait_xcnt 0x0
	s_or_b32 exec_lo, exec_lo, s0
	s_wait_storecnt 0x0
	s_barrier_signal -1
	s_barrier_wait -1
	scratch_load_b64 v[112:113], off, off offset:184
	s_mov_b32 s0, exec_lo
	s_wait_loadcnt 0x0
	ds_store_b64 v1, v[112:113]
	s_wait_dscnt 0x0
	s_barrier_signal -1
	s_barrier_wait -1
	v_cmpx_gt_u32_e32 23, v0
	s_cbranch_execz .LBB117_107
; %bb.104:
	v_dual_mov_b32 v112, 0 :: v_dual_add_nc_u32 v9, -1, v0
	v_add_nc_u32_e32 v11, 0x1b0, v110
	v_mov_b32_e32 v13, v110
	s_mov_b32 s1, 0
	s_delay_alu instid0(VALU_DEP_3)
	v_mov_b32_e32 v113, v112
.LBB117_105:                            ; =>This Inner Loop Header: Depth=1
	scratch_load_b64 v[114:115], v13, off
	ds_load_b64 v[116:117], v11
	s_wait_xcnt 0x0
	v_dual_add_nc_u32 v11, 8, v11 :: v_dual_add_nc_u32 v13, 8, v13
	s_wait_loadcnt_dscnt 0x0
	v_pk_mul_f32 v[118:119], v[116:117], v[114:115] op_sel:[1,1] op_sel_hi:[0,1]
	s_delay_alu instid0(VALU_DEP_1) | instskip(SKIP_2) | instid1(VALU_DEP_3)
	v_pk_fma_f32 v[120:121], v[116:117], v[114:115], v[118:119] op_sel_hi:[1,0,1]
	v_add_nc_u32_e32 v9, 1, v9
	v_pk_fma_f32 v[114:115], v[116:117], v[114:115], v[118:119] neg_lo:[0,0,1] neg_hi:[0,0,1]
	v_mov_b32_e32 v115, v121
	s_delay_alu instid0(VALU_DEP_3) | instskip(NEXT) | instid1(VALU_DEP_2)
	v_cmp_lt_u32_e32 vcc_lo, 21, v9
	v_pk_add_f32 v[112:113], v[112:113], v[114:115]
	s_or_b32 s1, vcc_lo, s1
	s_delay_alu instid0(SALU_CYCLE_1)
	s_and_not1_b32 exec_lo, exec_lo, s1
	s_cbranch_execnz .LBB117_105
; %bb.106:
	s_or_b32 exec_lo, exec_lo, s1
	v_mov_b32_e32 v9, 0
	ds_load_b64 v[114:115], v9 offset:184
	s_wait_dscnt 0x0
	v_pk_mul_f32 v[116:117], v[112:113], v[114:115] op_sel:[1,1] op_sel_hi:[0,1]
	s_delay_alu instid0(VALU_DEP_1) | instskip(SKIP_1) | instid1(VALU_DEP_2)
	v_pk_fma_f32 v[118:119], v[112:113], v[114:115], v[116:117] op_sel_hi:[1,0,1]
	v_pk_fma_f32 v[112:113], v[112:113], v[114:115], v[116:117] neg_lo:[0,0,1] neg_hi:[0,0,1]
	v_mov_b32_e32 v113, v119
	scratch_store_b64 off, v[112:113], off offset:184
.LBB117_107:
	s_wait_xcnt 0x0
	s_or_b32 exec_lo, exec_lo, s0
	s_wait_storecnt 0x0
	s_barrier_signal -1
	s_barrier_wait -1
	scratch_load_b64 v[112:113], off, off offset:192
	;; [unrolled: 52-line block ×31, first 2 shown]
	s_mov_b32 s0, exec_lo
	s_wait_loadcnt 0x0
	ds_store_b64 v1, v[112:113]
	s_wait_dscnt 0x0
	s_barrier_signal -1
	s_barrier_wait -1
	v_cmpx_ne_u32_e32 53, v0
	s_cbranch_execz .LBB117_227
; %bb.224:
	v_dual_mov_b32 v112, 0 :: v_dual_mov_b32 v9, v110
	s_mov_b32 s1, 0
	s_delay_alu instid0(VALU_DEP_1)
	v_mov_b32_e32 v113, v112
.LBB117_225:                            ; =>This Inner Loop Header: Depth=1
	scratch_load_b64 v[110:111], v9, off
	ds_load_b64 v[114:115], v1
	v_add_nc_u32_e32 v1, 8, v1
	s_wait_xcnt 0x0
	v_add_nc_u32_e32 v9, 8, v9
	s_wait_loadcnt_dscnt 0x0
	v_pk_mul_f32 v[116:117], v[114:115], v[110:111] op_sel:[1,1] op_sel_hi:[0,1]
	s_delay_alu instid0(VALU_DEP_1) | instskip(SKIP_2) | instid1(VALU_DEP_3)
	v_pk_fma_f32 v[118:119], v[114:115], v[110:111], v[116:117] op_sel_hi:[1,0,1]
	v_add_nc_u32_e32 v7, 1, v7
	v_pk_fma_f32 v[110:111], v[114:115], v[110:111], v[116:117] neg_lo:[0,0,1] neg_hi:[0,0,1]
	v_mov_b32_e32 v111, v119
	s_delay_alu instid0(VALU_DEP_3) | instskip(NEXT) | instid1(VALU_DEP_2)
	v_cmp_lt_u32_e32 vcc_lo, 51, v7
	v_pk_add_f32 v[112:113], v[112:113], v[110:111]
	s_or_b32 s1, vcc_lo, s1
	s_delay_alu instid0(SALU_CYCLE_1)
	s_and_not1_b32 exec_lo, exec_lo, s1
	s_cbranch_execnz .LBB117_225
; %bb.226:
	s_or_b32 exec_lo, exec_lo, s1
	v_mov_b32_e32 v1, 0
	ds_load_b64 v[110:111], v1 offset:424
	s_wait_dscnt 0x0
	v_pk_mul_f32 v[114:115], v[112:113], v[110:111] op_sel:[1,1] op_sel_hi:[0,1]
	s_delay_alu instid0(VALU_DEP_1) | instskip(SKIP_1) | instid1(VALU_DEP_2)
	v_pk_fma_f32 v[116:117], v[112:113], v[110:111], v[114:115] op_sel_hi:[1,0,1]
	v_pk_fma_f32 v[110:111], v[112:113], v[110:111], v[114:115] neg_lo:[0,0,1] neg_hi:[0,0,1]
	v_mov_b32_e32 v111, v117
	scratch_store_b64 off, v[110:111], off offset:424
.LBB117_227:
	s_wait_xcnt 0x0
	s_or_b32 exec_lo, exec_lo, s0
	s_mov_b32 s1, -1
	s_wait_storecnt 0x0
	s_barrier_signal -1
	s_barrier_wait -1
.LBB117_228:
	s_and_b32 vcc_lo, exec_lo, s1
	s_cbranch_vccz .LBB117_230
; %bb.229:
	v_mov_b32_e32 v1, 0
	s_lshl_b64 s[0:1], s[10:11], 2
	s_delay_alu instid0(SALU_CYCLE_1)
	s_add_nc_u64 s[0:1], s[6:7], s[0:1]
	global_load_b32 v1, v1, s[0:1]
	s_wait_loadcnt 0x0
	v_cmp_ne_u32_e32 vcc_lo, 0, v1
	s_cbranch_vccz .LBB117_231
.LBB117_230:
	s_sendmsg sendmsg(MSG_DEALLOC_VGPRS)
	s_endpgm
.LBB117_231:
	s_wait_xcnt 0x0
	v_lshl_add_u32 v1, v0, 3, 0x1b0
	s_mov_b32 s0, exec_lo
	v_cmpx_eq_u32_e32 53, v0
	s_cbranch_execz .LBB117_233
; %bb.232:
	scratch_load_b64 v[110:111], off, off offset:416
	v_mov_b64_e32 v[112:113], 0
	scratch_store_b64 off, v[112:113], off offset:416
	s_wait_loadcnt 0x0
	ds_store_b64 v1, v[110:111]
.LBB117_233:
	s_wait_xcnt 0x0
	s_or_b32 exec_lo, exec_lo, s0
	s_wait_storecnt_dscnt 0x0
	s_barrier_signal -1
	s_barrier_wait -1
	s_clause 0x1
	scratch_load_b64 v[110:111], off, off offset:424
	scratch_load_b64 v[112:113], off, off offset:416
	v_mov_b32_e32 v7, 0
	s_mov_b32 s0, exec_lo
	ds_load_b64 v[114:115], v7 offset:856
	s_wait_loadcnt_dscnt 0x100
	v_pk_mul_f32 v[116:117], v[114:115], v[110:111] op_sel:[1,1] op_sel_hi:[0,1]
	s_delay_alu instid0(VALU_DEP_1) | instskip(SKIP_1) | instid1(VALU_DEP_2)
	v_pk_fma_f32 v[118:119], v[114:115], v[110:111], v[116:117] op_sel_hi:[1,0,1]
	v_pk_fma_f32 v[110:111], v[114:115], v[110:111], v[116:117] neg_lo:[0,0,1] neg_hi:[0,0,1]
	v_mov_b32_e32 v111, v119
	s_delay_alu instid0(VALU_DEP_1) | instskip(SKIP_1) | instid1(VALU_DEP_1)
	v_pk_add_f32 v[110:111], v[110:111], 0 op_sel_hi:[1,0]
	s_wait_loadcnt 0x0
	v_pk_add_f32 v[110:111], v[112:113], v[110:111] neg_lo:[0,1] neg_hi:[0,1]
	scratch_store_b64 off, v[110:111], off offset:416
	s_wait_xcnt 0x0
	v_cmpx_lt_u32_e32 51, v0
	s_cbranch_execz .LBB117_235
; %bb.234:
	scratch_load_b64 v[110:111], off, off offset:408
	v_mov_b64_e32 v[112:113], 0
	scratch_store_b64 off, v[112:113], off offset:408
	s_wait_loadcnt 0x0
	ds_store_b64 v1, v[110:111]
.LBB117_235:
	s_wait_xcnt 0x0
	s_or_b32 exec_lo, exec_lo, s0
	s_wait_storecnt_dscnt 0x0
	s_barrier_signal -1
	s_barrier_wait -1
	s_clause 0x1
	scratch_load_b128 v[110:113], off, off offset:416
	scratch_load_b64 v[118:119], off, off offset:408
	ds_load_b128 v[114:117], v7 offset:848
	s_mov_b32 s0, exec_lo
	s_wait_dscnt 0x0
	v_dual_mov_b32 v120, v117 :: v_dual_mov_b32 v121, v116
	s_wait_loadcnt 0x1
	v_pk_mul_f32 v[122:123], v[114:115], v[110:111] op_sel:[1,1] op_sel_hi:[0,1]
	s_delay_alu instid0(VALU_DEP_1) | instskip(SKIP_2) | instid1(VALU_DEP_3)
	v_pk_fma_f32 v[126:127], v[114:115], v[110:111], v[122:123] op_sel_hi:[1,0,1]
	v_mov_b32_e32 v124, v113
	v_pk_fma_f32 v[110:111], v[114:115], v[110:111], v[122:123] neg_lo:[0,0,1] neg_hi:[0,0,1]
	v_mov_b32_e32 v111, v127
	s_delay_alu instid0(VALU_DEP_3) | instskip(NEXT) | instid1(VALU_DEP_2)
	v_pk_mul_f32 v[120:121], v[120:121], v[124:125] op_sel_hi:[1,0]
	v_pk_add_f32 v[110:111], v[110:111], 0 op_sel_hi:[1,0]
	s_delay_alu instid0(VALU_DEP_2) | instskip(SKIP_1) | instid1(VALU_DEP_2)
	v_pk_fma_f32 v[114:115], v[116:117], v[112:113], v[120:121] op_sel_hi:[1,0,1]
	v_pk_fma_f32 v[112:113], v[116:117], v[112:113], v[120:121] neg_lo:[0,0,1] neg_hi:[0,0,1]
	v_mov_b32_e32 v113, v115
	s_delay_alu instid0(VALU_DEP_1) | instskip(SKIP_1) | instid1(VALU_DEP_1)
	v_pk_add_f32 v[110:111], v[110:111], v[112:113]
	s_wait_loadcnt 0x0
	v_pk_add_f32 v[110:111], v[118:119], v[110:111] neg_lo:[0,1] neg_hi:[0,1]
	scratch_store_b64 off, v[110:111], off offset:408
	s_wait_xcnt 0x0
	v_cmpx_lt_u32_e32 50, v0
	s_cbranch_execz .LBB117_237
; %bb.236:
	scratch_load_b64 v[110:111], off, off offset:400
	v_mov_b64_e32 v[112:113], 0
	scratch_store_b64 off, v[112:113], off offset:400
	s_wait_loadcnt 0x0
	ds_store_b64 v1, v[110:111]
.LBB117_237:
	s_wait_xcnt 0x0
	s_or_b32 exec_lo, exec_lo, s0
	s_wait_storecnt_dscnt 0x0
	s_barrier_signal -1
	s_barrier_wait -1
	s_clause 0x2
	scratch_load_b128 v[110:113], off, off offset:408
	scratch_load_b64 v[118:119], off, off offset:424
	scratch_load_b64 v[120:121], off, off offset:400
	v_mov_b32_e32 v7, 0
	ds_load_2addr_b64 v[114:117], v7 offset0:105 offset1:106
	ds_load_b64 v[122:123], v7 offset:856
	s_mov_b32 s0, exec_lo
	s_wait_dscnt 0x1
	v_dual_mov_b32 v124, v117 :: v_dual_mov_b32 v125, v116
	s_wait_loadcnt 0x2
	v_mov_b32_e32 v128, v113
	v_pk_mul_f32 v[126:127], v[114:115], v[110:111] op_sel:[1,1] op_sel_hi:[0,1]
	s_delay_alu instid0(VALU_DEP_2) | instskip(NEXT) | instid1(VALU_DEP_2)
	v_pk_mul_f32 v[124:125], v[124:125], v[128:129] op_sel_hi:[1,0]
	v_pk_fma_f32 v[130:131], v[114:115], v[110:111], v[126:127] op_sel_hi:[1,0,1]
	v_pk_fma_f32 v[110:111], v[114:115], v[110:111], v[126:127] neg_lo:[0,0,1] neg_hi:[0,0,1]
	s_wait_loadcnt_dscnt 0x100
	v_pk_mul_f32 v[126:127], v[122:123], v[118:119] op_sel:[1,1] op_sel_hi:[0,1]
	v_pk_fma_f32 v[114:115], v[116:117], v[112:113], v[124:125] op_sel_hi:[1,0,1]
	v_mov_b32_e32 v111, v131
	v_pk_fma_f32 v[112:113], v[116:117], v[112:113], v[124:125] neg_lo:[0,0,1] neg_hi:[0,0,1]
	s_delay_alu instid0(VALU_DEP_4) | instskip(NEXT) | instid1(VALU_DEP_4)
	v_pk_fma_f32 v[116:117], v[122:123], v[118:119], v[126:127] neg_lo:[0,0,1] neg_hi:[0,0,1]
	v_mov_b32_e32 v113, v115
	s_delay_alu instid0(VALU_DEP_4) | instskip(SKIP_1) | instid1(VALU_DEP_2)
	v_pk_add_f32 v[110:111], v[110:111], 0 op_sel_hi:[1,0]
	v_pk_fma_f32 v[114:115], v[122:123], v[118:119], v[126:127] op_sel_hi:[1,0,1]
	v_pk_add_f32 v[110:111], v[110:111], v[112:113]
	s_delay_alu instid0(VALU_DEP_2) | instskip(NEXT) | instid1(VALU_DEP_1)
	v_mov_b32_e32 v117, v115
	v_pk_add_f32 v[110:111], v[110:111], v[116:117]
	s_wait_loadcnt 0x0
	s_delay_alu instid0(VALU_DEP_1)
	v_pk_add_f32 v[110:111], v[120:121], v[110:111] neg_lo:[0,1] neg_hi:[0,1]
	scratch_store_b64 off, v[110:111], off offset:400
	s_wait_xcnt 0x0
	v_cmpx_lt_u32_e32 49, v0
	s_cbranch_execz .LBB117_239
; %bb.238:
	scratch_load_b64 v[110:111], off, off offset:392
	v_mov_b64_e32 v[112:113], 0
	scratch_store_b64 off, v[112:113], off offset:392
	s_wait_loadcnt 0x0
	ds_store_b64 v1, v[110:111]
.LBB117_239:
	s_wait_xcnt 0x0
	s_or_b32 exec_lo, exec_lo, s0
	s_wait_storecnt_dscnt 0x0
	s_barrier_signal -1
	s_barrier_wait -1
	s_clause 0x2
	scratch_load_b128 v[110:113], off, off offset:400
	scratch_load_b128 v[114:117], off, off offset:416
	scratch_load_b64 v[126:127], off, off offset:392
	ds_load_b128 v[118:121], v7 offset:832
	ds_load_b128 v[122:125], v7 offset:848
	s_mov_b32 s0, exec_lo
	s_wait_dscnt 0x1
	v_dual_mov_b32 v128, v121 :: v_dual_mov_b32 v129, v120
	s_wait_loadcnt_dscnt 0x200
	v_dual_mov_b32 v134, v125 :: v_dual_mov_b32 v132, v113
	v_pk_mul_f32 v[130:131], v[118:119], v[110:111] op_sel:[1,1] op_sel_hi:[0,1]
	s_delay_alu instid0(VALU_DEP_2) | instskip(NEXT) | instid1(VALU_DEP_2)
	v_pk_mul_f32 v[128:129], v[128:129], v[132:133] op_sel_hi:[1,0]
	v_pk_fma_f32 v[136:137], v[118:119], v[110:111], v[130:131] op_sel_hi:[1,0,1]
	v_pk_fma_f32 v[110:111], v[118:119], v[110:111], v[130:131] neg_lo:[0,0,1] neg_hi:[0,0,1]
	v_mov_b32_e32 v135, v124
	s_wait_loadcnt 0x1
	v_pk_mul_f32 v[132:133], v[122:123], v[114:115] op_sel:[1,1] op_sel_hi:[0,1]
	v_pk_fma_f32 v[118:119], v[120:121], v[112:113], v[128:129] op_sel_hi:[1,0,1]
	v_dual_mov_b32 v111, v137 :: v_dual_mov_b32 v118, v117
	v_pk_fma_f32 v[112:113], v[120:121], v[112:113], v[128:129] neg_lo:[0,0,1] neg_hi:[0,0,1]
	s_delay_alu instid0(VALU_DEP_4) | instskip(NEXT) | instid1(VALU_DEP_4)
	v_pk_fma_f32 v[130:131], v[122:123], v[114:115], v[132:133] op_sel_hi:[1,0,1]
	v_mov_b32_e32 v113, v119
	s_delay_alu instid0(VALU_DEP_4) | instskip(SKIP_2) | instid1(VALU_DEP_3)
	v_pk_add_f32 v[110:111], v[110:111], 0 op_sel_hi:[1,0]
	v_pk_mul_f32 v[118:119], v[134:135], v[118:119] op_sel_hi:[1,0]
	v_pk_fma_f32 v[114:115], v[122:123], v[114:115], v[132:133] neg_lo:[0,0,1] neg_hi:[0,0,1]
	v_pk_add_f32 v[110:111], v[110:111], v[112:113]
	s_delay_alu instid0(VALU_DEP_3) | instskip(SKIP_2) | instid1(VALU_DEP_3)
	v_pk_fma_f32 v[112:113], v[124:125], v[116:117], v[118:119] op_sel_hi:[1,0,1]
	v_mov_b32_e32 v115, v131
	v_pk_fma_f32 v[116:117], v[124:125], v[116:117], v[118:119] neg_lo:[0,0,1] neg_hi:[0,0,1]
	v_mov_b32_e32 v117, v113
	s_delay_alu instid0(VALU_DEP_3) | instskip(NEXT) | instid1(VALU_DEP_1)
	v_pk_add_f32 v[110:111], v[110:111], v[114:115]
	v_pk_add_f32 v[110:111], v[110:111], v[116:117]
	s_wait_loadcnt 0x0
	s_delay_alu instid0(VALU_DEP_1)
	v_pk_add_f32 v[110:111], v[126:127], v[110:111] neg_lo:[0,1] neg_hi:[0,1]
	scratch_store_b64 off, v[110:111], off offset:392
	s_wait_xcnt 0x0
	v_cmpx_lt_u32_e32 48, v0
	s_cbranch_execz .LBB117_241
; %bb.240:
	scratch_load_b64 v[110:111], off, off offset:384
	v_mov_b64_e32 v[112:113], 0
	scratch_store_b64 off, v[112:113], off offset:384
	s_wait_loadcnt 0x0
	ds_store_b64 v1, v[110:111]
.LBB117_241:
	s_wait_xcnt 0x0
	s_or_b32 exec_lo, exec_lo, s0
	s_wait_storecnt_dscnt 0x0
	s_barrier_signal -1
	s_barrier_wait -1
	s_clause 0x3
	scratch_load_b128 v[110:113], off, off offset:392
	scratch_load_b128 v[114:117], off, off offset:408
	scratch_load_b64 v[126:127], off, off offset:424
	scratch_load_b64 v[128:129], off, off offset:384
	v_mov_b32_e32 v7, 0
	ds_load_2addr_b64 v[118:121], v7 offset0:103 offset1:104
	ds_load_2addr_b64 v[122:125], v7 offset0:105 offset1:106
	s_mov_b32 s0, exec_lo
	s_wait_dscnt 0x1
	v_dual_mov_b32 v130, v121 :: v_dual_mov_b32 v131, v120
	ds_load_b64 v[136:137], v7 offset:856
	s_wait_dscnt 0x1
	v_dual_mov_b32 v138, v125 :: v_dual_mov_b32 v139, v124
	s_wait_loadcnt 0x3
	v_pk_mul_f32 v[132:133], v[118:119], v[110:111] op_sel:[1,1] op_sel_hi:[0,1]
	v_mov_b32_e32 v134, v113
	s_delay_alu instid0(VALU_DEP_2) | instskip(NEXT) | instid1(VALU_DEP_2)
	v_pk_fma_f32 v[140:141], v[118:119], v[110:111], v[132:133] op_sel_hi:[1,0,1]
	v_pk_mul_f32 v[130:131], v[130:131], v[134:135] op_sel_hi:[1,0]
	v_pk_fma_f32 v[110:111], v[118:119], v[110:111], v[132:133] neg_lo:[0,0,1] neg_hi:[0,0,1]
	s_wait_loadcnt 0x2
	v_pk_mul_f32 v[134:135], v[122:123], v[114:115] op_sel:[1,1] op_sel_hi:[0,1]
	v_dual_mov_b32 v140, v117 :: v_dual_mov_b32 v111, v141
	v_pk_fma_f32 v[118:119], v[120:121], v[112:113], v[130:131] op_sel_hi:[1,0,1]
	v_pk_fma_f32 v[112:113], v[120:121], v[112:113], v[130:131] neg_lo:[0,0,1] neg_hi:[0,0,1]
	s_delay_alu instid0(VALU_DEP_4) | instskip(NEXT) | instid1(VALU_DEP_4)
	v_pk_fma_f32 v[132:133], v[122:123], v[114:115], v[134:135] op_sel_hi:[1,0,1]
	v_pk_mul_f32 v[138:139], v[138:139], v[140:141] op_sel_hi:[1,0]
	v_pk_add_f32 v[110:111], v[110:111], 0 op_sel_hi:[1,0]
	v_mov_b32_e32 v113, v119
	v_pk_fma_f32 v[114:115], v[122:123], v[114:115], v[134:135] neg_lo:[0,0,1] neg_hi:[0,0,1]
	v_mov_b32_e32 v115, v133
	v_pk_fma_f32 v[118:119], v[124:125], v[116:117], v[138:139] op_sel_hi:[1,0,1]
	v_pk_fma_f32 v[116:117], v[124:125], v[116:117], v[138:139] neg_lo:[0,0,1] neg_hi:[0,0,1]
	v_pk_add_f32 v[110:111], v[110:111], v[112:113]
	s_wait_loadcnt_dscnt 0x100
	v_pk_mul_f32 v[112:113], v[136:137], v[126:127] op_sel:[1,1] op_sel_hi:[0,1]
	s_delay_alu instid0(VALU_DEP_2) | instskip(NEXT) | instid1(VALU_DEP_2)
	v_pk_add_f32 v[110:111], v[110:111], v[114:115]
	v_pk_fma_f32 v[114:115], v[136:137], v[126:127], v[112:113] op_sel_hi:[1,0,1]
	v_mov_b32_e32 v117, v119
	v_pk_fma_f32 v[112:113], v[136:137], v[126:127], v[112:113] neg_lo:[0,0,1] neg_hi:[0,0,1]
	s_delay_alu instid0(VALU_DEP_3) | instskip(NEXT) | instid1(VALU_DEP_3)
	v_mov_b32_e32 v113, v115
	v_pk_add_f32 v[110:111], v[110:111], v[116:117]
	s_delay_alu instid0(VALU_DEP_1) | instskip(SKIP_1) | instid1(VALU_DEP_1)
	v_pk_add_f32 v[110:111], v[110:111], v[112:113]
	s_wait_loadcnt 0x0
	v_pk_add_f32 v[110:111], v[128:129], v[110:111] neg_lo:[0,1] neg_hi:[0,1]
	scratch_store_b64 off, v[110:111], off offset:384
	s_wait_xcnt 0x0
	v_cmpx_lt_u32_e32 47, v0
	s_cbranch_execz .LBB117_243
; %bb.242:
	scratch_load_b64 v[110:111], off, off offset:376
	v_mov_b64_e32 v[112:113], 0
	scratch_store_b64 off, v[112:113], off offset:376
	s_wait_loadcnt 0x0
	ds_store_b64 v1, v[110:111]
.LBB117_243:
	s_wait_xcnt 0x0
	s_or_b32 exec_lo, exec_lo, s0
	s_wait_storecnt_dscnt 0x0
	s_barrier_signal -1
	s_barrier_wait -1
	s_clause 0x3
	scratch_load_b128 v[110:113], off, off offset:384
	scratch_load_b128 v[114:117], off, off offset:400
	;; [unrolled: 1-line block ×3, first 2 shown]
	scratch_load_b64 v[134:135], off, off offset:376
	ds_load_b128 v[122:125], v7 offset:816
	ds_load_b128 v[126:129], v7 offset:832
	;; [unrolled: 1-line block ×3, first 2 shown]
	s_mov_b32 s0, exec_lo
	s_wait_dscnt 0x2
	v_dual_mov_b32 v136, v125 :: v_dual_mov_b32 v137, v124
	s_wait_dscnt 0x1
	v_dual_mov_b32 v138, v129 :: v_dual_mov_b32 v139, v128
	;; [unrolled: 2-line block ×3, first 2 shown]
	s_wait_loadcnt 0x3
	v_pk_mul_f32 v[140:141], v[122:123], v[110:111] op_sel:[1,1] op_sel_hi:[0,1]
	v_mov_b32_e32 v142, v113
	s_delay_alu instid0(VALU_DEP_2) | instskip(NEXT) | instid1(VALU_DEP_2)
	v_pk_fma_f32 v[146:147], v[122:123], v[110:111], v[140:141] op_sel_hi:[1,0,1]
	v_pk_mul_f32 v[136:137], v[136:137], v[142:143] op_sel_hi:[1,0]
	v_pk_fma_f32 v[110:111], v[122:123], v[110:111], v[140:141] neg_lo:[0,0,1] neg_hi:[0,0,1]
	s_wait_loadcnt 0x2
	v_pk_mul_f32 v[142:143], v[126:127], v[114:115] op_sel:[1,1] op_sel_hi:[0,1]
	v_mov_b32_e32 v146, v117
	v_pk_fma_f32 v[122:123], v[124:125], v[112:113], v[136:137] op_sel_hi:[1,0,1]
	v_mov_b32_e32 v111, v147
	v_pk_fma_f32 v[112:113], v[124:125], v[112:113], v[136:137] neg_lo:[0,0,1] neg_hi:[0,0,1]
	v_pk_fma_f32 v[140:141], v[126:127], v[114:115], v[142:143] op_sel_hi:[1,0,1]
	v_pk_mul_f32 v[138:139], v[138:139], v[146:147] op_sel_hi:[1,0]
	v_mov_b32_e32 v113, v123
	v_pk_add_f32 v[110:111], v[110:111], 0 op_sel_hi:[1,0]
	v_pk_fma_f32 v[114:115], v[126:127], v[114:115], v[142:143] neg_lo:[0,0,1] neg_hi:[0,0,1]
	s_wait_loadcnt 0x1
	v_pk_mul_f32 v[122:123], v[130:131], v[118:119] op_sel:[1,1] op_sel_hi:[0,1]
	v_mov_b32_e32 v115, v141
	v_pk_fma_f32 v[124:125], v[128:129], v[116:117], v[138:139] op_sel_hi:[1,0,1]
	v_pk_add_f32 v[110:111], v[110:111], v[112:113]
	v_mov_b32_e32 v112, v121
	v_pk_fma_f32 v[116:117], v[128:129], v[116:117], v[138:139] neg_lo:[0,0,1] neg_hi:[0,0,1]
	v_pk_fma_f32 v[126:127], v[130:131], v[118:119], v[122:123] op_sel_hi:[1,0,1]
	v_mov_b32_e32 v117, v125
	v_pk_add_f32 v[110:111], v[110:111], v[114:115]
	v_pk_mul_f32 v[112:113], v[144:145], v[112:113] op_sel_hi:[1,0]
	v_pk_fma_f32 v[114:115], v[130:131], v[118:119], v[122:123] neg_lo:[0,0,1] neg_hi:[0,0,1]
	v_mov_b32_e32 v115, v127
	s_delay_alu instid0(VALU_DEP_4) | instskip(NEXT) | instid1(VALU_DEP_4)
	v_pk_add_f32 v[110:111], v[110:111], v[116:117]
	v_pk_fma_f32 v[116:117], v[132:133], v[120:121], v[112:113] op_sel_hi:[1,0,1]
	v_pk_fma_f32 v[112:113], v[132:133], v[120:121], v[112:113] neg_lo:[0,0,1] neg_hi:[0,0,1]
	s_delay_alu instid0(VALU_DEP_3) | instskip(NEXT) | instid1(VALU_DEP_3)
	v_pk_add_f32 v[110:111], v[110:111], v[114:115]
	v_mov_b32_e32 v113, v117
	s_delay_alu instid0(VALU_DEP_1) | instskip(SKIP_1) | instid1(VALU_DEP_1)
	v_pk_add_f32 v[110:111], v[110:111], v[112:113]
	s_wait_loadcnt 0x0
	v_pk_add_f32 v[110:111], v[134:135], v[110:111] neg_lo:[0,1] neg_hi:[0,1]
	scratch_store_b64 off, v[110:111], off offset:376
	s_wait_xcnt 0x0
	v_cmpx_lt_u32_e32 46, v0
	s_cbranch_execz .LBB117_245
; %bb.244:
	scratch_load_b64 v[110:111], off, off offset:368
	v_mov_b64_e32 v[112:113], 0
	scratch_store_b64 off, v[112:113], off offset:368
	s_wait_loadcnt 0x0
	ds_store_b64 v1, v[110:111]
.LBB117_245:
	s_wait_xcnt 0x0
	s_or_b32 exec_lo, exec_lo, s0
	s_wait_storecnt_dscnt 0x0
	s_barrier_signal -1
	s_barrier_wait -1
	s_clause 0x4
	scratch_load_b128 v[110:113], off, off offset:376
	scratch_load_b128 v[114:117], off, off offset:392
	;; [unrolled: 1-line block ×3, first 2 shown]
	scratch_load_b64 v[134:135], off, off offset:424
	scratch_load_b64 v[136:137], off, off offset:368
	v_mov_b32_e32 v7, 0
	ds_load_2addr_b64 v[122:125], v7 offset0:101 offset1:102
	ds_load_2addr_b64 v[126:129], v7 offset0:103 offset1:104
	;; [unrolled: 1-line block ×3, first 2 shown]
	ds_load_b64 v[138:139], v7 offset:856
	s_mov_b32 s0, exec_lo
	s_wait_dscnt 0x3
	v_dual_mov_b32 v140, v125 :: v_dual_mov_b32 v141, v124
	s_wait_dscnt 0x2
	v_dual_mov_b32 v142, v129 :: v_dual_mov_b32 v143, v128
	;; [unrolled: 2-line block ×3, first 2 shown]
	s_wait_loadcnt 0x4
	v_pk_mul_f32 v[144:145], v[122:123], v[110:111] op_sel:[1,1] op_sel_hi:[0,1]
	v_mov_b32_e32 v146, v113
	s_wait_loadcnt 0x3
	v_pk_mul_f32 v[150:151], v[126:127], v[114:115] op_sel:[1,1] op_sel_hi:[0,1]
	s_wait_loadcnt 0x2
	v_pk_mul_f32 v[154:155], v[130:131], v[118:119] op_sel:[1,1] op_sel_hi:[0,1]
	v_pk_fma_f32 v[152:153], v[122:123], v[110:111], v[144:145] op_sel_hi:[1,0,1]
	v_pk_mul_f32 v[140:141], v[140:141], v[146:147] op_sel_hi:[1,0]
	v_pk_fma_f32 v[110:111], v[122:123], v[110:111], v[144:145] neg_lo:[0,0,1] neg_hi:[0,0,1]
	v_mov_b32_e32 v146, v117
	v_pk_fma_f32 v[144:145], v[126:127], v[114:115], v[150:151] op_sel_hi:[1,0,1]
	v_mov_b32_e32 v111, v153
	v_pk_fma_f32 v[122:123], v[124:125], v[112:113], v[140:141] op_sel_hi:[1,0,1]
	v_pk_fma_f32 v[112:113], v[124:125], v[112:113], v[140:141] neg_lo:[0,0,1] neg_hi:[0,0,1]
	v_pk_mul_f32 v[142:143], v[142:143], v[146:147] op_sel_hi:[1,0]
	v_pk_fma_f32 v[114:115], v[126:127], v[114:115], v[150:151] neg_lo:[0,0,1] neg_hi:[0,0,1]
	v_pk_add_f32 v[110:111], v[110:111], 0 op_sel_hi:[1,0]
	v_dual_mov_b32 v113, v123 :: v_dual_mov_b32 v122, v121
	s_delay_alu instid0(VALU_DEP_4) | instskip(SKIP_2) | instid1(VALU_DEP_4)
	v_pk_fma_f32 v[124:125], v[128:129], v[116:117], v[142:143] op_sel_hi:[1,0,1]
	v_mov_b32_e32 v115, v145
	v_pk_fma_f32 v[116:117], v[128:129], v[116:117], v[142:143] neg_lo:[0,0,1] neg_hi:[0,0,1]
	v_pk_add_f32 v[110:111], v[110:111], v[112:113]
	v_pk_fma_f32 v[112:113], v[130:131], v[118:119], v[154:155] op_sel_hi:[1,0,1]
	v_pk_mul_f32 v[122:123], v[148:149], v[122:123] op_sel_hi:[1,0]
	v_mov_b32_e32 v117, v125
	s_delay_alu instid0(VALU_DEP_4)
	v_pk_add_f32 v[110:111], v[110:111], v[114:115]
	v_pk_fma_f32 v[114:115], v[130:131], v[118:119], v[154:155] neg_lo:[0,0,1] neg_hi:[0,0,1]
	v_mov_b32_e32 v115, v113
	v_pk_fma_f32 v[112:113], v[132:133], v[120:121], v[122:123] op_sel_hi:[1,0,1]
	v_pk_fma_f32 v[118:119], v[132:133], v[120:121], v[122:123] neg_lo:[0,0,1] neg_hi:[0,0,1]
	v_pk_add_f32 v[110:111], v[110:111], v[116:117]
	s_wait_loadcnt_dscnt 0x100
	v_pk_mul_f32 v[116:117], v[138:139], v[134:135] op_sel:[1,1] op_sel_hi:[0,1]
	v_mov_b32_e32 v119, v113
	s_delay_alu instid0(VALU_DEP_3) | instskip(NEXT) | instid1(VALU_DEP_3)
	v_pk_add_f32 v[110:111], v[110:111], v[114:115]
	v_pk_fma_f32 v[112:113], v[138:139], v[134:135], v[116:117] op_sel_hi:[1,0,1]
	v_pk_fma_f32 v[114:115], v[138:139], v[134:135], v[116:117] neg_lo:[0,0,1] neg_hi:[0,0,1]
	s_delay_alu instid0(VALU_DEP_3) | instskip(NEXT) | instid1(VALU_DEP_3)
	v_pk_add_f32 v[110:111], v[110:111], v[118:119]
	v_mov_b32_e32 v115, v113
	s_delay_alu instid0(VALU_DEP_1) | instskip(SKIP_1) | instid1(VALU_DEP_1)
	v_pk_add_f32 v[110:111], v[110:111], v[114:115]
	s_wait_loadcnt 0x0
	v_pk_add_f32 v[110:111], v[136:137], v[110:111] neg_lo:[0,1] neg_hi:[0,1]
	scratch_store_b64 off, v[110:111], off offset:368
	s_wait_xcnt 0x0
	v_cmpx_lt_u32_e32 45, v0
	s_cbranch_execz .LBB117_247
; %bb.246:
	scratch_load_b64 v[110:111], off, off offset:360
	v_mov_b64_e32 v[112:113], 0
	scratch_store_b64 off, v[112:113], off offset:360
	s_wait_loadcnt 0x0
	ds_store_b64 v1, v[110:111]
.LBB117_247:
	s_wait_xcnt 0x0
	s_or_b32 exec_lo, exec_lo, s0
	s_wait_storecnt_dscnt 0x0
	s_barrier_signal -1
	s_barrier_wait -1
	s_clause 0x4
	scratch_load_b128 v[110:113], off, off offset:368
	scratch_load_b128 v[114:117], off, off offset:384
	scratch_load_b128 v[118:121], off, off offset:400
	scratch_load_b128 v[122:125], off, off offset:416
	scratch_load_b64 v[142:143], off, off offset:360
	ds_load_b128 v[126:129], v7 offset:800
	ds_load_b128 v[130:133], v7 offset:816
	;; [unrolled: 1-line block ×4, first 2 shown]
	s_mov_b32 s0, exec_lo
	s_wait_dscnt 0x3
	v_dual_mov_b32 v144, v129 :: v_dual_mov_b32 v145, v128
	s_wait_dscnt 0x2
	v_dual_mov_b32 v146, v133 :: v_dual_mov_b32 v147, v132
	;; [unrolled: 2-line block ×3, first 2 shown]
	v_dual_mov_b32 v149, v136 :: v_dual_mov_b32 v154, v141
	s_wait_loadcnt 0x4
	v_mov_b32_e32 v152, v113
	v_pk_mul_f32 v[150:151], v[126:127], v[110:111] op_sel:[1,1] op_sel_hi:[0,1]
	s_wait_loadcnt 0x3
	v_pk_mul_f32 v[156:157], v[130:131], v[114:115] op_sel:[1,1] op_sel_hi:[0,1]
	s_wait_loadcnt 0x2
	v_pk_mul_f32 v[160:161], v[134:135], v[118:119] op_sel:[1,1] op_sel_hi:[0,1]
	v_pk_mul_f32 v[144:145], v[144:145], v[152:153] op_sel_hi:[1,0]
	v_pk_fma_f32 v[158:159], v[126:127], v[110:111], v[150:151] op_sel_hi:[1,0,1]
	v_pk_fma_f32 v[110:111], v[126:127], v[110:111], v[150:151] neg_lo:[0,0,1] neg_hi:[0,0,1]
	v_mov_b32_e32 v152, v117
	v_pk_fma_f32 v[150:151], v[130:131], v[114:115], v[156:157] op_sel_hi:[1,0,1]
	v_pk_fma_f32 v[126:127], v[128:129], v[112:113], v[144:145] op_sel_hi:[1,0,1]
	v_mov_b32_e32 v111, v159
	v_pk_fma_f32 v[112:113], v[128:129], v[112:113], v[144:145] neg_lo:[0,0,1] neg_hi:[0,0,1]
	v_pk_mul_f32 v[146:147], v[146:147], v[152:153] op_sel_hi:[1,0]
	s_delay_alu instid0(VALU_DEP_4) | instskip(NEXT) | instid1(VALU_DEP_4)
	v_dual_mov_b32 v126, v121 :: v_dual_mov_b32 v113, v127
	v_pk_add_f32 v[110:111], v[110:111], 0 op_sel_hi:[1,0]
	v_pk_fma_f32 v[114:115], v[130:131], v[114:115], v[156:157] neg_lo:[0,0,1] neg_hi:[0,0,1]
	v_mov_b32_e32 v115, v151
	v_pk_fma_f32 v[128:129], v[132:133], v[116:117], v[146:147] op_sel_hi:[1,0,1]
	v_pk_mul_f32 v[126:127], v[148:149], v[126:127] op_sel_hi:[1,0]
	v_pk_add_f32 v[110:111], v[110:111], v[112:113]
	v_pk_fma_f32 v[112:113], v[134:135], v[118:119], v[160:161] op_sel_hi:[1,0,1]
	v_pk_fma_f32 v[116:117], v[132:133], v[116:117], v[146:147] neg_lo:[0,0,1] neg_hi:[0,0,1]
	v_mov_b32_e32 v117, v129
	v_pk_fma_f32 v[118:119], v[134:135], v[118:119], v[160:161] neg_lo:[0,0,1] neg_hi:[0,0,1]
	v_pk_add_f32 v[110:111], v[110:111], v[114:115]
	v_mov_b32_e32 v119, v113
	v_pk_fma_f32 v[112:113], v[136:137], v[120:121], v[126:127] op_sel_hi:[1,0,1]
	s_wait_loadcnt 0x1
	v_pk_mul_f32 v[114:115], v[138:139], v[122:123] op_sel:[1,1] op_sel_hi:[0,1]
	v_mov_b32_e32 v112, v125
	v_pk_add_f32 v[110:111], v[110:111], v[116:117]
	v_pk_fma_f32 v[120:121], v[136:137], v[120:121], v[126:127] neg_lo:[0,0,1] neg_hi:[0,0,1]
	v_mov_b32_e32 v121, v113
	v_pk_fma_f32 v[116:117], v[138:139], v[122:123], v[114:115] op_sel_hi:[1,0,1]
	v_pk_mul_f32 v[112:113], v[154:155], v[112:113] op_sel_hi:[1,0]
	v_pk_add_f32 v[110:111], v[110:111], v[118:119]
	v_pk_fma_f32 v[114:115], v[138:139], v[122:123], v[114:115] neg_lo:[0,0,1] neg_hi:[0,0,1]
	s_delay_alu instid0(VALU_DEP_4) | instskip(NEXT) | instid1(VALU_DEP_4)
	v_mov_b32_e32 v115, v117
	v_pk_fma_f32 v[116:117], v[140:141], v[124:125], v[112:113] op_sel_hi:[1,0,1]
	s_delay_alu instid0(VALU_DEP_4) | instskip(SKIP_1) | instid1(VALU_DEP_3)
	v_pk_add_f32 v[110:111], v[110:111], v[120:121]
	v_pk_fma_f32 v[112:113], v[140:141], v[124:125], v[112:113] neg_lo:[0,0,1] neg_hi:[0,0,1]
	v_mov_b32_e32 v113, v117
	s_delay_alu instid0(VALU_DEP_3) | instskip(NEXT) | instid1(VALU_DEP_1)
	v_pk_add_f32 v[110:111], v[110:111], v[114:115]
	v_pk_add_f32 v[110:111], v[110:111], v[112:113]
	s_wait_loadcnt 0x0
	s_delay_alu instid0(VALU_DEP_1)
	v_pk_add_f32 v[110:111], v[142:143], v[110:111] neg_lo:[0,1] neg_hi:[0,1]
	scratch_store_b64 off, v[110:111], off offset:360
	s_wait_xcnt 0x0
	v_cmpx_lt_u32_e32 44, v0
	s_cbranch_execz .LBB117_249
; %bb.248:
	scratch_load_b64 v[110:111], off, off offset:352
	v_mov_b64_e32 v[112:113], 0
	scratch_store_b64 off, v[112:113], off offset:352
	s_wait_loadcnt 0x0
	ds_store_b64 v1, v[110:111]
.LBB117_249:
	s_wait_xcnt 0x0
	s_or_b32 exec_lo, exec_lo, s0
	s_wait_storecnt_dscnt 0x0
	s_barrier_signal -1
	s_barrier_wait -1
	s_clause 0x5
	scratch_load_b128 v[110:113], off, off offset:360
	scratch_load_b128 v[114:117], off, off offset:376
	;; [unrolled: 1-line block ×4, first 2 shown]
	scratch_load_b64 v[142:143], off, off offset:424
	scratch_load_b64 v[144:145], off, off offset:352
	v_mov_b32_e32 v7, 0
	ds_load_2addr_b64 v[126:129], v7 offset0:99 offset1:100
	ds_load_2addr_b64 v[130:133], v7 offset0:101 offset1:102
	;; [unrolled: 1-line block ×4, first 2 shown]
	ds_load_b64 v[146:147], v7 offset:856
	s_mov_b32 s0, exec_lo
	s_wait_dscnt 0x4
	v_dual_mov_b32 v148, v129 :: v_dual_mov_b32 v149, v128
	s_wait_dscnt 0x1
	v_dual_mov_b32 v150, v133 :: v_dual_mov_b32 v155, v140
	v_dual_mov_b32 v151, v132 :: v_dual_mov_b32 v152, v137
	;; [unrolled: 1-line block ×3, first 2 shown]
	s_wait_loadcnt 0x5
	v_dual_mov_b32 v156, v113 :: v_dual_mul_f32 v157, v126, v111
	v_mul_f32_e32 v9, v127, v111
	s_wait_loadcnt 0x4
	v_pk_mul_f32 v[158:159], v[130:131], v[114:115] op_sel:[1,1] op_sel_hi:[0,1]
	v_mov_b32_e32 v160, v117
	s_wait_loadcnt 0x3
	v_pk_mul_f32 v[162:163], v[134:135], v[118:119] op_sel:[1,1] op_sel_hi:[0,1]
	v_pk_mul_f32 v[148:149], v[148:149], v[156:157] op_sel_hi:[1,0]
	v_fmac_f32_e32 v157, v127, v110
	v_dual_fma_f32 v156, v126, v110, -v9 :: v_dual_mov_b32 v110, v121
	v_pk_fma_f32 v[164:165], v[130:131], v[114:115], v[158:159] op_sel_hi:[1,0,1]
	s_delay_alu instid0(VALU_DEP_4)
	v_pk_fma_f32 v[126:127], v[128:129], v[112:113], v[148:149] op_sel_hi:[1,0,1]
	v_pk_fma_f32 v[112:113], v[128:129], v[112:113], v[148:149] neg_lo:[0,0,1] neg_hi:[0,0,1]
	v_pk_mul_f32 v[150:151], v[150:151], v[160:161] op_sel_hi:[1,0]
	v_pk_add_f32 v[156:157], v[156:157], 0 op_sel_hi:[1,0]
	v_pk_fma_f32 v[114:115], v[130:131], v[114:115], v[158:159] neg_lo:[0,0,1] neg_hi:[0,0,1]
	v_dual_mov_b32 v113, v127 :: v_dual_mov_b32 v115, v165
	s_delay_alu instid0(VALU_DEP_4) | instskip(SKIP_2) | instid1(VALU_DEP_4)
	v_pk_fma_f32 v[128:129], v[132:133], v[116:117], v[150:151] op_sel_hi:[1,0,1]
	v_pk_fma_f32 v[116:117], v[132:133], v[116:117], v[150:151] neg_lo:[0,0,1] neg_hi:[0,0,1]
	v_pk_fma_f32 v[130:131], v[134:135], v[118:119], v[162:163] op_sel_hi:[1,0,1]
	v_pk_add_f32 v[112:113], v[156:157], v[112:113]
	v_pk_mul_f32 v[110:111], v[152:153], v[110:111] op_sel_hi:[1,0]
	v_mov_b32_e32 v117, v129
	v_pk_fma_f32 v[118:119], v[134:135], v[118:119], v[162:163] neg_lo:[0,0,1] neg_hi:[0,0,1]
	s_wait_loadcnt 0x2
	v_pk_mul_f32 v[126:127], v[138:139], v[122:123] op_sel:[1,1] op_sel_hi:[0,1]
	v_pk_add_f32 v[112:113], v[112:113], v[114:115]
	v_mov_b32_e32 v114, v125
	v_pk_fma_f32 v[128:129], v[136:137], v[120:121], v[110:111] op_sel_hi:[1,0,1]
	v_mov_b32_e32 v119, v131
	v_pk_fma_f32 v[110:111], v[136:137], v[120:121], v[110:111] neg_lo:[0,0,1] neg_hi:[0,0,1]
	v_pk_add_f32 v[112:113], v[112:113], v[116:117]
	v_pk_fma_f32 v[116:117], v[138:139], v[122:123], v[126:127] op_sel_hi:[1,0,1]
	v_pk_mul_f32 v[114:115], v[154:155], v[114:115] op_sel_hi:[1,0]
	v_mov_b32_e32 v111, v129
	s_delay_alu instid0(VALU_DEP_4)
	v_pk_add_f32 v[112:113], v[112:113], v[118:119]
	v_pk_fma_f32 v[118:119], v[138:139], v[122:123], v[126:127] neg_lo:[0,0,1] neg_hi:[0,0,1]
	v_mov_b32_e32 v119, v117
	v_pk_fma_f32 v[116:117], v[140:141], v[124:125], v[114:115] op_sel_hi:[1,0,1]
	v_pk_fma_f32 v[114:115], v[140:141], v[124:125], v[114:115] neg_lo:[0,0,1] neg_hi:[0,0,1]
	v_pk_add_f32 v[110:111], v[112:113], v[110:111]
	s_wait_loadcnt_dscnt 0x100
	v_pk_mul_f32 v[112:113], v[146:147], v[142:143] op_sel:[1,1] op_sel_hi:[0,1]
	v_mov_b32_e32 v115, v117
	s_delay_alu instid0(VALU_DEP_3) | instskip(NEXT) | instid1(VALU_DEP_3)
	v_pk_add_f32 v[110:111], v[110:111], v[118:119]
	v_pk_fma_f32 v[116:117], v[146:147], v[142:143], v[112:113] op_sel_hi:[1,0,1]
	v_pk_fma_f32 v[112:113], v[146:147], v[142:143], v[112:113] neg_lo:[0,0,1] neg_hi:[0,0,1]
	s_delay_alu instid0(VALU_DEP_3) | instskip(NEXT) | instid1(VALU_DEP_3)
	v_pk_add_f32 v[110:111], v[110:111], v[114:115]
	v_mov_b32_e32 v113, v117
	s_delay_alu instid0(VALU_DEP_1) | instskip(SKIP_1) | instid1(VALU_DEP_1)
	v_pk_add_f32 v[110:111], v[110:111], v[112:113]
	s_wait_loadcnt 0x0
	v_pk_add_f32 v[110:111], v[144:145], v[110:111] neg_lo:[0,1] neg_hi:[0,1]
	scratch_store_b64 off, v[110:111], off offset:352
	s_wait_xcnt 0x0
	v_cmpx_lt_u32_e32 43, v0
	s_cbranch_execz .LBB117_251
; %bb.250:
	scratch_load_b64 v[110:111], off, off offset:344
	v_mov_b64_e32 v[112:113], 0
	scratch_store_b64 off, v[112:113], off offset:344
	s_wait_loadcnt 0x0
	ds_store_b64 v1, v[110:111]
.LBB117_251:
	s_wait_xcnt 0x0
	s_or_b32 exec_lo, exec_lo, s0
	s_wait_storecnt_dscnt 0x0
	s_barrier_signal -1
	s_barrier_wait -1
	s_clause 0x5
	scratch_load_b128 v[110:113], off, off offset:352
	scratch_load_b128 v[114:117], off, off offset:368
	;; [unrolled: 1-line block ×5, first 2 shown]
	scratch_load_b64 v[150:151], off, off offset:344
	ds_load_b128 v[130:133], v7 offset:800
	ds_load_b128 v[134:137], v7 offset:816
	;; [unrolled: 1-line block ×5, first 2 shown]
	s_mov_b32 s0, exec_lo
	s_wait_dscnt 0x4
	v_dual_mov_b32 v152, v133 :: v_dual_mov_b32 v153, v132
	s_wait_dscnt 0x3
	v_dual_mov_b32 v154, v137 :: v_dual_mov_b32 v155, v136
	;; [unrolled: 2-line block ×4, first 2 shown]
	s_wait_loadcnt_dscnt 0x500
	v_dual_mul_f32 v161, v146, v111 :: v_dual_mul_f32 v163, v148, v113
	v_dual_mul_f32 v7, v147, v111 :: v_dual_mul_f32 v9, v149, v113
	s_wait_loadcnt 0x4
	v_pk_mul_f32 v[164:165], v[130:131], v[114:115] op_sel:[1,1] op_sel_hi:[0,1]
	s_wait_loadcnt 0x3
	v_dual_mov_b32 v166, v117 :: v_dual_mov_b32 v170, v121
	v_dual_fmac_f32 v161, v147, v110 :: v_dual_fma_f32 v160, v146, v110, -v7
	v_dual_fmac_f32 v163, v149, v112 :: v_dual_fma_f32 v162, v148, v112, -v9
	v_pk_fma_f32 v[110:111], v[130:131], v[114:115], v[164:165] op_sel_hi:[1,0,1]
	s_delay_alu instid0(VALU_DEP_4) | instskip(NEXT) | instid1(VALU_DEP_4)
	v_pk_mul_f32 v[112:113], v[152:153], v[166:167] op_sel_hi:[1,0]
	v_pk_add_f32 v[146:147], v[160:161], 0 op_sel_hi:[1,0]
	v_pk_fma_f32 v[114:115], v[130:131], v[114:115], v[164:165] neg_lo:[0,0,1] neg_hi:[0,0,1]
	v_pk_mul_f32 v[168:169], v[134:135], v[118:119] op_sel:[1,1] op_sel_hi:[0,1]
	v_mov_b32_e32 v115, v111
	v_pk_fma_f32 v[110:111], v[132:133], v[116:117], v[112:113] op_sel_hi:[1,0,1]
	v_pk_add_f32 v[130:131], v[146:147], v[162:163]
	v_pk_fma_f32 v[112:113], v[132:133], v[116:117], v[112:113] neg_lo:[0,0,1] neg_hi:[0,0,1]
	v_pk_fma_f32 v[146:147], v[134:135], v[118:119], v[168:169] op_sel_hi:[1,0,1]
	v_pk_mul_f32 v[152:153], v[154:155], v[170:171] op_sel_hi:[1,0]
	v_mov_b32_e32 v113, v111
	v_pk_add_f32 v[110:111], v[130:131], v[114:115]
	s_wait_loadcnt 0x2
	v_pk_mul_f32 v[148:149], v[138:139], v[122:123] op_sel:[1,1] op_sel_hi:[0,1]
	v_mov_b32_e32 v114, v125
	v_pk_fma_f32 v[116:117], v[134:135], v[118:119], v[168:169] neg_lo:[0,0,1] neg_hi:[0,0,1]
	v_mov_b32_e32 v117, v147
	v_pk_fma_f32 v[118:119], v[136:137], v[120:121], v[152:153] op_sel_hi:[1,0,1]
	v_pk_add_f32 v[110:111], v[110:111], v[112:113]
	v_pk_fma_f32 v[112:113], v[138:139], v[122:123], v[148:149] op_sel_hi:[1,0,1]
	v_pk_mul_f32 v[114:115], v[156:157], v[114:115] op_sel_hi:[1,0]
	v_pk_fma_f32 v[120:121], v[136:137], v[120:121], v[152:153] neg_lo:[0,0,1] neg_hi:[0,0,1]
	v_mov_b32_e32 v121, v119
	v_pk_add_f32 v[110:111], v[110:111], v[116:117]
	v_pk_fma_f32 v[118:119], v[138:139], v[122:123], v[148:149] neg_lo:[0,0,1] neg_hi:[0,0,1]
	v_mov_b32_e32 v119, v113
	v_pk_fma_f32 v[112:113], v[140:141], v[124:125], v[114:115] op_sel_hi:[1,0,1]
	s_wait_loadcnt 0x1
	v_pk_mul_f32 v[116:117], v[142:143], v[126:127] op_sel:[1,1] op_sel_hi:[0,1]
	v_pk_add_f32 v[110:111], v[110:111], v[120:121]
	v_mov_b32_e32 v112, v129
	v_pk_fma_f32 v[114:115], v[140:141], v[124:125], v[114:115] neg_lo:[0,0,1] neg_hi:[0,0,1]
	v_mov_b32_e32 v115, v113
	v_pk_fma_f32 v[120:121], v[142:143], v[126:127], v[116:117] op_sel_hi:[1,0,1]
	v_pk_add_f32 v[110:111], v[110:111], v[118:119]
	v_pk_mul_f32 v[112:113], v[158:159], v[112:113] op_sel_hi:[1,0]
	v_pk_fma_f32 v[116:117], v[142:143], v[126:127], v[116:117] neg_lo:[0,0,1] neg_hi:[0,0,1]
	s_delay_alu instid0(VALU_DEP_3) | instskip(NEXT) | instid1(VALU_DEP_3)
	v_pk_add_f32 v[110:111], v[110:111], v[114:115]
	v_pk_fma_f32 v[114:115], v[144:145], v[128:129], v[112:113] op_sel_hi:[1,0,1]
	v_mov_b32_e32 v117, v121
	v_pk_fma_f32 v[112:113], v[144:145], v[128:129], v[112:113] neg_lo:[0,0,1] neg_hi:[0,0,1]
	s_delay_alu instid0(VALU_DEP_3) | instskip(NEXT) | instid1(VALU_DEP_3)
	v_mov_b32_e32 v113, v115
	v_pk_add_f32 v[110:111], v[110:111], v[116:117]
	s_delay_alu instid0(VALU_DEP_1) | instskip(SKIP_1) | instid1(VALU_DEP_1)
	v_pk_add_f32 v[110:111], v[110:111], v[112:113]
	s_wait_loadcnt 0x0
	v_pk_add_f32 v[110:111], v[150:151], v[110:111] neg_lo:[0,1] neg_hi:[0,1]
	scratch_store_b64 off, v[110:111], off offset:344
	s_wait_xcnt 0x0
	v_cmpx_lt_u32_e32 42, v0
	s_cbranch_execz .LBB117_253
; %bb.252:
	scratch_load_b64 v[110:111], off, off offset:336
	v_mov_b64_e32 v[112:113], 0
	scratch_store_b64 off, v[112:113], off offset:336
	s_wait_loadcnt 0x0
	ds_store_b64 v1, v[110:111]
.LBB117_253:
	s_wait_xcnt 0x0
	s_or_b32 exec_lo, exec_lo, s0
	s_wait_storecnt_dscnt 0x0
	s_barrier_signal -1
	s_barrier_wait -1
	s_clause 0x6
	scratch_load_b128 v[110:113], off, off offset:344
	scratch_load_b128 v[114:117], off, off offset:360
	;; [unrolled: 1-line block ×5, first 2 shown]
	scratch_load_b64 v[150:151], off, off offset:424
	scratch_load_b64 v[152:153], off, off offset:336
	v_mov_b32_e32 v7, 0
	ds_load_2addr_b64 v[130:133], v7 offset0:99 offset1:100
	ds_load_2addr_b64 v[134:137], v7 offset0:101 offset1:102
	;; [unrolled: 1-line block ×5, first 2 shown]
	ds_load_b64 v[154:155], v7 offset:856
	s_mov_b32 s0, exec_lo
	s_wait_dscnt 0x5
	v_dual_mov_b32 v156, v133 :: v_dual_mov_b32 v157, v132
	s_wait_dscnt 0x2
	v_dual_mov_b32 v158, v137 :: v_dual_mov_b32 v163, v144
	v_dual_mov_b32 v159, v136 :: v_dual_mov_b32 v160, v141
	;; [unrolled: 1-line block ×3, first 2 shown]
	s_wait_loadcnt_dscnt 0x601
	v_dual_mul_f32 v9, v146, v111 :: v_dual_mul_f32 v11, v147, v111
	v_dual_mul_f32 v13, v149, v113 :: v_dual_mul_f32 v165, v148, v113
	s_wait_loadcnt 0x5
	v_dual_mul_f32 v167, v130, v115 :: v_dual_mul_f32 v15, v131, v115
	s_wait_loadcnt 0x4
	v_dual_mov_b32 v166, v117 :: v_dual_mov_b32 v170, v121
	v_dual_fmac_f32 v9, v147, v110 :: v_dual_fma_f32 v11, v146, v110, -v11
	v_fmac_f32_e32 v165, v149, v112
	v_pk_mul_f32 v[168:169], v[134:135], v[118:119] op_sel:[1,1] op_sel_hi:[0,1]
	s_delay_alu instid0(VALU_DEP_3)
	v_dual_fma_f32 v164, v148, v112, -v13 :: v_dual_add_f32 v113, 0, v9
	v_pk_mul_f32 v[110:111], v[156:157], v[166:167] op_sel_hi:[1,0]
	s_wait_loadcnt 0x3
	v_dual_add_f32 v112, 0, v11 :: v_dual_mov_b32 v146, v125
	v_fmac_f32_e32 v167, v131, v114
	v_fma_f32 v166, v130, v114, -v15
	v_pk_fma_f32 v[114:115], v[132:133], v[116:117], v[110:111] op_sel_hi:[1,0,1]
	s_delay_alu instid0(VALU_DEP_4) | instskip(SKIP_4) | instid1(VALU_DEP_4)
	v_pk_add_f32 v[112:113], v[112:113], v[164:165]
	v_pk_fma_f32 v[130:131], v[134:135], v[118:119], v[168:169] op_sel_hi:[1,0,1]
	v_pk_fma_f32 v[110:111], v[132:133], v[116:117], v[110:111] neg_lo:[0,0,1] neg_hi:[0,0,1]
	v_pk_fma_f32 v[116:117], v[134:135], v[118:119], v[168:169] neg_lo:[0,0,1] neg_hi:[0,0,1]
	v_pk_mul_f32 v[148:149], v[158:159], v[170:171] op_sel_hi:[1,0]
	v_dual_mov_b32 v111, v115 :: v_dual_mov_b32 v117, v131
	v_pk_add_f32 v[112:113], v[112:113], v[166:167]
	v_pk_mul_f32 v[172:173], v[138:139], v[122:123] op_sel:[1,1] op_sel_hi:[0,1]
	s_delay_alu instid0(VALU_DEP_4)
	v_pk_fma_f32 v[118:119], v[136:137], v[120:121], v[148:149] op_sel_hi:[1,0,1]
	v_pk_fma_f32 v[120:121], v[136:137], v[120:121], v[148:149] neg_lo:[0,0,1] neg_hi:[0,0,1]
	v_pk_mul_f32 v[130:131], v[160:161], v[146:147] op_sel_hi:[1,0]
	v_pk_add_f32 v[110:111], v[112:113], v[110:111]
	v_pk_fma_f32 v[112:113], v[138:139], v[122:123], v[172:173] op_sel_hi:[1,0,1]
	s_wait_loadcnt 0x2
	v_dual_mov_b32 v121, v119 :: v_dual_mov_b32 v112, v129
	v_pk_mul_f32 v[114:115], v[142:143], v[126:127] op_sel:[1,1] op_sel_hi:[0,1]
	v_pk_add_f32 v[110:111], v[110:111], v[116:117]
	v_pk_fma_f32 v[116:117], v[138:139], v[122:123], v[172:173] neg_lo:[0,0,1] neg_hi:[0,0,1]
	v_pk_fma_f32 v[118:119], v[140:141], v[124:125], v[130:131] op_sel_hi:[1,0,1]
	v_mov_b32_e32 v117, v113
	v_pk_fma_f32 v[122:123], v[140:141], v[124:125], v[130:131] neg_lo:[0,0,1] neg_hi:[0,0,1]
	v_pk_add_f32 v[110:111], v[110:111], v[120:121]
	v_pk_fma_f32 v[120:121], v[142:143], v[126:127], v[114:115] op_sel_hi:[1,0,1]
	v_pk_mul_f32 v[112:113], v[162:163], v[112:113] op_sel_hi:[1,0]
	v_mov_b32_e32 v123, v119
	v_pk_fma_f32 v[114:115], v[142:143], v[126:127], v[114:115] neg_lo:[0,0,1] neg_hi:[0,0,1]
	v_pk_add_f32 v[110:111], v[110:111], v[116:117]
	s_wait_loadcnt_dscnt 0x100
	v_pk_mul_f32 v[118:119], v[154:155], v[150:151] op_sel:[1,1] op_sel_hi:[0,1]
	v_pk_fma_f32 v[116:117], v[144:145], v[128:129], v[112:113] op_sel_hi:[1,0,1]
	v_mov_b32_e32 v115, v121
	v_pk_fma_f32 v[112:113], v[144:145], v[128:129], v[112:113] neg_lo:[0,0,1] neg_hi:[0,0,1]
	v_pk_add_f32 v[110:111], v[110:111], v[122:123]
	s_delay_alu instid0(VALU_DEP_4) | instskip(SKIP_1) | instid1(VALU_DEP_3)
	v_mov_b32_e32 v113, v117
	v_pk_fma_f32 v[116:117], v[154:155], v[150:151], v[118:119] neg_lo:[0,0,1] neg_hi:[0,0,1]
	v_pk_add_f32 v[110:111], v[110:111], v[114:115]
	v_pk_fma_f32 v[114:115], v[154:155], v[150:151], v[118:119] op_sel_hi:[1,0,1]
	s_delay_alu instid0(VALU_DEP_2) | instskip(NEXT) | instid1(VALU_DEP_2)
	v_pk_add_f32 v[110:111], v[110:111], v[112:113]
	v_mov_b32_e32 v117, v115
	s_delay_alu instid0(VALU_DEP_1) | instskip(SKIP_1) | instid1(VALU_DEP_1)
	v_pk_add_f32 v[110:111], v[110:111], v[116:117]
	s_wait_loadcnt 0x0
	v_pk_add_f32 v[110:111], v[152:153], v[110:111] neg_lo:[0,1] neg_hi:[0,1]
	scratch_store_b64 off, v[110:111], off offset:336
	s_wait_xcnt 0x0
	v_cmpx_lt_u32_e32 41, v0
	s_cbranch_execz .LBB117_255
; %bb.254:
	scratch_load_b64 v[110:111], off, off offset:328
	v_mov_b64_e32 v[112:113], 0
	scratch_store_b64 off, v[112:113], off offset:328
	s_wait_loadcnt 0x0
	ds_store_b64 v1, v[110:111]
.LBB117_255:
	s_wait_xcnt 0x0
	s_or_b32 exec_lo, exec_lo, s0
	s_wait_storecnt_dscnt 0x0
	s_barrier_signal -1
	s_barrier_wait -1
	s_clause 0x6
	scratch_load_b128 v[110:113], off, off offset:336
	scratch_load_b128 v[114:117], off, off offset:352
	;; [unrolled: 1-line block ×6, first 2 shown]
	scratch_load_b64 v[158:159], off, off offset:328
	ds_load_b128 v[134:137], v7 offset:800
	ds_load_b128 v[138:141], v7 offset:816
	;; [unrolled: 1-line block ×6, first 2 shown]
	s_mov_b32 s0, exec_lo
	s_wait_dscnt 0x5
	v_dual_mov_b32 v160, v137 :: v_dual_mov_b32 v161, v136
	s_wait_dscnt 0x4
	v_dual_mov_b32 v162, v141 :: v_dual_mov_b32 v163, v140
	;; [unrolled: 2-line block ×4, first 2 shown]
	s_wait_loadcnt_dscnt 0x601
	v_dual_mul_f32 v7, v150, v111 :: v_dual_mul_f32 v9, v152, v113
	v_dual_mul_f32 v11, v151, v111 :: v_dual_mul_f32 v13, v153, v113
	s_wait_loadcnt 0x4
	s_delay_alu instid0(VALU_DEP_2)
	v_dual_mov_b32 v174, v121 :: v_dual_fmac_f32 v7, v151, v110
	s_wait_dscnt 0x0
	v_dual_mul_f32 v169, v154, v115 :: v_dual_mul_f32 v171, v156, v117
	v_dual_fma_f32 v11, v150, v110, -v11 :: v_dual_fmac_f32 v9, v153, v112
	v_dual_mul_f32 v15, v155, v115 :: v_dual_mul_f32 v17, v157, v117
	v_dual_fma_f32 v13, v152, v112, -v13 :: v_dual_add_f32 v7, 0, v7
	s_wait_loadcnt 0x3
	s_delay_alu instid0(VALU_DEP_3) | instskip(SKIP_3) | instid1(VALU_DEP_4)
	v_dual_add_f32 v11, 0, v11 :: v_dual_mov_b32 v112, v125
	v_pk_mul_f32 v[172:173], v[134:135], v[118:119] op_sel:[1,1] op_sel_hi:[0,1]
	v_dual_fmac_f32 v169, v155, v114 :: v_dual_fma_f32 v168, v154, v114, -v15
	v_dual_add_f32 v115, v7, v9 :: v_dual_fmac_f32 v171, v157, v116
	v_dual_add_f32 v114, v11, v13 :: v_dual_fma_f32 v170, v156, v116, -v17
	s_delay_alu instid0(VALU_DEP_4) | instskip(SKIP_2) | instid1(VALU_DEP_4)
	v_pk_fma_f32 v[116:117], v[134:135], v[118:119], v[172:173] op_sel_hi:[1,0,1]
	v_pk_mul_f32 v[150:151], v[160:161], v[174:175] op_sel_hi:[1,0]
	v_pk_fma_f32 v[118:119], v[134:135], v[118:119], v[172:173] neg_lo:[0,0,1] neg_hi:[0,0,1]
	v_pk_add_f32 v[114:115], v[114:115], v[168:169]
	v_pk_mul_f32 v[110:111], v[138:139], v[122:123] op_sel:[1,1] op_sel_hi:[0,1]
	v_mov_b32_e32 v119, v117
	v_pk_fma_f32 v[116:117], v[136:137], v[120:121], v[150:151] op_sel_hi:[1,0,1]
	v_pk_fma_f32 v[120:121], v[136:137], v[120:121], v[150:151] neg_lo:[0,0,1] neg_hi:[0,0,1]
	v_pk_add_f32 v[114:115], v[114:115], v[170:171]
	v_pk_fma_f32 v[134:135], v[138:139], v[122:123], v[110:111] op_sel_hi:[1,0,1]
	v_pk_mul_f32 v[112:113], v[162:163], v[112:113] op_sel_hi:[1,0]
	v_mov_b32_e32 v121, v117
	v_pk_fma_f32 v[110:111], v[138:139], v[122:123], v[110:111] neg_lo:[0,0,1] neg_hi:[0,0,1]
	v_pk_add_f32 v[114:115], v[114:115], v[118:119]
	s_wait_loadcnt 0x2
	v_pk_mul_f32 v[152:153], v[142:143], v[126:127] op_sel:[1,1] op_sel_hi:[0,1]
	v_dual_mov_b32 v116, v129 :: v_dual_mov_b32 v111, v135
	v_pk_fma_f32 v[118:119], v[140:141], v[124:125], v[112:113] op_sel_hi:[1,0,1]
	v_pk_add_f32 v[114:115], v[114:115], v[120:121]
	v_pk_fma_f32 v[112:113], v[140:141], v[124:125], v[112:113] neg_lo:[0,0,1] neg_hi:[0,0,1]
	v_pk_fma_f32 v[120:121], v[142:143], v[126:127], v[152:153] op_sel_hi:[1,0,1]
	v_pk_mul_f32 v[116:117], v[164:165], v[116:117] op_sel_hi:[1,0]
	v_mov_b32_e32 v113, v119
	v_pk_add_f32 v[110:111], v[114:115], v[110:111]
	v_pk_fma_f32 v[118:119], v[142:143], v[126:127], v[152:153] neg_lo:[0,0,1] neg_hi:[0,0,1]
	s_wait_loadcnt 0x1
	v_pk_mul_f32 v[114:115], v[146:147], v[130:131] op_sel:[1,1] op_sel_hi:[0,1]
	v_mov_b32_e32 v119, v121
	v_pk_fma_f32 v[120:121], v[144:145], v[128:129], v[116:117] op_sel_hi:[1,0,1]
	v_pk_add_f32 v[110:111], v[110:111], v[112:113]
	v_mov_b32_e32 v112, v133
	v_pk_fma_f32 v[116:117], v[144:145], v[128:129], v[116:117] neg_lo:[0,0,1] neg_hi:[0,0,1]
	v_pk_fma_f32 v[122:123], v[146:147], v[130:131], v[114:115] op_sel_hi:[1,0,1]
	v_mov_b32_e32 v117, v121
	v_pk_add_f32 v[110:111], v[110:111], v[118:119]
	v_pk_mul_f32 v[112:113], v[166:167], v[112:113] op_sel_hi:[1,0]
	v_pk_fma_f32 v[114:115], v[146:147], v[130:131], v[114:115] neg_lo:[0,0,1] neg_hi:[0,0,1]
	s_delay_alu instid0(VALU_DEP_3) | instskip(NEXT) | instid1(VALU_DEP_3)
	v_pk_add_f32 v[110:111], v[110:111], v[116:117]
	v_pk_fma_f32 v[116:117], v[148:149], v[132:133], v[112:113] op_sel_hi:[1,0,1]
	v_mov_b32_e32 v115, v123
	v_pk_fma_f32 v[112:113], v[148:149], v[132:133], v[112:113] neg_lo:[0,0,1] neg_hi:[0,0,1]
	s_delay_alu instid0(VALU_DEP_3) | instskip(NEXT) | instid1(VALU_DEP_3)
	v_mov_b32_e32 v113, v117
	v_pk_add_f32 v[110:111], v[110:111], v[114:115]
	s_delay_alu instid0(VALU_DEP_1) | instskip(SKIP_1) | instid1(VALU_DEP_1)
	v_pk_add_f32 v[110:111], v[110:111], v[112:113]
	s_wait_loadcnt 0x0
	v_pk_add_f32 v[110:111], v[158:159], v[110:111] neg_lo:[0,1] neg_hi:[0,1]
	scratch_store_b64 off, v[110:111], off offset:328
	s_wait_xcnt 0x0
	v_cmpx_lt_u32_e32 40, v0
	s_cbranch_execz .LBB117_257
; %bb.256:
	scratch_load_b64 v[110:111], off, off offset:320
	v_mov_b64_e32 v[112:113], 0
	scratch_store_b64 off, v[112:113], off offset:320
	s_wait_loadcnt 0x0
	ds_store_b64 v1, v[110:111]
.LBB117_257:
	s_wait_xcnt 0x0
	s_or_b32 exec_lo, exec_lo, s0
	s_wait_storecnt_dscnt 0x0
	s_barrier_signal -1
	s_barrier_wait -1
	s_clause 0x7
	scratch_load_b128 v[110:113], off, off offset:328
	scratch_load_b128 v[114:117], off, off offset:344
	;; [unrolled: 1-line block ×6, first 2 shown]
	scratch_load_b64 v[158:159], off, off offset:424
	scratch_load_b64 v[160:161], off, off offset:320
	v_mov_b32_e32 v7, 0
	ds_load_2addr_b64 v[134:137], v7 offset0:99 offset1:100
	ds_load_2addr_b64 v[138:141], v7 offset0:101 offset1:102
	ds_load_2addr_b64 v[142:145], v7 offset0:103 offset1:104
	ds_load_2addr_b64 v[146:149], v7 offset0:105 offset1:106
	ds_load_2addr_b64 v[150:153], v7 offset0:95 offset1:96
	ds_load_2addr_b64 v[154:157], v7 offset0:97 offset1:98
	ds_load_b64 v[162:163], v7 offset:856
	s_mov_b32 s0, exec_lo
	s_wait_dscnt 0x6
	v_dual_mov_b32 v164, v137 :: v_dual_mov_b32 v165, v136
	s_wait_dscnt 0x3
	v_dual_mov_b32 v166, v141 :: v_dual_mov_b32 v171, v148
	v_dual_mov_b32 v167, v140 :: v_dual_mov_b32 v168, v145
	;; [unrolled: 1-line block ×3, first 2 shown]
	s_wait_loadcnt_dscnt 0x702
	v_dual_mul_f32 v9, v150, v111 :: v_dual_mul_f32 v15, v151, v111
	v_dual_mul_f32 v17, v153, v113 :: v_dual_mul_f32 v11, v152, v113
	s_wait_loadcnt_dscnt 0x601
	s_delay_alu instid0(VALU_DEP_2) | instskip(NEXT) | instid1(VALU_DEP_3)
	v_dual_mul_f32 v13, v154, v115 :: v_dual_fmac_f32 v9, v151, v110
	v_dual_fma_f32 v15, v150, v110, -v15 :: v_dual_mul_f32 v19, v155, v115
	v_mul_f32_e32 v21, v157, v117
	s_wait_loadcnt 0x4
	v_dual_mov_b32 v110, v125 :: v_dual_fma_f32 v17, v152, v112, -v17
	v_dual_fmac_f32 v11, v153, v112 :: v_dual_add_f32 v9, 0, v9
	v_dual_add_f32 v15, 0, v15 :: v_dual_fmac_f32 v13, v155, v114
	v_dual_mul_f32 v173, v156, v117 :: v_dual_mul_f32 v175, v134, v119
	v_dual_mul_f32 v23, v135, v119 :: v_dual_mov_b32 v174, v121
	s_delay_alu instid0(VALU_DEP_4) | instskip(NEXT) | instid1(VALU_DEP_3)
	v_dual_fma_f32 v19, v154, v114, -v19 :: v_dual_add_f32 v9, v9, v11
	v_dual_add_f32 v11, v15, v17 :: v_dual_fmac_f32 v173, v157, v116
	v_pk_mul_f32 v[176:177], v[138:139], v[122:123] op_sel:[1,1] op_sel_hi:[0,1]
	s_delay_alu instid0(VALU_DEP_3)
	v_dual_fma_f32 v172, v156, v116, -v21 :: v_dual_add_f32 v117, v9, v13
	v_pk_mul_f32 v[114:115], v[164:165], v[174:175] op_sel_hi:[1,0]
	s_wait_loadcnt 0x3
	v_dual_add_f32 v116, v11, v19 :: v_dual_mov_b32 v150, v129
	v_fmac_f32_e32 v175, v135, v118
	v_fma_f32 v174, v134, v118, -v23
	v_pk_fma_f32 v[118:119], v[136:137], v[120:121], v[114:115] op_sel_hi:[1,0,1]
	s_delay_alu instid0(VALU_DEP_4) | instskip(SKIP_4) | instid1(VALU_DEP_4)
	v_pk_add_f32 v[116:117], v[116:117], v[172:173]
	v_pk_fma_f32 v[134:135], v[138:139], v[122:123], v[176:177] op_sel_hi:[1,0,1]
	v_pk_fma_f32 v[114:115], v[136:137], v[120:121], v[114:115] neg_lo:[0,0,1] neg_hi:[0,0,1]
	v_pk_fma_f32 v[120:121], v[138:139], v[122:123], v[176:177] neg_lo:[0,0,1] neg_hi:[0,0,1]
	v_pk_mul_f32 v[110:111], v[166:167], v[110:111] op_sel_hi:[1,0]
	v_dual_mov_b32 v115, v119 :: v_dual_mov_b32 v121, v135
	v_pk_add_f32 v[116:117], v[116:117], v[174:175]
	v_pk_mul_f32 v[112:113], v[142:143], v[126:127] op_sel:[1,1] op_sel_hi:[0,1]
	s_delay_alu instid0(VALU_DEP_4)
	v_pk_fma_f32 v[122:123], v[140:141], v[124:125], v[110:111] op_sel_hi:[1,0,1]
	v_pk_fma_f32 v[110:111], v[140:141], v[124:125], v[110:111] neg_lo:[0,0,1] neg_hi:[0,0,1]
	v_pk_mul_f32 v[134:135], v[168:169], v[150:151] op_sel_hi:[1,0]
	v_pk_add_f32 v[114:115], v[116:117], v[114:115]
	v_pk_fma_f32 v[116:117], v[142:143], v[126:127], v[112:113] op_sel_hi:[1,0,1]
	s_wait_loadcnt 0x2
	v_dual_mov_b32 v111, v123 :: v_dual_mov_b32 v116, v133
	v_pk_fma_f32 v[112:113], v[142:143], v[126:127], v[112:113] neg_lo:[0,0,1] neg_hi:[0,0,1]
	v_pk_add_f32 v[114:115], v[114:115], v[120:121]
	v_pk_mul_f32 v[118:119], v[146:147], v[130:131] op_sel:[1,1] op_sel_hi:[0,1]
	v_pk_fma_f32 v[120:121], v[144:145], v[128:129], v[134:135] op_sel_hi:[1,0,1]
	v_mov_b32_e32 v113, v117
	v_pk_fma_f32 v[122:123], v[144:145], v[128:129], v[134:135] neg_lo:[0,0,1] neg_hi:[0,0,1]
	v_pk_add_f32 v[110:111], v[114:115], v[110:111]
	v_pk_fma_f32 v[114:115], v[146:147], v[130:131], v[118:119] op_sel_hi:[1,0,1]
	v_pk_mul_f32 v[116:117], v[170:171], v[116:117] op_sel_hi:[1,0]
	v_mov_b32_e32 v123, v121
	s_delay_alu instid0(VALU_DEP_4)
	v_pk_add_f32 v[110:111], v[110:111], v[112:113]
	v_pk_fma_f32 v[112:113], v[146:147], v[130:131], v[118:119] neg_lo:[0,0,1] neg_hi:[0,0,1]
	v_mov_b32_e32 v113, v115
	v_pk_fma_f32 v[114:115], v[148:149], v[132:133], v[116:117] op_sel_hi:[1,0,1]
	s_wait_loadcnt_dscnt 0x100
	v_pk_mul_f32 v[118:119], v[162:163], v[158:159] op_sel:[1,1] op_sel_hi:[0,1]
	v_pk_add_f32 v[110:111], v[110:111], v[122:123]
	v_pk_fma_f32 v[116:117], v[148:149], v[132:133], v[116:117] neg_lo:[0,0,1] neg_hi:[0,0,1]
	v_mov_b32_e32 v117, v115
	s_delay_alu instid0(VALU_DEP_4) | instskip(NEXT) | instid1(VALU_DEP_4)
	v_pk_fma_f32 v[114:115], v[162:163], v[158:159], v[118:119] neg_lo:[0,0,1] neg_hi:[0,0,1]
	v_pk_add_f32 v[110:111], v[110:111], v[112:113]
	v_pk_fma_f32 v[112:113], v[162:163], v[158:159], v[118:119] op_sel_hi:[1,0,1]
	s_delay_alu instid0(VALU_DEP_2) | instskip(NEXT) | instid1(VALU_DEP_2)
	v_pk_add_f32 v[110:111], v[110:111], v[116:117]
	v_mov_b32_e32 v115, v113
	s_delay_alu instid0(VALU_DEP_1) | instskip(SKIP_1) | instid1(VALU_DEP_1)
	v_pk_add_f32 v[110:111], v[110:111], v[114:115]
	s_wait_loadcnt 0x0
	v_pk_add_f32 v[110:111], v[160:161], v[110:111] neg_lo:[0,1] neg_hi:[0,1]
	scratch_store_b64 off, v[110:111], off offset:320
	s_wait_xcnt 0x0
	v_cmpx_lt_u32_e32 39, v0
	s_cbranch_execz .LBB117_259
; %bb.258:
	scratch_load_b64 v[110:111], off, off offset:312
	v_mov_b64_e32 v[112:113], 0
	scratch_store_b64 off, v[112:113], off offset:312
	s_wait_loadcnt 0x0
	ds_store_b64 v1, v[110:111]
.LBB117_259:
	s_wait_xcnt 0x0
	s_or_b32 exec_lo, exec_lo, s0
	s_wait_storecnt_dscnt 0x0
	s_barrier_signal -1
	s_barrier_wait -1
	s_clause 0x7
	scratch_load_b128 v[110:113], off, off offset:320
	scratch_load_b128 v[114:117], off, off offset:336
	;; [unrolled: 1-line block ×7, first 2 shown]
	scratch_load_b64 v[166:167], off, off offset:312
	ds_load_b128 v[138:141], v7 offset:800
	ds_load_b128 v[142:145], v7 offset:816
	;; [unrolled: 1-line block ×7, first 2 shown]
	s_mov_b32 s0, exec_lo
	s_wait_dscnt 0x6
	v_dual_mov_b32 v168, v141 :: v_dual_mov_b32 v169, v140
	s_wait_dscnt 0x5
	v_dual_mov_b32 v170, v145 :: v_dual_mov_b32 v171, v144
	;; [unrolled: 2-line block ×4, first 2 shown]
	s_wait_loadcnt_dscnt 0x702
	v_dual_mul_f32 v7, v154, v111 :: v_dual_mul_f32 v9, v156, v113
	v_dual_mul_f32 v15, v155, v111 :: v_dual_mul_f32 v17, v157, v113
	s_wait_loadcnt_dscnt 0x601
	v_dual_mul_f32 v11, v158, v115 :: v_dual_mul_f32 v13, v160, v117
	s_delay_alu instid0(VALU_DEP_3) | instskip(NEXT) | instid1(VALU_DEP_3)
	v_dual_fmac_f32 v7, v155, v110 :: v_dual_fmac_f32 v9, v157, v112
	v_dual_fma_f32 v15, v154, v110, -v15 :: v_dual_fma_f32 v17, v156, v112, -v17
	v_dual_mul_f32 v19, v159, v115 :: v_dual_mul_f32 v21, v161, v117
	s_wait_loadcnt 0x4
	s_delay_alu instid0(VALU_DEP_3) | instskip(NEXT) | instid1(VALU_DEP_3)
	v_dual_add_f32 v7, 0, v7 :: v_dual_mov_b32 v112, v125
	v_dual_add_f32 v15, 0, v15 :: v_dual_fmac_f32 v11, v159, v114
	s_delay_alu instid0(VALU_DEP_2) | instskip(SKIP_2) | instid1(VALU_DEP_3)
	v_dual_fma_f32 v19, v158, v114, -v19 :: v_dual_add_f32 v7, v7, v9
	s_wait_dscnt 0x0
	v_dual_mul_f32 v177, v162, v119 :: v_dual_mul_f32 v179, v164, v121
	v_dual_add_f32 v9, v15, v17 :: v_dual_fmac_f32 v13, v161, v116
	v_dual_mul_f32 v23, v163, v119 :: v_dual_mul_f32 v25, v165, v121
	v_dual_fma_f32 v15, v160, v116, -v21 :: v_dual_add_f32 v7, v7, v11
	s_delay_alu instid0(VALU_DEP_3) | instskip(SKIP_3) | instid1(VALU_DEP_3)
	v_dual_add_f32 v9, v9, v19 :: v_dual_fmac_f32 v177, v163, v118
	v_pk_mul_f32 v[110:111], v[138:139], v[122:123] op_sel:[1,1] op_sel_hi:[0,1]
	s_wait_loadcnt 0x3
	v_dual_mov_b32 v116, v129 :: v_dual_fma_f32 v176, v162, v118, -v23
	v_dual_add_f32 v119, v7, v13 :: v_dual_add_f32 v118, v9, v15
	v_dual_fmac_f32 v179, v165, v120 :: v_dual_fma_f32 v178, v164, v120, -v25
	v_pk_fma_f32 v[120:121], v[138:139], v[122:123], v[110:111] op_sel_hi:[1,0,1]
	v_pk_mul_f32 v[112:113], v[168:169], v[112:113] op_sel_hi:[1,0]
	s_delay_alu instid0(VALU_DEP_4)
	v_pk_add_f32 v[118:119], v[118:119], v[176:177]
	v_pk_fma_f32 v[110:111], v[138:139], v[122:123], v[110:111] neg_lo:[0,0,1] neg_hi:[0,0,1]
	v_pk_mul_f32 v[114:115], v[142:143], v[126:127] op_sel:[1,1] op_sel_hi:[0,1]
	v_mov_b32_e32 v111, v121
	v_pk_fma_f32 v[120:121], v[140:141], v[124:125], v[112:113] op_sel_hi:[1,0,1]
	v_pk_add_f32 v[118:119], v[118:119], v[178:179]
	v_pk_fma_f32 v[112:113], v[140:141], v[124:125], v[112:113] neg_lo:[0,0,1] neg_hi:[0,0,1]
	v_pk_fma_f32 v[122:123], v[142:143], v[126:127], v[114:115] op_sel_hi:[1,0,1]
	v_pk_mul_f32 v[116:117], v[170:171], v[116:117] op_sel_hi:[1,0]
	v_mov_b32_e32 v113, v121
	v_pk_add_f32 v[110:111], v[118:119], v[110:111]
	s_wait_loadcnt 0x2
	v_pk_mul_f32 v[154:155], v[146:147], v[130:131] op_sel:[1,1] op_sel_hi:[0,1]
	v_mov_b32_e32 v118, v133
	v_pk_fma_f32 v[114:115], v[142:143], v[126:127], v[114:115] neg_lo:[0,0,1] neg_hi:[0,0,1]
	v_mov_b32_e32 v115, v123
	v_pk_fma_f32 v[120:121], v[144:145], v[128:129], v[116:117] op_sel_hi:[1,0,1]
	v_pk_add_f32 v[110:111], v[110:111], v[112:113]
	v_pk_fma_f32 v[112:113], v[146:147], v[130:131], v[154:155] op_sel_hi:[1,0,1]
	v_pk_mul_f32 v[118:119], v[172:173], v[118:119] op_sel_hi:[1,0]
	v_pk_fma_f32 v[116:117], v[144:145], v[128:129], v[116:117] neg_lo:[0,0,1] neg_hi:[0,0,1]
	v_mov_b32_e32 v117, v121
	v_pk_add_f32 v[110:111], v[110:111], v[114:115]
	v_pk_fma_f32 v[120:121], v[146:147], v[130:131], v[154:155] neg_lo:[0,0,1] neg_hi:[0,0,1]
	v_mov_b32_e32 v121, v113
	v_pk_fma_f32 v[112:113], v[148:149], v[132:133], v[118:119] op_sel_hi:[1,0,1]
	s_wait_loadcnt 0x1
	v_pk_mul_f32 v[114:115], v[150:151], v[134:135] op_sel:[1,1] op_sel_hi:[0,1]
	v_pk_add_f32 v[110:111], v[110:111], v[116:117]
	v_mov_b32_e32 v112, v137
	v_pk_fma_f32 v[118:119], v[148:149], v[132:133], v[118:119] neg_lo:[0,0,1] neg_hi:[0,0,1]
	v_mov_b32_e32 v119, v113
	v_pk_fma_f32 v[116:117], v[150:151], v[134:135], v[114:115] op_sel_hi:[1,0,1]
	v_pk_add_f32 v[110:111], v[110:111], v[120:121]
	v_pk_mul_f32 v[112:113], v[174:175], v[112:113] op_sel_hi:[1,0]
	v_pk_fma_f32 v[114:115], v[150:151], v[134:135], v[114:115] neg_lo:[0,0,1] neg_hi:[0,0,1]
	s_delay_alu instid0(VALU_DEP_4) | instskip(NEXT) | instid1(VALU_DEP_4)
	v_mov_b32_e32 v115, v117
	v_pk_add_f32 v[110:111], v[110:111], v[118:119]
	s_delay_alu instid0(VALU_DEP_4) | instskip(SKIP_1) | instid1(VALU_DEP_2)
	v_pk_fma_f32 v[116:117], v[152:153], v[136:137], v[112:113] op_sel_hi:[1,0,1]
	v_pk_fma_f32 v[112:113], v[152:153], v[136:137], v[112:113] neg_lo:[0,0,1] neg_hi:[0,0,1]
	v_mov_b32_e32 v113, v117
	s_delay_alu instid0(VALU_DEP_4) | instskip(NEXT) | instid1(VALU_DEP_1)
	v_pk_add_f32 v[110:111], v[110:111], v[114:115]
	v_pk_add_f32 v[110:111], v[110:111], v[112:113]
	s_wait_loadcnt 0x0
	s_delay_alu instid0(VALU_DEP_1)
	v_pk_add_f32 v[110:111], v[166:167], v[110:111] neg_lo:[0,1] neg_hi:[0,1]
	scratch_store_b64 off, v[110:111], off offset:312
	s_wait_xcnt 0x0
	v_cmpx_lt_u32_e32 38, v0
	s_cbranch_execz .LBB117_261
; %bb.260:
	scratch_load_b64 v[110:111], off, off offset:304
	v_mov_b64_e32 v[112:113], 0
	scratch_store_b64 off, v[112:113], off offset:304
	s_wait_loadcnt 0x0
	ds_store_b64 v1, v[110:111]
.LBB117_261:
	s_wait_xcnt 0x0
	s_or_b32 exec_lo, exec_lo, s0
	s_wait_storecnt_dscnt 0x0
	s_barrier_signal -1
	s_barrier_wait -1
	s_clause 0x8
	scratch_load_b128 v[110:113], off, off offset:312
	scratch_load_b128 v[114:117], off, off offset:328
	;; [unrolled: 1-line block ×7, first 2 shown]
	scratch_load_b64 v[166:167], off, off offset:424
	scratch_load_b64 v[168:169], off, off offset:304
	v_mov_b32_e32 v7, 0
	ds_load_2addr_b64 v[138:141], v7 offset0:99 offset1:100
	ds_load_2addr_b64 v[142:145], v7 offset0:101 offset1:102
	;; [unrolled: 1-line block ×7, first 2 shown]
	ds_load_b64 v[170:171], v7 offset:856
	s_mov_b32 s0, exec_lo
	s_wait_dscnt 0x7
	v_dual_mov_b32 v172, v141 :: v_dual_mov_b32 v173, v140
	s_wait_dscnt 0x4
	v_dual_mov_b32 v174, v145 :: v_dual_mov_b32 v179, v152
	v_dual_mov_b32 v175, v144 :: v_dual_mov_b32 v176, v149
	;; [unrolled: 1-line block ×3, first 2 shown]
	s_wait_loadcnt_dscnt 0x803
	v_dual_mul_f32 v9, v154, v111 :: v_dual_mul_f32 v19, v155, v111
	v_dual_mul_f32 v21, v157, v113 :: v_dual_mul_f32 v11, v156, v113
	s_wait_loadcnt_dscnt 0x702
	v_mul_f32_e32 v13, v158, v115
	s_wait_loadcnt 0x5
	v_dual_mul_f32 v31, v139, v123 :: v_dual_fma_f32 v19, v154, v110, -v19
	v_dual_fmac_f32 v9, v155, v110 :: v_dual_mov_b32 v110, v125
	v_dual_mul_f32 v23, v159, v115 :: v_dual_mul_f32 v25, v161, v117
	v_dual_fmac_f32 v11, v157, v112 :: v_dual_fma_f32 v21, v156, v112, -v21
	s_delay_alu instid0(VALU_DEP_3) | instskip(SKIP_3) | instid1(VALU_DEP_3)
	v_dual_add_f32 v9, 0, v9 :: v_dual_add_f32 v19, 0, v19
	s_wait_dscnt 0x1
	v_dual_mul_f32 v15, v160, v117 :: v_dual_mul_f32 v17, v162, v119
	v_dual_fmac_f32 v13, v159, v114 :: v_dual_fma_f32 v23, v158, v114, -v23
	v_dual_add_f32 v9, v9, v11 :: v_dual_add_f32 v11, v19, v21
	v_dual_mul_f32 v27, v163, v119 :: v_dual_mul_f32 v29, v165, v121
	s_wait_loadcnt 0x4
	v_dual_mov_b32 v114, v129 :: v_dual_fma_f32 v19, v160, v116, -v25
	s_delay_alu instid0(VALU_DEP_3) | instskip(SKIP_2) | instid1(VALU_DEP_2)
	v_dual_fmac_f32 v15, v161, v116 :: v_dual_add_f32 v11, v11, v23
	v_dual_add_f32 v9, v9, v13 :: v_dual_fmac_f32 v17, v163, v118
	v_dual_mul_f32 v181, v164, v121 :: v_dual_mul_f32 v183, v138, v123
	v_dual_fma_f32 v13, v162, v118, -v27 :: v_dual_add_f32 v9, v9, v15
	s_delay_alu instid0(VALU_DEP_2) | instskip(SKIP_1) | instid1(VALU_DEP_3)
	v_dual_add_f32 v11, v11, v19 :: v_dual_fmac_f32 v181, v165, v120
	v_pk_mul_f32 v[112:113], v[142:143], v[126:127] op_sel:[1,1] op_sel_hi:[0,1]
	v_dual_fma_f32 v180, v164, v120, -v29 :: v_dual_add_f32 v119, v9, v17
	v_pk_mul_f32 v[110:111], v[172:173], v[110:111] op_sel_hi:[1,0]
	s_wait_loadcnt 0x3
	v_dual_add_f32 v118, v11, v13 :: v_dual_mov_b32 v120, v133
	v_fmac_f32_e32 v183, v139, v122
	v_fma_f32 v182, v138, v122, -v31
	v_pk_fma_f32 v[122:123], v[140:141], v[124:125], v[110:111] op_sel_hi:[1,0,1]
	s_delay_alu instid0(VALU_DEP_4) | instskip(SKIP_4) | instid1(VALU_DEP_4)
	v_pk_add_f32 v[118:119], v[118:119], v[180:181]
	v_pk_fma_f32 v[138:139], v[142:143], v[126:127], v[112:113] op_sel_hi:[1,0,1]
	v_pk_fma_f32 v[110:111], v[140:141], v[124:125], v[110:111] neg_lo:[0,0,1] neg_hi:[0,0,1]
	v_pk_fma_f32 v[112:113], v[142:143], v[126:127], v[112:113] neg_lo:[0,0,1] neg_hi:[0,0,1]
	v_pk_mul_f32 v[114:115], v[174:175], v[114:115] op_sel_hi:[1,0]
	v_dual_mov_b32 v111, v123 :: v_dual_mov_b32 v113, v139
	v_pk_add_f32 v[118:119], v[118:119], v[182:183]
	v_pk_mul_f32 v[116:117], v[146:147], v[130:131] op_sel:[1,1] op_sel_hi:[0,1]
	s_delay_alu instid0(VALU_DEP_4)
	v_pk_fma_f32 v[124:125], v[144:145], v[128:129], v[114:115] op_sel_hi:[1,0,1]
	v_pk_fma_f32 v[114:115], v[144:145], v[128:129], v[114:115] neg_lo:[0,0,1] neg_hi:[0,0,1]
	v_pk_mul_f32 v[120:121], v[176:177], v[120:121] op_sel_hi:[1,0]
	v_pk_add_f32 v[110:111], v[118:119], v[110:111]
	v_pk_fma_f32 v[118:119], v[146:147], v[130:131], v[116:117] op_sel_hi:[1,0,1]
	v_mov_b32_e32 v115, v125
	v_pk_fma_f32 v[116:117], v[146:147], v[130:131], v[116:117] neg_lo:[0,0,1] neg_hi:[0,0,1]
	s_wait_loadcnt 0x2
	v_pk_mul_f32 v[122:123], v[150:151], v[134:135] op_sel:[1,1] op_sel_hi:[0,1]
	v_pk_add_f32 v[110:111], v[110:111], v[112:113]
	v_dual_mov_b32 v112, v137 :: v_dual_mov_b32 v117, v119
	v_pk_fma_f32 v[118:119], v[148:149], v[132:133], v[120:121] op_sel_hi:[1,0,1]
	v_pk_fma_f32 v[120:121], v[148:149], v[132:133], v[120:121] neg_lo:[0,0,1] neg_hi:[0,0,1]
	s_delay_alu instid0(VALU_DEP_4)
	v_pk_add_f32 v[110:111], v[110:111], v[114:115]
	v_pk_fma_f32 v[114:115], v[150:151], v[134:135], v[122:123] op_sel_hi:[1,0,1]
	v_pk_mul_f32 v[112:113], v[178:179], v[112:113] op_sel_hi:[1,0]
	v_mov_b32_e32 v121, v119
	s_wait_loadcnt_dscnt 0x100
	v_pk_mul_f32 v[118:119], v[170:171], v[166:167] op_sel:[1,1] op_sel_hi:[0,1]
	v_pk_add_f32 v[110:111], v[110:111], v[116:117]
	v_pk_fma_f32 v[116:117], v[150:151], v[134:135], v[122:123] neg_lo:[0,0,1] neg_hi:[0,0,1]
	v_mov_b32_e32 v117, v115
	v_pk_fma_f32 v[114:115], v[152:153], v[136:137], v[112:113] op_sel_hi:[1,0,1]
	v_pk_fma_f32 v[112:113], v[152:153], v[136:137], v[112:113] neg_lo:[0,0,1] neg_hi:[0,0,1]
	v_pk_add_f32 v[110:111], v[110:111], v[120:121]
	s_delay_alu instid0(VALU_DEP_3) | instskip(SKIP_1) | instid1(VALU_DEP_3)
	v_mov_b32_e32 v113, v115
	v_pk_fma_f32 v[114:115], v[170:171], v[166:167], v[118:119] op_sel_hi:[1,0,1]
	v_pk_add_f32 v[110:111], v[110:111], v[116:117]
	v_pk_fma_f32 v[116:117], v[170:171], v[166:167], v[118:119] neg_lo:[0,0,1] neg_hi:[0,0,1]
	s_delay_alu instid0(VALU_DEP_3) | instskip(NEXT) | instid1(VALU_DEP_3)
	v_mov_b32_e32 v117, v115
	v_pk_add_f32 v[110:111], v[110:111], v[112:113]
	s_delay_alu instid0(VALU_DEP_1) | instskip(SKIP_1) | instid1(VALU_DEP_1)
	v_pk_add_f32 v[110:111], v[110:111], v[116:117]
	s_wait_loadcnt 0x0
	v_pk_add_f32 v[110:111], v[168:169], v[110:111] neg_lo:[0,1] neg_hi:[0,1]
	scratch_store_b64 off, v[110:111], off offset:304
	s_wait_xcnt 0x0
	v_cmpx_lt_u32_e32 37, v0
	s_cbranch_execz .LBB117_263
; %bb.262:
	scratch_load_b64 v[110:111], off, off offset:296
	v_mov_b64_e32 v[112:113], 0
	scratch_store_b64 off, v[112:113], off offset:296
	s_wait_loadcnt 0x0
	ds_store_b64 v1, v[110:111]
.LBB117_263:
	s_wait_xcnt 0x0
	s_or_b32 exec_lo, exec_lo, s0
	s_wait_storecnt_dscnt 0x0
	s_barrier_signal -1
	s_barrier_wait -1
	s_clause 0x8
	scratch_load_b128 v[110:113], off, off offset:304
	scratch_load_b128 v[114:117], off, off offset:320
	;; [unrolled: 1-line block ×8, first 2 shown]
	scratch_load_b64 v[174:175], off, off offset:296
	ds_load_b128 v[142:145], v7 offset:800
	ds_load_b128 v[146:149], v7 offset:816
	;; [unrolled: 1-line block ×8, first 2 shown]
	s_mov_b32 s0, exec_lo
	s_wait_dscnt 0x7
	v_dual_mov_b32 v176, v145 :: v_dual_mov_b32 v177, v144
	s_wait_dscnt 0x6
	v_dual_mov_b32 v178, v149 :: v_dual_mov_b32 v179, v148
	;; [unrolled: 2-line block ×4, first 2 shown]
	s_wait_loadcnt_dscnt 0x803
	v_dual_mul_f32 v7, v158, v111 :: v_dual_mul_f32 v9, v160, v113
	v_dual_mul_f32 v19, v159, v111 :: v_dual_mul_f32 v21, v161, v113
	s_wait_loadcnt_dscnt 0x702
	v_dual_mul_f32 v11, v162, v115 :: v_dual_mul_f32 v13, v164, v117
	s_delay_alu instid0(VALU_DEP_3) | instskip(SKIP_3) | instid1(VALU_DEP_3)
	v_dual_fmac_f32 v7, v159, v110 :: v_dual_fmac_f32 v9, v161, v112
	s_wait_loadcnt_dscnt 0x500
	v_dual_fma_f32 v19, v158, v110, -v19 :: v_dual_mul_f32 v31, v171, v123
	v_dual_mul_f32 v23, v163, v115 :: v_dual_mul_f32 v25, v165, v117
	v_dual_fma_f32 v21, v160, v112, -v21 :: v_dual_add_f32 v7, 0, v7
	s_delay_alu instid0(VALU_DEP_3) | instskip(SKIP_1) | instid1(VALU_DEP_3)
	v_dual_add_f32 v19, 0, v19 :: v_dual_mul_f32 v33, v173, v125
	v_dual_fmac_f32 v11, v163, v114 :: v_dual_fmac_f32 v13, v165, v116
	v_dual_fma_f32 v23, v162, v114, -v23 :: v_dual_add_f32 v7, v7, v9
	s_delay_alu instid0(VALU_DEP_3) | instskip(SKIP_4) | instid1(VALU_DEP_3)
	v_dual_add_f32 v9, v19, v21 :: v_dual_fma_f32 v19, v164, v116, -v25
	v_dual_mul_f32 v15, v166, v119 :: v_dual_mul_f32 v17, v168, v121
	v_dual_mul_f32 v27, v167, v119 :: v_dual_mul_f32 v29, v169, v121
	s_wait_loadcnt 0x4
	v_dual_add_f32 v7, v7, v11 :: v_dual_mov_b32 v112, v129
	v_dual_add_f32 v9, v9, v23 :: v_dual_fmac_f32 v15, v167, v118
	s_delay_alu instid0(VALU_DEP_2) | instskip(SKIP_1) | instid1(VALU_DEP_3)
	v_dual_fma_f32 v11, v166, v118, -v27 :: v_dual_add_f32 v7, v7, v13
	v_dual_mul_f32 v185, v170, v123 :: v_dual_mul_f32 v187, v172, v125
	v_dual_add_f32 v9, v9, v19 :: v_dual_fma_f32 v13, v168, v120, -v29
	s_delay_alu instid0(VALU_DEP_3) | instskip(SKIP_1) | instid1(VALU_DEP_3)
	v_dual_fmac_f32 v17, v169, v120 :: v_dual_add_f32 v7, v7, v15
	v_pk_mul_f32 v[110:111], v[142:143], v[126:127] op_sel:[1,1] op_sel_hi:[0,1]
	v_dual_add_f32 v9, v9, v11 :: v_dual_fmac_f32 v185, v171, v122
	s_wait_loadcnt 0x3
	v_dual_mov_b32 v116, v133 :: v_dual_fma_f32 v184, v170, v122, -v31
	v_dual_add_f32 v119, v7, v17 :: v_dual_fmac_f32 v187, v173, v124
	s_delay_alu instid0(VALU_DEP_3) | instskip(SKIP_3) | instid1(VALU_DEP_4)
	v_dual_add_f32 v118, v9, v13 :: v_dual_fma_f32 v186, v172, v124, -v33
	v_pk_fma_f32 v[120:121], v[142:143], v[126:127], v[110:111] op_sel_hi:[1,0,1]
	v_pk_mul_f32 v[112:113], v[176:177], v[112:113] op_sel_hi:[1,0]
	v_pk_fma_f32 v[110:111], v[142:143], v[126:127], v[110:111] neg_lo:[0,0,1] neg_hi:[0,0,1]
	v_pk_add_f32 v[118:119], v[118:119], v[184:185]
	v_pk_mul_f32 v[114:115], v[146:147], v[130:131] op_sel:[1,1] op_sel_hi:[0,1]
	v_mov_b32_e32 v111, v121
	v_pk_fma_f32 v[120:121], v[144:145], v[128:129], v[112:113] op_sel_hi:[1,0,1]
	v_pk_fma_f32 v[112:113], v[144:145], v[128:129], v[112:113] neg_lo:[0,0,1] neg_hi:[0,0,1]
	v_pk_add_f32 v[118:119], v[118:119], v[186:187]
	v_pk_fma_f32 v[124:125], v[146:147], v[130:131], v[114:115] op_sel_hi:[1,0,1]
	v_pk_mul_f32 v[116:117], v[178:179], v[116:117] op_sel_hi:[1,0]
	v_mov_b32_e32 v113, v121
	s_wait_loadcnt 0x2
	v_pk_mul_f32 v[122:123], v[150:151], v[134:135] op_sel:[1,1] op_sel_hi:[0,1]
	v_pk_add_f32 v[110:111], v[118:119], v[110:111]
	v_mov_b32_e32 v118, v137
	v_pk_fma_f32 v[114:115], v[146:147], v[130:131], v[114:115] neg_lo:[0,0,1] neg_hi:[0,0,1]
	v_mov_b32_e32 v115, v125
	v_pk_fma_f32 v[120:121], v[148:149], v[132:133], v[116:117] op_sel_hi:[1,0,1]
	v_pk_add_f32 v[110:111], v[110:111], v[112:113]
	v_pk_fma_f32 v[112:113], v[150:151], v[134:135], v[122:123] op_sel_hi:[1,0,1]
	v_pk_mul_f32 v[118:119], v[180:181], v[118:119] op_sel_hi:[1,0]
	v_pk_fma_f32 v[116:117], v[148:149], v[132:133], v[116:117] neg_lo:[0,0,1] neg_hi:[0,0,1]
	v_mov_b32_e32 v117, v121
	v_pk_add_f32 v[110:111], v[110:111], v[114:115]
	v_pk_fma_f32 v[120:121], v[150:151], v[134:135], v[122:123] neg_lo:[0,0,1] neg_hi:[0,0,1]
	v_mov_b32_e32 v121, v113
	v_pk_fma_f32 v[112:113], v[152:153], v[136:137], v[118:119] op_sel_hi:[1,0,1]
	s_wait_loadcnt 0x1
	v_pk_mul_f32 v[114:115], v[154:155], v[138:139] op_sel:[1,1] op_sel_hi:[0,1]
	v_pk_add_f32 v[110:111], v[110:111], v[116:117]
	v_mov_b32_e32 v112, v141
	v_pk_fma_f32 v[118:119], v[152:153], v[136:137], v[118:119] neg_lo:[0,0,1] neg_hi:[0,0,1]
	v_mov_b32_e32 v119, v113
	v_pk_fma_f32 v[116:117], v[154:155], v[138:139], v[114:115] op_sel_hi:[1,0,1]
	v_pk_add_f32 v[110:111], v[110:111], v[120:121]
	v_pk_mul_f32 v[112:113], v[182:183], v[112:113] op_sel_hi:[1,0]
	v_pk_fma_f32 v[114:115], v[154:155], v[138:139], v[114:115] neg_lo:[0,0,1] neg_hi:[0,0,1]
	s_delay_alu instid0(VALU_DEP_4) | instskip(NEXT) | instid1(VALU_DEP_4)
	v_mov_b32_e32 v115, v117
	v_pk_add_f32 v[110:111], v[110:111], v[118:119]
	s_delay_alu instid0(VALU_DEP_4) | instskip(SKIP_1) | instid1(VALU_DEP_2)
	v_pk_fma_f32 v[116:117], v[156:157], v[140:141], v[112:113] op_sel_hi:[1,0,1]
	v_pk_fma_f32 v[112:113], v[156:157], v[140:141], v[112:113] neg_lo:[0,0,1] neg_hi:[0,0,1]
	v_mov_b32_e32 v113, v117
	s_delay_alu instid0(VALU_DEP_4) | instskip(NEXT) | instid1(VALU_DEP_1)
	v_pk_add_f32 v[110:111], v[110:111], v[114:115]
	v_pk_add_f32 v[110:111], v[110:111], v[112:113]
	s_wait_loadcnt 0x0
	s_delay_alu instid0(VALU_DEP_1)
	v_pk_add_f32 v[110:111], v[174:175], v[110:111] neg_lo:[0,1] neg_hi:[0,1]
	scratch_store_b64 off, v[110:111], off offset:296
	s_wait_xcnt 0x0
	v_cmpx_lt_u32_e32 36, v0
	s_cbranch_execz .LBB117_265
; %bb.264:
	scratch_load_b64 v[110:111], off, off offset:288
	v_mov_b64_e32 v[112:113], 0
	scratch_store_b64 off, v[112:113], off offset:288
	s_wait_loadcnt 0x0
	ds_store_b64 v1, v[110:111]
.LBB117_265:
	s_wait_xcnt 0x0
	s_or_b32 exec_lo, exec_lo, s0
	s_wait_storecnt_dscnt 0x0
	s_barrier_signal -1
	s_barrier_wait -1
	s_clause 0x9
	scratch_load_b128 v[110:113], off, off offset:296
	scratch_load_b128 v[114:117], off, off offset:312
	;; [unrolled: 1-line block ×8, first 2 shown]
	scratch_load_b64 v[174:175], off, off offset:424
	scratch_load_b64 v[176:177], off, off offset:288
	v_mov_b32_e32 v7, 0
	ds_load_2addr_b64 v[142:145], v7 offset0:99 offset1:100
	ds_load_2addr_b64 v[146:149], v7 offset0:101 offset1:102
	ds_load_2addr_b64 v[150:153], v7 offset0:103 offset1:104
	ds_load_2addr_b64 v[154:157], v7 offset0:105 offset1:106
	ds_load_2addr_b64 v[158:161], v7 offset0:91 offset1:92
	ds_load_2addr_b64 v[162:165], v7 offset0:93 offset1:94
	ds_load_2addr_b64 v[166:169], v7 offset0:95 offset1:96
	ds_load_2addr_b64 v[170:173], v7 offset0:97 offset1:98
	ds_load_b64 v[178:179], v7 offset:856
	s_mov_b32 s0, exec_lo
	s_wait_dscnt 0x8
	v_dual_mov_b32 v180, v145 :: v_dual_mov_b32 v181, v144
	s_wait_dscnt 0x5
	v_dual_mov_b32 v182, v149 :: v_dual_mov_b32 v187, v156
	v_dual_mov_b32 v183, v148 :: v_dual_mov_b32 v184, v153
	;; [unrolled: 1-line block ×3, first 2 shown]
	s_wait_loadcnt_dscnt 0x904
	v_dual_mul_f32 v9, v158, v111 :: v_dual_mul_f32 v23, v159, v111
	v_dual_mul_f32 v25, v161, v113 :: v_dual_mul_f32 v11, v160, v113
	s_wait_loadcnt_dscnt 0x803
	v_mul_f32_e32 v13, v162, v115
	s_wait_loadcnt_dscnt 0x601
	v_dual_mul_f32 v35, v171, v123 :: v_dual_fma_f32 v23, v158, v110, -v23
	v_dual_fmac_f32 v9, v159, v110 :: v_dual_mul_f32 v37, v173, v125
	v_dual_mul_f32 v27, v163, v115 :: v_dual_mul_f32 v29, v165, v117
	v_dual_fmac_f32 v11, v161, v112 :: v_dual_fma_f32 v25, v160, v112, -v25
	s_delay_alu instid0(VALU_DEP_3) | instskip(SKIP_3) | instid1(VALU_DEP_3)
	v_dual_add_f32 v9, 0, v9 :: v_dual_add_f32 v23, 0, v23
	v_dual_mul_f32 v15, v164, v117 :: v_dual_mul_f32 v17, v166, v119
	s_wait_loadcnt 0x5
	v_dual_mul_f32 v39, v143, v127 :: v_dual_fma_f32 v27, v162, v114, -v27
	v_dual_fmac_f32 v13, v163, v114 :: v_dual_add_f32 v9, v9, v11
	v_dual_add_f32 v11, v23, v25 :: v_dual_mov_b32 v110, v129
	v_dual_mul_f32 v31, v167, v119 :: v_dual_mul_f32 v33, v169, v121
	v_dual_fmac_f32 v15, v165, v116 :: v_dual_fma_f32 v23, v164, v116, -v29
	s_delay_alu instid0(VALU_DEP_3) | instskip(SKIP_1) | instid1(VALU_DEP_4)
	v_dual_add_f32 v9, v9, v13 :: v_dual_add_f32 v11, v11, v27
	v_dual_mul_f32 v19, v168, v121 :: v_dual_mul_f32 v21, v170, v123
	v_dual_fmac_f32 v17, v167, v118 :: v_dual_fma_f32 v13, v166, v118, -v31
	s_delay_alu instid0(VALU_DEP_3) | instskip(SKIP_3) | instid1(VALU_DEP_3)
	v_dual_add_f32 v9, v9, v15 :: v_dual_fma_f32 v15, v168, v120, -v33
	s_wait_loadcnt 0x4
	v_dual_add_f32 v11, v11, v23 :: v_dual_mov_b32 v114, v133
	v_fmac_f32_e32 v19, v169, v120
	v_dual_add_f32 v9, v9, v17 :: v_dual_fmac_f32 v21, v171, v122
	s_delay_alu instid0(VALU_DEP_3) | instskip(SKIP_1) | instid1(VALU_DEP_3)
	v_add_f32_e32 v11, v11, v13
	v_dual_mul_f32 v189, v172, v125 :: v_dual_mul_f32 v191, v142, v127
	v_dual_fma_f32 v13, v170, v122, -v35 :: v_dual_add_f32 v9, v9, v19
	s_delay_alu instid0(VALU_DEP_2) | instskip(SKIP_1) | instid1(VALU_DEP_3)
	v_dual_add_f32 v11, v11, v15 :: v_dual_fmac_f32 v189, v173, v124
	v_pk_mul_f32 v[112:113], v[146:147], v[130:131] op_sel:[1,1] op_sel_hi:[0,1]
	v_dual_fma_f32 v188, v172, v124, -v37 :: v_dual_add_f32 v119, v9, v21
	v_pk_mul_f32 v[110:111], v[180:181], v[110:111] op_sel_hi:[1,0]
	s_wait_loadcnt 0x3
	v_dual_add_f32 v118, v11, v13 :: v_dual_mov_b32 v120, v137
	v_pk_fma_f32 v[124:125], v[146:147], v[130:131], v[112:113] op_sel_hi:[1,0,1]
	v_fmac_f32_e32 v191, v143, v126
	v_pk_fma_f32 v[122:123], v[144:145], v[128:129], v[110:111] op_sel_hi:[1,0,1]
	v_fma_f32 v190, v142, v126, -v39
	v_pk_add_f32 v[118:119], v[118:119], v[188:189]
	v_pk_fma_f32 v[110:111], v[144:145], v[128:129], v[110:111] neg_lo:[0,0,1] neg_hi:[0,0,1]
	v_pk_fma_f32 v[112:113], v[146:147], v[130:131], v[112:113] neg_lo:[0,0,1] neg_hi:[0,0,1]
	v_pk_mul_f32 v[114:115], v[182:183], v[114:115] op_sel_hi:[1,0]
	v_dual_mov_b32 v111, v123 :: v_dual_mov_b32 v113, v125
	v_pk_add_f32 v[118:119], v[118:119], v[190:191]
	v_pk_mul_f32 v[116:117], v[150:151], v[134:135] op_sel:[1,1] op_sel_hi:[0,1]
	s_delay_alu instid0(VALU_DEP_4)
	v_pk_fma_f32 v[124:125], v[148:149], v[132:133], v[114:115] op_sel_hi:[1,0,1]
	v_pk_fma_f32 v[114:115], v[148:149], v[132:133], v[114:115] neg_lo:[0,0,1] neg_hi:[0,0,1]
	v_pk_mul_f32 v[120:121], v[184:185], v[120:121] op_sel_hi:[1,0]
	v_pk_add_f32 v[110:111], v[118:119], v[110:111]
	v_pk_fma_f32 v[118:119], v[150:151], v[134:135], v[116:117] op_sel_hi:[1,0,1]
	v_mov_b32_e32 v115, v125
	v_pk_fma_f32 v[116:117], v[150:151], v[134:135], v[116:117] neg_lo:[0,0,1] neg_hi:[0,0,1]
	s_wait_loadcnt 0x2
	v_pk_mul_f32 v[122:123], v[154:155], v[138:139] op_sel:[1,1] op_sel_hi:[0,1]
	v_pk_add_f32 v[110:111], v[110:111], v[112:113]
	v_dual_mov_b32 v112, v141 :: v_dual_mov_b32 v117, v119
	v_pk_fma_f32 v[118:119], v[152:153], v[136:137], v[120:121] op_sel_hi:[1,0,1]
	v_pk_fma_f32 v[120:121], v[152:153], v[136:137], v[120:121] neg_lo:[0,0,1] neg_hi:[0,0,1]
	s_delay_alu instid0(VALU_DEP_4)
	v_pk_add_f32 v[110:111], v[110:111], v[114:115]
	v_pk_fma_f32 v[114:115], v[154:155], v[138:139], v[122:123] op_sel_hi:[1,0,1]
	v_pk_mul_f32 v[112:113], v[186:187], v[112:113] op_sel_hi:[1,0]
	v_mov_b32_e32 v121, v119
	s_wait_loadcnt_dscnt 0x100
	v_pk_mul_f32 v[118:119], v[178:179], v[174:175] op_sel:[1,1] op_sel_hi:[0,1]
	v_pk_add_f32 v[110:111], v[110:111], v[116:117]
	v_pk_fma_f32 v[116:117], v[154:155], v[138:139], v[122:123] neg_lo:[0,0,1] neg_hi:[0,0,1]
	v_mov_b32_e32 v117, v115
	v_pk_fma_f32 v[114:115], v[156:157], v[140:141], v[112:113] op_sel_hi:[1,0,1]
	v_pk_fma_f32 v[112:113], v[156:157], v[140:141], v[112:113] neg_lo:[0,0,1] neg_hi:[0,0,1]
	v_pk_add_f32 v[110:111], v[110:111], v[120:121]
	s_delay_alu instid0(VALU_DEP_3) | instskip(SKIP_1) | instid1(VALU_DEP_3)
	v_mov_b32_e32 v113, v115
	v_pk_fma_f32 v[114:115], v[178:179], v[174:175], v[118:119] op_sel_hi:[1,0,1]
	v_pk_add_f32 v[110:111], v[110:111], v[116:117]
	v_pk_fma_f32 v[116:117], v[178:179], v[174:175], v[118:119] neg_lo:[0,0,1] neg_hi:[0,0,1]
	s_delay_alu instid0(VALU_DEP_3) | instskip(NEXT) | instid1(VALU_DEP_3)
	v_mov_b32_e32 v117, v115
	v_pk_add_f32 v[110:111], v[110:111], v[112:113]
	s_delay_alu instid0(VALU_DEP_1) | instskip(SKIP_1) | instid1(VALU_DEP_1)
	v_pk_add_f32 v[110:111], v[110:111], v[116:117]
	s_wait_loadcnt 0x0
	v_pk_add_f32 v[110:111], v[176:177], v[110:111] neg_lo:[0,1] neg_hi:[0,1]
	scratch_store_b64 off, v[110:111], off offset:288
	s_wait_xcnt 0x0
	v_cmpx_lt_u32_e32 35, v0
	s_cbranch_execz .LBB117_267
; %bb.266:
	scratch_load_b64 v[110:111], off, off offset:280
	v_mov_b64_e32 v[112:113], 0
	scratch_store_b64 off, v[112:113], off offset:280
	s_wait_loadcnt 0x0
	ds_store_b64 v1, v[110:111]
.LBB117_267:
	s_wait_xcnt 0x0
	s_or_b32 exec_lo, exec_lo, s0
	s_wait_storecnt_dscnt 0x0
	s_barrier_signal -1
	s_barrier_wait -1
	s_clause 0x9
	scratch_load_b128 v[110:113], off, off offset:288
	scratch_load_b128 v[114:117], off, off offset:304
	;; [unrolled: 1-line block ×9, first 2 shown]
	scratch_load_b64 v[182:183], off, off offset:280
	ds_load_b128 v[146:149], v7 offset:800
	ds_load_b128 v[150:153], v7 offset:816
	;; [unrolled: 1-line block ×9, first 2 shown]
	s_mov_b32 s0, exec_lo
	s_wait_dscnt 0x8
	v_dual_mov_b32 v184, v149 :: v_dual_mov_b32 v185, v148
	s_wait_dscnt 0x7
	v_dual_mov_b32 v186, v153 :: v_dual_mov_b32 v187, v152
	;; [unrolled: 2-line block ×4, first 2 shown]
	s_wait_loadcnt_dscnt 0x904
	v_dual_mul_f32 v7, v162, v111 :: v_dual_mul_f32 v9, v164, v113
	v_dual_mul_f32 v23, v163, v111 :: v_dual_mul_f32 v25, v165, v113
	s_wait_loadcnt_dscnt 0x803
	v_dual_mul_f32 v11, v166, v115 :: v_dual_mul_f32 v13, v168, v117
	s_delay_alu instid0(VALU_DEP_3) | instskip(SKIP_3) | instid1(VALU_DEP_3)
	v_dual_fmac_f32 v7, v163, v110 :: v_dual_fmac_f32 v9, v165, v112
	s_wait_loadcnt_dscnt 0x601
	v_dual_fma_f32 v23, v162, v110, -v23 :: v_dual_mul_f32 v35, v175, v123
	v_dual_mul_f32 v27, v167, v115 :: v_dual_mul_f32 v29, v169, v117
	v_dual_fma_f32 v25, v164, v112, -v25 :: v_dual_add_f32 v7, 0, v7
	s_delay_alu instid0(VALU_DEP_3) | instskip(SKIP_1) | instid1(VALU_DEP_3)
	v_dual_add_f32 v23, 0, v23 :: v_dual_mul_f32 v37, v177, v125
	v_dual_fmac_f32 v11, v167, v114 :: v_dual_fmac_f32 v13, v169, v116
	v_dual_fma_f32 v27, v166, v114, -v27 :: v_dual_add_f32 v7, v7, v9
	s_delay_alu instid0(VALU_DEP_3) | instskip(SKIP_2) | instid1(VALU_DEP_4)
	v_dual_add_f32 v9, v23, v25 :: v_dual_fma_f32 v25, v168, v116, -v29
	v_dual_mul_f32 v15, v170, v119 :: v_dual_mul_f32 v17, v172, v121
	v_dual_mul_f32 v31, v171, v119 :: v_dual_mul_f32 v33, v173, v121
	v_add_f32_e32 v7, v7, v11
	s_delay_alu instid0(VALU_DEP_3) | instskip(NEXT) | instid1(VALU_DEP_3)
	v_dual_add_f32 v9, v9, v27 :: v_dual_fmac_f32 v15, v171, v118
	v_fma_f32 v27, v170, v118, -v31
	v_dual_mul_f32 v19, v174, v123 :: v_dual_mul_f32 v21, v176, v125
	s_delay_alu instid0(VALU_DEP_4) | instskip(NEXT) | instid1(VALU_DEP_4)
	v_dual_add_f32 v7, v7, v13 :: v_dual_fmac_f32 v17, v173, v120
	v_dual_add_f32 v9, v9, v25 :: v_dual_fma_f32 v13, v172, v120, -v33
	s_wait_loadcnt 0x4
	s_delay_alu instid0(VALU_DEP_2) | instskip(NEXT) | instid1(VALU_DEP_2)
	v_dual_mov_b32 v112, v133 :: v_dual_add_f32 v7, v7, v15
	v_dual_fmac_f32 v19, v175, v122 :: v_dual_add_f32 v9, v9, v27
	v_fma_f32 v15, v174, v122, -v35
	s_wait_dscnt 0x0
	v_dual_mul_f32 v193, v178, v127 :: v_dual_mul_f32 v195, v180, v129
	v_add_f32_e32 v7, v7, v17
	v_dual_add_f32 v9, v9, v13 :: v_dual_fma_f32 v13, v176, v124, -v37
	v_dual_mul_f32 v23, v179, v127 :: v_dual_mul_f32 v11, v181, v129
	s_delay_alu instid0(VALU_DEP_3) | instskip(NEXT) | instid1(VALU_DEP_3)
	v_dual_fmac_f32 v21, v177, v124 :: v_dual_add_f32 v7, v7, v19
	v_dual_add_f32 v9, v9, v15 :: v_dual_fmac_f32 v193, v179, v126
	v_pk_mul_f32 v[110:111], v[146:147], v[130:131] op_sel:[1,1] op_sel_hi:[0,1]
	s_wait_loadcnt 0x3
	v_dual_mov_b32 v116, v137 :: v_dual_fma_f32 v192, v178, v126, -v23
	v_dual_add_f32 v119, v7, v21 :: v_dual_fmac_f32 v195, v181, v128
	v_dual_add_f32 v118, v9, v13 :: v_dual_fma_f32 v194, v180, v128, -v11
	v_pk_fma_f32 v[120:121], v[146:147], v[130:131], v[110:111] op_sel_hi:[1,0,1]
	v_pk_mul_f32 v[112:113], v[184:185], v[112:113] op_sel_hi:[1,0]
	v_pk_fma_f32 v[110:111], v[146:147], v[130:131], v[110:111] neg_lo:[0,0,1] neg_hi:[0,0,1]
	s_delay_alu instid0(VALU_DEP_4)
	v_pk_add_f32 v[118:119], v[118:119], v[192:193]
	v_pk_mul_f32 v[114:115], v[150:151], v[134:135] op_sel:[1,1] op_sel_hi:[0,1]
	v_mov_b32_e32 v111, v121
	v_pk_fma_f32 v[120:121], v[148:149], v[132:133], v[112:113] op_sel_hi:[1,0,1]
	v_pk_fma_f32 v[112:113], v[148:149], v[132:133], v[112:113] neg_lo:[0,0,1] neg_hi:[0,0,1]
	v_pk_add_f32 v[118:119], v[118:119], v[194:195]
	v_pk_fma_f32 v[124:125], v[150:151], v[134:135], v[114:115] op_sel_hi:[1,0,1]
	v_pk_mul_f32 v[116:117], v[186:187], v[116:117] op_sel_hi:[1,0]
	v_mov_b32_e32 v113, v121
	s_wait_loadcnt 0x2
	v_pk_mul_f32 v[122:123], v[154:155], v[138:139] op_sel:[1,1] op_sel_hi:[0,1]
	v_pk_add_f32 v[110:111], v[118:119], v[110:111]
	v_mov_b32_e32 v118, v141
	v_pk_fma_f32 v[114:115], v[150:151], v[134:135], v[114:115] neg_lo:[0,0,1] neg_hi:[0,0,1]
	v_mov_b32_e32 v115, v125
	v_pk_fma_f32 v[120:121], v[152:153], v[136:137], v[116:117] op_sel_hi:[1,0,1]
	v_pk_add_f32 v[110:111], v[110:111], v[112:113]
	v_pk_fma_f32 v[112:113], v[154:155], v[138:139], v[122:123] op_sel_hi:[1,0,1]
	v_pk_mul_f32 v[118:119], v[188:189], v[118:119] op_sel_hi:[1,0]
	v_pk_fma_f32 v[116:117], v[152:153], v[136:137], v[116:117] neg_lo:[0,0,1] neg_hi:[0,0,1]
	v_mov_b32_e32 v117, v121
	v_pk_add_f32 v[110:111], v[110:111], v[114:115]
	v_pk_fma_f32 v[120:121], v[154:155], v[138:139], v[122:123] neg_lo:[0,0,1] neg_hi:[0,0,1]
	v_mov_b32_e32 v121, v113
	v_pk_fma_f32 v[112:113], v[156:157], v[140:141], v[118:119] op_sel_hi:[1,0,1]
	s_wait_loadcnt 0x1
	v_pk_mul_f32 v[114:115], v[158:159], v[142:143] op_sel:[1,1] op_sel_hi:[0,1]
	v_pk_add_f32 v[110:111], v[110:111], v[116:117]
	v_mov_b32_e32 v112, v145
	v_pk_fma_f32 v[118:119], v[156:157], v[140:141], v[118:119] neg_lo:[0,0,1] neg_hi:[0,0,1]
	v_mov_b32_e32 v119, v113
	v_pk_fma_f32 v[116:117], v[158:159], v[142:143], v[114:115] op_sel_hi:[1,0,1]
	v_pk_add_f32 v[110:111], v[110:111], v[120:121]
	v_pk_mul_f32 v[112:113], v[190:191], v[112:113] op_sel_hi:[1,0]
	v_pk_fma_f32 v[114:115], v[158:159], v[142:143], v[114:115] neg_lo:[0,0,1] neg_hi:[0,0,1]
	s_delay_alu instid0(VALU_DEP_4) | instskip(NEXT) | instid1(VALU_DEP_4)
	v_mov_b32_e32 v115, v117
	v_pk_add_f32 v[110:111], v[110:111], v[118:119]
	s_delay_alu instid0(VALU_DEP_4) | instskip(SKIP_1) | instid1(VALU_DEP_2)
	v_pk_fma_f32 v[116:117], v[160:161], v[144:145], v[112:113] op_sel_hi:[1,0,1]
	v_pk_fma_f32 v[112:113], v[160:161], v[144:145], v[112:113] neg_lo:[0,0,1] neg_hi:[0,0,1]
	v_mov_b32_e32 v113, v117
	s_delay_alu instid0(VALU_DEP_4) | instskip(NEXT) | instid1(VALU_DEP_1)
	v_pk_add_f32 v[110:111], v[110:111], v[114:115]
	v_pk_add_f32 v[110:111], v[110:111], v[112:113]
	s_wait_loadcnt 0x0
	s_delay_alu instid0(VALU_DEP_1)
	v_pk_add_f32 v[110:111], v[182:183], v[110:111] neg_lo:[0,1] neg_hi:[0,1]
	scratch_store_b64 off, v[110:111], off offset:280
	s_wait_xcnt 0x0
	v_cmpx_lt_u32_e32 34, v0
	s_cbranch_execz .LBB117_269
; %bb.268:
	scratch_load_b64 v[110:111], off, off offset:272
	v_mov_b64_e32 v[112:113], 0
	scratch_store_b64 off, v[112:113], off offset:272
	s_wait_loadcnt 0x0
	ds_store_b64 v1, v[110:111]
.LBB117_269:
	s_wait_xcnt 0x0
	s_or_b32 exec_lo, exec_lo, s0
	s_wait_storecnt_dscnt 0x0
	s_barrier_signal -1
	s_barrier_wait -1
	s_clause 0xa
	scratch_load_b128 v[110:113], off, off offset:280
	scratch_load_b128 v[114:117], off, off offset:296
	;; [unrolled: 1-line block ×9, first 2 shown]
	scratch_load_b64 v[182:183], off, off offset:424
	scratch_load_b64 v[184:185], off, off offset:272
	v_mov_b32_e32 v7, 0
	ds_load_2addr_b64 v[146:149], v7 offset0:99 offset1:100
	ds_load_2addr_b64 v[150:153], v7 offset0:101 offset1:102
	;; [unrolled: 1-line block ×9, first 2 shown]
	ds_load_b64 v[186:187], v7 offset:856
	s_mov_b32 s0, exec_lo
	s_wait_dscnt 0x9
	v_dual_mov_b32 v188, v149 :: v_dual_mov_b32 v189, v148
	s_wait_dscnt 0x6
	v_dual_mov_b32 v190, v153 :: v_dual_mov_b32 v195, v160
	v_dual_mov_b32 v191, v152 :: v_dual_mov_b32 v192, v157
	;; [unrolled: 1-line block ×3, first 2 shown]
	s_wait_loadcnt_dscnt 0xa05
	v_dual_mul_f32 v9, v162, v111 :: v_dual_mul_f32 v27, v163, v111
	v_dual_mul_f32 v29, v165, v113 :: v_dual_mul_f32 v11, v164, v113
	s_wait_loadcnt_dscnt 0x904
	v_mul_f32_e32 v13, v166, v115
	s_wait_loadcnt_dscnt 0x702
	v_dual_mul_f32 v39, v175, v123 :: v_dual_fma_f32 v27, v162, v110, -v27
	v_dual_fmac_f32 v9, v163, v110 :: v_dual_mul_f32 v41, v177, v125
	v_dual_mul_f32 v31, v167, v115 :: v_dual_mul_f32 v33, v169, v117
	v_dual_fmac_f32 v11, v165, v112 :: v_dual_fma_f32 v29, v164, v112, -v29
	s_delay_alu instid0(VALU_DEP_3) | instskip(SKIP_3) | instid1(VALU_DEP_3)
	v_dual_add_f32 v9, 0, v9 :: v_dual_add_f32 v27, 0, v27
	v_dual_mul_f32 v15, v168, v117 :: v_dual_mul_f32 v17, v170, v119
	s_wait_loadcnt_dscnt 0x601
	v_dual_mul_f32 v43, v179, v127 :: v_dual_fma_f32 v31, v166, v114, -v31
	v_dual_fmac_f32 v13, v167, v114 :: v_dual_add_f32 v9, v9, v11
	s_delay_alu instid0(VALU_DEP_3) | instskip(SKIP_2) | instid1(VALU_DEP_3)
	v_dual_add_f32 v11, v27, v29 :: v_dual_fmac_f32 v15, v169, v116
	v_dual_mul_f32 v35, v171, v119 :: v_dual_mul_f32 v37, v173, v121
	v_dual_mul_f32 v27, v181, v129 :: v_dual_fma_f32 v29, v168, v116, -v33
	v_dual_add_f32 v9, v9, v13 :: v_dual_add_f32 v11, v11, v31
	v_dual_mul_f32 v19, v172, v121 :: v_dual_mul_f32 v21, v174, v123
	s_wait_loadcnt 0x5
	v_dual_mul_f32 v13, v147, v131 :: v_dual_fma_f32 v31, v170, v118, -v35
	s_delay_alu instid0(VALU_DEP_3) | instskip(SKIP_2) | instid1(VALU_DEP_2)
	v_dual_fmac_f32 v17, v171, v118 :: v_dual_add_f32 v9, v9, v15
	v_dual_add_f32 v11, v11, v29 :: v_dual_mov_b32 v110, v133
	v_dual_fmac_f32 v19, v173, v120 :: v_dual_fma_f32 v15, v172, v120, -v37
	v_dual_add_f32 v9, v9, v17 :: v_dual_add_f32 v11, v11, v31
	v_dual_mul_f32 v23, v176, v125 :: v_dual_mul_f32 v25, v178, v127
	v_dual_fmac_f32 v21, v175, v122 :: v_dual_fma_f32 v17, v174, v122, -v39
	s_delay_alu instid0(VALU_DEP_3) | instskip(SKIP_3) | instid1(VALU_DEP_3)
	v_add_f32_e32 v9, v9, v19
	s_wait_loadcnt 0x4
	v_dual_add_f32 v11, v11, v15 :: v_dual_mov_b32 v114, v137
	v_dual_fmac_f32 v23, v177, v124 :: v_dual_fma_f32 v15, v176, v124, -v41
	v_dual_add_f32 v9, v9, v21 :: v_dual_fmac_f32 v25, v179, v126
	s_delay_alu instid0(VALU_DEP_3) | instskip(SKIP_1) | instid1(VALU_DEP_3)
	v_add_f32_e32 v11, v11, v17
	v_dual_mul_f32 v197, v180, v129 :: v_dual_mul_f32 v199, v146, v131
	v_dual_fma_f32 v17, v178, v126, -v43 :: v_dual_add_f32 v9, v9, v23
	s_delay_alu instid0(VALU_DEP_2) | instskip(SKIP_2) | instid1(VALU_DEP_4)
	v_dual_add_f32 v11, v11, v15 :: v_dual_fmac_f32 v197, v181, v128
	v_fma_f32 v196, v180, v128, -v27
	v_pk_mul_f32 v[110:111], v[188:189], v[110:111] op_sel_hi:[1,0]
	v_add_f32_e32 v119, v9, v25
	s_wait_loadcnt 0x3
	v_dual_add_f32 v118, v11, v17 :: v_dual_mov_b32 v120, v141
	v_pk_mul_f32 v[112:113], v[150:151], v[134:135] op_sel:[1,1] op_sel_hi:[0,1]
	v_dual_fmac_f32 v199, v147, v130 :: v_dual_fma_f32 v198, v146, v130, -v13
	v_pk_fma_f32 v[122:123], v[148:149], v[132:133], v[110:111] op_sel_hi:[1,0,1]
	s_delay_alu instid0(VALU_DEP_4)
	v_pk_add_f32 v[118:119], v[118:119], v[196:197]
	v_pk_fma_f32 v[110:111], v[148:149], v[132:133], v[110:111] neg_lo:[0,0,1] neg_hi:[0,0,1]
	v_pk_fma_f32 v[124:125], v[150:151], v[134:135], v[112:113] op_sel_hi:[1,0,1]
	v_pk_mul_f32 v[114:115], v[190:191], v[114:115] op_sel_hi:[1,0]
	v_mov_b32_e32 v111, v123
	v_pk_add_f32 v[118:119], v[118:119], v[198:199]
	v_pk_fma_f32 v[112:113], v[150:151], v[134:135], v[112:113] neg_lo:[0,0,1] neg_hi:[0,0,1]
	v_pk_mul_f32 v[116:117], v[154:155], v[138:139] op_sel:[1,1] op_sel_hi:[0,1]
	v_mov_b32_e32 v113, v125
	v_pk_fma_f32 v[124:125], v[152:153], v[136:137], v[114:115] op_sel_hi:[1,0,1]
	v_pk_add_f32 v[110:111], v[118:119], v[110:111]
	v_pk_fma_f32 v[114:115], v[152:153], v[136:137], v[114:115] neg_lo:[0,0,1] neg_hi:[0,0,1]
	v_pk_fma_f32 v[118:119], v[154:155], v[138:139], v[116:117] op_sel_hi:[1,0,1]
	v_pk_mul_f32 v[120:121], v[192:193], v[120:121] op_sel_hi:[1,0]
	v_mov_b32_e32 v115, v125
	v_pk_add_f32 v[110:111], v[110:111], v[112:113]
	v_pk_fma_f32 v[116:117], v[154:155], v[138:139], v[116:117] neg_lo:[0,0,1] neg_hi:[0,0,1]
	s_wait_loadcnt 0x2
	v_pk_mul_f32 v[122:123], v[158:159], v[142:143] op_sel:[1,1] op_sel_hi:[0,1]
	v_dual_mov_b32 v112, v145 :: v_dual_mov_b32 v117, v119
	v_pk_fma_f32 v[118:119], v[156:157], v[140:141], v[120:121] op_sel_hi:[1,0,1]
	v_pk_add_f32 v[110:111], v[110:111], v[114:115]
	v_pk_fma_f32 v[120:121], v[156:157], v[140:141], v[120:121] neg_lo:[0,0,1] neg_hi:[0,0,1]
	v_pk_fma_f32 v[114:115], v[158:159], v[142:143], v[122:123] op_sel_hi:[1,0,1]
	v_pk_mul_f32 v[112:113], v[194:195], v[112:113] op_sel_hi:[1,0]
	v_mov_b32_e32 v121, v119
	v_pk_add_f32 v[110:111], v[110:111], v[116:117]
	v_pk_fma_f32 v[116:117], v[158:159], v[142:143], v[122:123] neg_lo:[0,0,1] neg_hi:[0,0,1]
	v_mov_b32_e32 v117, v115
	v_pk_fma_f32 v[114:115], v[160:161], v[144:145], v[112:113] op_sel_hi:[1,0,1]
	s_wait_loadcnt_dscnt 0x100
	v_pk_mul_f32 v[118:119], v[186:187], v[182:183] op_sel:[1,1] op_sel_hi:[0,1]
	v_pk_add_f32 v[110:111], v[110:111], v[120:121]
	v_pk_fma_f32 v[112:113], v[160:161], v[144:145], v[112:113] neg_lo:[0,0,1] neg_hi:[0,0,1]
	v_mov_b32_e32 v113, v115
	s_delay_alu instid0(VALU_DEP_4) | instskip(NEXT) | instid1(VALU_DEP_4)
	v_pk_fma_f32 v[114:115], v[186:187], v[182:183], v[118:119] op_sel_hi:[1,0,1]
	v_pk_add_f32 v[110:111], v[110:111], v[116:117]
	v_pk_fma_f32 v[116:117], v[186:187], v[182:183], v[118:119] neg_lo:[0,0,1] neg_hi:[0,0,1]
	s_delay_alu instid0(VALU_DEP_3) | instskip(NEXT) | instid1(VALU_DEP_3)
	v_mov_b32_e32 v117, v115
	v_pk_add_f32 v[110:111], v[110:111], v[112:113]
	s_delay_alu instid0(VALU_DEP_1) | instskip(SKIP_1) | instid1(VALU_DEP_1)
	v_pk_add_f32 v[110:111], v[110:111], v[116:117]
	s_wait_loadcnt 0x0
	v_pk_add_f32 v[110:111], v[184:185], v[110:111] neg_lo:[0,1] neg_hi:[0,1]
	scratch_store_b64 off, v[110:111], off offset:272
	s_wait_xcnt 0x0
	v_cmpx_lt_u32_e32 33, v0
	s_cbranch_execz .LBB117_271
; %bb.270:
	scratch_load_b64 v[110:111], off, off offset:264
	v_mov_b64_e32 v[112:113], 0
	scratch_store_b64 off, v[112:113], off offset:264
	s_wait_loadcnt 0x0
	ds_store_b64 v1, v[110:111]
.LBB117_271:
	s_wait_xcnt 0x0
	s_or_b32 exec_lo, exec_lo, s0
	s_wait_storecnt_dscnt 0x0
	s_barrier_signal -1
	s_barrier_wait -1
	s_clause 0xa
	scratch_load_b128 v[110:113], off, off offset:272
	scratch_load_b128 v[114:117], off, off offset:288
	;; [unrolled: 1-line block ×10, first 2 shown]
	scratch_load_b64 v[190:191], off, off offset:264
	ds_load_b128 v[150:153], v7 offset:800
	ds_load_b128 v[154:157], v7 offset:816
	;; [unrolled: 1-line block ×10, first 2 shown]
	s_mov_b32 s0, exec_lo
	s_wait_dscnt 0x9
	v_dual_mov_b32 v192, v153 :: v_dual_mov_b32 v193, v152
	s_wait_dscnt 0x8
	v_dual_mov_b32 v194, v157 :: v_dual_mov_b32 v195, v156
	;; [unrolled: 2-line block ×4, first 2 shown]
	s_wait_loadcnt_dscnt 0xa05
	v_dual_mul_f32 v7, v166, v111 :: v_dual_mul_f32 v9, v168, v113
	v_dual_mul_f32 v27, v167, v111 :: v_dual_mul_f32 v29, v169, v113
	s_wait_loadcnt_dscnt 0x904
	v_dual_mul_f32 v11, v170, v115 :: v_dual_mul_f32 v13, v172, v117
	s_delay_alu instid0(VALU_DEP_3) | instskip(SKIP_3) | instid1(VALU_DEP_3)
	v_dual_fmac_f32 v7, v167, v110 :: v_dual_fmac_f32 v9, v169, v112
	s_wait_loadcnt_dscnt 0x702
	v_dual_fma_f32 v27, v166, v110, -v27 :: v_dual_mul_f32 v39, v179, v123
	v_dual_mul_f32 v31, v171, v115 :: v_dual_mul_f32 v33, v173, v117
	v_dual_fma_f32 v29, v168, v112, -v29 :: v_dual_add_f32 v7, 0, v7
	s_delay_alu instid0(VALU_DEP_3) | instskip(SKIP_1) | instid1(VALU_DEP_3)
	v_dual_add_f32 v27, 0, v27 :: v_dual_mul_f32 v41, v181, v125
	v_dual_fmac_f32 v11, v171, v114 :: v_dual_fmac_f32 v13, v173, v116
	v_dual_fma_f32 v31, v170, v114, -v31 :: v_dual_add_f32 v7, v7, v9
	s_delay_alu instid0(VALU_DEP_3) | instskip(SKIP_2) | instid1(VALU_DEP_4)
	v_dual_add_f32 v9, v27, v29 :: v_dual_fma_f32 v29, v172, v116, -v33
	v_dual_mul_f32 v15, v174, v119 :: v_dual_mul_f32 v17, v176, v121
	v_dual_mul_f32 v35, v175, v119 :: v_dual_mul_f32 v37, v177, v121
	v_add_f32_e32 v7, v7, v11
	s_delay_alu instid0(VALU_DEP_3) | instskip(NEXT) | instid1(VALU_DEP_3)
	v_dual_add_f32 v9, v9, v31 :: v_dual_fmac_f32 v15, v175, v118
	v_fma_f32 v31, v174, v118, -v35
	v_dual_mul_f32 v19, v178, v123 :: v_dual_mul_f32 v21, v180, v125
	s_delay_alu instid0(VALU_DEP_4) | instskip(SKIP_2) | instid1(VALU_DEP_2)
	v_dual_add_f32 v7, v7, v13 :: v_dual_fmac_f32 v17, v177, v120
	s_wait_loadcnt_dscnt 0x500
	v_dual_add_f32 v9, v9, v29 :: v_dual_mul_f32 v13, v187, v131
	v_dual_fma_f32 v29, v176, v120, -v37 :: v_dual_add_f32 v7, v7, v15
	v_mul_f32_e32 v15, v189, v133
	s_delay_alu instid0(VALU_DEP_3) | instskip(NEXT) | instid1(VALU_DEP_3)
	v_dual_add_f32 v9, v9, v31 :: v_dual_fmac_f32 v19, v179, v122
	v_dual_fma_f32 v31, v178, v122, -v39 :: v_dual_add_f32 v7, v7, v17
	v_fmac_f32_e32 v21, v181, v124
	s_delay_alu instid0(VALU_DEP_3) | instskip(SKIP_4) | instid1(VALU_DEP_3)
	v_dual_add_f32 v9, v9, v29 :: v_dual_fma_f32 v17, v180, v124, -v41
	v_dual_mul_f32 v23, v182, v127 :: v_dual_mul_f32 v25, v184, v129
	v_dual_mul_f32 v27, v183, v127 :: v_dual_mul_f32 v11, v185, v129
	s_wait_loadcnt 0x4
	v_dual_add_f32 v7, v7, v19 :: v_dual_mov_b32 v112, v137
	v_dual_add_f32 v9, v9, v31 :: v_dual_fmac_f32 v23, v183, v126
	s_delay_alu instid0(VALU_DEP_2) | instskip(SKIP_1) | instid1(VALU_DEP_3)
	v_dual_fma_f32 v19, v182, v126, -v27 :: v_dual_add_f32 v7, v7, v21
	v_dual_mul_f32 v201, v186, v131 :: v_dual_mul_f32 v203, v188, v133
	v_dual_add_f32 v9, v9, v17 :: v_dual_fma_f32 v11, v184, v128, -v11
	s_delay_alu instid0(VALU_DEP_3) | instskip(SKIP_1) | instid1(VALU_DEP_3)
	v_dual_fmac_f32 v25, v185, v128 :: v_dual_add_f32 v7, v7, v23
	v_pk_mul_f32 v[110:111], v[150:151], v[134:135] op_sel:[1,1] op_sel_hi:[0,1]
	v_dual_add_f32 v9, v9, v19 :: v_dual_fmac_f32 v201, v187, v130
	s_wait_loadcnt 0x3
	v_dual_mov_b32 v116, v141 :: v_dual_fma_f32 v200, v186, v130, -v13
	s_delay_alu instid0(VALU_DEP_2)
	v_dual_add_f32 v119, v7, v25 :: v_dual_add_f32 v118, v9, v11
	v_fmac_f32_e32 v203, v189, v132
	v_pk_fma_f32 v[120:121], v[150:151], v[134:135], v[110:111] op_sel_hi:[1,0,1]
	v_fma_f32 v202, v188, v132, -v15
	v_pk_mul_f32 v[112:113], v[192:193], v[112:113] op_sel_hi:[1,0]
	v_pk_add_f32 v[118:119], v[118:119], v[200:201]
	v_pk_fma_f32 v[110:111], v[150:151], v[134:135], v[110:111] neg_lo:[0,0,1] neg_hi:[0,0,1]
	v_pk_mul_f32 v[114:115], v[154:155], v[138:139] op_sel:[1,1] op_sel_hi:[0,1]
	v_mov_b32_e32 v111, v121
	v_pk_fma_f32 v[120:121], v[152:153], v[136:137], v[112:113] op_sel_hi:[1,0,1]
	v_pk_add_f32 v[118:119], v[118:119], v[202:203]
	v_pk_fma_f32 v[112:113], v[152:153], v[136:137], v[112:113] neg_lo:[0,0,1] neg_hi:[0,0,1]
	v_pk_fma_f32 v[124:125], v[154:155], v[138:139], v[114:115] op_sel_hi:[1,0,1]
	v_pk_mul_f32 v[116:117], v[194:195], v[116:117] op_sel_hi:[1,0]
	v_mov_b32_e32 v113, v121
	v_pk_add_f32 v[110:111], v[118:119], v[110:111]
	s_wait_loadcnt 0x2
	v_pk_mul_f32 v[122:123], v[158:159], v[142:143] op_sel:[1,1] op_sel_hi:[0,1]
	v_mov_b32_e32 v118, v145
	v_pk_fma_f32 v[114:115], v[154:155], v[138:139], v[114:115] neg_lo:[0,0,1] neg_hi:[0,0,1]
	v_pk_fma_f32 v[120:121], v[156:157], v[140:141], v[116:117] op_sel_hi:[1,0,1]
	v_mov_b32_e32 v115, v125
	v_pk_add_f32 v[110:111], v[110:111], v[112:113]
	v_pk_fma_f32 v[112:113], v[158:159], v[142:143], v[122:123] op_sel_hi:[1,0,1]
	v_pk_mul_f32 v[118:119], v[196:197], v[118:119] op_sel_hi:[1,0]
	v_pk_fma_f32 v[116:117], v[156:157], v[140:141], v[116:117] neg_lo:[0,0,1] neg_hi:[0,0,1]
	v_mov_b32_e32 v117, v121
	v_pk_add_f32 v[110:111], v[110:111], v[114:115]
	v_pk_fma_f32 v[120:121], v[158:159], v[142:143], v[122:123] neg_lo:[0,0,1] neg_hi:[0,0,1]
	v_mov_b32_e32 v121, v113
	v_pk_fma_f32 v[112:113], v[160:161], v[144:145], v[118:119] op_sel_hi:[1,0,1]
	s_wait_loadcnt 0x1
	v_pk_mul_f32 v[114:115], v[162:163], v[146:147] op_sel:[1,1] op_sel_hi:[0,1]
	v_pk_add_f32 v[110:111], v[110:111], v[116:117]
	v_mov_b32_e32 v112, v149
	v_pk_fma_f32 v[118:119], v[160:161], v[144:145], v[118:119] neg_lo:[0,0,1] neg_hi:[0,0,1]
	s_delay_alu instid0(VALU_DEP_4)
	v_pk_fma_f32 v[116:117], v[162:163], v[146:147], v[114:115] op_sel_hi:[1,0,1]
	v_mov_b32_e32 v119, v113
	v_pk_add_f32 v[110:111], v[110:111], v[120:121]
	v_pk_mul_f32 v[112:113], v[198:199], v[112:113] op_sel_hi:[1,0]
	v_pk_fma_f32 v[114:115], v[162:163], v[146:147], v[114:115] neg_lo:[0,0,1] neg_hi:[0,0,1]
	v_mov_b32_e32 v115, v117
	s_delay_alu instid0(VALU_DEP_4) | instskip(NEXT) | instid1(VALU_DEP_4)
	v_pk_add_f32 v[110:111], v[110:111], v[118:119]
	v_pk_fma_f32 v[116:117], v[164:165], v[148:149], v[112:113] op_sel_hi:[1,0,1]
	v_pk_fma_f32 v[112:113], v[164:165], v[148:149], v[112:113] neg_lo:[0,0,1] neg_hi:[0,0,1]
	s_delay_alu instid0(VALU_DEP_3) | instskip(NEXT) | instid1(VALU_DEP_3)
	v_pk_add_f32 v[110:111], v[110:111], v[114:115]
	v_mov_b32_e32 v113, v117
	s_delay_alu instid0(VALU_DEP_1) | instskip(SKIP_1) | instid1(VALU_DEP_1)
	v_pk_add_f32 v[110:111], v[110:111], v[112:113]
	s_wait_loadcnt 0x0
	v_pk_add_f32 v[110:111], v[190:191], v[110:111] neg_lo:[0,1] neg_hi:[0,1]
	scratch_store_b64 off, v[110:111], off offset:264
	s_wait_xcnt 0x0
	v_cmpx_lt_u32_e32 32, v0
	s_cbranch_execz .LBB117_273
; %bb.272:
	scratch_load_b64 v[110:111], off, off offset:256
	v_mov_b64_e32 v[112:113], 0
	scratch_store_b64 off, v[112:113], off offset:256
	s_wait_loadcnt 0x0
	ds_store_b64 v1, v[110:111]
.LBB117_273:
	s_wait_xcnt 0x0
	s_or_b32 exec_lo, exec_lo, s0
	s_wait_storecnt_dscnt 0x0
	s_barrier_signal -1
	s_barrier_wait -1
	s_clause 0xb
	scratch_load_b128 v[110:113], off, off offset:264
	scratch_load_b128 v[114:117], off, off offset:280
	;; [unrolled: 1-line block ×10, first 2 shown]
	scratch_load_b64 v[190:191], off, off offset:424
	scratch_load_b64 v[192:193], off, off offset:256
	v_mov_b32_e32 v7, 0
	ds_load_2addr_b64 v[150:153], v7 offset0:99 offset1:100
	ds_load_2addr_b64 v[154:157], v7 offset0:101 offset1:102
	ds_load_2addr_b64 v[158:161], v7 offset0:103 offset1:104
	ds_load_2addr_b64 v[162:165], v7 offset0:105 offset1:106
	ds_load_2addr_b64 v[166:169], v7 offset0:87 offset1:88
	ds_load_2addr_b64 v[170:173], v7 offset0:89 offset1:90
	ds_load_2addr_b64 v[174:177], v7 offset0:91 offset1:92
	ds_load_2addr_b64 v[178:181], v7 offset0:93 offset1:94
	ds_load_2addr_b64 v[182:185], v7 offset0:95 offset1:96
	ds_load_2addr_b64 v[186:189], v7 offset0:97 offset1:98
	ds_load_b64 v[194:195], v7 offset:856
	s_mov_b32 s0, exec_lo
	s_wait_dscnt 0xa
	v_dual_mov_b32 v196, v153 :: v_dual_mov_b32 v197, v152
	s_wait_dscnt 0x7
	v_dual_mov_b32 v198, v157 :: v_dual_mov_b32 v203, v164
	v_dual_mov_b32 v199, v156 :: v_dual_mov_b32 v200, v161
	;; [unrolled: 1-line block ×3, first 2 shown]
	s_wait_loadcnt_dscnt 0xb06
	v_dual_mul_f32 v9, v166, v111 :: v_dual_mul_f32 v31, v167, v111
	v_dual_mul_f32 v33, v169, v113 :: v_dual_mul_f32 v11, v168, v113
	s_wait_loadcnt_dscnt 0xa05
	v_mul_f32_e32 v13, v170, v115
	s_wait_loadcnt_dscnt 0x803
	v_dual_mul_f32 v43, v179, v123 :: v_dual_fma_f32 v31, v166, v110, -v31
	v_dual_fmac_f32 v9, v167, v110 :: v_dual_mul_f32 v45, v181, v125
	v_dual_mul_f32 v35, v171, v115 :: v_dual_mul_f32 v37, v173, v117
	v_dual_fmac_f32 v11, v169, v112 :: v_dual_fma_f32 v33, v168, v112, -v33
	s_delay_alu instid0(VALU_DEP_3) | instskip(SKIP_3) | instid1(VALU_DEP_3)
	v_dual_add_f32 v9, 0, v9 :: v_dual_add_f32 v31, 0, v31
	v_dual_mul_f32 v15, v172, v117 :: v_dual_mul_f32 v17, v174, v119
	s_wait_loadcnt_dscnt 0x702
	v_dual_mul_f32 v47, v183, v127 :: v_dual_fma_f32 v35, v170, v114, -v35
	v_dual_fmac_f32 v13, v171, v114 :: v_dual_add_f32 v9, v9, v11
	s_delay_alu instid0(VALU_DEP_3) | instskip(SKIP_2) | instid1(VALU_DEP_3)
	v_dual_add_f32 v11, v31, v33 :: v_dual_fmac_f32 v15, v173, v116
	v_dual_mul_f32 v39, v175, v119 :: v_dual_mul_f32 v41, v177, v121
	v_dual_mul_f32 v31, v185, v129 :: v_dual_fma_f32 v33, v172, v116, -v37
	v_dual_add_f32 v9, v9, v13 :: v_dual_add_f32 v11, v11, v35
	v_dual_mul_f32 v19, v176, v121 :: v_dual_mul_f32 v21, v178, v123
	s_wait_loadcnt_dscnt 0x601
	v_dual_mul_f32 v13, v187, v131 :: v_dual_fma_f32 v35, v174, v118, -v39
	s_delay_alu instid0(VALU_DEP_3) | instskip(NEXT) | instid1(VALU_DEP_3)
	v_dual_fmac_f32 v17, v175, v118 :: v_dual_add_f32 v9, v9, v15
	v_dual_add_f32 v11, v11, v33 :: v_dual_fmac_f32 v19, v177, v120
	v_dual_mul_f32 v15, v189, v133 :: v_dual_fma_f32 v33, v176, v120, -v41
	s_delay_alu instid0(VALU_DEP_2) | instskip(SKIP_3) | instid1(VALU_DEP_3)
	v_dual_add_f32 v9, v9, v17 :: v_dual_add_f32 v11, v11, v35
	v_dual_mul_f32 v23, v180, v125 :: v_dual_mul_f32 v25, v182, v127
	s_wait_loadcnt 0x5
	v_dual_mul_f32 v17, v151, v135 :: v_dual_fma_f32 v35, v178, v122, -v43
	v_dual_fmac_f32 v21, v179, v122 :: v_dual_add_f32 v9, v9, v19
	v_dual_add_f32 v11, v11, v33 :: v_dual_mov_b32 v110, v137
	v_dual_fmac_f32 v23, v181, v124 :: v_dual_fma_f32 v19, v180, v124, -v45
	s_delay_alu instid0(VALU_DEP_2) | instskip(SKIP_2) | instid1(VALU_DEP_3)
	v_dual_add_f32 v9, v9, v21 :: v_dual_add_f32 v11, v11, v35
	v_dual_mul_f32 v27, v184, v129 :: v_dual_mul_f32 v29, v186, v131
	v_dual_fmac_f32 v25, v183, v126 :: v_dual_fma_f32 v21, v182, v126, -v47
	v_add_f32_e32 v9, v9, v23
	s_wait_loadcnt 0x4
	v_dual_add_f32 v11, v11, v19 :: v_dual_mov_b32 v114, v141
	v_fmac_f32_e32 v27, v185, v128
	s_delay_alu instid0(VALU_DEP_3) | instskip(SKIP_1) | instid1(VALU_DEP_4)
	v_dual_fma_f32 v19, v184, v128, -v31 :: v_dual_add_f32 v9, v9, v25
	v_fmac_f32_e32 v29, v187, v130
	v_add_f32_e32 v11, v11, v21
	v_dual_mul_f32 v205, v188, v133 :: v_dual_mul_f32 v207, v150, v135
	s_delay_alu instid0(VALU_DEP_4) | instskip(NEXT) | instid1(VALU_DEP_2)
	v_dual_fma_f32 v13, v186, v130, -v13 :: v_dual_add_f32 v9, v9, v27
	v_dual_add_f32 v11, v11, v19 :: v_dual_fmac_f32 v205, v189, v132
	v_fma_f32 v204, v188, v132, -v15
	v_pk_mul_f32 v[110:111], v[196:197], v[110:111] op_sel_hi:[1,0]
	s_delay_alu instid0(VALU_DEP_4)
	v_add_f32_e32 v119, v9, v29
	s_wait_loadcnt 0x3
	v_dual_add_f32 v118, v11, v13 :: v_dual_mov_b32 v120, v145
	v_pk_mul_f32 v[112:113], v[154:155], v[138:139] op_sel:[1,1] op_sel_hi:[0,1]
	v_dual_fmac_f32 v207, v151, v134 :: v_dual_fma_f32 v206, v150, v134, -v17
	v_pk_fma_f32 v[122:123], v[152:153], v[136:137], v[110:111] op_sel_hi:[1,0,1]
	s_delay_alu instid0(VALU_DEP_4)
	v_pk_add_f32 v[118:119], v[118:119], v[204:205]
	v_pk_fma_f32 v[110:111], v[152:153], v[136:137], v[110:111] neg_lo:[0,0,1] neg_hi:[0,0,1]
	v_pk_fma_f32 v[124:125], v[154:155], v[138:139], v[112:113] op_sel_hi:[1,0,1]
	v_pk_mul_f32 v[114:115], v[198:199], v[114:115] op_sel_hi:[1,0]
	v_mov_b32_e32 v111, v123
	v_pk_add_f32 v[118:119], v[118:119], v[206:207]
	v_pk_fma_f32 v[112:113], v[154:155], v[138:139], v[112:113] neg_lo:[0,0,1] neg_hi:[0,0,1]
	v_pk_mul_f32 v[116:117], v[158:159], v[142:143] op_sel:[1,1] op_sel_hi:[0,1]
	v_mov_b32_e32 v113, v125
	v_pk_fma_f32 v[124:125], v[156:157], v[140:141], v[114:115] op_sel_hi:[1,0,1]
	v_pk_add_f32 v[110:111], v[118:119], v[110:111]
	v_pk_fma_f32 v[114:115], v[156:157], v[140:141], v[114:115] neg_lo:[0,0,1] neg_hi:[0,0,1]
	v_pk_fma_f32 v[118:119], v[158:159], v[142:143], v[116:117] op_sel_hi:[1,0,1]
	v_pk_mul_f32 v[120:121], v[200:201], v[120:121] op_sel_hi:[1,0]
	v_mov_b32_e32 v115, v125
	v_pk_add_f32 v[110:111], v[110:111], v[112:113]
	v_pk_fma_f32 v[116:117], v[158:159], v[142:143], v[116:117] neg_lo:[0,0,1] neg_hi:[0,0,1]
	s_wait_loadcnt 0x2
	v_pk_mul_f32 v[122:123], v[162:163], v[146:147] op_sel:[1,1] op_sel_hi:[0,1]
	v_dual_mov_b32 v112, v149 :: v_dual_mov_b32 v117, v119
	v_pk_fma_f32 v[118:119], v[160:161], v[144:145], v[120:121] op_sel_hi:[1,0,1]
	v_pk_add_f32 v[110:111], v[110:111], v[114:115]
	v_pk_fma_f32 v[120:121], v[160:161], v[144:145], v[120:121] neg_lo:[0,0,1] neg_hi:[0,0,1]
	v_pk_fma_f32 v[114:115], v[162:163], v[146:147], v[122:123] op_sel_hi:[1,0,1]
	v_pk_mul_f32 v[112:113], v[202:203], v[112:113] op_sel_hi:[1,0]
	v_mov_b32_e32 v121, v119
	v_pk_add_f32 v[110:111], v[110:111], v[116:117]
	v_pk_fma_f32 v[116:117], v[162:163], v[146:147], v[122:123] neg_lo:[0,0,1] neg_hi:[0,0,1]
	v_mov_b32_e32 v117, v115
	v_pk_fma_f32 v[114:115], v[164:165], v[148:149], v[112:113] op_sel_hi:[1,0,1]
	s_wait_loadcnt_dscnt 0x100
	v_pk_mul_f32 v[118:119], v[194:195], v[190:191] op_sel:[1,1] op_sel_hi:[0,1]
	v_pk_add_f32 v[110:111], v[110:111], v[120:121]
	v_pk_fma_f32 v[112:113], v[164:165], v[148:149], v[112:113] neg_lo:[0,0,1] neg_hi:[0,0,1]
	v_mov_b32_e32 v113, v115
	s_delay_alu instid0(VALU_DEP_4) | instskip(NEXT) | instid1(VALU_DEP_4)
	v_pk_fma_f32 v[114:115], v[194:195], v[190:191], v[118:119] op_sel_hi:[1,0,1]
	v_pk_add_f32 v[110:111], v[110:111], v[116:117]
	v_pk_fma_f32 v[116:117], v[194:195], v[190:191], v[118:119] neg_lo:[0,0,1] neg_hi:[0,0,1]
	s_delay_alu instid0(VALU_DEP_3) | instskip(NEXT) | instid1(VALU_DEP_3)
	v_mov_b32_e32 v117, v115
	v_pk_add_f32 v[110:111], v[110:111], v[112:113]
	s_delay_alu instid0(VALU_DEP_1) | instskip(SKIP_1) | instid1(VALU_DEP_1)
	v_pk_add_f32 v[110:111], v[110:111], v[116:117]
	s_wait_loadcnt 0x0
	v_pk_add_f32 v[110:111], v[192:193], v[110:111] neg_lo:[0,1] neg_hi:[0,1]
	scratch_store_b64 off, v[110:111], off offset:256
	s_wait_xcnt 0x0
	v_cmpx_lt_u32_e32 31, v0
	s_cbranch_execz .LBB117_275
; %bb.274:
	scratch_load_b64 v[110:111], off, off offset:248
	v_mov_b64_e32 v[112:113], 0
	scratch_store_b64 off, v[112:113], off offset:248
	s_wait_loadcnt 0x0
	ds_store_b64 v1, v[110:111]
.LBB117_275:
	s_wait_xcnt 0x0
	s_or_b32 exec_lo, exec_lo, s0
	s_wait_storecnt_dscnt 0x0
	s_barrier_signal -1
	s_barrier_wait -1
	s_clause 0xb
	scratch_load_b128 v[110:113], off, off offset:256
	scratch_load_b128 v[114:117], off, off offset:272
	scratch_load_b128 v[118:121], off, off offset:288
	scratch_load_b128 v[122:125], off, off offset:304
	scratch_load_b128 v[126:129], off, off offset:320
	scratch_load_b128 v[130:133], off, off offset:336
	scratch_load_b128 v[134:137], off, off offset:352
	scratch_load_b128 v[138:141], off, off offset:368
	scratch_load_b128 v[142:145], off, off offset:384
	scratch_load_b128 v[146:149], off, off offset:400
	scratch_load_b128 v[150:153], off, off offset:416
	scratch_load_b64 v[198:199], off, off offset:248
	ds_load_b128 v[154:157], v7 offset:800
	ds_load_b128 v[158:161], v7 offset:816
	;; [unrolled: 1-line block ×11, first 2 shown]
	s_mov_b32 s0, exec_lo
	s_wait_dscnt 0xa
	v_dual_mov_b32 v200, v157 :: v_dual_mov_b32 v201, v156
	s_wait_dscnt 0x9
	v_dual_mov_b32 v202, v161 :: v_dual_mov_b32 v203, v160
	;; [unrolled: 2-line block ×4, first 2 shown]
	s_wait_loadcnt_dscnt 0xb06
	v_dual_mul_f32 v7, v170, v111 :: v_dual_mul_f32 v9, v172, v113
	v_dual_mul_f32 v31, v171, v111 :: v_dual_mul_f32 v33, v173, v113
	s_wait_loadcnt_dscnt 0xa05
	v_dual_mul_f32 v11, v174, v115 :: v_dual_mul_f32 v13, v176, v117
	s_delay_alu instid0(VALU_DEP_3) | instskip(SKIP_3) | instid1(VALU_DEP_3)
	v_dual_fmac_f32 v7, v171, v110 :: v_dual_fmac_f32 v9, v173, v112
	s_wait_loadcnt_dscnt 0x803
	v_dual_fma_f32 v31, v170, v110, -v31 :: v_dual_mul_f32 v43, v183, v123
	v_dual_mul_f32 v35, v175, v115 :: v_dual_mul_f32 v37, v177, v117
	v_dual_fma_f32 v33, v172, v112, -v33 :: v_dual_add_f32 v7, 0, v7
	s_delay_alu instid0(VALU_DEP_3) | instskip(SKIP_1) | instid1(VALU_DEP_3)
	v_dual_add_f32 v31, 0, v31 :: v_dual_mul_f32 v45, v185, v125
	v_dual_fmac_f32 v11, v175, v114 :: v_dual_fmac_f32 v13, v177, v116
	v_dual_fma_f32 v35, v174, v114, -v35 :: v_dual_add_f32 v7, v7, v9
	s_delay_alu instid0(VALU_DEP_3) | instskip(SKIP_2) | instid1(VALU_DEP_4)
	v_dual_add_f32 v9, v31, v33 :: v_dual_fma_f32 v33, v176, v116, -v37
	v_dual_mul_f32 v15, v178, v119 :: v_dual_mul_f32 v17, v180, v121
	v_dual_mul_f32 v39, v179, v119 :: v_dual_mul_f32 v41, v181, v121
	v_add_f32_e32 v7, v7, v11
	s_delay_alu instid0(VALU_DEP_3) | instskip(NEXT) | instid1(VALU_DEP_3)
	v_dual_add_f32 v9, v9, v35 :: v_dual_fmac_f32 v15, v179, v118
	v_fma_f32 v35, v178, v118, -v39
	v_dual_mul_f32 v19, v182, v123 :: v_dual_mul_f32 v21, v184, v125
	s_delay_alu instid0(VALU_DEP_4) | instskip(SKIP_2) | instid1(VALU_DEP_2)
	v_dual_add_f32 v7, v7, v13 :: v_dual_fmac_f32 v17, v181, v120
	s_wait_loadcnt_dscnt 0x601
	v_dual_add_f32 v9, v9, v33 :: v_dual_mul_f32 v13, v191, v131
	v_dual_fma_f32 v33, v180, v120, -v41 :: v_dual_add_f32 v7, v7, v15
	v_mul_f32_e32 v15, v193, v133
	s_delay_alu instid0(VALU_DEP_3) | instskip(NEXT) | instid1(VALU_DEP_3)
	v_dual_add_f32 v9, v9, v35 :: v_dual_fmac_f32 v19, v183, v122
	v_dual_fma_f32 v35, v182, v122, -v43 :: v_dual_add_f32 v7, v7, v17
	v_fmac_f32_e32 v21, v185, v124
	s_wait_loadcnt_dscnt 0x500
	s_delay_alu instid0(VALU_DEP_3) | instskip(SKIP_3) | instid1(VALU_DEP_3)
	v_dual_add_f32 v9, v9, v33 :: v_dual_mul_f32 v17, v195, v135
	v_dual_mul_f32 v23, v186, v127 :: v_dual_mul_f32 v25, v188, v129
	v_dual_mul_f32 v31, v187, v127 :: v_dual_mul_f32 v11, v189, v129
	v_dual_fma_f32 v33, v184, v124, -v45 :: v_dual_add_f32 v7, v7, v19
	v_dual_add_f32 v9, v9, v35 :: v_dual_fmac_f32 v23, v187, v126
	s_delay_alu instid0(VALU_DEP_3) | instskip(NEXT) | instid1(VALU_DEP_3)
	v_dual_mul_f32 v19, v197, v137 :: v_dual_fma_f32 v31, v186, v126, -v31
	v_dual_add_f32 v7, v7, v21 :: v_dual_fmac_f32 v25, v189, v128
	s_delay_alu instid0(VALU_DEP_3) | instskip(SKIP_2) | instid1(VALU_DEP_3)
	v_dual_add_f32 v9, v9, v33 :: v_dual_fma_f32 v11, v188, v128, -v11
	v_dual_mul_f32 v27, v190, v131 :: v_dual_mul_f32 v29, v192, v133
	s_wait_loadcnt 0x4
	v_dual_add_f32 v7, v7, v23 :: v_dual_mov_b32 v112, v141
	s_delay_alu instid0(VALU_DEP_2) | instskip(NEXT) | instid1(VALU_DEP_2)
	v_dual_add_f32 v9, v9, v31 :: v_dual_fmac_f32 v27, v191, v130
	v_dual_fma_f32 v13, v190, v130, -v13 :: v_dual_add_f32 v7, v7, v25
	v_dual_mul_f32 v209, v194, v135 :: v_dual_mul_f32 v211, v196, v137
	s_delay_alu instid0(VALU_DEP_3) | instskip(NEXT) | instid1(VALU_DEP_3)
	v_dual_add_f32 v9, v9, v11 :: v_dual_fma_f32 v11, v192, v132, -v15
	v_dual_fmac_f32 v29, v193, v132 :: v_dual_add_f32 v7, v7, v27
	v_pk_mul_f32 v[110:111], v[154:155], v[138:139] op_sel:[1,1] op_sel_hi:[0,1]
	s_delay_alu instid0(VALU_DEP_3) | instskip(SKIP_2) | instid1(VALU_DEP_2)
	v_dual_add_f32 v9, v9, v13 :: v_dual_fmac_f32 v209, v195, v134
	s_wait_loadcnt 0x3
	v_dual_mov_b32 v116, v145 :: v_dual_fma_f32 v208, v194, v134, -v17
	v_dual_add_f32 v119, v7, v29 :: v_dual_add_f32 v118, v9, v11
	v_fmac_f32_e32 v211, v197, v136
	v_pk_fma_f32 v[120:121], v[154:155], v[138:139], v[110:111] op_sel_hi:[1,0,1]
	v_fma_f32 v210, v196, v136, -v19
	v_pk_mul_f32 v[112:113], v[200:201], v[112:113] op_sel_hi:[1,0]
	v_pk_add_f32 v[118:119], v[118:119], v[208:209]
	v_pk_fma_f32 v[110:111], v[154:155], v[138:139], v[110:111] neg_lo:[0,0,1] neg_hi:[0,0,1]
	v_pk_mul_f32 v[114:115], v[158:159], v[142:143] op_sel:[1,1] op_sel_hi:[0,1]
	v_mov_b32_e32 v111, v121
	v_pk_fma_f32 v[120:121], v[156:157], v[140:141], v[112:113] op_sel_hi:[1,0,1]
	v_pk_add_f32 v[118:119], v[118:119], v[210:211]
	v_pk_fma_f32 v[112:113], v[156:157], v[140:141], v[112:113] neg_lo:[0,0,1] neg_hi:[0,0,1]
	v_pk_fma_f32 v[124:125], v[158:159], v[142:143], v[114:115] op_sel_hi:[1,0,1]
	v_pk_mul_f32 v[116:117], v[202:203], v[116:117] op_sel_hi:[1,0]
	v_mov_b32_e32 v113, v121
	v_pk_add_f32 v[110:111], v[118:119], v[110:111]
	s_wait_loadcnt 0x2
	v_pk_mul_f32 v[122:123], v[162:163], v[146:147] op_sel:[1,1] op_sel_hi:[0,1]
	v_mov_b32_e32 v118, v149
	v_pk_fma_f32 v[114:115], v[158:159], v[142:143], v[114:115] neg_lo:[0,0,1] neg_hi:[0,0,1]
	v_pk_fma_f32 v[120:121], v[160:161], v[144:145], v[116:117] op_sel_hi:[1,0,1]
	v_mov_b32_e32 v115, v125
	v_pk_add_f32 v[110:111], v[110:111], v[112:113]
	v_pk_fma_f32 v[112:113], v[162:163], v[146:147], v[122:123] op_sel_hi:[1,0,1]
	v_pk_mul_f32 v[118:119], v[204:205], v[118:119] op_sel_hi:[1,0]
	v_pk_fma_f32 v[116:117], v[160:161], v[144:145], v[116:117] neg_lo:[0,0,1] neg_hi:[0,0,1]
	v_mov_b32_e32 v117, v121
	v_pk_add_f32 v[110:111], v[110:111], v[114:115]
	v_pk_fma_f32 v[120:121], v[162:163], v[146:147], v[122:123] neg_lo:[0,0,1] neg_hi:[0,0,1]
	v_mov_b32_e32 v121, v113
	v_pk_fma_f32 v[112:113], v[164:165], v[148:149], v[118:119] op_sel_hi:[1,0,1]
	s_wait_loadcnt 0x1
	v_pk_mul_f32 v[114:115], v[166:167], v[150:151] op_sel:[1,1] op_sel_hi:[0,1]
	v_pk_add_f32 v[110:111], v[110:111], v[116:117]
	v_mov_b32_e32 v112, v153
	v_pk_fma_f32 v[118:119], v[164:165], v[148:149], v[118:119] neg_lo:[0,0,1] neg_hi:[0,0,1]
	s_delay_alu instid0(VALU_DEP_4)
	v_pk_fma_f32 v[116:117], v[166:167], v[150:151], v[114:115] op_sel_hi:[1,0,1]
	v_mov_b32_e32 v119, v113
	v_pk_add_f32 v[110:111], v[110:111], v[120:121]
	v_pk_mul_f32 v[112:113], v[206:207], v[112:113] op_sel_hi:[1,0]
	v_pk_fma_f32 v[114:115], v[166:167], v[150:151], v[114:115] neg_lo:[0,0,1] neg_hi:[0,0,1]
	v_mov_b32_e32 v115, v117
	s_delay_alu instid0(VALU_DEP_4) | instskip(NEXT) | instid1(VALU_DEP_4)
	v_pk_add_f32 v[110:111], v[110:111], v[118:119]
	v_pk_fma_f32 v[116:117], v[168:169], v[152:153], v[112:113] op_sel_hi:[1,0,1]
	v_pk_fma_f32 v[112:113], v[168:169], v[152:153], v[112:113] neg_lo:[0,0,1] neg_hi:[0,0,1]
	s_delay_alu instid0(VALU_DEP_3) | instskip(NEXT) | instid1(VALU_DEP_3)
	v_pk_add_f32 v[110:111], v[110:111], v[114:115]
	v_mov_b32_e32 v113, v117
	s_delay_alu instid0(VALU_DEP_1) | instskip(SKIP_1) | instid1(VALU_DEP_1)
	v_pk_add_f32 v[110:111], v[110:111], v[112:113]
	s_wait_loadcnt 0x0
	v_pk_add_f32 v[110:111], v[198:199], v[110:111] neg_lo:[0,1] neg_hi:[0,1]
	scratch_store_b64 off, v[110:111], off offset:248
	s_wait_xcnt 0x0
	v_cmpx_lt_u32_e32 30, v0
	s_cbranch_execz .LBB117_277
; %bb.276:
	scratch_load_b64 v[110:111], off, off offset:240
	v_mov_b64_e32 v[112:113], 0
	scratch_store_b64 off, v[112:113], off offset:240
	s_wait_loadcnt 0x0
	ds_store_b64 v1, v[110:111]
.LBB117_277:
	s_wait_xcnt 0x0
	s_or_b32 exec_lo, exec_lo, s0
	s_wait_storecnt_dscnt 0x0
	s_barrier_signal -1
	s_barrier_wait -1
	s_clause 0xc
	scratch_load_b128 v[110:113], off, off offset:248
	scratch_load_b128 v[114:117], off, off offset:264
	;; [unrolled: 1-line block ×11, first 2 shown]
	scratch_load_b64 v[198:199], off, off offset:424
	scratch_load_b64 v[200:201], off, off offset:240
	v_mov_b32_e32 v7, 0
	ds_load_2addr_b64 v[154:157], v7 offset0:99 offset1:100
	ds_load_2addr_b64 v[158:161], v7 offset0:101 offset1:102
	;; [unrolled: 1-line block ×11, first 2 shown]
	ds_load_b64 v[202:203], v7 offset:856
	s_mov_b32 s0, exec_lo
	s_wait_dscnt 0xb
	v_dual_mov_b32 v204, v157 :: v_dual_mov_b32 v205, v156
	s_wait_dscnt 0x8
	v_dual_mov_b32 v206, v161 :: v_dual_mov_b32 v211, v168
	v_dual_mov_b32 v207, v160 :: v_dual_mov_b32 v208, v165
	v_dual_mov_b32 v209, v164 :: v_dual_mov_b32 v210, v169
	s_wait_loadcnt_dscnt 0xc07
	v_dual_mul_f32 v9, v170, v111 :: v_dual_mul_f32 v35, v171, v111
	v_dual_mul_f32 v37, v173, v113 :: v_dual_mul_f32 v11, v172, v113
	s_wait_loadcnt_dscnt 0xb06
	v_mul_f32_e32 v13, v174, v115
	s_wait_loadcnt_dscnt 0x904
	v_dual_mul_f32 v47, v183, v123 :: v_dual_fma_f32 v35, v170, v110, -v35
	v_dual_fmac_f32 v9, v171, v110 :: v_dual_mul_f32 v49, v185, v125
	v_dual_mul_f32 v39, v175, v115 :: v_dual_mul_f32 v41, v177, v117
	v_dual_fmac_f32 v11, v173, v112 :: v_dual_fma_f32 v37, v172, v112, -v37
	s_delay_alu instid0(VALU_DEP_3) | instskip(SKIP_3) | instid1(VALU_DEP_3)
	v_dual_add_f32 v9, 0, v9 :: v_dual_add_f32 v35, 0, v35
	v_dual_mul_f32 v15, v176, v117 :: v_dual_mul_f32 v17, v178, v119
	s_wait_loadcnt_dscnt 0x803
	v_dual_mul_f32 v51, v187, v127 :: v_dual_fma_f32 v39, v174, v114, -v39
	v_dual_fmac_f32 v13, v175, v114 :: v_dual_add_f32 v9, v9, v11
	s_delay_alu instid0(VALU_DEP_3) | instskip(SKIP_2) | instid1(VALU_DEP_3)
	v_dual_add_f32 v11, v35, v37 :: v_dual_fmac_f32 v15, v177, v116
	v_dual_mul_f32 v43, v179, v119 :: v_dual_mul_f32 v45, v181, v121
	v_dual_mul_f32 v35, v189, v129 :: v_dual_fma_f32 v37, v176, v116, -v41
	v_dual_add_f32 v9, v9, v13 :: v_dual_add_f32 v11, v11, v39
	v_dual_mul_f32 v19, v180, v121 :: v_dual_mul_f32 v21, v182, v123
	s_wait_loadcnt_dscnt 0x701
	v_dual_mul_f32 v13, v195, v131 :: v_dual_fma_f32 v39, v178, v118, -v43
	s_delay_alu instid0(VALU_DEP_3) | instskip(NEXT) | instid1(VALU_DEP_3)
	v_dual_fmac_f32 v17, v179, v118 :: v_dual_add_f32 v9, v9, v15
	v_dual_add_f32 v11, v11, v37 :: v_dual_fmac_f32 v19, v181, v120
	v_dual_mul_f32 v15, v197, v133 :: v_dual_fma_f32 v37, v180, v120, -v45
	s_delay_alu instid0(VALU_DEP_2) | instskip(SKIP_3) | instid1(VALU_DEP_3)
	v_dual_add_f32 v9, v9, v17 :: v_dual_add_f32 v11, v11, v39
	v_dual_mul_f32 v23, v184, v125 :: v_dual_mul_f32 v25, v186, v127
	s_wait_loadcnt 0x6
	v_dual_mul_f32 v17, v191, v135 :: v_dual_fma_f32 v39, v182, v122, -v47
	v_dual_fmac_f32 v21, v183, v122 :: v_dual_add_f32 v9, v9, v19
	s_delay_alu instid0(VALU_DEP_3) | instskip(SKIP_1) | instid1(VALU_DEP_2)
	v_dual_add_f32 v11, v11, v37 :: v_dual_fmac_f32 v23, v185, v124
	v_dual_mul_f32 v19, v193, v137 :: v_dual_fma_f32 v37, v184, v124, -v49
	v_dual_add_f32 v9, v9, v21 :: v_dual_add_f32 v11, v11, v39
	v_dual_mul_f32 v27, v188, v129 :: v_dual_mul_f32 v29, v194, v131
	s_wait_loadcnt 0x5
	v_dual_mul_f32 v21, v155, v139 :: v_dual_fma_f32 v39, v186, v126, -v51
	s_delay_alu instid0(VALU_DEP_3) | instskip(SKIP_2) | instid1(VALU_DEP_3)
	v_dual_fmac_f32 v25, v187, v126 :: v_dual_add_f32 v9, v9, v23
	v_dual_add_f32 v11, v11, v37 :: v_dual_mov_b32 v110, v141
	v_fmac_f32_e32 v27, v189, v128
	v_dual_fma_f32 v23, v188, v128, -v35 :: v_dual_add_f32 v9, v9, v25
	s_delay_alu instid0(VALU_DEP_3) | instskip(SKIP_1) | instid1(VALU_DEP_3)
	v_dual_add_f32 v11, v11, v39 :: v_dual_mul_f32 v31, v196, v133
	v_dual_mul_f32 v33, v190, v135 :: v_dual_fmac_f32 v29, v195, v130
	v_dual_add_f32 v9, v9, v27 :: v_dual_fma_f32 v13, v194, v130, -v13
	s_wait_loadcnt 0x4
	s_delay_alu instid0(VALU_DEP_3) | instskip(SKIP_3) | instid1(VALU_DEP_4)
	v_dual_add_f32 v11, v11, v23 :: v_dual_mov_b32 v114, v145
	v_fma_f32 v15, v196, v132, -v15
	v_fmac_f32_e32 v31, v197, v132
	v_dual_add_f32 v9, v9, v29 :: v_dual_fmac_f32 v33, v191, v134
	v_add_f32_e32 v11, v11, v13
	v_dual_mul_f32 v213, v192, v137 :: v_dual_mul_f32 v215, v154, v139
	s_delay_alu instid0(VALU_DEP_3) | instskip(NEXT) | instid1(VALU_DEP_2)
	v_dual_fma_f32 v13, v190, v134, -v17 :: v_dual_add_f32 v9, v9, v31
	v_dual_add_f32 v11, v11, v15 :: v_dual_fmac_f32 v213, v193, v136
	v_fma_f32 v212, v192, v136, -v19
	v_pk_mul_f32 v[110:111], v[204:205], v[110:111] op_sel_hi:[1,0]
	s_delay_alu instid0(VALU_DEP_4)
	v_add_f32_e32 v119, v9, v33
	s_wait_loadcnt 0x3
	v_dual_add_f32 v118, v11, v13 :: v_dual_mov_b32 v120, v149
	v_pk_mul_f32 v[112:113], v[158:159], v[142:143] op_sel:[1,1] op_sel_hi:[0,1]
	v_dual_fmac_f32 v215, v155, v138 :: v_dual_fma_f32 v214, v154, v138, -v21
	v_pk_fma_f32 v[122:123], v[156:157], v[140:141], v[110:111] op_sel_hi:[1,0,1]
	s_delay_alu instid0(VALU_DEP_4)
	v_pk_add_f32 v[118:119], v[118:119], v[212:213]
	v_pk_fma_f32 v[110:111], v[156:157], v[140:141], v[110:111] neg_lo:[0,0,1] neg_hi:[0,0,1]
	v_pk_fma_f32 v[124:125], v[158:159], v[142:143], v[112:113] op_sel_hi:[1,0,1]
	v_pk_mul_f32 v[114:115], v[206:207], v[114:115] op_sel_hi:[1,0]
	v_mov_b32_e32 v111, v123
	v_pk_add_f32 v[118:119], v[118:119], v[214:215]
	v_pk_fma_f32 v[112:113], v[158:159], v[142:143], v[112:113] neg_lo:[0,0,1] neg_hi:[0,0,1]
	v_pk_mul_f32 v[116:117], v[162:163], v[146:147] op_sel:[1,1] op_sel_hi:[0,1]
	v_mov_b32_e32 v113, v125
	v_pk_fma_f32 v[124:125], v[160:161], v[144:145], v[114:115] op_sel_hi:[1,0,1]
	v_pk_add_f32 v[110:111], v[118:119], v[110:111]
	v_pk_fma_f32 v[114:115], v[160:161], v[144:145], v[114:115] neg_lo:[0,0,1] neg_hi:[0,0,1]
	v_pk_fma_f32 v[118:119], v[162:163], v[146:147], v[116:117] op_sel_hi:[1,0,1]
	v_pk_mul_f32 v[120:121], v[208:209], v[120:121] op_sel_hi:[1,0]
	v_mov_b32_e32 v115, v125
	v_pk_add_f32 v[110:111], v[110:111], v[112:113]
	v_pk_fma_f32 v[116:117], v[162:163], v[146:147], v[116:117] neg_lo:[0,0,1] neg_hi:[0,0,1]
	s_wait_loadcnt 0x2
	v_pk_mul_f32 v[122:123], v[166:167], v[150:151] op_sel:[1,1] op_sel_hi:[0,1]
	v_dual_mov_b32 v112, v153 :: v_dual_mov_b32 v117, v119
	v_pk_fma_f32 v[118:119], v[164:165], v[148:149], v[120:121] op_sel_hi:[1,0,1]
	v_pk_add_f32 v[110:111], v[110:111], v[114:115]
	v_pk_fma_f32 v[120:121], v[164:165], v[148:149], v[120:121] neg_lo:[0,0,1] neg_hi:[0,0,1]
	v_pk_fma_f32 v[114:115], v[166:167], v[150:151], v[122:123] op_sel_hi:[1,0,1]
	v_pk_mul_f32 v[112:113], v[210:211], v[112:113] op_sel_hi:[1,0]
	v_mov_b32_e32 v121, v119
	v_pk_add_f32 v[110:111], v[110:111], v[116:117]
	v_pk_fma_f32 v[116:117], v[166:167], v[150:151], v[122:123] neg_lo:[0,0,1] neg_hi:[0,0,1]
	v_mov_b32_e32 v117, v115
	v_pk_fma_f32 v[114:115], v[168:169], v[152:153], v[112:113] op_sel_hi:[1,0,1]
	s_wait_loadcnt_dscnt 0x100
	v_pk_mul_f32 v[118:119], v[202:203], v[198:199] op_sel:[1,1] op_sel_hi:[0,1]
	v_pk_add_f32 v[110:111], v[110:111], v[120:121]
	v_pk_fma_f32 v[112:113], v[168:169], v[152:153], v[112:113] neg_lo:[0,0,1] neg_hi:[0,0,1]
	v_mov_b32_e32 v113, v115
	s_delay_alu instid0(VALU_DEP_4) | instskip(NEXT) | instid1(VALU_DEP_4)
	v_pk_fma_f32 v[114:115], v[202:203], v[198:199], v[118:119] op_sel_hi:[1,0,1]
	v_pk_add_f32 v[110:111], v[110:111], v[116:117]
	v_pk_fma_f32 v[116:117], v[202:203], v[198:199], v[118:119] neg_lo:[0,0,1] neg_hi:[0,0,1]
	s_delay_alu instid0(VALU_DEP_3) | instskip(NEXT) | instid1(VALU_DEP_3)
	v_mov_b32_e32 v117, v115
	v_pk_add_f32 v[110:111], v[110:111], v[112:113]
	s_delay_alu instid0(VALU_DEP_1) | instskip(SKIP_1) | instid1(VALU_DEP_1)
	v_pk_add_f32 v[110:111], v[110:111], v[116:117]
	s_wait_loadcnt 0x0
	v_pk_add_f32 v[110:111], v[200:201], v[110:111] neg_lo:[0,1] neg_hi:[0,1]
	scratch_store_b64 off, v[110:111], off offset:240
	s_wait_xcnt 0x0
	v_cmpx_lt_u32_e32 29, v0
	s_cbranch_execz .LBB117_279
; %bb.278:
	scratch_load_b64 v[110:111], off, off offset:232
	v_mov_b64_e32 v[112:113], 0
	scratch_store_b64 off, v[112:113], off offset:232
	s_wait_loadcnt 0x0
	ds_store_b64 v1, v[110:111]
.LBB117_279:
	s_wait_xcnt 0x0
	s_or_b32 exec_lo, exec_lo, s0
	s_wait_storecnt_dscnt 0x0
	s_barrier_signal -1
	s_barrier_wait -1
	s_clause 0xc
	scratch_load_b128 v[110:113], off, off offset:240
	scratch_load_b128 v[114:117], off, off offset:256
	;; [unrolled: 1-line block ×12, first 2 shown]
	scratch_load_b64 v[206:207], off, off offset:232
	ds_load_b128 v[158:161], v7 offset:800
	ds_load_b128 v[162:165], v7 offset:816
	;; [unrolled: 1-line block ×12, first 2 shown]
	s_mov_b32 s0, exec_lo
	s_wait_dscnt 0xb
	v_dual_mov_b32 v208, v161 :: v_dual_mov_b32 v209, v160
	s_wait_dscnt 0xa
	v_dual_mov_b32 v210, v165 :: v_dual_mov_b32 v211, v164
	;; [unrolled: 2-line block ×4, first 2 shown]
	s_wait_loadcnt_dscnt 0xc07
	v_dual_mul_f32 v7, v174, v111 :: v_dual_mul_f32 v9, v176, v113
	v_dual_mul_f32 v35, v175, v111 :: v_dual_mul_f32 v37, v177, v113
	s_wait_loadcnt_dscnt 0xb06
	v_dual_mul_f32 v11, v178, v115 :: v_dual_mul_f32 v13, v180, v117
	s_delay_alu instid0(VALU_DEP_3) | instskip(SKIP_3) | instid1(VALU_DEP_3)
	v_dual_fmac_f32 v7, v175, v110 :: v_dual_fmac_f32 v9, v177, v112
	s_wait_loadcnt_dscnt 0x904
	v_dual_fma_f32 v35, v174, v110, -v35 :: v_dual_mul_f32 v47, v187, v123
	v_dual_mul_f32 v39, v179, v115 :: v_dual_mul_f32 v41, v181, v117
	v_dual_fma_f32 v37, v176, v112, -v37 :: v_dual_add_f32 v7, 0, v7
	s_delay_alu instid0(VALU_DEP_3) | instskip(SKIP_1) | instid1(VALU_DEP_3)
	v_dual_add_f32 v35, 0, v35 :: v_dual_mul_f32 v49, v189, v125
	v_dual_fmac_f32 v11, v179, v114 :: v_dual_fmac_f32 v13, v181, v116
	v_dual_fma_f32 v39, v178, v114, -v39 :: v_dual_add_f32 v7, v7, v9
	s_delay_alu instid0(VALU_DEP_3) | instskip(SKIP_2) | instid1(VALU_DEP_4)
	v_dual_add_f32 v9, v35, v37 :: v_dual_fma_f32 v37, v180, v116, -v41
	v_dual_mul_f32 v15, v182, v119 :: v_dual_mul_f32 v17, v184, v121
	v_dual_mul_f32 v43, v183, v119 :: v_dual_mul_f32 v45, v185, v121
	v_add_f32_e32 v7, v7, v11
	s_delay_alu instid0(VALU_DEP_3) | instskip(NEXT) | instid1(VALU_DEP_3)
	v_dual_add_f32 v9, v9, v39 :: v_dual_fmac_f32 v15, v183, v118
	v_fma_f32 v39, v182, v118, -v43
	v_dual_mul_f32 v19, v186, v123 :: v_dual_mul_f32 v21, v188, v125
	s_delay_alu instid0(VALU_DEP_4) | instskip(SKIP_2) | instid1(VALU_DEP_2)
	v_dual_add_f32 v7, v7, v13 :: v_dual_fmac_f32 v17, v185, v120
	s_wait_loadcnt_dscnt 0x702
	v_dual_add_f32 v9, v9, v37 :: v_dual_mul_f32 v13, v195, v131
	v_dual_fma_f32 v37, v184, v120, -v45 :: v_dual_add_f32 v7, v7, v15
	v_mul_f32_e32 v15, v197, v133
	s_delay_alu instid0(VALU_DEP_3) | instskip(NEXT) | instid1(VALU_DEP_3)
	v_dual_add_f32 v9, v9, v39 :: v_dual_fmac_f32 v19, v187, v122
	v_dual_fma_f32 v39, v186, v122, -v47 :: v_dual_add_f32 v7, v7, v17
	v_fmac_f32_e32 v21, v189, v124
	s_wait_loadcnt_dscnt 0x601
	s_delay_alu instid0(VALU_DEP_3) | instskip(SKIP_3) | instid1(VALU_DEP_3)
	v_dual_add_f32 v9, v9, v37 :: v_dual_mul_f32 v17, v199, v135
	v_dual_mul_f32 v23, v190, v127 :: v_dual_mul_f32 v25, v192, v129
	v_dual_mul_f32 v35, v191, v127 :: v_dual_mul_f32 v11, v193, v129
	v_dual_fma_f32 v37, v188, v124, -v49 :: v_dual_add_f32 v7, v7, v19
	v_dual_add_f32 v9, v9, v39 :: v_dual_fmac_f32 v23, v191, v126
	s_delay_alu instid0(VALU_DEP_3) | instskip(NEXT) | instid1(VALU_DEP_3)
	v_dual_mul_f32 v19, v201, v137 :: v_dual_fma_f32 v35, v190, v126, -v35
	v_dual_add_f32 v7, v7, v21 :: v_dual_fmac_f32 v25, v193, v128
	s_wait_loadcnt_dscnt 0x500
	s_delay_alu instid0(VALU_DEP_3) | instskip(SKIP_1) | instid1(VALU_DEP_3)
	v_dual_add_f32 v9, v9, v37 :: v_dual_mul_f32 v21, v203, v139
	v_dual_mul_f32 v27, v194, v131 :: v_dual_mul_f32 v29, v196, v133
	v_dual_fma_f32 v11, v192, v128, -v11 :: v_dual_add_f32 v7, v7, v23
	s_delay_alu instid0(VALU_DEP_2) | instskip(SKIP_1) | instid1(VALU_DEP_2)
	v_dual_add_f32 v9, v9, v35 :: v_dual_fmac_f32 v27, v195, v130
	v_dual_mul_f32 v23, v205, v141 :: v_dual_fma_f32 v13, v194, v130, -v13
	v_dual_add_f32 v7, v7, v25 :: v_dual_add_f32 v9, v9, v11
	v_dual_mul_f32 v31, v198, v135 :: v_dual_mul_f32 v33, v200, v137
	v_dual_fmac_f32 v29, v197, v132 :: v_dual_fma_f32 v11, v196, v132, -v15
	s_delay_alu instid0(VALU_DEP_3) | instskip(SKIP_1) | instid1(VALU_DEP_3)
	v_dual_add_f32 v7, v7, v27 :: v_dual_add_f32 v9, v9, v13
	s_wait_loadcnt 0x4
	v_dual_mov_b32 v112, v145 :: v_dual_fmac_f32 v31, v199, v134
	s_delay_alu instid0(VALU_DEP_2) | instskip(NEXT) | instid1(VALU_DEP_3)
	v_dual_fma_f32 v13, v198, v134, -v17 :: v_dual_add_f32 v7, v7, v29
	v_dual_add_f32 v9, v9, v11 :: v_dual_fma_f32 v11, v200, v136, -v19
	v_dual_mul_f32 v217, v202, v139 :: v_dual_mul_f32 v219, v204, v141
	s_delay_alu instid0(VALU_DEP_3) | instskip(NEXT) | instid1(VALU_DEP_2)
	v_dual_fmac_f32 v33, v201, v136 :: v_dual_add_f32 v7, v7, v31
	v_dual_add_f32 v9, v9, v13 :: v_dual_fmac_f32 v217, v203, v138
	v_pk_mul_f32 v[110:111], v[158:159], v[142:143] op_sel:[1,1] op_sel_hi:[0,1]
	s_wait_loadcnt 0x3
	v_dual_mov_b32 v116, v149 :: v_dual_fma_f32 v216, v202, v138, -v21
	s_delay_alu instid0(VALU_DEP_3)
	v_dual_add_f32 v119, v7, v33 :: v_dual_add_f32 v118, v9, v11
	v_fmac_f32_e32 v219, v205, v140
	v_pk_fma_f32 v[120:121], v[158:159], v[142:143], v[110:111] op_sel_hi:[1,0,1]
	v_fma_f32 v218, v204, v140, -v23
	v_pk_mul_f32 v[112:113], v[208:209], v[112:113] op_sel_hi:[1,0]
	v_pk_add_f32 v[118:119], v[118:119], v[216:217]
	v_pk_fma_f32 v[110:111], v[158:159], v[142:143], v[110:111] neg_lo:[0,0,1] neg_hi:[0,0,1]
	v_pk_mul_f32 v[114:115], v[162:163], v[146:147] op_sel:[1,1] op_sel_hi:[0,1]
	v_mov_b32_e32 v111, v121
	v_pk_fma_f32 v[120:121], v[160:161], v[144:145], v[112:113] op_sel_hi:[1,0,1]
	v_pk_add_f32 v[118:119], v[118:119], v[218:219]
	v_pk_fma_f32 v[112:113], v[160:161], v[144:145], v[112:113] neg_lo:[0,0,1] neg_hi:[0,0,1]
	v_pk_fma_f32 v[124:125], v[162:163], v[146:147], v[114:115] op_sel_hi:[1,0,1]
	v_pk_mul_f32 v[116:117], v[210:211], v[116:117] op_sel_hi:[1,0]
	v_mov_b32_e32 v113, v121
	v_pk_add_f32 v[110:111], v[118:119], v[110:111]
	s_wait_loadcnt 0x2
	v_pk_mul_f32 v[122:123], v[166:167], v[150:151] op_sel:[1,1] op_sel_hi:[0,1]
	v_mov_b32_e32 v118, v153
	v_pk_fma_f32 v[114:115], v[162:163], v[146:147], v[114:115] neg_lo:[0,0,1] neg_hi:[0,0,1]
	v_pk_fma_f32 v[120:121], v[164:165], v[148:149], v[116:117] op_sel_hi:[1,0,1]
	v_mov_b32_e32 v115, v125
	v_pk_add_f32 v[110:111], v[110:111], v[112:113]
	v_pk_fma_f32 v[112:113], v[166:167], v[150:151], v[122:123] op_sel_hi:[1,0,1]
	v_pk_mul_f32 v[118:119], v[212:213], v[118:119] op_sel_hi:[1,0]
	v_pk_fma_f32 v[116:117], v[164:165], v[148:149], v[116:117] neg_lo:[0,0,1] neg_hi:[0,0,1]
	v_mov_b32_e32 v117, v121
	v_pk_add_f32 v[110:111], v[110:111], v[114:115]
	v_pk_fma_f32 v[120:121], v[166:167], v[150:151], v[122:123] neg_lo:[0,0,1] neg_hi:[0,0,1]
	v_mov_b32_e32 v121, v113
	v_pk_fma_f32 v[112:113], v[168:169], v[152:153], v[118:119] op_sel_hi:[1,0,1]
	s_wait_loadcnt 0x1
	v_pk_mul_f32 v[114:115], v[170:171], v[154:155] op_sel:[1,1] op_sel_hi:[0,1]
	v_pk_add_f32 v[110:111], v[110:111], v[116:117]
	v_mov_b32_e32 v112, v157
	v_pk_fma_f32 v[118:119], v[168:169], v[152:153], v[118:119] neg_lo:[0,0,1] neg_hi:[0,0,1]
	s_delay_alu instid0(VALU_DEP_4)
	v_pk_fma_f32 v[116:117], v[170:171], v[154:155], v[114:115] op_sel_hi:[1,0,1]
	v_mov_b32_e32 v119, v113
	v_pk_add_f32 v[110:111], v[110:111], v[120:121]
	v_pk_mul_f32 v[112:113], v[214:215], v[112:113] op_sel_hi:[1,0]
	v_pk_fma_f32 v[114:115], v[170:171], v[154:155], v[114:115] neg_lo:[0,0,1] neg_hi:[0,0,1]
	v_mov_b32_e32 v115, v117
	s_delay_alu instid0(VALU_DEP_4) | instskip(NEXT) | instid1(VALU_DEP_4)
	v_pk_add_f32 v[110:111], v[110:111], v[118:119]
	v_pk_fma_f32 v[116:117], v[172:173], v[156:157], v[112:113] op_sel_hi:[1,0,1]
	v_pk_fma_f32 v[112:113], v[172:173], v[156:157], v[112:113] neg_lo:[0,0,1] neg_hi:[0,0,1]
	s_delay_alu instid0(VALU_DEP_3) | instskip(NEXT) | instid1(VALU_DEP_3)
	v_pk_add_f32 v[110:111], v[110:111], v[114:115]
	v_mov_b32_e32 v113, v117
	s_delay_alu instid0(VALU_DEP_1) | instskip(SKIP_1) | instid1(VALU_DEP_1)
	v_pk_add_f32 v[110:111], v[110:111], v[112:113]
	s_wait_loadcnt 0x0
	v_pk_add_f32 v[110:111], v[206:207], v[110:111] neg_lo:[0,1] neg_hi:[0,1]
	scratch_store_b64 off, v[110:111], off offset:232
	s_wait_xcnt 0x0
	v_cmpx_lt_u32_e32 28, v0
	s_cbranch_execz .LBB117_281
; %bb.280:
	scratch_load_b64 v[110:111], off, off offset:224
	v_mov_b64_e32 v[112:113], 0
	scratch_store_b64 off, v[112:113], off offset:224
	s_wait_loadcnt 0x0
	ds_store_b64 v1, v[110:111]
.LBB117_281:
	s_wait_xcnt 0x0
	s_or_b32 exec_lo, exec_lo, s0
	s_wait_storecnt_dscnt 0x0
	s_barrier_signal -1
	s_barrier_wait -1
	s_clause 0xd
	scratch_load_b128 v[110:113], off, off offset:232
	scratch_load_b128 v[114:117], off, off offset:248
	;; [unrolled: 1-line block ×12, first 2 shown]
	scratch_load_b64 v[206:207], off, off offset:424
	scratch_load_b64 v[208:209], off, off offset:224
	v_mov_b32_e32 v7, 0
	ds_load_2addr_b64 v[158:161], v7 offset0:99 offset1:100
	ds_load_2addr_b64 v[162:165], v7 offset0:101 offset1:102
	;; [unrolled: 1-line block ×12, first 2 shown]
	ds_load_b64 v[210:211], v7 offset:856
	s_mov_b32 s0, exec_lo
	s_wait_dscnt 0xc
	v_dual_mov_b32 v212, v161 :: v_dual_mov_b32 v213, v160
	s_wait_dscnt 0x9
	v_dual_mov_b32 v214, v165 :: v_dual_mov_b32 v219, v172
	v_dual_mov_b32 v215, v164 :: v_dual_mov_b32 v216, v169
	;; [unrolled: 1-line block ×3, first 2 shown]
	s_wait_loadcnt_dscnt 0xd08
	v_dual_mul_f32 v9, v174, v111 :: v_dual_mul_f32 v39, v175, v111
	v_dual_mul_f32 v41, v177, v113 :: v_dual_mul_f32 v11, v176, v113
	s_wait_loadcnt_dscnt 0xc07
	v_mul_f32_e32 v13, v178, v115
	s_wait_loadcnt_dscnt 0xa05
	v_dual_mul_f32 v51, v187, v123 :: v_dual_fma_f32 v39, v174, v110, -v39
	v_dual_fmac_f32 v9, v175, v110 :: v_dual_mul_f32 v53, v189, v125
	v_dual_mul_f32 v43, v179, v115 :: v_dual_mul_f32 v45, v181, v117
	v_dual_fmac_f32 v11, v177, v112 :: v_dual_fma_f32 v41, v176, v112, -v41
	s_delay_alu instid0(VALU_DEP_3) | instskip(SKIP_3) | instid1(VALU_DEP_3)
	v_dual_add_f32 v9, 0, v9 :: v_dual_add_f32 v39, 0, v39
	v_dual_mul_f32 v15, v180, v117 :: v_dual_mul_f32 v17, v182, v119
	s_wait_loadcnt_dscnt 0x904
	v_dual_mul_f32 v55, v191, v127 :: v_dual_fma_f32 v43, v178, v114, -v43
	v_dual_fmac_f32 v13, v179, v114 :: v_dual_add_f32 v9, v9, v11
	s_delay_alu instid0(VALU_DEP_3) | instskip(SKIP_2) | instid1(VALU_DEP_3)
	v_dual_add_f32 v11, v39, v41 :: v_dual_fmac_f32 v15, v181, v116
	v_dual_mul_f32 v47, v183, v119 :: v_dual_mul_f32 v49, v185, v121
	v_dual_mul_f32 v39, v193, v129 :: v_dual_fma_f32 v41, v180, v116, -v45
	v_dual_add_f32 v9, v9, v13 :: v_dual_add_f32 v11, v11, v43
	v_dual_mul_f32 v19, v184, v121 :: v_dual_mul_f32 v21, v186, v123
	s_wait_loadcnt_dscnt 0x803
	v_dual_mul_f32 v13, v195, v131 :: v_dual_fma_f32 v43, v182, v118, -v47
	s_delay_alu instid0(VALU_DEP_3) | instskip(NEXT) | instid1(VALU_DEP_3)
	v_dual_fmac_f32 v17, v183, v118 :: v_dual_add_f32 v9, v9, v15
	v_dual_add_f32 v11, v11, v41 :: v_dual_fmac_f32 v19, v185, v120
	v_dual_mul_f32 v15, v197, v133 :: v_dual_fma_f32 v41, v184, v120, -v49
	s_delay_alu instid0(VALU_DEP_2) | instskip(SKIP_3) | instid1(VALU_DEP_3)
	v_dual_add_f32 v9, v9, v17 :: v_dual_add_f32 v11, v11, v43
	v_dual_mul_f32 v23, v188, v125 :: v_dual_mul_f32 v25, v190, v127
	s_wait_loadcnt_dscnt 0x702
	v_dual_mul_f32 v17, v199, v135 :: v_dual_fma_f32 v43, v186, v122, -v51
	v_dual_fmac_f32 v21, v187, v122 :: v_dual_add_f32 v9, v9, v19
	s_delay_alu instid0(VALU_DEP_3) | instskip(SKIP_1) | instid1(VALU_DEP_2)
	v_dual_add_f32 v11, v11, v41 :: v_dual_fmac_f32 v23, v189, v124
	v_dual_mul_f32 v19, v201, v137 :: v_dual_fma_f32 v41, v188, v124, -v53
	v_dual_add_f32 v9, v9, v21 :: v_dual_add_f32 v11, v11, v43
	v_dual_mul_f32 v27, v192, v129 :: v_dual_mul_f32 v29, v194, v131
	s_wait_loadcnt_dscnt 0x601
	v_dual_mul_f32 v21, v203, v139 :: v_dual_fma_f32 v43, v190, v126, -v55
	s_delay_alu instid0(VALU_DEP_3) | instskip(NEXT) | instid1(VALU_DEP_3)
	v_dual_fmac_f32 v25, v191, v126 :: v_dual_add_f32 v9, v9, v23
	v_dual_add_f32 v11, v11, v41 :: v_dual_fmac_f32 v27, v193, v128
	v_dual_mul_f32 v23, v205, v141 :: v_dual_fma_f32 v39, v192, v128, -v39
	s_delay_alu instid0(VALU_DEP_2) | instskip(SKIP_3) | instid1(VALU_DEP_3)
	v_dual_add_f32 v9, v9, v25 :: v_dual_add_f32 v11, v11, v43
	v_dual_mul_f32 v31, v196, v133 :: v_dual_mul_f32 v33, v198, v135
	s_wait_loadcnt 0x5
	v_dual_mul_f32 v25, v159, v143 :: v_dual_fma_f32 v13, v194, v130, -v13
	v_dual_fmac_f32 v29, v195, v130 :: v_dual_add_f32 v9, v9, v27
	v_dual_add_f32 v11, v11, v39 :: v_dual_mov_b32 v110, v145
	v_fmac_f32_e32 v31, v197, v132
	s_delay_alu instid0(VALU_DEP_3) | instskip(NEXT) | instid1(VALU_DEP_3)
	v_dual_fma_f32 v15, v196, v132, -v15 :: v_dual_add_f32 v9, v9, v29
	v_add_f32_e32 v11, v11, v13
	v_dual_mul_f32 v35, v200, v137 :: v_dual_mul_f32 v37, v202, v139
	s_delay_alu instid0(VALU_DEP_3) | instskip(NEXT) | instid1(VALU_DEP_3)
	v_dual_fmac_f32 v33, v199, v134 :: v_dual_add_f32 v9, v9, v31
	v_dual_fma_f32 v13, v198, v134, -v17 :: v_dual_add_f32 v11, v11, v15
	s_wait_loadcnt 0x4
	v_dual_mov_b32 v114, v149 :: v_dual_fma_f32 v15, v200, v136, -v19
	v_fmac_f32_e32 v35, v201, v136
	v_dual_add_f32 v9, v9, v33 :: v_dual_fmac_f32 v37, v203, v138
	v_add_f32_e32 v11, v11, v13
	v_dual_mul_f32 v221, v204, v141 :: v_dual_mul_f32 v223, v158, v143
	s_delay_alu instid0(VALU_DEP_3) | instskip(NEXT) | instid1(VALU_DEP_2)
	v_dual_fma_f32 v13, v202, v138, -v21 :: v_dual_add_f32 v9, v9, v35
	v_dual_add_f32 v11, v11, v15 :: v_dual_fmac_f32 v221, v205, v140
	v_fma_f32 v220, v204, v140, -v23
	v_pk_mul_f32 v[110:111], v[212:213], v[110:111] op_sel_hi:[1,0]
	s_delay_alu instid0(VALU_DEP_4)
	v_add_f32_e32 v119, v9, v37
	s_wait_loadcnt 0x3
	v_dual_add_f32 v118, v11, v13 :: v_dual_mov_b32 v120, v153
	v_pk_mul_f32 v[112:113], v[162:163], v[146:147] op_sel:[1,1] op_sel_hi:[0,1]
	v_dual_fmac_f32 v223, v159, v142 :: v_dual_fma_f32 v222, v158, v142, -v25
	v_pk_fma_f32 v[122:123], v[160:161], v[144:145], v[110:111] op_sel_hi:[1,0,1]
	s_delay_alu instid0(VALU_DEP_4)
	v_pk_add_f32 v[118:119], v[118:119], v[220:221]
	v_pk_fma_f32 v[110:111], v[160:161], v[144:145], v[110:111] neg_lo:[0,0,1] neg_hi:[0,0,1]
	v_pk_fma_f32 v[124:125], v[162:163], v[146:147], v[112:113] op_sel_hi:[1,0,1]
	v_pk_mul_f32 v[114:115], v[214:215], v[114:115] op_sel_hi:[1,0]
	v_mov_b32_e32 v111, v123
	v_pk_add_f32 v[118:119], v[118:119], v[222:223]
	v_pk_fma_f32 v[112:113], v[162:163], v[146:147], v[112:113] neg_lo:[0,0,1] neg_hi:[0,0,1]
	v_pk_mul_f32 v[116:117], v[166:167], v[150:151] op_sel:[1,1] op_sel_hi:[0,1]
	v_mov_b32_e32 v113, v125
	v_pk_fma_f32 v[124:125], v[164:165], v[148:149], v[114:115] op_sel_hi:[1,0,1]
	v_pk_add_f32 v[110:111], v[118:119], v[110:111]
	v_pk_fma_f32 v[114:115], v[164:165], v[148:149], v[114:115] neg_lo:[0,0,1] neg_hi:[0,0,1]
	v_pk_fma_f32 v[118:119], v[166:167], v[150:151], v[116:117] op_sel_hi:[1,0,1]
	v_pk_mul_f32 v[120:121], v[216:217], v[120:121] op_sel_hi:[1,0]
	v_mov_b32_e32 v115, v125
	v_pk_add_f32 v[110:111], v[110:111], v[112:113]
	v_pk_fma_f32 v[116:117], v[166:167], v[150:151], v[116:117] neg_lo:[0,0,1] neg_hi:[0,0,1]
	s_wait_loadcnt 0x2
	v_pk_mul_f32 v[122:123], v[170:171], v[154:155] op_sel:[1,1] op_sel_hi:[0,1]
	v_dual_mov_b32 v112, v157 :: v_dual_mov_b32 v117, v119
	v_pk_fma_f32 v[118:119], v[168:169], v[152:153], v[120:121] op_sel_hi:[1,0,1]
	v_pk_add_f32 v[110:111], v[110:111], v[114:115]
	v_pk_fma_f32 v[120:121], v[168:169], v[152:153], v[120:121] neg_lo:[0,0,1] neg_hi:[0,0,1]
	v_pk_fma_f32 v[114:115], v[170:171], v[154:155], v[122:123] op_sel_hi:[1,0,1]
	v_pk_mul_f32 v[112:113], v[218:219], v[112:113] op_sel_hi:[1,0]
	v_mov_b32_e32 v121, v119
	v_pk_add_f32 v[110:111], v[110:111], v[116:117]
	v_pk_fma_f32 v[116:117], v[170:171], v[154:155], v[122:123] neg_lo:[0,0,1] neg_hi:[0,0,1]
	v_mov_b32_e32 v117, v115
	v_pk_fma_f32 v[114:115], v[172:173], v[156:157], v[112:113] op_sel_hi:[1,0,1]
	s_wait_loadcnt_dscnt 0x100
	v_pk_mul_f32 v[118:119], v[210:211], v[206:207] op_sel:[1,1] op_sel_hi:[0,1]
	v_pk_add_f32 v[110:111], v[110:111], v[120:121]
	v_pk_fma_f32 v[112:113], v[172:173], v[156:157], v[112:113] neg_lo:[0,0,1] neg_hi:[0,0,1]
	v_mov_b32_e32 v113, v115
	s_delay_alu instid0(VALU_DEP_4) | instskip(NEXT) | instid1(VALU_DEP_4)
	v_pk_fma_f32 v[114:115], v[210:211], v[206:207], v[118:119] op_sel_hi:[1,0,1]
	v_pk_add_f32 v[110:111], v[110:111], v[116:117]
	v_pk_fma_f32 v[116:117], v[210:211], v[206:207], v[118:119] neg_lo:[0,0,1] neg_hi:[0,0,1]
	s_delay_alu instid0(VALU_DEP_3) | instskip(NEXT) | instid1(VALU_DEP_3)
	v_mov_b32_e32 v117, v115
	v_pk_add_f32 v[110:111], v[110:111], v[112:113]
	s_delay_alu instid0(VALU_DEP_1) | instskip(SKIP_1) | instid1(VALU_DEP_1)
	v_pk_add_f32 v[110:111], v[110:111], v[116:117]
	s_wait_loadcnt 0x0
	v_pk_add_f32 v[110:111], v[208:209], v[110:111] neg_lo:[0,1] neg_hi:[0,1]
	scratch_store_b64 off, v[110:111], off offset:224
	s_wait_xcnt 0x0
	v_cmpx_lt_u32_e32 27, v0
	s_cbranch_execz .LBB117_283
; %bb.282:
	scratch_load_b64 v[110:111], off, off offset:216
	v_mov_b64_e32 v[112:113], 0
	scratch_store_b64 off, v[112:113], off offset:216
	s_wait_loadcnt 0x0
	ds_store_b64 v1, v[110:111]
.LBB117_283:
	s_wait_xcnt 0x0
	s_or_b32 exec_lo, exec_lo, s0
	s_wait_storecnt_dscnt 0x0
	s_barrier_signal -1
	s_barrier_wait -1
	s_clause 0xd
	scratch_load_b128 v[110:113], off, off offset:224
	scratch_load_b128 v[114:117], off, off offset:240
	;; [unrolled: 1-line block ×13, first 2 shown]
	scratch_load_b64 v[214:215], off, off offset:216
	ds_load_b128 v[162:165], v7 offset:800
	ds_load_b128 v[166:169], v7 offset:816
	;; [unrolled: 1-line block ×13, first 2 shown]
	s_mov_b32 s0, exec_lo
	s_wait_dscnt 0xc
	v_dual_mov_b32 v216, v165 :: v_dual_mov_b32 v217, v164
	s_wait_dscnt 0xb
	v_dual_mov_b32 v218, v169 :: v_dual_mov_b32 v219, v168
	;; [unrolled: 2-line block ×4, first 2 shown]
	s_wait_loadcnt_dscnt 0xd08
	v_dual_mul_f32 v7, v178, v111 :: v_dual_mul_f32 v9, v180, v113
	v_dual_mul_f32 v39, v179, v111 :: v_dual_mul_f32 v41, v181, v113
	s_wait_loadcnt_dscnt 0xc07
	v_dual_mul_f32 v11, v182, v115 :: v_dual_mul_f32 v13, v184, v117
	s_delay_alu instid0(VALU_DEP_3) | instskip(SKIP_3) | instid1(VALU_DEP_3)
	v_dual_fmac_f32 v7, v179, v110 :: v_dual_fmac_f32 v9, v181, v112
	s_wait_loadcnt_dscnt 0xa05
	v_dual_fma_f32 v39, v178, v110, -v39 :: v_dual_mul_f32 v51, v191, v123
	v_dual_mul_f32 v43, v183, v115 :: v_dual_mul_f32 v45, v185, v117
	v_dual_fma_f32 v41, v180, v112, -v41 :: v_dual_add_f32 v7, 0, v7
	s_delay_alu instid0(VALU_DEP_3) | instskip(SKIP_1) | instid1(VALU_DEP_3)
	v_dual_add_f32 v39, 0, v39 :: v_dual_mul_f32 v53, v193, v125
	v_dual_fmac_f32 v11, v183, v114 :: v_dual_fmac_f32 v13, v185, v116
	v_dual_fma_f32 v43, v182, v114, -v43 :: v_dual_add_f32 v7, v7, v9
	s_delay_alu instid0(VALU_DEP_3) | instskip(SKIP_2) | instid1(VALU_DEP_4)
	v_dual_add_f32 v9, v39, v41 :: v_dual_fma_f32 v41, v184, v116, -v45
	v_dual_mul_f32 v15, v186, v119 :: v_dual_mul_f32 v17, v188, v121
	v_dual_mul_f32 v47, v187, v119 :: v_dual_mul_f32 v49, v189, v121
	v_add_f32_e32 v7, v7, v11
	s_delay_alu instid0(VALU_DEP_3) | instskip(NEXT) | instid1(VALU_DEP_3)
	v_dual_add_f32 v9, v9, v43 :: v_dual_fmac_f32 v15, v187, v118
	v_fma_f32 v43, v186, v118, -v47
	v_dual_mul_f32 v19, v190, v123 :: v_dual_mul_f32 v21, v192, v125
	s_delay_alu instid0(VALU_DEP_4) | instskip(SKIP_2) | instid1(VALU_DEP_2)
	v_dual_add_f32 v7, v7, v13 :: v_dual_fmac_f32 v17, v189, v120
	s_wait_loadcnt_dscnt 0x802
	v_dual_add_f32 v9, v9, v41 :: v_dual_mul_f32 v13, v203, v131
	v_dual_fma_f32 v41, v188, v120, -v49 :: v_dual_add_f32 v7, v7, v15
	v_mul_f32_e32 v15, v205, v133
	s_delay_alu instid0(VALU_DEP_3) | instskip(NEXT) | instid1(VALU_DEP_3)
	v_dual_add_f32 v9, v9, v43 :: v_dual_fmac_f32 v19, v191, v122
	v_dual_fma_f32 v43, v190, v122, -v51 :: v_dual_add_f32 v7, v7, v17
	v_fmac_f32_e32 v21, v193, v124
	s_wait_loadcnt_dscnt 0x701
	s_delay_alu instid0(VALU_DEP_3) | instskip(SKIP_3) | instid1(VALU_DEP_3)
	v_dual_add_f32 v9, v9, v41 :: v_dual_mul_f32 v17, v207, v135
	v_dual_mul_f32 v23, v198, v127 :: v_dual_mul_f32 v25, v200, v129
	v_dual_mul_f32 v39, v199, v127 :: v_dual_mul_f32 v11, v201, v129
	v_dual_fma_f32 v41, v192, v124, -v53 :: v_dual_add_f32 v7, v7, v19
	v_dual_add_f32 v9, v9, v43 :: v_dual_fmac_f32 v23, v199, v126
	s_delay_alu instid0(VALU_DEP_3) | instskip(NEXT) | instid1(VALU_DEP_3)
	v_dual_mul_f32 v19, v209, v137 :: v_dual_fma_f32 v39, v198, v126, -v39
	v_dual_add_f32 v7, v7, v21 :: v_dual_fmac_f32 v25, v201, v128
	s_wait_loadcnt_dscnt 0x600
	s_delay_alu instid0(VALU_DEP_3) | instskip(SKIP_1) | instid1(VALU_DEP_3)
	v_dual_add_f32 v9, v9, v41 :: v_dual_mul_f32 v21, v211, v139
	v_dual_mul_f32 v27, v202, v131 :: v_dual_mul_f32 v29, v204, v133
	v_dual_fma_f32 v11, v200, v128, -v11 :: v_dual_add_f32 v7, v7, v23
	s_delay_alu instid0(VALU_DEP_2) | instskip(SKIP_1) | instid1(VALU_DEP_2)
	v_dual_add_f32 v9, v9, v39 :: v_dual_fmac_f32 v27, v203, v130
	v_dual_mul_f32 v23, v213, v141 :: v_dual_fma_f32 v13, v202, v130, -v13
	v_dual_add_f32 v7, v7, v25 :: v_dual_add_f32 v9, v9, v11
	v_dual_mul_f32 v31, v206, v135 :: v_dual_mul_f32 v33, v208, v137
	s_wait_loadcnt 0x5
	v_dual_mul_f32 v11, v195, v143 :: v_dual_fmac_f32 v29, v205, v132
	s_delay_alu instid0(VALU_DEP_3) | instskip(NEXT) | instid1(VALU_DEP_3)
	v_dual_fma_f32 v15, v204, v132, -v15 :: v_dual_add_f32 v7, v7, v27
	v_dual_add_f32 v9, v9, v13 :: v_dual_fmac_f32 v31, v207, v134
	v_dual_mul_f32 v13, v197, v145 :: v_dual_fma_f32 v17, v206, v134, -v17
	s_delay_alu instid0(VALU_DEP_2) | instskip(SKIP_2) | instid1(VALU_DEP_3)
	v_dual_add_f32 v7, v7, v29 :: v_dual_add_f32 v9, v9, v15
	v_dual_mul_f32 v35, v210, v139 :: v_dual_mul_f32 v37, v212, v141
	v_dual_fmac_f32 v33, v209, v136 :: v_dual_fma_f32 v15, v208, v136, -v19
	v_dual_add_f32 v7, v7, v31 :: v_dual_add_f32 v9, v9, v17
	s_wait_loadcnt 0x4
	s_delay_alu instid0(VALU_DEP_3) | instskip(NEXT) | instid1(VALU_DEP_2)
	v_dual_mov_b32 v112, v149 :: v_dual_fmac_f32 v35, v211, v138
	v_dual_fma_f32 v17, v210, v138, -v21 :: v_dual_add_f32 v7, v7, v33
	s_delay_alu instid0(VALU_DEP_3) | instskip(SKIP_1) | instid1(VALU_DEP_3)
	v_dual_add_f32 v9, v9, v15 :: v_dual_fma_f32 v15, v212, v140, -v23
	v_dual_mul_f32 v225, v194, v143 :: v_dual_mul_f32 v227, v196, v145
	v_dual_fmac_f32 v37, v213, v140 :: v_dual_add_f32 v7, v7, v35
	s_delay_alu instid0(VALU_DEP_2) | instskip(SKIP_3) | instid1(VALU_DEP_3)
	v_dual_add_f32 v9, v9, v17 :: v_dual_fmac_f32 v225, v195, v142
	v_pk_mul_f32 v[110:111], v[162:163], v[146:147] op_sel:[1,1] op_sel_hi:[0,1]
	s_wait_loadcnt 0x3
	v_dual_mov_b32 v116, v153 :: v_dual_fma_f32 v224, v194, v142, -v11
	v_dual_add_f32 v119, v7, v37 :: v_dual_add_f32 v118, v9, v15
	v_dual_fmac_f32 v227, v197, v144 :: v_dual_fma_f32 v226, v196, v144, -v13
	v_pk_fma_f32 v[120:121], v[162:163], v[146:147], v[110:111] op_sel_hi:[1,0,1]
	v_pk_mul_f32 v[112:113], v[216:217], v[112:113] op_sel_hi:[1,0]
	s_delay_alu instid0(VALU_DEP_4)
	v_pk_add_f32 v[118:119], v[118:119], v[224:225]
	v_pk_fma_f32 v[110:111], v[162:163], v[146:147], v[110:111] neg_lo:[0,0,1] neg_hi:[0,0,1]
	v_pk_mul_f32 v[114:115], v[166:167], v[150:151] op_sel:[1,1] op_sel_hi:[0,1]
	v_mov_b32_e32 v111, v121
	v_pk_fma_f32 v[120:121], v[164:165], v[148:149], v[112:113] op_sel_hi:[1,0,1]
	v_pk_add_f32 v[118:119], v[118:119], v[226:227]
	v_pk_fma_f32 v[112:113], v[164:165], v[148:149], v[112:113] neg_lo:[0,0,1] neg_hi:[0,0,1]
	v_pk_fma_f32 v[124:125], v[166:167], v[150:151], v[114:115] op_sel_hi:[1,0,1]
	v_pk_mul_f32 v[116:117], v[218:219], v[116:117] op_sel_hi:[1,0]
	v_mov_b32_e32 v113, v121
	v_pk_add_f32 v[110:111], v[118:119], v[110:111]
	s_wait_loadcnt 0x2
	v_pk_mul_f32 v[122:123], v[170:171], v[154:155] op_sel:[1,1] op_sel_hi:[0,1]
	v_mov_b32_e32 v118, v157
	v_pk_fma_f32 v[114:115], v[166:167], v[150:151], v[114:115] neg_lo:[0,0,1] neg_hi:[0,0,1]
	v_mov_b32_e32 v115, v125
	v_pk_fma_f32 v[120:121], v[168:169], v[152:153], v[116:117] op_sel_hi:[1,0,1]
	v_pk_add_f32 v[110:111], v[110:111], v[112:113]
	v_pk_fma_f32 v[112:113], v[170:171], v[154:155], v[122:123] op_sel_hi:[1,0,1]
	v_pk_mul_f32 v[118:119], v[220:221], v[118:119] op_sel_hi:[1,0]
	v_pk_fma_f32 v[116:117], v[168:169], v[152:153], v[116:117] neg_lo:[0,0,1] neg_hi:[0,0,1]
	v_mov_b32_e32 v117, v121
	v_pk_add_f32 v[110:111], v[110:111], v[114:115]
	v_pk_fma_f32 v[120:121], v[170:171], v[154:155], v[122:123] neg_lo:[0,0,1] neg_hi:[0,0,1]
	v_mov_b32_e32 v121, v113
	v_pk_fma_f32 v[112:113], v[172:173], v[156:157], v[118:119] op_sel_hi:[1,0,1]
	s_wait_loadcnt 0x1
	v_pk_mul_f32 v[114:115], v[174:175], v[158:159] op_sel:[1,1] op_sel_hi:[0,1]
	v_pk_add_f32 v[110:111], v[110:111], v[116:117]
	v_mov_b32_e32 v112, v161
	v_pk_fma_f32 v[118:119], v[172:173], v[156:157], v[118:119] neg_lo:[0,0,1] neg_hi:[0,0,1]
	v_mov_b32_e32 v119, v113
	v_pk_fma_f32 v[116:117], v[174:175], v[158:159], v[114:115] op_sel_hi:[1,0,1]
	v_pk_add_f32 v[110:111], v[110:111], v[120:121]
	v_pk_mul_f32 v[112:113], v[222:223], v[112:113] op_sel_hi:[1,0]
	v_pk_fma_f32 v[114:115], v[174:175], v[158:159], v[114:115] neg_lo:[0,0,1] neg_hi:[0,0,1]
	s_delay_alu instid0(VALU_DEP_4) | instskip(NEXT) | instid1(VALU_DEP_4)
	v_mov_b32_e32 v115, v117
	v_pk_add_f32 v[110:111], v[110:111], v[118:119]
	s_delay_alu instid0(VALU_DEP_4) | instskip(SKIP_1) | instid1(VALU_DEP_2)
	v_pk_fma_f32 v[116:117], v[176:177], v[160:161], v[112:113] op_sel_hi:[1,0,1]
	v_pk_fma_f32 v[112:113], v[176:177], v[160:161], v[112:113] neg_lo:[0,0,1] neg_hi:[0,0,1]
	v_mov_b32_e32 v113, v117
	s_delay_alu instid0(VALU_DEP_4) | instskip(NEXT) | instid1(VALU_DEP_1)
	v_pk_add_f32 v[110:111], v[110:111], v[114:115]
	v_pk_add_f32 v[110:111], v[110:111], v[112:113]
	s_wait_loadcnt 0x0
	s_delay_alu instid0(VALU_DEP_1)
	v_pk_add_f32 v[110:111], v[214:215], v[110:111] neg_lo:[0,1] neg_hi:[0,1]
	scratch_store_b64 off, v[110:111], off offset:216
	s_wait_xcnt 0x0
	v_cmpx_lt_u32_e32 26, v0
	s_cbranch_execz .LBB117_285
; %bb.284:
	scratch_load_b64 v[110:111], off, off offset:208
	v_mov_b64_e32 v[112:113], 0
	scratch_store_b64 off, v[112:113], off offset:208
	s_wait_loadcnt 0x0
	ds_store_b64 v1, v[110:111]
.LBB117_285:
	s_wait_xcnt 0x0
	s_or_b32 exec_lo, exec_lo, s0
	s_wait_storecnt_dscnt 0x0
	s_barrier_signal -1
	s_barrier_wait -1
	s_clause 0xe
	scratch_load_b128 v[110:113], off, off offset:216
	scratch_load_b128 v[114:117], off, off offset:232
	;; [unrolled: 1-line block ×13, first 2 shown]
	scratch_load_b64 v[214:215], off, off offset:424
	scratch_load_b64 v[216:217], off, off offset:208
	v_mov_b32_e32 v7, 0
	ds_load_2addr_b64 v[162:165], v7 offset0:99 offset1:100
	ds_load_2addr_b64 v[166:169], v7 offset0:101 offset1:102
	;; [unrolled: 1-line block ×13, first 2 shown]
	ds_load_b64 v[218:219], v7 offset:856
	s_mov_b32 s0, exec_lo
	s_wait_dscnt 0xd
	v_dual_mov_b32 v220, v165 :: v_dual_mov_b32 v221, v164
	s_wait_dscnt 0xa
	v_dual_mov_b32 v222, v169 :: v_dual_mov_b32 v227, v176
	v_dual_mov_b32 v223, v168 :: v_dual_mov_b32 v224, v173
	v_dual_mov_b32 v225, v172 :: v_dual_mov_b32 v226, v177
	s_wait_loadcnt_dscnt 0xe09
	v_dual_mul_f32 v9, v178, v111 :: v_dual_mul_f32 v43, v179, v111
	v_dual_mul_f32 v45, v181, v113 :: v_dual_mul_f32 v11, v180, v113
	s_wait_loadcnt_dscnt 0xd08
	v_mul_f32_e32 v13, v182, v115
	s_wait_loadcnt_dscnt 0xb05
	v_dual_mul_f32 v55, v195, v123 :: v_dual_fma_f32 v43, v178, v110, -v43
	v_dual_fmac_f32 v9, v179, v110 :: v_dual_mul_f32 v57, v197, v125
	v_dual_mul_f32 v47, v183, v115 :: v_dual_mul_f32 v49, v185, v117
	v_dual_fmac_f32 v11, v181, v112 :: v_dual_fma_f32 v45, v180, v112, -v45
	s_delay_alu instid0(VALU_DEP_3) | instskip(SKIP_3) | instid1(VALU_DEP_3)
	v_dual_add_f32 v9, 0, v9 :: v_dual_add_f32 v43, 0, v43
	v_dual_mul_f32 v15, v184, v117 :: v_dual_mul_f32 v17, v186, v119
	s_wait_loadcnt_dscnt 0xa04
	v_dual_mul_f32 v59, v199, v127 :: v_dual_fma_f32 v47, v182, v114, -v47
	v_dual_fmac_f32 v13, v183, v114 :: v_dual_add_f32 v9, v9, v11
	s_delay_alu instid0(VALU_DEP_3) | instskip(SKIP_2) | instid1(VALU_DEP_3)
	v_dual_add_f32 v11, v43, v45 :: v_dual_fmac_f32 v15, v185, v116
	v_dual_mul_f32 v51, v187, v119 :: v_dual_mul_f32 v53, v189, v121
	v_dual_mul_f32 v43, v201, v129 :: v_dual_fma_f32 v45, v184, v116, -v49
	v_dual_add_f32 v9, v9, v13 :: v_dual_add_f32 v11, v11, v47
	v_dual_mul_f32 v19, v188, v121 :: v_dual_mul_f32 v21, v194, v123
	s_wait_loadcnt_dscnt 0x903
	v_dual_mul_f32 v13, v203, v131 :: v_dual_fma_f32 v47, v186, v118, -v51
	s_delay_alu instid0(VALU_DEP_3) | instskip(NEXT) | instid1(VALU_DEP_3)
	v_dual_fmac_f32 v17, v187, v118 :: v_dual_add_f32 v9, v9, v15
	v_dual_add_f32 v11, v11, v45 :: v_dual_fmac_f32 v19, v189, v120
	v_dual_mul_f32 v15, v205, v133 :: v_dual_fma_f32 v45, v188, v120, -v53
	s_delay_alu instid0(VALU_DEP_2) | instskip(SKIP_3) | instid1(VALU_DEP_3)
	v_dual_add_f32 v9, v9, v17 :: v_dual_add_f32 v11, v11, v47
	v_dual_mul_f32 v23, v196, v125 :: v_dual_mul_f32 v25, v198, v127
	s_wait_loadcnt_dscnt 0x802
	v_dual_mul_f32 v17, v207, v135 :: v_dual_fma_f32 v47, v194, v122, -v55
	v_dual_fmac_f32 v21, v195, v122 :: v_dual_add_f32 v9, v9, v19
	s_delay_alu instid0(VALU_DEP_3) | instskip(SKIP_1) | instid1(VALU_DEP_2)
	v_dual_add_f32 v11, v11, v45 :: v_dual_fmac_f32 v23, v197, v124
	v_dual_mul_f32 v19, v209, v137 :: v_dual_fma_f32 v45, v196, v124, -v57
	v_dual_add_f32 v9, v9, v21 :: v_dual_add_f32 v11, v11, v47
	v_dual_mul_f32 v27, v200, v129 :: v_dual_mul_f32 v29, v202, v131
	s_wait_loadcnt_dscnt 0x701
	v_dual_mul_f32 v21, v211, v139 :: v_dual_fma_f32 v47, v198, v126, -v59
	s_delay_alu instid0(VALU_DEP_3) | instskip(NEXT) | instid1(VALU_DEP_3)
	v_dual_fmac_f32 v25, v199, v126 :: v_dual_add_f32 v9, v9, v23
	v_dual_add_f32 v11, v11, v45 :: v_dual_fmac_f32 v27, v201, v128
	v_dual_mul_f32 v23, v213, v141 :: v_dual_fma_f32 v43, v200, v128, -v43
	s_delay_alu instid0(VALU_DEP_2) | instskip(SKIP_3) | instid1(VALU_DEP_3)
	v_dual_add_f32 v9, v9, v25 :: v_dual_add_f32 v11, v11, v47
	v_dual_mul_f32 v31, v204, v133 :: v_dual_mul_f32 v33, v206, v135
	s_wait_loadcnt 0x6
	v_dual_mul_f32 v25, v191, v143 :: v_dual_fma_f32 v13, v202, v130, -v13
	v_dual_fmac_f32 v29, v203, v130 :: v_dual_add_f32 v9, v9, v27
	v_dual_add_f32 v11, v11, v43 :: v_dual_mul_f32 v27, v193, v145
	v_fmac_f32_e32 v31, v205, v132
	s_delay_alu instid0(VALU_DEP_3) | instskip(NEXT) | instid1(VALU_DEP_3)
	v_dual_fma_f32 v15, v204, v132, -v15 :: v_dual_add_f32 v9, v9, v29
	v_add_f32_e32 v11, v11, v13
	v_dual_mul_f32 v35, v208, v137 :: v_dual_mul_f32 v37, v210, v139
	s_wait_loadcnt 0x5
	v_dual_mul_f32 v13, v163, v147 :: v_dual_fma_f32 v17, v206, v134, -v17
	v_dual_fmac_f32 v33, v207, v134 :: v_dual_add_f32 v9, v9, v31
	v_dual_add_f32 v11, v11, v15 :: v_dual_mov_b32 v110, v149
	v_fmac_f32_e32 v35, v209, v136
	s_delay_alu instid0(VALU_DEP_3) | instskip(NEXT) | instid1(VALU_DEP_3)
	v_dual_fma_f32 v15, v208, v136, -v19 :: v_dual_add_f32 v9, v9, v33
	v_add_f32_e32 v11, v11, v17
	v_dual_mul_f32 v39, v212, v141 :: v_dual_mul_f32 v41, v190, v143
	s_delay_alu instid0(VALU_DEP_3) | instskip(NEXT) | instid1(VALU_DEP_3)
	v_dual_fmac_f32 v37, v211, v138 :: v_dual_add_f32 v9, v9, v35
	v_dual_fma_f32 v17, v210, v138, -v21 :: v_dual_add_f32 v11, v11, v15
	s_wait_loadcnt 0x4
	v_dual_mov_b32 v114, v153 :: v_dual_fma_f32 v15, v212, v140, -v23
	v_fmac_f32_e32 v39, v213, v140
	v_dual_add_f32 v9, v9, v37 :: v_dual_fmac_f32 v41, v191, v142
	v_add_f32_e32 v11, v11, v17
	v_dual_mul_f32 v229, v192, v145 :: v_dual_mul_f32 v231, v162, v147
	s_delay_alu instid0(VALU_DEP_3) | instskip(NEXT) | instid1(VALU_DEP_2)
	v_dual_fma_f32 v17, v190, v142, -v25 :: v_dual_add_f32 v9, v9, v39
	v_dual_add_f32 v11, v11, v15 :: v_dual_fmac_f32 v229, v193, v144
	v_fma_f32 v228, v192, v144, -v27
	v_pk_mul_f32 v[110:111], v[220:221], v[110:111] op_sel_hi:[1,0]
	s_delay_alu instid0(VALU_DEP_4)
	v_add_f32_e32 v119, v9, v41
	s_wait_loadcnt 0x3
	v_dual_add_f32 v118, v11, v17 :: v_dual_mov_b32 v120, v157
	v_pk_mul_f32 v[112:113], v[166:167], v[150:151] op_sel:[1,1] op_sel_hi:[0,1]
	v_dual_fmac_f32 v231, v163, v146 :: v_dual_fma_f32 v230, v162, v146, -v13
	v_pk_fma_f32 v[122:123], v[164:165], v[148:149], v[110:111] op_sel_hi:[1,0,1]
	s_delay_alu instid0(VALU_DEP_4)
	v_pk_add_f32 v[118:119], v[118:119], v[228:229]
	v_pk_fma_f32 v[110:111], v[164:165], v[148:149], v[110:111] neg_lo:[0,0,1] neg_hi:[0,0,1]
	v_pk_fma_f32 v[124:125], v[166:167], v[150:151], v[112:113] op_sel_hi:[1,0,1]
	v_pk_mul_f32 v[114:115], v[222:223], v[114:115] op_sel_hi:[1,0]
	v_mov_b32_e32 v111, v123
	v_pk_add_f32 v[118:119], v[118:119], v[230:231]
	v_pk_fma_f32 v[112:113], v[166:167], v[150:151], v[112:113] neg_lo:[0,0,1] neg_hi:[0,0,1]
	v_pk_mul_f32 v[116:117], v[170:171], v[154:155] op_sel:[1,1] op_sel_hi:[0,1]
	v_mov_b32_e32 v113, v125
	v_pk_fma_f32 v[124:125], v[168:169], v[152:153], v[114:115] op_sel_hi:[1,0,1]
	v_pk_add_f32 v[110:111], v[118:119], v[110:111]
	v_pk_fma_f32 v[114:115], v[168:169], v[152:153], v[114:115] neg_lo:[0,0,1] neg_hi:[0,0,1]
	v_pk_fma_f32 v[118:119], v[170:171], v[154:155], v[116:117] op_sel_hi:[1,0,1]
	v_pk_mul_f32 v[120:121], v[224:225], v[120:121] op_sel_hi:[1,0]
	v_mov_b32_e32 v115, v125
	v_pk_add_f32 v[110:111], v[110:111], v[112:113]
	v_pk_fma_f32 v[116:117], v[170:171], v[154:155], v[116:117] neg_lo:[0,0,1] neg_hi:[0,0,1]
	s_wait_loadcnt 0x2
	v_pk_mul_f32 v[122:123], v[174:175], v[158:159] op_sel:[1,1] op_sel_hi:[0,1]
	v_dual_mov_b32 v112, v161 :: v_dual_mov_b32 v117, v119
	v_pk_fma_f32 v[118:119], v[172:173], v[156:157], v[120:121] op_sel_hi:[1,0,1]
	v_pk_add_f32 v[110:111], v[110:111], v[114:115]
	v_pk_fma_f32 v[120:121], v[172:173], v[156:157], v[120:121] neg_lo:[0,0,1] neg_hi:[0,0,1]
	v_pk_fma_f32 v[114:115], v[174:175], v[158:159], v[122:123] op_sel_hi:[1,0,1]
	v_pk_mul_f32 v[112:113], v[226:227], v[112:113] op_sel_hi:[1,0]
	v_mov_b32_e32 v121, v119
	v_pk_add_f32 v[110:111], v[110:111], v[116:117]
	v_pk_fma_f32 v[116:117], v[174:175], v[158:159], v[122:123] neg_lo:[0,0,1] neg_hi:[0,0,1]
	v_mov_b32_e32 v117, v115
	v_pk_fma_f32 v[114:115], v[176:177], v[160:161], v[112:113] op_sel_hi:[1,0,1]
	s_wait_loadcnt_dscnt 0x100
	v_pk_mul_f32 v[118:119], v[218:219], v[214:215] op_sel:[1,1] op_sel_hi:[0,1]
	v_pk_add_f32 v[110:111], v[110:111], v[120:121]
	v_pk_fma_f32 v[112:113], v[176:177], v[160:161], v[112:113] neg_lo:[0,0,1] neg_hi:[0,0,1]
	v_mov_b32_e32 v113, v115
	s_delay_alu instid0(VALU_DEP_4) | instskip(NEXT) | instid1(VALU_DEP_4)
	v_pk_fma_f32 v[114:115], v[218:219], v[214:215], v[118:119] op_sel_hi:[1,0,1]
	v_pk_add_f32 v[110:111], v[110:111], v[116:117]
	v_pk_fma_f32 v[116:117], v[218:219], v[214:215], v[118:119] neg_lo:[0,0,1] neg_hi:[0,0,1]
	s_delay_alu instid0(VALU_DEP_3) | instskip(NEXT) | instid1(VALU_DEP_3)
	v_mov_b32_e32 v117, v115
	v_pk_add_f32 v[110:111], v[110:111], v[112:113]
	s_delay_alu instid0(VALU_DEP_1) | instskip(SKIP_1) | instid1(VALU_DEP_1)
	v_pk_add_f32 v[110:111], v[110:111], v[116:117]
	s_wait_loadcnt 0x0
	v_pk_add_f32 v[110:111], v[216:217], v[110:111] neg_lo:[0,1] neg_hi:[0,1]
	scratch_store_b64 off, v[110:111], off offset:208
	s_wait_xcnt 0x0
	v_cmpx_lt_u32_e32 25, v0
	s_cbranch_execz .LBB117_287
; %bb.286:
	scratch_load_b64 v[110:111], off, off offset:200
	v_mov_b64_e32 v[112:113], 0
	scratch_store_b64 off, v[112:113], off offset:200
	s_wait_loadcnt 0x0
	ds_store_b64 v1, v[110:111]
.LBB117_287:
	s_wait_xcnt 0x0
	s_or_b32 exec_lo, exec_lo, s0
	s_wait_storecnt_dscnt 0x0
	s_barrier_signal -1
	s_barrier_wait -1
	s_clause 0xe
	scratch_load_b128 v[110:113], off, off offset:208
	scratch_load_b128 v[114:117], off, off offset:224
	scratch_load_b128 v[118:121], off, off offset:240
	scratch_load_b128 v[122:125], off, off offset:256
	scratch_load_b128 v[126:129], off, off offset:272
	scratch_load_b128 v[130:133], off, off offset:288
	scratch_load_b128 v[134:137], off, off offset:304
	scratch_load_b128 v[138:141], off, off offset:320
	scratch_load_b128 v[142:145], off, off offset:336
	scratch_load_b128 v[146:149], off, off offset:352
	scratch_load_b128 v[150:153], off, off offset:368
	scratch_load_b128 v[154:157], off, off offset:384
	scratch_load_b128 v[158:161], off, off offset:400
	scratch_load_b128 v[162:165], off, off offset:416
	scratch_load_b64 v[222:223], off, off offset:200
	ds_load_b128 v[166:169], v7 offset:800
	ds_load_b128 v[170:173], v7 offset:816
	;; [unrolled: 1-line block ×14, first 2 shown]
	s_mov_b32 s0, exec_lo
	s_wait_dscnt 0xd
	v_dual_mov_b32 v224, v169 :: v_dual_mov_b32 v225, v168
	s_wait_dscnt 0xc
	v_dual_mov_b32 v226, v173 :: v_dual_mov_b32 v227, v172
	s_wait_dscnt 0xb
	v_dual_mov_b32 v228, v177 :: v_dual_mov_b32 v229, v176
	s_wait_dscnt 0xa
	v_dual_mov_b32 v230, v181 :: v_dual_mov_b32 v231, v180
	s_wait_loadcnt_dscnt 0xe09
	v_dual_mul_f32 v7, v182, v111 :: v_dual_mul_f32 v9, v184, v113
	v_dual_mul_f32 v43, v183, v111 :: v_dual_mul_f32 v45, v185, v113
	s_wait_loadcnt_dscnt 0xd08
	v_dual_mul_f32 v11, v186, v115 :: v_dual_mul_f32 v13, v188, v117
	s_delay_alu instid0(VALU_DEP_3) | instskip(SKIP_3) | instid1(VALU_DEP_3)
	v_dual_fmac_f32 v7, v183, v110 :: v_dual_fmac_f32 v9, v185, v112
	s_wait_loadcnt_dscnt 0xb06
	v_dual_fma_f32 v43, v182, v110, -v43 :: v_dual_mul_f32 v55, v195, v123
	v_dual_mul_f32 v47, v187, v115 :: v_dual_mul_f32 v49, v189, v117
	v_dual_fma_f32 v45, v184, v112, -v45 :: v_dual_add_f32 v7, 0, v7
	s_delay_alu instid0(VALU_DEP_3) | instskip(SKIP_1) | instid1(VALU_DEP_3)
	v_dual_add_f32 v43, 0, v43 :: v_dual_mul_f32 v57, v197, v125
	v_dual_fmac_f32 v11, v187, v114 :: v_dual_fmac_f32 v13, v189, v116
	v_dual_fma_f32 v47, v186, v114, -v47 :: v_dual_add_f32 v7, v7, v9
	s_delay_alu instid0(VALU_DEP_3) | instskip(SKIP_2) | instid1(VALU_DEP_4)
	v_dual_add_f32 v9, v43, v45 :: v_dual_fma_f32 v45, v188, v116, -v49
	v_dual_mul_f32 v15, v190, v119 :: v_dual_mul_f32 v17, v192, v121
	v_dual_mul_f32 v51, v191, v119 :: v_dual_mul_f32 v53, v193, v121
	v_add_f32_e32 v7, v7, v11
	s_delay_alu instid0(VALU_DEP_3) | instskip(NEXT) | instid1(VALU_DEP_3)
	v_dual_add_f32 v9, v9, v47 :: v_dual_fmac_f32 v15, v191, v118
	v_fma_f32 v47, v190, v118, -v51
	v_dual_mul_f32 v19, v194, v123 :: v_dual_mul_f32 v21, v196, v125
	s_delay_alu instid0(VALU_DEP_4) | instskip(SKIP_2) | instid1(VALU_DEP_2)
	v_dual_add_f32 v7, v7, v13 :: v_dual_fmac_f32 v17, v193, v120
	s_wait_loadcnt_dscnt 0x904
	v_dual_add_f32 v9, v9, v45 :: v_dual_mul_f32 v13, v203, v131
	v_dual_fma_f32 v45, v192, v120, -v53 :: v_dual_add_f32 v7, v7, v15
	v_mul_f32_e32 v15, v205, v133
	s_delay_alu instid0(VALU_DEP_3) | instskip(NEXT) | instid1(VALU_DEP_3)
	v_dual_add_f32 v9, v9, v47 :: v_dual_fmac_f32 v19, v195, v122
	v_dual_fma_f32 v47, v194, v122, -v55 :: v_dual_add_f32 v7, v7, v17
	v_fmac_f32_e32 v21, v197, v124
	s_wait_loadcnt_dscnt 0x803
	s_delay_alu instid0(VALU_DEP_3) | instskip(SKIP_3) | instid1(VALU_DEP_3)
	v_dual_add_f32 v9, v9, v45 :: v_dual_mul_f32 v17, v207, v135
	v_dual_mul_f32 v23, v198, v127 :: v_dual_mul_f32 v25, v200, v129
	v_dual_mul_f32 v43, v199, v127 :: v_dual_mul_f32 v11, v201, v129
	v_dual_fma_f32 v45, v196, v124, -v57 :: v_dual_add_f32 v7, v7, v19
	v_dual_add_f32 v9, v9, v47 :: v_dual_fmac_f32 v23, v199, v126
	s_delay_alu instid0(VALU_DEP_3) | instskip(NEXT) | instid1(VALU_DEP_3)
	v_dual_mul_f32 v19, v209, v137 :: v_dual_fma_f32 v43, v198, v126, -v43
	v_dual_add_f32 v7, v7, v21 :: v_dual_fmac_f32 v25, v201, v128
	s_wait_loadcnt_dscnt 0x702
	s_delay_alu instid0(VALU_DEP_3) | instskip(SKIP_1) | instid1(VALU_DEP_3)
	v_dual_add_f32 v9, v9, v45 :: v_dual_mul_f32 v21, v211, v139
	v_dual_mul_f32 v27, v202, v131 :: v_dual_mul_f32 v29, v204, v133
	v_dual_fma_f32 v11, v200, v128, -v11 :: v_dual_add_f32 v7, v7, v23
	s_delay_alu instid0(VALU_DEP_2) | instskip(SKIP_1) | instid1(VALU_DEP_2)
	v_dual_add_f32 v9, v9, v43 :: v_dual_fmac_f32 v27, v203, v130
	v_dual_mul_f32 v23, v213, v141 :: v_dual_fma_f32 v13, v202, v130, -v13
	v_dual_add_f32 v7, v7, v25 :: v_dual_add_f32 v9, v9, v11
	v_dual_mul_f32 v31, v206, v135 :: v_dual_mul_f32 v33, v208, v137
	s_wait_loadcnt_dscnt 0x601
	v_dual_mul_f32 v11, v215, v143 :: v_dual_fmac_f32 v29, v205, v132
	s_delay_alu instid0(VALU_DEP_3) | instskip(NEXT) | instid1(VALU_DEP_3)
	v_dual_fma_f32 v15, v204, v132, -v15 :: v_dual_add_f32 v7, v7, v27
	v_dual_add_f32 v9, v9, v13 :: v_dual_fmac_f32 v31, v207, v134
	v_dual_mul_f32 v13, v217, v145 :: v_dual_fma_f32 v17, v206, v134, -v17
	s_delay_alu instid0(VALU_DEP_2) | instskip(SKIP_3) | instid1(VALU_DEP_3)
	v_dual_add_f32 v7, v7, v29 :: v_dual_add_f32 v9, v9, v15
	v_dual_mul_f32 v35, v210, v139 :: v_dual_mul_f32 v37, v212, v141
	s_wait_loadcnt_dscnt 0x500
	v_dual_mul_f32 v15, v219, v147 :: v_dual_fmac_f32 v33, v209, v136
	v_dual_fma_f32 v19, v208, v136, -v19 :: v_dual_add_f32 v7, v7, v31
	s_delay_alu instid0(VALU_DEP_3) | instskip(SKIP_1) | instid1(VALU_DEP_2)
	v_dual_add_f32 v9, v9, v17 :: v_dual_fmac_f32 v35, v211, v138
	v_dual_mul_f32 v17, v221, v149 :: v_dual_fma_f32 v21, v210, v138, -v21
	v_dual_add_f32 v7, v7, v33 :: v_dual_add_f32 v9, v9, v19
	v_dual_mul_f32 v39, v214, v143 :: v_dual_mul_f32 v41, v216, v145
	v_dual_fmac_f32 v37, v213, v140 :: v_dual_fma_f32 v19, v212, v140, -v23
	s_delay_alu instid0(VALU_DEP_3) | instskip(SKIP_1) | instid1(VALU_DEP_3)
	v_dual_add_f32 v7, v7, v35 :: v_dual_add_f32 v9, v9, v21
	s_wait_loadcnt 0x4
	v_dual_mov_b32 v112, v153 :: v_dual_fmac_f32 v39, v215, v142
	s_delay_alu instid0(VALU_DEP_2) | instskip(NEXT) | instid1(VALU_DEP_3)
	v_dual_fma_f32 v11, v214, v142, -v11 :: v_dual_add_f32 v7, v7, v37
	v_dual_add_f32 v9, v9, v19 :: v_dual_fma_f32 v13, v216, v144, -v13
	v_dual_mul_f32 v233, v218, v147 :: v_dual_mul_f32 v235, v220, v149
	s_delay_alu instid0(VALU_DEP_3) | instskip(NEXT) | instid1(VALU_DEP_2)
	v_dual_fmac_f32 v41, v217, v144 :: v_dual_add_f32 v7, v7, v39
	v_dual_add_f32 v9, v9, v11 :: v_dual_fmac_f32 v233, v219, v146
	v_pk_mul_f32 v[110:111], v[166:167], v[150:151] op_sel:[1,1] op_sel_hi:[0,1]
	s_wait_loadcnt 0x3
	v_dual_mov_b32 v116, v157 :: v_dual_fma_f32 v232, v218, v146, -v15
	v_dual_add_f32 v119, v7, v41 :: v_dual_fmac_f32 v235, v221, v148
	v_dual_add_f32 v118, v9, v13 :: v_dual_fma_f32 v234, v220, v148, -v17
	v_pk_fma_f32 v[120:121], v[166:167], v[150:151], v[110:111] op_sel_hi:[1,0,1]
	v_pk_mul_f32 v[112:113], v[224:225], v[112:113] op_sel_hi:[1,0]
	v_pk_fma_f32 v[110:111], v[166:167], v[150:151], v[110:111] neg_lo:[0,0,1] neg_hi:[0,0,1]
	s_delay_alu instid0(VALU_DEP_4)
	v_pk_add_f32 v[118:119], v[118:119], v[232:233]
	v_pk_mul_f32 v[114:115], v[170:171], v[154:155] op_sel:[1,1] op_sel_hi:[0,1]
	v_mov_b32_e32 v111, v121
	v_pk_fma_f32 v[120:121], v[168:169], v[152:153], v[112:113] op_sel_hi:[1,0,1]
	v_pk_fma_f32 v[112:113], v[168:169], v[152:153], v[112:113] neg_lo:[0,0,1] neg_hi:[0,0,1]
	v_pk_add_f32 v[118:119], v[118:119], v[234:235]
	v_pk_fma_f32 v[124:125], v[170:171], v[154:155], v[114:115] op_sel_hi:[1,0,1]
	v_pk_mul_f32 v[116:117], v[226:227], v[116:117] op_sel_hi:[1,0]
	v_mov_b32_e32 v113, v121
	s_wait_loadcnt 0x2
	v_pk_mul_f32 v[122:123], v[174:175], v[158:159] op_sel:[1,1] op_sel_hi:[0,1]
	v_pk_add_f32 v[110:111], v[118:119], v[110:111]
	v_mov_b32_e32 v118, v161
	v_pk_fma_f32 v[114:115], v[170:171], v[154:155], v[114:115] neg_lo:[0,0,1] neg_hi:[0,0,1]
	v_mov_b32_e32 v115, v125
	v_pk_fma_f32 v[120:121], v[172:173], v[156:157], v[116:117] op_sel_hi:[1,0,1]
	v_pk_add_f32 v[110:111], v[110:111], v[112:113]
	v_pk_fma_f32 v[112:113], v[174:175], v[158:159], v[122:123] op_sel_hi:[1,0,1]
	v_pk_mul_f32 v[118:119], v[228:229], v[118:119] op_sel_hi:[1,0]
	v_pk_fma_f32 v[116:117], v[172:173], v[156:157], v[116:117] neg_lo:[0,0,1] neg_hi:[0,0,1]
	v_mov_b32_e32 v117, v121
	v_pk_add_f32 v[110:111], v[110:111], v[114:115]
	v_pk_fma_f32 v[120:121], v[174:175], v[158:159], v[122:123] neg_lo:[0,0,1] neg_hi:[0,0,1]
	v_mov_b32_e32 v121, v113
	v_pk_fma_f32 v[112:113], v[176:177], v[160:161], v[118:119] op_sel_hi:[1,0,1]
	s_wait_loadcnt 0x1
	v_pk_mul_f32 v[114:115], v[178:179], v[162:163] op_sel:[1,1] op_sel_hi:[0,1]
	v_pk_add_f32 v[110:111], v[110:111], v[116:117]
	v_mov_b32_e32 v112, v165
	v_pk_fma_f32 v[118:119], v[176:177], v[160:161], v[118:119] neg_lo:[0,0,1] neg_hi:[0,0,1]
	v_mov_b32_e32 v119, v113
	v_pk_fma_f32 v[116:117], v[178:179], v[162:163], v[114:115] op_sel_hi:[1,0,1]
	v_pk_add_f32 v[110:111], v[110:111], v[120:121]
	v_pk_mul_f32 v[112:113], v[230:231], v[112:113] op_sel_hi:[1,0]
	v_pk_fma_f32 v[114:115], v[178:179], v[162:163], v[114:115] neg_lo:[0,0,1] neg_hi:[0,0,1]
	s_delay_alu instid0(VALU_DEP_4) | instskip(NEXT) | instid1(VALU_DEP_4)
	v_mov_b32_e32 v115, v117
	v_pk_add_f32 v[110:111], v[110:111], v[118:119]
	s_delay_alu instid0(VALU_DEP_4) | instskip(SKIP_1) | instid1(VALU_DEP_2)
	v_pk_fma_f32 v[116:117], v[180:181], v[164:165], v[112:113] op_sel_hi:[1,0,1]
	v_pk_fma_f32 v[112:113], v[180:181], v[164:165], v[112:113] neg_lo:[0,0,1] neg_hi:[0,0,1]
	v_mov_b32_e32 v113, v117
	s_delay_alu instid0(VALU_DEP_4) | instskip(NEXT) | instid1(VALU_DEP_1)
	v_pk_add_f32 v[110:111], v[110:111], v[114:115]
	v_pk_add_f32 v[110:111], v[110:111], v[112:113]
	s_wait_loadcnt 0x0
	s_delay_alu instid0(VALU_DEP_1)
	v_pk_add_f32 v[110:111], v[222:223], v[110:111] neg_lo:[0,1] neg_hi:[0,1]
	scratch_store_b64 off, v[110:111], off offset:200
	s_wait_xcnt 0x0
	v_cmpx_lt_u32_e32 24, v0
	s_cbranch_execz .LBB117_289
; %bb.288:
	scratch_load_b64 v[110:111], off, off offset:192
	v_mov_b64_e32 v[112:113], 0
	scratch_store_b64 off, v[112:113], off offset:192
	s_wait_loadcnt 0x0
	ds_store_b64 v1, v[110:111]
.LBB117_289:
	s_wait_xcnt 0x0
	s_or_b32 exec_lo, exec_lo, s0
	s_wait_storecnt_dscnt 0x0
	s_barrier_signal -1
	s_barrier_wait -1
	s_clause 0xf
	scratch_load_b128 v[110:113], off, off offset:200
	scratch_load_b128 v[114:117], off, off offset:216
	;; [unrolled: 1-line block ×14, first 2 shown]
	scratch_load_b64 v[222:223], off, off offset:424
	scratch_load_b64 v[224:225], off, off offset:192
	v_mov_b32_e32 v7, 0
	ds_load_2addr_b64 v[166:169], v7 offset0:99 offset1:100
	ds_load_2addr_b64 v[170:173], v7 offset0:101 offset1:102
	;; [unrolled: 1-line block ×14, first 2 shown]
	ds_load_b64 v[226:227], v7 offset:856
	s_mov_b32 s0, exec_lo
	s_wait_dscnt 0xe
	v_dual_mov_b32 v228, v169 :: v_dual_mov_b32 v229, v168
	s_wait_dscnt 0xb
	v_dual_mov_b32 v230, v173 :: v_dual_mov_b32 v235, v180
	v_dual_mov_b32 v231, v172 :: v_dual_mov_b32 v232, v177
	;; [unrolled: 1-line block ×3, first 2 shown]
	s_wait_loadcnt_dscnt 0xf0a
	v_dual_mul_f32 v9, v182, v111 :: v_dual_mul_f32 v47, v183, v111
	v_dual_mul_f32 v49, v185, v113 :: v_dual_mul_f32 v11, v184, v113
	s_wait_loadcnt_dscnt 0xe09
	v_mul_f32_e32 v13, v186, v115
	s_wait_loadcnt_dscnt 0xc07
	v_dual_mul_f32 v59, v195, v123 :: v_dual_fma_f32 v47, v182, v110, -v47
	v_dual_fmac_f32 v9, v183, v110 :: v_dual_mul_f32 v61, v197, v125
	v_dual_mul_f32 v51, v187, v115 :: v_dual_mul_f32 v53, v189, v117
	v_dual_fmac_f32 v11, v185, v112 :: v_dual_fma_f32 v49, v184, v112, -v49
	s_delay_alu instid0(VALU_DEP_3) | instskip(SKIP_3) | instid1(VALU_DEP_3)
	v_dual_add_f32 v9, 0, v9 :: v_dual_add_f32 v47, 0, v47
	v_dual_mul_f32 v15, v188, v117 :: v_dual_mul_f32 v17, v190, v119
	s_wait_loadcnt_dscnt 0xb06
	v_dual_mul_f32 v63, v199, v127 :: v_dual_fma_f32 v51, v186, v114, -v51
	v_dual_fmac_f32 v13, v187, v114 :: v_dual_add_f32 v9, v9, v11
	s_delay_alu instid0(VALU_DEP_3) | instskip(SKIP_2) | instid1(VALU_DEP_3)
	v_dual_add_f32 v11, v47, v49 :: v_dual_fmac_f32 v15, v189, v116
	v_dual_mul_f32 v55, v191, v119 :: v_dual_mul_f32 v57, v193, v121
	v_dual_mul_f32 v47, v201, v129 :: v_dual_fma_f32 v49, v188, v116, -v53
	v_dual_add_f32 v9, v9, v13 :: v_dual_add_f32 v11, v11, v51
	v_dual_mul_f32 v19, v192, v121 :: v_dual_mul_f32 v21, v194, v123
	s_wait_loadcnt_dscnt 0xa05
	v_dual_mul_f32 v13, v203, v131 :: v_dual_fma_f32 v51, v190, v118, -v55
	s_delay_alu instid0(VALU_DEP_3) | instskip(NEXT) | instid1(VALU_DEP_3)
	v_dual_fmac_f32 v17, v191, v118 :: v_dual_add_f32 v9, v9, v15
	v_dual_add_f32 v11, v11, v49 :: v_dual_fmac_f32 v19, v193, v120
	v_dual_mul_f32 v15, v205, v133 :: v_dual_fma_f32 v49, v192, v120, -v57
	s_delay_alu instid0(VALU_DEP_2) | instskip(SKIP_3) | instid1(VALU_DEP_3)
	v_dual_add_f32 v9, v9, v17 :: v_dual_add_f32 v11, v11, v51
	v_dual_mul_f32 v23, v196, v125 :: v_dual_mul_f32 v25, v198, v127
	s_wait_loadcnt_dscnt 0x904
	v_dual_mul_f32 v17, v207, v135 :: v_dual_fma_f32 v51, v194, v122, -v59
	v_dual_fmac_f32 v21, v195, v122 :: v_dual_add_f32 v9, v9, v19
	s_delay_alu instid0(VALU_DEP_3) | instskip(SKIP_1) | instid1(VALU_DEP_2)
	v_dual_add_f32 v11, v11, v49 :: v_dual_fmac_f32 v23, v197, v124
	v_dual_mul_f32 v19, v209, v137 :: v_dual_fma_f32 v49, v196, v124, -v61
	v_dual_add_f32 v9, v9, v21 :: v_dual_add_f32 v11, v11, v51
	v_dual_mul_f32 v27, v200, v129 :: v_dual_mul_f32 v29, v202, v131
	s_wait_loadcnt_dscnt 0x803
	v_dual_mul_f32 v21, v211, v139 :: v_dual_fma_f32 v51, v198, v126, -v63
	s_delay_alu instid0(VALU_DEP_3) | instskip(NEXT) | instid1(VALU_DEP_3)
	v_dual_fmac_f32 v25, v199, v126 :: v_dual_add_f32 v9, v9, v23
	v_dual_add_f32 v11, v11, v49 :: v_dual_fmac_f32 v27, v201, v128
	v_dual_mul_f32 v23, v213, v141 :: v_dual_fma_f32 v47, v200, v128, -v47
	s_delay_alu instid0(VALU_DEP_2) | instskip(SKIP_3) | instid1(VALU_DEP_3)
	v_dual_add_f32 v9, v9, v25 :: v_dual_add_f32 v11, v11, v51
	v_dual_mul_f32 v31, v204, v133 :: v_dual_mul_f32 v33, v206, v135
	s_wait_loadcnt_dscnt 0x702
	v_dual_mul_f32 v25, v215, v143 :: v_dual_fma_f32 v13, v202, v130, -v13
	v_dual_fmac_f32 v29, v203, v130 :: v_dual_add_f32 v9, v9, v27
	v_dual_add_f32 v11, v11, v47 :: v_dual_mul_f32 v27, v217, v145
	v_fmac_f32_e32 v31, v205, v132
	s_delay_alu instid0(VALU_DEP_3) | instskip(NEXT) | instid1(VALU_DEP_3)
	v_dual_fma_f32 v15, v204, v132, -v15 :: v_dual_add_f32 v9, v9, v29
	v_add_f32_e32 v11, v11, v13
	v_dual_mul_f32 v35, v208, v137 :: v_dual_mul_f32 v37, v210, v139
	s_wait_loadcnt_dscnt 0x601
	v_dual_mul_f32 v13, v219, v147 :: v_dual_fma_f32 v17, v206, v134, -v17
	v_dual_fmac_f32 v33, v207, v134 :: v_dual_add_f32 v9, v9, v31
	v_dual_add_f32 v11, v11, v15 :: v_dual_mul_f32 v15, v221, v149
	v_fmac_f32_e32 v35, v209, v136
	s_delay_alu instid0(VALU_DEP_3) | instskip(NEXT) | instid1(VALU_DEP_3)
	v_dual_fma_f32 v19, v208, v136, -v19 :: v_dual_add_f32 v9, v9, v33
	v_add_f32_e32 v11, v11, v17
	v_dual_mul_f32 v39, v212, v141 :: v_dual_mul_f32 v41, v214, v143
	s_wait_loadcnt 0x5
	v_dual_mul_f32 v17, v167, v151 :: v_dual_fma_f32 v21, v210, v138, -v21
	v_dual_fmac_f32 v37, v211, v138 :: v_dual_add_f32 v9, v9, v35
	v_dual_add_f32 v11, v11, v19 :: v_dual_mov_b32 v110, v153
	v_fmac_f32_e32 v39, v213, v140
	s_delay_alu instid0(VALU_DEP_3) | instskip(NEXT) | instid1(VALU_DEP_3)
	v_dual_fma_f32 v19, v212, v140, -v23 :: v_dual_add_f32 v9, v9, v37
	v_add_f32_e32 v11, v11, v21
	v_dual_mul_f32 v43, v216, v145 :: v_dual_mul_f32 v45, v218, v147
	s_delay_alu instid0(VALU_DEP_3) | instskip(NEXT) | instid1(VALU_DEP_3)
	v_dual_fmac_f32 v41, v215, v142 :: v_dual_add_f32 v9, v9, v39
	v_dual_fma_f32 v21, v214, v142, -v25 :: v_dual_add_f32 v11, v11, v19
	s_wait_loadcnt 0x4
	v_dual_mov_b32 v114, v157 :: v_dual_fma_f32 v19, v216, v144, -v27
	v_fmac_f32_e32 v43, v217, v144
	v_dual_add_f32 v9, v9, v41 :: v_dual_fmac_f32 v45, v219, v146
	v_add_f32_e32 v11, v11, v21
	v_dual_mul_f32 v237, v220, v149 :: v_dual_mul_f32 v239, v166, v151
	s_delay_alu instid0(VALU_DEP_3) | instskip(NEXT) | instid1(VALU_DEP_2)
	v_dual_fma_f32 v13, v218, v146, -v13 :: v_dual_add_f32 v9, v9, v43
	v_dual_add_f32 v11, v11, v19 :: v_dual_fmac_f32 v237, v221, v148
	v_fma_f32 v236, v220, v148, -v15
	v_pk_mul_f32 v[110:111], v[228:229], v[110:111] op_sel_hi:[1,0]
	s_delay_alu instid0(VALU_DEP_4)
	v_add_f32_e32 v119, v9, v45
	s_wait_loadcnt 0x3
	v_dual_add_f32 v118, v11, v13 :: v_dual_mov_b32 v120, v161
	v_pk_mul_f32 v[112:113], v[170:171], v[154:155] op_sel:[1,1] op_sel_hi:[0,1]
	v_dual_fmac_f32 v239, v167, v150 :: v_dual_fma_f32 v238, v166, v150, -v17
	v_pk_fma_f32 v[122:123], v[168:169], v[152:153], v[110:111] op_sel_hi:[1,0,1]
	s_delay_alu instid0(VALU_DEP_4)
	v_pk_add_f32 v[118:119], v[118:119], v[236:237]
	v_pk_fma_f32 v[110:111], v[168:169], v[152:153], v[110:111] neg_lo:[0,0,1] neg_hi:[0,0,1]
	v_pk_fma_f32 v[124:125], v[170:171], v[154:155], v[112:113] op_sel_hi:[1,0,1]
	v_pk_mul_f32 v[114:115], v[230:231], v[114:115] op_sel_hi:[1,0]
	v_mov_b32_e32 v111, v123
	v_pk_add_f32 v[118:119], v[118:119], v[238:239]
	v_pk_fma_f32 v[112:113], v[170:171], v[154:155], v[112:113] neg_lo:[0,0,1] neg_hi:[0,0,1]
	v_pk_mul_f32 v[116:117], v[174:175], v[158:159] op_sel:[1,1] op_sel_hi:[0,1]
	v_mov_b32_e32 v113, v125
	v_pk_fma_f32 v[124:125], v[172:173], v[156:157], v[114:115] op_sel_hi:[1,0,1]
	v_pk_add_f32 v[110:111], v[118:119], v[110:111]
	v_pk_fma_f32 v[114:115], v[172:173], v[156:157], v[114:115] neg_lo:[0,0,1] neg_hi:[0,0,1]
	v_pk_fma_f32 v[118:119], v[174:175], v[158:159], v[116:117] op_sel_hi:[1,0,1]
	v_pk_mul_f32 v[120:121], v[232:233], v[120:121] op_sel_hi:[1,0]
	v_mov_b32_e32 v115, v125
	v_pk_add_f32 v[110:111], v[110:111], v[112:113]
	v_pk_fma_f32 v[116:117], v[174:175], v[158:159], v[116:117] neg_lo:[0,0,1] neg_hi:[0,0,1]
	s_wait_loadcnt 0x2
	v_pk_mul_f32 v[122:123], v[178:179], v[162:163] op_sel:[1,1] op_sel_hi:[0,1]
	v_dual_mov_b32 v112, v165 :: v_dual_mov_b32 v117, v119
	v_pk_fma_f32 v[118:119], v[176:177], v[160:161], v[120:121] op_sel_hi:[1,0,1]
	v_pk_add_f32 v[110:111], v[110:111], v[114:115]
	v_pk_fma_f32 v[120:121], v[176:177], v[160:161], v[120:121] neg_lo:[0,0,1] neg_hi:[0,0,1]
	v_pk_fma_f32 v[114:115], v[178:179], v[162:163], v[122:123] op_sel_hi:[1,0,1]
	v_pk_mul_f32 v[112:113], v[234:235], v[112:113] op_sel_hi:[1,0]
	v_mov_b32_e32 v121, v119
	v_pk_add_f32 v[110:111], v[110:111], v[116:117]
	v_pk_fma_f32 v[116:117], v[178:179], v[162:163], v[122:123] neg_lo:[0,0,1] neg_hi:[0,0,1]
	v_mov_b32_e32 v117, v115
	v_pk_fma_f32 v[114:115], v[180:181], v[164:165], v[112:113] op_sel_hi:[1,0,1]
	s_wait_loadcnt_dscnt 0x100
	v_pk_mul_f32 v[118:119], v[226:227], v[222:223] op_sel:[1,1] op_sel_hi:[0,1]
	v_pk_add_f32 v[110:111], v[110:111], v[120:121]
	v_pk_fma_f32 v[112:113], v[180:181], v[164:165], v[112:113] neg_lo:[0,0,1] neg_hi:[0,0,1]
	v_mov_b32_e32 v113, v115
	s_delay_alu instid0(VALU_DEP_4) | instskip(NEXT) | instid1(VALU_DEP_4)
	v_pk_fma_f32 v[114:115], v[226:227], v[222:223], v[118:119] op_sel_hi:[1,0,1]
	v_pk_add_f32 v[110:111], v[110:111], v[116:117]
	v_pk_fma_f32 v[116:117], v[226:227], v[222:223], v[118:119] neg_lo:[0,0,1] neg_hi:[0,0,1]
	s_delay_alu instid0(VALU_DEP_3) | instskip(NEXT) | instid1(VALU_DEP_3)
	v_mov_b32_e32 v117, v115
	v_pk_add_f32 v[110:111], v[110:111], v[112:113]
	s_delay_alu instid0(VALU_DEP_1) | instskip(SKIP_1) | instid1(VALU_DEP_1)
	v_pk_add_f32 v[110:111], v[110:111], v[116:117]
	s_wait_loadcnt 0x0
	v_pk_add_f32 v[110:111], v[224:225], v[110:111] neg_lo:[0,1] neg_hi:[0,1]
	scratch_store_b64 off, v[110:111], off offset:192
	s_wait_xcnt 0x0
	v_cmpx_lt_u32_e32 23, v0
	s_cbranch_execz .LBB117_291
; %bb.290:
	scratch_load_b64 v[110:111], off, off offset:184
	v_mov_b64_e32 v[112:113], 0
	scratch_store_b64 off, v[112:113], off offset:184
	s_wait_loadcnt 0x0
	ds_store_b64 v1, v[110:111]
.LBB117_291:
	s_wait_xcnt 0x0
	s_or_b32 exec_lo, exec_lo, s0
	s_wait_storecnt_dscnt 0x0
	s_barrier_signal -1
	s_barrier_wait -1
	s_clause 0xf
	scratch_load_b128 v[110:113], off, off offset:192
	scratch_load_b128 v[114:117], off, off offset:208
	;; [unrolled: 1-line block ×15, first 2 shown]
	scratch_load_b64 v[230:231], off, off offset:184
	ds_load_b128 v[170:173], v7 offset:800
	ds_load_b128 v[174:177], v7 offset:816
	;; [unrolled: 1-line block ×15, first 2 shown]
	s_mov_b32 s0, exec_lo
	s_wait_dscnt 0xe
	v_dual_mov_b32 v232, v173 :: v_dual_mov_b32 v233, v172
	s_wait_dscnt 0xd
	v_dual_mov_b32 v234, v177 :: v_dual_mov_b32 v235, v176
	;; [unrolled: 2-line block ×4, first 2 shown]
	s_wait_loadcnt_dscnt 0xf0a
	v_dual_mul_f32 v7, v186, v111 :: v_dual_mul_f32 v9, v188, v113
	v_dual_mul_f32 v47, v187, v111 :: v_dual_mul_f32 v49, v189, v113
	s_wait_loadcnt_dscnt 0xe09
	v_dual_mul_f32 v11, v190, v115 :: v_dual_mul_f32 v13, v192, v117
	s_delay_alu instid0(VALU_DEP_3) | instskip(SKIP_3) | instid1(VALU_DEP_3)
	v_dual_fmac_f32 v7, v187, v110 :: v_dual_fmac_f32 v9, v189, v112
	s_wait_loadcnt_dscnt 0xc06
	v_dual_fma_f32 v47, v186, v110, -v47 :: v_dual_mul_f32 v59, v203, v123
	v_dual_mul_f32 v51, v191, v115 :: v_dual_mul_f32 v53, v193, v117
	v_dual_fma_f32 v49, v188, v112, -v49 :: v_dual_add_f32 v7, 0, v7
	s_delay_alu instid0(VALU_DEP_3) | instskip(SKIP_1) | instid1(VALU_DEP_3)
	v_dual_add_f32 v47, 0, v47 :: v_dual_mul_f32 v61, v205, v125
	v_dual_fmac_f32 v11, v191, v114 :: v_dual_fmac_f32 v13, v193, v116
	v_dual_fma_f32 v51, v190, v114, -v51 :: v_dual_add_f32 v7, v7, v9
	s_delay_alu instid0(VALU_DEP_3) | instskip(SKIP_2) | instid1(VALU_DEP_4)
	v_dual_add_f32 v9, v47, v49 :: v_dual_fma_f32 v49, v192, v116, -v53
	v_dual_mul_f32 v15, v198, v119 :: v_dual_mul_f32 v17, v200, v121
	v_dual_mul_f32 v55, v199, v119 :: v_dual_mul_f32 v57, v201, v121
	v_add_f32_e32 v7, v7, v11
	s_delay_alu instid0(VALU_DEP_3) | instskip(NEXT) | instid1(VALU_DEP_3)
	v_dual_add_f32 v9, v9, v51 :: v_dual_fmac_f32 v15, v199, v118
	v_fma_f32 v51, v198, v118, -v55
	v_dual_mul_f32 v19, v202, v123 :: v_dual_mul_f32 v21, v204, v125
	s_delay_alu instid0(VALU_DEP_4) | instskip(SKIP_2) | instid1(VALU_DEP_2)
	v_dual_add_f32 v7, v7, v13 :: v_dual_fmac_f32 v17, v201, v120
	s_wait_loadcnt_dscnt 0xa04
	v_dual_add_f32 v9, v9, v49 :: v_dual_mul_f32 v13, v211, v131
	v_dual_fma_f32 v49, v200, v120, -v57 :: v_dual_add_f32 v7, v7, v15
	v_mul_f32_e32 v15, v213, v133
	s_delay_alu instid0(VALU_DEP_3) | instskip(NEXT) | instid1(VALU_DEP_3)
	v_dual_add_f32 v9, v9, v51 :: v_dual_fmac_f32 v19, v203, v122
	v_dual_fma_f32 v51, v202, v122, -v59 :: v_dual_add_f32 v7, v7, v17
	v_fmac_f32_e32 v21, v205, v124
	s_wait_loadcnt_dscnt 0x903
	s_delay_alu instid0(VALU_DEP_3) | instskip(SKIP_3) | instid1(VALU_DEP_3)
	v_dual_add_f32 v9, v9, v49 :: v_dual_mul_f32 v17, v215, v135
	v_dual_mul_f32 v23, v206, v127 :: v_dual_mul_f32 v25, v208, v129
	v_dual_mul_f32 v47, v207, v127 :: v_dual_mul_f32 v11, v209, v129
	v_dual_fma_f32 v49, v204, v124, -v61 :: v_dual_add_f32 v7, v7, v19
	v_dual_add_f32 v9, v9, v51 :: v_dual_fmac_f32 v23, v207, v126
	s_delay_alu instid0(VALU_DEP_3) | instskip(NEXT) | instid1(VALU_DEP_3)
	v_dual_mul_f32 v19, v217, v137 :: v_dual_fma_f32 v47, v206, v126, -v47
	v_dual_add_f32 v7, v7, v21 :: v_dual_fmac_f32 v25, v209, v128
	s_wait_loadcnt_dscnt 0x802
	s_delay_alu instid0(VALU_DEP_3) | instskip(SKIP_1) | instid1(VALU_DEP_3)
	v_dual_add_f32 v9, v9, v49 :: v_dual_mul_f32 v21, v219, v139
	v_dual_mul_f32 v27, v210, v131 :: v_dual_mul_f32 v29, v212, v133
	v_dual_fma_f32 v11, v208, v128, -v11 :: v_dual_add_f32 v7, v7, v23
	s_delay_alu instid0(VALU_DEP_2) | instskip(SKIP_1) | instid1(VALU_DEP_2)
	v_dual_add_f32 v9, v9, v47 :: v_dual_fmac_f32 v27, v211, v130
	v_dual_mul_f32 v23, v221, v141 :: v_dual_fma_f32 v13, v210, v130, -v13
	v_dual_add_f32 v7, v7, v25 :: v_dual_add_f32 v9, v9, v11
	v_dual_mul_f32 v31, v214, v135 :: v_dual_mul_f32 v33, v216, v137
	s_wait_loadcnt_dscnt 0x701
	v_dual_mul_f32 v11, v223, v143 :: v_dual_fmac_f32 v29, v213, v132
	s_delay_alu instid0(VALU_DEP_3) | instskip(NEXT) | instid1(VALU_DEP_3)
	v_dual_fma_f32 v15, v212, v132, -v15 :: v_dual_add_f32 v7, v7, v27
	v_dual_add_f32 v9, v9, v13 :: v_dual_fmac_f32 v31, v215, v134
	v_dual_mul_f32 v13, v225, v145 :: v_dual_fma_f32 v17, v214, v134, -v17
	s_delay_alu instid0(VALU_DEP_2) | instskip(SKIP_3) | instid1(VALU_DEP_3)
	v_dual_add_f32 v7, v7, v29 :: v_dual_add_f32 v9, v9, v15
	v_dual_mul_f32 v35, v218, v139 :: v_dual_mul_f32 v37, v220, v141
	s_wait_loadcnt_dscnt 0x600
	v_dual_mul_f32 v15, v227, v147 :: v_dual_fmac_f32 v33, v217, v136
	v_dual_fma_f32 v19, v216, v136, -v19 :: v_dual_add_f32 v7, v7, v31
	s_delay_alu instid0(VALU_DEP_3) | instskip(SKIP_1) | instid1(VALU_DEP_2)
	v_dual_add_f32 v9, v9, v17 :: v_dual_fmac_f32 v35, v219, v138
	v_dual_mul_f32 v17, v229, v149 :: v_dual_fma_f32 v21, v218, v138, -v21
	v_dual_add_f32 v7, v7, v33 :: v_dual_add_f32 v9, v9, v19
	v_dual_mul_f32 v39, v222, v143 :: v_dual_mul_f32 v41, v224, v145
	s_wait_loadcnt 0x5
	v_dual_mul_f32 v19, v195, v151 :: v_dual_fmac_f32 v37, v221, v140
	s_delay_alu instid0(VALU_DEP_3) | instskip(NEXT) | instid1(VALU_DEP_3)
	v_dual_fma_f32 v23, v220, v140, -v23 :: v_dual_add_f32 v7, v7, v35
	v_dual_add_f32 v9, v9, v21 :: v_dual_fmac_f32 v39, v223, v142
	v_dual_mul_f32 v21, v197, v153 :: v_dual_fma_f32 v11, v222, v142, -v11
	s_delay_alu instid0(VALU_DEP_2) | instskip(SKIP_1) | instid1(VALU_DEP_2)
	v_dual_add_f32 v7, v7, v37 :: v_dual_add_f32 v9, v9, v23
	v_dual_mul_f32 v43, v226, v147 :: v_dual_mul_f32 v45, v228, v149
	v_dual_fmac_f32 v41, v225, v144 :: v_dual_add_f32 v7, v7, v39
	s_delay_alu instid0(VALU_DEP_3) | instskip(SKIP_1) | instid1(VALU_DEP_3)
	v_dual_fma_f32 v13, v224, v144, -v13 :: v_dual_add_f32 v9, v9, v11
	s_wait_loadcnt 0x4
	v_dual_mov_b32 v112, v157 :: v_dual_fmac_f32 v43, v227, v146
	s_delay_alu instid0(VALU_DEP_3) | instskip(NEXT) | instid1(VALU_DEP_3)
	v_dual_fma_f32 v11, v226, v146, -v15 :: v_dual_add_f32 v7, v7, v41
	v_dual_add_f32 v9, v9, v13 :: v_dual_fma_f32 v13, v228, v148, -v17
	v_dual_mul_f32 v241, v194, v151 :: v_dual_mul_f32 v243, v196, v153
	s_delay_alu instid0(VALU_DEP_3) | instskip(NEXT) | instid1(VALU_DEP_2)
	v_dual_fmac_f32 v45, v229, v148 :: v_dual_add_f32 v7, v7, v43
	v_dual_add_f32 v9, v9, v11 :: v_dual_fmac_f32 v241, v195, v150
	v_pk_mul_f32 v[110:111], v[170:171], v[154:155] op_sel:[1,1] op_sel_hi:[0,1]
	s_wait_loadcnt 0x3
	v_dual_mov_b32 v116, v161 :: v_dual_fma_f32 v240, v194, v150, -v19
	v_dual_add_f32 v119, v7, v45 :: v_dual_fmac_f32 v243, v197, v152
	v_dual_add_f32 v118, v9, v13 :: v_dual_fma_f32 v242, v196, v152, -v21
	v_pk_fma_f32 v[120:121], v[170:171], v[154:155], v[110:111] op_sel_hi:[1,0,1]
	v_pk_mul_f32 v[112:113], v[232:233], v[112:113] op_sel_hi:[1,0]
	v_pk_fma_f32 v[110:111], v[170:171], v[154:155], v[110:111] neg_lo:[0,0,1] neg_hi:[0,0,1]
	s_delay_alu instid0(VALU_DEP_4)
	v_pk_add_f32 v[118:119], v[118:119], v[240:241]
	v_pk_mul_f32 v[114:115], v[174:175], v[158:159] op_sel:[1,1] op_sel_hi:[0,1]
	v_mov_b32_e32 v111, v121
	v_pk_fma_f32 v[120:121], v[172:173], v[156:157], v[112:113] op_sel_hi:[1,0,1]
	v_pk_fma_f32 v[112:113], v[172:173], v[156:157], v[112:113] neg_lo:[0,0,1] neg_hi:[0,0,1]
	v_pk_add_f32 v[118:119], v[118:119], v[242:243]
	v_pk_fma_f32 v[124:125], v[174:175], v[158:159], v[114:115] op_sel_hi:[1,0,1]
	v_pk_mul_f32 v[116:117], v[234:235], v[116:117] op_sel_hi:[1,0]
	v_mov_b32_e32 v113, v121
	s_wait_loadcnt 0x2
	v_pk_mul_f32 v[122:123], v[178:179], v[162:163] op_sel:[1,1] op_sel_hi:[0,1]
	v_pk_add_f32 v[110:111], v[118:119], v[110:111]
	v_mov_b32_e32 v118, v165
	v_pk_fma_f32 v[114:115], v[174:175], v[158:159], v[114:115] neg_lo:[0,0,1] neg_hi:[0,0,1]
	v_mov_b32_e32 v115, v125
	v_pk_fma_f32 v[120:121], v[176:177], v[160:161], v[116:117] op_sel_hi:[1,0,1]
	v_pk_add_f32 v[110:111], v[110:111], v[112:113]
	v_pk_fma_f32 v[112:113], v[178:179], v[162:163], v[122:123] op_sel_hi:[1,0,1]
	v_pk_mul_f32 v[118:119], v[236:237], v[118:119] op_sel_hi:[1,0]
	v_pk_fma_f32 v[116:117], v[176:177], v[160:161], v[116:117] neg_lo:[0,0,1] neg_hi:[0,0,1]
	v_mov_b32_e32 v117, v121
	v_pk_add_f32 v[110:111], v[110:111], v[114:115]
	v_pk_fma_f32 v[120:121], v[178:179], v[162:163], v[122:123] neg_lo:[0,0,1] neg_hi:[0,0,1]
	v_mov_b32_e32 v121, v113
	v_pk_fma_f32 v[112:113], v[180:181], v[164:165], v[118:119] op_sel_hi:[1,0,1]
	s_wait_loadcnt 0x1
	v_pk_mul_f32 v[114:115], v[182:183], v[166:167] op_sel:[1,1] op_sel_hi:[0,1]
	v_pk_add_f32 v[110:111], v[110:111], v[116:117]
	v_mov_b32_e32 v112, v169
	v_pk_fma_f32 v[118:119], v[180:181], v[164:165], v[118:119] neg_lo:[0,0,1] neg_hi:[0,0,1]
	v_mov_b32_e32 v119, v113
	v_pk_fma_f32 v[116:117], v[182:183], v[166:167], v[114:115] op_sel_hi:[1,0,1]
	v_pk_add_f32 v[110:111], v[110:111], v[120:121]
	v_pk_mul_f32 v[112:113], v[238:239], v[112:113] op_sel_hi:[1,0]
	v_pk_fma_f32 v[114:115], v[182:183], v[166:167], v[114:115] neg_lo:[0,0,1] neg_hi:[0,0,1]
	s_delay_alu instid0(VALU_DEP_4) | instskip(NEXT) | instid1(VALU_DEP_4)
	v_mov_b32_e32 v115, v117
	v_pk_add_f32 v[110:111], v[110:111], v[118:119]
	s_delay_alu instid0(VALU_DEP_4) | instskip(SKIP_1) | instid1(VALU_DEP_2)
	v_pk_fma_f32 v[116:117], v[184:185], v[168:169], v[112:113] op_sel_hi:[1,0,1]
	v_pk_fma_f32 v[112:113], v[184:185], v[168:169], v[112:113] neg_lo:[0,0,1] neg_hi:[0,0,1]
	v_mov_b32_e32 v113, v117
	s_delay_alu instid0(VALU_DEP_4) | instskip(NEXT) | instid1(VALU_DEP_1)
	v_pk_add_f32 v[110:111], v[110:111], v[114:115]
	v_pk_add_f32 v[110:111], v[110:111], v[112:113]
	s_wait_loadcnt 0x0
	s_delay_alu instid0(VALU_DEP_1)
	v_pk_add_f32 v[110:111], v[230:231], v[110:111] neg_lo:[0,1] neg_hi:[0,1]
	scratch_store_b64 off, v[110:111], off offset:184
	s_wait_xcnt 0x0
	v_cmpx_lt_u32_e32 22, v0
	s_cbranch_execz .LBB117_293
; %bb.292:
	scratch_load_b64 v[110:111], off, off offset:176
	v_mov_b64_e32 v[112:113], 0
	scratch_store_b64 off, v[112:113], off offset:176
	s_wait_loadcnt 0x0
	ds_store_b64 v1, v[110:111]
.LBB117_293:
	s_wait_xcnt 0x0
	s_or_b32 exec_lo, exec_lo, s0
	s_wait_storecnt_dscnt 0x0
	s_barrier_signal -1
	s_barrier_wait -1
	s_clause 0x10
	scratch_load_b128 v[110:113], off, off offset:184
	scratch_load_b128 v[114:117], off, off offset:200
	;; [unrolled: 1-line block ×15, first 2 shown]
	scratch_load_b64 v[230:231], off, off offset:424
	scratch_load_b64 v[232:233], off, off offset:176
	v_mov_b32_e32 v7, 0
	ds_load_2addr_b64 v[170:173], v7 offset0:99 offset1:100
	ds_load_2addr_b64 v[174:177], v7 offset0:101 offset1:102
	;; [unrolled: 1-line block ×15, first 2 shown]
	ds_load_b64 v[234:235], v7 offset:856
	s_mov_b32 s0, exec_lo
	s_wait_dscnt 0xf
	v_dual_mov_b32 v236, v173 :: v_dual_mov_b32 v237, v172
	s_wait_dscnt 0xc
	v_dual_mov_b32 v238, v177 :: v_dual_mov_b32 v243, v184
	v_dual_mov_b32 v239, v176 :: v_dual_mov_b32 v240, v181
	;; [unrolled: 1-line block ×3, first 2 shown]
	s_wait_loadcnt_dscnt 0x100b
	v_dual_mul_f32 v9, v186, v111 :: v_dual_mul_f32 v51, v187, v111
	v_dual_mul_f32 v53, v189, v113 :: v_dual_mul_f32 v11, v188, v113
	s_wait_loadcnt_dscnt 0xf09
	v_mul_f32_e32 v13, v194, v115
	s_wait_loadcnt_dscnt 0xd07
	v_dual_mul_f32 v63, v203, v123 :: v_dual_fma_f32 v51, v186, v110, -v51
	v_dual_fmac_f32 v9, v187, v110 :: v_dual_mul_f32 v65, v205, v125
	v_dual_mul_f32 v55, v195, v115 :: v_dual_mul_f32 v57, v197, v117
	v_dual_fmac_f32 v11, v189, v112 :: v_dual_fma_f32 v53, v188, v112, -v53
	s_delay_alu instid0(VALU_DEP_3) | instskip(SKIP_3) | instid1(VALU_DEP_3)
	v_dual_add_f32 v9, 0, v9 :: v_dual_add_f32 v51, 0, v51
	v_dual_mul_f32 v15, v196, v117 :: v_dual_mul_f32 v17, v198, v119
	s_wait_loadcnt_dscnt 0xc06
	v_dual_mul_f32 v67, v207, v127 :: v_dual_fma_f32 v55, v194, v114, -v55
	v_dual_fmac_f32 v13, v195, v114 :: v_dual_add_f32 v9, v9, v11
	s_delay_alu instid0(VALU_DEP_3) | instskip(SKIP_2) | instid1(VALU_DEP_3)
	v_dual_add_f32 v11, v51, v53 :: v_dual_fmac_f32 v15, v197, v116
	v_dual_mul_f32 v59, v199, v119 :: v_dual_mul_f32 v61, v201, v121
	v_dual_mul_f32 v51, v209, v129 :: v_dual_fma_f32 v53, v196, v116, -v57
	v_dual_add_f32 v9, v9, v13 :: v_dual_add_f32 v11, v11, v55
	v_dual_mul_f32 v19, v200, v121 :: v_dual_mul_f32 v21, v202, v123
	s_wait_loadcnt_dscnt 0xb05
	v_dual_mul_f32 v13, v211, v131 :: v_dual_fma_f32 v55, v198, v118, -v59
	s_delay_alu instid0(VALU_DEP_3) | instskip(NEXT) | instid1(VALU_DEP_3)
	v_dual_fmac_f32 v17, v199, v118 :: v_dual_add_f32 v9, v9, v15
	v_dual_add_f32 v11, v11, v53 :: v_dual_fmac_f32 v19, v201, v120
	v_dual_mul_f32 v15, v213, v133 :: v_dual_fma_f32 v53, v200, v120, -v61
	s_delay_alu instid0(VALU_DEP_2) | instskip(SKIP_3) | instid1(VALU_DEP_3)
	v_dual_add_f32 v9, v9, v17 :: v_dual_add_f32 v11, v11, v55
	v_dual_mul_f32 v23, v204, v125 :: v_dual_mul_f32 v25, v206, v127
	s_wait_loadcnt_dscnt 0xa04
	v_dual_mul_f32 v17, v215, v135 :: v_dual_fma_f32 v55, v202, v122, -v63
	v_dual_fmac_f32 v21, v203, v122 :: v_dual_add_f32 v9, v9, v19
	s_delay_alu instid0(VALU_DEP_3) | instskip(SKIP_1) | instid1(VALU_DEP_2)
	v_dual_add_f32 v11, v11, v53 :: v_dual_fmac_f32 v23, v205, v124
	v_dual_mul_f32 v19, v217, v137 :: v_dual_fma_f32 v53, v204, v124, -v65
	v_dual_add_f32 v9, v9, v21 :: v_dual_add_f32 v11, v11, v55
	v_dual_mul_f32 v27, v208, v129 :: v_dual_mul_f32 v29, v210, v131
	s_wait_loadcnt_dscnt 0x903
	v_dual_mul_f32 v21, v219, v139 :: v_dual_fma_f32 v55, v206, v126, -v67
	s_delay_alu instid0(VALU_DEP_3) | instskip(NEXT) | instid1(VALU_DEP_3)
	v_dual_fmac_f32 v25, v207, v126 :: v_dual_add_f32 v9, v9, v23
	v_dual_add_f32 v11, v11, v53 :: v_dual_fmac_f32 v27, v209, v128
	v_dual_mul_f32 v23, v221, v141 :: v_dual_fma_f32 v51, v208, v128, -v51
	s_delay_alu instid0(VALU_DEP_2) | instskip(SKIP_3) | instid1(VALU_DEP_3)
	v_dual_add_f32 v9, v9, v25 :: v_dual_add_f32 v11, v11, v55
	v_dual_mul_f32 v31, v212, v133 :: v_dual_mul_f32 v33, v214, v135
	s_wait_loadcnt_dscnt 0x802
	v_dual_mul_f32 v25, v223, v143 :: v_dual_fma_f32 v13, v210, v130, -v13
	v_dual_fmac_f32 v29, v211, v130 :: v_dual_add_f32 v9, v9, v27
	v_dual_add_f32 v11, v11, v51 :: v_dual_mul_f32 v27, v225, v145
	v_fmac_f32_e32 v31, v213, v132
	s_delay_alu instid0(VALU_DEP_3) | instskip(NEXT) | instid1(VALU_DEP_3)
	v_dual_fma_f32 v15, v212, v132, -v15 :: v_dual_add_f32 v9, v9, v29
	v_add_f32_e32 v11, v11, v13
	v_dual_mul_f32 v35, v216, v137 :: v_dual_mul_f32 v37, v218, v139
	s_wait_loadcnt_dscnt 0x701
	v_dual_mul_f32 v13, v227, v147 :: v_dual_fma_f32 v17, v214, v134, -v17
	v_dual_fmac_f32 v33, v215, v134 :: v_dual_add_f32 v9, v9, v31
	v_dual_add_f32 v11, v11, v15 :: v_dual_mul_f32 v15, v229, v149
	v_fmac_f32_e32 v35, v217, v136
	s_delay_alu instid0(VALU_DEP_3) | instskip(NEXT) | instid1(VALU_DEP_3)
	v_dual_fma_f32 v19, v216, v136, -v19 :: v_dual_add_f32 v9, v9, v33
	v_add_f32_e32 v11, v11, v17
	v_dual_mul_f32 v39, v220, v141 :: v_dual_mul_f32 v41, v222, v143
	s_wait_loadcnt 0x6
	v_dual_mul_f32 v17, v191, v151 :: v_dual_fma_f32 v21, v218, v138, -v21
	v_dual_fmac_f32 v37, v219, v138 :: v_dual_add_f32 v9, v9, v35
	v_dual_add_f32 v11, v11, v19 :: v_dual_mul_f32 v19, v193, v153
	v_fmac_f32_e32 v39, v221, v140
	s_delay_alu instid0(VALU_DEP_3) | instskip(NEXT) | instid1(VALU_DEP_3)
	v_dual_fma_f32 v23, v220, v140, -v23 :: v_dual_add_f32 v9, v9, v37
	v_add_f32_e32 v11, v11, v21
	v_dual_mul_f32 v43, v224, v145 :: v_dual_mul_f32 v45, v226, v147
	s_wait_loadcnt 0x5
	v_dual_mul_f32 v21, v171, v155 :: v_dual_fma_f32 v25, v222, v142, -v25
	v_dual_fmac_f32 v41, v223, v142 :: v_dual_add_f32 v9, v9, v39
	v_dual_add_f32 v11, v11, v23 :: v_dual_mov_b32 v110, v157
	v_fmac_f32_e32 v43, v225, v144
	s_delay_alu instid0(VALU_DEP_3) | instskip(NEXT) | instid1(VALU_DEP_3)
	v_dual_fma_f32 v23, v224, v144, -v27 :: v_dual_add_f32 v9, v9, v41
	v_add_f32_e32 v11, v11, v25
	v_dual_mul_f32 v47, v228, v149 :: v_dual_mul_f32 v49, v190, v151
	s_delay_alu instid0(VALU_DEP_3) | instskip(NEXT) | instid1(VALU_DEP_3)
	v_dual_fmac_f32 v45, v227, v146 :: v_dual_add_f32 v9, v9, v43
	v_dual_fma_f32 v13, v226, v146, -v13 :: v_dual_add_f32 v11, v11, v23
	s_wait_loadcnt 0x4
	v_dual_mov_b32 v114, v161 :: v_dual_fma_f32 v15, v228, v148, -v15
	v_fmac_f32_e32 v47, v229, v148
	v_dual_add_f32 v9, v9, v45 :: v_dual_fmac_f32 v49, v191, v150
	v_add_f32_e32 v11, v11, v13
	v_dual_mul_f32 v245, v192, v153 :: v_dual_mul_f32 v247, v170, v155
	s_delay_alu instid0(VALU_DEP_3) | instskip(NEXT) | instid1(VALU_DEP_2)
	v_dual_fma_f32 v13, v190, v150, -v17 :: v_dual_add_f32 v9, v9, v47
	v_dual_add_f32 v11, v11, v15 :: v_dual_fmac_f32 v245, v193, v152
	v_fma_f32 v244, v192, v152, -v19
	v_pk_mul_f32 v[110:111], v[236:237], v[110:111] op_sel_hi:[1,0]
	s_delay_alu instid0(VALU_DEP_4)
	v_add_f32_e32 v119, v9, v49
	s_wait_loadcnt 0x3
	v_dual_add_f32 v118, v11, v13 :: v_dual_mov_b32 v120, v165
	v_pk_mul_f32 v[112:113], v[174:175], v[158:159] op_sel:[1,1] op_sel_hi:[0,1]
	v_dual_fmac_f32 v247, v171, v154 :: v_dual_fma_f32 v246, v170, v154, -v21
	v_pk_fma_f32 v[122:123], v[172:173], v[156:157], v[110:111] op_sel_hi:[1,0,1]
	s_delay_alu instid0(VALU_DEP_4)
	v_pk_add_f32 v[118:119], v[118:119], v[244:245]
	v_pk_fma_f32 v[110:111], v[172:173], v[156:157], v[110:111] neg_lo:[0,0,1] neg_hi:[0,0,1]
	v_pk_fma_f32 v[124:125], v[174:175], v[158:159], v[112:113] op_sel_hi:[1,0,1]
	v_pk_mul_f32 v[114:115], v[238:239], v[114:115] op_sel_hi:[1,0]
	v_mov_b32_e32 v111, v123
	v_pk_add_f32 v[118:119], v[118:119], v[246:247]
	v_pk_fma_f32 v[112:113], v[174:175], v[158:159], v[112:113] neg_lo:[0,0,1] neg_hi:[0,0,1]
	v_pk_mul_f32 v[116:117], v[178:179], v[162:163] op_sel:[1,1] op_sel_hi:[0,1]
	v_mov_b32_e32 v113, v125
	v_pk_fma_f32 v[124:125], v[176:177], v[160:161], v[114:115] op_sel_hi:[1,0,1]
	v_pk_add_f32 v[110:111], v[118:119], v[110:111]
	v_pk_fma_f32 v[114:115], v[176:177], v[160:161], v[114:115] neg_lo:[0,0,1] neg_hi:[0,0,1]
	v_pk_fma_f32 v[118:119], v[178:179], v[162:163], v[116:117] op_sel_hi:[1,0,1]
	v_pk_mul_f32 v[120:121], v[240:241], v[120:121] op_sel_hi:[1,0]
	v_mov_b32_e32 v115, v125
	v_pk_add_f32 v[110:111], v[110:111], v[112:113]
	v_pk_fma_f32 v[116:117], v[178:179], v[162:163], v[116:117] neg_lo:[0,0,1] neg_hi:[0,0,1]
	s_wait_loadcnt 0x2
	v_pk_mul_f32 v[122:123], v[182:183], v[166:167] op_sel:[1,1] op_sel_hi:[0,1]
	v_dual_mov_b32 v112, v169 :: v_dual_mov_b32 v117, v119
	v_pk_fma_f32 v[118:119], v[180:181], v[164:165], v[120:121] op_sel_hi:[1,0,1]
	v_pk_add_f32 v[110:111], v[110:111], v[114:115]
	v_pk_fma_f32 v[120:121], v[180:181], v[164:165], v[120:121] neg_lo:[0,0,1] neg_hi:[0,0,1]
	v_pk_fma_f32 v[114:115], v[182:183], v[166:167], v[122:123] op_sel_hi:[1,0,1]
	v_pk_mul_f32 v[112:113], v[242:243], v[112:113] op_sel_hi:[1,0]
	v_mov_b32_e32 v121, v119
	v_pk_add_f32 v[110:111], v[110:111], v[116:117]
	v_pk_fma_f32 v[116:117], v[182:183], v[166:167], v[122:123] neg_lo:[0,0,1] neg_hi:[0,0,1]
	v_mov_b32_e32 v117, v115
	v_pk_fma_f32 v[114:115], v[184:185], v[168:169], v[112:113] op_sel_hi:[1,0,1]
	s_wait_loadcnt_dscnt 0x100
	v_pk_mul_f32 v[118:119], v[234:235], v[230:231] op_sel:[1,1] op_sel_hi:[0,1]
	v_pk_add_f32 v[110:111], v[110:111], v[120:121]
	v_pk_fma_f32 v[112:113], v[184:185], v[168:169], v[112:113] neg_lo:[0,0,1] neg_hi:[0,0,1]
	v_mov_b32_e32 v113, v115
	s_delay_alu instid0(VALU_DEP_4) | instskip(NEXT) | instid1(VALU_DEP_4)
	v_pk_fma_f32 v[114:115], v[234:235], v[230:231], v[118:119] op_sel_hi:[1,0,1]
	v_pk_add_f32 v[110:111], v[110:111], v[116:117]
	v_pk_fma_f32 v[116:117], v[234:235], v[230:231], v[118:119] neg_lo:[0,0,1] neg_hi:[0,0,1]
	s_delay_alu instid0(VALU_DEP_3) | instskip(NEXT) | instid1(VALU_DEP_3)
	v_mov_b32_e32 v117, v115
	v_pk_add_f32 v[110:111], v[110:111], v[112:113]
	s_delay_alu instid0(VALU_DEP_1) | instskip(SKIP_1) | instid1(VALU_DEP_1)
	v_pk_add_f32 v[110:111], v[110:111], v[116:117]
	s_wait_loadcnt 0x0
	v_pk_add_f32 v[110:111], v[232:233], v[110:111] neg_lo:[0,1] neg_hi:[0,1]
	scratch_store_b64 off, v[110:111], off offset:176
	s_wait_xcnt 0x0
	v_cmpx_lt_u32_e32 21, v0
	s_cbranch_execz .LBB117_295
; %bb.294:
	scratch_load_b64 v[110:111], off, off offset:168
	v_mov_b64_e32 v[112:113], 0
	scratch_store_b64 off, v[112:113], off offset:168
	s_wait_loadcnt 0x0
	ds_store_b64 v1, v[110:111]
.LBB117_295:
	s_wait_xcnt 0x0
	s_or_b32 exec_lo, exec_lo, s0
	s_wait_storecnt_dscnt 0x0
	s_barrier_signal -1
	s_barrier_wait -1
	s_clause 0x10
	scratch_load_b128 v[110:113], off, off offset:176
	scratch_load_b128 v[114:117], off, off offset:192
	;; [unrolled: 1-line block ×16, first 2 shown]
	scratch_load_b64 v[238:239], off, off offset:168
	ds_load_b128 v[174:177], v7 offset:800
	ds_load_b128 v[178:181], v7 offset:816
	;; [unrolled: 1-line block ×16, first 2 shown]
	s_mov_b32 s0, exec_lo
	s_wait_dscnt 0xf
	v_dual_mov_b32 v240, v177 :: v_dual_mov_b32 v241, v176
	s_wait_dscnt 0xe
	v_dual_mov_b32 v242, v181 :: v_dual_mov_b32 v243, v180
	;; [unrolled: 2-line block ×4, first 2 shown]
	s_wait_loadcnt_dscnt 0x100b
	v_dual_mul_f32 v7, v190, v111 :: v_dual_mul_f32 v9, v192, v113
	v_dual_mul_f32 v51, v191, v111 :: v_dual_mul_f32 v53, v193, v113
	s_wait_loadcnt_dscnt 0xf0a
	v_dual_mul_f32 v11, v194, v115 :: v_dual_mul_f32 v13, v196, v117
	s_delay_alu instid0(VALU_DEP_3) | instskip(SKIP_3) | instid1(VALU_DEP_3)
	v_dual_fmac_f32 v7, v191, v110 :: v_dual_fmac_f32 v9, v193, v112
	s_wait_loadcnt_dscnt 0xd08
	v_dual_fma_f32 v51, v190, v110, -v51 :: v_dual_mul_f32 v63, v203, v123
	v_dual_mul_f32 v55, v195, v115 :: v_dual_mul_f32 v57, v197, v117
	v_dual_fma_f32 v53, v192, v112, -v53 :: v_dual_add_f32 v7, 0, v7
	s_delay_alu instid0(VALU_DEP_3) | instskip(SKIP_1) | instid1(VALU_DEP_3)
	v_dual_add_f32 v51, 0, v51 :: v_dual_mul_f32 v65, v205, v125
	v_dual_fmac_f32 v11, v195, v114 :: v_dual_fmac_f32 v13, v197, v116
	v_dual_fma_f32 v55, v194, v114, -v55 :: v_dual_add_f32 v7, v7, v9
	s_delay_alu instid0(VALU_DEP_3) | instskip(SKIP_2) | instid1(VALU_DEP_4)
	v_dual_add_f32 v9, v51, v53 :: v_dual_fma_f32 v53, v196, v116, -v57
	v_dual_mul_f32 v15, v198, v119 :: v_dual_mul_f32 v17, v200, v121
	v_dual_mul_f32 v59, v199, v119 :: v_dual_mul_f32 v61, v201, v121
	v_add_f32_e32 v7, v7, v11
	s_delay_alu instid0(VALU_DEP_3) | instskip(NEXT) | instid1(VALU_DEP_3)
	v_dual_add_f32 v9, v9, v55 :: v_dual_fmac_f32 v15, v199, v118
	v_fma_f32 v55, v198, v118, -v59
	v_dual_mul_f32 v19, v202, v123 :: v_dual_mul_f32 v21, v204, v125
	s_delay_alu instid0(VALU_DEP_4) | instskip(SKIP_2) | instid1(VALU_DEP_2)
	v_dual_add_f32 v7, v7, v13 :: v_dual_fmac_f32 v17, v201, v120
	s_wait_loadcnt_dscnt 0xb06
	v_dual_add_f32 v9, v9, v53 :: v_dual_mul_f32 v13, v211, v131
	v_dual_fma_f32 v53, v200, v120, -v61 :: v_dual_add_f32 v7, v7, v15
	v_mul_f32_e32 v15, v213, v133
	s_delay_alu instid0(VALU_DEP_3) | instskip(NEXT) | instid1(VALU_DEP_3)
	v_dual_add_f32 v9, v9, v55 :: v_dual_fmac_f32 v19, v203, v122
	v_dual_fma_f32 v55, v202, v122, -v63 :: v_dual_add_f32 v7, v7, v17
	v_fmac_f32_e32 v21, v205, v124
	s_wait_loadcnt_dscnt 0xa05
	s_delay_alu instid0(VALU_DEP_3) | instskip(SKIP_3) | instid1(VALU_DEP_3)
	v_dual_add_f32 v9, v9, v53 :: v_dual_mul_f32 v17, v215, v135
	v_dual_mul_f32 v23, v206, v127 :: v_dual_mul_f32 v25, v208, v129
	v_dual_mul_f32 v51, v207, v127 :: v_dual_mul_f32 v11, v209, v129
	v_dual_fma_f32 v53, v204, v124, -v65 :: v_dual_add_f32 v7, v7, v19
	v_dual_add_f32 v9, v9, v55 :: v_dual_fmac_f32 v23, v207, v126
	s_delay_alu instid0(VALU_DEP_3) | instskip(NEXT) | instid1(VALU_DEP_3)
	v_dual_mul_f32 v19, v217, v137 :: v_dual_fma_f32 v51, v206, v126, -v51
	v_dual_add_f32 v7, v7, v21 :: v_dual_fmac_f32 v25, v209, v128
	s_wait_loadcnt_dscnt 0x904
	s_delay_alu instid0(VALU_DEP_3) | instskip(SKIP_1) | instid1(VALU_DEP_3)
	v_dual_add_f32 v9, v9, v53 :: v_dual_mul_f32 v21, v219, v139
	v_dual_mul_f32 v27, v210, v131 :: v_dual_mul_f32 v29, v212, v133
	v_dual_fma_f32 v11, v208, v128, -v11 :: v_dual_add_f32 v7, v7, v23
	s_delay_alu instid0(VALU_DEP_2) | instskip(SKIP_1) | instid1(VALU_DEP_2)
	v_dual_add_f32 v9, v9, v51 :: v_dual_fmac_f32 v27, v211, v130
	v_dual_mul_f32 v23, v221, v141 :: v_dual_fma_f32 v13, v210, v130, -v13
	v_dual_add_f32 v7, v7, v25 :: v_dual_add_f32 v9, v9, v11
	v_dual_mul_f32 v31, v214, v135 :: v_dual_mul_f32 v33, v216, v137
	s_wait_loadcnt_dscnt 0x803
	v_dual_mul_f32 v11, v223, v143 :: v_dual_fmac_f32 v29, v213, v132
	s_delay_alu instid0(VALU_DEP_3) | instskip(NEXT) | instid1(VALU_DEP_3)
	v_dual_fma_f32 v15, v212, v132, -v15 :: v_dual_add_f32 v7, v7, v27
	v_dual_add_f32 v9, v9, v13 :: v_dual_fmac_f32 v31, v215, v134
	v_dual_mul_f32 v13, v225, v145 :: v_dual_fma_f32 v17, v214, v134, -v17
	s_delay_alu instid0(VALU_DEP_2) | instskip(SKIP_3) | instid1(VALU_DEP_3)
	v_dual_add_f32 v7, v7, v29 :: v_dual_add_f32 v9, v9, v15
	v_dual_mul_f32 v35, v218, v139 :: v_dual_mul_f32 v37, v220, v141
	s_wait_loadcnt_dscnt 0x702
	v_dual_mul_f32 v15, v227, v147 :: v_dual_fmac_f32 v33, v217, v136
	v_dual_fma_f32 v19, v216, v136, -v19 :: v_dual_add_f32 v7, v7, v31
	s_delay_alu instid0(VALU_DEP_3) | instskip(SKIP_1) | instid1(VALU_DEP_2)
	v_dual_add_f32 v9, v9, v17 :: v_dual_fmac_f32 v35, v219, v138
	v_dual_mul_f32 v17, v229, v149 :: v_dual_fma_f32 v21, v218, v138, -v21
	v_dual_add_f32 v7, v7, v33 :: v_dual_add_f32 v9, v9, v19
	v_dual_mul_f32 v39, v222, v143 :: v_dual_mul_f32 v41, v224, v145
	s_wait_loadcnt_dscnt 0x601
	v_dual_mul_f32 v19, v231, v151 :: v_dual_fmac_f32 v37, v221, v140
	s_delay_alu instid0(VALU_DEP_3) | instskip(NEXT) | instid1(VALU_DEP_3)
	v_dual_fma_f32 v23, v220, v140, -v23 :: v_dual_add_f32 v7, v7, v35
	v_dual_add_f32 v9, v9, v21 :: v_dual_fmac_f32 v39, v223, v142
	v_dual_mul_f32 v21, v233, v153 :: v_dual_fma_f32 v11, v222, v142, -v11
	s_delay_alu instid0(VALU_DEP_2) | instskip(SKIP_3) | instid1(VALU_DEP_3)
	v_dual_add_f32 v7, v7, v37 :: v_dual_add_f32 v9, v9, v23
	v_dual_mul_f32 v43, v226, v147 :: v_dual_mul_f32 v45, v228, v149
	s_wait_loadcnt_dscnt 0x500
	v_dual_mul_f32 v23, v235, v155 :: v_dual_fmac_f32 v41, v225, v144
	v_dual_fma_f32 v13, v224, v144, -v13 :: v_dual_add_f32 v7, v7, v39
	s_delay_alu instid0(VALU_DEP_3) | instskip(SKIP_1) | instid1(VALU_DEP_3)
	v_dual_add_f32 v9, v9, v11 :: v_dual_fmac_f32 v43, v227, v146
	v_dual_mul_f32 v11, v237, v157 :: v_dual_fma_f32 v15, v226, v146, -v15
	v_dual_add_f32 v7, v7, v41 :: v_dual_fmac_f32 v45, v229, v148
	s_delay_alu instid0(VALU_DEP_3) | instskip(SKIP_2) | instid1(VALU_DEP_3)
	v_dual_add_f32 v9, v9, v13 :: v_dual_fma_f32 v13, v228, v148, -v17
	v_dual_mul_f32 v47, v230, v151 :: v_dual_mul_f32 v49, v232, v153
	s_wait_loadcnt 0x4
	v_dual_add_f32 v7, v7, v43 :: v_dual_mov_b32 v112, v161
	s_delay_alu instid0(VALU_DEP_2) | instskip(NEXT) | instid1(VALU_DEP_2)
	v_dual_add_f32 v9, v9, v15 :: v_dual_fmac_f32 v47, v231, v150
	v_dual_fma_f32 v15, v230, v150, -v19 :: v_dual_add_f32 v7, v7, v45
	v_dual_mul_f32 v249, v234, v155 :: v_dual_mul_f32 v251, v236, v157
	s_delay_alu instid0(VALU_DEP_3) | instskip(NEXT) | instid1(VALU_DEP_3)
	v_dual_add_f32 v9, v9, v13 :: v_dual_fma_f32 v13, v232, v152, -v21
	v_dual_fmac_f32 v49, v233, v152 :: v_dual_add_f32 v7, v7, v47
	v_pk_mul_f32 v[110:111], v[174:175], v[158:159] op_sel:[1,1] op_sel_hi:[0,1]
	s_delay_alu instid0(VALU_DEP_3) | instskip(SKIP_3) | instid1(VALU_DEP_3)
	v_dual_add_f32 v9, v9, v15 :: v_dual_fmac_f32 v249, v235, v154
	s_wait_loadcnt 0x3
	v_dual_mov_b32 v116, v165 :: v_dual_fma_f32 v248, v234, v154, -v23
	v_dual_add_f32 v119, v7, v49 :: v_dual_fmac_f32 v251, v237, v156
	v_dual_add_f32 v118, v9, v13 :: v_dual_fma_f32 v250, v236, v156, -v11
	v_pk_fma_f32 v[120:121], v[174:175], v[158:159], v[110:111] op_sel_hi:[1,0,1]
	v_pk_mul_f32 v[112:113], v[240:241], v[112:113] op_sel_hi:[1,0]
	v_pk_fma_f32 v[110:111], v[174:175], v[158:159], v[110:111] neg_lo:[0,0,1] neg_hi:[0,0,1]
	s_delay_alu instid0(VALU_DEP_4)
	v_pk_add_f32 v[118:119], v[118:119], v[248:249]
	v_pk_mul_f32 v[114:115], v[178:179], v[162:163] op_sel:[1,1] op_sel_hi:[0,1]
	v_mov_b32_e32 v111, v121
	v_pk_fma_f32 v[120:121], v[176:177], v[160:161], v[112:113] op_sel_hi:[1,0,1]
	v_pk_fma_f32 v[112:113], v[176:177], v[160:161], v[112:113] neg_lo:[0,0,1] neg_hi:[0,0,1]
	v_pk_add_f32 v[118:119], v[118:119], v[250:251]
	v_pk_fma_f32 v[124:125], v[178:179], v[162:163], v[114:115] op_sel_hi:[1,0,1]
	v_pk_mul_f32 v[116:117], v[242:243], v[116:117] op_sel_hi:[1,0]
	v_mov_b32_e32 v113, v121
	s_wait_loadcnt 0x2
	v_pk_mul_f32 v[122:123], v[182:183], v[166:167] op_sel:[1,1] op_sel_hi:[0,1]
	v_pk_add_f32 v[110:111], v[118:119], v[110:111]
	v_mov_b32_e32 v118, v169
	v_pk_fma_f32 v[114:115], v[178:179], v[162:163], v[114:115] neg_lo:[0,0,1] neg_hi:[0,0,1]
	v_mov_b32_e32 v115, v125
	v_pk_fma_f32 v[120:121], v[180:181], v[164:165], v[116:117] op_sel_hi:[1,0,1]
	v_pk_add_f32 v[110:111], v[110:111], v[112:113]
	v_pk_fma_f32 v[112:113], v[182:183], v[166:167], v[122:123] op_sel_hi:[1,0,1]
	v_pk_mul_f32 v[118:119], v[244:245], v[118:119] op_sel_hi:[1,0]
	v_pk_fma_f32 v[116:117], v[180:181], v[164:165], v[116:117] neg_lo:[0,0,1] neg_hi:[0,0,1]
	v_mov_b32_e32 v117, v121
	v_pk_add_f32 v[110:111], v[110:111], v[114:115]
	v_pk_fma_f32 v[120:121], v[182:183], v[166:167], v[122:123] neg_lo:[0,0,1] neg_hi:[0,0,1]
	v_mov_b32_e32 v121, v113
	v_pk_fma_f32 v[112:113], v[184:185], v[168:169], v[118:119] op_sel_hi:[1,0,1]
	s_wait_loadcnt 0x1
	v_pk_mul_f32 v[114:115], v[186:187], v[170:171] op_sel:[1,1] op_sel_hi:[0,1]
	v_pk_add_f32 v[110:111], v[110:111], v[116:117]
	v_mov_b32_e32 v112, v173
	v_pk_fma_f32 v[118:119], v[184:185], v[168:169], v[118:119] neg_lo:[0,0,1] neg_hi:[0,0,1]
	v_mov_b32_e32 v119, v113
	v_pk_fma_f32 v[116:117], v[186:187], v[170:171], v[114:115] op_sel_hi:[1,0,1]
	v_pk_add_f32 v[110:111], v[110:111], v[120:121]
	v_pk_mul_f32 v[112:113], v[246:247], v[112:113] op_sel_hi:[1,0]
	v_pk_fma_f32 v[114:115], v[186:187], v[170:171], v[114:115] neg_lo:[0,0,1] neg_hi:[0,0,1]
	s_delay_alu instid0(VALU_DEP_4) | instskip(NEXT) | instid1(VALU_DEP_4)
	v_mov_b32_e32 v115, v117
	v_pk_add_f32 v[110:111], v[110:111], v[118:119]
	s_delay_alu instid0(VALU_DEP_4) | instskip(SKIP_1) | instid1(VALU_DEP_2)
	v_pk_fma_f32 v[116:117], v[188:189], v[172:173], v[112:113] op_sel_hi:[1,0,1]
	v_pk_fma_f32 v[112:113], v[188:189], v[172:173], v[112:113] neg_lo:[0,0,1] neg_hi:[0,0,1]
	v_mov_b32_e32 v113, v117
	s_delay_alu instid0(VALU_DEP_4) | instskip(NEXT) | instid1(VALU_DEP_1)
	v_pk_add_f32 v[110:111], v[110:111], v[114:115]
	v_pk_add_f32 v[110:111], v[110:111], v[112:113]
	s_wait_loadcnt 0x0
	s_delay_alu instid0(VALU_DEP_1)
	v_pk_add_f32 v[110:111], v[238:239], v[110:111] neg_lo:[0,1] neg_hi:[0,1]
	scratch_store_b64 off, v[110:111], off offset:168
	s_wait_xcnt 0x0
	v_cmpx_lt_u32_e32 20, v0
	s_cbranch_execz .LBB117_297
; %bb.296:
	scratch_load_b64 v[110:111], off, off offset:160
	v_mov_b64_e32 v[112:113], 0
	scratch_store_b64 off, v[112:113], off offset:160
	s_wait_loadcnt 0x0
	ds_store_b64 v1, v[110:111]
.LBB117_297:
	s_wait_xcnt 0x0
	s_or_b32 exec_lo, exec_lo, s0
	s_wait_storecnt_dscnt 0x0
	s_barrier_signal -1
	s_barrier_wait -1
	s_clause 0x11
	scratch_load_b128 v[110:113], off, off offset:168
	scratch_load_b128 v[114:117], off, off offset:184
	;; [unrolled: 1-line block ×16, first 2 shown]
	scratch_load_b64 v[238:239], off, off offset:424
	scratch_load_b64 v[240:241], off, off offset:160
	v_mov_b32_e32 v7, 0
	ds_load_2addr_b64 v[174:177], v7 offset0:99 offset1:100
	ds_load_2addr_b64 v[178:181], v7 offset0:101 offset1:102
	ds_load_2addr_b64 v[182:185], v7 offset0:103 offset1:104
	ds_load_2addr_b64 v[186:189], v7 offset0:105 offset1:106
	ds_load_2addr_b64 v[190:193], v7 offset0:75 offset1:76
	ds_load_2addr_b64 v[194:197], v7 offset0:77 offset1:78
	ds_load_2addr_b64 v[198:201], v7 offset0:79 offset1:80
	ds_load_2addr_b64 v[202:205], v7 offset0:81 offset1:82
	ds_load_2addr_b64 v[206:209], v7 offset0:83 offset1:84
	ds_load_2addr_b64 v[210:213], v7 offset0:85 offset1:86
	ds_load_2addr_b64 v[214:217], v7 offset0:87 offset1:88
	ds_load_2addr_b64 v[218:221], v7 offset0:89 offset1:90
	ds_load_2addr_b64 v[222:225], v7 offset0:91 offset1:92
	ds_load_2addr_b64 v[226:229], v7 offset0:93 offset1:94
	ds_load_2addr_b64 v[230:233], v7 offset0:95 offset1:96
	ds_load_2addr_b64 v[234:237], v7 offset0:97 offset1:98
	ds_load_b64 v[242:243], v7 offset:856
	s_mov_b32 s0, exec_lo
	s_wait_dscnt 0x10
	v_dual_mov_b32 v244, v177 :: v_dual_mov_b32 v245, v176
	s_wait_dscnt 0xd
	v_dual_mov_b32 v246, v181 :: v_dual_mov_b32 v251, v188
	v_dual_mov_b32 v247, v180 :: v_dual_mov_b32 v248, v185
	;; [unrolled: 1-line block ×3, first 2 shown]
	s_wait_loadcnt_dscnt 0x110c
	v_dual_mul_f32 v9, v190, v111 :: v_dual_mul_f32 v55, v191, v111
	v_dual_mul_f32 v57, v193, v113 :: v_dual_mul_f32 v11, v192, v113
	s_wait_loadcnt_dscnt 0x100b
	v_mul_f32_e32 v13, v194, v115
	s_wait_loadcnt_dscnt 0xe09
	v_dual_mul_f32 v67, v203, v123 :: v_dual_fma_f32 v55, v190, v110, -v55
	v_dual_fmac_f32 v9, v191, v110 :: v_dual_mul_f32 v69, v205, v125
	v_dual_mul_f32 v59, v195, v115 :: v_dual_mul_f32 v61, v197, v117
	v_dual_fmac_f32 v11, v193, v112 :: v_dual_fma_f32 v57, v192, v112, -v57
	s_delay_alu instid0(VALU_DEP_3) | instskip(SKIP_3) | instid1(VALU_DEP_3)
	v_dual_add_f32 v9, 0, v9 :: v_dual_add_f32 v55, 0, v55
	v_dual_mul_f32 v15, v196, v117 :: v_dual_mul_f32 v17, v198, v119
	s_wait_loadcnt_dscnt 0xd08
	v_dual_mul_f32 v71, v207, v127 :: v_dual_fma_f32 v59, v194, v114, -v59
	v_dual_fmac_f32 v13, v195, v114 :: v_dual_add_f32 v9, v9, v11
	s_delay_alu instid0(VALU_DEP_3) | instskip(SKIP_2) | instid1(VALU_DEP_3)
	v_dual_add_f32 v11, v55, v57 :: v_dual_fmac_f32 v15, v197, v116
	v_dual_mul_f32 v63, v199, v119 :: v_dual_mul_f32 v65, v201, v121
	v_dual_mul_f32 v55, v209, v129 :: v_dual_fma_f32 v57, v196, v116, -v61
	v_dual_add_f32 v9, v9, v13 :: v_dual_add_f32 v11, v11, v59
	v_dual_mul_f32 v19, v200, v121 :: v_dual_mul_f32 v21, v202, v123
	s_wait_loadcnt_dscnt 0xc07
	v_dual_mul_f32 v13, v211, v131 :: v_dual_fma_f32 v59, v198, v118, -v63
	s_delay_alu instid0(VALU_DEP_3) | instskip(NEXT) | instid1(VALU_DEP_3)
	v_dual_fmac_f32 v17, v199, v118 :: v_dual_add_f32 v9, v9, v15
	v_dual_add_f32 v11, v11, v57 :: v_dual_fmac_f32 v19, v201, v120
	v_dual_mul_f32 v15, v213, v133 :: v_dual_fma_f32 v57, v200, v120, -v65
	s_delay_alu instid0(VALU_DEP_2) | instskip(SKIP_3) | instid1(VALU_DEP_3)
	v_dual_add_f32 v9, v9, v17 :: v_dual_add_f32 v11, v11, v59
	v_dual_mul_f32 v23, v204, v125 :: v_dual_mul_f32 v25, v206, v127
	s_wait_loadcnt_dscnt 0xb06
	v_dual_mul_f32 v17, v215, v135 :: v_dual_fma_f32 v59, v202, v122, -v67
	v_dual_fmac_f32 v21, v203, v122 :: v_dual_add_f32 v9, v9, v19
	s_delay_alu instid0(VALU_DEP_3) | instskip(SKIP_1) | instid1(VALU_DEP_2)
	v_dual_add_f32 v11, v11, v57 :: v_dual_fmac_f32 v23, v205, v124
	v_dual_mul_f32 v19, v217, v137 :: v_dual_fma_f32 v57, v204, v124, -v69
	v_dual_add_f32 v9, v9, v21 :: v_dual_add_f32 v11, v11, v59
	v_dual_mul_f32 v27, v208, v129 :: v_dual_mul_f32 v29, v210, v131
	s_wait_loadcnt_dscnt 0xa05
	v_dual_mul_f32 v21, v219, v139 :: v_dual_fma_f32 v59, v206, v126, -v71
	s_delay_alu instid0(VALU_DEP_3) | instskip(NEXT) | instid1(VALU_DEP_3)
	v_dual_fmac_f32 v25, v207, v126 :: v_dual_add_f32 v9, v9, v23
	v_dual_add_f32 v11, v11, v57 :: v_dual_fmac_f32 v27, v209, v128
	v_dual_mul_f32 v23, v221, v141 :: v_dual_fma_f32 v55, v208, v128, -v55
	s_delay_alu instid0(VALU_DEP_2) | instskip(SKIP_3) | instid1(VALU_DEP_3)
	v_dual_add_f32 v9, v9, v25 :: v_dual_add_f32 v11, v11, v59
	v_dual_mul_f32 v31, v212, v133 :: v_dual_mul_f32 v33, v214, v135
	s_wait_loadcnt_dscnt 0x904
	v_dual_mul_f32 v25, v223, v143 :: v_dual_fma_f32 v13, v210, v130, -v13
	v_dual_fmac_f32 v29, v211, v130 :: v_dual_add_f32 v9, v9, v27
	v_dual_add_f32 v11, v11, v55 :: v_dual_mul_f32 v27, v225, v145
	v_fmac_f32_e32 v31, v213, v132
	s_delay_alu instid0(VALU_DEP_3) | instskip(NEXT) | instid1(VALU_DEP_3)
	v_dual_fma_f32 v15, v212, v132, -v15 :: v_dual_add_f32 v9, v9, v29
	v_add_f32_e32 v11, v11, v13
	v_dual_mul_f32 v35, v216, v137 :: v_dual_mul_f32 v37, v218, v139
	s_wait_loadcnt_dscnt 0x803
	v_dual_mul_f32 v13, v227, v147 :: v_dual_fma_f32 v17, v214, v134, -v17
	v_dual_fmac_f32 v33, v215, v134 :: v_dual_add_f32 v9, v9, v31
	v_dual_add_f32 v11, v11, v15 :: v_dual_mul_f32 v15, v229, v149
	v_fmac_f32_e32 v35, v217, v136
	s_delay_alu instid0(VALU_DEP_3) | instskip(NEXT) | instid1(VALU_DEP_3)
	v_dual_fma_f32 v19, v216, v136, -v19 :: v_dual_add_f32 v9, v9, v33
	v_add_f32_e32 v11, v11, v17
	;; [unrolled: 9-line block ×4, first 2 shown]
	v_dual_mul_f32 v47, v228, v149 :: v_dual_mul_f32 v49, v230, v151
	s_wait_loadcnt 0x5
	v_dual_mul_f32 v25, v175, v159 :: v_dual_fma_f32 v13, v226, v146, -v13
	v_dual_fmac_f32 v45, v227, v146 :: v_dual_add_f32 v9, v9, v43
	v_dual_add_f32 v11, v11, v27 :: v_dual_mov_b32 v110, v161
	v_fmac_f32_e32 v47, v229, v148
	s_delay_alu instid0(VALU_DEP_3) | instskip(NEXT) | instid1(VALU_DEP_3)
	v_dual_fma_f32 v15, v228, v148, -v15 :: v_dual_add_f32 v9, v9, v45
	v_add_f32_e32 v11, v11, v13
	v_dual_mul_f32 v51, v232, v153 :: v_dual_mul_f32 v53, v234, v155
	s_delay_alu instid0(VALU_DEP_3) | instskip(NEXT) | instid1(VALU_DEP_3)
	v_dual_fmac_f32 v49, v231, v150 :: v_dual_add_f32 v9, v9, v47
	v_dual_fma_f32 v13, v230, v150, -v17 :: v_dual_add_f32 v11, v11, v15
	s_wait_loadcnt 0x4
	v_dual_mov_b32 v114, v165 :: v_dual_fma_f32 v15, v232, v152, -v19
	v_fmac_f32_e32 v51, v233, v152
	v_dual_add_f32 v9, v9, v49 :: v_dual_fmac_f32 v53, v235, v154
	v_add_f32_e32 v11, v11, v13
	v_dual_mul_f32 v253, v236, v157 :: v_dual_mul_f32 v255, v174, v159
	s_delay_alu instid0(VALU_DEP_3) | instskip(NEXT) | instid1(VALU_DEP_2)
	v_dual_fma_f32 v13, v234, v154, -v21 :: v_dual_add_f32 v9, v9, v51
	v_dual_add_f32 v11, v11, v15 :: v_dual_fmac_f32 v253, v237, v156
	v_fma_f32 v252, v236, v156, -v23
	v_pk_mul_f32 v[110:111], v[244:245], v[110:111] op_sel_hi:[1,0]
	s_delay_alu instid0(VALU_DEP_4)
	v_add_f32_e32 v119, v9, v53
	s_wait_loadcnt 0x3
	v_dual_add_f32 v118, v11, v13 :: v_dual_mov_b32 v120, v169
	v_pk_mul_f32 v[112:113], v[178:179], v[162:163] op_sel:[1,1] op_sel_hi:[0,1]
	v_dual_fmac_f32 v255, v175, v158 :: v_dual_fma_f32 v254, v174, v158, -v25
	v_pk_fma_f32 v[122:123], v[176:177], v[160:161], v[110:111] op_sel_hi:[1,0,1]
	s_delay_alu instid0(VALU_DEP_4)
	v_pk_add_f32 v[118:119], v[118:119], v[252:253]
	v_pk_fma_f32 v[110:111], v[176:177], v[160:161], v[110:111] neg_lo:[0,0,1] neg_hi:[0,0,1]
	v_pk_fma_f32 v[124:125], v[178:179], v[162:163], v[112:113] op_sel_hi:[1,0,1]
	v_pk_mul_f32 v[114:115], v[246:247], v[114:115] op_sel_hi:[1,0]
	v_mov_b32_e32 v111, v123
	v_pk_add_f32 v[118:119], v[118:119], v[254:255]
	v_pk_fma_f32 v[112:113], v[178:179], v[162:163], v[112:113] neg_lo:[0,0,1] neg_hi:[0,0,1]
	v_pk_mul_f32 v[116:117], v[182:183], v[166:167] op_sel:[1,1] op_sel_hi:[0,1]
	v_mov_b32_e32 v113, v125
	v_pk_fma_f32 v[124:125], v[180:181], v[164:165], v[114:115] op_sel_hi:[1,0,1]
	v_pk_add_f32 v[110:111], v[118:119], v[110:111]
	v_pk_fma_f32 v[114:115], v[180:181], v[164:165], v[114:115] neg_lo:[0,0,1] neg_hi:[0,0,1]
	v_pk_fma_f32 v[118:119], v[182:183], v[166:167], v[116:117] op_sel_hi:[1,0,1]
	v_pk_mul_f32 v[120:121], v[248:249], v[120:121] op_sel_hi:[1,0]
	v_mov_b32_e32 v115, v125
	v_pk_add_f32 v[110:111], v[110:111], v[112:113]
	v_pk_fma_f32 v[116:117], v[182:183], v[166:167], v[116:117] neg_lo:[0,0,1] neg_hi:[0,0,1]
	s_wait_loadcnt 0x2
	v_pk_mul_f32 v[122:123], v[186:187], v[170:171] op_sel:[1,1] op_sel_hi:[0,1]
	v_dual_mov_b32 v112, v173 :: v_dual_mov_b32 v117, v119
	v_pk_fma_f32 v[118:119], v[184:185], v[168:169], v[120:121] op_sel_hi:[1,0,1]
	v_pk_add_f32 v[110:111], v[110:111], v[114:115]
	v_pk_fma_f32 v[120:121], v[184:185], v[168:169], v[120:121] neg_lo:[0,0,1] neg_hi:[0,0,1]
	v_pk_fma_f32 v[114:115], v[186:187], v[170:171], v[122:123] op_sel_hi:[1,0,1]
	v_pk_mul_f32 v[112:113], v[250:251], v[112:113] op_sel_hi:[1,0]
	v_mov_b32_e32 v121, v119
	v_pk_add_f32 v[110:111], v[110:111], v[116:117]
	v_pk_fma_f32 v[116:117], v[186:187], v[170:171], v[122:123] neg_lo:[0,0,1] neg_hi:[0,0,1]
	v_mov_b32_e32 v117, v115
	v_pk_fma_f32 v[114:115], v[188:189], v[172:173], v[112:113] op_sel_hi:[1,0,1]
	s_wait_loadcnt_dscnt 0x100
	v_pk_mul_f32 v[118:119], v[242:243], v[238:239] op_sel:[1,1] op_sel_hi:[0,1]
	v_pk_add_f32 v[110:111], v[110:111], v[120:121]
	v_pk_fma_f32 v[112:113], v[188:189], v[172:173], v[112:113] neg_lo:[0,0,1] neg_hi:[0,0,1]
	v_mov_b32_e32 v113, v115
	s_delay_alu instid0(VALU_DEP_4) | instskip(NEXT) | instid1(VALU_DEP_4)
	v_pk_fma_f32 v[114:115], v[242:243], v[238:239], v[118:119] op_sel_hi:[1,0,1]
	v_pk_add_f32 v[110:111], v[110:111], v[116:117]
	v_pk_fma_f32 v[116:117], v[242:243], v[238:239], v[118:119] neg_lo:[0,0,1] neg_hi:[0,0,1]
	s_delay_alu instid0(VALU_DEP_3) | instskip(NEXT) | instid1(VALU_DEP_3)
	v_mov_b32_e32 v117, v115
	v_pk_add_f32 v[110:111], v[110:111], v[112:113]
	s_delay_alu instid0(VALU_DEP_1) | instskip(SKIP_1) | instid1(VALU_DEP_1)
	v_pk_add_f32 v[110:111], v[110:111], v[116:117]
	s_wait_loadcnt 0x0
	v_pk_add_f32 v[110:111], v[240:241], v[110:111] neg_lo:[0,1] neg_hi:[0,1]
	scratch_store_b64 off, v[110:111], off offset:160
	s_wait_xcnt 0x0
	v_cmpx_lt_u32_e32 19, v0
	s_cbranch_execz .LBB117_299
; %bb.298:
	scratch_load_b64 v[110:111], off, off offset:152
	v_mov_b64_e32 v[112:113], 0
	scratch_store_b64 off, v[112:113], off offset:152
	s_wait_loadcnt 0x0
	ds_store_b64 v1, v[110:111]
.LBB117_299:
	s_wait_xcnt 0x0
	s_or_b32 exec_lo, exec_lo, s0
	s_wait_storecnt_dscnt 0x0
	s_barrier_signal -1
	s_barrier_wait -1
	s_clause 0x11
	scratch_load_b128 v[110:113], off, off offset:160
	scratch_load_b128 v[114:117], off, off offset:176
	;; [unrolled: 1-line block ×17, first 2 shown]
	scratch_load_b64 v[246:247], off, off offset:152
	ds_load_b128 v[178:181], v7 offset:800
	ds_load_b128 v[182:185], v7 offset:816
	;; [unrolled: 1-line block ×17, first 2 shown]
	s_mov_b32 s0, exec_lo
	s_wait_dscnt 0x10
	v_dual_mov_b32 v248, v181 :: v_dual_mov_b32 v249, v180
	s_wait_dscnt 0xf
	v_dual_mov_b32 v250, v185 :: v_dual_mov_b32 v251, v184
	;; [unrolled: 2-line block ×4, first 2 shown]
	s_wait_loadcnt_dscnt 0x110b
	v_dual_mul_f32 v7, v198, v111 :: v_dual_mul_f32 v9, v200, v113
	v_dual_mul_f32 v55, v199, v111 :: v_dual_mul_f32 v57, v201, v113
	s_wait_loadcnt_dscnt 0x100a
	v_dual_mul_f32 v11, v202, v115 :: v_dual_mul_f32 v13, v204, v117
	s_delay_alu instid0(VALU_DEP_3) | instskip(SKIP_3) | instid1(VALU_DEP_3)
	v_dual_fmac_f32 v7, v199, v110 :: v_dual_fmac_f32 v9, v201, v112
	s_wait_loadcnt_dscnt 0xe08
	v_dual_fma_f32 v55, v198, v110, -v55 :: v_dual_mul_f32 v67, v211, v123
	v_dual_mul_f32 v59, v203, v115 :: v_dual_mul_f32 v61, v205, v117
	v_dual_fma_f32 v57, v200, v112, -v57 :: v_dual_add_f32 v7, 0, v7
	s_delay_alu instid0(VALU_DEP_3) | instskip(SKIP_1) | instid1(VALU_DEP_3)
	v_dual_add_f32 v55, 0, v55 :: v_dual_mul_f32 v69, v213, v125
	v_dual_fmac_f32 v11, v203, v114 :: v_dual_fmac_f32 v13, v205, v116
	v_dual_fma_f32 v59, v202, v114, -v59 :: v_dual_add_f32 v7, v7, v9
	s_delay_alu instid0(VALU_DEP_3) | instskip(SKIP_2) | instid1(VALU_DEP_4)
	v_dual_add_f32 v9, v55, v57 :: v_dual_fma_f32 v57, v204, v116, -v61
	v_dual_mul_f32 v15, v206, v119 :: v_dual_mul_f32 v17, v208, v121
	v_dual_mul_f32 v63, v207, v119 :: v_dual_mul_f32 v65, v209, v121
	v_add_f32_e32 v7, v7, v11
	s_delay_alu instid0(VALU_DEP_3) | instskip(NEXT) | instid1(VALU_DEP_3)
	v_dual_add_f32 v9, v9, v59 :: v_dual_fmac_f32 v15, v207, v118
	v_fma_f32 v59, v206, v118, -v63
	v_dual_mul_f32 v19, v210, v123 :: v_dual_mul_f32 v21, v212, v125
	s_delay_alu instid0(VALU_DEP_4) | instskip(SKIP_2) | instid1(VALU_DEP_2)
	v_dual_add_f32 v7, v7, v13 :: v_dual_fmac_f32 v17, v209, v120
	s_wait_loadcnt_dscnt 0xc06
	v_dual_add_f32 v9, v9, v57 :: v_dual_mul_f32 v13, v219, v131
	v_dual_fma_f32 v57, v208, v120, -v65 :: v_dual_add_f32 v7, v7, v15
	v_mul_f32_e32 v15, v221, v133
	s_delay_alu instid0(VALU_DEP_3) | instskip(NEXT) | instid1(VALU_DEP_3)
	v_dual_add_f32 v9, v9, v59 :: v_dual_fmac_f32 v19, v211, v122
	v_dual_fma_f32 v59, v210, v122, -v67 :: v_dual_add_f32 v7, v7, v17
	v_fmac_f32_e32 v21, v213, v124
	s_wait_loadcnt_dscnt 0xb05
	s_delay_alu instid0(VALU_DEP_3) | instskip(SKIP_3) | instid1(VALU_DEP_3)
	v_dual_add_f32 v9, v9, v57 :: v_dual_mul_f32 v17, v223, v135
	v_dual_mul_f32 v23, v214, v127 :: v_dual_mul_f32 v25, v216, v129
	v_dual_mul_f32 v55, v215, v127 :: v_dual_mul_f32 v11, v217, v129
	v_dual_fma_f32 v57, v212, v124, -v69 :: v_dual_add_f32 v7, v7, v19
	v_dual_add_f32 v9, v9, v59 :: v_dual_fmac_f32 v23, v215, v126
	s_delay_alu instid0(VALU_DEP_3) | instskip(NEXT) | instid1(VALU_DEP_3)
	v_dual_mul_f32 v19, v225, v137 :: v_dual_fma_f32 v55, v214, v126, -v55
	v_dual_add_f32 v7, v7, v21 :: v_dual_fmac_f32 v25, v217, v128
	s_wait_loadcnt_dscnt 0xa04
	s_delay_alu instid0(VALU_DEP_3) | instskip(SKIP_1) | instid1(VALU_DEP_3)
	v_dual_add_f32 v9, v9, v57 :: v_dual_mul_f32 v21, v227, v139
	v_dual_mul_f32 v27, v218, v131 :: v_dual_mul_f32 v29, v220, v133
	v_dual_fma_f32 v11, v216, v128, -v11 :: v_dual_add_f32 v7, v7, v23
	s_delay_alu instid0(VALU_DEP_2) | instskip(SKIP_1) | instid1(VALU_DEP_2)
	v_dual_add_f32 v9, v9, v55 :: v_dual_fmac_f32 v27, v219, v130
	v_dual_mul_f32 v23, v229, v141 :: v_dual_fma_f32 v13, v218, v130, -v13
	v_dual_add_f32 v7, v7, v25 :: v_dual_add_f32 v9, v9, v11
	v_dual_mul_f32 v31, v222, v135 :: v_dual_mul_f32 v33, v224, v137
	s_wait_loadcnt_dscnt 0x903
	v_dual_mul_f32 v11, v231, v143 :: v_dual_fmac_f32 v29, v221, v132
	s_delay_alu instid0(VALU_DEP_3) | instskip(NEXT) | instid1(VALU_DEP_3)
	v_dual_fma_f32 v15, v220, v132, -v15 :: v_dual_add_f32 v7, v7, v27
	v_dual_add_f32 v9, v9, v13 :: v_dual_fmac_f32 v31, v223, v134
	v_dual_mul_f32 v13, v233, v145 :: v_dual_fma_f32 v17, v222, v134, -v17
	s_delay_alu instid0(VALU_DEP_2) | instskip(SKIP_3) | instid1(VALU_DEP_3)
	v_dual_add_f32 v7, v7, v29 :: v_dual_add_f32 v9, v9, v15
	v_dual_mul_f32 v35, v226, v139 :: v_dual_mul_f32 v37, v228, v141
	s_wait_loadcnt_dscnt 0x802
	v_dual_mul_f32 v15, v235, v147 :: v_dual_fmac_f32 v33, v225, v136
	v_dual_fma_f32 v19, v224, v136, -v19 :: v_dual_add_f32 v7, v7, v31
	s_delay_alu instid0(VALU_DEP_3) | instskip(SKIP_1) | instid1(VALU_DEP_2)
	v_dual_add_f32 v9, v9, v17 :: v_dual_fmac_f32 v35, v227, v138
	v_dual_mul_f32 v17, v237, v149 :: v_dual_fma_f32 v21, v226, v138, -v21
	v_dual_add_f32 v7, v7, v33 :: v_dual_add_f32 v9, v9, v19
	v_dual_mul_f32 v39, v230, v143 :: v_dual_mul_f32 v41, v232, v145
	s_wait_loadcnt_dscnt 0x701
	v_dual_mul_f32 v19, v239, v151 :: v_dual_fmac_f32 v37, v229, v140
	s_delay_alu instid0(VALU_DEP_3) | instskip(NEXT) | instid1(VALU_DEP_3)
	v_dual_fma_f32 v23, v228, v140, -v23 :: v_dual_add_f32 v7, v7, v35
	v_dual_add_f32 v9, v9, v21 :: v_dual_fmac_f32 v39, v231, v142
	v_dual_mul_f32 v21, v241, v153 :: v_dual_fma_f32 v11, v230, v142, -v11
	s_delay_alu instid0(VALU_DEP_2) | instskip(SKIP_3) | instid1(VALU_DEP_3)
	v_dual_add_f32 v7, v7, v37 :: v_dual_add_f32 v9, v9, v23
	v_dual_mul_f32 v43, v234, v147 :: v_dual_mul_f32 v45, v236, v149
	s_wait_loadcnt_dscnt 0x600
	v_dual_mul_f32 v23, v243, v155 :: v_dual_fmac_f32 v41, v233, v144
	v_dual_fma_f32 v13, v232, v144, -v13 :: v_dual_add_f32 v7, v7, v39
	s_delay_alu instid0(VALU_DEP_3) | instskip(SKIP_1) | instid1(VALU_DEP_3)
	v_dual_add_f32 v9, v9, v11 :: v_dual_fmac_f32 v43, v235, v146
	v_dual_mul_f32 v11, v245, v157 :: v_dual_fma_f32 v15, v234, v146, -v15
	v_dual_add_f32 v7, v7, v41 :: v_dual_fmac_f32 v45, v237, v148
	s_wait_loadcnt 0x5
	s_delay_alu instid0(VALU_DEP_3) | instskip(SKIP_1) | instid1(VALU_DEP_3)
	v_dual_add_f32 v9, v9, v13 :: v_dual_mul_f32 v13, v195, v159
	v_dual_mul_f32 v47, v238, v151 :: v_dual_mul_f32 v49, v240, v153
	v_dual_fma_f32 v17, v236, v148, -v17 :: v_dual_add_f32 v7, v7, v43
	s_delay_alu instid0(VALU_DEP_2) | instskip(SKIP_1) | instid1(VALU_DEP_3)
	v_dual_add_f32 v9, v9, v15 :: v_dual_fmac_f32 v47, v239, v150
	v_dual_mul_f32 v15, v197, v161 :: v_dual_fma_f32 v19, v238, v150, -v19
	v_dual_add_f32 v7, v7, v45 :: v_dual_fmac_f32 v49, v241, v152
	s_delay_alu instid0(VALU_DEP_3) | instskip(SKIP_2) | instid1(VALU_DEP_3)
	v_dual_add_f32 v9, v9, v17 :: v_dual_fma_f32 v17, v240, v152, -v21
	v_dual_mul_f32 v51, v242, v155 :: v_dual_mul_f32 v53, v244, v157
	s_wait_loadcnt 0x4
	v_dual_add_f32 v7, v7, v47 :: v_dual_mov_b32 v112, v165
	s_delay_alu instid0(VALU_DEP_2) | instskip(NEXT) | instid1(VALU_DEP_2)
	v_dual_add_f32 v9, v9, v19 :: v_dual_fmac_f32 v51, v243, v154
	v_dual_fma_f32 v19, v242, v154, -v23 :: v_dual_add_f32 v7, v7, v49
	s_set_vgpr_msb 64                       ;  msbs: dst=1 src0=0 src1=0 src2=0
	v_dual_mul_f32 v1 /*v257*/, v194, v159 :: v_dual_mul_f32 v3 /*v259*/, v196, v161
	s_set_vgpr_msb 0                        ;  msbs: dst=0 src0=0 src1=0 src2=0
	v_dual_add_f32 v9, v9, v17 :: v_dual_fma_f32 v11, v244, v156, -v11
	v_dual_fmac_f32 v53, v245, v156 :: v_dual_add_f32 v7, v7, v51
	v_pk_mul_f32 v[110:111], v[178:179], v[162:163] op_sel:[1,1] op_sel_hi:[0,1]
	s_delay_alu instid0(VALU_DEP_3)
	v_add_f32_e32 v9, v9, v19
	s_set_vgpr_msb 64                       ;  msbs: dst=1 src0=0 src1=0 src2=0
	v_dual_fmac_f32 v1 /*v257*/, v195, v158 :: v_dual_fmac_f32 v3 /*v259*/, v197, v160
	v_dual_fma_f32 v0 /*v256*/, v194, v158, -v13 :: v_dual_fma_f32 v2 /*v258*/, v196, v160, -v15
	s_set_vgpr_msb 0                        ;  msbs: dst=0 src0=0 src1=0 src2=0
	v_dual_add_f32 v119, v7, v53 :: v_dual_add_f32 v118, v9, v11
	v_pk_fma_f32 v[120:121], v[178:179], v[162:163], v[110:111] op_sel_hi:[1,0,1]
	v_pk_mul_f32 v[112:113], v[248:249], v[112:113] op_sel_hi:[1,0]
	v_pk_fma_f32 v[110:111], v[178:179], v[162:163], v[110:111] neg_lo:[0,0,1] neg_hi:[0,0,1]
	s_wait_loadcnt 0x3
	v_pk_mul_f32 v[114:115], v[182:183], v[166:167] op_sel:[1,1] op_sel_hi:[0,1]
	s_set_vgpr_msb 4                        ;  msbs: dst=0 src0=0 src1=1 src2=0
	v_pk_add_f32 v[118:119], v[118:119], v[0:1] /*v[256:257]*/
	v_dual_mov_b32 v116, v169 :: v_dual_mov_b32 v111, v121
	s_set_vgpr_msb 0                        ;  msbs: dst=0 src0=0 src1=0 src2=0
	v_pk_fma_f32 v[120:121], v[180:181], v[164:165], v[112:113] op_sel_hi:[1,0,1]
	v_pk_fma_f32 v[112:113], v[180:181], v[164:165], v[112:113] neg_lo:[0,0,1] neg_hi:[0,0,1]
	s_set_vgpr_msb 4                        ;  msbs: dst=0 src0=0 src1=1 src2=0
	v_pk_add_f32 v[118:119], v[118:119], v[2:3] /*v[258:259]*/
	s_set_vgpr_msb 0                        ;  msbs: dst=0 src0=0 src1=0 src2=0
	v_pk_fma_f32 v[124:125], v[182:183], v[166:167], v[114:115] op_sel_hi:[1,0,1]
	v_pk_mul_f32 v[116:117], v[250:251], v[116:117] op_sel_hi:[1,0]
	v_mov_b32_e32 v113, v121
	s_wait_loadcnt 0x2
	v_pk_mul_f32 v[122:123], v[186:187], v[170:171] op_sel:[1,1] op_sel_hi:[0,1]
	v_pk_add_f32 v[110:111], v[118:119], v[110:111]
	v_mov_b32_e32 v118, v173
	v_pk_fma_f32 v[114:115], v[182:183], v[166:167], v[114:115] neg_lo:[0,0,1] neg_hi:[0,0,1]
	v_pk_fma_f32 v[120:121], v[184:185], v[168:169], v[116:117] op_sel_hi:[1,0,1]
	v_mov_b32_e32 v115, v125
	v_pk_add_f32 v[110:111], v[110:111], v[112:113]
	v_pk_fma_f32 v[112:113], v[186:187], v[170:171], v[122:123] op_sel_hi:[1,0,1]
	v_pk_mul_f32 v[118:119], v[252:253], v[118:119] op_sel_hi:[1,0]
	v_pk_fma_f32 v[116:117], v[184:185], v[168:169], v[116:117] neg_lo:[0,0,1] neg_hi:[0,0,1]
	v_mov_b32_e32 v117, v121
	v_pk_add_f32 v[110:111], v[110:111], v[114:115]
	v_pk_fma_f32 v[120:121], v[186:187], v[170:171], v[122:123] neg_lo:[0,0,1] neg_hi:[0,0,1]
	v_mov_b32_e32 v121, v113
	v_pk_fma_f32 v[112:113], v[188:189], v[172:173], v[118:119] op_sel_hi:[1,0,1]
	s_wait_loadcnt 0x1
	v_pk_mul_f32 v[114:115], v[190:191], v[174:175] op_sel:[1,1] op_sel_hi:[0,1]
	v_pk_add_f32 v[110:111], v[110:111], v[116:117]
	v_mov_b32_e32 v112, v177
	v_pk_fma_f32 v[118:119], v[188:189], v[172:173], v[118:119] neg_lo:[0,0,1] neg_hi:[0,0,1]
	s_delay_alu instid0(VALU_DEP_4)
	v_pk_fma_f32 v[116:117], v[190:191], v[174:175], v[114:115] op_sel_hi:[1,0,1]
	v_mov_b32_e32 v119, v113
	v_pk_add_f32 v[110:111], v[110:111], v[120:121]
	v_pk_mul_f32 v[112:113], v[254:255], v[112:113] op_sel_hi:[1,0]
	v_pk_fma_f32 v[114:115], v[190:191], v[174:175], v[114:115] neg_lo:[0,0,1] neg_hi:[0,0,1]
	v_mov_b32_e32 v115, v117
	s_delay_alu instid0(VALU_DEP_4) | instskip(NEXT) | instid1(VALU_DEP_4)
	v_pk_add_f32 v[110:111], v[110:111], v[118:119]
	v_pk_fma_f32 v[116:117], v[192:193], v[176:177], v[112:113] op_sel_hi:[1,0,1]
	v_pk_fma_f32 v[112:113], v[192:193], v[176:177], v[112:113] neg_lo:[0,0,1] neg_hi:[0,0,1]
	s_delay_alu instid0(VALU_DEP_3) | instskip(NEXT) | instid1(VALU_DEP_3)
	v_pk_add_f32 v[110:111], v[110:111], v[114:115]
	v_mov_b32_e32 v113, v117
	s_delay_alu instid0(VALU_DEP_1) | instskip(SKIP_1) | instid1(VALU_DEP_1)
	v_pk_add_f32 v[110:111], v[110:111], v[112:113]
	s_wait_loadcnt 0x0
	v_pk_add_f32 v[110:111], v[246:247], v[110:111] neg_lo:[0,1] neg_hi:[0,1]
	scratch_store_b64 off, v[110:111], off offset:152
	s_wait_xcnt 0x0
	v_cmpx_lt_u32_e32 18, v0
	s_cbranch_execz .LBB117_301
; %bb.300:
	scratch_load_b64 v[110:111], off, off offset:144
	v_mov_b64_e32 v[112:113], 0
	scratch_store_b64 off, v[112:113], off offset:144
	s_wait_loadcnt 0x0
	ds_store_b64 v1, v[110:111]
.LBB117_301:
	s_wait_xcnt 0x0
	s_or_b32 exec_lo, exec_lo, s0
	s_wait_storecnt_dscnt 0x0
	s_barrier_signal -1
	s_barrier_wait -1
	s_clause 0x12
	scratch_load_b128 v[110:113], off, off offset:152
	scratch_load_b128 v[114:117], off, off offset:168
	;; [unrolled: 1-line block ×17, first 2 shown]
	scratch_load_b64 v[246:247], off, off offset:424
	scratch_load_b64 v[248:249], off, off offset:144
	v_mov_b32_e32 v7, 0
	ds_load_2addr_b64 v[178:181], v7 offset0:99 offset1:100
	ds_load_2addr_b64 v[182:185], v7 offset0:101 offset1:102
	ds_load_2addr_b64 v[186:189], v7 offset0:103 offset1:104
	ds_load_2addr_b64 v[190:193], v7 offset0:97 offset1:98
	ds_load_2addr_b64 v[194:197], v7 offset0:105 offset1:106
	ds_load_2addr_b64 v[198:201], v7 offset0:73 offset1:74
	ds_load_2addr_b64 v[202:205], v7 offset0:75 offset1:76
	ds_load_2addr_b64 v[206:209], v7 offset0:77 offset1:78
	ds_load_2addr_b64 v[210:213], v7 offset0:79 offset1:80
	ds_load_2addr_b64 v[214:217], v7 offset0:81 offset1:82
	ds_load_2addr_b64 v[218:221], v7 offset0:83 offset1:84
	ds_load_2addr_b64 v[222:225], v7 offset0:85 offset1:86
	ds_load_2addr_b64 v[226:229], v7 offset0:87 offset1:88
	ds_load_2addr_b64 v[230:233], v7 offset0:89 offset1:90
	ds_load_2addr_b64 v[234:237], v7 offset0:91 offset1:92
	ds_load_2addr_b64 v[238:241], v7 offset0:93 offset1:94
	ds_load_2addr_b64 v[242:245], v7 offset0:95 offset1:96
	ds_load_b64 v[250:251], v7 offset:856
	s_mov_b32 s0, exec_lo
	s_wait_dscnt 0x10
	v_dual_mov_b32 v252, v181 :: v_dual_mov_b32 v255, v184
	v_dual_mov_b32 v253, v180 :: v_dual_mov_b32 v254, v185
	s_wait_dscnt 0xf
	s_set_vgpr_msb 64                       ;  msbs: dst=1 src0=0 src1=0 src2=0
	v_dual_mov_b32 v0 /*v256*/, v189 :: v_dual_mov_b32 v1 /*v257*/, v188
	s_wait_dscnt 0xd
	v_dual_mov_b32 v2 /*v258*/, v197 :: v_dual_mov_b32 v3 /*v259*/, v196
	s_wait_loadcnt_dscnt 0x120c
	s_set_vgpr_msb 0                        ;  msbs: dst=0 src0=0 src1=0 src2=0
	v_dual_mul_f32 v9, v198, v111 :: v_dual_mul_f32 v59, v199, v111
	v_dual_mul_f32 v61, v201, v113 :: v_dual_mul_f32 v11, v200, v113
	s_wait_loadcnt_dscnt 0x110b
	v_mul_f32_e32 v13, v202, v115
	s_wait_loadcnt_dscnt 0xf09
	v_dual_mul_f32 v71, v211, v123 :: v_dual_fma_f32 v59, v198, v110, -v59
	v_dual_fmac_f32 v9, v199, v110 :: v_dual_mul_f32 v73, v213, v125
	v_dual_mul_f32 v63, v203, v115 :: v_dual_mul_f32 v65, v205, v117
	v_dual_fmac_f32 v11, v201, v112 :: v_dual_fma_f32 v61, v200, v112, -v61
	s_delay_alu instid0(VALU_DEP_3) | instskip(SKIP_3) | instid1(VALU_DEP_3)
	v_dual_add_f32 v9, 0, v9 :: v_dual_add_f32 v59, 0, v59
	v_dual_mul_f32 v15, v204, v117 :: v_dual_mul_f32 v17, v206, v119
	s_wait_loadcnt_dscnt 0xe08
	v_dual_mul_f32 v75, v215, v127 :: v_dual_fma_f32 v63, v202, v114, -v63
	v_dual_fmac_f32 v13, v203, v114 :: v_dual_add_f32 v9, v9, v11
	s_delay_alu instid0(VALU_DEP_3) | instskip(SKIP_2) | instid1(VALU_DEP_3)
	v_dual_add_f32 v11, v59, v61 :: v_dual_fmac_f32 v15, v205, v116
	v_dual_mul_f32 v67, v207, v119 :: v_dual_mul_f32 v69, v209, v121
	v_dual_mul_f32 v59, v217, v129 :: v_dual_fma_f32 v61, v204, v116, -v65
	v_dual_add_f32 v9, v9, v13 :: v_dual_add_f32 v11, v11, v63
	v_dual_mul_f32 v19, v208, v121 :: v_dual_mul_f32 v21, v210, v123
	s_wait_loadcnt_dscnt 0xd07
	v_dual_mul_f32 v13, v219, v131 :: v_dual_fma_f32 v63, v206, v118, -v67
	s_delay_alu instid0(VALU_DEP_3) | instskip(NEXT) | instid1(VALU_DEP_3)
	v_dual_fmac_f32 v17, v207, v118 :: v_dual_add_f32 v9, v9, v15
	v_dual_add_f32 v11, v11, v61 :: v_dual_fmac_f32 v19, v209, v120
	v_dual_mul_f32 v15, v221, v133 :: v_dual_fma_f32 v61, v208, v120, -v69
	s_delay_alu instid0(VALU_DEP_2) | instskip(SKIP_3) | instid1(VALU_DEP_3)
	v_dual_add_f32 v9, v9, v17 :: v_dual_add_f32 v11, v11, v63
	v_dual_mul_f32 v23, v212, v125 :: v_dual_mul_f32 v25, v214, v127
	s_wait_loadcnt_dscnt 0xc06
	v_dual_mul_f32 v17, v223, v135 :: v_dual_fma_f32 v63, v210, v122, -v71
	v_dual_fmac_f32 v21, v211, v122 :: v_dual_add_f32 v9, v9, v19
	s_delay_alu instid0(VALU_DEP_3) | instskip(SKIP_1) | instid1(VALU_DEP_2)
	v_dual_add_f32 v11, v11, v61 :: v_dual_fmac_f32 v23, v213, v124
	v_dual_mul_f32 v19, v225, v137 :: v_dual_fma_f32 v61, v212, v124, -v73
	v_dual_add_f32 v9, v9, v21 :: v_dual_add_f32 v11, v11, v63
	v_dual_mul_f32 v27, v216, v129 :: v_dual_mul_f32 v29, v218, v131
	s_wait_loadcnt_dscnt 0xb05
	v_dual_mul_f32 v21, v227, v139 :: v_dual_fma_f32 v63, v214, v126, -v75
	s_delay_alu instid0(VALU_DEP_3) | instskip(NEXT) | instid1(VALU_DEP_3)
	v_dual_fmac_f32 v25, v215, v126 :: v_dual_add_f32 v9, v9, v23
	v_dual_add_f32 v11, v11, v61 :: v_dual_fmac_f32 v27, v217, v128
	v_dual_mul_f32 v23, v229, v141 :: v_dual_fma_f32 v59, v216, v128, -v59
	s_delay_alu instid0(VALU_DEP_2) | instskip(SKIP_3) | instid1(VALU_DEP_3)
	v_dual_add_f32 v9, v9, v25 :: v_dual_add_f32 v11, v11, v63
	v_dual_mul_f32 v31, v220, v133 :: v_dual_mul_f32 v33, v222, v135
	s_wait_loadcnt_dscnt 0xa04
	v_dual_mul_f32 v25, v231, v143 :: v_dual_fma_f32 v13, v218, v130, -v13
	v_dual_fmac_f32 v29, v219, v130 :: v_dual_add_f32 v9, v9, v27
	v_dual_add_f32 v11, v11, v59 :: v_dual_mul_f32 v27, v233, v145
	v_fmac_f32_e32 v31, v221, v132
	s_delay_alu instid0(VALU_DEP_3) | instskip(NEXT) | instid1(VALU_DEP_3)
	v_dual_fma_f32 v15, v220, v132, -v15 :: v_dual_add_f32 v9, v9, v29
	v_add_f32_e32 v11, v11, v13
	v_dual_mul_f32 v35, v224, v137 :: v_dual_mul_f32 v37, v226, v139
	s_wait_loadcnt_dscnt 0x903
	v_dual_mul_f32 v13, v235, v147 :: v_dual_fma_f32 v17, v222, v134, -v17
	v_dual_fmac_f32 v33, v223, v134 :: v_dual_add_f32 v9, v9, v31
	v_dual_add_f32 v11, v11, v15 :: v_dual_mul_f32 v15, v237, v149
	v_fmac_f32_e32 v35, v225, v136
	s_delay_alu instid0(VALU_DEP_3) | instskip(NEXT) | instid1(VALU_DEP_3)
	v_dual_fma_f32 v19, v224, v136, -v19 :: v_dual_add_f32 v9, v9, v33
	v_add_f32_e32 v11, v11, v17
	;; [unrolled: 9-line block ×4, first 2 shown]
	v_dual_mul_f32 v47, v236, v149 :: v_dual_mul_f32 v49, v238, v151
	s_wait_loadcnt 0x6
	v_dual_mul_f32 v25, v191, v159 :: v_dual_fma_f32 v13, v234, v146, -v13
	v_dual_fmac_f32 v45, v235, v146 :: v_dual_add_f32 v9, v9, v43
	v_dual_add_f32 v11, v11, v27 :: v_dual_mul_f32 v27, v193, v161
	v_fmac_f32_e32 v47, v237, v148
	s_delay_alu instid0(VALU_DEP_3) | instskip(NEXT) | instid1(VALU_DEP_3)
	v_dual_fma_f32 v15, v236, v148, -v15 :: v_dual_add_f32 v9, v9, v45
	v_add_f32_e32 v11, v11, v13
	v_dual_mul_f32 v51, v240, v153 :: v_dual_mul_f32 v53, v242, v155
	s_wait_loadcnt 0x5
	v_dual_mul_f32 v13, v179, v163 :: v_dual_fma_f32 v17, v238, v150, -v17
	v_dual_fmac_f32 v49, v239, v150 :: v_dual_add_f32 v9, v9, v47
	v_dual_add_f32 v11, v11, v15 :: v_dual_mov_b32 v110, v165
	v_fmac_f32_e32 v51, v241, v152
	s_delay_alu instid0(VALU_DEP_3) | instskip(NEXT) | instid1(VALU_DEP_3)
	v_dual_fma_f32 v15, v240, v152, -v19 :: v_dual_add_f32 v9, v9, v49
	v_add_f32_e32 v11, v11, v17
	v_dual_mul_f32 v55, v244, v157 :: v_dual_mul_f32 v57, v190, v159
	s_delay_alu instid0(VALU_DEP_3) | instskip(NEXT) | instid1(VALU_DEP_3)
	v_dual_fmac_f32 v53, v243, v154 :: v_dual_add_f32 v9, v9, v51
	v_dual_fma_f32 v17, v242, v154, -v21 :: v_dual_add_f32 v11, v11, v15
	s_wait_loadcnt 0x4
	v_dual_mov_b32 v114, v169 :: v_dual_fma_f32 v15, v244, v156, -v23
	v_fmac_f32_e32 v55, v245, v156
	v_dual_add_f32 v9, v9, v53 :: v_dual_fmac_f32 v57, v191, v158
	v_add_f32_e32 v11, v11, v17
	s_set_vgpr_msb 64                       ;  msbs: dst=1 src0=0 src1=0 src2=0
	v_dual_mul_f32 v5 /*v261*/, v192, v161 :: v_dual_mul_f32 v7 /*v263*/, v178, v163
	s_set_vgpr_msb 0                        ;  msbs: dst=0 src0=0 src1=0 src2=0
	v_dual_fma_f32 v17, v190, v158, -v25 :: v_dual_add_f32 v9, v9, v55
	v_add_f32_e32 v11, v11, v15
	s_set_vgpr_msb 64                       ;  msbs: dst=1 src0=0 src1=0 src2=0
	v_dual_fmac_f32 v5 /*v261*/, v193, v160 :: v_dual_fmac_f32 v7 /*v263*/, v179, v162
	v_dual_fma_f32 v4 /*v260*/, v192, v160, -v27 :: v_dual_fma_f32 v6 /*v262*/, v178, v162, -v13
	s_set_vgpr_msb 0                        ;  msbs: dst=0 src0=0 src1=0 src2=0
	v_pk_mul_f32 v[110:111], v[252:253], v[110:111] op_sel_hi:[1,0]
	v_add_f32_e32 v119, v9, v57
	s_wait_loadcnt 0x3
	v_dual_add_f32 v118, v11, v17 :: v_dual_mov_b32 v120, v173
	v_pk_mul_f32 v[112:113], v[182:183], v[166:167] op_sel:[1,1] op_sel_hi:[0,1]
	v_pk_fma_f32 v[122:123], v[180:181], v[164:165], v[110:111] op_sel_hi:[1,0,1]
	v_pk_fma_f32 v[110:111], v[180:181], v[164:165], v[110:111] neg_lo:[0,0,1] neg_hi:[0,0,1]
	s_set_vgpr_msb 4                        ;  msbs: dst=0 src0=0 src1=1 src2=0
	v_pk_add_f32 v[118:119], v[118:119], v[4:5] /*v[260:261]*/
	s_set_vgpr_msb 0                        ;  msbs: dst=0 src0=0 src1=0 src2=0
	v_pk_mul_f32 v[114:115], v[254:255], v[114:115] op_sel_hi:[1,0]
	v_pk_fma_f32 v[124:125], v[182:183], v[166:167], v[112:113] op_sel_hi:[1,0,1]
	v_mov_b32_e32 v111, v123
	v_pk_fma_f32 v[112:113], v[182:183], v[166:167], v[112:113] neg_lo:[0,0,1] neg_hi:[0,0,1]
	s_set_vgpr_msb 4                        ;  msbs: dst=0 src0=0 src1=1 src2=0
	v_pk_add_f32 v[118:119], v[118:119], v[6:7] /*v[262:263]*/
	s_set_vgpr_msb 0                        ;  msbs: dst=0 src0=0 src1=0 src2=0
	v_pk_mul_f32 v[116:117], v[186:187], v[170:171] op_sel:[1,1] op_sel_hi:[0,1]
	v_mov_b32_e32 v113, v125
	v_pk_fma_f32 v[124:125], v[184:185], v[168:169], v[114:115] op_sel_hi:[1,0,1]
	v_pk_fma_f32 v[114:115], v[184:185], v[168:169], v[114:115] neg_lo:[0,0,1] neg_hi:[0,0,1]
	v_pk_add_f32 v[110:111], v[118:119], v[110:111]
	v_pk_fma_f32 v[118:119], v[186:187], v[170:171], v[116:117] op_sel_hi:[1,0,1]
	s_set_vgpr_msb 1                        ;  msbs: dst=0 src0=1 src1=0 src2=0
	v_pk_mul_f32 v[120:121], v[0:1] /*v[256:257]*/, v[120:121] op_sel_hi:[1,0]
	s_set_vgpr_msb 0                        ;  msbs: dst=0 src0=0 src1=0 src2=0
	v_mov_b32_e32 v115, v125
	v_pk_fma_f32 v[116:117], v[186:187], v[170:171], v[116:117] neg_lo:[0,0,1] neg_hi:[0,0,1]
	v_pk_add_f32 v[110:111], v[110:111], v[112:113]
	s_wait_loadcnt 0x2
	v_pk_mul_f32 v[122:123], v[194:195], v[174:175] op_sel:[1,1] op_sel_hi:[0,1]
	v_dual_mov_b32 v112, v177 :: v_dual_mov_b32 v117, v119
	v_pk_fma_f32 v[118:119], v[188:189], v[172:173], v[120:121] op_sel_hi:[1,0,1]
	v_pk_add_f32 v[110:111], v[110:111], v[114:115]
	v_pk_fma_f32 v[120:121], v[188:189], v[172:173], v[120:121] neg_lo:[0,0,1] neg_hi:[0,0,1]
	v_pk_fma_f32 v[114:115], v[194:195], v[174:175], v[122:123] op_sel_hi:[1,0,1]
	s_set_vgpr_msb 1                        ;  msbs: dst=0 src0=1 src1=0 src2=0
	v_pk_mul_f32 v[112:113], v[2:3] /*v[258:259]*/, v[112:113] op_sel_hi:[1,0]
	s_set_vgpr_msb 0                        ;  msbs: dst=0 src0=0 src1=0 src2=0
	v_mov_b32_e32 v121, v119
	v_pk_add_f32 v[110:111], v[110:111], v[116:117]
	v_pk_fma_f32 v[116:117], v[194:195], v[174:175], v[122:123] neg_lo:[0,0,1] neg_hi:[0,0,1]
	v_mov_b32_e32 v117, v115
	v_pk_fma_f32 v[114:115], v[196:197], v[176:177], v[112:113] op_sel_hi:[1,0,1]
	s_wait_loadcnt_dscnt 0x100
	v_pk_mul_f32 v[118:119], v[250:251], v[246:247] op_sel:[1,1] op_sel_hi:[0,1]
	v_pk_add_f32 v[110:111], v[110:111], v[120:121]
	v_pk_fma_f32 v[112:113], v[196:197], v[176:177], v[112:113] neg_lo:[0,0,1] neg_hi:[0,0,1]
	v_mov_b32_e32 v113, v115
	s_delay_alu instid0(VALU_DEP_4) | instskip(NEXT) | instid1(VALU_DEP_4)
	v_pk_fma_f32 v[114:115], v[250:251], v[246:247], v[118:119] op_sel_hi:[1,0,1]
	v_pk_add_f32 v[110:111], v[110:111], v[116:117]
	v_pk_fma_f32 v[116:117], v[250:251], v[246:247], v[118:119] neg_lo:[0,0,1] neg_hi:[0,0,1]
	s_delay_alu instid0(VALU_DEP_3) | instskip(NEXT) | instid1(VALU_DEP_3)
	v_mov_b32_e32 v117, v115
	v_pk_add_f32 v[110:111], v[110:111], v[112:113]
	s_delay_alu instid0(VALU_DEP_1) | instskip(SKIP_1) | instid1(VALU_DEP_1)
	v_pk_add_f32 v[110:111], v[110:111], v[116:117]
	s_wait_loadcnt 0x0
	v_pk_add_f32 v[110:111], v[248:249], v[110:111] neg_lo:[0,1] neg_hi:[0,1]
	scratch_store_b64 off, v[110:111], off offset:144
	s_wait_xcnt 0x0
	v_cmpx_lt_u32_e32 17, v0
	s_cbranch_execz .LBB117_303
; %bb.302:
	scratch_load_b64 v[110:111], off, off offset:136
	v_mov_b64_e32 v[112:113], 0
	scratch_store_b64 off, v[112:113], off offset:136
	s_wait_loadcnt 0x0
	ds_store_b64 v1, v[110:111]
.LBB117_303:
	s_wait_xcnt 0x0
	s_or_b32 exec_lo, exec_lo, s0
	s_wait_storecnt_dscnt 0x0
	s_barrier_signal -1
	s_barrier_wait -1
	s_clause 0x12
	scratch_load_b128 v[110:113], off, off offset:144
	scratch_load_b128 v[114:117], off, off offset:160
	;; [unrolled: 1-line block ×18, first 2 shown]
	scratch_load_b64 v[254:255], off, off offset:136
	ds_load_b128 v[182:185], v7 offset:800
	ds_load_b128 v[186:189], v7 offset:816
	;; [unrolled: 1-line block ×18, first 2 shown]
	s_mov_b32 s0, exec_lo
	s_wait_dscnt 0x11
	s_set_vgpr_msb 64                       ;  msbs: dst=1 src0=0 src1=0 src2=0
	v_dual_mov_b32 v0 /*v256*/, v185 :: v_dual_mov_b32 v1 /*v257*/, v184
	s_wait_dscnt 0x10
	v_dual_mov_b32 v2 /*v258*/, v189 :: v_dual_mov_b32 v3 /*v259*/, v188
	s_wait_dscnt 0xf
	;; [unrolled: 2-line block ×3, first 2 shown]
	v_dual_mov_b32 v6 /*v262*/, v197 :: v_dual_mov_b32 v7 /*v263*/, v196
	s_wait_loadcnt_dscnt 0x120d
	s_set_vgpr_msb 0                        ;  msbs: dst=0 src0=0 src1=0 src2=0
	v_dual_mul_f32 v7, v198, v111 :: v_dual_mul_f32 v9, v200, v113
	v_dual_mul_f32 v59, v199, v111 :: v_dual_mul_f32 v61, v201, v113
	s_wait_loadcnt_dscnt 0x110c
	v_dual_mul_f32 v11, v202, v115 :: v_dual_mul_f32 v13, v204, v117
	s_delay_alu instid0(VALU_DEP_3) | instskip(SKIP_3) | instid1(VALU_DEP_3)
	v_dual_fmac_f32 v7, v199, v110 :: v_dual_fmac_f32 v9, v201, v112
	s_wait_loadcnt_dscnt 0xf0a
	v_dual_fma_f32 v59, v198, v110, -v59 :: v_dual_mul_f32 v71, v211, v123
	v_dual_mul_f32 v63, v203, v115 :: v_dual_mul_f32 v65, v205, v117
	v_dual_fma_f32 v61, v200, v112, -v61 :: v_dual_add_f32 v7, 0, v7
	s_delay_alu instid0(VALU_DEP_3) | instskip(SKIP_1) | instid1(VALU_DEP_3)
	v_dual_add_f32 v59, 0, v59 :: v_dual_mul_f32 v73, v213, v125
	v_dual_fmac_f32 v11, v203, v114 :: v_dual_fmac_f32 v13, v205, v116
	v_dual_fma_f32 v63, v202, v114, -v63 :: v_dual_add_f32 v7, v7, v9
	s_delay_alu instid0(VALU_DEP_3) | instskip(SKIP_2) | instid1(VALU_DEP_4)
	v_dual_add_f32 v9, v59, v61 :: v_dual_fma_f32 v61, v204, v116, -v65
	v_dual_mul_f32 v15, v206, v119 :: v_dual_mul_f32 v17, v208, v121
	v_dual_mul_f32 v67, v207, v119 :: v_dual_mul_f32 v69, v209, v121
	v_add_f32_e32 v7, v7, v11
	s_delay_alu instid0(VALU_DEP_3) | instskip(NEXT) | instid1(VALU_DEP_3)
	v_dual_add_f32 v9, v9, v63 :: v_dual_fmac_f32 v15, v207, v118
	v_fma_f32 v63, v206, v118, -v67
	v_dual_mul_f32 v19, v210, v123 :: v_dual_mul_f32 v21, v212, v125
	s_delay_alu instid0(VALU_DEP_4) | instskip(SKIP_2) | instid1(VALU_DEP_2)
	v_dual_add_f32 v7, v7, v13 :: v_dual_fmac_f32 v17, v209, v120
	s_wait_loadcnt_dscnt 0xd08
	v_dual_add_f32 v9, v9, v61 :: v_dual_mul_f32 v13, v219, v131
	v_dual_fma_f32 v61, v208, v120, -v69 :: v_dual_add_f32 v7, v7, v15
	v_mul_f32_e32 v15, v221, v133
	s_delay_alu instid0(VALU_DEP_3) | instskip(NEXT) | instid1(VALU_DEP_3)
	v_dual_add_f32 v9, v9, v63 :: v_dual_fmac_f32 v19, v211, v122
	v_dual_fma_f32 v63, v210, v122, -v71 :: v_dual_add_f32 v7, v7, v17
	v_fmac_f32_e32 v21, v213, v124
	s_wait_loadcnt_dscnt 0xc07
	s_delay_alu instid0(VALU_DEP_3) | instskip(SKIP_3) | instid1(VALU_DEP_3)
	v_dual_add_f32 v9, v9, v61 :: v_dual_mul_f32 v17, v223, v135
	v_dual_mul_f32 v23, v214, v127 :: v_dual_mul_f32 v25, v216, v129
	v_dual_mul_f32 v59, v215, v127 :: v_dual_mul_f32 v11, v217, v129
	v_dual_fma_f32 v61, v212, v124, -v73 :: v_dual_add_f32 v7, v7, v19
	v_dual_add_f32 v9, v9, v63 :: v_dual_fmac_f32 v23, v215, v126
	s_delay_alu instid0(VALU_DEP_3) | instskip(NEXT) | instid1(VALU_DEP_3)
	v_dual_mul_f32 v19, v225, v137 :: v_dual_fma_f32 v59, v214, v126, -v59
	v_dual_add_f32 v7, v7, v21 :: v_dual_fmac_f32 v25, v217, v128
	s_wait_loadcnt_dscnt 0xb06
	s_delay_alu instid0(VALU_DEP_3) | instskip(SKIP_1) | instid1(VALU_DEP_3)
	v_dual_add_f32 v9, v9, v61 :: v_dual_mul_f32 v21, v227, v139
	v_dual_mul_f32 v27, v218, v131 :: v_dual_mul_f32 v29, v220, v133
	v_dual_fma_f32 v11, v216, v128, -v11 :: v_dual_add_f32 v7, v7, v23
	s_delay_alu instid0(VALU_DEP_2) | instskip(SKIP_1) | instid1(VALU_DEP_2)
	v_dual_add_f32 v9, v9, v59 :: v_dual_fmac_f32 v27, v219, v130
	v_dual_mul_f32 v23, v229, v141 :: v_dual_fma_f32 v13, v218, v130, -v13
	v_dual_add_f32 v7, v7, v25 :: v_dual_add_f32 v9, v9, v11
	v_dual_mul_f32 v31, v222, v135 :: v_dual_mul_f32 v33, v224, v137
	s_wait_loadcnt_dscnt 0xa05
	v_dual_mul_f32 v11, v231, v143 :: v_dual_fmac_f32 v29, v221, v132
	s_delay_alu instid0(VALU_DEP_3) | instskip(NEXT) | instid1(VALU_DEP_3)
	v_dual_fma_f32 v15, v220, v132, -v15 :: v_dual_add_f32 v7, v7, v27
	v_dual_add_f32 v9, v9, v13 :: v_dual_fmac_f32 v31, v223, v134
	v_dual_mul_f32 v13, v233, v145 :: v_dual_fma_f32 v17, v222, v134, -v17
	s_delay_alu instid0(VALU_DEP_2) | instskip(SKIP_3) | instid1(VALU_DEP_3)
	v_dual_add_f32 v7, v7, v29 :: v_dual_add_f32 v9, v9, v15
	v_dual_mul_f32 v35, v226, v139 :: v_dual_mul_f32 v37, v228, v141
	s_wait_loadcnt_dscnt 0x904
	v_dual_mul_f32 v15, v235, v147 :: v_dual_fmac_f32 v33, v225, v136
	v_dual_fma_f32 v19, v224, v136, -v19 :: v_dual_add_f32 v7, v7, v31
	s_delay_alu instid0(VALU_DEP_3) | instskip(SKIP_1) | instid1(VALU_DEP_2)
	v_dual_add_f32 v9, v9, v17 :: v_dual_fmac_f32 v35, v227, v138
	v_dual_mul_f32 v17, v237, v149 :: v_dual_fma_f32 v21, v226, v138, -v21
	v_dual_add_f32 v7, v7, v33 :: v_dual_add_f32 v9, v9, v19
	v_dual_mul_f32 v39, v230, v143 :: v_dual_mul_f32 v41, v232, v145
	s_wait_loadcnt_dscnt 0x803
	v_dual_mul_f32 v19, v239, v151 :: v_dual_fmac_f32 v37, v229, v140
	s_delay_alu instid0(VALU_DEP_3) | instskip(NEXT) | instid1(VALU_DEP_3)
	v_dual_fma_f32 v23, v228, v140, -v23 :: v_dual_add_f32 v7, v7, v35
	v_dual_add_f32 v9, v9, v21 :: v_dual_fmac_f32 v39, v231, v142
	v_dual_mul_f32 v21, v241, v153 :: v_dual_fma_f32 v11, v230, v142, -v11
	s_delay_alu instid0(VALU_DEP_2) | instskip(SKIP_3) | instid1(VALU_DEP_3)
	v_dual_add_f32 v7, v7, v37 :: v_dual_add_f32 v9, v9, v23
	v_dual_mul_f32 v43, v234, v147 :: v_dual_mul_f32 v45, v236, v149
	s_wait_loadcnt_dscnt 0x702
	v_dual_mul_f32 v23, v243, v155 :: v_dual_fmac_f32 v41, v233, v144
	v_dual_fma_f32 v13, v232, v144, -v13 :: v_dual_add_f32 v7, v7, v39
	s_delay_alu instid0(VALU_DEP_3) | instskip(SKIP_1) | instid1(VALU_DEP_3)
	v_dual_add_f32 v9, v9, v11 :: v_dual_fmac_f32 v43, v235, v146
	v_dual_mul_f32 v11, v245, v157 :: v_dual_fma_f32 v15, v234, v146, -v15
	v_dual_add_f32 v7, v7, v41 :: v_dual_fmac_f32 v45, v237, v148
	s_wait_loadcnt_dscnt 0x601
	s_delay_alu instid0(VALU_DEP_3) | instskip(SKIP_1) | instid1(VALU_DEP_3)
	v_dual_add_f32 v9, v9, v13 :: v_dual_mul_f32 v13, v247, v159
	v_dual_mul_f32 v47, v238, v151 :: v_dual_mul_f32 v49, v240, v153
	v_dual_fma_f32 v17, v236, v148, -v17 :: v_dual_add_f32 v7, v7, v43
	s_delay_alu instid0(VALU_DEP_2) | instskip(SKIP_1) | instid1(VALU_DEP_3)
	v_dual_add_f32 v9, v9, v15 :: v_dual_fmac_f32 v47, v239, v150
	v_dual_mul_f32 v15, v249, v161 :: v_dual_fma_f32 v19, v238, v150, -v19
	v_dual_add_f32 v7, v7, v45 :: v_dual_fmac_f32 v49, v241, v152
	s_wait_loadcnt_dscnt 0x500
	s_delay_alu instid0(VALU_DEP_3) | instskip(SKIP_1) | instid1(VALU_DEP_3)
	v_dual_add_f32 v9, v9, v17 :: v_dual_mul_f32 v17, v251, v163
	v_dual_mul_f32 v51, v242, v155 :: v_dual_mul_f32 v53, v244, v157
	v_dual_fma_f32 v21, v240, v152, -v21 :: v_dual_add_f32 v7, v7, v47
	s_delay_alu instid0(VALU_DEP_2) | instskip(SKIP_1) | instid1(VALU_DEP_3)
	v_dual_add_f32 v9, v9, v19 :: v_dual_fmac_f32 v51, v243, v154
	v_dual_mul_f32 v19, v253, v165 :: v_dual_fma_f32 v23, v242, v154, -v23
	v_dual_add_f32 v7, v7, v49 :: v_dual_fmac_f32 v53, v245, v156
	s_delay_alu instid0(VALU_DEP_3) | instskip(SKIP_2) | instid1(VALU_DEP_3)
	v_dual_add_f32 v9, v9, v21 :: v_dual_fma_f32 v11, v244, v156, -v11
	v_dual_mul_f32 v55, v246, v159 :: v_dual_mul_f32 v57, v248, v161
	s_wait_loadcnt 0x4
	v_dual_add_f32 v7, v7, v51 :: v_dual_mov_b32 v112, v169
	s_delay_alu instid0(VALU_DEP_2) | instskip(NEXT) | instid1(VALU_DEP_2)
	v_dual_add_f32 v9, v9, v23 :: v_dual_fmac_f32 v55, v247, v158
	v_dual_fma_f32 v13, v246, v158, -v13 :: v_dual_add_f32 v7, v7, v53
	s_set_vgpr_msb 64                       ;  msbs: dst=1 src0=0 src1=0 src2=0
	v_dual_mul_f32 v9 /*v265*/, v250, v163 :: v_dual_mul_f32 v11 /*v267*/, v252, v165
	s_set_vgpr_msb 0                        ;  msbs: dst=0 src0=0 src1=0 src2=0
	v_dual_add_f32 v9, v9, v11 :: v_dual_fma_f32 v11, v248, v160, -v15
	v_dual_fmac_f32 v57, v249, v160 :: v_dual_add_f32 v7, v7, v55
	v_pk_mul_f32 v[110:111], v[182:183], v[166:167] op_sel:[1,1] op_sel_hi:[0,1]
	s_delay_alu instid0(VALU_DEP_3)
	v_add_f32_e32 v9, v9, v13
	s_wait_loadcnt 0x3
	v_mov_b32_e32 v116, v173
	s_set_vgpr_msb 64                       ;  msbs: dst=1 src0=0 src1=0 src2=0
	v_dual_fmac_f32 v9 /*v265*/, v251, v162 :: v_dual_fmac_f32 v11 /*v267*/, v253, v164
	v_dual_fma_f32 v8 /*v264*/, v250, v162, -v17 :: v_dual_fma_f32 v10 /*v266*/, v252, v164, -v19
	s_set_vgpr_msb 0                        ;  msbs: dst=0 src0=0 src1=0 src2=0
	v_dual_add_f32 v119, v7, v57 :: v_dual_add_f32 v118, v9, v11
	v_pk_fma_f32 v[120:121], v[182:183], v[166:167], v[110:111] op_sel_hi:[1,0,1]
	s_set_vgpr_msb 1                        ;  msbs: dst=0 src0=1 src1=0 src2=0
	v_pk_mul_f32 v[112:113], v[0:1] /*v[256:257]*/, v[112:113] op_sel_hi:[1,0]
	s_set_vgpr_msb 0                        ;  msbs: dst=0 src0=0 src1=0 src2=0
	v_pk_fma_f32 v[110:111], v[182:183], v[166:167], v[110:111] neg_lo:[0,0,1] neg_hi:[0,0,1]
	v_pk_mul_f32 v[114:115], v[186:187], v[170:171] op_sel:[1,1] op_sel_hi:[0,1]
	s_set_vgpr_msb 4                        ;  msbs: dst=0 src0=0 src1=1 src2=0
	v_pk_add_f32 v[118:119], v[118:119], v[8:9] /*v[264:265]*/
	v_mov_b32_e32 v111, v121
	s_set_vgpr_msb 0                        ;  msbs: dst=0 src0=0 src1=0 src2=0
	v_pk_fma_f32 v[120:121], v[184:185], v[168:169], v[112:113] op_sel_hi:[1,0,1]
	v_pk_fma_f32 v[112:113], v[184:185], v[168:169], v[112:113] neg_lo:[0,0,1] neg_hi:[0,0,1]
	v_pk_fma_f32 v[124:125], v[186:187], v[170:171], v[114:115] op_sel_hi:[1,0,1]
	s_set_vgpr_msb 4                        ;  msbs: dst=0 src0=0 src1=1 src2=0
	v_pk_add_f32 v[118:119], v[118:119], v[10:11] /*v[266:267]*/
	s_set_vgpr_msb 1                        ;  msbs: dst=0 src0=1 src1=0 src2=0
	v_pk_mul_f32 v[116:117], v[2:3] /*v[258:259]*/, v[116:117] op_sel_hi:[1,0]
	s_set_vgpr_msb 0                        ;  msbs: dst=0 src0=0 src1=0 src2=0
	v_mov_b32_e32 v113, v121
	s_wait_loadcnt 0x2
	v_pk_mul_f32 v[122:123], v[190:191], v[174:175] op_sel:[1,1] op_sel_hi:[0,1]
	v_pk_fma_f32 v[114:115], v[186:187], v[170:171], v[114:115] neg_lo:[0,0,1] neg_hi:[0,0,1]
	v_pk_add_f32 v[110:111], v[118:119], v[110:111]
	v_dual_mov_b32 v118, v177 :: v_dual_mov_b32 v115, v125
	v_pk_fma_f32 v[120:121], v[188:189], v[172:173], v[116:117] op_sel_hi:[1,0,1]
	v_pk_fma_f32 v[116:117], v[188:189], v[172:173], v[116:117] neg_lo:[0,0,1] neg_hi:[0,0,1]
	s_delay_alu instid0(VALU_DEP_4)
	v_pk_add_f32 v[110:111], v[110:111], v[112:113]
	v_pk_fma_f32 v[112:113], v[190:191], v[174:175], v[122:123] op_sel_hi:[1,0,1]
	s_set_vgpr_msb 1                        ;  msbs: dst=0 src0=1 src1=0 src2=0
	v_pk_mul_f32 v[118:119], v[4:5] /*v[260:261]*/, v[118:119] op_sel_hi:[1,0]
	s_set_vgpr_msb 0                        ;  msbs: dst=0 src0=0 src1=0 src2=0
	v_mov_b32_e32 v117, v121
	v_pk_fma_f32 v[120:121], v[190:191], v[174:175], v[122:123] neg_lo:[0,0,1] neg_hi:[0,0,1]
	v_pk_add_f32 v[110:111], v[110:111], v[114:115]
	v_mov_b32_e32 v121, v113
	v_pk_fma_f32 v[112:113], v[192:193], v[176:177], v[118:119] op_sel_hi:[1,0,1]
	s_wait_loadcnt 0x1
	v_pk_mul_f32 v[114:115], v[194:195], v[178:179] op_sel:[1,1] op_sel_hi:[0,1]
	v_mov_b32_e32 v112, v181
	v_pk_add_f32 v[110:111], v[110:111], v[116:117]
	v_pk_fma_f32 v[118:119], v[192:193], v[176:177], v[118:119] neg_lo:[0,0,1] neg_hi:[0,0,1]
	v_mov_b32_e32 v119, v113
	v_pk_fma_f32 v[116:117], v[194:195], v[178:179], v[114:115] op_sel_hi:[1,0,1]
	s_set_vgpr_msb 1                        ;  msbs: dst=0 src0=1 src1=0 src2=0
	v_pk_mul_f32 v[112:113], v[6:7] /*v[262:263]*/, v[112:113] op_sel_hi:[1,0]
	s_set_vgpr_msb 0                        ;  msbs: dst=0 src0=0 src1=0 src2=0
	v_pk_add_f32 v[110:111], v[110:111], v[120:121]
	v_pk_fma_f32 v[114:115], v[194:195], v[178:179], v[114:115] neg_lo:[0,0,1] neg_hi:[0,0,1]
	v_mov_b32_e32 v115, v117
	v_pk_fma_f32 v[116:117], v[196:197], v[180:181], v[112:113] op_sel_hi:[1,0,1]
	s_delay_alu instid0(VALU_DEP_4) | instskip(SKIP_1) | instid1(VALU_DEP_3)
	v_pk_add_f32 v[110:111], v[110:111], v[118:119]
	v_pk_fma_f32 v[112:113], v[196:197], v[180:181], v[112:113] neg_lo:[0,0,1] neg_hi:[0,0,1]
	v_mov_b32_e32 v113, v117
	s_delay_alu instid0(VALU_DEP_3) | instskip(NEXT) | instid1(VALU_DEP_1)
	v_pk_add_f32 v[110:111], v[110:111], v[114:115]
	v_pk_add_f32 v[110:111], v[110:111], v[112:113]
	s_wait_loadcnt 0x0
	s_delay_alu instid0(VALU_DEP_1)
	v_pk_add_f32 v[110:111], v[254:255], v[110:111] neg_lo:[0,1] neg_hi:[0,1]
	scratch_store_b64 off, v[110:111], off offset:136
	s_wait_xcnt 0x0
	v_cmpx_lt_u32_e32 16, v0
	s_cbranch_execz .LBB117_305
; %bb.304:
	scratch_load_b64 v[110:111], off, off offset:128
	v_mov_b64_e32 v[112:113], 0
	scratch_store_b64 off, v[112:113], off offset:128
	s_wait_loadcnt 0x0
	ds_store_b64 v1, v[110:111]
.LBB117_305:
	s_wait_xcnt 0x0
	s_or_b32 exec_lo, exec_lo, s0
	s_wait_storecnt_dscnt 0x0
	s_barrier_signal -1
	s_barrier_wait -1
	s_clause 0x14
	scratch_load_b128 v[110:113], off, off offset:136
	scratch_load_b128 v[114:117], off, off offset:152
	;; [unrolled: 1-line block ×18, first 2 shown]
	scratch_load_b64 v[254:255], off, off offset:424
	s_set_vgpr_msb 64                       ;  msbs: dst=1 src0=0 src1=0 src2=0
	scratch_load_b64 v[0:1] /*v[256:257]*/, off, off offset:128
	s_set_vgpr_msb 0                        ;  msbs: dst=0 src0=0 src1=0 src2=0
	v_mov_b32_e32 v7, 0
	ds_load_2addr_b64 v[182:185], v7 offset0:99 offset1:100
	ds_load_2addr_b64 v[186:189], v7 offset0:101 offset1:102
	;; [unrolled: 1-line block ×18, first 2 shown]
	s_set_vgpr_msb 64                       ;  msbs: dst=1 src0=0 src1=0 src2=0
	ds_load_b64 v[2:3] /*v[258:259]*/, v7 offset:856
	s_mov_b32 s0, exec_lo
	s_wait_dscnt 0x12
	v_dual_mov_b32 v4 /*v260*/, v185 :: v_dual_mov_b32 v5 /*v261*/, v184
	s_wait_dscnt 0x11
	v_dual_mov_b32 v6 /*v262*/, v189 :: v_dual_mov_b32 v7 /*v263*/, v188
	;; [unrolled: 2-line block ×4, first 2 shown]
	s_wait_loadcnt 0x13
	s_set_vgpr_msb 0                        ;  msbs: dst=0 src0=0 src1=0 src2=0
	v_dual_mul_f32 v9, v194, v111 :: v_dual_mul_f32 v63, v195, v111
	v_dual_mul_f32 v65, v197, v113 :: v_dual_mul_f32 v11, v196, v113
	s_wait_loadcnt 0x12
	v_mul_f32_e32 v13, v198, v115
	s_wait_loadcnt_dscnt 0x100b
	v_dual_mul_f32 v75, v211, v123 :: v_dual_fma_f32 v63, v194, v110, -v63
	v_dual_fmac_f32 v9, v195, v110 :: v_dual_mul_f32 v77, v213, v125
	v_dual_mul_f32 v67, v199, v115 :: v_dual_mul_f32 v69, v201, v117
	v_dual_fmac_f32 v11, v197, v112 :: v_dual_fma_f32 v65, v196, v112, -v65
	s_delay_alu instid0(VALU_DEP_3) | instskip(SKIP_3) | instid1(VALU_DEP_3)
	v_dual_add_f32 v9, 0, v9 :: v_dual_add_f32 v63, 0, v63
	v_dual_mul_f32 v15, v200, v117 :: v_dual_mul_f32 v17, v206, v119
	s_wait_loadcnt_dscnt 0xf0a
	v_dual_mul_f32 v79, v215, v127 :: v_dual_fma_f32 v67, v198, v114, -v67
	v_dual_fmac_f32 v13, v199, v114 :: v_dual_add_f32 v9, v9, v11
	s_delay_alu instid0(VALU_DEP_3) | instskip(SKIP_2) | instid1(VALU_DEP_3)
	v_dual_add_f32 v11, v63, v65 :: v_dual_fmac_f32 v15, v201, v116
	v_dual_mul_f32 v71, v207, v119 :: v_dual_mul_f32 v73, v209, v121
	v_dual_mul_f32 v63, v217, v129 :: v_dual_fma_f32 v65, v200, v116, -v69
	v_dual_add_f32 v9, v9, v13 :: v_dual_add_f32 v11, v11, v67
	v_dual_mul_f32 v19, v208, v121 :: v_dual_mul_f32 v21, v210, v123
	s_wait_loadcnt_dscnt 0xe09
	v_dual_mul_f32 v13, v219, v131 :: v_dual_fma_f32 v67, v206, v118, -v71
	s_delay_alu instid0(VALU_DEP_3) | instskip(NEXT) | instid1(VALU_DEP_3)
	v_dual_fmac_f32 v17, v207, v118 :: v_dual_add_f32 v9, v9, v15
	v_dual_add_f32 v11, v11, v65 :: v_dual_fmac_f32 v19, v209, v120
	v_dual_mul_f32 v15, v221, v133 :: v_dual_fma_f32 v65, v208, v120, -v73
	s_delay_alu instid0(VALU_DEP_2) | instskip(SKIP_3) | instid1(VALU_DEP_3)
	v_dual_add_f32 v9, v9, v17 :: v_dual_add_f32 v11, v11, v67
	v_dual_mul_f32 v23, v212, v125 :: v_dual_mul_f32 v25, v214, v127
	s_wait_loadcnt_dscnt 0xd08
	v_dual_mul_f32 v17, v223, v135 :: v_dual_fma_f32 v67, v210, v122, -v75
	v_dual_fmac_f32 v21, v211, v122 :: v_dual_add_f32 v9, v9, v19
	s_delay_alu instid0(VALU_DEP_3) | instskip(SKIP_1) | instid1(VALU_DEP_2)
	v_dual_add_f32 v11, v11, v65 :: v_dual_fmac_f32 v23, v213, v124
	v_dual_mul_f32 v19, v225, v137 :: v_dual_fma_f32 v65, v212, v124, -v77
	v_dual_add_f32 v9, v9, v21 :: v_dual_add_f32 v11, v11, v67
	v_dual_mul_f32 v27, v216, v129 :: v_dual_mul_f32 v29, v218, v131
	s_wait_loadcnt_dscnt 0xc07
	v_dual_mul_f32 v21, v227, v139 :: v_dual_fma_f32 v67, v214, v126, -v79
	s_delay_alu instid0(VALU_DEP_3) | instskip(NEXT) | instid1(VALU_DEP_3)
	v_dual_fmac_f32 v25, v215, v126 :: v_dual_add_f32 v9, v9, v23
	v_dual_add_f32 v11, v11, v65 :: v_dual_fmac_f32 v27, v217, v128
	v_dual_mul_f32 v23, v229, v141 :: v_dual_fma_f32 v63, v216, v128, -v63
	s_delay_alu instid0(VALU_DEP_2) | instskip(SKIP_3) | instid1(VALU_DEP_3)
	v_dual_add_f32 v9, v9, v25 :: v_dual_add_f32 v11, v11, v67
	v_dual_mul_f32 v31, v220, v133 :: v_dual_mul_f32 v33, v222, v135
	s_wait_loadcnt_dscnt 0xb06
	v_dual_mul_f32 v25, v231, v143 :: v_dual_fma_f32 v13, v218, v130, -v13
	v_dual_fmac_f32 v29, v219, v130 :: v_dual_add_f32 v9, v9, v27
	v_dual_add_f32 v11, v11, v63 :: v_dual_mul_f32 v27, v233, v145
	v_fmac_f32_e32 v31, v221, v132
	s_delay_alu instid0(VALU_DEP_3) | instskip(NEXT) | instid1(VALU_DEP_3)
	v_dual_fma_f32 v15, v220, v132, -v15 :: v_dual_add_f32 v9, v9, v29
	v_add_f32_e32 v11, v11, v13
	v_dual_mul_f32 v35, v224, v137 :: v_dual_mul_f32 v37, v226, v139
	s_wait_loadcnt_dscnt 0xa05
	v_dual_mul_f32 v13, v235, v147 :: v_dual_fma_f32 v17, v222, v134, -v17
	v_dual_fmac_f32 v33, v223, v134 :: v_dual_add_f32 v9, v9, v31
	v_dual_add_f32 v11, v11, v15 :: v_dual_mul_f32 v15, v237, v149
	v_fmac_f32_e32 v35, v225, v136
	s_delay_alu instid0(VALU_DEP_3) | instskip(NEXT) | instid1(VALU_DEP_3)
	v_dual_fma_f32 v19, v224, v136, -v19 :: v_dual_add_f32 v9, v9, v33
	v_add_f32_e32 v11, v11, v17
	v_dual_mul_f32 v39, v228, v141 :: v_dual_mul_f32 v41, v230, v143
	s_wait_loadcnt_dscnt 0x904
	v_dual_mul_f32 v17, v239, v151 :: v_dual_fma_f32 v21, v226, v138, -v21
	v_dual_fmac_f32 v37, v227, v138 :: v_dual_add_f32 v9, v9, v35
	v_dual_add_f32 v11, v11, v19 :: v_dual_mul_f32 v19, v241, v153
	v_fmac_f32_e32 v39, v229, v140
	s_delay_alu instid0(VALU_DEP_3) | instskip(NEXT) | instid1(VALU_DEP_3)
	v_dual_fma_f32 v23, v228, v140, -v23 :: v_dual_add_f32 v9, v9, v37
	v_add_f32_e32 v11, v11, v21
	v_dual_mul_f32 v43, v232, v145 :: v_dual_mul_f32 v45, v234, v147
	s_wait_loadcnt_dscnt 0x803
	v_dual_mul_f32 v21, v243, v155 :: v_dual_fma_f32 v25, v230, v142, -v25
	v_dual_fmac_f32 v41, v231, v142 :: v_dual_add_f32 v9, v9, v39
	v_dual_add_f32 v11, v11, v23 :: v_dual_mul_f32 v23, v245, v157
	v_fmac_f32_e32 v43, v233, v144
	s_delay_alu instid0(VALU_DEP_3) | instskip(NEXT) | instid1(VALU_DEP_3)
	v_dual_fma_f32 v27, v232, v144, -v27 :: v_dual_add_f32 v9, v9, v41
	v_add_f32_e32 v11, v11, v25
	v_dual_mul_f32 v47, v236, v149 :: v_dual_mul_f32 v49, v238, v151
	s_wait_loadcnt_dscnt 0x702
	v_dual_mul_f32 v25, v247, v159 :: v_dual_fma_f32 v13, v234, v146, -v13
	v_dual_fmac_f32 v45, v235, v146 :: v_dual_add_f32 v9, v9, v43
	v_dual_add_f32 v11, v11, v27 :: v_dual_mul_f32 v27, v249, v161
	v_fmac_f32_e32 v47, v237, v148
	s_delay_alu instid0(VALU_DEP_3) | instskip(NEXT) | instid1(VALU_DEP_3)
	v_dual_fma_f32 v15, v236, v148, -v15 :: v_dual_add_f32 v9, v9, v45
	v_add_f32_e32 v11, v11, v13
	v_dual_mul_f32 v51, v240, v153 :: v_dual_mul_f32 v53, v242, v155
	s_wait_loadcnt_dscnt 0x601
	v_dual_mul_f32 v13, v251, v163 :: v_dual_fma_f32 v17, v238, v150, -v17
	v_dual_fmac_f32 v49, v239, v150 :: v_dual_add_f32 v9, v9, v47
	v_dual_add_f32 v11, v11, v15 :: v_dual_mul_f32 v15, v253, v165
	v_fmac_f32_e32 v51, v241, v152
	s_delay_alu instid0(VALU_DEP_3) | instskip(NEXT) | instid1(VALU_DEP_3)
	v_dual_fma_f32 v19, v240, v152, -v19 :: v_dual_add_f32 v9, v9, v49
	v_add_f32_e32 v11, v11, v17
	v_dual_mul_f32 v55, v244, v157 :: v_dual_mul_f32 v57, v246, v159
	s_wait_loadcnt 0x5
	v_dual_mul_f32 v17, v183, v167 :: v_dual_fma_f32 v21, v242, v154, -v21
	v_dual_fmac_f32 v53, v243, v154 :: v_dual_add_f32 v9, v9, v51
	v_dual_add_f32 v11, v11, v19 :: v_dual_mov_b32 v110, v169
	v_fmac_f32_e32 v55, v245, v156
	s_delay_alu instid0(VALU_DEP_3) | instskip(NEXT) | instid1(VALU_DEP_3)
	v_dual_fma_f32 v19, v244, v156, -v23 :: v_dual_add_f32 v9, v9, v53
	v_add_f32_e32 v11, v11, v21
	v_dual_mul_f32 v59, v248, v161 :: v_dual_mul_f32 v61, v250, v163
	s_delay_alu instid0(VALU_DEP_3) | instskip(NEXT) | instid1(VALU_DEP_3)
	v_dual_fmac_f32 v57, v247, v158 :: v_dual_add_f32 v9, v9, v55
	v_dual_fma_f32 v21, v246, v158, -v25 :: v_dual_add_f32 v11, v11, v19
	s_wait_loadcnt 0x4
	v_dual_mov_b32 v114, v173 :: v_dual_fma_f32 v19, v248, v160, -v27
	v_fmac_f32_e32 v59, v249, v160
	v_dual_add_f32 v9, v9, v57 :: v_dual_fmac_f32 v61, v251, v162
	v_add_f32_e32 v11, v11, v21
	s_set_vgpr_msb 64                       ;  msbs: dst=1 src0=0 src1=0 src2=0
	v_dual_mul_f32 v13 /*v269*/, v252, v165 :: v_dual_mul_f32 v15 /*v271*/, v182, v167
	s_set_vgpr_msb 0                        ;  msbs: dst=0 src0=0 src1=0 src2=0
	v_dual_fma_f32 v13, v250, v162, -v13 :: v_dual_add_f32 v9, v9, v59
	v_add_f32_e32 v11, v11, v19
	s_set_vgpr_msb 64                       ;  msbs: dst=1 src0=0 src1=0 src2=0
	v_dual_fmac_f32 v13 /*v269*/, v253, v164 :: v_dual_fmac_f32 v15 /*v271*/, v183, v166
	v_dual_fma_f32 v12 /*v268*/, v252, v164, -v15 :: v_dual_fma_f32 v14 /*v270*/, v182, v166, -v17
	s_set_vgpr_msb 1                        ;  msbs: dst=0 src0=1 src1=0 src2=0
	v_pk_mul_f32 v[110:111], v[4:5] /*v[260:261]*/, v[110:111] op_sel_hi:[1,0]
	s_set_vgpr_msb 0                        ;  msbs: dst=0 src0=0 src1=0 src2=0
	v_add_f32_e32 v119, v9, v61
	s_wait_loadcnt 0x3
	v_dual_add_f32 v118, v11, v13 :: v_dual_mov_b32 v120, v177
	v_pk_mul_f32 v[112:113], v[186:187], v[170:171] op_sel:[1,1] op_sel_hi:[0,1]
	v_pk_fma_f32 v[122:123], v[184:185], v[168:169], v[110:111] op_sel_hi:[1,0,1]
	v_pk_fma_f32 v[110:111], v[184:185], v[168:169], v[110:111] neg_lo:[0,0,1] neg_hi:[0,0,1]
	s_set_vgpr_msb 4                        ;  msbs: dst=0 src0=0 src1=1 src2=0
	v_pk_add_f32 v[118:119], v[118:119], v[12:13] /*v[268:269]*/
	s_set_vgpr_msb 1                        ;  msbs: dst=0 src0=1 src1=0 src2=0
	v_pk_mul_f32 v[114:115], v[6:7] /*v[262:263]*/, v[114:115] op_sel_hi:[1,0]
	s_set_vgpr_msb 0                        ;  msbs: dst=0 src0=0 src1=0 src2=0
	v_pk_fma_f32 v[124:125], v[186:187], v[170:171], v[112:113] op_sel_hi:[1,0,1]
	v_mov_b32_e32 v111, v123
	v_pk_fma_f32 v[112:113], v[186:187], v[170:171], v[112:113] neg_lo:[0,0,1] neg_hi:[0,0,1]
	s_set_vgpr_msb 4                        ;  msbs: dst=0 src0=0 src1=1 src2=0
	v_pk_add_f32 v[118:119], v[118:119], v[14:15] /*v[270:271]*/
	s_set_vgpr_msb 0                        ;  msbs: dst=0 src0=0 src1=0 src2=0
	v_pk_mul_f32 v[116:117], v[190:191], v[174:175] op_sel:[1,1] op_sel_hi:[0,1]
	v_mov_b32_e32 v113, v125
	v_pk_fma_f32 v[124:125], v[188:189], v[172:173], v[114:115] op_sel_hi:[1,0,1]
	v_pk_fma_f32 v[114:115], v[188:189], v[172:173], v[114:115] neg_lo:[0,0,1] neg_hi:[0,0,1]
	v_pk_add_f32 v[110:111], v[118:119], v[110:111]
	v_pk_fma_f32 v[118:119], v[190:191], v[174:175], v[116:117] op_sel_hi:[1,0,1]
	s_set_vgpr_msb 1                        ;  msbs: dst=0 src0=1 src1=0 src2=0
	v_pk_mul_f32 v[120:121], v[8:9] /*v[264:265]*/, v[120:121] op_sel_hi:[1,0]
	s_set_vgpr_msb 0                        ;  msbs: dst=0 src0=0 src1=0 src2=0
	v_mov_b32_e32 v115, v125
	v_pk_fma_f32 v[116:117], v[190:191], v[174:175], v[116:117] neg_lo:[0,0,1] neg_hi:[0,0,1]
	v_pk_add_f32 v[110:111], v[110:111], v[112:113]
	s_wait_loadcnt 0x2
	v_pk_mul_f32 v[122:123], v[202:203], v[178:179] op_sel:[1,1] op_sel_hi:[0,1]
	v_dual_mov_b32 v112, v181 :: v_dual_mov_b32 v117, v119
	v_pk_fma_f32 v[118:119], v[192:193], v[176:177], v[120:121] op_sel_hi:[1,0,1]
	v_pk_add_f32 v[110:111], v[110:111], v[114:115]
	v_pk_fma_f32 v[120:121], v[192:193], v[176:177], v[120:121] neg_lo:[0,0,1] neg_hi:[0,0,1]
	v_pk_fma_f32 v[114:115], v[202:203], v[178:179], v[122:123] op_sel_hi:[1,0,1]
	s_set_vgpr_msb 1                        ;  msbs: dst=0 src0=1 src1=0 src2=0
	v_pk_mul_f32 v[112:113], v[10:11] /*v[266:267]*/, v[112:113] op_sel_hi:[1,0]
	s_set_vgpr_msb 0                        ;  msbs: dst=0 src0=0 src1=0 src2=0
	v_mov_b32_e32 v121, v119
	v_pk_add_f32 v[110:111], v[110:111], v[116:117]
	v_pk_fma_f32 v[116:117], v[202:203], v[178:179], v[122:123] neg_lo:[0,0,1] neg_hi:[0,0,1]
	v_mov_b32_e32 v117, v115
	v_pk_fma_f32 v[114:115], v[204:205], v[180:181], v[112:113] op_sel_hi:[1,0,1]
	s_wait_loadcnt_dscnt 0x100
	s_set_vgpr_msb 1                        ;  msbs: dst=0 src0=1 src1=0 src2=0
	v_pk_mul_f32 v[118:119], v[2:3] /*v[258:259]*/, v[254:255] op_sel:[1,1] op_sel_hi:[0,1]
	s_set_vgpr_msb 0                        ;  msbs: dst=0 src0=0 src1=0 src2=0
	v_pk_add_f32 v[110:111], v[110:111], v[120:121]
	v_pk_fma_f32 v[112:113], v[204:205], v[180:181], v[112:113] neg_lo:[0,0,1] neg_hi:[0,0,1]
	v_mov_b32_e32 v113, v115
	s_set_vgpr_msb 1                        ;  msbs: dst=0 src0=1 src1=0 src2=0
	v_pk_fma_f32 v[114:115], v[2:3] /*v[258:259]*/, v[254:255], v[118:119] op_sel_hi:[1,0,1]
	s_set_vgpr_msb 0                        ;  msbs: dst=0 src0=0 src1=0 src2=0
	v_pk_add_f32 v[110:111], v[110:111], v[116:117]
	s_set_vgpr_msb 1                        ;  msbs: dst=0 src0=1 src1=0 src2=0
	v_pk_fma_f32 v[116:117], v[2:3] /*v[258:259]*/, v[254:255], v[118:119] neg_lo:[0,0,1] neg_hi:[0,0,1]
	s_set_vgpr_msb 0                        ;  msbs: dst=0 src0=0 src1=0 src2=0
	v_mov_b32_e32 v117, v115
	v_pk_add_f32 v[110:111], v[110:111], v[112:113]
	s_delay_alu instid0(VALU_DEP_1) | instskip(SKIP_2) | instid1(VALU_DEP_1)
	v_pk_add_f32 v[110:111], v[110:111], v[116:117]
	s_wait_loadcnt 0x0
	s_set_vgpr_msb 1                        ;  msbs: dst=0 src0=1 src1=0 src2=0
	v_pk_add_f32 v[110:111], v[0:1] /*v[256:257]*/, v[110:111] neg_lo:[0,1] neg_hi:[0,1]
	scratch_store_b64 off, v[110:111], off offset:128
	s_wait_xcnt 0x0
	v_cmpx_lt_u32_e32 15, v0
	s_set_vgpr_msb 0                        ;  msbs: dst=0 src0=0 src1=0 src2=0
	s_cbranch_execz .LBB117_307
; %bb.306:
	scratch_load_b64 v[110:111], off, off offset:120
	v_mov_b64_e32 v[112:113], 0
	scratch_store_b64 off, v[112:113], off offset:120
	s_wait_loadcnt 0x0
	ds_store_b64 v1, v[110:111]
.LBB117_307:
	s_wait_xcnt 0x0
	s_or_b32 exec_lo, exec_lo, s0
	s_wait_storecnt_dscnt 0x0
	s_barrier_signal -1
	s_barrier_wait -1
	s_clause 0x14
	scratch_load_b128 v[110:113], off, off offset:128
	scratch_load_b128 v[114:117], off, off offset:144
	;; [unrolled: 1-line block ×19, first 2 shown]
	s_set_vgpr_msb 64                       ;  msbs: dst=1 src0=0 src1=0 src2=0
	scratch_load_b64 v[6:7] /*v[262:263]*/, off, off offset:120
	s_set_vgpr_msb 0                        ;  msbs: dst=0 src0=0 src1=0 src2=0
	ds_load_b128 v[186:189], v7 offset:800
	ds_load_b128 v[190:193], v7 offset:816
	;; [unrolled: 1-line block ×18, first 2 shown]
	s_set_vgpr_msb 64                       ;  msbs: dst=1 src0=0 src1=0 src2=0
	ds_load_b128 v[2:5] /*v[258:261]*/, v7 offset:768
	s_mov_b32 s0, exec_lo
	s_wait_dscnt 0x12
	v_dual_mov_b32 v8 /*v264*/, v189 :: v_dual_mov_b32 v9 /*v265*/, v188
	s_wait_dscnt 0x11
	v_dual_mov_b32 v10 /*v266*/, v193 :: v_dual_mov_b32 v11 /*v267*/, v192
	;; [unrolled: 2-line block ×4, first 2 shown]
	s_wait_loadcnt_dscnt 0x130d
	s_set_vgpr_msb 0                        ;  msbs: dst=0 src0=0 src1=0 src2=0
	v_dual_mul_f32 v7, v206, v111 :: v_dual_mul_f32 v9, v208, v113
	s_wait_loadcnt_dscnt 0x120c
	v_dual_mul_f32 v63, v207, v111 :: v_dual_mul_f32 v69, v213, v117
	v_dual_mul_f32 v11, v210, v115 :: v_dual_mul_f32 v13, v212, v117
	s_delay_alu instid0(VALU_DEP_3)
	v_dual_fmac_f32 v7, v207, v110 :: v_dual_fmac_f32 v9, v209, v112
	v_dual_mul_f32 v65, v209, v113 :: v_dual_mul_f32 v67, v211, v115
	s_wait_loadcnt_dscnt 0x110b
	v_dual_mul_f32 v73, v217, v121 :: v_dual_mul_f32 v71, v215, v119
	v_fma_f32 v63, v206, v110, -v63
	s_wait_loadcnt_dscnt 0x701
	v_mul_f32_e32 v55, v254, v159
	s_wait_loadcnt_dscnt 0x600
	s_set_vgpr_msb 1                        ;  msbs: dst=0 src0=1 src1=0 src2=0
	v_dual_mul_f32 v61, v4 /*v260*/, v165 :: v_dual_add_f32 v7, 0, v7
	s_set_vgpr_msb 0                        ;  msbs: dst=0 src0=0 src1=0 src2=0
	v_dual_mul_f32 v75, v219, v123 :: v_dual_fma_f32 v65, v208, v112, -v65
	v_dual_add_f32 v63, 0, v63 :: v_dual_mul_f32 v77, v221, v125
	v_dual_fmac_f32 v11, v211, v114 :: v_dual_fmac_f32 v13, v213, v116
	v_dual_fma_f32 v67, v210, v114, -v67 :: v_dual_add_f32 v7, v7, v9
	v_dual_mul_f32 v15, v214, v119 :: v_dual_mul_f32 v17, v216, v121
	s_delay_alu instid0(VALU_DEP_4) | instskip(NEXT) | instid1(VALU_DEP_3)
	v_dual_add_f32 v9, v63, v65 :: v_dual_fma_f32 v65, v212, v116, -v69
	v_add_f32_e32 v7, v7, v11
	s_delay_alu instid0(VALU_DEP_3) | instskip(NEXT) | instid1(VALU_DEP_3)
	v_dual_fmac_f32 v15, v215, v118 :: v_dual_mul_f32 v19, v218, v123
	v_dual_mul_f32 v21, v220, v125 :: v_dual_add_f32 v9, v9, v67
	s_delay_alu instid0(VALU_DEP_3) | instskip(SKIP_1) | instid1(VALU_DEP_3)
	v_dual_fma_f32 v67, v214, v118, -v71 :: v_dual_add_f32 v7, v7, v13
	v_dual_fmac_f32 v17, v217, v120 :: v_dual_mul_f32 v13, v227, v131
	v_dual_add_f32 v9, v9, v65 :: v_dual_fma_f32 v65, v216, v120, -v73
	s_delay_alu instid0(VALU_DEP_3) | instskip(SKIP_1) | instid1(VALU_DEP_3)
	v_add_f32_e32 v7, v7, v15
	v_dual_fmac_f32 v19, v219, v122 :: v_dual_mul_f32 v23, v222, v127
	v_dual_mul_f32 v25, v224, v129 :: v_dual_add_f32 v9, v9, v67
	s_delay_alu instid0(VALU_DEP_3) | instskip(SKIP_1) | instid1(VALU_DEP_3)
	v_dual_add_f32 v7, v7, v17 :: v_dual_fmac_f32 v21, v221, v124
	v_dual_mul_f32 v15, v229, v133 :: v_dual_fma_f32 v67, v218, v122, -v75
	v_dual_add_f32 v9, v9, v65 :: v_dual_mul_f32 v17, v231, v135
	s_delay_alu instid0(VALU_DEP_3) | instskip(SKIP_1) | instid1(VALU_DEP_3)
	v_dual_fma_f32 v65, v220, v124, -v77 :: v_dual_add_f32 v7, v7, v19
	v_dual_mul_f32 v63, v223, v127 :: v_dual_mul_f32 v11, v225, v129
	v_dual_add_f32 v9, v9, v67 :: v_dual_fmac_f32 v23, v223, v126
	s_delay_alu instid0(VALU_DEP_3) | instskip(SKIP_1) | instid1(VALU_DEP_4)
	v_dual_add_f32 v7, v7, v21 :: v_dual_fmac_f32 v25, v225, v128
	v_dual_mul_f32 v27, v226, v131 :: v_dual_mul_f32 v29, v228, v133
	v_dual_mul_f32 v19, v233, v137 :: v_dual_fma_f32 v63, v222, v126, -v63
	s_delay_alu instid0(VALU_DEP_4) | instskip(NEXT) | instid1(VALU_DEP_4)
	v_dual_add_f32 v9, v9, v65 :: v_dual_mul_f32 v21, v235, v139
	v_dual_fma_f32 v11, v224, v128, -v11 :: v_dual_add_f32 v7, v7, v23
	s_delay_alu instid0(VALU_DEP_2) | instskip(SKIP_1) | instid1(VALU_DEP_3)
	v_dual_fmac_f32 v27, v227, v130 :: v_dual_add_f32 v9, v9, v63
	v_dual_mul_f32 v31, v230, v135 :: v_dual_mul_f32 v33, v232, v137
	v_add_f32_e32 v7, v7, v25
	v_dual_mul_f32 v23, v237, v141 :: v_dual_fma_f32 v13, v226, v130, -v13
	s_delay_alu instid0(VALU_DEP_4) | instskip(SKIP_1) | instid1(VALU_DEP_4)
	v_add_f32_e32 v9, v9, v11
	v_dual_mul_f32 v11, v239, v143 :: v_dual_fmac_f32 v29, v229, v132
	v_dual_fma_f32 v15, v228, v132, -v15 :: v_dual_add_f32 v7, v7, v27
	s_delay_alu instid0(VALU_DEP_3) | instskip(SKIP_1) | instid1(VALU_DEP_2)
	v_dual_add_f32 v9, v9, v13 :: v_dual_fmac_f32 v31, v231, v134
	v_dual_mul_f32 v35, v234, v139 :: v_dual_mul_f32 v37, v236, v141
	v_dual_add_f32 v7, v7, v29 :: v_dual_add_f32 v9, v9, v15
	v_dual_mul_f32 v13, v241, v145 :: v_dual_fma_f32 v17, v230, v134, -v17
	v_dual_mul_f32 v15, v243, v147 :: v_dual_fmac_f32 v33, v233, v136
	s_delay_alu instid0(VALU_DEP_3) | instskip(NEXT) | instid1(VALU_DEP_3)
	v_dual_fma_f32 v19, v232, v136, -v19 :: v_dual_add_f32 v7, v7, v31
	v_dual_add_f32 v9, v9, v17 :: v_dual_fmac_f32 v35, v235, v138
	v_dual_mul_f32 v39, v238, v143 :: v_dual_mul_f32 v41, v240, v145
	s_delay_alu instid0(VALU_DEP_2) | instskip(SKIP_2) | instid1(VALU_DEP_3)
	v_dual_add_f32 v7, v7, v33 :: v_dual_add_f32 v9, v9, v19
	v_dual_mul_f32 v17, v245, v149 :: v_dual_fma_f32 v21, v234, v138, -v21
	v_dual_mul_f32 v19, v247, v151 :: v_dual_fmac_f32 v37, v237, v140
	v_dual_fma_f32 v23, v236, v140, -v23 :: v_dual_add_f32 v7, v7, v35
	s_delay_alu instid0(VALU_DEP_3) | instskip(SKIP_1) | instid1(VALU_DEP_2)
	v_dual_add_f32 v9, v9, v21 :: v_dual_fmac_f32 v39, v239, v142
	v_dual_mul_f32 v43, v242, v147 :: v_dual_mul_f32 v45, v244, v149
	v_dual_add_f32 v7, v7, v37 :: v_dual_add_f32 v9, v9, v23
	v_dual_mul_f32 v21, v249, v153 :: v_dual_fma_f32 v11, v238, v142, -v11
	v_dual_mul_f32 v23, v251, v155 :: v_dual_fmac_f32 v41, v241, v144
	s_delay_alu instid0(VALU_DEP_3) | instskip(NEXT) | instid1(VALU_DEP_3)
	v_dual_fma_f32 v13, v240, v144, -v13 :: v_dual_add_f32 v7, v7, v39
	v_dual_add_f32 v9, v9, v11 :: v_dual_fmac_f32 v43, v243, v146
	v_dual_mul_f32 v47, v246, v151 :: v_dual_mul_f32 v49, v248, v153
	s_delay_alu instid0(VALU_DEP_3) | instskip(SKIP_1) | instid1(VALU_DEP_4)
	v_dual_add_f32 v7, v7, v41 :: v_dual_fmac_f32 v45, v245, v148
	v_dual_mul_f32 v11, v253, v157 :: v_dual_fma_f32 v15, v242, v146, -v15
	v_dual_add_f32 v9, v9, v13 :: v_dual_mul_f32 v13, v255, v159
	s_delay_alu instid0(VALU_DEP_3) | instskip(NEXT) | instid1(VALU_DEP_2)
	v_dual_fma_f32 v17, v244, v148, -v17 :: v_dual_add_f32 v7, v7, v43
	v_dual_fmac_f32 v47, v247, v150 :: v_dual_add_f32 v9, v9, v15
	v_fma_f32 v19, v246, v150, -v19
	v_dual_mul_f32 v51, v250, v155 :: v_dual_mul_f32 v53, v252, v157
	s_delay_alu instid0(VALU_DEP_4) | instskip(NEXT) | instid1(VALU_DEP_4)
	v_add_f32_e32 v7, v7, v45
	v_dual_add_f32 v9, v9, v17 :: v_dual_fma_f32 v21, v248, v152, -v21
	s_delay_alu instid0(VALU_DEP_3) | instskip(NEXT) | instid1(VALU_DEP_3)
	v_dual_fmac_f32 v49, v249, v152 :: v_dual_fmac_f32 v51, v251, v154
	v_add_f32_e32 v7, v7, v47
	s_delay_alu instid0(VALU_DEP_3) | instskip(SKIP_1) | instid1(VALU_DEP_3)
	v_dual_add_f32 v9, v9, v19 :: v_dual_fma_f32 v23, v250, v154, -v23
	v_dual_fmac_f32 v53, v253, v156 :: v_dual_fma_f32 v11, v252, v156, -v11
	v_add_f32_e32 v7, v7, v49
	s_wait_loadcnt 0x5
	s_delay_alu instid0(VALU_DEP_3)
	v_dual_add_f32 v9, v9, v21 :: v_dual_mul_f32 v21, v195, v167
	s_set_vgpr_msb 1                        ;  msbs: dst=0 src0=1 src1=0 src2=0
	v_dual_mul_f32 v57, v0 /*v256*/, v161 :: v_dual_mul_f32 v59, v2 /*v258*/, v163
	s_set_vgpr_msb 0                        ;  msbs: dst=0 src0=0 src1=0 src2=0
	v_add_f32_e32 v7, v7, v51
	v_dual_add_f32 v9, v9, v23 :: v_dual_fmac_f32 v55, v255, v158
	v_dual_mul_f32 v23, v197, v169 :: v_dual_fma_f32 v13, v254, v158, -v13
	s_delay_alu instid0(VALU_DEP_3)
	v_add_f32_e32 v7, v7, v53
	s_set_vgpr_msb 1                        ;  msbs: dst=0 src0=1 src1=0 src2=0
	v_dual_mul_f32 v15, v1 /*v257*/, v161 :: v_dual_mul_f32 v17, v3 /*v259*/, v163
	v_dual_fmac_f32 v57, v1 /*v257*/, v160 :: v_dual_fmac_f32 v59, v3 /*v259*/, v162
	s_set_vgpr_msb 0                        ;  msbs: dst=0 src0=0 src1=0 src2=0
	v_add_f32_e32 v7, v7, v55
	v_add_f32_e32 v9, v9, v11
	s_set_vgpr_msb 1                        ;  msbs: dst=0 src0=1 src1=0 src2=0
	v_dual_mul_f32 v19, v5 /*v261*/, v165 :: v_dual_fma_f32 v11, v0 /*v256*/, v160, -v15
	v_fmac_f32_e32 v61, v5 /*v261*/, v164
	s_set_vgpr_msb 0                        ;  msbs: dst=0 src0=0 src1=0 src2=0
	v_add_f32_e32 v7, v7, v57
	v_add_f32_e32 v9, v9, v13
	s_wait_loadcnt 0x4
	v_mov_b32_e32 v112, v173
	s_set_vgpr_msb 1                        ;  msbs: dst=0 src0=1 src1=0 src2=0
	v_fma_f32 v13, v2 /*v258*/, v162, -v17
	s_set_vgpr_msb 64                       ;  msbs: dst=1 src0=0 src1=0 src2=0
	v_dual_mul_f32 v17 /*v273*/, v194, v167 :: v_dual_mul_f32 v19 /*v275*/, v196, v169
	s_set_vgpr_msb 0                        ;  msbs: dst=0 src0=0 src1=0 src2=0
	v_add_f32_e32 v7, v7, v59
	v_add_f32_e32 v9, v9, v11
	s_set_vgpr_msb 1                        ;  msbs: dst=0 src0=1 src1=0 src2=0
	v_fma_f32 v11, v4 /*v260*/, v164, -v19
	s_set_vgpr_msb 0                        ;  msbs: dst=0 src0=0 src1=0 src2=0
	v_pk_mul_f32 v[110:111], v[186:187], v[170:171] op_sel:[1,1] op_sel_hi:[0,1]
	s_set_vgpr_msb 64                       ;  msbs: dst=1 src0=0 src1=0 src2=0
	v_dual_fmac_f32 v17 /*v273*/, v195, v166 :: v_dual_fmac_f32 v19 /*v275*/, v197, v168
	s_set_vgpr_msb 0                        ;  msbs: dst=0 src0=0 src1=0 src2=0
	v_add_f32_e32 v119, v7, v61
	v_add_f32_e32 v9, v9, v13
	s_set_vgpr_msb 64                       ;  msbs: dst=1 src0=0 src1=0 src2=0
	v_dual_fma_f32 v16 /*v272*/, v194, v166, -v21 :: v_dual_fma_f32 v18 /*v274*/, v196, v168, -v23
	s_set_vgpr_msb 0                        ;  msbs: dst=0 src0=0 src1=0 src2=0
	v_pk_fma_f32 v[120:121], v[186:187], v[170:171], v[110:111] op_sel_hi:[1,0,1]
	s_set_vgpr_msb 1                        ;  msbs: dst=0 src0=1 src1=0 src2=0
	v_pk_mul_f32 v[112:113], v[8:9] /*v[264:265]*/, v[112:113] op_sel_hi:[1,0]
	s_set_vgpr_msb 0                        ;  msbs: dst=0 src0=0 src1=0 src2=0
	v_add_f32_e32 v118, v9, v11
	v_pk_fma_f32 v[110:111], v[186:187], v[170:171], v[110:111] neg_lo:[0,0,1] neg_hi:[0,0,1]
	s_wait_loadcnt 0x3
	v_pk_mul_f32 v[114:115], v[190:191], v[174:175] op_sel:[1,1] op_sel_hi:[0,1]
	v_dual_mov_b32 v116, v177 :: v_dual_mov_b32 v111, v121
	s_set_vgpr_msb 4                        ;  msbs: dst=0 src0=0 src1=1 src2=0
	v_pk_add_f32 v[118:119], v[118:119], v[16:17] /*v[272:273]*/
	s_set_vgpr_msb 0                        ;  msbs: dst=0 src0=0 src1=0 src2=0
	v_pk_fma_f32 v[120:121], v[188:189], v[172:173], v[112:113] op_sel_hi:[1,0,1]
	v_pk_fma_f32 v[112:113], v[188:189], v[172:173], v[112:113] neg_lo:[0,0,1] neg_hi:[0,0,1]
	v_pk_fma_f32 v[124:125], v[190:191], v[174:175], v[114:115] op_sel_hi:[1,0,1]
	s_set_vgpr_msb 1                        ;  msbs: dst=0 src0=1 src1=0 src2=0
	v_pk_mul_f32 v[116:117], v[10:11] /*v[266:267]*/, v[116:117] op_sel_hi:[1,0]
	s_set_vgpr_msb 4                        ;  msbs: dst=0 src0=0 src1=1 src2=0
	v_pk_add_f32 v[118:119], v[118:119], v[18:19] /*v[274:275]*/
	v_mov_b32_e32 v113, v121
	s_wait_loadcnt 0x2
	s_set_vgpr_msb 0                        ;  msbs: dst=0 src0=0 src1=0 src2=0
	v_pk_mul_f32 v[122:123], v[198:199], v[178:179] op_sel:[1,1] op_sel_hi:[0,1]
	v_pk_fma_f32 v[114:115], v[190:191], v[174:175], v[114:115] neg_lo:[0,0,1] neg_hi:[0,0,1]
	v_pk_fma_f32 v[120:121], v[192:193], v[176:177], v[116:117] op_sel_hi:[1,0,1]
	v_pk_add_f32 v[110:111], v[118:119], v[110:111]
	v_dual_mov_b32 v118, v181 :: v_dual_mov_b32 v115, v125
	v_pk_fma_f32 v[116:117], v[192:193], v[176:177], v[116:117] neg_lo:[0,0,1] neg_hi:[0,0,1]
	s_delay_alu instid0(VALU_DEP_4) | instskip(NEXT) | instid1(VALU_DEP_4)
	v_mov_b32_e32 v117, v121
	v_pk_add_f32 v[110:111], v[110:111], v[112:113]
	v_pk_fma_f32 v[112:113], v[198:199], v[178:179], v[122:123] op_sel_hi:[1,0,1]
	s_set_vgpr_msb 1                        ;  msbs: dst=0 src0=1 src1=0 src2=0
	v_pk_mul_f32 v[118:119], v[12:13] /*v[268:269]*/, v[118:119] op_sel_hi:[1,0]
	s_set_vgpr_msb 0                        ;  msbs: dst=0 src0=0 src1=0 src2=0
	v_pk_fma_f32 v[120:121], v[198:199], v[178:179], v[122:123] neg_lo:[0,0,1] neg_hi:[0,0,1]
	v_pk_add_f32 v[110:111], v[110:111], v[114:115]
	v_mov_b32_e32 v121, v113
	v_pk_fma_f32 v[112:113], v[200:201], v[180:181], v[118:119] op_sel_hi:[1,0,1]
	s_wait_loadcnt 0x1
	v_pk_mul_f32 v[114:115], v[202:203], v[182:183] op_sel:[1,1] op_sel_hi:[0,1]
	v_mov_b32_e32 v112, v185
	v_pk_add_f32 v[110:111], v[110:111], v[116:117]
	v_pk_fma_f32 v[118:119], v[200:201], v[180:181], v[118:119] neg_lo:[0,0,1] neg_hi:[0,0,1]
	s_delay_alu instid0(VALU_DEP_4) | instskip(SKIP_1) | instid1(VALU_DEP_4)
	v_pk_fma_f32 v[116:117], v[202:203], v[182:183], v[114:115] op_sel_hi:[1,0,1]
	v_mov_b32_e32 v119, v113
	v_pk_add_f32 v[110:111], v[110:111], v[120:121]
	s_set_vgpr_msb 1                        ;  msbs: dst=0 src0=1 src1=0 src2=0
	v_pk_mul_f32 v[112:113], v[14:15] /*v[270:271]*/, v[112:113] op_sel_hi:[1,0]
	s_set_vgpr_msb 0                        ;  msbs: dst=0 src0=0 src1=0 src2=0
	v_pk_fma_f32 v[114:115], v[202:203], v[182:183], v[114:115] neg_lo:[0,0,1] neg_hi:[0,0,1]
	v_mov_b32_e32 v115, v117
	v_pk_add_f32 v[110:111], v[110:111], v[118:119]
	v_pk_fma_f32 v[116:117], v[204:205], v[184:185], v[112:113] op_sel_hi:[1,0,1]
	v_pk_fma_f32 v[112:113], v[204:205], v[184:185], v[112:113] neg_lo:[0,0,1] neg_hi:[0,0,1]
	s_delay_alu instid0(VALU_DEP_3) | instskip(NEXT) | instid1(VALU_DEP_3)
	v_pk_add_f32 v[110:111], v[110:111], v[114:115]
	v_mov_b32_e32 v113, v117
	s_delay_alu instid0(VALU_DEP_1) | instskip(SKIP_2) | instid1(VALU_DEP_1)
	v_pk_add_f32 v[110:111], v[110:111], v[112:113]
	s_wait_loadcnt 0x0
	s_set_vgpr_msb 1                        ;  msbs: dst=0 src0=1 src1=0 src2=0
	v_pk_add_f32 v[110:111], v[6:7] /*v[262:263]*/, v[110:111] neg_lo:[0,1] neg_hi:[0,1]
	scratch_store_b64 off, v[110:111], off offset:120
	s_wait_xcnt 0x0
	v_cmpx_lt_u32_e32 14, v0
	s_set_vgpr_msb 0                        ;  msbs: dst=0 src0=0 src1=0 src2=0
	s_cbranch_execz .LBB117_309
; %bb.308:
	scratch_load_b64 v[110:111], off, off offset:112
	v_mov_b64_e32 v[112:113], 0
	scratch_store_b64 off, v[112:113], off offset:112
	s_wait_loadcnt 0x0
	ds_store_b64 v1, v[110:111]
.LBB117_309:
	s_wait_xcnt 0x0
	s_or_b32 exec_lo, exec_lo, s0
	s_wait_storecnt_dscnt 0x0
	s_barrier_signal -1
	s_barrier_wait -1
	s_clause 0xf
	scratch_load_b128 v[114:117], off, off offset:120
	scratch_load_b128 v[122:125], off, off offset:136
	;; [unrolled: 1-line block ×16, first 2 shown]
	v_mov_b32_e32 v7, 0
	s_mov_b32 s0, exec_lo
	ds_load_2addr_b64 v[110:113], v7 offset0:69 offset1:70
	ds_load_2addr_b64 v[118:121], v7 offset0:71 offset1:72
	s_wait_loadcnt_dscnt 0xf01
	v_mul_f32_e32 v9, v110, v115
	ds_load_2addr_b64 v[222:225], v7 offset0:97 offset1:98
	ds_load_2addr_b64 v[230:233], v7 offset0:99 offset1:100
	v_mul_f32_e32 v11, v112, v117
	ds_load_2addr_b64 v[126:129], v7 offset0:73 offset1:74
	ds_load_2addr_b64 v[134:137], v7 offset0:75 offset1:76
	v_fmac_f32_e32 v9, v111, v114
	ds_load_2addr_b64 v[142:145], v7 offset0:77 offset1:78
	ds_load_2addr_b64 v[150:153], v7 offset0:79 offset1:80
	v_fmac_f32_e32 v11, v113, v116
	ds_load_2addr_b64 v[158:161], v7 offset0:81 offset1:82
	ds_load_2addr_b64 v[166:169], v7 offset0:83 offset1:84
	v_add_f32_e32 v9, 0, v9
	ds_load_2addr_b64 v[174:177], v7 offset0:85 offset1:86
	ds_load_2addr_b64 v[182:185], v7 offset0:87 offset1:88
	;; [unrolled: 1-line block ×4, first 2 shown]
	v_add_f32_e32 v9, v9, v11
	s_wait_loadcnt_dscnt 0xe0c
	v_mul_f32_e32 v11, v118, v123
	ds_load_2addr_b64 v[206:209], v7 offset0:93 offset1:94
	ds_load_2addr_b64 v[214:217], v7 offset0:95 offset1:96
	s_wait_loadcnt_dscnt 0xd0d
	v_mul_f32_e32 v253, v224, v229
	s_clause 0x4
	scratch_load_b128 v[238:241], off, off offset:376
	scratch_load_b128 v[242:245], off, off offset:392
	;; [unrolled: 1-line block ×3, first 2 shown]
	s_set_vgpr_msb 64                       ;  msbs: dst=1 src0=0 src1=0 src2=0
	scratch_load_b64 v[0:1] /*v[256:257]*/, off, off offset:424
	s_wait_loadcnt_dscnt 0x100c
	s_set_vgpr_msb 0                        ;  msbs: dst=0 src0=0 src1=0 src2=0
	v_dual_fmac_f32 v11, v119, v122 :: v_dual_mul_f32 v255, v230, v235
	v_fmac_f32_e32 v253, v225, v228
	s_delay_alu instid0(VALU_DEP_2) | instskip(NEXT) | instid1(VALU_DEP_3)
	v_dual_add_f32 v9, v9, v11 :: v_dual_mul_f32 v11, v120, v125
	v_fmac_f32_e32 v255, v231, v234
	s_delay_alu instid0(VALU_DEP_2) | instskip(NEXT) | instid1(VALU_DEP_1)
	v_fmac_f32_e32 v11, v121, v124
	v_add_f32_e32 v9, v9, v11
	s_wait_loadcnt_dscnt 0xf0b
	v_mul_f32_e32 v11, v126, v131
	s_delay_alu instid0(VALU_DEP_1) | instskip(NEXT) | instid1(VALU_DEP_1)
	v_fmac_f32_e32 v11, v127, v130
	v_dual_add_f32 v9, v9, v11 :: v_dual_mul_f32 v11, v128, v133
	s_delay_alu instid0(VALU_DEP_1) | instskip(NEXT) | instid1(VALU_DEP_1)
	v_fmac_f32_e32 v11, v129, v132
	v_add_f32_e32 v9, v9, v11
	s_wait_loadcnt_dscnt 0xe0a
	v_mul_f32_e32 v11, v134, v139
	s_delay_alu instid0(VALU_DEP_1) | instskip(NEXT) | instid1(VALU_DEP_1)
	v_fmac_f32_e32 v11, v135, v138
	v_dual_add_f32 v9, v9, v11 :: v_dual_mul_f32 v11, v136, v141
	s_delay_alu instid0(VALU_DEP_1) | instskip(NEXT) | instid1(VALU_DEP_1)
	;; [unrolled: 8-line block ×12, first 2 shown]
	v_fmac_f32_e32 v11, v217, v220
	v_add_f32_e32 v9, v9, v11
	v_mul_f32_e32 v11, v222, v227
	s_delay_alu instid0(VALU_DEP_1) | instskip(NEXT) | instid1(VALU_DEP_1)
	v_fmac_f32_e32 v11, v223, v226
	v_add_f32_e32 v251, v9, v11
	v_dual_mul_f32 v9, v111, v115 :: v_dual_mul_f32 v11, v113, v117
	s_delay_alu instid0(VALU_DEP_1) | instskip(NEXT) | instid1(VALU_DEP_1)
	v_dual_fma_f32 v9, v110, v114, -v9 :: v_dual_fma_f32 v11, v112, v116, -v11
	v_add_f32_e32 v9, 0, v9
	s_delay_alu instid0(VALU_DEP_1) | instskip(SKIP_1) | instid1(VALU_DEP_1)
	v_add_f32_e32 v9, v9, v11
	v_mul_f32_e32 v11, v119, v123
	v_fma_f32 v11, v118, v122, -v11
	s_delay_alu instid0(VALU_DEP_1) | instskip(SKIP_1) | instid1(VALU_DEP_1)
	v_add_f32_e32 v9, v9, v11
	v_mul_f32_e32 v11, v121, v125
	v_fma_f32 v11, v120, v124, -v11
	ds_load_2addr_b64 v[110:113], v7 offset0:101 offset1:102
	ds_load_2addr_b64 v[114:117], v7 offset0:103 offset1:104
	;; [unrolled: 1-line block ×3, first 2 shown]
	ds_load_b64 v[122:123], v7 offset:856
	v_add_f32_e32 v9, v9, v11
	v_dual_mul_f32 v11, v127, v131 :: v_dual_mov_b32 v127, v232
	s_delay_alu instid0(VALU_DEP_1) | instskip(NEXT) | instid1(VALU_DEP_1)
	v_dual_fma_f32 v11, v126, v130, -v11 :: v_dual_mov_b32 v126, v233
	v_add_f32_e32 v9, v9, v11
	v_mul_f32_e32 v11, v129, v133
	s_delay_alu instid0(VALU_DEP_1) | instskip(NEXT) | instid1(VALU_DEP_1)
	v_dual_fma_f32 v11, v128, v132, -v11 :: v_dual_mov_b32 v128, v237
	v_add_f32_e32 v9, v9, v11
	v_mul_f32_e32 v11, v135, v139
	s_delay_alu instid0(VALU_DEP_3) | instskip(NEXT) | instid1(VALU_DEP_2)
	v_pk_mul_f32 v[126:127], v[126:127], v[128:129] op_sel_hi:[1,0]
	v_fma_f32 v11, v134, v138, -v11
	s_delay_alu instid0(VALU_DEP_2) | instskip(SKIP_1) | instid1(VALU_DEP_3)
	v_pk_fma_f32 v[128:129], v[232:233], v[236:237], v[126:127] neg_lo:[0,0,1] neg_hi:[0,0,1]
	v_pk_fma_f32 v[126:127], v[232:233], v[236:237], v[126:127] op_sel_hi:[1,0,1]
	v_add_f32_e32 v9, v9, v11
	s_delay_alu instid0(VALU_DEP_2) | instskip(SKIP_2) | instid1(VALU_DEP_2)
	v_dual_mul_f32 v11, v137, v141 :: v_dual_mov_b32 v129, v127
	s_wait_loadcnt_dscnt 0x303
	v_pk_mul_f32 v[126:127], v[110:111], v[238:239] op_sel:[1,1] op_sel_hi:[0,1]
	v_fma_f32 v11, v136, v140, -v11
	s_delay_alu instid0(VALU_DEP_1) | instskip(SKIP_1) | instid1(VALU_DEP_1)
	v_add_f32_e32 v9, v9, v11
	v_mul_f32_e32 v11, v143, v147
	v_fma_f32 v11, v142, v146, -v11
	s_delay_alu instid0(VALU_DEP_1) | instskip(SKIP_1) | instid1(VALU_DEP_1)
	v_add_f32_e32 v9, v9, v11
	v_mul_f32_e32 v11, v145, v149
	;; [unrolled: 4-line block ×22, first 2 shown]
	v_dual_fma_f32 v252, v224, v228, -v9 :: v_dual_mul_f32 v9, v231, v235
	s_delay_alu instid0(VALU_DEP_1) | instskip(NEXT) | instid1(VALU_DEP_2)
	v_pk_add_f32 v[124:125], v[250:251], v[252:253]
	v_fma_f32 v254, v230, v234, -v9
	s_delay_alu instid0(VALU_DEP_1) | instskip(NEXT) | instid1(VALU_DEP_1)
	v_pk_add_f32 v[124:125], v[124:125], v[254:255]
	v_pk_add_f32 v[124:125], v[124:125], v[128:129]
	v_pk_fma_f32 v[128:129], v[110:111], v[238:239], v[126:127] neg_lo:[0,0,1] neg_hi:[0,0,1]
	v_pk_fma_f32 v[110:111], v[110:111], v[238:239], v[126:127] op_sel_hi:[1,0,1]
	s_delay_alu instid0(VALU_DEP_1) | instskip(NEXT) | instid1(VALU_DEP_1)
	v_dual_mov_b32 v126, v241 :: v_dual_mov_b32 v129, v111
	v_pk_add_f32 v[110:111], v[124:125], v[128:129]
	v_dual_mov_b32 v124, v113 :: v_dual_mov_b32 v125, v112
	s_delay_alu instid0(VALU_DEP_1) | instskip(NEXT) | instid1(VALU_DEP_1)
	v_pk_mul_f32 v[124:125], v[124:125], v[126:127] op_sel_hi:[1,0]
	v_pk_fma_f32 v[126:127], v[112:113], v[240:241], v[124:125] neg_lo:[0,0,1] neg_hi:[0,0,1]
	v_pk_fma_f32 v[112:113], v[112:113], v[240:241], v[124:125] op_sel_hi:[1,0,1]
	s_delay_alu instid0(VALU_DEP_1) | instskip(SKIP_2) | instid1(VALU_DEP_2)
	v_mov_b32_e32 v127, v113
	s_wait_loadcnt_dscnt 0x202
	v_pk_mul_f32 v[112:113], v[114:115], v[242:243] op_sel:[1,1] op_sel_hi:[0,1]
	v_pk_add_f32 v[110:111], v[110:111], v[126:127]
	s_delay_alu instid0(VALU_DEP_2) | instskip(SKIP_2) | instid1(VALU_DEP_2)
	v_pk_fma_f32 v[124:125], v[114:115], v[242:243], v[112:113] neg_lo:[0,0,1] neg_hi:[0,0,1]
	v_pk_fma_f32 v[112:113], v[114:115], v[242:243], v[112:113] op_sel_hi:[1,0,1]
	v_dual_mov_b32 v112, v117 :: v_dual_mov_b32 v114, v245
	v_dual_mov_b32 v125, v113 :: v_dual_mov_b32 v113, v116
	s_delay_alu instid0(VALU_DEP_1) | instskip(NEXT) | instid1(VALU_DEP_2)
	v_pk_add_f32 v[110:111], v[110:111], v[124:125]
	v_pk_mul_f32 v[112:113], v[112:113], v[114:115] op_sel_hi:[1,0]
	s_delay_alu instid0(VALU_DEP_1) | instskip(SKIP_1) | instid1(VALU_DEP_1)
	v_pk_fma_f32 v[114:115], v[116:117], v[244:245], v[112:113] neg_lo:[0,0,1] neg_hi:[0,0,1]
	v_pk_fma_f32 v[112:113], v[116:117], v[244:245], v[112:113] op_sel_hi:[1,0,1]
	v_mov_b32_e32 v115, v113
	s_wait_loadcnt_dscnt 0x101
	v_pk_mul_f32 v[112:113], v[118:119], v[246:247] op_sel:[1,1] op_sel_hi:[0,1]
	s_delay_alu instid0(VALU_DEP_2) | instskip(NEXT) | instid1(VALU_DEP_2)
	v_pk_add_f32 v[110:111], v[110:111], v[114:115]
	v_pk_fma_f32 v[114:115], v[118:119], v[246:247], v[112:113] neg_lo:[0,0,1] neg_hi:[0,0,1]
	v_pk_fma_f32 v[112:113], v[118:119], v[246:247], v[112:113] op_sel_hi:[1,0,1]
	s_delay_alu instid0(VALU_DEP_1) | instskip(SKIP_1) | instid1(VALU_DEP_2)
	v_dual_mov_b32 v112, v121 :: v_dual_mov_b32 v115, v113
	v_mov_b32_e32 v113, v120
	v_pk_add_f32 v[110:111], v[110:111], v[114:115]
	v_mov_b32_e32 v114, v249
	s_delay_alu instid0(VALU_DEP_1) | instskip(NEXT) | instid1(VALU_DEP_1)
	v_pk_mul_f32 v[112:113], v[112:113], v[114:115] op_sel_hi:[1,0]
	v_pk_fma_f32 v[114:115], v[120:121], v[248:249], v[112:113] neg_lo:[0,0,1] neg_hi:[0,0,1]
	v_pk_fma_f32 v[112:113], v[120:121], v[248:249], v[112:113] op_sel_hi:[1,0,1]
	s_delay_alu instid0(VALU_DEP_1)
	v_mov_b32_e32 v115, v113
	s_wait_loadcnt_dscnt 0x0
	s_set_vgpr_msb 4                        ;  msbs: dst=0 src0=0 src1=1 src2=0
	v_pk_mul_f32 v[112:113], v[122:123], v[0:1] /*v[256:257]*/ op_sel:[1,1] op_sel_hi:[0,1]
	s_set_vgpr_msb 0                        ;  msbs: dst=0 src0=0 src1=0 src2=0
	v_pk_add_f32 v[110:111], v[110:111], v[114:115]
	s_set_vgpr_msb 4                        ;  msbs: dst=0 src0=0 src1=1 src2=0
	s_delay_alu instid0(VALU_DEP_2) | instskip(SKIP_1) | instid1(VALU_DEP_1)
	v_pk_fma_f32 v[114:115], v[122:123], v[0:1] /*v[256:257]*/, v[112:113] neg_lo:[0,0,1] neg_hi:[0,0,1]
	v_pk_fma_f32 v[112:113], v[122:123], v[0:1] /*v[256:257]*/, v[112:113] op_sel_hi:[1,0,1]
	v_mov_b32_e32 v115, v113
	scratch_load_b64 v[112:113], off, off offset:112
	s_set_vgpr_msb 0                        ;  msbs: dst=0 src0=0 src1=0 src2=0
	v_pk_add_f32 v[110:111], v[110:111], v[114:115]
	s_wait_loadcnt 0x0
	s_delay_alu instid0(VALU_DEP_1)
	v_pk_add_f32 v[110:111], v[112:113], v[110:111] neg_lo:[0,1] neg_hi:[0,1]
	scratch_store_b64 off, v[110:111], off offset:112
	s_wait_xcnt 0x0
	v_cmpx_lt_u32_e32 13, v0
	s_cbranch_execz .LBB117_311
; %bb.310:
	scratch_load_b64 v[110:111], off, off offset:104
	v_mov_b64_e32 v[112:113], 0
	scratch_store_b64 off, v[112:113], off offset:104
	s_wait_loadcnt 0x0
	ds_store_b64 v1, v[110:111]
.LBB117_311:
	s_wait_xcnt 0x0
	s_or_b32 exec_lo, exec_lo, s0
	s_wait_storecnt_dscnt 0x0
	s_barrier_signal -1
	s_barrier_wait -1
	ds_load_b128 v[110:113], v7 offset:544
	ds_load_b128 v[114:117], v7 offset:560
	;; [unrolled: 1-line block ×4, first 2 shown]
	s_clause 0xf
	scratch_load_b128 v[126:129], off, off offset:112
	scratch_load_b128 v[130:133], off, off offset:128
	;; [unrolled: 1-line block ×16, first 2 shown]
	ds_load_b128 v[142:145], v7 offset:608
	ds_load_b128 v[150:153], v7 offset:624
	;; [unrolled: 1-line block ×12, first 2 shown]
	s_clause 0x3
	scratch_load_b128 v[238:241], off, off offset:368
	scratch_load_b128 v[242:245], off, off offset:384
	;; [unrolled: 1-line block ×4, first 2 shown]
	s_mov_b32 s0, exec_lo
	s_wait_loadcnt_dscnt 0x130f
	v_dual_mul_f32 v9, v110, v127 :: v_dual_mul_f32 v11, v112, v129
	s_delay_alu instid0(VALU_DEP_1) | instskip(NEXT) | instid1(VALU_DEP_1)
	v_dual_fmac_f32 v9, v111, v126 :: v_dual_fmac_f32 v11, v113, v128
	v_add_f32_e32 v9, 0, v9
	s_delay_alu instid0(VALU_DEP_1)
	v_add_f32_e32 v9, v9, v11
	s_wait_loadcnt_dscnt 0x120e
	v_mul_f32_e32 v11, v114, v131
	s_wait_loadcnt_dscnt 0x408
	s_set_vgpr_msb 64                       ;  msbs: dst=1 src0=0 src1=0 src2=0
	v_dual_mul_f32 v1 /*v257*/, v230, v235 :: v_dual_mul_f32 v3 /*v259*/, v232, v237
	s_set_vgpr_msb 0                        ;  msbs: dst=0 src0=0 src1=0 src2=0
	v_fmac_f32_e32 v11, v115, v130
	s_set_vgpr_msb 64                       ;  msbs: dst=1 src0=0 src1=0 src2=0
	s_delay_alu instid0(VALU_DEP_2) | instskip(SKIP_1) | instid1(VALU_DEP_2)
	v_dual_fmac_f32 v1 /*v257*/, v231, v234 :: v_dual_fmac_f32 v3 /*v259*/, v233, v236
	s_set_vgpr_msb 0                        ;  msbs: dst=0 src0=0 src1=0 src2=0
	v_dual_add_f32 v9, v9, v11 :: v_dual_mul_f32 v11, v116, v133
	s_delay_alu instid0(VALU_DEP_1) | instskip(NEXT) | instid1(VALU_DEP_1)
	v_fmac_f32_e32 v11, v117, v132
	v_add_f32_e32 v9, v9, v11
	v_mul_f32_e32 v11, v118, v135
	s_delay_alu instid0(VALU_DEP_1) | instskip(NEXT) | instid1(VALU_DEP_1)
	v_fmac_f32_e32 v11, v119, v134
	v_dual_add_f32 v9, v9, v11 :: v_dual_mul_f32 v11, v120, v137
	s_delay_alu instid0(VALU_DEP_1) | instskip(NEXT) | instid1(VALU_DEP_1)
	v_fmac_f32_e32 v11, v121, v136
	v_add_f32_e32 v9, v9, v11
	v_mul_f32_e32 v11, v122, v139
	s_delay_alu instid0(VALU_DEP_1) | instskip(NEXT) | instid1(VALU_DEP_1)
	v_fmac_f32_e32 v11, v123, v138
	;; [unrolled: 7-line block ×4, first 2 shown]
	v_dual_add_f32 v9, v9, v11 :: v_dual_mul_f32 v11, v152, v157
	s_delay_alu instid0(VALU_DEP_1) | instskip(NEXT) | instid1(VALU_DEP_1)
	v_fmac_f32_e32 v11, v153, v156
	v_add_f32_e32 v9, v9, v11
	s_wait_dscnt 0x7
	v_mul_f32_e32 v11, v158, v163
	s_delay_alu instid0(VALU_DEP_1) | instskip(NEXT) | instid1(VALU_DEP_1)
	v_fmac_f32_e32 v11, v159, v162
	v_dual_add_f32 v9, v9, v11 :: v_dual_mul_f32 v11, v160, v165
	s_delay_alu instid0(VALU_DEP_1) | instskip(NEXT) | instid1(VALU_DEP_1)
	v_fmac_f32_e32 v11, v161, v164
	v_add_f32_e32 v9, v9, v11
	s_wait_dscnt 0x6
	v_mul_f32_e32 v11, v166, v171
	s_delay_alu instid0(VALU_DEP_1) | instskip(NEXT) | instid1(VALU_DEP_1)
	v_fmac_f32_e32 v11, v167, v170
	;; [unrolled: 8-line block ×8, first 2 shown]
	v_dual_add_f32 v9, v9, v11 :: v_dual_mul_f32 v11, v216, v221
	s_delay_alu instid0(VALU_DEP_1) | instskip(NEXT) | instid1(VALU_DEP_1)
	v_fmac_f32_e32 v11, v217, v220
	v_add_f32_e32 v9, v9, v11
	v_mul_f32_e32 v11, v222, v227
	s_delay_alu instid0(VALU_DEP_1) | instskip(NEXT) | instid1(VALU_DEP_1)
	v_fmac_f32_e32 v11, v223, v226
	v_dual_add_f32 v9, v9, v11 :: v_dual_mul_f32 v11, v224, v229
	s_delay_alu instid0(VALU_DEP_1) | instskip(NEXT) | instid1(VALU_DEP_1)
	v_fmac_f32_e32 v11, v225, v228
	v_add_f32_e32 v255, v9, v11
	v_dual_mul_f32 v9, v111, v127 :: v_dual_mul_f32 v11, v113, v129
	s_delay_alu instid0(VALU_DEP_1) | instskip(NEXT) | instid1(VALU_DEP_1)
	v_dual_fma_f32 v9, v110, v126, -v9 :: v_dual_fma_f32 v11, v112, v128, -v11
	v_add_f32_e32 v9, 0, v9
	s_delay_alu instid0(VALU_DEP_1) | instskip(SKIP_1) | instid1(VALU_DEP_1)
	v_add_f32_e32 v9, v9, v11
	v_mul_f32_e32 v11, v115, v131
	v_fma_f32 v11, v114, v130, -v11
	s_delay_alu instid0(VALU_DEP_1) | instskip(SKIP_1) | instid1(VALU_DEP_1)
	v_add_f32_e32 v9, v9, v11
	v_mul_f32_e32 v11, v117, v133
	v_fma_f32 v11, v116, v132, -v11
	;; [unrolled: 4-line block ×6, first 2 shown]
	ds_load_b128 v[110:113], v7 offset:800
	ds_load_b128 v[114:117], v7 offset:816
	;; [unrolled: 1-line block ×4, first 2 shown]
	v_add_f32_e32 v9, v9, v11
	v_mul_f32_e32 v11, v143, v147
	s_delay_alu instid0(VALU_DEP_1) | instskip(NEXT) | instid1(VALU_DEP_1)
	v_fma_f32 v11, v142, v146, -v11
	v_add_f32_e32 v9, v9, v11
	v_mul_f32_e32 v11, v145, v149
	s_wait_loadcnt_dscnt 0x303
	v_pk_mul_f32 v[128:129], v[110:111], v[238:239] op_sel:[1,1] op_sel_hi:[0,1]
	s_delay_alu instid0(VALU_DEP_2) | instskip(NEXT) | instid1(VALU_DEP_2)
	v_fma_f32 v11, v144, v148, -v11
	v_pk_fma_f32 v[130:131], v[110:111], v[238:239], v[128:129] neg_lo:[0,0,1] neg_hi:[0,0,1]
	v_pk_fma_f32 v[110:111], v[110:111], v[238:239], v[128:129] op_sel_hi:[1,0,1]
	v_mov_b32_e32 v128, v241
	s_delay_alu instid0(VALU_DEP_4) | instskip(SKIP_1) | instid1(VALU_DEP_1)
	v_add_f32_e32 v9, v9, v11
	v_mul_f32_e32 v11, v151, v155
	v_dual_mov_b32 v131, v111 :: v_dual_fma_f32 v11, v150, v154, -v11
	s_delay_alu instid0(VALU_DEP_1) | instskip(SKIP_1) | instid1(VALU_DEP_1)
	v_add_f32_e32 v9, v9, v11
	v_mul_f32_e32 v11, v153, v157
	v_fma_f32 v11, v152, v156, -v11
	s_delay_alu instid0(VALU_DEP_1) | instskip(SKIP_1) | instid1(VALU_DEP_1)
	v_add_f32_e32 v9, v9, v11
	v_mul_f32_e32 v11, v159, v163
	v_fma_f32 v11, v158, v162, -v11
	s_delay_alu instid0(VALU_DEP_1) | instskip(SKIP_1) | instid1(VALU_DEP_1)
	v_add_f32_e32 v9, v9, v11
	v_mul_f32_e32 v11, v161, v165
	v_fma_f32 v11, v160, v164, -v11
	s_delay_alu instid0(VALU_DEP_1) | instskip(SKIP_1) | instid1(VALU_DEP_1)
	v_add_f32_e32 v9, v9, v11
	v_mul_f32_e32 v11, v167, v171
	v_fma_f32 v11, v166, v170, -v11
	s_delay_alu instid0(VALU_DEP_1) | instskip(SKIP_1) | instid1(VALU_DEP_1)
	v_add_f32_e32 v9, v9, v11
	v_mul_f32_e32 v11, v169, v173
	v_fma_f32 v11, v168, v172, -v11
	s_delay_alu instid0(VALU_DEP_1) | instskip(SKIP_1) | instid1(VALU_DEP_1)
	v_add_f32_e32 v9, v9, v11
	v_mul_f32_e32 v11, v175, v179
	v_fma_f32 v11, v174, v178, -v11
	s_delay_alu instid0(VALU_DEP_1) | instskip(SKIP_1) | instid1(VALU_DEP_1)
	v_add_f32_e32 v9, v9, v11
	v_mul_f32_e32 v11, v177, v181
	v_fma_f32 v11, v176, v180, -v11
	s_delay_alu instid0(VALU_DEP_1) | instskip(SKIP_1) | instid1(VALU_DEP_1)
	v_add_f32_e32 v9, v9, v11
	v_mul_f32_e32 v11, v183, v187
	v_fma_f32 v11, v182, v186, -v11
	s_delay_alu instid0(VALU_DEP_1) | instskip(SKIP_1) | instid1(VALU_DEP_1)
	v_add_f32_e32 v9, v9, v11
	v_mul_f32_e32 v11, v185, v189
	v_fma_f32 v11, v184, v188, -v11
	s_delay_alu instid0(VALU_DEP_1) | instskip(SKIP_1) | instid1(VALU_DEP_1)
	v_add_f32_e32 v9, v9, v11
	v_mul_f32_e32 v11, v191, v195
	v_fma_f32 v11, v190, v194, -v11
	s_delay_alu instid0(VALU_DEP_1) | instskip(SKIP_1) | instid1(VALU_DEP_1)
	v_add_f32_e32 v9, v9, v11
	v_mul_f32_e32 v11, v193, v197
	v_fma_f32 v11, v192, v196, -v11
	s_delay_alu instid0(VALU_DEP_1) | instskip(SKIP_1) | instid1(VALU_DEP_1)
	v_add_f32_e32 v9, v9, v11
	v_mul_f32_e32 v11, v199, v203
	v_fma_f32 v11, v198, v202, -v11
	s_delay_alu instid0(VALU_DEP_1) | instskip(SKIP_1) | instid1(VALU_DEP_1)
	v_add_f32_e32 v9, v9, v11
	v_mul_f32_e32 v11, v201, v205
	v_fma_f32 v11, v200, v204, -v11
	s_delay_alu instid0(VALU_DEP_1) | instskip(SKIP_1) | instid1(VALU_DEP_1)
	v_add_f32_e32 v9, v9, v11
	v_mul_f32_e32 v11, v207, v211
	v_fma_f32 v11, v206, v210, -v11
	s_delay_alu instid0(VALU_DEP_1) | instskip(SKIP_1) | instid1(VALU_DEP_1)
	v_add_f32_e32 v9, v9, v11
	v_mul_f32_e32 v11, v209, v213
	v_fma_f32 v11, v208, v212, -v11
	s_delay_alu instid0(VALU_DEP_1) | instskip(SKIP_1) | instid1(VALU_DEP_1)
	v_add_f32_e32 v9, v9, v11
	v_mul_f32_e32 v11, v215, v219
	v_fma_f32 v11, v214, v218, -v11
	s_delay_alu instid0(VALU_DEP_1) | instskip(SKIP_1) | instid1(VALU_DEP_1)
	v_add_f32_e32 v9, v9, v11
	v_mul_f32_e32 v11, v217, v221
	v_fma_f32 v11, v216, v220, -v11
	s_delay_alu instid0(VALU_DEP_1) | instskip(SKIP_1) | instid1(VALU_DEP_1)
	v_add_f32_e32 v9, v9, v11
	v_mul_f32_e32 v11, v223, v227
	v_fma_f32 v11, v222, v226, -v11
	s_delay_alu instid0(VALU_DEP_1) | instskip(SKIP_1) | instid1(VALU_DEP_1)
	v_add_f32_e32 v9, v9, v11
	v_mul_f32_e32 v11, v225, v229
	v_fma_f32 v11, v224, v228, -v11
	s_delay_alu instid0(VALU_DEP_1) | instskip(SKIP_2) | instid1(VALU_DEP_1)
	v_add_f32_e32 v254, v9, v11
	v_mul_f32_e32 v9, v231, v235
	s_set_vgpr_msb 64                       ;  msbs: dst=1 src0=0 src1=0 src2=0
	v_fma_f32 v0 /*v256*/, v230, v234, -v9
	s_set_vgpr_msb 0                        ;  msbs: dst=0 src0=0 src1=0 src2=0
	v_mul_f32_e32 v9, v233, v237
	s_set_vgpr_msb 64                       ;  msbs: dst=1 src0=0 src1=0 src2=0
	s_delay_alu instid0(VALU_DEP_1) | instskip(SKIP_2) | instid1(VALU_DEP_1)
	v_fma_f32 v2 /*v258*/, v232, v236, -v9
	s_set_vgpr_msb 4                        ;  msbs: dst=0 src0=0 src1=1 src2=0
	v_pk_add_f32 v[126:127], v[254:255], v[0:1] /*v[256:257]*/
	v_pk_add_f32 v[126:127], v[126:127], v[2:3] /*v[258:259]*/
	s_set_vgpr_msb 0                        ;  msbs: dst=0 src0=0 src1=0 src2=0
	s_delay_alu instid0(VALU_DEP_1) | instskip(SKIP_1) | instid1(VALU_DEP_1)
	v_pk_add_f32 v[110:111], v[126:127], v[130:131]
	v_dual_mov_b32 v126, v113 :: v_dual_mov_b32 v127, v112
	v_pk_mul_f32 v[126:127], v[126:127], v[128:129] op_sel_hi:[1,0]
	s_delay_alu instid0(VALU_DEP_1) | instskip(SKIP_1) | instid1(VALU_DEP_1)
	v_pk_fma_f32 v[128:129], v[112:113], v[240:241], v[126:127] neg_lo:[0,0,1] neg_hi:[0,0,1]
	v_pk_fma_f32 v[112:113], v[112:113], v[240:241], v[126:127] op_sel_hi:[1,0,1]
	v_mov_b32_e32 v129, v113
	s_wait_loadcnt_dscnt 0x202
	v_pk_mul_f32 v[112:113], v[114:115], v[242:243] op_sel:[1,1] op_sel_hi:[0,1]
	s_delay_alu instid0(VALU_DEP_2) | instskip(NEXT) | instid1(VALU_DEP_2)
	v_pk_add_f32 v[110:111], v[110:111], v[128:129]
	v_pk_fma_f32 v[126:127], v[114:115], v[242:243], v[112:113] neg_lo:[0,0,1] neg_hi:[0,0,1]
	v_pk_fma_f32 v[112:113], v[114:115], v[242:243], v[112:113] op_sel_hi:[1,0,1]
	v_dual_mov_b32 v112, v117 :: v_dual_mov_b32 v114, v245
	s_delay_alu instid0(VALU_DEP_2) | instskip(NEXT) | instid1(VALU_DEP_1)
	v_dual_mov_b32 v127, v113 :: v_dual_mov_b32 v113, v116
	v_pk_add_f32 v[110:111], v[110:111], v[126:127]
	s_delay_alu instid0(VALU_DEP_2) | instskip(NEXT) | instid1(VALU_DEP_1)
	v_pk_mul_f32 v[112:113], v[112:113], v[114:115] op_sel_hi:[1,0]
	v_pk_fma_f32 v[114:115], v[116:117], v[244:245], v[112:113] neg_lo:[0,0,1] neg_hi:[0,0,1]
	v_pk_fma_f32 v[112:113], v[116:117], v[244:245], v[112:113] op_sel_hi:[1,0,1]
	s_delay_alu instid0(VALU_DEP_1) | instskip(SKIP_2) | instid1(VALU_DEP_2)
	v_mov_b32_e32 v115, v113
	s_wait_loadcnt_dscnt 0x101
	v_pk_mul_f32 v[112:113], v[118:119], v[246:247] op_sel:[1,1] op_sel_hi:[0,1]
	v_pk_add_f32 v[110:111], v[110:111], v[114:115]
	s_delay_alu instid0(VALU_DEP_2) | instskip(SKIP_1) | instid1(VALU_DEP_1)
	v_pk_fma_f32 v[114:115], v[118:119], v[246:247], v[112:113] neg_lo:[0,0,1] neg_hi:[0,0,1]
	v_pk_fma_f32 v[112:113], v[118:119], v[246:247], v[112:113] op_sel_hi:[1,0,1]
	v_dual_mov_b32 v112, v121 :: v_dual_mov_b32 v115, v113
	v_mov_b32_e32 v113, v120
	s_delay_alu instid0(VALU_DEP_2) | instskip(SKIP_1) | instid1(VALU_DEP_1)
	v_pk_add_f32 v[110:111], v[110:111], v[114:115]
	v_mov_b32_e32 v114, v249
	v_pk_mul_f32 v[112:113], v[112:113], v[114:115] op_sel_hi:[1,0]
	s_delay_alu instid0(VALU_DEP_1) | instskip(SKIP_1) | instid1(VALU_DEP_1)
	v_pk_fma_f32 v[114:115], v[120:121], v[248:249], v[112:113] neg_lo:[0,0,1] neg_hi:[0,0,1]
	v_pk_fma_f32 v[112:113], v[120:121], v[248:249], v[112:113] op_sel_hi:[1,0,1]
	v_mov_b32_e32 v115, v113
	s_wait_loadcnt_dscnt 0x0
	v_pk_mul_f32 v[112:113], v[122:123], v[250:251] op_sel:[1,1] op_sel_hi:[0,1]
	s_delay_alu instid0(VALU_DEP_2) | instskip(NEXT) | instid1(VALU_DEP_2)
	v_pk_add_f32 v[110:111], v[110:111], v[114:115]
	v_pk_fma_f32 v[114:115], v[122:123], v[250:251], v[112:113] neg_lo:[0,0,1] neg_hi:[0,0,1]
	v_pk_fma_f32 v[112:113], v[122:123], v[250:251], v[112:113] op_sel_hi:[1,0,1]
	s_delay_alu instid0(VALU_DEP_1) | instskip(SKIP_1) | instid1(VALU_DEP_2)
	v_dual_mov_b32 v112, v125 :: v_dual_mov_b32 v115, v113
	v_mov_b32_e32 v113, v124
	v_pk_add_f32 v[110:111], v[110:111], v[114:115]
	v_mov_b32_e32 v114, v253
	s_delay_alu instid0(VALU_DEP_1) | instskip(NEXT) | instid1(VALU_DEP_1)
	v_pk_mul_f32 v[112:113], v[112:113], v[114:115] op_sel_hi:[1,0]
	v_pk_fma_f32 v[114:115], v[124:125], v[252:253], v[112:113] neg_lo:[0,0,1] neg_hi:[0,0,1]
	v_pk_fma_f32 v[112:113], v[124:125], v[252:253], v[112:113] op_sel_hi:[1,0,1]
	s_delay_alu instid0(VALU_DEP_1) | instskip(SKIP_3) | instid1(VALU_DEP_1)
	v_mov_b32_e32 v115, v113
	scratch_load_b64 v[112:113], off, off offset:104
	v_pk_add_f32 v[110:111], v[110:111], v[114:115]
	s_wait_loadcnt 0x0
	v_pk_add_f32 v[110:111], v[112:113], v[110:111] neg_lo:[0,1] neg_hi:[0,1]
	scratch_store_b64 off, v[110:111], off offset:104
	s_wait_xcnt 0x0
	v_cmpx_lt_u32_e32 12, v0
	s_cbranch_execz .LBB117_313
; %bb.312:
	scratch_load_b64 v[110:111], off, off offset:96
	v_mov_b64_e32 v[112:113], 0
	scratch_store_b64 off, v[112:113], off offset:96
	s_wait_loadcnt 0x0
	ds_store_b64 v1, v[110:111]
.LBB117_313:
	s_wait_xcnt 0x0
	s_or_b32 exec_lo, exec_lo, s0
	s_wait_storecnt_dscnt 0x0
	s_barrier_signal -1
	s_barrier_wait -1
	s_clause 0xf
	scratch_load_b128 v[114:117], off, off offset:104
	scratch_load_b128 v[122:125], off, off offset:120
	;; [unrolled: 1-line block ×16, first 2 shown]
	v_mov_b32_e32 v7, 0
	scratch_load_b128 v[242:245], off, off offset:360
	s_mov_b32 s0, exec_lo
	ds_load_2addr_b64 v[110:113], v7 offset0:67 offset1:68
	ds_load_2addr_b64 v[118:121], v7 offset0:69 offset1:70
	s_wait_loadcnt_dscnt 0x1001
	v_dual_mul_f32 v9, v110, v115 :: v_dual_mul_f32 v11, v112, v117
	ds_load_2addr_b64 v[126:129], v7 offset0:71 offset1:72
	ds_load_2addr_b64 v[134:137], v7 offset0:73 offset1:74
	;; [unrolled: 1-line block ×4, first 2 shown]
	v_dual_fmac_f32 v9, v111, v114 :: v_dual_fmac_f32 v11, v113, v116
	ds_load_2addr_b64 v[142:145], v7 offset0:75 offset1:76
	ds_load_2addr_b64 v[150:153], v7 offset0:77 offset1:78
	;; [unrolled: 1-line block ×3, first 2 shown]
	v_add_f32_e32 v9, 0, v9
	ds_load_2addr_b64 v[158:161], v7 offset0:79 offset1:80
	ds_load_2addr_b64 v[166:169], v7 offset0:81 offset1:82
	;; [unrolled: 1-line block ×4, first 2 shown]
	v_add_f32_e32 v9, v9, v11
	s_wait_loadcnt_dscnt 0xf0b
	v_mul_f32_e32 v11, v118, v123
	ds_load_2addr_b64 v[190:193], v7 offset0:87 offset1:88
	ds_load_2addr_b64 v[198:201], v7 offset0:89 offset1:90
	;; [unrolled: 1-line block ×4, first 2 shown]
	v_fmac_f32_e32 v11, v119, v122
	s_clause 0x4
	scratch_load_b128 v[246:249], off, off offset:376
	scratch_load_b128 v[250:253], off, off offset:392
	;; [unrolled: 1-line block ×3, first 2 shown]
	s_set_vgpr_msb 64                       ;  msbs: dst=1 src0=0 src1=0 src2=0
	scratch_load_b64 v[8:9] /*v[264:265]*/, off, off offset:424
	s_wait_loadcnt_dscnt 0x50b
	v_mul_f32_e32 v5 /*v261*/, v232, v237
	s_set_vgpr_msb 0                        ;  msbs: dst=0 src0=0 src1=0 src2=0
	v_dual_add_f32 v9, v9, v11 :: v_dual_mul_f32 v11, v120, v125
	s_wait_loadcnt_dscnt 0x408
	s_set_vgpr_msb 64                       ;  msbs: dst=1 src0=0 src1=0 src2=0
	v_dual_fmac_f32 v5 /*v261*/, v233, v236 :: v_dual_mul_f32 v7 /*v263*/, v238, v243
	s_set_vgpr_msb 0                        ;  msbs: dst=0 src0=0 src1=0 src2=0
	v_fmac_f32_e32 v11, v121, v124
	s_delay_alu instid0(VALU_DEP_1) | instskip(SKIP_1) | instid1(VALU_DEP_1)
	v_add_f32_e32 v9, v9, v11
	v_mul_f32_e32 v11, v126, v131
	v_fmac_f32_e32 v11, v127, v130
	s_delay_alu instid0(VALU_DEP_1) | instskip(NEXT) | instid1(VALU_DEP_1)
	v_dual_add_f32 v9, v9, v11 :: v_dual_mul_f32 v11, v128, v133
	v_fmac_f32_e32 v11, v129, v132
	s_delay_alu instid0(VALU_DEP_1) | instskip(SKIP_1) | instid1(VALU_DEP_1)
	v_add_f32_e32 v9, v9, v11
	v_mul_f32_e32 v11, v134, v139
	v_fmac_f32_e32 v11, v135, v138
	s_delay_alu instid0(VALU_DEP_1) | instskip(NEXT) | instid1(VALU_DEP_1)
	v_dual_add_f32 v9, v9, v11 :: v_dual_mul_f32 v11, v136, v141
	;; [unrolled: 7-line block ×4, first 2 shown]
	v_fmac_f32_e32 v11, v153, v156
	s_delay_alu instid0(VALU_DEP_1) | instskip(SKIP_2) | instid1(VALU_DEP_1)
	v_add_f32_e32 v9, v9, v11
	s_wait_dscnt 0x7
	v_mul_f32_e32 v11, v158, v163
	v_fmac_f32_e32 v11, v159, v162
	s_delay_alu instid0(VALU_DEP_1) | instskip(NEXT) | instid1(VALU_DEP_1)
	v_dual_add_f32 v9, v9, v11 :: v_dual_mul_f32 v11, v160, v165
	v_fmac_f32_e32 v11, v161, v164
	s_delay_alu instid0(VALU_DEP_1) | instskip(SKIP_2) | instid1(VALU_DEP_1)
	v_add_f32_e32 v9, v9, v11
	s_wait_dscnt 0x6
	v_mul_f32_e32 v11, v166, v171
	v_fmac_f32_e32 v11, v167, v170
	s_delay_alu instid0(VALU_DEP_1) | instskip(NEXT) | instid1(VALU_DEP_1)
	v_dual_add_f32 v9, v9, v11 :: v_dual_mul_f32 v11, v168, v173
	;; [unrolled: 8-line block ×8, first 2 shown]
	v_fmac_f32_e32 v11, v217, v220
	s_delay_alu instid0(VALU_DEP_1) | instskip(SKIP_1) | instid1(VALU_DEP_1)
	v_add_f32_e32 v9, v9, v11
	v_mul_f32_e32 v11, v222, v227
	v_fmac_f32_e32 v11, v223, v226
	s_delay_alu instid0(VALU_DEP_1) | instskip(NEXT) | instid1(VALU_DEP_1)
	v_dual_add_f32 v9, v9, v11 :: v_dual_mul_f32 v11, v224, v229
	v_fmac_f32_e32 v11, v225, v228
	s_delay_alu instid0(VALU_DEP_1) | instskip(SKIP_1) | instid1(VALU_DEP_1)
	v_add_f32_e32 v9, v9, v11
	v_mul_f32_e32 v11, v230, v235
	v_fmac_f32_e32 v11, v231, v234
	s_set_vgpr_msb 64                       ;  msbs: dst=1 src0=0 src1=0 src2=0
	s_delay_alu instid0(VALU_DEP_1) | instskip(SKIP_2) | instid1(VALU_DEP_1)
	v_add_f32_e32 v3 /*v259*/, v9, v11
	s_set_vgpr_msb 0                        ;  msbs: dst=0 src0=0 src1=0 src2=0
	v_dual_mul_f32 v9, v111, v115 :: v_dual_mul_f32 v11, v113, v117
	v_dual_fma_f32 v9, v110, v114, -v9 :: v_dual_fma_f32 v11, v112, v116, -v11
	s_delay_alu instid0(VALU_DEP_1) | instskip(NEXT) | instid1(VALU_DEP_1)
	v_add_f32_e32 v9, 0, v9
	v_add_f32_e32 v9, v9, v11
	v_mul_f32_e32 v11, v119, v123
	s_delay_alu instid0(VALU_DEP_1) | instskip(NEXT) | instid1(VALU_DEP_1)
	v_fma_f32 v11, v118, v122, -v11
	v_add_f32_e32 v9, v9, v11
	v_mul_f32_e32 v11, v121, v125
	s_delay_alu instid0(VALU_DEP_1)
	v_fma_f32 v11, v120, v124, -v11
	ds_load_2addr_b64 v[110:113], v7 offset0:101 offset1:102
	ds_load_2addr_b64 v[114:117], v7 offset0:103 offset1:104
	ds_load_2addr_b64 v[118:121], v7 offset0:105 offset1:106
	ds_load_b64 v[122:123], v7 offset:856
	v_add_f32_e32 v9, v9, v11
	v_dual_mul_f32 v11, v127, v131 :: v_dual_mov_b32 v127, v240
	s_delay_alu instid0(VALU_DEP_1) | instskip(NEXT) | instid1(VALU_DEP_1)
	v_dual_fma_f32 v11, v126, v130, -v11 :: v_dual_mov_b32 v126, v241
	v_add_f32_e32 v9, v9, v11
	v_mul_f32_e32 v11, v129, v133
	s_delay_alu instid0(VALU_DEP_1) | instskip(NEXT) | instid1(VALU_DEP_1)
	v_dual_fma_f32 v11, v128, v132, -v11 :: v_dual_mov_b32 v128, v245
	v_add_f32_e32 v9, v9, v11
	v_mul_f32_e32 v11, v135, v139
	s_delay_alu instid0(VALU_DEP_3) | instskip(NEXT) | instid1(VALU_DEP_2)
	v_pk_mul_f32 v[126:127], v[126:127], v[128:129] op_sel_hi:[1,0]
	v_fma_f32 v11, v134, v138, -v11
	s_delay_alu instid0(VALU_DEP_2) | instskip(SKIP_1) | instid1(VALU_DEP_3)
	v_pk_fma_f32 v[128:129], v[240:241], v[244:245], v[126:127] neg_lo:[0,0,1] neg_hi:[0,0,1]
	v_pk_fma_f32 v[126:127], v[240:241], v[244:245], v[126:127] op_sel_hi:[1,0,1]
	v_add_f32_e32 v9, v9, v11
	s_delay_alu instid0(VALU_DEP_2) | instskip(SKIP_2) | instid1(VALU_DEP_2)
	v_dual_mul_f32 v11, v137, v141 :: v_dual_mov_b32 v129, v127
	s_wait_loadcnt_dscnt 0x303
	v_pk_mul_f32 v[126:127], v[110:111], v[246:247] op_sel:[1,1] op_sel_hi:[0,1]
	v_fma_f32 v11, v136, v140, -v11
	s_delay_alu instid0(VALU_DEP_1) | instskip(SKIP_1) | instid1(VALU_DEP_1)
	v_add_f32_e32 v9, v9, v11
	v_mul_f32_e32 v11, v143, v147
	v_fma_f32 v11, v142, v146, -v11
	s_delay_alu instid0(VALU_DEP_1) | instskip(SKIP_1) | instid1(VALU_DEP_1)
	v_add_f32_e32 v9, v9, v11
	v_mul_f32_e32 v11, v145, v149
	v_fma_f32 v11, v144, v148, -v11
	s_delay_alu instid0(VALU_DEP_1) | instskip(SKIP_1) | instid1(VALU_DEP_1)
	v_add_f32_e32 v9, v9, v11
	v_mul_f32_e32 v11, v151, v155
	v_fma_f32 v11, v150, v154, -v11
	s_delay_alu instid0(VALU_DEP_1) | instskip(SKIP_1) | instid1(VALU_DEP_1)
	v_add_f32_e32 v9, v9, v11
	v_mul_f32_e32 v11, v153, v157
	v_fma_f32 v11, v152, v156, -v11
	s_delay_alu instid0(VALU_DEP_1) | instskip(SKIP_1) | instid1(VALU_DEP_1)
	v_add_f32_e32 v9, v9, v11
	v_mul_f32_e32 v11, v159, v163
	v_fma_f32 v11, v158, v162, -v11
	s_delay_alu instid0(VALU_DEP_1) | instskip(SKIP_1) | instid1(VALU_DEP_1)
	v_add_f32_e32 v9, v9, v11
	v_mul_f32_e32 v11, v161, v165
	v_fma_f32 v11, v160, v164, -v11
	s_delay_alu instid0(VALU_DEP_1) | instskip(SKIP_1) | instid1(VALU_DEP_1)
	v_add_f32_e32 v9, v9, v11
	v_mul_f32_e32 v11, v167, v171
	v_fma_f32 v11, v166, v170, -v11
	s_delay_alu instid0(VALU_DEP_1) | instskip(SKIP_1) | instid1(VALU_DEP_1)
	v_add_f32_e32 v9, v9, v11
	v_mul_f32_e32 v11, v169, v173
	v_fma_f32 v11, v168, v172, -v11
	s_delay_alu instid0(VALU_DEP_1) | instskip(SKIP_1) | instid1(VALU_DEP_1)
	v_add_f32_e32 v9, v9, v11
	v_mul_f32_e32 v11, v175, v179
	v_fma_f32 v11, v174, v178, -v11
	s_delay_alu instid0(VALU_DEP_1) | instskip(SKIP_1) | instid1(VALU_DEP_1)
	v_add_f32_e32 v9, v9, v11
	v_mul_f32_e32 v11, v177, v181
	v_fma_f32 v11, v176, v180, -v11
	s_delay_alu instid0(VALU_DEP_1) | instskip(SKIP_1) | instid1(VALU_DEP_1)
	v_add_f32_e32 v9, v9, v11
	v_mul_f32_e32 v11, v183, v187
	v_fma_f32 v11, v182, v186, -v11
	s_delay_alu instid0(VALU_DEP_1) | instskip(SKIP_1) | instid1(VALU_DEP_1)
	v_add_f32_e32 v9, v9, v11
	v_mul_f32_e32 v11, v185, v189
	v_fma_f32 v11, v184, v188, -v11
	s_delay_alu instid0(VALU_DEP_1) | instskip(SKIP_1) | instid1(VALU_DEP_1)
	v_add_f32_e32 v9, v9, v11
	v_mul_f32_e32 v11, v191, v195
	v_fma_f32 v11, v190, v194, -v11
	s_delay_alu instid0(VALU_DEP_1) | instskip(SKIP_1) | instid1(VALU_DEP_1)
	v_add_f32_e32 v9, v9, v11
	v_mul_f32_e32 v11, v193, v197
	v_fma_f32 v11, v192, v196, -v11
	s_delay_alu instid0(VALU_DEP_1) | instskip(SKIP_1) | instid1(VALU_DEP_1)
	v_add_f32_e32 v9, v9, v11
	v_mul_f32_e32 v11, v199, v203
	v_fma_f32 v11, v198, v202, -v11
	s_delay_alu instid0(VALU_DEP_1) | instskip(SKIP_1) | instid1(VALU_DEP_1)
	v_add_f32_e32 v9, v9, v11
	v_mul_f32_e32 v11, v201, v205
	v_fma_f32 v11, v200, v204, -v11
	s_delay_alu instid0(VALU_DEP_1) | instskip(SKIP_1) | instid1(VALU_DEP_1)
	v_add_f32_e32 v9, v9, v11
	v_mul_f32_e32 v11, v207, v211
	v_fma_f32 v11, v206, v210, -v11
	s_delay_alu instid0(VALU_DEP_1) | instskip(SKIP_1) | instid1(VALU_DEP_1)
	v_add_f32_e32 v9, v9, v11
	v_mul_f32_e32 v11, v209, v213
	v_fma_f32 v11, v208, v212, -v11
	s_delay_alu instid0(VALU_DEP_1) | instskip(SKIP_1) | instid1(VALU_DEP_1)
	v_add_f32_e32 v9, v9, v11
	v_mul_f32_e32 v11, v215, v219
	v_fma_f32 v11, v214, v218, -v11
	s_delay_alu instid0(VALU_DEP_1) | instskip(SKIP_1) | instid1(VALU_DEP_1)
	v_add_f32_e32 v9, v9, v11
	v_mul_f32_e32 v11, v217, v221
	v_fma_f32 v11, v216, v220, -v11
	s_delay_alu instid0(VALU_DEP_1) | instskip(SKIP_1) | instid1(VALU_DEP_1)
	v_add_f32_e32 v9, v9, v11
	v_mul_f32_e32 v11, v223, v227
	v_fma_f32 v11, v222, v226, -v11
	s_delay_alu instid0(VALU_DEP_1) | instskip(SKIP_1) | instid1(VALU_DEP_1)
	v_add_f32_e32 v9, v9, v11
	v_mul_f32_e32 v11, v225, v229
	v_fma_f32 v11, v224, v228, -v11
	s_delay_alu instid0(VALU_DEP_1) | instskip(SKIP_1) | instid1(VALU_DEP_1)
	v_add_f32_e32 v9, v9, v11
	v_mul_f32_e32 v11, v231, v235
	v_fma_f32 v11, v230, v234, -v11
	s_set_vgpr_msb 64                       ;  msbs: dst=1 src0=0 src1=0 src2=0
	s_delay_alu instid0(VALU_DEP_1) | instskip(SKIP_3) | instid1(VALU_DEP_1)
	v_dual_fmac_f32 v7 /*v263*/, v239, v242 :: v_dual_add_f32 v2 /*v258*/, v9, v11
	s_set_vgpr_msb 0                        ;  msbs: dst=0 src0=0 src1=0 src2=0
	v_mul_f32_e32 v9, v233, v237
	s_set_vgpr_msb 64                       ;  msbs: dst=1 src0=0 src1=0 src2=0
	v_fma_f32 v4 /*v260*/, v232, v236, -v9
	s_set_vgpr_msb 0                        ;  msbs: dst=0 src0=0 src1=0 src2=0
	v_mul_f32_e32 v9, v239, v243
	s_set_vgpr_msb 64                       ;  msbs: dst=1 src0=0 src1=0 src2=0
	s_delay_alu instid0(VALU_DEP_1) | instskip(SKIP_3) | instid1(VALU_DEP_1)
	v_fma_f32 v6 /*v262*/, v238, v242, -v9
	s_set_vgpr_msb 5                        ;  msbs: dst=0 src0=1 src1=1 src2=0
	v_pk_add_f32 v[124:125], v[2:3] /*v[258:259]*/, v[4:5] /*v[260:261]*/
	s_set_vgpr_msb 4                        ;  msbs: dst=0 src0=0 src1=1 src2=0
	v_pk_add_f32 v[124:125], v[124:125], v[6:7] /*v[262:263]*/
	s_set_vgpr_msb 0                        ;  msbs: dst=0 src0=0 src1=0 src2=0
	s_delay_alu instid0(VALU_DEP_1) | instskip(SKIP_2) | instid1(VALU_DEP_1)
	v_pk_add_f32 v[124:125], v[124:125], v[128:129]
	v_pk_fma_f32 v[128:129], v[110:111], v[246:247], v[126:127] neg_lo:[0,0,1] neg_hi:[0,0,1]
	v_pk_fma_f32 v[110:111], v[110:111], v[246:247], v[126:127] op_sel_hi:[1,0,1]
	v_dual_mov_b32 v126, v249 :: v_dual_mov_b32 v129, v111
	s_delay_alu instid0(VALU_DEP_1) | instskip(SKIP_1) | instid1(VALU_DEP_1)
	v_pk_add_f32 v[110:111], v[124:125], v[128:129]
	v_dual_mov_b32 v124, v113 :: v_dual_mov_b32 v125, v112
	v_pk_mul_f32 v[124:125], v[124:125], v[126:127] op_sel_hi:[1,0]
	s_delay_alu instid0(VALU_DEP_1) | instskip(SKIP_1) | instid1(VALU_DEP_1)
	v_pk_fma_f32 v[126:127], v[112:113], v[248:249], v[124:125] neg_lo:[0,0,1] neg_hi:[0,0,1]
	v_pk_fma_f32 v[112:113], v[112:113], v[248:249], v[124:125] op_sel_hi:[1,0,1]
	v_mov_b32_e32 v127, v113
	s_wait_loadcnt_dscnt 0x202
	v_pk_mul_f32 v[112:113], v[114:115], v[250:251] op_sel:[1,1] op_sel_hi:[0,1]
	s_delay_alu instid0(VALU_DEP_2) | instskip(NEXT) | instid1(VALU_DEP_2)
	v_pk_add_f32 v[110:111], v[110:111], v[126:127]
	v_pk_fma_f32 v[124:125], v[114:115], v[250:251], v[112:113] neg_lo:[0,0,1] neg_hi:[0,0,1]
	v_pk_fma_f32 v[112:113], v[114:115], v[250:251], v[112:113] op_sel_hi:[1,0,1]
	v_dual_mov_b32 v112, v117 :: v_dual_mov_b32 v114, v253
	s_delay_alu instid0(VALU_DEP_2) | instskip(NEXT) | instid1(VALU_DEP_1)
	v_dual_mov_b32 v125, v113 :: v_dual_mov_b32 v113, v116
	v_pk_add_f32 v[110:111], v[110:111], v[124:125]
	s_delay_alu instid0(VALU_DEP_2) | instskip(NEXT) | instid1(VALU_DEP_1)
	v_pk_mul_f32 v[112:113], v[112:113], v[114:115] op_sel_hi:[1,0]
	v_pk_fma_f32 v[114:115], v[116:117], v[252:253], v[112:113] neg_lo:[0,0,1] neg_hi:[0,0,1]
	v_pk_fma_f32 v[112:113], v[116:117], v[252:253], v[112:113] op_sel_hi:[1,0,1]
	s_delay_alu instid0(VALU_DEP_1) | instskip(SKIP_2) | instid1(VALU_DEP_2)
	v_mov_b32_e32 v115, v113
	s_wait_loadcnt_dscnt 0x101
	v_pk_mul_f32 v[112:113], v[118:119], v[254:255] op_sel:[1,1] op_sel_hi:[0,1]
	v_pk_add_f32 v[110:111], v[110:111], v[114:115]
	s_delay_alu instid0(VALU_DEP_2) | instskip(SKIP_1) | instid1(VALU_DEP_1)
	v_pk_fma_f32 v[114:115], v[118:119], v[254:255], v[112:113] neg_lo:[0,0,1] neg_hi:[0,0,1]
	v_pk_fma_f32 v[112:113], v[118:119], v[254:255], v[112:113] op_sel_hi:[1,0,1]
	v_dual_mov_b32 v112, v121 :: v_dual_mov_b32 v115, v113
	v_mov_b32_e32 v113, v120
	s_delay_alu instid0(VALU_DEP_2) | instskip(SKIP_3) | instid1(VALU_DEP_1)
	v_pk_add_f32 v[110:111], v[110:111], v[114:115]
	s_set_vgpr_msb 1                        ;  msbs: dst=0 src0=1 src1=0 src2=0
	v_mov_b32_e32 v114, v1 /*v257*/
	s_set_vgpr_msb 0                        ;  msbs: dst=0 src0=0 src1=0 src2=0
	v_pk_mul_f32 v[112:113], v[112:113], v[114:115] op_sel_hi:[1,0]
	s_set_vgpr_msb 4                        ;  msbs: dst=0 src0=0 src1=1 src2=0
	s_delay_alu instid0(VALU_DEP_1) | instskip(SKIP_1) | instid1(VALU_DEP_1)
	v_pk_fma_f32 v[114:115], v[120:121], v[0:1] /*v[256:257]*/, v[112:113] neg_lo:[0,0,1] neg_hi:[0,0,1]
	v_pk_fma_f32 v[112:113], v[120:121], v[0:1] /*v[256:257]*/, v[112:113] op_sel_hi:[1,0,1]
	v_mov_b32_e32 v115, v113
	s_wait_loadcnt_dscnt 0x0
	v_pk_mul_f32 v[112:113], v[122:123], v[8:9] /*v[264:265]*/ op_sel:[1,1] op_sel_hi:[0,1]
	s_set_vgpr_msb 0                        ;  msbs: dst=0 src0=0 src1=0 src2=0
	s_delay_alu instid0(VALU_DEP_2) | instskip(SKIP_1) | instid1(VALU_DEP_2)
	v_pk_add_f32 v[110:111], v[110:111], v[114:115]
	s_set_vgpr_msb 4                        ;  msbs: dst=0 src0=0 src1=1 src2=0
	v_pk_fma_f32 v[114:115], v[122:123], v[8:9] /*v[264:265]*/, v[112:113] neg_lo:[0,0,1] neg_hi:[0,0,1]
	v_pk_fma_f32 v[112:113], v[122:123], v[8:9] /*v[264:265]*/, v[112:113] op_sel_hi:[1,0,1]
	s_delay_alu instid0(VALU_DEP_1) | instskip(SKIP_4) | instid1(VALU_DEP_1)
	v_mov_b32_e32 v115, v113
	scratch_load_b64 v[112:113], off, off offset:96
	s_set_vgpr_msb 0                        ;  msbs: dst=0 src0=0 src1=0 src2=0
	v_pk_add_f32 v[110:111], v[110:111], v[114:115]
	s_wait_loadcnt 0x0
	v_pk_add_f32 v[110:111], v[112:113], v[110:111] neg_lo:[0,1] neg_hi:[0,1]
	scratch_store_b64 off, v[110:111], off offset:96
	s_wait_xcnt 0x0
	v_cmpx_lt_u32_e32 11, v0
	s_cbranch_execz .LBB117_315
; %bb.314:
	scratch_load_b64 v[110:111], off, off offset:88
	v_mov_b64_e32 v[112:113], 0
	scratch_store_b64 off, v[112:113], off offset:88
	s_wait_loadcnt 0x0
	ds_store_b64 v1, v[110:111]
.LBB117_315:
	s_wait_xcnt 0x0
	s_or_b32 exec_lo, exec_lo, s0
	s_wait_storecnt_dscnt 0x0
	s_barrier_signal -1
	s_barrier_wait -1
	ds_load_b128 v[110:113], v7 offset:528
	ds_load_b128 v[114:117], v7 offset:544
	;; [unrolled: 1-line block ×4, first 2 shown]
	s_clause 0x10
	scratch_load_b128 v[126:129], off, off offset:96
	scratch_load_b128 v[130:133], off, off offset:112
	;; [unrolled: 1-line block ×17, first 2 shown]
	ds_load_b128 v[142:145], v7 offset:592
	ds_load_b128 v[150:153], v7 offset:608
	;; [unrolled: 1-line block ×13, first 2 shown]
	s_clause 0x4
	scratch_load_b128 v[246:249], off, off offset:368
	scratch_load_b128 v[250:253], off, off offset:384
	;; [unrolled: 1-line block ×3, first 2 shown]
	s_set_vgpr_msb 64                       ;  msbs: dst=1 src0=0 src1=0 src2=0
	scratch_load_b128 v[2:5] /*v[258:261]*/, off, off offset:416
	s_mov_b32 s0, exec_lo
	s_wait_loadcnt_dscnt 0x1410
	s_set_vgpr_msb 0                        ;  msbs: dst=0 src0=0 src1=0 src2=0
	v_dual_mul_f32 v9, v110, v127 :: v_dual_mul_f32 v11, v112, v129
	s_delay_alu instid0(VALU_DEP_1) | instskip(NEXT) | instid1(VALU_DEP_1)
	v_dual_fmac_f32 v9, v111, v126 :: v_dual_fmac_f32 v11, v113, v128
	v_add_f32_e32 v9, 0, v9
	s_delay_alu instid0(VALU_DEP_1)
	v_add_f32_e32 v9, v9, v11
	s_wait_loadcnt_dscnt 0x130f
	v_mul_f32_e32 v11, v114, v131
	s_wait_loadcnt_dscnt 0x40a
	s_set_vgpr_msb 64                       ;  msbs: dst=1 src0=0 src1=0 src2=0
	v_dual_mul_f32 v9 /*v265*/, v238, v243 :: v_dual_mul_f32 v11 /*v267*/, v240, v245
	s_set_vgpr_msb 0                        ;  msbs: dst=0 src0=0 src1=0 src2=0
	v_fmac_f32_e32 v11, v115, v130
	s_set_vgpr_msb 64                       ;  msbs: dst=1 src0=0 src1=0 src2=0
	s_delay_alu instid0(VALU_DEP_2) | instskip(SKIP_1) | instid1(VALU_DEP_2)
	v_dual_fmac_f32 v9 /*v265*/, v239, v242 :: v_dual_fmac_f32 v11 /*v267*/, v241, v244
	s_set_vgpr_msb 0                        ;  msbs: dst=0 src0=0 src1=0 src2=0
	v_dual_add_f32 v9, v9, v11 :: v_dual_mul_f32 v11, v116, v133
	s_delay_alu instid0(VALU_DEP_1) | instskip(NEXT) | instid1(VALU_DEP_1)
	v_fmac_f32_e32 v11, v117, v132
	v_add_f32_e32 v9, v9, v11
	v_mul_f32_e32 v11, v118, v135
	s_delay_alu instid0(VALU_DEP_1) | instskip(NEXT) | instid1(VALU_DEP_1)
	v_fmac_f32_e32 v11, v119, v134
	v_dual_add_f32 v9, v9, v11 :: v_dual_mul_f32 v11, v120, v137
	s_delay_alu instid0(VALU_DEP_1) | instskip(NEXT) | instid1(VALU_DEP_1)
	v_fmac_f32_e32 v11, v121, v136
	v_add_f32_e32 v9, v9, v11
	v_mul_f32_e32 v11, v122, v139
	s_delay_alu instid0(VALU_DEP_1) | instskip(NEXT) | instid1(VALU_DEP_1)
	v_fmac_f32_e32 v11, v123, v138
	;; [unrolled: 7-line block ×4, first 2 shown]
	v_dual_add_f32 v9, v9, v11 :: v_dual_mul_f32 v11, v152, v157
	s_delay_alu instid0(VALU_DEP_1) | instskip(NEXT) | instid1(VALU_DEP_1)
	v_fmac_f32_e32 v11, v153, v156
	v_add_f32_e32 v9, v9, v11
	s_wait_dscnt 0x9
	v_mul_f32_e32 v11, v158, v163
	s_delay_alu instid0(VALU_DEP_1) | instskip(NEXT) | instid1(VALU_DEP_1)
	v_fmac_f32_e32 v11, v159, v162
	v_dual_add_f32 v9, v9, v11 :: v_dual_mul_f32 v11, v160, v165
	s_delay_alu instid0(VALU_DEP_1) | instskip(NEXT) | instid1(VALU_DEP_1)
	v_fmac_f32_e32 v11, v161, v164
	v_add_f32_e32 v9, v9, v11
	s_wait_dscnt 0x8
	v_mul_f32_e32 v11, v166, v171
	s_delay_alu instid0(VALU_DEP_1) | instskip(NEXT) | instid1(VALU_DEP_1)
	v_fmac_f32_e32 v11, v167, v170
	;; [unrolled: 8-line block ×10, first 2 shown]
	v_dual_add_f32 v9, v9, v11 :: v_dual_mul_f32 v11, v232, v237
	s_delay_alu instid0(VALU_DEP_1) | instskip(SKIP_1) | instid1(VALU_DEP_1)
	v_fmac_f32_e32 v11, v233, v236
	s_set_vgpr_msb 64                       ;  msbs: dst=1 src0=0 src1=0 src2=0
	v_add_f32_e32 v7 /*v263*/, v9, v11
	s_set_vgpr_msb 0                        ;  msbs: dst=0 src0=0 src1=0 src2=0
	v_dual_mul_f32 v9, v111, v127 :: v_dual_mul_f32 v11, v113, v129
	s_delay_alu instid0(VALU_DEP_1) | instskip(NEXT) | instid1(VALU_DEP_1)
	v_dual_fma_f32 v9, v110, v126, -v9 :: v_dual_fma_f32 v11, v112, v128, -v11
	v_add_f32_e32 v9, 0, v9
	s_delay_alu instid0(VALU_DEP_1) | instskip(SKIP_1) | instid1(VALU_DEP_1)
	v_add_f32_e32 v9, v9, v11
	v_mul_f32_e32 v11, v115, v131
	v_fma_f32 v11, v114, v130, -v11
	s_delay_alu instid0(VALU_DEP_1) | instskip(SKIP_1) | instid1(VALU_DEP_1)
	v_add_f32_e32 v9, v9, v11
	v_mul_f32_e32 v11, v117, v133
	v_fma_f32 v11, v116, v132, -v11
	;; [unrolled: 4-line block ×6, first 2 shown]
	ds_load_b128 v[110:113], v7 offset:800
	ds_load_b128 v[114:117], v7 offset:816
	;; [unrolled: 1-line block ×4, first 2 shown]
	v_add_f32_e32 v9, v9, v11
	v_mul_f32_e32 v11, v143, v147
	s_delay_alu instid0(VALU_DEP_1) | instskip(NEXT) | instid1(VALU_DEP_1)
	v_fma_f32 v11, v142, v146, -v11
	v_add_f32_e32 v9, v9, v11
	v_mul_f32_e32 v11, v145, v149
	s_wait_loadcnt_dscnt 0x303
	v_pk_mul_f32 v[128:129], v[110:111], v[246:247] op_sel:[1,1] op_sel_hi:[0,1]
	s_delay_alu instid0(VALU_DEP_2) | instskip(NEXT) | instid1(VALU_DEP_2)
	v_fma_f32 v11, v144, v148, -v11
	v_pk_fma_f32 v[130:131], v[110:111], v[246:247], v[128:129] neg_lo:[0,0,1] neg_hi:[0,0,1]
	v_pk_fma_f32 v[110:111], v[110:111], v[246:247], v[128:129] op_sel_hi:[1,0,1]
	v_mov_b32_e32 v128, v249
	s_delay_alu instid0(VALU_DEP_4) | instskip(SKIP_1) | instid1(VALU_DEP_1)
	v_add_f32_e32 v9, v9, v11
	v_mul_f32_e32 v11, v151, v155
	v_dual_mov_b32 v131, v111 :: v_dual_fma_f32 v11, v150, v154, -v11
	s_delay_alu instid0(VALU_DEP_1) | instskip(SKIP_1) | instid1(VALU_DEP_1)
	v_add_f32_e32 v9, v9, v11
	v_mul_f32_e32 v11, v153, v157
	v_fma_f32 v11, v152, v156, -v11
	s_delay_alu instid0(VALU_DEP_1) | instskip(SKIP_1) | instid1(VALU_DEP_1)
	v_add_f32_e32 v9, v9, v11
	v_mul_f32_e32 v11, v159, v163
	v_fma_f32 v11, v158, v162, -v11
	;; [unrolled: 4-line block ×21, first 2 shown]
	s_set_vgpr_msb 64                       ;  msbs: dst=1 src0=0 src1=0 src2=0
	s_delay_alu instid0(VALU_DEP_1) | instskip(SKIP_3) | instid1(VALU_DEP_1)
	v_add_f32_e32 v6 /*v262*/, v9, v11
	s_set_vgpr_msb 0                        ;  msbs: dst=0 src0=0 src1=0 src2=0
	v_mul_f32_e32 v9, v239, v243
	s_set_vgpr_msb 64                       ;  msbs: dst=1 src0=0 src1=0 src2=0
	v_fma_f32 v8 /*v264*/, v238, v242, -v9
	s_set_vgpr_msb 0                        ;  msbs: dst=0 src0=0 src1=0 src2=0
	v_mul_f32_e32 v9, v241, v245
	s_set_vgpr_msb 5                        ;  msbs: dst=0 src0=1 src1=1 src2=0
	s_delay_alu instid0(VALU_DEP_2) | instskip(SKIP_1) | instid1(VALU_DEP_2)
	v_pk_add_f32 v[126:127], v[6:7] /*v[262:263]*/, v[8:9] /*v[264:265]*/
	s_set_vgpr_msb 64                       ;  msbs: dst=1 src0=0 src1=0 src2=0
	v_fma_f32 v10 /*v266*/, v240, v244, -v9
	s_set_vgpr_msb 4                        ;  msbs: dst=0 src0=0 src1=1 src2=0
	s_delay_alu instid0(VALU_DEP_1) | instskip(SKIP_1) | instid1(VALU_DEP_1)
	v_pk_add_f32 v[126:127], v[126:127], v[10:11] /*v[266:267]*/
	s_set_vgpr_msb 0                        ;  msbs: dst=0 src0=0 src1=0 src2=0
	v_pk_add_f32 v[110:111], v[126:127], v[130:131]
	v_dual_mov_b32 v126, v113 :: v_dual_mov_b32 v127, v112
	s_delay_alu instid0(VALU_DEP_1) | instskip(NEXT) | instid1(VALU_DEP_1)
	v_pk_mul_f32 v[126:127], v[126:127], v[128:129] op_sel_hi:[1,0]
	v_pk_fma_f32 v[128:129], v[112:113], v[248:249], v[126:127] neg_lo:[0,0,1] neg_hi:[0,0,1]
	v_pk_fma_f32 v[112:113], v[112:113], v[248:249], v[126:127] op_sel_hi:[1,0,1]
	s_delay_alu instid0(VALU_DEP_1) | instskip(SKIP_2) | instid1(VALU_DEP_2)
	v_mov_b32_e32 v129, v113
	s_wait_loadcnt_dscnt 0x202
	v_pk_mul_f32 v[112:113], v[114:115], v[250:251] op_sel:[1,1] op_sel_hi:[0,1]
	v_pk_add_f32 v[110:111], v[110:111], v[128:129]
	s_delay_alu instid0(VALU_DEP_2) | instskip(SKIP_2) | instid1(VALU_DEP_2)
	v_pk_fma_f32 v[126:127], v[114:115], v[250:251], v[112:113] neg_lo:[0,0,1] neg_hi:[0,0,1]
	v_pk_fma_f32 v[112:113], v[114:115], v[250:251], v[112:113] op_sel_hi:[1,0,1]
	v_dual_mov_b32 v112, v117 :: v_dual_mov_b32 v114, v253
	v_dual_mov_b32 v127, v113 :: v_dual_mov_b32 v113, v116
	s_delay_alu instid0(VALU_DEP_1) | instskip(NEXT) | instid1(VALU_DEP_2)
	v_pk_add_f32 v[110:111], v[110:111], v[126:127]
	v_pk_mul_f32 v[112:113], v[112:113], v[114:115] op_sel_hi:[1,0]
	s_delay_alu instid0(VALU_DEP_1) | instskip(SKIP_1) | instid1(VALU_DEP_1)
	v_pk_fma_f32 v[114:115], v[116:117], v[252:253], v[112:113] neg_lo:[0,0,1] neg_hi:[0,0,1]
	v_pk_fma_f32 v[112:113], v[116:117], v[252:253], v[112:113] op_sel_hi:[1,0,1]
	v_mov_b32_e32 v115, v113
	s_wait_loadcnt_dscnt 0x101
	v_pk_mul_f32 v[112:113], v[118:119], v[254:255] op_sel:[1,1] op_sel_hi:[0,1]
	s_delay_alu instid0(VALU_DEP_2) | instskip(NEXT) | instid1(VALU_DEP_2)
	v_pk_add_f32 v[110:111], v[110:111], v[114:115]
	v_pk_fma_f32 v[114:115], v[118:119], v[254:255], v[112:113] neg_lo:[0,0,1] neg_hi:[0,0,1]
	v_pk_fma_f32 v[112:113], v[118:119], v[254:255], v[112:113] op_sel_hi:[1,0,1]
	s_delay_alu instid0(VALU_DEP_1) | instskip(SKIP_1) | instid1(VALU_DEP_2)
	v_dual_mov_b32 v112, v121 :: v_dual_mov_b32 v115, v113
	v_mov_b32_e32 v113, v120
	v_pk_add_f32 v[110:111], v[110:111], v[114:115]
	s_set_vgpr_msb 1                        ;  msbs: dst=0 src0=1 src1=0 src2=0
	v_mov_b32_e32 v114, v1 /*v257*/
	s_set_vgpr_msb 0                        ;  msbs: dst=0 src0=0 src1=0 src2=0
	s_delay_alu instid0(VALU_DEP_1) | instskip(SKIP_1) | instid1(VALU_DEP_1)
	v_pk_mul_f32 v[112:113], v[112:113], v[114:115] op_sel_hi:[1,0]
	s_set_vgpr_msb 4                        ;  msbs: dst=0 src0=0 src1=1 src2=0
	v_pk_fma_f32 v[114:115], v[120:121], v[0:1] /*v[256:257]*/, v[112:113] neg_lo:[0,0,1] neg_hi:[0,0,1]
	v_pk_fma_f32 v[112:113], v[120:121], v[0:1] /*v[256:257]*/, v[112:113] op_sel_hi:[1,0,1]
	s_delay_alu instid0(VALU_DEP_1) | instskip(SKIP_3) | instid1(VALU_DEP_2)
	v_mov_b32_e32 v115, v113
	s_wait_loadcnt_dscnt 0x0
	v_pk_mul_f32 v[112:113], v[122:123], v[2:3] /*v[258:259]*/ op_sel:[1,1] op_sel_hi:[0,1]
	s_set_vgpr_msb 0                        ;  msbs: dst=0 src0=0 src1=0 src2=0
	v_pk_add_f32 v[110:111], v[110:111], v[114:115]
	s_set_vgpr_msb 4                        ;  msbs: dst=0 src0=0 src1=1 src2=0
	s_delay_alu instid0(VALU_DEP_2) | instskip(SKIP_1) | instid1(VALU_DEP_1)
	v_pk_fma_f32 v[114:115], v[122:123], v[2:3] /*v[258:259]*/, v[112:113] neg_lo:[0,0,1] neg_hi:[0,0,1]
	v_pk_fma_f32 v[112:113], v[122:123], v[2:3] /*v[258:259]*/, v[112:113] op_sel_hi:[1,0,1]
	v_dual_mov_b32 v112, v125 :: v_dual_mov_b32 v115, v113
	v_mov_b32_e32 v113, v124
	s_set_vgpr_msb 0                        ;  msbs: dst=0 src0=0 src1=0 src2=0
	s_delay_alu instid0(VALU_DEP_2) | instskip(SKIP_3) | instid1(VALU_DEP_1)
	v_pk_add_f32 v[110:111], v[110:111], v[114:115]
	s_set_vgpr_msb 1                        ;  msbs: dst=0 src0=1 src1=0 src2=0
	v_mov_b32_e32 v114, v5 /*v261*/
	s_set_vgpr_msb 0                        ;  msbs: dst=0 src0=0 src1=0 src2=0
	v_pk_mul_f32 v[112:113], v[112:113], v[114:115] op_sel_hi:[1,0]
	s_set_vgpr_msb 4                        ;  msbs: dst=0 src0=0 src1=1 src2=0
	s_delay_alu instid0(VALU_DEP_1) | instskip(SKIP_1) | instid1(VALU_DEP_1)
	v_pk_fma_f32 v[114:115], v[124:125], v[4:5] /*v[260:261]*/, v[112:113] neg_lo:[0,0,1] neg_hi:[0,0,1]
	v_pk_fma_f32 v[112:113], v[124:125], v[4:5] /*v[260:261]*/, v[112:113] op_sel_hi:[1,0,1]
	v_mov_b32_e32 v115, v113
	scratch_load_b64 v[112:113], off, off offset:88
	s_set_vgpr_msb 0                        ;  msbs: dst=0 src0=0 src1=0 src2=0
	v_pk_add_f32 v[110:111], v[110:111], v[114:115]
	s_wait_loadcnt 0x0
	s_delay_alu instid0(VALU_DEP_1)
	v_pk_add_f32 v[110:111], v[112:113], v[110:111] neg_lo:[0,1] neg_hi:[0,1]
	scratch_store_b64 off, v[110:111], off offset:88
	s_wait_xcnt 0x0
	v_cmpx_lt_u32_e32 10, v0
	s_cbranch_execz .LBB117_317
; %bb.316:
	scratch_load_b64 v[110:111], off, off offset:80
	v_mov_b64_e32 v[112:113], 0
	scratch_store_b64 off, v[112:113], off offset:80
	s_wait_loadcnt 0x0
	ds_store_b64 v1, v[110:111]
.LBB117_317:
	s_wait_xcnt 0x0
	s_or_b32 exec_lo, exec_lo, s0
	s_wait_storecnt_dscnt 0x0
	s_barrier_signal -1
	s_barrier_wait -1
	s_clause 0xf
	scratch_load_b128 v[114:117], off, off offset:88
	scratch_load_b128 v[122:125], off, off offset:104
	;; [unrolled: 1-line block ×16, first 2 shown]
	v_mov_b32_e32 v7, 0
	s_clause 0x1
	scratch_load_b128 v[242:245], off, off offset:344
	scratch_load_b128 v[250:253], off, off offset:360
	s_mov_b32 s0, exec_lo
	ds_load_2addr_b64 v[110:113], v7 offset0:65 offset1:66
	ds_load_2addr_b64 v[118:121], v7 offset0:67 offset1:68
	s_wait_loadcnt_dscnt 0x1101
	v_dual_mul_f32 v9, v110, v115 :: v_dual_mul_f32 v11, v112, v117
	ds_load_2addr_b64 v[126:129], v7 offset0:69 offset1:70
	ds_load_2addr_b64 v[134:137], v7 offset0:71 offset1:72
	;; [unrolled: 1-line block ×4, first 2 shown]
	v_dual_fmac_f32 v9, v111, v114 :: v_dual_fmac_f32 v11, v113, v116
	ds_load_2addr_b64 v[142:145], v7 offset0:73 offset1:74
	ds_load_2addr_b64 v[150:153], v7 offset0:75 offset1:76
	;; [unrolled: 1-line block ×4, first 2 shown]
	v_add_f32_e32 v9, 0, v9
	ds_load_2addr_b64 v[174:177], v7 offset0:81 offset1:82
	ds_load_2addr_b64 v[182:185], v7 offset0:83 offset1:84
	;; [unrolled: 1-line block ×4, first 2 shown]
	v_add_f32_e32 v9, v9, v11
	s_wait_loadcnt_dscnt 0x100c
	v_mul_f32_e32 v11, v118, v123
	ds_load_2addr_b64 v[206:209], v7 offset0:89 offset1:90
	ds_load_2addr_b64 v[214:217], v7 offset0:91 offset1:92
	;; [unrolled: 1-line block ×4, first 2 shown]
	v_fmac_f32_e32 v11, v119, v122
	s_clause 0x4
	scratch_load_b128 v[254:257], off, off offset:376
	s_set_vgpr_msb 64                       ;  msbs: dst=1 src0=0 src1=0 src2=0
	scratch_load_b128 v[2:5] /*v[258:261]*/, off, off offset:392
	scratch_load_b128 v[6:9] /*v[262:265]*/, off, off offset:408
	scratch_load_b64 v[16:17] /*v[272:273]*/, off, off offset:424
	s_wait_loadcnt_dscnt 0x40c
	v_dual_mul_f32 v13 /*v269*/, v240, v245 :: v_dual_mul_f32 v15 /*v271*/, v246, v251
	s_set_vgpr_msb 0                        ;  msbs: dst=0 src0=0 src1=0 src2=0
	v_dual_add_f32 v9, v9, v11 :: v_dual_mul_f32 v11, v120, v125
	s_set_vgpr_msb 64                       ;  msbs: dst=1 src0=0 src1=0 src2=0
	s_delay_alu instid0(VALU_DEP_2) | instskip(SKIP_1) | instid1(VALU_DEP_2)
	v_fmac_f32_e32 v13 /*v269*/, v241, v244
	s_set_vgpr_msb 0                        ;  msbs: dst=0 src0=0 src1=0 src2=0
	v_fmac_f32_e32 v11, v121, v124
	s_delay_alu instid0(VALU_DEP_1) | instskip(SKIP_1) | instid1(VALU_DEP_1)
	v_add_f32_e32 v9, v9, v11
	v_mul_f32_e32 v11, v126, v131
	v_fmac_f32_e32 v11, v127, v130
	s_delay_alu instid0(VALU_DEP_1) | instskip(NEXT) | instid1(VALU_DEP_1)
	v_dual_add_f32 v9, v9, v11 :: v_dual_mul_f32 v11, v128, v133
	v_fmac_f32_e32 v11, v129, v132
	s_delay_alu instid0(VALU_DEP_1) | instskip(SKIP_1) | instid1(VALU_DEP_1)
	v_add_f32_e32 v9, v9, v11
	v_mul_f32_e32 v11, v134, v139
	v_fmac_f32_e32 v11, v135, v138
	s_delay_alu instid0(VALU_DEP_1) | instskip(NEXT) | instid1(VALU_DEP_1)
	v_dual_add_f32 v9, v9, v11 :: v_dual_mul_f32 v11, v136, v141
	v_fmac_f32_e32 v11, v137, v140
	s_delay_alu instid0(VALU_DEP_1) | instskip(SKIP_2) | instid1(VALU_DEP_1)
	v_add_f32_e32 v9, v9, v11
	s_wait_dscnt 0xb
	v_mul_f32_e32 v11, v142, v147
	v_fmac_f32_e32 v11, v143, v146
	s_delay_alu instid0(VALU_DEP_1) | instskip(NEXT) | instid1(VALU_DEP_1)
	v_dual_add_f32 v9, v9, v11 :: v_dual_mul_f32 v11, v144, v149
	v_fmac_f32_e32 v11, v145, v148
	s_delay_alu instid0(VALU_DEP_1) | instskip(SKIP_2) | instid1(VALU_DEP_1)
	v_add_f32_e32 v9, v9, v11
	s_wait_dscnt 0xa
	;; [unrolled: 8-line block ×12, first 2 shown]
	v_mul_f32_e32 v11, v230, v235
	v_fmac_f32_e32 v11, v231, v234
	s_delay_alu instid0(VALU_DEP_1) | instskip(NEXT) | instid1(VALU_DEP_1)
	v_dual_add_f32 v9, v9, v11 :: v_dual_mul_f32 v11, v232, v237
	v_fmac_f32_e32 v11, v233, v236
	s_delay_alu instid0(VALU_DEP_1) | instskip(SKIP_1) | instid1(VALU_DEP_1)
	v_add_f32_e32 v9, v9, v11
	v_mul_f32_e32 v11, v238, v243
	v_fmac_f32_e32 v11, v239, v242
	s_set_vgpr_msb 64                       ;  msbs: dst=1 src0=0 src1=0 src2=0
	s_delay_alu instid0(VALU_DEP_1) | instskip(SKIP_2) | instid1(VALU_DEP_1)
	v_add_f32_e32 v11 /*v267*/, v9, v11
	s_set_vgpr_msb 0                        ;  msbs: dst=0 src0=0 src1=0 src2=0
	v_dual_mul_f32 v9, v111, v115 :: v_dual_mul_f32 v11, v113, v117
	v_dual_fma_f32 v9, v110, v114, -v9 :: v_dual_fma_f32 v11, v112, v116, -v11
	s_delay_alu instid0(VALU_DEP_1) | instskip(NEXT) | instid1(VALU_DEP_1)
	v_add_f32_e32 v9, 0, v9
	v_add_f32_e32 v9, v9, v11
	v_mul_f32_e32 v11, v119, v123
	s_delay_alu instid0(VALU_DEP_1) | instskip(NEXT) | instid1(VALU_DEP_1)
	v_fma_f32 v11, v118, v122, -v11
	v_add_f32_e32 v9, v9, v11
	v_mul_f32_e32 v11, v121, v125
	s_delay_alu instid0(VALU_DEP_1)
	v_fma_f32 v11, v120, v124, -v11
	ds_load_2addr_b64 v[110:113], v7 offset0:101 offset1:102
	ds_load_2addr_b64 v[114:117], v7 offset0:103 offset1:104
	;; [unrolled: 1-line block ×3, first 2 shown]
	ds_load_b64 v[122:123], v7 offset:856
	v_add_f32_e32 v9, v9, v11
	v_dual_mul_f32 v11, v127, v131 :: v_dual_mov_b32 v127, v248
	s_delay_alu instid0(VALU_DEP_1) | instskip(NEXT) | instid1(VALU_DEP_1)
	v_dual_fma_f32 v11, v126, v130, -v11 :: v_dual_mov_b32 v126, v249
	v_add_f32_e32 v9, v9, v11
	v_mul_f32_e32 v11, v129, v133
	s_delay_alu instid0(VALU_DEP_1) | instskip(NEXT) | instid1(VALU_DEP_1)
	v_dual_fma_f32 v11, v128, v132, -v11 :: v_dual_mov_b32 v128, v253
	v_add_f32_e32 v9, v9, v11
	v_mul_f32_e32 v11, v135, v139
	s_delay_alu instid0(VALU_DEP_3) | instskip(NEXT) | instid1(VALU_DEP_2)
	v_pk_mul_f32 v[126:127], v[126:127], v[128:129] op_sel_hi:[1,0]
	v_fma_f32 v11, v134, v138, -v11
	s_delay_alu instid0(VALU_DEP_2) | instskip(SKIP_1) | instid1(VALU_DEP_3)
	v_pk_fma_f32 v[128:129], v[248:249], v[252:253], v[126:127] neg_lo:[0,0,1] neg_hi:[0,0,1]
	v_pk_fma_f32 v[126:127], v[248:249], v[252:253], v[126:127] op_sel_hi:[1,0,1]
	v_add_f32_e32 v9, v9, v11
	s_delay_alu instid0(VALU_DEP_2) | instskip(SKIP_2) | instid1(VALU_DEP_2)
	v_dual_mul_f32 v11, v137, v141 :: v_dual_mov_b32 v129, v127
	s_wait_loadcnt_dscnt 0x303
	v_pk_mul_f32 v[126:127], v[110:111], v[254:255] op_sel:[1,1] op_sel_hi:[0,1]
	v_fma_f32 v11, v136, v140, -v11
	s_delay_alu instid0(VALU_DEP_1) | instskip(SKIP_1) | instid1(VALU_DEP_1)
	v_add_f32_e32 v9, v9, v11
	v_mul_f32_e32 v11, v143, v147
	v_fma_f32 v11, v142, v146, -v11
	s_delay_alu instid0(VALU_DEP_1) | instskip(SKIP_1) | instid1(VALU_DEP_1)
	v_add_f32_e32 v9, v9, v11
	v_mul_f32_e32 v11, v145, v149
	;; [unrolled: 4-line block ×25, first 2 shown]
	v_fma_f32 v11, v238, v242, -v11
	s_set_vgpr_msb 64                       ;  msbs: dst=1 src0=0 src1=0 src2=0
	s_delay_alu instid0(VALU_DEP_1) | instskip(SKIP_3) | instid1(VALU_DEP_1)
	v_dual_fmac_f32 v15 /*v271*/, v247, v250 :: v_dual_add_f32 v10 /*v266*/, v9, v11
	s_set_vgpr_msb 0                        ;  msbs: dst=0 src0=0 src1=0 src2=0
	v_mul_f32_e32 v9, v241, v245
	s_set_vgpr_msb 64                       ;  msbs: dst=1 src0=0 src1=0 src2=0
	v_fma_f32 v12 /*v268*/, v240, v244, -v9
	s_set_vgpr_msb 0                        ;  msbs: dst=0 src0=0 src1=0 src2=0
	v_mul_f32_e32 v9, v247, v251
	s_set_vgpr_msb 64                       ;  msbs: dst=1 src0=0 src1=0 src2=0
	s_delay_alu instid0(VALU_DEP_1) | instskip(SKIP_3) | instid1(VALU_DEP_1)
	v_fma_f32 v14 /*v270*/, v246, v250, -v9
	s_set_vgpr_msb 5                        ;  msbs: dst=0 src0=1 src1=1 src2=0
	v_pk_add_f32 v[124:125], v[10:11] /*v[266:267]*/, v[12:13] /*v[268:269]*/
	s_set_vgpr_msb 4                        ;  msbs: dst=0 src0=0 src1=1 src2=0
	v_pk_add_f32 v[124:125], v[124:125], v[14:15] /*v[270:271]*/
	s_set_vgpr_msb 0                        ;  msbs: dst=0 src0=0 src1=0 src2=0
	s_delay_alu instid0(VALU_DEP_1)
	v_pk_add_f32 v[124:125], v[124:125], v[128:129]
	v_pk_fma_f32 v[128:129], v[110:111], v[254:255], v[126:127] neg_lo:[0,0,1] neg_hi:[0,0,1]
	v_pk_fma_f32 v[110:111], v[110:111], v[254:255], v[126:127] op_sel_hi:[1,0,1]
	s_set_vgpr_msb 1                        ;  msbs: dst=0 src0=1 src1=0 src2=0
	v_mov_b32_e32 v126, v1 /*v257*/
	s_set_vgpr_msb 0                        ;  msbs: dst=0 src0=0 src1=0 src2=0
	s_delay_alu instid0(VALU_DEP_2) | instskip(NEXT) | instid1(VALU_DEP_1)
	v_mov_b32_e32 v129, v111
	v_pk_add_f32 v[110:111], v[124:125], v[128:129]
	v_dual_mov_b32 v124, v113 :: v_dual_mov_b32 v125, v112
	s_delay_alu instid0(VALU_DEP_1) | instskip(SKIP_1) | instid1(VALU_DEP_1)
	v_pk_mul_f32 v[124:125], v[124:125], v[126:127] op_sel_hi:[1,0]
	s_set_vgpr_msb 4                        ;  msbs: dst=0 src0=0 src1=1 src2=0
	v_pk_fma_f32 v[126:127], v[112:113], v[0:1] /*v[256:257]*/, v[124:125] neg_lo:[0,0,1] neg_hi:[0,0,1]
	v_pk_fma_f32 v[112:113], v[112:113], v[0:1] /*v[256:257]*/, v[124:125] op_sel_hi:[1,0,1]
	s_delay_alu instid0(VALU_DEP_1) | instskip(SKIP_3) | instid1(VALU_DEP_2)
	v_mov_b32_e32 v127, v113
	s_wait_loadcnt_dscnt 0x202
	v_pk_mul_f32 v[112:113], v[114:115], v[2:3] /*v[258:259]*/ op_sel:[1,1] op_sel_hi:[0,1]
	s_set_vgpr_msb 0                        ;  msbs: dst=0 src0=0 src1=0 src2=0
	v_pk_add_f32 v[110:111], v[110:111], v[126:127]
	s_set_vgpr_msb 4                        ;  msbs: dst=0 src0=0 src1=1 src2=0
	s_delay_alu instid0(VALU_DEP_2)
	v_pk_fma_f32 v[124:125], v[114:115], v[2:3] /*v[258:259]*/, v[112:113] neg_lo:[0,0,1] neg_hi:[0,0,1]
	v_pk_fma_f32 v[112:113], v[114:115], v[2:3] /*v[258:259]*/, v[112:113] op_sel_hi:[1,0,1]
	v_mov_b32_e32 v112, v117
	s_set_vgpr_msb 1                        ;  msbs: dst=0 src0=1 src1=0 src2=0
	v_mov_b32_e32 v114, v5 /*v261*/
	s_set_vgpr_msb 0                        ;  msbs: dst=0 src0=0 src1=0 src2=0
	v_dual_mov_b32 v125, v113 :: v_dual_mov_b32 v113, v116
	s_delay_alu instid0(VALU_DEP_1) | instskip(NEXT) | instid1(VALU_DEP_2)
	v_pk_add_f32 v[110:111], v[110:111], v[124:125]
	v_pk_mul_f32 v[112:113], v[112:113], v[114:115] op_sel_hi:[1,0]
	s_set_vgpr_msb 4                        ;  msbs: dst=0 src0=0 src1=1 src2=0
	s_delay_alu instid0(VALU_DEP_1) | instskip(SKIP_1) | instid1(VALU_DEP_1)
	v_pk_fma_f32 v[114:115], v[116:117], v[4:5] /*v[260:261]*/, v[112:113] neg_lo:[0,0,1] neg_hi:[0,0,1]
	v_pk_fma_f32 v[112:113], v[116:117], v[4:5] /*v[260:261]*/, v[112:113] op_sel_hi:[1,0,1]
	v_mov_b32_e32 v115, v113
	s_wait_loadcnt_dscnt 0x101
	v_pk_mul_f32 v[112:113], v[118:119], v[6:7] /*v[262:263]*/ op_sel:[1,1] op_sel_hi:[0,1]
	s_set_vgpr_msb 0                        ;  msbs: dst=0 src0=0 src1=0 src2=0
	s_delay_alu instid0(VALU_DEP_2) | instskip(SKIP_1) | instid1(VALU_DEP_2)
	v_pk_add_f32 v[110:111], v[110:111], v[114:115]
	s_set_vgpr_msb 4                        ;  msbs: dst=0 src0=0 src1=1 src2=0
	v_pk_fma_f32 v[114:115], v[118:119], v[6:7] /*v[262:263]*/, v[112:113] neg_lo:[0,0,1] neg_hi:[0,0,1]
	v_pk_fma_f32 v[112:113], v[118:119], v[6:7] /*v[262:263]*/, v[112:113] op_sel_hi:[1,0,1]
	s_delay_alu instid0(VALU_DEP_1) | instskip(SKIP_2) | instid1(VALU_DEP_2)
	v_dual_mov_b32 v112, v121 :: v_dual_mov_b32 v115, v113
	v_mov_b32_e32 v113, v120
	s_set_vgpr_msb 0                        ;  msbs: dst=0 src0=0 src1=0 src2=0
	v_pk_add_f32 v[110:111], v[110:111], v[114:115]
	s_set_vgpr_msb 1                        ;  msbs: dst=0 src0=1 src1=0 src2=0
	v_mov_b32_e32 v114, v9 /*v265*/
	s_set_vgpr_msb 0                        ;  msbs: dst=0 src0=0 src1=0 src2=0
	s_delay_alu instid0(VALU_DEP_1) | instskip(SKIP_1) | instid1(VALU_DEP_1)
	v_pk_mul_f32 v[112:113], v[112:113], v[114:115] op_sel_hi:[1,0]
	s_set_vgpr_msb 4                        ;  msbs: dst=0 src0=0 src1=1 src2=0
	v_pk_fma_f32 v[114:115], v[120:121], v[8:9] /*v[264:265]*/, v[112:113] neg_lo:[0,0,1] neg_hi:[0,0,1]
	v_pk_fma_f32 v[112:113], v[120:121], v[8:9] /*v[264:265]*/, v[112:113] op_sel_hi:[1,0,1]
	s_delay_alu instid0(VALU_DEP_1) | instskip(SKIP_3) | instid1(VALU_DEP_2)
	v_mov_b32_e32 v115, v113
	s_wait_loadcnt_dscnt 0x0
	v_pk_mul_f32 v[112:113], v[122:123], v[16:17] /*v[272:273]*/ op_sel:[1,1] op_sel_hi:[0,1]
	s_set_vgpr_msb 0                        ;  msbs: dst=0 src0=0 src1=0 src2=0
	v_pk_add_f32 v[110:111], v[110:111], v[114:115]
	s_set_vgpr_msb 4                        ;  msbs: dst=0 src0=0 src1=1 src2=0
	s_delay_alu instid0(VALU_DEP_2) | instskip(SKIP_1) | instid1(VALU_DEP_1)
	v_pk_fma_f32 v[114:115], v[122:123], v[16:17] /*v[272:273]*/, v[112:113] neg_lo:[0,0,1] neg_hi:[0,0,1]
	v_pk_fma_f32 v[112:113], v[122:123], v[16:17] /*v[272:273]*/, v[112:113] op_sel_hi:[1,0,1]
	v_mov_b32_e32 v115, v113
	scratch_load_b64 v[112:113], off, off offset:80
	s_set_vgpr_msb 0                        ;  msbs: dst=0 src0=0 src1=0 src2=0
	v_pk_add_f32 v[110:111], v[110:111], v[114:115]
	s_wait_loadcnt 0x0
	s_delay_alu instid0(VALU_DEP_1)
	v_pk_add_f32 v[110:111], v[112:113], v[110:111] neg_lo:[0,1] neg_hi:[0,1]
	scratch_store_b64 off, v[110:111], off offset:80
	s_wait_xcnt 0x0
	v_cmpx_lt_u32_e32 9, v0
	s_cbranch_execz .LBB117_319
; %bb.318:
	scratch_load_b64 v[110:111], off, off offset:72
	v_mov_b64_e32 v[112:113], 0
	scratch_store_b64 off, v[112:113], off offset:72
	s_wait_loadcnt 0x0
	ds_store_b64 v1, v[110:111]
.LBB117_319:
	s_wait_xcnt 0x0
	s_or_b32 exec_lo, exec_lo, s0
	s_wait_storecnt_dscnt 0x0
	s_barrier_signal -1
	s_barrier_wait -1
	ds_load_b128 v[110:113], v7 offset:512
	ds_load_b128 v[114:117], v7 offset:528
	ds_load_b128 v[118:121], v7 offset:544
	ds_load_b128 v[122:125], v7 offset:560
	s_clause 0x11
	scratch_load_b128 v[126:129], off, off offset:80
	scratch_load_b128 v[130:133], off, off offset:96
	;; [unrolled: 1-line block ×18, first 2 shown]
	ds_load_b128 v[142:145], v7 offset:576
	ds_load_b128 v[150:153], v7 offset:592
	;; [unrolled: 1-line block ×14, first 2 shown]
	s_clause 0x4
	scratch_load_b128 v[254:257], off, off offset:368
	s_set_vgpr_msb 64                       ;  msbs: dst=1 src0=0 src1=0 src2=0
	scratch_load_b128 v[2:5] /*v[258:261]*/, off, off offset:384
	scratch_load_b128 v[6:9] /*v[262:265]*/, off, off offset:400
	;; [unrolled: 1-line block ×3, first 2 shown]
	s_mov_b32 s0, exec_lo
	s_wait_loadcnt_dscnt 0x1511
	s_set_vgpr_msb 0                        ;  msbs: dst=0 src0=0 src1=0 src2=0
	v_dual_mul_f32 v9, v110, v127 :: v_dual_mul_f32 v11, v112, v129
	s_delay_alu instid0(VALU_DEP_1) | instskip(NEXT) | instid1(VALU_DEP_1)
	v_dual_fmac_f32 v9, v111, v126 :: v_dual_fmac_f32 v11, v113, v128
	v_add_f32_e32 v9, 0, v9
	s_delay_alu instid0(VALU_DEP_1)
	v_add_f32_e32 v9, v9, v11
	s_wait_loadcnt_dscnt 0x1410
	v_mul_f32_e32 v11, v114, v131
	s_wait_loadcnt_dscnt 0x40a
	s_set_vgpr_msb 64                       ;  msbs: dst=1 src0=0 src1=0 src2=0
	v_dual_mul_f32 v17 /*v273*/, v246, v251 :: v_dual_mul_f32 v19 /*v275*/, v248, v253
	s_set_vgpr_msb 0                        ;  msbs: dst=0 src0=0 src1=0 src2=0
	v_fmac_f32_e32 v11, v115, v130
	s_set_vgpr_msb 64                       ;  msbs: dst=1 src0=0 src1=0 src2=0
	s_delay_alu instid0(VALU_DEP_2) | instskip(SKIP_1) | instid1(VALU_DEP_2)
	v_dual_fmac_f32 v17 /*v273*/, v247, v250 :: v_dual_fmac_f32 v19 /*v275*/, v249, v252
	s_set_vgpr_msb 0                        ;  msbs: dst=0 src0=0 src1=0 src2=0
	v_dual_add_f32 v9, v9, v11 :: v_dual_mul_f32 v11, v116, v133
	s_delay_alu instid0(VALU_DEP_1) | instskip(NEXT) | instid1(VALU_DEP_1)
	v_fmac_f32_e32 v11, v117, v132
	v_add_f32_e32 v9, v9, v11
	v_mul_f32_e32 v11, v118, v135
	s_delay_alu instid0(VALU_DEP_1) | instskip(NEXT) | instid1(VALU_DEP_1)
	v_fmac_f32_e32 v11, v119, v134
	v_dual_add_f32 v9, v9, v11 :: v_dual_mul_f32 v11, v120, v137
	s_delay_alu instid0(VALU_DEP_1) | instskip(NEXT) | instid1(VALU_DEP_1)
	v_fmac_f32_e32 v11, v121, v136
	v_add_f32_e32 v9, v9, v11
	v_mul_f32_e32 v11, v122, v139
	s_delay_alu instid0(VALU_DEP_1) | instskip(NEXT) | instid1(VALU_DEP_1)
	v_fmac_f32_e32 v11, v123, v138
	;; [unrolled: 7-line block ×4, first 2 shown]
	v_dual_add_f32 v9, v9, v11 :: v_dual_mul_f32 v11, v152, v157
	s_delay_alu instid0(VALU_DEP_1) | instskip(NEXT) | instid1(VALU_DEP_1)
	v_fmac_f32_e32 v11, v153, v156
	v_add_f32_e32 v9, v9, v11
	s_wait_dscnt 0x9
	v_mul_f32_e32 v11, v158, v163
	s_delay_alu instid0(VALU_DEP_1) | instskip(NEXT) | instid1(VALU_DEP_1)
	v_fmac_f32_e32 v11, v159, v162
	v_dual_add_f32 v9, v9, v11 :: v_dual_mul_f32 v11, v160, v165
	s_delay_alu instid0(VALU_DEP_1) | instskip(NEXT) | instid1(VALU_DEP_1)
	v_fmac_f32_e32 v11, v161, v164
	v_add_f32_e32 v9, v9, v11
	s_wait_dscnt 0x8
	v_mul_f32_e32 v11, v166, v171
	s_delay_alu instid0(VALU_DEP_1) | instskip(NEXT) | instid1(VALU_DEP_1)
	v_fmac_f32_e32 v11, v167, v170
	;; [unrolled: 8-line block ×10, first 2 shown]
	v_dual_add_f32 v9, v9, v11 :: v_dual_mul_f32 v11, v232, v237
	s_delay_alu instid0(VALU_DEP_1) | instskip(NEXT) | instid1(VALU_DEP_1)
	v_fmac_f32_e32 v11, v233, v236
	v_add_f32_e32 v9, v9, v11
	v_mul_f32_e32 v11, v238, v243
	s_delay_alu instid0(VALU_DEP_1) | instskip(NEXT) | instid1(VALU_DEP_1)
	v_fmac_f32_e32 v11, v239, v242
	v_dual_add_f32 v9, v9, v11 :: v_dual_mul_f32 v11, v240, v245
	s_delay_alu instid0(VALU_DEP_1) | instskip(SKIP_1) | instid1(VALU_DEP_1)
	v_fmac_f32_e32 v11, v241, v244
	s_set_vgpr_msb 64                       ;  msbs: dst=1 src0=0 src1=0 src2=0
	v_add_f32_e32 v15 /*v271*/, v9, v11
	s_set_vgpr_msb 0                        ;  msbs: dst=0 src0=0 src1=0 src2=0
	v_dual_mul_f32 v9, v111, v127 :: v_dual_mul_f32 v11, v113, v129
	s_delay_alu instid0(VALU_DEP_1) | instskip(NEXT) | instid1(VALU_DEP_1)
	v_dual_fma_f32 v9, v110, v126, -v9 :: v_dual_fma_f32 v11, v112, v128, -v11
	v_add_f32_e32 v9, 0, v9
	s_delay_alu instid0(VALU_DEP_1) | instskip(SKIP_1) | instid1(VALU_DEP_1)
	v_add_f32_e32 v9, v9, v11
	v_mul_f32_e32 v11, v115, v131
	v_fma_f32 v11, v114, v130, -v11
	s_delay_alu instid0(VALU_DEP_1) | instskip(SKIP_1) | instid1(VALU_DEP_1)
	v_add_f32_e32 v9, v9, v11
	v_mul_f32_e32 v11, v117, v133
	v_fma_f32 v11, v116, v132, -v11
	;; [unrolled: 4-line block ×6, first 2 shown]
	ds_load_b128 v[110:113], v7 offset:800
	ds_load_b128 v[114:117], v7 offset:816
	;; [unrolled: 1-line block ×4, first 2 shown]
	v_add_f32_e32 v9, v9, v11
	v_mul_f32_e32 v11, v143, v147
	s_delay_alu instid0(VALU_DEP_1) | instskip(NEXT) | instid1(VALU_DEP_1)
	v_fma_f32 v11, v142, v146, -v11
	v_add_f32_e32 v9, v9, v11
	v_mul_f32_e32 v11, v145, v149
	s_wait_loadcnt_dscnt 0x303
	v_pk_mul_f32 v[128:129], v[110:111], v[254:255] op_sel:[1,1] op_sel_hi:[0,1]
	s_delay_alu instid0(VALU_DEP_2) | instskip(NEXT) | instid1(VALU_DEP_2)
	v_fma_f32 v11, v144, v148, -v11
	v_pk_fma_f32 v[130:131], v[110:111], v[254:255], v[128:129] neg_lo:[0,0,1] neg_hi:[0,0,1]
	v_pk_fma_f32 v[110:111], v[110:111], v[254:255], v[128:129] op_sel_hi:[1,0,1]
	s_set_vgpr_msb 1                        ;  msbs: dst=0 src0=1 src1=0 src2=0
	v_mov_b32_e32 v128, v1 /*v257*/
	s_set_vgpr_msb 0                        ;  msbs: dst=0 src0=0 src1=0 src2=0
	v_add_f32_e32 v9, v9, v11
	v_mul_f32_e32 v11, v151, v155
	s_delay_alu instid0(VALU_DEP_1) | instskip(NEXT) | instid1(VALU_DEP_1)
	v_dual_mov_b32 v131, v111 :: v_dual_fma_f32 v11, v150, v154, -v11
	v_add_f32_e32 v9, v9, v11
	v_mul_f32_e32 v11, v153, v157
	s_delay_alu instid0(VALU_DEP_1) | instskip(NEXT) | instid1(VALU_DEP_1)
	v_fma_f32 v11, v152, v156, -v11
	v_add_f32_e32 v9, v9, v11
	v_mul_f32_e32 v11, v159, v163
	s_delay_alu instid0(VALU_DEP_1) | instskip(NEXT) | instid1(VALU_DEP_1)
	v_fma_f32 v11, v158, v162, -v11
	;; [unrolled: 4-line block ×22, first 2 shown]
	v_add_f32_e32 v9, v9, v11
	v_mul_f32_e32 v11, v241, v245
	s_delay_alu instid0(VALU_DEP_1) | instskip(SKIP_1) | instid1(VALU_DEP_1)
	v_fma_f32 v11, v240, v244, -v11
	s_set_vgpr_msb 64                       ;  msbs: dst=1 src0=0 src1=0 src2=0
	v_add_f32_e32 v14 /*v270*/, v9, v11
	s_set_vgpr_msb 0                        ;  msbs: dst=0 src0=0 src1=0 src2=0
	v_mul_f32_e32 v9, v247, v251
	s_set_vgpr_msb 64                       ;  msbs: dst=1 src0=0 src1=0 src2=0
	s_delay_alu instid0(VALU_DEP_1) | instskip(SKIP_3) | instid1(VALU_DEP_2)
	v_fma_f32 v16 /*v272*/, v246, v250, -v9
	s_set_vgpr_msb 0                        ;  msbs: dst=0 src0=0 src1=0 src2=0
	v_mul_f32_e32 v9, v249, v253
	s_set_vgpr_msb 5                        ;  msbs: dst=0 src0=1 src1=1 src2=0
	v_pk_add_f32 v[126:127], v[14:15] /*v[270:271]*/, v[16:17] /*v[272:273]*/
	s_set_vgpr_msb 64                       ;  msbs: dst=1 src0=0 src1=0 src2=0
	s_delay_alu instid0(VALU_DEP_2) | instskip(SKIP_1) | instid1(VALU_DEP_1)
	v_fma_f32 v18 /*v274*/, v248, v252, -v9
	s_set_vgpr_msb 4                        ;  msbs: dst=0 src0=0 src1=1 src2=0
	v_pk_add_f32 v[126:127], v[126:127], v[18:19] /*v[274:275]*/
	s_set_vgpr_msb 0                        ;  msbs: dst=0 src0=0 src1=0 src2=0
	s_delay_alu instid0(VALU_DEP_1) | instskip(SKIP_1) | instid1(VALU_DEP_1)
	v_pk_add_f32 v[110:111], v[126:127], v[130:131]
	v_dual_mov_b32 v126, v113 :: v_dual_mov_b32 v127, v112
	v_pk_mul_f32 v[126:127], v[126:127], v[128:129] op_sel_hi:[1,0]
	s_set_vgpr_msb 4                        ;  msbs: dst=0 src0=0 src1=1 src2=0
	s_delay_alu instid0(VALU_DEP_1) | instskip(SKIP_1) | instid1(VALU_DEP_1)
	v_pk_fma_f32 v[128:129], v[112:113], v[0:1] /*v[256:257]*/, v[126:127] neg_lo:[0,0,1] neg_hi:[0,0,1]
	v_pk_fma_f32 v[112:113], v[112:113], v[0:1] /*v[256:257]*/, v[126:127] op_sel_hi:[1,0,1]
	v_mov_b32_e32 v129, v113
	s_wait_loadcnt_dscnt 0x202
	v_pk_mul_f32 v[112:113], v[114:115], v[2:3] /*v[258:259]*/ op_sel:[1,1] op_sel_hi:[0,1]
	s_set_vgpr_msb 0                        ;  msbs: dst=0 src0=0 src1=0 src2=0
	s_delay_alu instid0(VALU_DEP_2) | instskip(SKIP_1) | instid1(VALU_DEP_2)
	v_pk_add_f32 v[110:111], v[110:111], v[128:129]
	s_set_vgpr_msb 4                        ;  msbs: dst=0 src0=0 src1=1 src2=0
	v_pk_fma_f32 v[126:127], v[114:115], v[2:3] /*v[258:259]*/, v[112:113] neg_lo:[0,0,1] neg_hi:[0,0,1]
	v_pk_fma_f32 v[112:113], v[114:115], v[2:3] /*v[258:259]*/, v[112:113] op_sel_hi:[1,0,1]
	v_mov_b32_e32 v112, v117
	s_set_vgpr_msb 1                        ;  msbs: dst=0 src0=1 src1=0 src2=0
	v_mov_b32_e32 v114, v5 /*v261*/
	s_set_vgpr_msb 0                        ;  msbs: dst=0 src0=0 src1=0 src2=0
	v_dual_mov_b32 v127, v113 :: v_dual_mov_b32 v113, v116
	s_delay_alu instid0(VALU_DEP_1) | instskip(NEXT) | instid1(VALU_DEP_2)
	v_pk_add_f32 v[110:111], v[110:111], v[126:127]
	v_pk_mul_f32 v[112:113], v[112:113], v[114:115] op_sel_hi:[1,0]
	s_set_vgpr_msb 4                        ;  msbs: dst=0 src0=0 src1=1 src2=0
	s_delay_alu instid0(VALU_DEP_1) | instskip(SKIP_1) | instid1(VALU_DEP_1)
	v_pk_fma_f32 v[114:115], v[116:117], v[4:5] /*v[260:261]*/, v[112:113] neg_lo:[0,0,1] neg_hi:[0,0,1]
	v_pk_fma_f32 v[112:113], v[116:117], v[4:5] /*v[260:261]*/, v[112:113] op_sel_hi:[1,0,1]
	v_mov_b32_e32 v115, v113
	s_wait_loadcnt_dscnt 0x101
	v_pk_mul_f32 v[112:113], v[118:119], v[6:7] /*v[262:263]*/ op_sel:[1,1] op_sel_hi:[0,1]
	s_set_vgpr_msb 0                        ;  msbs: dst=0 src0=0 src1=0 src2=0
	s_delay_alu instid0(VALU_DEP_2) | instskip(SKIP_1) | instid1(VALU_DEP_2)
	v_pk_add_f32 v[110:111], v[110:111], v[114:115]
	s_set_vgpr_msb 4                        ;  msbs: dst=0 src0=0 src1=1 src2=0
	v_pk_fma_f32 v[114:115], v[118:119], v[6:7] /*v[262:263]*/, v[112:113] neg_lo:[0,0,1] neg_hi:[0,0,1]
	v_pk_fma_f32 v[112:113], v[118:119], v[6:7] /*v[262:263]*/, v[112:113] op_sel_hi:[1,0,1]
	s_delay_alu instid0(VALU_DEP_1) | instskip(SKIP_2) | instid1(VALU_DEP_2)
	v_dual_mov_b32 v112, v121 :: v_dual_mov_b32 v115, v113
	v_mov_b32_e32 v113, v120
	s_set_vgpr_msb 0                        ;  msbs: dst=0 src0=0 src1=0 src2=0
	v_pk_add_f32 v[110:111], v[110:111], v[114:115]
	s_set_vgpr_msb 1                        ;  msbs: dst=0 src0=1 src1=0 src2=0
	v_mov_b32_e32 v114, v9 /*v265*/
	s_set_vgpr_msb 0                        ;  msbs: dst=0 src0=0 src1=0 src2=0
	s_delay_alu instid0(VALU_DEP_1) | instskip(SKIP_1) | instid1(VALU_DEP_1)
	v_pk_mul_f32 v[112:113], v[112:113], v[114:115] op_sel_hi:[1,0]
	s_set_vgpr_msb 4                        ;  msbs: dst=0 src0=0 src1=1 src2=0
	v_pk_fma_f32 v[114:115], v[120:121], v[8:9] /*v[264:265]*/, v[112:113] neg_lo:[0,0,1] neg_hi:[0,0,1]
	v_pk_fma_f32 v[112:113], v[120:121], v[8:9] /*v[264:265]*/, v[112:113] op_sel_hi:[1,0,1]
	s_delay_alu instid0(VALU_DEP_1) | instskip(SKIP_3) | instid1(VALU_DEP_2)
	v_mov_b32_e32 v115, v113
	s_wait_loadcnt_dscnt 0x0
	v_pk_mul_f32 v[112:113], v[122:123], v[10:11] /*v[266:267]*/ op_sel:[1,1] op_sel_hi:[0,1]
	s_set_vgpr_msb 0                        ;  msbs: dst=0 src0=0 src1=0 src2=0
	v_pk_add_f32 v[110:111], v[110:111], v[114:115]
	s_set_vgpr_msb 4                        ;  msbs: dst=0 src0=0 src1=1 src2=0
	s_delay_alu instid0(VALU_DEP_2) | instskip(SKIP_1) | instid1(VALU_DEP_1)
	v_pk_fma_f32 v[114:115], v[122:123], v[10:11] /*v[266:267]*/, v[112:113] neg_lo:[0,0,1] neg_hi:[0,0,1]
	v_pk_fma_f32 v[112:113], v[122:123], v[10:11] /*v[266:267]*/, v[112:113] op_sel_hi:[1,0,1]
	v_dual_mov_b32 v112, v125 :: v_dual_mov_b32 v115, v113
	v_mov_b32_e32 v113, v124
	s_set_vgpr_msb 0                        ;  msbs: dst=0 src0=0 src1=0 src2=0
	s_delay_alu instid0(VALU_DEP_2) | instskip(SKIP_3) | instid1(VALU_DEP_1)
	v_pk_add_f32 v[110:111], v[110:111], v[114:115]
	s_set_vgpr_msb 1                        ;  msbs: dst=0 src0=1 src1=0 src2=0
	v_mov_b32_e32 v114, v13 /*v269*/
	s_set_vgpr_msb 0                        ;  msbs: dst=0 src0=0 src1=0 src2=0
	v_pk_mul_f32 v[112:113], v[112:113], v[114:115] op_sel_hi:[1,0]
	s_set_vgpr_msb 4                        ;  msbs: dst=0 src0=0 src1=1 src2=0
	s_delay_alu instid0(VALU_DEP_1) | instskip(SKIP_1) | instid1(VALU_DEP_1)
	v_pk_fma_f32 v[114:115], v[124:125], v[12:13] /*v[268:269]*/, v[112:113] neg_lo:[0,0,1] neg_hi:[0,0,1]
	v_pk_fma_f32 v[112:113], v[124:125], v[12:13] /*v[268:269]*/, v[112:113] op_sel_hi:[1,0,1]
	v_mov_b32_e32 v115, v113
	scratch_load_b64 v[112:113], off, off offset:72
	s_set_vgpr_msb 0                        ;  msbs: dst=0 src0=0 src1=0 src2=0
	v_pk_add_f32 v[110:111], v[110:111], v[114:115]
	s_wait_loadcnt 0x0
	s_delay_alu instid0(VALU_DEP_1)
	v_pk_add_f32 v[110:111], v[112:113], v[110:111] neg_lo:[0,1] neg_hi:[0,1]
	scratch_store_b64 off, v[110:111], off offset:72
	s_wait_xcnt 0x0
	v_cmpx_lt_u32_e32 8, v0
	s_cbranch_execz .LBB117_321
; %bb.320:
	scratch_load_b64 v[110:111], off, off offset:64
	v_mov_b64_e32 v[112:113], 0
	scratch_store_b64 off, v[112:113], off offset:64
	s_wait_loadcnt 0x0
	ds_store_b64 v1, v[110:111]
.LBB117_321:
	s_wait_xcnt 0x0
	s_or_b32 exec_lo, exec_lo, s0
	s_wait_storecnt_dscnt 0x0
	s_barrier_signal -1
	s_barrier_wait -1
	s_clause 0xf
	scratch_load_b128 v[114:117], off, off offset:72
	scratch_load_b128 v[122:125], off, off offset:88
	;; [unrolled: 1-line block ×16, first 2 shown]
	v_mov_b32_e32 v7, 0
	s_clause 0x3
	scratch_load_b128 v[242:245], off, off offset:328
	scratch_load_b128 v[250:253], off, off offset:344
	s_set_vgpr_msb 64                       ;  msbs: dst=1 src0=0 src1=0 src2=0
	scratch_load_b128 v[2:5] /*v[258:261]*/, off, off offset:360
	s_mov_b32 s0, exec_lo
	s_set_vgpr_msb 0                        ;  msbs: dst=0 src0=0 src1=0 src2=0
	ds_load_2addr_b64 v[110:113], v7 offset0:63 offset1:64
	ds_load_2addr_b64 v[118:121], v7 offset0:65 offset1:66
	s_wait_loadcnt_dscnt 0x1201
	v_dual_mul_f32 v9, v110, v115 :: v_dual_mul_f32 v11, v112, v117
	ds_load_2addr_b64 v[126:129], v7 offset0:67 offset1:68
	ds_load_2addr_b64 v[134:137], v7 offset0:69 offset1:70
	;; [unrolled: 1-line block ×4, first 2 shown]
	v_dual_fmac_f32 v9, v111, v114 :: v_dual_fmac_f32 v11, v113, v116
	ds_load_2addr_b64 v[142:145], v7 offset0:71 offset1:72
	ds_load_2addr_b64 v[150:153], v7 offset0:73 offset1:74
	;; [unrolled: 1-line block ×4, first 2 shown]
	v_add_f32_e32 v9, 0, v9
	ds_load_2addr_b64 v[174:177], v7 offset0:79 offset1:80
	ds_load_2addr_b64 v[182:185], v7 offset0:81 offset1:82
	;; [unrolled: 1-line block ×4, first 2 shown]
	v_add_f32_e32 v9, v9, v11
	s_wait_loadcnt_dscnt 0x110c
	v_mul_f32_e32 v11, v118, v123
	ds_load_2addr_b64 v[206:209], v7 offset0:87 offset1:88
	ds_load_2addr_b64 v[214:217], v7 offset0:89 offset1:90
	;; [unrolled: 1-line block ×4, first 2 shown]
	v_fmac_f32_e32 v11, v119, v122
	ds_load_2addr_b64 v[254:257], v7 offset0:99 offset1:100
	s_set_vgpr_msb 64                       ;  msbs: dst=1 src0=0 src1=0 src2=0
	s_clause 0x3
	scratch_load_b128 v[6:9] /*v[262:265]*/, off, off offset:376
	scratch_load_b128 v[10:13] /*v[266:269]*/, off, off offset:392
	;; [unrolled: 1-line block ×3, first 2 shown]
	scratch_load_b64 v[24:25] /*v[280:281]*/, off, off offset:424
	s_wait_loadcnt_dscnt 0x50d
	v_mul_f32_e32 v21 /*v277*/, v248, v253
	s_set_vgpr_msb 0                        ;  msbs: dst=0 src0=0 src1=0 src2=0
	v_dual_add_f32 v9, v9, v11 :: v_dual_mul_f32 v11, v120, v125
	s_set_vgpr_msb 64                       ;  msbs: dst=1 src0=0 src1=0 src2=0
	s_delay_alu instid0(VALU_DEP_2) | instskip(SKIP_1) | instid1(VALU_DEP_2)
	v_fmac_f32_e32 v21 /*v277*/, v249, v252
	s_set_vgpr_msb 0                        ;  msbs: dst=0 src0=0 src1=0 src2=0
	v_fmac_f32_e32 v11, v121, v124
	s_delay_alu instid0(VALU_DEP_1) | instskip(SKIP_1) | instid1(VALU_DEP_1)
	v_add_f32_e32 v9, v9, v11
	v_mul_f32_e32 v11, v126, v131
	v_fmac_f32_e32 v11, v127, v130
	s_delay_alu instid0(VALU_DEP_1) | instskip(NEXT) | instid1(VALU_DEP_1)
	v_dual_add_f32 v9, v9, v11 :: v_dual_mul_f32 v11, v128, v133
	v_fmac_f32_e32 v11, v129, v132
	s_delay_alu instid0(VALU_DEP_1) | instskip(SKIP_1) | instid1(VALU_DEP_1)
	v_add_f32_e32 v9, v9, v11
	v_mul_f32_e32 v11, v134, v139
	v_fmac_f32_e32 v11, v135, v138
	s_delay_alu instid0(VALU_DEP_1) | instskip(NEXT) | instid1(VALU_DEP_1)
	v_dual_add_f32 v9, v9, v11 :: v_dual_mul_f32 v11, v136, v141
	v_fmac_f32_e32 v11, v137, v140
	s_delay_alu instid0(VALU_DEP_1) | instskip(SKIP_2) | instid1(VALU_DEP_1)
	v_add_f32_e32 v9, v9, v11
	s_wait_dscnt 0xc
	v_mul_f32_e32 v11, v142, v147
	v_fmac_f32_e32 v11, v143, v146
	s_delay_alu instid0(VALU_DEP_1) | instskip(NEXT) | instid1(VALU_DEP_1)
	v_dual_add_f32 v9, v9, v11 :: v_dual_mul_f32 v11, v144, v149
	v_fmac_f32_e32 v11, v145, v148
	s_delay_alu instid0(VALU_DEP_1) | instskip(SKIP_2) | instid1(VALU_DEP_1)
	v_add_f32_e32 v9, v9, v11
	s_wait_dscnt 0xb
	;; [unrolled: 8-line block ×12, first 2 shown]
	v_mul_f32_e32 v11, v230, v235
	v_fmac_f32_e32 v11, v231, v234
	s_delay_alu instid0(VALU_DEP_1) | instskip(NEXT) | instid1(VALU_DEP_1)
	v_dual_add_f32 v9, v9, v11 :: v_dual_mul_f32 v11, v232, v237
	v_fmac_f32_e32 v11, v233, v236
	s_delay_alu instid0(VALU_DEP_1) | instskip(SKIP_1) | instid1(VALU_DEP_1)
	v_add_f32_e32 v9, v9, v11
	v_mul_f32_e32 v11, v238, v243
	v_fmac_f32_e32 v11, v239, v242
	s_delay_alu instid0(VALU_DEP_1) | instskip(NEXT) | instid1(VALU_DEP_1)
	v_dual_add_f32 v9, v9, v11 :: v_dual_mul_f32 v11, v240, v245
	v_fmac_f32_e32 v11, v241, v244
	s_delay_alu instid0(VALU_DEP_1) | instskip(SKIP_1) | instid1(VALU_DEP_1)
	v_add_f32_e32 v9, v9, v11
	v_mul_f32_e32 v11, v246, v251
	v_fmac_f32_e32 v11, v247, v250
	s_set_vgpr_msb 64                       ;  msbs: dst=1 src0=0 src1=0 src2=0
	s_delay_alu instid0(VALU_DEP_1) | instskip(SKIP_2) | instid1(VALU_DEP_1)
	v_add_f32_e32 v19 /*v275*/, v9, v11
	s_set_vgpr_msb 0                        ;  msbs: dst=0 src0=0 src1=0 src2=0
	v_dual_mul_f32 v9, v111, v115 :: v_dual_mul_f32 v11, v113, v117
	v_dual_fma_f32 v9, v110, v114, -v9 :: v_dual_fma_f32 v11, v112, v116, -v11
	s_delay_alu instid0(VALU_DEP_1) | instskip(NEXT) | instid1(VALU_DEP_1)
	v_add_f32_e32 v9, 0, v9
	v_add_f32_e32 v9, v9, v11
	v_mul_f32_e32 v11, v119, v123
	s_delay_alu instid0(VALU_DEP_1) | instskip(NEXT) | instid1(VALU_DEP_1)
	v_fma_f32 v11, v118, v122, -v11
	v_add_f32_e32 v9, v9, v11
	v_mul_f32_e32 v11, v121, v125
	s_delay_alu instid0(VALU_DEP_1)
	v_fma_f32 v11, v120, v124, -v11
	ds_load_2addr_b64 v[110:113], v7 offset0:101 offset1:102
	ds_load_2addr_b64 v[114:117], v7 offset0:103 offset1:104
	;; [unrolled: 1-line block ×3, first 2 shown]
	ds_load_b64 v[122:123], v7 offset:856
	v_add_f32_e32 v9, v9, v11
	v_mul_f32_e32 v11, v127, v131
	s_wait_dscnt 0x4
	s_set_vgpr_msb 1                        ;  msbs: dst=0 src0=1 src1=0 src2=0
	v_mov_b32_e32 v127, v0 /*v256*/
	s_set_vgpr_msb 0                        ;  msbs: dst=0 src0=0 src1=0 src2=0
	v_fma_f32 v11, v126, v130, -v11
	s_set_vgpr_msb 1                        ;  msbs: dst=0 src0=1 src1=0 src2=0
	v_mov_b32_e32 v126, v1 /*v257*/
	s_set_vgpr_msb 0                        ;  msbs: dst=0 src0=0 src1=0 src2=0
	s_delay_alu instid0(VALU_DEP_2) | instskip(SKIP_1) | instid1(VALU_DEP_1)
	v_add_f32_e32 v9, v9, v11
	v_mul_f32_e32 v11, v129, v133
	v_fma_f32 v11, v128, v132, -v11
	s_wait_loadcnt 0x4
	s_set_vgpr_msb 1                        ;  msbs: dst=0 src0=1 src1=0 src2=0
	v_mov_b32_e32 v128, v5 /*v261*/
	s_set_vgpr_msb 0                        ;  msbs: dst=0 src0=0 src1=0 src2=0
	v_add_f32_e32 v9, v9, v11
	v_mul_f32_e32 v11, v135, v139
	s_delay_alu instid0(VALU_DEP_3) | instskip(NEXT) | instid1(VALU_DEP_2)
	v_pk_mul_f32 v[126:127], v[126:127], v[128:129] op_sel_hi:[1,0]
	v_fma_f32 v11, v134, v138, -v11
	s_set_vgpr_msb 5                        ;  msbs: dst=0 src0=1 src1=1 src2=0
	s_delay_alu instid0(VALU_DEP_2) | instskip(SKIP_3) | instid1(VALU_DEP_2)
	v_pk_fma_f32 v[128:129], v[0:1] /*v[256:257]*/, v[4:5] /*v[260:261]*/, v[126:127] neg_lo:[0,0,1] neg_hi:[0,0,1]
	v_pk_fma_f32 v[126:127], v[0:1] /*v[256:257]*/, v[4:5] /*v[260:261]*/, v[126:127] op_sel_hi:[1,0,1]
	s_set_vgpr_msb 0                        ;  msbs: dst=0 src0=0 src1=0 src2=0
	v_add_f32_e32 v9, v9, v11
	v_dual_mul_f32 v11, v137, v141 :: v_dual_mov_b32 v129, v127
	s_wait_loadcnt_dscnt 0x303
	s_set_vgpr_msb 4                        ;  msbs: dst=0 src0=0 src1=1 src2=0
	v_pk_mul_f32 v[126:127], v[110:111], v[6:7] /*v[262:263]*/ op_sel:[1,1] op_sel_hi:[0,1]
	s_set_vgpr_msb 0                        ;  msbs: dst=0 src0=0 src1=0 src2=0
	v_fma_f32 v11, v136, v140, -v11
	s_delay_alu instid0(VALU_DEP_1) | instskip(SKIP_1) | instid1(VALU_DEP_1)
	v_add_f32_e32 v9, v9, v11
	v_mul_f32_e32 v11, v143, v147
	v_fma_f32 v11, v142, v146, -v11
	s_delay_alu instid0(VALU_DEP_1) | instskip(SKIP_1) | instid1(VALU_DEP_1)
	v_add_f32_e32 v9, v9, v11
	v_mul_f32_e32 v11, v145, v149
	;; [unrolled: 4-line block ×27, first 2 shown]
	v_fma_f32 v11, v246, v250, -v11
	s_set_vgpr_msb 64                       ;  msbs: dst=1 src0=0 src1=0 src2=0
	s_delay_alu instid0(VALU_DEP_1) | instskip(SKIP_3) | instid1(VALU_DEP_1)
	v_add_f32_e32 v18 /*v274*/, v9, v11
	s_set_vgpr_msb 0                        ;  msbs: dst=0 src0=0 src1=0 src2=0
	v_mul_f32_e32 v9, v249, v253
	s_set_vgpr_msb 64                       ;  msbs: dst=1 src0=0 src1=0 src2=0
	v_fma_f32 v20 /*v276*/, v248, v252, -v9
	s_set_vgpr_msb 4                        ;  msbs: dst=0 src0=0 src1=1 src2=0
	v_mul_f32_e32 v9, v255, v3 /*v259*/
	s_set_vgpr_msb 0x44                     ;  msbs: dst=1 src0=0 src1=1 src2=0
	v_mul_f32_e32 v23 /*v279*/, v254, v3 /*v259*/
	s_set_vgpr_msb 5                        ;  msbs: dst=0 src0=1 src1=1 src2=0
	v_pk_add_f32 v[124:125], v[18:19] /*v[274:275]*/, v[20:21] /*v[276:277]*/
	s_set_vgpr_msb 0x44                     ;  msbs: dst=1 src0=0 src1=1 src2=0
	v_fma_f32 v22 /*v278*/, v254, v2 /*v258*/, -v9
	v_fmac_f32_e32 v23 /*v279*/, v255, v2 /*v258*/
	s_set_vgpr_msb 4                        ;  msbs: dst=0 src0=0 src1=1 src2=0
	s_delay_alu instid0(VALU_DEP_1) | instskip(SKIP_1) | instid1(VALU_DEP_1)
	v_pk_add_f32 v[124:125], v[124:125], v[22:23] /*v[278:279]*/
	s_set_vgpr_msb 0                        ;  msbs: dst=0 src0=0 src1=0 src2=0
	v_pk_add_f32 v[124:125], v[124:125], v[128:129]
	s_set_vgpr_msb 4                        ;  msbs: dst=0 src0=0 src1=1 src2=0
	v_pk_fma_f32 v[128:129], v[110:111], v[6:7] /*v[262:263]*/, v[126:127] neg_lo:[0,0,1] neg_hi:[0,0,1]
	v_pk_fma_f32 v[110:111], v[110:111], v[6:7] /*v[262:263]*/, v[126:127] op_sel_hi:[1,0,1]
	s_set_vgpr_msb 1                        ;  msbs: dst=0 src0=1 src1=0 src2=0
	v_mov_b32_e32 v126, v9 /*v265*/
	s_set_vgpr_msb 0                        ;  msbs: dst=0 src0=0 src1=0 src2=0
	s_delay_alu instid0(VALU_DEP_2) | instskip(NEXT) | instid1(VALU_DEP_1)
	v_mov_b32_e32 v129, v111
	v_pk_add_f32 v[110:111], v[124:125], v[128:129]
	v_dual_mov_b32 v124, v113 :: v_dual_mov_b32 v125, v112
	s_delay_alu instid0(VALU_DEP_1) | instskip(SKIP_1) | instid1(VALU_DEP_1)
	v_pk_mul_f32 v[124:125], v[124:125], v[126:127] op_sel_hi:[1,0]
	s_set_vgpr_msb 4                        ;  msbs: dst=0 src0=0 src1=1 src2=0
	v_pk_fma_f32 v[126:127], v[112:113], v[8:9] /*v[264:265]*/, v[124:125] neg_lo:[0,0,1] neg_hi:[0,0,1]
	v_pk_fma_f32 v[112:113], v[112:113], v[8:9] /*v[264:265]*/, v[124:125] op_sel_hi:[1,0,1]
	s_delay_alu instid0(VALU_DEP_1) | instskip(SKIP_3) | instid1(VALU_DEP_2)
	v_mov_b32_e32 v127, v113
	s_wait_loadcnt_dscnt 0x202
	v_pk_mul_f32 v[112:113], v[114:115], v[10:11] /*v[266:267]*/ op_sel:[1,1] op_sel_hi:[0,1]
	s_set_vgpr_msb 0                        ;  msbs: dst=0 src0=0 src1=0 src2=0
	v_pk_add_f32 v[110:111], v[110:111], v[126:127]
	s_set_vgpr_msb 4                        ;  msbs: dst=0 src0=0 src1=1 src2=0
	s_delay_alu instid0(VALU_DEP_2)
	v_pk_fma_f32 v[124:125], v[114:115], v[10:11] /*v[266:267]*/, v[112:113] neg_lo:[0,0,1] neg_hi:[0,0,1]
	v_pk_fma_f32 v[112:113], v[114:115], v[10:11] /*v[266:267]*/, v[112:113] op_sel_hi:[1,0,1]
	v_mov_b32_e32 v112, v117
	s_set_vgpr_msb 1                        ;  msbs: dst=0 src0=1 src1=0 src2=0
	v_mov_b32_e32 v114, v13 /*v269*/
	s_set_vgpr_msb 0                        ;  msbs: dst=0 src0=0 src1=0 src2=0
	v_dual_mov_b32 v125, v113 :: v_dual_mov_b32 v113, v116
	s_delay_alu instid0(VALU_DEP_1) | instskip(NEXT) | instid1(VALU_DEP_2)
	v_pk_add_f32 v[110:111], v[110:111], v[124:125]
	v_pk_mul_f32 v[112:113], v[112:113], v[114:115] op_sel_hi:[1,0]
	s_set_vgpr_msb 4                        ;  msbs: dst=0 src0=0 src1=1 src2=0
	s_delay_alu instid0(VALU_DEP_1) | instskip(SKIP_1) | instid1(VALU_DEP_1)
	v_pk_fma_f32 v[114:115], v[116:117], v[12:13] /*v[268:269]*/, v[112:113] neg_lo:[0,0,1] neg_hi:[0,0,1]
	v_pk_fma_f32 v[112:113], v[116:117], v[12:13] /*v[268:269]*/, v[112:113] op_sel_hi:[1,0,1]
	v_mov_b32_e32 v115, v113
	s_wait_loadcnt_dscnt 0x101
	v_pk_mul_f32 v[112:113], v[118:119], v[14:15] /*v[270:271]*/ op_sel:[1,1] op_sel_hi:[0,1]
	s_set_vgpr_msb 0                        ;  msbs: dst=0 src0=0 src1=0 src2=0
	s_delay_alu instid0(VALU_DEP_2) | instskip(SKIP_1) | instid1(VALU_DEP_2)
	v_pk_add_f32 v[110:111], v[110:111], v[114:115]
	s_set_vgpr_msb 4                        ;  msbs: dst=0 src0=0 src1=1 src2=0
	v_pk_fma_f32 v[114:115], v[118:119], v[14:15] /*v[270:271]*/, v[112:113] neg_lo:[0,0,1] neg_hi:[0,0,1]
	v_pk_fma_f32 v[112:113], v[118:119], v[14:15] /*v[270:271]*/, v[112:113] op_sel_hi:[1,0,1]
	s_delay_alu instid0(VALU_DEP_1) | instskip(SKIP_2) | instid1(VALU_DEP_2)
	v_dual_mov_b32 v112, v121 :: v_dual_mov_b32 v115, v113
	v_mov_b32_e32 v113, v120
	s_set_vgpr_msb 0                        ;  msbs: dst=0 src0=0 src1=0 src2=0
	v_pk_add_f32 v[110:111], v[110:111], v[114:115]
	s_set_vgpr_msb 1                        ;  msbs: dst=0 src0=1 src1=0 src2=0
	v_mov_b32_e32 v114, v17 /*v273*/
	s_set_vgpr_msb 0                        ;  msbs: dst=0 src0=0 src1=0 src2=0
	s_delay_alu instid0(VALU_DEP_1) | instskip(SKIP_1) | instid1(VALU_DEP_1)
	v_pk_mul_f32 v[112:113], v[112:113], v[114:115] op_sel_hi:[1,0]
	s_set_vgpr_msb 4                        ;  msbs: dst=0 src0=0 src1=1 src2=0
	v_pk_fma_f32 v[114:115], v[120:121], v[16:17] /*v[272:273]*/, v[112:113] neg_lo:[0,0,1] neg_hi:[0,0,1]
	v_pk_fma_f32 v[112:113], v[120:121], v[16:17] /*v[272:273]*/, v[112:113] op_sel_hi:[1,0,1]
	s_delay_alu instid0(VALU_DEP_1) | instskip(SKIP_3) | instid1(VALU_DEP_2)
	v_mov_b32_e32 v115, v113
	s_wait_loadcnt_dscnt 0x0
	v_pk_mul_f32 v[112:113], v[122:123], v[24:25] /*v[280:281]*/ op_sel:[1,1] op_sel_hi:[0,1]
	s_set_vgpr_msb 0                        ;  msbs: dst=0 src0=0 src1=0 src2=0
	v_pk_add_f32 v[110:111], v[110:111], v[114:115]
	s_set_vgpr_msb 4                        ;  msbs: dst=0 src0=0 src1=1 src2=0
	s_delay_alu instid0(VALU_DEP_2) | instskip(SKIP_1) | instid1(VALU_DEP_1)
	v_pk_fma_f32 v[114:115], v[122:123], v[24:25] /*v[280:281]*/, v[112:113] neg_lo:[0,0,1] neg_hi:[0,0,1]
	v_pk_fma_f32 v[112:113], v[122:123], v[24:25] /*v[280:281]*/, v[112:113] op_sel_hi:[1,0,1]
	v_mov_b32_e32 v115, v113
	scratch_load_b64 v[112:113], off, off offset:64
	s_set_vgpr_msb 0                        ;  msbs: dst=0 src0=0 src1=0 src2=0
	v_pk_add_f32 v[110:111], v[110:111], v[114:115]
	s_wait_loadcnt 0x0
	s_delay_alu instid0(VALU_DEP_1)
	v_pk_add_f32 v[110:111], v[112:113], v[110:111] neg_lo:[0,1] neg_hi:[0,1]
	scratch_store_b64 off, v[110:111], off offset:64
	s_wait_xcnt 0x0
	v_cmpx_lt_u32_e32 7, v0
	s_cbranch_execz .LBB117_323
; %bb.322:
	scratch_load_b64 v[110:111], off, off offset:56
	v_mov_b64_e32 v[112:113], 0
	scratch_store_b64 off, v[112:113], off offset:56
	s_wait_loadcnt 0x0
	ds_store_b64 v1, v[110:111]
.LBB117_323:
	s_wait_xcnt 0x0
	s_or_b32 exec_lo, exec_lo, s0
	s_wait_storecnt_dscnt 0x0
	s_barrier_signal -1
	s_barrier_wait -1
	ds_load_b128 v[110:113], v7 offset:496
	ds_load_b128 v[114:117], v7 offset:512
	;; [unrolled: 1-line block ×4, first 2 shown]
	s_clause 0x11
	scratch_load_b128 v[126:129], off, off offset:64
	scratch_load_b128 v[130:133], off, off offset:80
	;; [unrolled: 1-line block ×18, first 2 shown]
	ds_load_b128 v[142:145], v7 offset:560
	ds_load_b128 v[150:153], v7 offset:576
	ds_load_b128 v[158:161], v7 offset:592
	ds_load_b128 v[166:169], v7 offset:608
	ds_load_b128 v[174:177], v7 offset:624
	ds_load_b128 v[182:185], v7 offset:640
	ds_load_b128 v[190:193], v7 offset:656
	ds_load_b128 v[198:201], v7 offset:672
	ds_load_b128 v[206:209], v7 offset:688
	ds_load_b128 v[214:217], v7 offset:704
	ds_load_b128 v[222:225], v7 offset:720
	ds_load_b128 v[230:233], v7 offset:736
	ds_load_b128 v[238:241], v7 offset:752
	ds_load_b128 v[246:249], v7 offset:768
	s_set_vgpr_msb 64                       ;  msbs: dst=1 src0=0 src1=0 src2=0
	scratch_load_b128 v[2:5] /*v[258:261]*/, off, off offset:352
	s_set_vgpr_msb 0                        ;  msbs: dst=0 src0=0 src1=0 src2=0
	ds_load_b128 v[254:257], v7 offset:784
	s_set_vgpr_msb 64                       ;  msbs: dst=1 src0=0 src1=0 src2=0
	s_clause 0x3
	scratch_load_b128 v[6:9] /*v[262:265]*/, off, off offset:368
	scratch_load_b128 v[10:13] /*v[266:269]*/, off, off offset:384
	;; [unrolled: 1-line block ×4, first 2 shown]
	s_mov_b32 s0, exec_lo
	s_wait_loadcnt_dscnt 0x1612
	s_set_vgpr_msb 0                        ;  msbs: dst=0 src0=0 src1=0 src2=0
	v_dual_mul_f32 v9, v110, v127 :: v_dual_mul_f32 v11, v112, v129
	s_delay_alu instid0(VALU_DEP_1) | instskip(NEXT) | instid1(VALU_DEP_1)
	v_dual_fmac_f32 v9, v111, v126 :: v_dual_fmac_f32 v11, v113, v128
	v_add_f32_e32 v9, 0, v9
	s_delay_alu instid0(VALU_DEP_1) | instskip(SKIP_2) | instid1(VALU_DEP_1)
	v_add_f32_e32 v9, v9, v11
	s_wait_loadcnt_dscnt 0x1511
	v_mul_f32_e32 v11, v114, v131
	v_fmac_f32_e32 v11, v115, v130
	s_delay_alu instid0(VALU_DEP_1) | instskip(NEXT) | instid1(VALU_DEP_1)
	v_dual_add_f32 v9, v9, v11 :: v_dual_mul_f32 v11, v116, v133
	v_fmac_f32_e32 v11, v117, v132
	s_delay_alu instid0(VALU_DEP_1) | instskip(SKIP_2) | instid1(VALU_DEP_1)
	v_add_f32_e32 v9, v9, v11
	s_wait_loadcnt_dscnt 0x1410
	v_mul_f32_e32 v11, v118, v135
	v_fmac_f32_e32 v11, v119, v134
	s_delay_alu instid0(VALU_DEP_1) | instskip(NEXT) | instid1(VALU_DEP_1)
	v_dual_add_f32 v9, v9, v11 :: v_dual_mul_f32 v11, v120, v137
	v_fmac_f32_e32 v11, v121, v136
	;; [unrolled: 8-line block ×17, first 2 shown]
	s_set_vgpr_msb 64                       ;  msbs: dst=1 src0=0 src1=0 src2=0
	s_delay_alu instid0(VALU_DEP_1) | instskip(SKIP_2) | instid1(VALU_DEP_1)
	v_add_f32_e32 v23 /*v279*/, v9, v11
	s_set_vgpr_msb 0                        ;  msbs: dst=0 src0=0 src1=0 src2=0
	v_dual_mul_f32 v9, v111, v127 :: v_dual_mul_f32 v11, v113, v129
	v_dual_fma_f32 v9, v110, v126, -v9 :: v_dual_fma_f32 v11, v112, v128, -v11
	s_delay_alu instid0(VALU_DEP_1) | instskip(NEXT) | instid1(VALU_DEP_1)
	v_add_f32_e32 v9, 0, v9
	v_add_f32_e32 v9, v9, v11
	v_mul_f32_e32 v11, v115, v131
	s_delay_alu instid0(VALU_DEP_1) | instskip(NEXT) | instid1(VALU_DEP_1)
	v_fma_f32 v11, v114, v130, -v11
	v_add_f32_e32 v9, v9, v11
	v_mul_f32_e32 v11, v117, v133
	s_delay_alu instid0(VALU_DEP_1) | instskip(NEXT) | instid1(VALU_DEP_1)
	v_fma_f32 v11, v116, v132, -v11
	;; [unrolled: 4-line block ×5, first 2 shown]
	v_add_f32_e32 v9, v9, v11
	v_mul_f32_e32 v11, v125, v141
	s_delay_alu instid0(VALU_DEP_1)
	v_fma_f32 v11, v124, v140, -v11
	ds_load_b128 v[110:113], v7 offset:800
	ds_load_b128 v[114:117], v7 offset:816
	;; [unrolled: 1-line block ×4, first 2 shown]
	v_add_f32_e32 v9, v9, v11
	v_mul_f32_e32 v11, v143, v147
	s_delay_alu instid0(VALU_DEP_1) | instskip(NEXT) | instid1(VALU_DEP_1)
	v_fma_f32 v11, v142, v146, -v11
	v_add_f32_e32 v9, v9, v11
	v_mul_f32_e32 v11, v145, v149
	s_wait_loadcnt_dscnt 0x303
	s_set_vgpr_msb 4                        ;  msbs: dst=0 src0=0 src1=1 src2=0
	v_pk_mul_f32 v[128:129], v[110:111], v[6:7] /*v[262:263]*/ op_sel:[1,1] op_sel_hi:[0,1]
	s_set_vgpr_msb 0                        ;  msbs: dst=0 src0=0 src1=0 src2=0
	v_fma_f32 v11, v144, v148, -v11
	s_set_vgpr_msb 4                        ;  msbs: dst=0 src0=0 src1=1 src2=0
	s_delay_alu instid0(VALU_DEP_2)
	v_pk_fma_f32 v[130:131], v[110:111], v[6:7] /*v[262:263]*/, v[128:129] neg_lo:[0,0,1] neg_hi:[0,0,1]
	v_pk_fma_f32 v[110:111], v[110:111], v[6:7] /*v[262:263]*/, v[128:129] op_sel_hi:[1,0,1]
	s_set_vgpr_msb 1                        ;  msbs: dst=0 src0=1 src1=0 src2=0
	v_mov_b32_e32 v128, v9 /*v265*/
	s_set_vgpr_msb 0                        ;  msbs: dst=0 src0=0 src1=0 src2=0
	v_add_f32_e32 v9, v9, v11
	v_mul_f32_e32 v11, v151, v155
	s_delay_alu instid0(VALU_DEP_1) | instskip(NEXT) | instid1(VALU_DEP_1)
	v_dual_mov_b32 v131, v111 :: v_dual_fma_f32 v11, v150, v154, -v11
	v_add_f32_e32 v9, v9, v11
	v_mul_f32_e32 v11, v153, v157
	s_delay_alu instid0(VALU_DEP_1) | instskip(NEXT) | instid1(VALU_DEP_1)
	v_fma_f32 v11, v152, v156, -v11
	v_add_f32_e32 v9, v9, v11
	v_mul_f32_e32 v11, v159, v163
	s_delay_alu instid0(VALU_DEP_1) | instskip(NEXT) | instid1(VALU_DEP_1)
	v_fma_f32 v11, v158, v162, -v11
	;; [unrolled: 4-line block ×24, first 2 shown]
	v_add_f32_e32 v9, v9, v11
	v_mul_f32_e32 v11, v249, v253
	s_delay_alu instid0(VALU_DEP_1) | instskip(SKIP_1) | instid1(VALU_DEP_1)
	v_fma_f32 v11, v248, v252, -v11
	s_set_vgpr_msb 64                       ;  msbs: dst=1 src0=0 src1=0 src2=0
	v_add_f32_e32 v22 /*v278*/, v9, v11
	s_set_vgpr_msb 4                        ;  msbs: dst=0 src0=0 src1=1 src2=0
	v_mul_f32_e32 v9, v255, v3 /*v259*/
	s_set_vgpr_msb 0x44                     ;  msbs: dst=1 src0=0 src1=1 src2=0
	s_delay_alu instid0(VALU_DEP_1) | instskip(NEXT) | instid1(VALU_DEP_1)
	v_dual_mul_f32 v25 /*v281*/, v254, v3 /*v259*/ :: v_dual_fma_f32 v24 /*v280*/, v254, v2 /*v258*/, -v9
	v_fmac_f32_e32 v25 /*v281*/, v255, v2 /*v258*/
	s_set_vgpr_msb 5                        ;  msbs: dst=0 src0=1 src1=1 src2=0
	v_mul_f32_e32 v9, v1 /*v257*/, v5 /*v261*/
	s_set_vgpr_msb 0x45                     ;  msbs: dst=1 src0=1 src1=1 src2=0
	v_mul_f32_e32 v27 /*v283*/, v0 /*v256*/, v5 /*v261*/
	s_set_vgpr_msb 5                        ;  msbs: dst=0 src0=1 src1=1 src2=0
	v_pk_add_f32 v[126:127], v[22:23] /*v[278:279]*/, v[24:25] /*v[280:281]*/
	s_set_vgpr_msb 0x45                     ;  msbs: dst=1 src0=1 src1=1 src2=0
	v_fma_f32 v26 /*v282*/, v0 /*v256*/, v4 /*v260*/, -v9
	v_fmac_f32_e32 v27 /*v283*/, v1 /*v257*/, v4 /*v260*/
	s_set_vgpr_msb 4                        ;  msbs: dst=0 src0=0 src1=1 src2=0
	s_delay_alu instid0(VALU_DEP_1) | instskip(SKIP_1) | instid1(VALU_DEP_1)
	v_pk_add_f32 v[126:127], v[126:127], v[26:27] /*v[282:283]*/
	s_set_vgpr_msb 0                        ;  msbs: dst=0 src0=0 src1=0 src2=0
	v_pk_add_f32 v[110:111], v[126:127], v[130:131]
	v_dual_mov_b32 v126, v113 :: v_dual_mov_b32 v127, v112
	s_delay_alu instid0(VALU_DEP_1) | instskip(SKIP_1) | instid1(VALU_DEP_1)
	v_pk_mul_f32 v[126:127], v[126:127], v[128:129] op_sel_hi:[1,0]
	s_set_vgpr_msb 4                        ;  msbs: dst=0 src0=0 src1=1 src2=0
	v_pk_fma_f32 v[128:129], v[112:113], v[8:9] /*v[264:265]*/, v[126:127] neg_lo:[0,0,1] neg_hi:[0,0,1]
	v_pk_fma_f32 v[112:113], v[112:113], v[8:9] /*v[264:265]*/, v[126:127] op_sel_hi:[1,0,1]
	s_delay_alu instid0(VALU_DEP_1) | instskip(SKIP_3) | instid1(VALU_DEP_2)
	v_mov_b32_e32 v129, v113
	s_wait_loadcnt_dscnt 0x202
	v_pk_mul_f32 v[112:113], v[114:115], v[10:11] /*v[266:267]*/ op_sel:[1,1] op_sel_hi:[0,1]
	s_set_vgpr_msb 0                        ;  msbs: dst=0 src0=0 src1=0 src2=0
	v_pk_add_f32 v[110:111], v[110:111], v[128:129]
	s_set_vgpr_msb 4                        ;  msbs: dst=0 src0=0 src1=1 src2=0
	s_delay_alu instid0(VALU_DEP_2)
	v_pk_fma_f32 v[126:127], v[114:115], v[10:11] /*v[266:267]*/, v[112:113] neg_lo:[0,0,1] neg_hi:[0,0,1]
	v_pk_fma_f32 v[112:113], v[114:115], v[10:11] /*v[266:267]*/, v[112:113] op_sel_hi:[1,0,1]
	v_mov_b32_e32 v112, v117
	s_set_vgpr_msb 1                        ;  msbs: dst=0 src0=1 src1=0 src2=0
	v_mov_b32_e32 v114, v13 /*v269*/
	s_set_vgpr_msb 0                        ;  msbs: dst=0 src0=0 src1=0 src2=0
	v_dual_mov_b32 v127, v113 :: v_dual_mov_b32 v113, v116
	s_delay_alu instid0(VALU_DEP_1) | instskip(NEXT) | instid1(VALU_DEP_2)
	v_pk_add_f32 v[110:111], v[110:111], v[126:127]
	v_pk_mul_f32 v[112:113], v[112:113], v[114:115] op_sel_hi:[1,0]
	s_set_vgpr_msb 4                        ;  msbs: dst=0 src0=0 src1=1 src2=0
	s_delay_alu instid0(VALU_DEP_1) | instskip(SKIP_1) | instid1(VALU_DEP_1)
	v_pk_fma_f32 v[114:115], v[116:117], v[12:13] /*v[268:269]*/, v[112:113] neg_lo:[0,0,1] neg_hi:[0,0,1]
	v_pk_fma_f32 v[112:113], v[116:117], v[12:13] /*v[268:269]*/, v[112:113] op_sel_hi:[1,0,1]
	v_mov_b32_e32 v115, v113
	s_wait_loadcnt_dscnt 0x101
	v_pk_mul_f32 v[112:113], v[118:119], v[14:15] /*v[270:271]*/ op_sel:[1,1] op_sel_hi:[0,1]
	s_set_vgpr_msb 0                        ;  msbs: dst=0 src0=0 src1=0 src2=0
	s_delay_alu instid0(VALU_DEP_2) | instskip(SKIP_1) | instid1(VALU_DEP_2)
	v_pk_add_f32 v[110:111], v[110:111], v[114:115]
	s_set_vgpr_msb 4                        ;  msbs: dst=0 src0=0 src1=1 src2=0
	v_pk_fma_f32 v[114:115], v[118:119], v[14:15] /*v[270:271]*/, v[112:113] neg_lo:[0,0,1] neg_hi:[0,0,1]
	v_pk_fma_f32 v[112:113], v[118:119], v[14:15] /*v[270:271]*/, v[112:113] op_sel_hi:[1,0,1]
	s_delay_alu instid0(VALU_DEP_1) | instskip(SKIP_2) | instid1(VALU_DEP_2)
	v_dual_mov_b32 v112, v121 :: v_dual_mov_b32 v115, v113
	v_mov_b32_e32 v113, v120
	s_set_vgpr_msb 0                        ;  msbs: dst=0 src0=0 src1=0 src2=0
	v_pk_add_f32 v[110:111], v[110:111], v[114:115]
	s_set_vgpr_msb 1                        ;  msbs: dst=0 src0=1 src1=0 src2=0
	v_mov_b32_e32 v114, v17 /*v273*/
	s_set_vgpr_msb 0                        ;  msbs: dst=0 src0=0 src1=0 src2=0
	s_delay_alu instid0(VALU_DEP_1) | instskip(SKIP_1) | instid1(VALU_DEP_1)
	v_pk_mul_f32 v[112:113], v[112:113], v[114:115] op_sel_hi:[1,0]
	s_set_vgpr_msb 4                        ;  msbs: dst=0 src0=0 src1=1 src2=0
	v_pk_fma_f32 v[114:115], v[120:121], v[16:17] /*v[272:273]*/, v[112:113] neg_lo:[0,0,1] neg_hi:[0,0,1]
	v_pk_fma_f32 v[112:113], v[120:121], v[16:17] /*v[272:273]*/, v[112:113] op_sel_hi:[1,0,1]
	s_delay_alu instid0(VALU_DEP_1) | instskip(SKIP_3) | instid1(VALU_DEP_2)
	v_mov_b32_e32 v115, v113
	s_wait_loadcnt_dscnt 0x0
	v_pk_mul_f32 v[112:113], v[122:123], v[18:19] /*v[274:275]*/ op_sel:[1,1] op_sel_hi:[0,1]
	s_set_vgpr_msb 0                        ;  msbs: dst=0 src0=0 src1=0 src2=0
	v_pk_add_f32 v[110:111], v[110:111], v[114:115]
	s_set_vgpr_msb 4                        ;  msbs: dst=0 src0=0 src1=1 src2=0
	s_delay_alu instid0(VALU_DEP_2) | instskip(SKIP_1) | instid1(VALU_DEP_1)
	v_pk_fma_f32 v[114:115], v[122:123], v[18:19] /*v[274:275]*/, v[112:113] neg_lo:[0,0,1] neg_hi:[0,0,1]
	v_pk_fma_f32 v[112:113], v[122:123], v[18:19] /*v[274:275]*/, v[112:113] op_sel_hi:[1,0,1]
	v_dual_mov_b32 v112, v125 :: v_dual_mov_b32 v115, v113
	v_mov_b32_e32 v113, v124
	s_set_vgpr_msb 0                        ;  msbs: dst=0 src0=0 src1=0 src2=0
	s_delay_alu instid0(VALU_DEP_2) | instskip(SKIP_3) | instid1(VALU_DEP_1)
	v_pk_add_f32 v[110:111], v[110:111], v[114:115]
	s_set_vgpr_msb 1                        ;  msbs: dst=0 src0=1 src1=0 src2=0
	v_mov_b32_e32 v114, v21 /*v277*/
	s_set_vgpr_msb 0                        ;  msbs: dst=0 src0=0 src1=0 src2=0
	v_pk_mul_f32 v[112:113], v[112:113], v[114:115] op_sel_hi:[1,0]
	s_set_vgpr_msb 4                        ;  msbs: dst=0 src0=0 src1=1 src2=0
	s_delay_alu instid0(VALU_DEP_1) | instskip(SKIP_1) | instid1(VALU_DEP_1)
	v_pk_fma_f32 v[114:115], v[124:125], v[20:21] /*v[276:277]*/, v[112:113] neg_lo:[0,0,1] neg_hi:[0,0,1]
	v_pk_fma_f32 v[112:113], v[124:125], v[20:21] /*v[276:277]*/, v[112:113] op_sel_hi:[1,0,1]
	v_mov_b32_e32 v115, v113
	scratch_load_b64 v[112:113], off, off offset:56
	s_set_vgpr_msb 0                        ;  msbs: dst=0 src0=0 src1=0 src2=0
	v_pk_add_f32 v[110:111], v[110:111], v[114:115]
	s_wait_loadcnt 0x0
	s_delay_alu instid0(VALU_DEP_1)
	v_pk_add_f32 v[110:111], v[112:113], v[110:111] neg_lo:[0,1] neg_hi:[0,1]
	scratch_store_b64 off, v[110:111], off offset:56
	s_wait_xcnt 0x0
	v_cmpx_lt_u32_e32 6, v0
	s_cbranch_execz .LBB117_325
; %bb.324:
	scratch_load_b64 v[110:111], off, off offset:48
	v_mov_b64_e32 v[112:113], 0
	scratch_store_b64 off, v[112:113], off offset:48
	s_wait_loadcnt 0x0
	ds_store_b64 v1, v[110:111]
.LBB117_325:
	s_wait_xcnt 0x0
	s_or_b32 exec_lo, exec_lo, s0
	s_wait_storecnt_dscnt 0x0
	s_barrier_signal -1
	s_barrier_wait -1
	s_clause 0xf
	scratch_load_b128 v[114:117], off, off offset:56
	scratch_load_b128 v[122:125], off, off offset:72
	;; [unrolled: 1-line block ×16, first 2 shown]
	v_mov_b32_e32 v7, 0
	s_clause 0x4
	scratch_load_b128 v[242:245], off, off offset:312
	scratch_load_b128 v[250:253], off, off offset:328
	s_set_vgpr_msb 64                       ;  msbs: dst=1 src0=0 src1=0 src2=0
	scratch_load_b128 v[2:5] /*v[258:261]*/, off, off offset:344
	scratch_load_b128 v[10:13] /*v[266:269]*/, off, off offset:360
	s_set_vgpr_msb 0                        ;  msbs: dst=0 src0=0 src1=0 src2=0
	ds_load_2addr_b64 v[110:113], v7 offset0:61 offset1:62
	ds_load_2addr_b64 v[118:121], v7 offset0:63 offset1:64
	s_mov_b32 s0, exec_lo
	s_wait_loadcnt_dscnt 0x1301
	v_dual_mul_f32 v9, v110, v115 :: v_dual_mul_f32 v11, v112, v117
	ds_load_2addr_b64 v[126:129], v7 offset0:65 offset1:66
	ds_load_2addr_b64 v[134:137], v7 offset0:67 offset1:68
	;; [unrolled: 1-line block ×4, first 2 shown]
	v_dual_fmac_f32 v9, v111, v114 :: v_dual_fmac_f32 v11, v113, v116
	ds_load_2addr_b64 v[158:161], v7 offset0:73 offset1:74
	ds_load_2addr_b64 v[166:169], v7 offset0:75 offset1:76
	;; [unrolled: 1-line block ×4, first 2 shown]
	v_add_f32_e32 v9, 0, v9
	ds_load_2addr_b64 v[190:193], v7 offset0:81 offset1:82
	ds_load_2addr_b64 v[198:201], v7 offset0:83 offset1:84
	ds_load_2addr_b64 v[206:209], v7 offset0:85 offset1:86
	ds_load_2addr_b64 v[214:217], v7 offset0:87 offset1:88
	v_add_f32_e32 v9, v9, v11
	s_wait_loadcnt_dscnt 0x120c
	v_mul_f32_e32 v11, v118, v123
	ds_load_2addr_b64 v[222:225], v7 offset0:89 offset1:90
	ds_load_2addr_b64 v[230:233], v7 offset0:91 offset1:92
	;; [unrolled: 1-line block ×4, first 2 shown]
	v_fmac_f32_e32 v11, v119, v122
	ds_load_2addr_b64 v[254:257], v7 offset0:97 offset1:98
	s_set_vgpr_msb 64                       ;  msbs: dst=1 src0=0 src1=0 src2=0
	ds_load_2addr_b64 v[6:9] /*v[262:265]*/, v7 offset0:99 offset1:100
	s_clause 0x3
	scratch_load_b128 v[14:17] /*v[270:273]*/, off, off offset:376
	scratch_load_b128 v[18:21] /*v[274:277]*/, off, off offset:392
	scratch_load_b128 v[22:25] /*v[278:281]*/, off, off offset:408
	scratch_load_b64 v[32:33] /*v[288:289]*/, off, off offset:424
	s_set_vgpr_msb 0                        ;  msbs: dst=0 src0=0 src1=0 src2=0
	v_dual_add_f32 v9, v9, v11 :: v_dual_mul_f32 v11, v120, v125
	s_delay_alu instid0(VALU_DEP_1) | instskip(NEXT) | instid1(VALU_DEP_1)
	v_fmac_f32_e32 v11, v121, v124
	v_add_f32_e32 v9, v9, v11
	s_wait_loadcnt_dscnt 0x1511
	v_mul_f32_e32 v11, v126, v131
	s_wait_loadcnt_dscnt 0x400
	s_set_vgpr_msb 0x45                     ;  msbs: dst=1 src0=1 src1=1 src2=0
	v_dual_mul_f32 v29 /*v285*/, v0 /*v256*/, v5 /*v261*/ :: v_dual_mul_f32 v31 /*v287*/, v6 /*v262*/, v11 /*v267*/
	s_set_vgpr_msb 0                        ;  msbs: dst=0 src0=0 src1=0 src2=0
	v_fmac_f32_e32 v11, v127, v130
	s_set_vgpr_msb 0x45                     ;  msbs: dst=1 src0=1 src1=1 src2=0
	s_delay_alu instid0(VALU_DEP_2) | instskip(SKIP_1) | instid1(VALU_DEP_2)
	v_dual_fmac_f32 v29 /*v285*/, v1 /*v257*/, v4 /*v260*/ :: v_dual_fmac_f32 v31 /*v287*/, v7 /*v263*/, v10 /*v266*/
	s_set_vgpr_msb 0                        ;  msbs: dst=0 src0=0 src1=0 src2=0
	v_dual_add_f32 v9, v9, v11 :: v_dual_mul_f32 v11, v128, v133
	s_delay_alu instid0(VALU_DEP_1) | instskip(NEXT) | instid1(VALU_DEP_1)
	v_fmac_f32_e32 v11, v129, v132
	v_add_f32_e32 v9, v9, v11
	v_mul_f32_e32 v11, v134, v139
	s_delay_alu instid0(VALU_DEP_1) | instskip(NEXT) | instid1(VALU_DEP_1)
	v_fmac_f32_e32 v11, v135, v138
	v_dual_add_f32 v9, v9, v11 :: v_dual_mul_f32 v11, v136, v141
	s_delay_alu instid0(VALU_DEP_1) | instskip(NEXT) | instid1(VALU_DEP_1)
	v_fmac_f32_e32 v11, v137, v140
	v_add_f32_e32 v9, v9, v11
	v_mul_f32_e32 v11, v142, v147
	s_delay_alu instid0(VALU_DEP_1) | instskip(NEXT) | instid1(VALU_DEP_1)
	v_fmac_f32_e32 v11, v143, v146
	v_dual_add_f32 v9, v9, v11 :: v_dual_mul_f32 v11, v144, v149
	s_delay_alu instid0(VALU_DEP_1) | instskip(NEXT) | instid1(VALU_DEP_1)
	v_fmac_f32_e32 v11, v145, v148
	v_add_f32_e32 v9, v9, v11
	v_mul_f32_e32 v11, v150, v155
	s_delay_alu instid0(VALU_DEP_1) | instskip(NEXT) | instid1(VALU_DEP_1)
	v_fmac_f32_e32 v11, v151, v154
	v_dual_add_f32 v9, v9, v11 :: v_dual_mul_f32 v11, v152, v157
	s_delay_alu instid0(VALU_DEP_1) | instskip(NEXT) | instid1(VALU_DEP_1)
	v_fmac_f32_e32 v11, v153, v156
	v_add_f32_e32 v9, v9, v11
	v_mul_f32_e32 v11, v158, v163
	s_delay_alu instid0(VALU_DEP_1) | instskip(NEXT) | instid1(VALU_DEP_1)
	v_fmac_f32_e32 v11, v159, v162
	v_dual_add_f32 v9, v9, v11 :: v_dual_mul_f32 v11, v160, v165
	s_delay_alu instid0(VALU_DEP_1) | instskip(NEXT) | instid1(VALU_DEP_1)
	v_fmac_f32_e32 v11, v161, v164
	v_add_f32_e32 v9, v9, v11
	v_mul_f32_e32 v11, v166, v171
	s_delay_alu instid0(VALU_DEP_1) | instskip(NEXT) | instid1(VALU_DEP_1)
	v_fmac_f32_e32 v11, v167, v170
	v_dual_add_f32 v9, v9, v11 :: v_dual_mul_f32 v11, v168, v173
	s_delay_alu instid0(VALU_DEP_1) | instskip(NEXT) | instid1(VALU_DEP_1)
	v_fmac_f32_e32 v11, v169, v172
	v_add_f32_e32 v9, v9, v11
	v_mul_f32_e32 v11, v174, v179
	s_delay_alu instid0(VALU_DEP_1) | instskip(NEXT) | instid1(VALU_DEP_1)
	v_fmac_f32_e32 v11, v175, v178
	v_dual_add_f32 v9, v9, v11 :: v_dual_mul_f32 v11, v176, v181
	s_delay_alu instid0(VALU_DEP_1) | instskip(NEXT) | instid1(VALU_DEP_1)
	v_fmac_f32_e32 v11, v177, v180
	v_add_f32_e32 v9, v9, v11
	v_mul_f32_e32 v11, v182, v187
	s_delay_alu instid0(VALU_DEP_1) | instskip(NEXT) | instid1(VALU_DEP_1)
	v_fmac_f32_e32 v11, v183, v186
	v_dual_add_f32 v9, v9, v11 :: v_dual_mul_f32 v11, v184, v189
	s_delay_alu instid0(VALU_DEP_1) | instskip(NEXT) | instid1(VALU_DEP_1)
	v_fmac_f32_e32 v11, v185, v188
	v_add_f32_e32 v9, v9, v11
	v_mul_f32_e32 v11, v190, v195
	s_delay_alu instid0(VALU_DEP_1) | instskip(NEXT) | instid1(VALU_DEP_1)
	v_fmac_f32_e32 v11, v191, v194
	v_dual_add_f32 v9, v9, v11 :: v_dual_mul_f32 v11, v192, v197
	s_delay_alu instid0(VALU_DEP_1) | instskip(NEXT) | instid1(VALU_DEP_1)
	v_fmac_f32_e32 v11, v193, v196
	v_add_f32_e32 v9, v9, v11
	v_mul_f32_e32 v11, v198, v203
	s_delay_alu instid0(VALU_DEP_1) | instskip(NEXT) | instid1(VALU_DEP_1)
	v_fmac_f32_e32 v11, v199, v202
	v_dual_add_f32 v9, v9, v11 :: v_dual_mul_f32 v11, v200, v205
	s_delay_alu instid0(VALU_DEP_1) | instskip(NEXT) | instid1(VALU_DEP_1)
	v_fmac_f32_e32 v11, v201, v204
	v_add_f32_e32 v9, v9, v11
	v_mul_f32_e32 v11, v206, v211
	s_delay_alu instid0(VALU_DEP_1) | instskip(NEXT) | instid1(VALU_DEP_1)
	v_fmac_f32_e32 v11, v207, v210
	v_dual_add_f32 v9, v9, v11 :: v_dual_mul_f32 v11, v208, v213
	s_delay_alu instid0(VALU_DEP_1) | instskip(NEXT) | instid1(VALU_DEP_1)
	v_fmac_f32_e32 v11, v209, v212
	v_add_f32_e32 v9, v9, v11
	v_mul_f32_e32 v11, v214, v219
	s_delay_alu instid0(VALU_DEP_1) | instskip(NEXT) | instid1(VALU_DEP_1)
	v_fmac_f32_e32 v11, v215, v218
	v_dual_add_f32 v9, v9, v11 :: v_dual_mul_f32 v11, v216, v221
	s_delay_alu instid0(VALU_DEP_1) | instskip(NEXT) | instid1(VALU_DEP_1)
	v_fmac_f32_e32 v11, v217, v220
	v_add_f32_e32 v9, v9, v11
	v_mul_f32_e32 v11, v222, v227
	s_delay_alu instid0(VALU_DEP_1) | instskip(NEXT) | instid1(VALU_DEP_1)
	v_fmac_f32_e32 v11, v223, v226
	v_dual_add_f32 v9, v9, v11 :: v_dual_mul_f32 v11, v224, v229
	s_delay_alu instid0(VALU_DEP_1) | instskip(NEXT) | instid1(VALU_DEP_1)
	v_fmac_f32_e32 v11, v225, v228
	v_add_f32_e32 v9, v9, v11
	v_mul_f32_e32 v11, v230, v235
	s_delay_alu instid0(VALU_DEP_1) | instskip(NEXT) | instid1(VALU_DEP_1)
	v_fmac_f32_e32 v11, v231, v234
	v_dual_add_f32 v9, v9, v11 :: v_dual_mul_f32 v11, v232, v237
	s_delay_alu instid0(VALU_DEP_1) | instskip(NEXT) | instid1(VALU_DEP_1)
	v_fmac_f32_e32 v11, v233, v236
	v_add_f32_e32 v9, v9, v11
	v_mul_f32_e32 v11, v238, v243
	s_delay_alu instid0(VALU_DEP_1) | instskip(NEXT) | instid1(VALU_DEP_1)
	v_fmac_f32_e32 v11, v239, v242
	v_dual_add_f32 v9, v9, v11 :: v_dual_mul_f32 v11, v240, v245
	s_delay_alu instid0(VALU_DEP_1) | instskip(NEXT) | instid1(VALU_DEP_1)
	v_fmac_f32_e32 v11, v241, v244
	v_add_f32_e32 v9, v9, v11
	v_mul_f32_e32 v11, v246, v251
	s_delay_alu instid0(VALU_DEP_1) | instskip(NEXT) | instid1(VALU_DEP_1)
	v_fmac_f32_e32 v11, v247, v250
	v_dual_add_f32 v9, v9, v11 :: v_dual_mul_f32 v11, v248, v253
	s_delay_alu instid0(VALU_DEP_1) | instskip(NEXT) | instid1(VALU_DEP_1)
	v_fmac_f32_e32 v11, v249, v252
	v_add_f32_e32 v9, v9, v11
	s_set_vgpr_msb 4                        ;  msbs: dst=0 src0=0 src1=1 src2=0
	v_mul_f32_e32 v11, v254, v3 /*v259*/
	s_delay_alu instid0(VALU_DEP_1) | instskip(SKIP_1) | instid1(VALU_DEP_1)
	v_fmac_f32_e32 v11, v255, v2 /*v258*/
	s_set_vgpr_msb 64                       ;  msbs: dst=1 src0=0 src1=0 src2=0
	v_add_f32_e32 v27 /*v283*/, v9, v11
	s_set_vgpr_msb 0                        ;  msbs: dst=0 src0=0 src1=0 src2=0
	v_dual_mul_f32 v9, v111, v115 :: v_dual_mul_f32 v11, v113, v117
	s_delay_alu instid0(VALU_DEP_1) | instskip(NEXT) | instid1(VALU_DEP_1)
	v_dual_fma_f32 v9, v110, v114, -v9 :: v_dual_fma_f32 v11, v112, v116, -v11
	v_add_f32_e32 v9, 0, v9
	s_delay_alu instid0(VALU_DEP_1) | instskip(SKIP_1) | instid1(VALU_DEP_1)
	v_add_f32_e32 v9, v9, v11
	v_mul_f32_e32 v11, v119, v123
	v_fma_f32 v11, v118, v122, -v11
	s_delay_alu instid0(VALU_DEP_1) | instskip(SKIP_1) | instid1(VALU_DEP_1)
	v_add_f32_e32 v9, v9, v11
	v_mul_f32_e32 v11, v121, v125
	v_fma_f32 v11, v120, v124, -v11
	ds_load_2addr_b64 v[110:113], v7 offset0:101 offset1:102
	ds_load_2addr_b64 v[114:117], v7 offset0:103 offset1:104
	;; [unrolled: 1-line block ×3, first 2 shown]
	ds_load_b64 v[122:123], v7 offset:856
	v_add_f32_e32 v9, v9, v11
	v_mul_f32_e32 v11, v127, v131
	s_set_vgpr_msb 1                        ;  msbs: dst=0 src0=1 src1=0 src2=0
	v_mov_b32_e32 v127, v8 /*v264*/
	s_set_vgpr_msb 0                        ;  msbs: dst=0 src0=0 src1=0 src2=0
	s_delay_alu instid0(VALU_DEP_2) | instskip(SKIP_3) | instid1(VALU_DEP_2)
	v_fma_f32 v11, v126, v130, -v11
	s_set_vgpr_msb 1                        ;  msbs: dst=0 src0=1 src1=0 src2=0
	v_mov_b32_e32 v126, v9 /*v265*/
	s_set_vgpr_msb 0                        ;  msbs: dst=0 src0=0 src1=0 src2=0
	v_add_f32_e32 v9, v9, v11
	v_mul_f32_e32 v11, v129, v133
	s_delay_alu instid0(VALU_DEP_1) | instskip(SKIP_3) | instid1(VALU_DEP_2)
	v_fma_f32 v11, v128, v132, -v11
	s_set_vgpr_msb 1                        ;  msbs: dst=0 src0=1 src1=0 src2=0
	v_mov_b32_e32 v128, v13 /*v269*/
	s_set_vgpr_msb 0                        ;  msbs: dst=0 src0=0 src1=0 src2=0
	v_add_f32_e32 v9, v9, v11
	v_mul_f32_e32 v11, v135, v139
	s_delay_alu instid0(VALU_DEP_3) | instskip(NEXT) | instid1(VALU_DEP_2)
	v_pk_mul_f32 v[126:127], v[126:127], v[128:129] op_sel_hi:[1,0]
	v_fma_f32 v11, v134, v138, -v11
	s_set_vgpr_msb 5                        ;  msbs: dst=0 src0=1 src1=1 src2=0
	s_delay_alu instid0(VALU_DEP_2) | instskip(SKIP_3) | instid1(VALU_DEP_2)
	v_pk_fma_f32 v[128:129], v[8:9] /*v[264:265]*/, v[12:13] /*v[268:269]*/, v[126:127] neg_lo:[0,0,1] neg_hi:[0,0,1]
	v_pk_fma_f32 v[126:127], v[8:9] /*v[264:265]*/, v[12:13] /*v[268:269]*/, v[126:127] op_sel_hi:[1,0,1]
	s_set_vgpr_msb 0                        ;  msbs: dst=0 src0=0 src1=0 src2=0
	v_add_f32_e32 v9, v9, v11
	v_dual_mul_f32 v11, v137, v141 :: v_dual_mov_b32 v129, v127
	s_wait_loadcnt_dscnt 0x303
	s_set_vgpr_msb 4                        ;  msbs: dst=0 src0=0 src1=1 src2=0
	v_pk_mul_f32 v[126:127], v[110:111], v[14:15] /*v[270:271]*/ op_sel:[1,1] op_sel_hi:[0,1]
	s_set_vgpr_msb 0                        ;  msbs: dst=0 src0=0 src1=0 src2=0
	v_fma_f32 v11, v136, v140, -v11
	s_delay_alu instid0(VALU_DEP_1) | instskip(SKIP_1) | instid1(VALU_DEP_1)
	v_add_f32_e32 v9, v9, v11
	v_mul_f32_e32 v11, v143, v147
	v_fma_f32 v11, v142, v146, -v11
	s_delay_alu instid0(VALU_DEP_1) | instskip(SKIP_1) | instid1(VALU_DEP_1)
	v_add_f32_e32 v9, v9, v11
	v_mul_f32_e32 v11, v145, v149
	;; [unrolled: 4-line block ×28, first 2 shown]
	v_fma_f32 v11, v248, v252, -v11
	s_delay_alu instid0(VALU_DEP_1) | instskip(SKIP_2) | instid1(VALU_DEP_1)
	v_add_f32_e32 v9, v9, v11
	s_set_vgpr_msb 4                        ;  msbs: dst=0 src0=0 src1=1 src2=0
	v_mul_f32_e32 v11, v255, v3 /*v259*/
	v_fma_f32 v11, v254, v2 /*v258*/, -v11
	s_set_vgpr_msb 64                       ;  msbs: dst=1 src0=0 src1=0 src2=0
	s_delay_alu instid0(VALU_DEP_1) | instskip(SKIP_3) | instid1(VALU_DEP_1)
	v_add_f32_e32 v26 /*v282*/, v9, v11
	s_set_vgpr_msb 5                        ;  msbs: dst=0 src0=1 src1=1 src2=0
	v_mul_f32_e32 v9, v1 /*v257*/, v5 /*v261*/
	s_set_vgpr_msb 0x45                     ;  msbs: dst=1 src0=1 src1=1 src2=0
	v_fma_f32 v28 /*v284*/, v0 /*v256*/, v4 /*v260*/, -v9
	s_set_vgpr_msb 5                        ;  msbs: dst=0 src0=1 src1=1 src2=0
	v_mul_f32_e32 v9, v7 /*v263*/, v11 /*v267*/
	s_set_vgpr_msb 0x45                     ;  msbs: dst=1 src0=1 src1=1 src2=0
	s_delay_alu instid0(VALU_DEP_1) | instskip(SKIP_3) | instid1(VALU_DEP_1)
	v_fma_f32 v30 /*v286*/, v6 /*v262*/, v10 /*v266*/, -v9
	s_set_vgpr_msb 5                        ;  msbs: dst=0 src0=1 src1=1 src2=0
	v_pk_add_f32 v[124:125], v[26:27] /*v[282:283]*/, v[28:29] /*v[284:285]*/
	s_set_vgpr_msb 4                        ;  msbs: dst=0 src0=0 src1=1 src2=0
	v_pk_add_f32 v[124:125], v[124:125], v[30:31] /*v[286:287]*/
	s_set_vgpr_msb 0                        ;  msbs: dst=0 src0=0 src1=0 src2=0
	s_delay_alu instid0(VALU_DEP_1)
	v_pk_add_f32 v[124:125], v[124:125], v[128:129]
	s_set_vgpr_msb 4                        ;  msbs: dst=0 src0=0 src1=1 src2=0
	v_pk_fma_f32 v[128:129], v[110:111], v[14:15] /*v[270:271]*/, v[126:127] neg_lo:[0,0,1] neg_hi:[0,0,1]
	v_pk_fma_f32 v[110:111], v[110:111], v[14:15] /*v[270:271]*/, v[126:127] op_sel_hi:[1,0,1]
	s_set_vgpr_msb 1                        ;  msbs: dst=0 src0=1 src1=0 src2=0
	v_mov_b32_e32 v126, v17 /*v273*/
	s_set_vgpr_msb 0                        ;  msbs: dst=0 src0=0 src1=0 src2=0
	s_delay_alu instid0(VALU_DEP_2) | instskip(NEXT) | instid1(VALU_DEP_1)
	v_mov_b32_e32 v129, v111
	v_pk_add_f32 v[110:111], v[124:125], v[128:129]
	v_dual_mov_b32 v124, v113 :: v_dual_mov_b32 v125, v112
	s_delay_alu instid0(VALU_DEP_1) | instskip(SKIP_1) | instid1(VALU_DEP_1)
	v_pk_mul_f32 v[124:125], v[124:125], v[126:127] op_sel_hi:[1,0]
	s_set_vgpr_msb 4                        ;  msbs: dst=0 src0=0 src1=1 src2=0
	v_pk_fma_f32 v[126:127], v[112:113], v[16:17] /*v[272:273]*/, v[124:125] neg_lo:[0,0,1] neg_hi:[0,0,1]
	v_pk_fma_f32 v[112:113], v[112:113], v[16:17] /*v[272:273]*/, v[124:125] op_sel_hi:[1,0,1]
	s_delay_alu instid0(VALU_DEP_1) | instskip(SKIP_3) | instid1(VALU_DEP_2)
	v_mov_b32_e32 v127, v113
	s_wait_loadcnt_dscnt 0x202
	v_pk_mul_f32 v[112:113], v[114:115], v[18:19] /*v[274:275]*/ op_sel:[1,1] op_sel_hi:[0,1]
	s_set_vgpr_msb 0                        ;  msbs: dst=0 src0=0 src1=0 src2=0
	v_pk_add_f32 v[110:111], v[110:111], v[126:127]
	s_set_vgpr_msb 4                        ;  msbs: dst=0 src0=0 src1=1 src2=0
	s_delay_alu instid0(VALU_DEP_2)
	v_pk_fma_f32 v[124:125], v[114:115], v[18:19] /*v[274:275]*/, v[112:113] neg_lo:[0,0,1] neg_hi:[0,0,1]
	v_pk_fma_f32 v[112:113], v[114:115], v[18:19] /*v[274:275]*/, v[112:113] op_sel_hi:[1,0,1]
	v_mov_b32_e32 v112, v117
	s_set_vgpr_msb 1                        ;  msbs: dst=0 src0=1 src1=0 src2=0
	v_mov_b32_e32 v114, v21 /*v277*/
	s_set_vgpr_msb 0                        ;  msbs: dst=0 src0=0 src1=0 src2=0
	v_dual_mov_b32 v125, v113 :: v_dual_mov_b32 v113, v116
	s_delay_alu instid0(VALU_DEP_1) | instskip(NEXT) | instid1(VALU_DEP_2)
	v_pk_add_f32 v[110:111], v[110:111], v[124:125]
	v_pk_mul_f32 v[112:113], v[112:113], v[114:115] op_sel_hi:[1,0]
	s_set_vgpr_msb 4                        ;  msbs: dst=0 src0=0 src1=1 src2=0
	s_delay_alu instid0(VALU_DEP_1) | instskip(SKIP_1) | instid1(VALU_DEP_1)
	v_pk_fma_f32 v[114:115], v[116:117], v[20:21] /*v[276:277]*/, v[112:113] neg_lo:[0,0,1] neg_hi:[0,0,1]
	v_pk_fma_f32 v[112:113], v[116:117], v[20:21] /*v[276:277]*/, v[112:113] op_sel_hi:[1,0,1]
	v_mov_b32_e32 v115, v113
	s_wait_loadcnt_dscnt 0x101
	v_pk_mul_f32 v[112:113], v[118:119], v[22:23] /*v[278:279]*/ op_sel:[1,1] op_sel_hi:[0,1]
	s_set_vgpr_msb 0                        ;  msbs: dst=0 src0=0 src1=0 src2=0
	s_delay_alu instid0(VALU_DEP_2) | instskip(SKIP_1) | instid1(VALU_DEP_2)
	v_pk_add_f32 v[110:111], v[110:111], v[114:115]
	s_set_vgpr_msb 4                        ;  msbs: dst=0 src0=0 src1=1 src2=0
	v_pk_fma_f32 v[114:115], v[118:119], v[22:23] /*v[278:279]*/, v[112:113] neg_lo:[0,0,1] neg_hi:[0,0,1]
	v_pk_fma_f32 v[112:113], v[118:119], v[22:23] /*v[278:279]*/, v[112:113] op_sel_hi:[1,0,1]
	s_delay_alu instid0(VALU_DEP_1) | instskip(SKIP_2) | instid1(VALU_DEP_2)
	v_dual_mov_b32 v112, v121 :: v_dual_mov_b32 v115, v113
	v_mov_b32_e32 v113, v120
	s_set_vgpr_msb 0                        ;  msbs: dst=0 src0=0 src1=0 src2=0
	v_pk_add_f32 v[110:111], v[110:111], v[114:115]
	s_set_vgpr_msb 1                        ;  msbs: dst=0 src0=1 src1=0 src2=0
	v_mov_b32_e32 v114, v25 /*v281*/
	s_set_vgpr_msb 0                        ;  msbs: dst=0 src0=0 src1=0 src2=0
	s_delay_alu instid0(VALU_DEP_1) | instskip(SKIP_1) | instid1(VALU_DEP_1)
	v_pk_mul_f32 v[112:113], v[112:113], v[114:115] op_sel_hi:[1,0]
	s_set_vgpr_msb 4                        ;  msbs: dst=0 src0=0 src1=1 src2=0
	v_pk_fma_f32 v[114:115], v[120:121], v[24:25] /*v[280:281]*/, v[112:113] neg_lo:[0,0,1] neg_hi:[0,0,1]
	v_pk_fma_f32 v[112:113], v[120:121], v[24:25] /*v[280:281]*/, v[112:113] op_sel_hi:[1,0,1]
	s_delay_alu instid0(VALU_DEP_1) | instskip(SKIP_3) | instid1(VALU_DEP_2)
	v_mov_b32_e32 v115, v113
	s_wait_loadcnt_dscnt 0x0
	v_pk_mul_f32 v[112:113], v[122:123], v[32:33] /*v[288:289]*/ op_sel:[1,1] op_sel_hi:[0,1]
	s_set_vgpr_msb 0                        ;  msbs: dst=0 src0=0 src1=0 src2=0
	v_pk_add_f32 v[110:111], v[110:111], v[114:115]
	s_set_vgpr_msb 4                        ;  msbs: dst=0 src0=0 src1=1 src2=0
	s_delay_alu instid0(VALU_DEP_2) | instskip(SKIP_1) | instid1(VALU_DEP_1)
	v_pk_fma_f32 v[114:115], v[122:123], v[32:33] /*v[288:289]*/, v[112:113] neg_lo:[0,0,1] neg_hi:[0,0,1]
	v_pk_fma_f32 v[112:113], v[122:123], v[32:33] /*v[288:289]*/, v[112:113] op_sel_hi:[1,0,1]
	v_mov_b32_e32 v115, v113
	scratch_load_b64 v[112:113], off, off offset:48
	s_set_vgpr_msb 0                        ;  msbs: dst=0 src0=0 src1=0 src2=0
	v_pk_add_f32 v[110:111], v[110:111], v[114:115]
	s_wait_loadcnt 0x0
	s_delay_alu instid0(VALU_DEP_1)
	v_pk_add_f32 v[110:111], v[112:113], v[110:111] neg_lo:[0,1] neg_hi:[0,1]
	scratch_store_b64 off, v[110:111], off offset:48
	s_wait_xcnt 0x0
	v_cmpx_lt_u32_e32 5, v0
	s_cbranch_execz .LBB117_327
; %bb.326:
	scratch_load_b64 v[110:111], off, off offset:40
	v_mov_b64_e32 v[112:113], 0
	scratch_store_b64 off, v[112:113], off offset:40
	s_wait_loadcnt 0x0
	ds_store_b64 v1, v[110:111]
.LBB117_327:
	s_wait_xcnt 0x0
	s_or_b32 exec_lo, exec_lo, s0
	s_wait_storecnt_dscnt 0x0
	s_barrier_signal -1
	s_barrier_wait -1
	s_clause 0x17
	scratch_load_b128 v[110:113], off, off offset:48
	scratch_load_b128 v[114:117], off, off offset:64
	;; [unrolled: 1-line block ×24, first 2 shown]
	ds_load_b128 v[206:209], v7 offset:480
	ds_load_b128 v[210:213], v7 offset:496
	;; [unrolled: 1-line block ×6, first 2 shown]
	s_set_vgpr_msb 64                       ;  msbs: dst=1 src0=0 src1=0 src2=0
	scratch_load_b64 v[46:47] /*v[302:303]*/, off, off offset:40
	s_set_vgpr_msb 0                        ;  msbs: dst=0 src0=0 src1=0 src2=0
	ds_load_b128 v[230:233], v7 offset:544
	ds_load_b128 v[234:237], v7 offset:560
	;; [unrolled: 1-line block ×7, first 2 shown]
	s_set_vgpr_msb 64                       ;  msbs: dst=1 src0=0 src1=0 src2=0
	ds_load_b128 v[2:5] /*v[258:261]*/, v7 offset:624
	ds_load_b128 v[6:9] /*v[262:265]*/, v7 offset:640
	;; [unrolled: 1-line block ×11, first 2 shown]
	s_mov_b32 s0, exec_lo
	s_wait_dscnt 0xf
	v_dual_mov_b32 v52 /*v308*/, v241 :: v_dual_mov_b32 v53 /*v309*/, v240
	s_wait_dscnt 0xe
	v_dual_mov_b32 v54 /*v310*/, v245 :: v_dual_mov_b32 v55 /*v311*/, v244
	v_dual_mov_b32 v48 /*v304*/, v225 :: v_dual_mov_b32 v49 /*v305*/, v224
	;; [unrolled: 1-line block ×3, first 2 shown]
	s_wait_loadcnt 0x18
	s_set_vgpr_msb 0                        ;  msbs: dst=0 src0=0 src1=0 src2=0
	v_dual_mul_f32 v7, v206, v111 :: v_dual_mul_f32 v9, v208, v113
	s_wait_loadcnt 0x17
	v_dual_mul_f32 v83, v207, v111 :: v_dual_mul_f32 v89, v213, v117
	v_dual_mul_f32 v11, v210, v115 :: v_dual_mul_f32 v13, v212, v117
	s_delay_alu instid0(VALU_DEP_3)
	v_dual_fmac_f32 v7, v207, v110 :: v_dual_fmac_f32 v9, v209, v112
	s_wait_loadcnt_dscnt 0x100b
	v_dual_mul_f32 v39, v254, v143 :: v_dual_mul_f32 v85, v209, v113
	v_dual_mul_f32 v87, v211, v115 :: v_dual_mul_f32 v93, v217, v121
	v_dual_mul_f32 v91, v215, v119 :: v_dual_fma_f32 v83, v206, v110, -v83
	v_add_f32_e32 v7, 0, v7
	s_delay_alu instid0(VALU_DEP_4)
	v_dual_mul_f32 v95, v219, v123 :: v_dual_fma_f32 v85, v208, v112, -v85
	v_dual_fmac_f32 v11, v211, v114 :: v_dual_fmac_f32 v13, v213, v116
	s_wait_loadcnt_dscnt 0x601
	s_set_vgpr_msb 1                        ;  msbs: dst=0 src0=1 src1=0 src2=0
	v_dual_mul_f32 v81, v40 /*v296*/, v185 :: v_dual_add_f32 v83, 0, v83
	s_set_vgpr_msb 0                        ;  msbs: dst=0 src0=0 src1=0 src2=0
	v_dual_mul_f32 v97, v221, v125 :: v_dual_fma_f32 v87, v210, v114, -v87
	v_dual_add_f32 v7, v7, v9 :: v_dual_mul_f32 v15, v214, v119
	v_mul_f32_e32 v17, v216, v121
	v_dual_add_f32 v9, v83, v85 :: v_dual_fma_f32 v85, v212, v116, -v89
	s_delay_alu instid0(VALU_DEP_3) | instskip(NEXT) | instid1(VALU_DEP_4)
	v_add_f32_e32 v7, v7, v11
	v_dual_fmac_f32 v15, v215, v118 :: v_dual_mul_f32 v19, v218, v123
	s_delay_alu instid0(VALU_DEP_3) | instskip(NEXT) | instid1(VALU_DEP_3)
	v_dual_mul_f32 v21, v220, v125 :: v_dual_add_f32 v9, v9, v87
	v_dual_fma_f32 v87, v214, v118, -v91 :: v_dual_add_f32 v7, v7, v13
	v_dual_fmac_f32 v17, v217, v120 :: v_dual_mul_f32 v13, v235, v131
	s_delay_alu instid0(VALU_DEP_3) | instskip(NEXT) | instid1(VALU_DEP_3)
	v_dual_add_f32 v9, v9, v85 :: v_dual_fma_f32 v85, v216, v120, -v93
	v_add_f32_e32 v7, v7, v15
	v_dual_fmac_f32 v19, v219, v122 :: v_dual_mul_f32 v23, v230, v127
	s_delay_alu instid0(VALU_DEP_3) | instskip(NEXT) | instid1(VALU_DEP_3)
	v_dual_mul_f32 v25, v232, v129 :: v_dual_add_f32 v9, v9, v87
	v_dual_add_f32 v7, v7, v17 :: v_dual_fmac_f32 v21, v221, v124
	v_dual_mul_f32 v15, v237, v133 :: v_dual_fma_f32 v87, v218, v122, -v95
	s_delay_alu instid0(VALU_DEP_3) | instskip(NEXT) | instid1(VALU_DEP_3)
	v_dual_add_f32 v9, v9, v85 :: v_dual_mul_f32 v17, v247, v135
	v_dual_fma_f32 v85, v220, v124, -v97 :: v_dual_add_f32 v7, v7, v19
	v_dual_mul_f32 v83, v231, v127 :: v_dual_mul_f32 v11, v233, v129
	s_delay_alu instid0(VALU_DEP_3) | instskip(NEXT) | instid1(VALU_DEP_3)
	v_dual_add_f32 v9, v9, v87 :: v_dual_fmac_f32 v23, v231, v126
	v_dual_add_f32 v7, v7, v21 :: v_dual_fmac_f32 v25, v233, v128
	v_dual_mul_f32 v27, v234, v131 :: v_dual_mul_f32 v29, v236, v133
	s_delay_alu instid0(VALU_DEP_4) | instskip(NEXT) | instid1(VALU_DEP_4)
	v_dual_mul_f32 v19, v249, v137 :: v_dual_fma_f32 v83, v230, v126, -v83
	v_dual_add_f32 v9, v9, v85 :: v_dual_mul_f32 v21, v251, v139
	s_delay_alu instid0(VALU_DEP_4) | instskip(NEXT) | instid1(VALU_DEP_2)
	v_dual_fma_f32 v11, v232, v128, -v11 :: v_dual_add_f32 v7, v7, v23
	v_dual_fmac_f32 v27, v235, v130 :: v_dual_add_f32 v9, v9, v83
	v_dual_mul_f32 v31, v246, v135 :: v_dual_mul_f32 v33, v248, v137
	s_delay_alu instid0(VALU_DEP_3) | instskip(SKIP_1) | instid1(VALU_DEP_4)
	v_add_f32_e32 v7, v7, v25
	v_dual_mul_f32 v23, v253, v141 :: v_dual_fma_f32 v13, v234, v130, -v13
	v_add_f32_e32 v9, v9, v11
	v_dual_mul_f32 v11, v255, v143 :: v_dual_fmac_f32 v29, v237, v132
	s_delay_alu instid0(VALU_DEP_4) | instskip(NEXT) | instid1(VALU_DEP_3)
	v_dual_fma_f32 v15, v236, v132, -v15 :: v_dual_add_f32 v7, v7, v27
	v_dual_add_f32 v9, v9, v13 :: v_dual_fmac_f32 v31, v247, v134
	v_fma_f32 v17, v246, v134, -v17
	v_dual_mul_f32 v35, v250, v139 :: v_dual_mul_f32 v37, v252, v141
	s_delay_alu instid0(VALU_DEP_3) | instskip(SKIP_1) | instid1(VALU_DEP_3)
	v_dual_add_f32 v7, v7, v29 :: v_dual_add_f32 v9, v9, v15
	v_dual_fma_f32 v19, v248, v136, -v19 :: v_dual_fmac_f32 v33, v249, v136
	v_fmac_f32_e32 v35, v251, v138
	s_delay_alu instid0(VALU_DEP_3)
	v_dual_add_f32 v7, v7, v31 :: v_dual_add_f32 v9, v9, v17
	v_fma_f32 v21, v250, v138, -v21
	s_set_vgpr_msb 1                        ;  msbs: dst=0 src0=1 src1=0 src2=0
	v_dual_mul_f32 v41, v0 /*v256*/, v145 :: v_dual_mul_f32 v43, v2 /*v258*/, v147
	s_set_vgpr_msb 0                        ;  msbs: dst=0 src0=0 src1=0 src2=0
	v_dual_add_f32 v7, v7, v33 :: v_dual_add_f32 v9, v9, v19
	v_dual_fma_f32 v23, v252, v140, -v23 :: v_dual_fmac_f32 v37, v253, v140
	s_set_vgpr_msb 1                        ;  msbs: dst=0 src0=1 src1=0 src2=0
	v_dual_mul_f32 v13, v1 /*v257*/, v145 :: v_dual_mul_f32 v15, v3 /*v259*/, v147
	s_set_vgpr_msb 0                        ;  msbs: dst=0 src0=0 src1=0 src2=0
	v_dual_add_f32 v7, v7, v35 :: v_dual_add_f32 v9, v9, v21
	v_fmac_f32_e32 v39, v255, v142
	v_fma_f32 v11, v254, v142, -v11
	s_set_vgpr_msb 1                        ;  msbs: dst=0 src0=1 src1=0 src2=0
	v_dual_fmac_f32 v41, v1 /*v257*/, v144 :: v_dual_fmac_f32 v43, v3 /*v259*/, v146
	s_set_vgpr_msb 0                        ;  msbs: dst=0 src0=0 src1=0 src2=0
	v_add_f32_e32 v7, v7, v37
	s_set_vgpr_msb 1                        ;  msbs: dst=0 src0=1 src1=0 src2=0
	v_fma_f32 v13, v0 /*v256*/, v144, -v13
	v_dual_mul_f32 v45, v4 /*v260*/, v149 :: v_dual_mul_f32 v47, v6 /*v262*/, v151
	v_dual_mul_f32 v17, v5 /*v261*/, v149 :: v_dual_mul_f32 v19, v7 /*v263*/, v151
	s_set_vgpr_msb 0                        ;  msbs: dst=0 src0=0 src1=0 src2=0
	v_add_f32_e32 v7, v7, v39
	v_add_f32_e32 v9, v9, v23
	s_set_vgpr_msb 1                        ;  msbs: dst=0 src0=1 src1=0 src2=0
	v_dual_fmac_f32 v45, v5 /*v261*/, v148 :: v_dual_fmac_f32 v47, v7 /*v263*/, v150
	v_fma_f32 v17, v4 /*v260*/, v148, -v17
	s_set_vgpr_msb 0                        ;  msbs: dst=0 src0=0 src1=0 src2=0
	v_add_f32_e32 v7, v7, v41
	s_set_vgpr_msb 1                        ;  msbs: dst=0 src0=1 src1=0 src2=0
	v_dual_mul_f32 v49, v8 /*v264*/, v153 :: v_dual_mul_f32 v51, v10 /*v266*/, v155
	v_dual_mul_f32 v21, v9 /*v265*/, v153 :: v_dual_mul_f32 v23, v11 /*v267*/, v155
	s_set_vgpr_msb 0                        ;  msbs: dst=0 src0=0 src1=0 src2=0
	v_add_f32_e32 v7, v7, v43
	v_add_f32_e32 v9, v9, v11
	s_set_vgpr_msb 1                        ;  msbs: dst=0 src0=1 src1=0 src2=0
	v_dual_mul_f32 v11, v13 /*v269*/, v157 :: v_dual_fma_f32 v15, v2 /*v258*/, v146, -v15
	v_dual_fmac_f32 v49, v9 /*v265*/, v152 :: v_dual_fmac_f32 v51, v11 /*v267*/, v154
	s_set_vgpr_msb 0                        ;  msbs: dst=0 src0=0 src1=0 src2=0
	v_add_f32_e32 v7, v7, v45
	v_add_f32_e32 v9, v9, v13
	s_set_vgpr_msb 1                        ;  msbs: dst=0 src0=1 src1=0 src2=0
	v_fma_f32 v21, v8 /*v264*/, v152, -v21
	v_dual_mul_f32 v53, v12 /*v268*/, v157 :: v_dual_mul_f32 v55, v14 /*v270*/, v159
	s_set_vgpr_msb 0                        ;  msbs: dst=0 src0=0 src1=0 src2=0
	v_add_f32_e32 v7, v7, v47
	s_set_vgpr_msb 1                        ;  msbs: dst=0 src0=1 src1=0 src2=0
	v_mul_f32_e32 v13, v15 /*v271*/, v159
	s_set_vgpr_msb 0                        ;  msbs: dst=0 src0=0 src1=0 src2=0
	v_add_f32_e32 v9, v9, v15
	s_set_vgpr_msb 1                        ;  msbs: dst=0 src0=1 src1=0 src2=0
	v_dual_mul_f32 v15, v17 /*v273*/, v161 :: v_dual_fma_f32 v19, v6 /*v262*/, v150, -v19
	s_set_vgpr_msb 0                        ;  msbs: dst=0 src0=0 src1=0 src2=0
	v_add_f32_e32 v7, v7, v49
	s_set_vgpr_msb 1                        ;  msbs: dst=0 src0=1 src1=0 src2=0
	v_dual_fmac_f32 v53, v13 /*v269*/, v156 :: v_dual_fma_f32 v11, v12 /*v268*/, v156, -v11
	s_set_vgpr_msb 0                        ;  msbs: dst=0 src0=0 src1=0 src2=0
	v_add_f32_e32 v9, v9, v17
	s_set_vgpr_msb 1                        ;  msbs: dst=0 src0=1 src1=0 src2=0
	v_dual_fmac_f32 v55, v15 /*v271*/, v158 :: v_dual_fma_f32 v13, v14 /*v270*/, v158, -v13
	s_set_vgpr_msb 0                        ;  msbs: dst=0 src0=0 src1=0 src2=0
	v_add_f32_e32 v7, v7, v51
	s_set_vgpr_msb 1                        ;  msbs: dst=0 src0=1 src1=0 src2=0
	v_dual_mul_f32 v57, v16 /*v272*/, v161 :: v_dual_mul_f32 v59, v18 /*v274*/, v163
	v_mul_f32_e32 v17, v19 /*v275*/, v163
	s_set_vgpr_msb 0                        ;  msbs: dst=0 src0=0 src1=0 src2=0
	v_dual_add_f32 v9, v9, v19 :: v_dual_add_f32 v7, v7, v53
	s_set_vgpr_msb 1                        ;  msbs: dst=0 src0=1 src1=0 src2=0
	v_dual_mul_f32 v19, v21 /*v277*/, v165 :: v_dual_fma_f32 v23, v10 /*v266*/, v154, -v23
	v_dual_fmac_f32 v57, v17 /*v273*/, v160 :: v_dual_fma_f32 v15, v16 /*v272*/, v160, -v15
	s_set_vgpr_msb 0                        ;  msbs: dst=0 src0=0 src1=0 src2=0
	v_add_f32_e32 v9, v9, v21
	s_set_vgpr_msb 1                        ;  msbs: dst=0 src0=1 src1=0 src2=0
	v_dual_fmac_f32 v59, v19 /*v275*/, v162 :: v_dual_fma_f32 v17, v18 /*v274*/, v162, -v17
	s_set_vgpr_msb 0                        ;  msbs: dst=0 src0=0 src1=0 src2=0
	v_add_f32_e32 v7, v7, v55
	s_set_vgpr_msb 1                        ;  msbs: dst=0 src0=1 src1=0 src2=0
	v_dual_mul_f32 v61, v20 /*v276*/, v165 :: v_dual_mul_f32 v63, v22 /*v278*/, v167
	v_mul_f32_e32 v21, v23 /*v279*/, v167
	s_set_vgpr_msb 0                        ;  msbs: dst=0 src0=0 src1=0 src2=0
	v_dual_add_f32 v9, v9, v23 :: v_dual_add_f32 v7, v7, v57
	s_set_vgpr_msb 1                        ;  msbs: dst=0 src0=1 src1=0 src2=0
	v_dual_fmac_f32 v61, v21 /*v277*/, v164 :: v_dual_fma_f32 v19, v20 /*v276*/, v164, -v19
	v_dual_fmac_f32 v63, v23 /*v279*/, v166 :: v_dual_fma_f32 v21, v22 /*v278*/, v166, -v21
	s_set_vgpr_msb 0                        ;  msbs: dst=0 src0=0 src1=0 src2=0
	v_add_f32_e32 v7, v7, v59
	s_set_vgpr_msb 1                        ;  msbs: dst=0 src0=1 src1=0 src2=0
	v_dual_mul_f32 v65, v24 /*v280*/, v169 :: v_dual_mul_f32 v67, v26 /*v282*/, v171
	s_set_vgpr_msb 0                        ;  msbs: dst=0 src0=0 src1=0 src2=0
	v_add_f32_e32 v9, v9, v11
	s_set_vgpr_msb 1                        ;  msbs: dst=0 src0=1 src1=0 src2=0
	v_dual_mul_f32 v23, v25 /*v281*/, v169 :: v_dual_mul_f32 v11, v27 /*v283*/, v171
	s_set_vgpr_msb 0                        ;  msbs: dst=0 src0=0 src1=0 src2=0
	v_add_f32_e32 v7, v7, v61
	s_set_vgpr_msb 1                        ;  msbs: dst=0 src0=1 src1=0 src2=0
	v_fmac_f32_e32 v65, v25 /*v281*/, v168
	s_set_vgpr_msb 0                        ;  msbs: dst=0 src0=0 src1=0 src2=0
	v_add_f32_e32 v9, v9, v13
	s_set_vgpr_msb 1                        ;  msbs: dst=0 src0=1 src1=0 src2=0
	v_dual_mul_f32 v69, v28 /*v284*/, v173 :: v_dual_mul_f32 v71, v30 /*v286*/, v175
	s_set_vgpr_msb 0                        ;  msbs: dst=0 src0=0 src1=0 src2=0
	v_add_f32_e32 v7, v7, v63
	s_set_vgpr_msb 1                        ;  msbs: dst=0 src0=1 src1=0 src2=0
	v_fma_f32 v23, v24 /*v280*/, v168, -v23
	s_set_vgpr_msb 0                        ;  msbs: dst=0 src0=0 src1=0 src2=0
	v_add_f32_e32 v9, v9, v15
	s_set_vgpr_msb 1                        ;  msbs: dst=0 src0=1 src1=0 src2=0
	v_dual_fmac_f32 v67, v27 /*v283*/, v170 :: v_dual_fmac_f32 v69, v29 /*v285*/, v172
	s_set_vgpr_msb 0                        ;  msbs: dst=0 src0=0 src1=0 src2=0
	v_add_f32_e32 v7, v7, v65
	s_set_vgpr_msb 1                        ;  msbs: dst=0 src0=1 src1=0 src2=0
	v_dual_mul_f32 v73, v32 /*v288*/, v177 :: v_dual_mul_f32 v75, v34 /*v290*/, v179
	s_set_vgpr_msb 0                        ;  msbs: dst=0 src0=0 src1=0 src2=0
	v_add_f32_e32 v9, v9, v17
	s_set_vgpr_msb 1                        ;  msbs: dst=0 src0=1 src1=0 src2=0
	v_fmac_f32_e32 v71, v31 /*v287*/, v174
	s_set_vgpr_msb 0                        ;  msbs: dst=0 src0=0 src1=0 src2=0
	v_add_f32_e32 v7, v7, v67
	s_set_vgpr_msb 1                        ;  msbs: dst=0 src0=1 src1=0 src2=0
	v_dual_fmac_f32 v73, v33 /*v289*/, v176 :: v_dual_mul_f32 v77, v36 /*v292*/, v181
	v_mul_f32_e32 v79, v38 /*v294*/, v183
	s_set_vgpr_msb 0                        ;  msbs: dst=0 src0=0 src1=0 src2=0
	v_dual_add_f32 v9, v9, v19 :: v_dual_add_f32 v7, v7, v69
	s_set_vgpr_msb 1                        ;  msbs: dst=0 src0=1 src1=0 src2=0
	v_dual_mul_f32 v13, v29 /*v285*/, v173 :: v_dual_mul_f32 v15, v31 /*v287*/, v175
	v_fma_f32 v11, v26 /*v282*/, v170, -v11
	s_set_vgpr_msb 0                        ;  msbs: dst=0 src0=0 src1=0 src2=0
	v_dual_add_f32 v9, v9, v21 :: v_dual_add_f32 v7, v7, v71
	s_wait_loadcnt 0x4
	v_mov_b32_e32 v112, v193
	s_set_vgpr_msb 1                        ;  msbs: dst=0 src0=1 src1=0 src2=0
	v_dual_mul_f32 v21, v37 /*v293*/, v181 :: v_dual_fmac_f32 v75, v35 /*v291*/, v178
	v_fmac_f32_e32 v77, v37 /*v293*/, v180
	s_set_vgpr_msb 0                        ;  msbs: dst=0 src0=0 src1=0 src2=0
	v_dual_add_f32 v9, v9, v23 :: v_dual_add_f32 v7, v7, v73
	s_set_vgpr_msb 1                        ;  msbs: dst=0 src0=1 src1=0 src2=0
	v_dual_mul_f32 v23, v39 /*v295*/, v183 :: v_dual_fma_f32 v13, v28 /*v284*/, v172, -v13
	v_dual_mul_f32 v17, v33 /*v289*/, v177 :: v_dual_mul_f32 v19, v35 /*v291*/, v179
	s_set_vgpr_msb 0                        ;  msbs: dst=0 src0=0 src1=0 src2=0
	v_add_f32_e32 v7, v7, v75
	v_add_f32_e32 v9, v9, v11
	s_set_vgpr_msb 1                        ;  msbs: dst=0 src0=1 src1=0 src2=0
	v_dual_mul_f32 v11, v41 /*v297*/, v185 :: v_dual_fma_f32 v15, v30 /*v286*/, v174, -v15
	v_dual_fmac_f32 v79, v39 /*v295*/, v182 :: v_dual_fmac_f32 v81, v41 /*v297*/, v184
	s_set_vgpr_msb 0                        ;  msbs: dst=0 src0=0 src1=0 src2=0
	v_add_f32_e32 v7, v7, v77
	v_add_f32_e32 v9, v9, v13
	s_wait_dscnt 0x0
	s_set_vgpr_msb 1                        ;  msbs: dst=0 src0=1 src1=0 src2=0
	v_dual_mul_f32 v13, v43 /*v299*/, v187 :: v_dual_fma_f32 v17, v32 /*v288*/, v176, -v17
	s_wait_loadcnt 0x3
	s_set_vgpr_msb 0                        ;  msbs: dst=0 src0=0 src1=0 src2=0
	v_dual_mov_b32 v116, v197 :: v_dual_add_f32 v7, v7, v79
	v_add_f32_e32 v9, v9, v15
	s_set_vgpr_msb 1                        ;  msbs: dst=0 src0=1 src1=0 src2=0
	v_dual_mul_f32 v15, v45 /*v301*/, v189 :: v_dual_fma_f32 v19, v34 /*v290*/, v178, -v19
	s_set_vgpr_msb 0x41                     ;  msbs: dst=1 src0=1 src1=0 src2=0
	v_dual_mul_f32 v57 /*v313*/, v42 /*v298*/, v187 :: v_dual_mul_f32 v59 /*v315*/, v44 /*v300*/, v189
	s_set_vgpr_msb 0                        ;  msbs: dst=0 src0=0 src1=0 src2=0
	v_add_f32_e32 v119, v7, v81
	v_add_f32_e32 v9, v9, v17
	s_set_vgpr_msb 1                        ;  msbs: dst=0 src0=1 src1=0 src2=0
	v_fma_f32 v17, v36 /*v292*/, v180, -v21
	v_fma_f32 v11, v40 /*v296*/, v184, -v11
	s_set_vgpr_msb 0                        ;  msbs: dst=0 src0=0 src1=0 src2=0
	v_pk_mul_f32 v[110:111], v[222:223], v[190:191] op_sel:[1,1] op_sel_hi:[0,1]
	s_set_vgpr_msb 0x41                     ;  msbs: dst=1 src0=1 src1=0 src2=0
	v_dual_fmac_f32 v57 /*v313*/, v43 /*v299*/, v186 :: v_dual_fmac_f32 v59 /*v315*/, v45 /*v301*/, v188
	s_set_vgpr_msb 0                        ;  msbs: dst=0 src0=0 src1=0 src2=0
	v_add_f32_e32 v9, v9, v19
	s_set_vgpr_msb 1                        ;  msbs: dst=0 src0=1 src1=0 src2=0
	v_fma_f32 v19, v38 /*v294*/, v182, -v23
	s_set_vgpr_msb 0x41                     ;  msbs: dst=1 src0=1 src1=0 src2=0
	v_dual_fma_f32 v56 /*v312*/, v42 /*v298*/, v186, -v13 :: v_dual_fma_f32 v58 /*v314*/, v44 /*v300*/, v188, -v15
	s_set_vgpr_msb 0                        ;  msbs: dst=0 src0=0 src1=0 src2=0
	v_pk_fma_f32 v[120:121], v[222:223], v[190:191], v[110:111] op_sel_hi:[1,0,1]
	v_add_f32_e32 v9, v9, v17
	s_set_vgpr_msb 1                        ;  msbs: dst=0 src0=1 src1=0 src2=0
	v_pk_mul_f32 v[112:113], v[48:49] /*v[304:305]*/, v[112:113] op_sel_hi:[1,0]
	s_set_vgpr_msb 0                        ;  msbs: dst=0 src0=0 src1=0 src2=0
	v_pk_fma_f32 v[110:111], v[222:223], v[190:191], v[110:111] neg_lo:[0,0,1] neg_hi:[0,0,1]
	v_pk_mul_f32 v[114:115], v[226:227], v[194:195] op_sel:[1,1] op_sel_hi:[0,1]
	v_mov_b32_e32 v111, v121
	v_add_f32_e32 v9, v9, v19
	v_pk_fma_f32 v[120:121], v[224:225], v[192:193], v[112:113] op_sel_hi:[1,0,1]
	v_pk_fma_f32 v[112:113], v[224:225], v[192:193], v[112:113] neg_lo:[0,0,1] neg_hi:[0,0,1]
	v_pk_fma_f32 v[124:125], v[226:227], v[194:195], v[114:115] op_sel_hi:[1,0,1]
	s_set_vgpr_msb 1                        ;  msbs: dst=0 src0=1 src1=0 src2=0
	v_pk_mul_f32 v[116:117], v[50:51] /*v[306:307]*/, v[116:117] op_sel_hi:[1,0]
	s_set_vgpr_msb 0                        ;  msbs: dst=0 src0=0 src1=0 src2=0
	v_add_f32_e32 v118, v9, v11
	v_mov_b32_e32 v113, v121
	s_wait_loadcnt 0x2
	v_pk_mul_f32 v[122:123], v[238:239], v[198:199] op_sel:[1,1] op_sel_hi:[0,1]
	v_pk_fma_f32 v[114:115], v[226:227], v[194:195], v[114:115] neg_lo:[0,0,1] neg_hi:[0,0,1]
	v_mov_b32_e32 v115, v125
	s_set_vgpr_msb 4                        ;  msbs: dst=0 src0=0 src1=1 src2=0
	v_pk_add_f32 v[118:119], v[118:119], v[56:57] /*v[312:313]*/
	s_set_vgpr_msb 0                        ;  msbs: dst=0 src0=0 src1=0 src2=0
	v_pk_fma_f32 v[120:121], v[228:229], v[196:197], v[116:117] op_sel_hi:[1,0,1]
	v_pk_fma_f32 v[116:117], v[228:229], v[196:197], v[116:117] neg_lo:[0,0,1] neg_hi:[0,0,1]
	s_set_vgpr_msb 4                        ;  msbs: dst=0 src0=0 src1=1 src2=0
	v_pk_add_f32 v[118:119], v[118:119], v[58:59] /*v[314:315]*/
	s_set_vgpr_msb 0                        ;  msbs: dst=0 src0=0 src1=0 src2=0
	s_delay_alu instid0(VALU_DEP_1) | instskip(SKIP_1) | instid1(VALU_DEP_2)
	v_pk_add_f32 v[110:111], v[118:119], v[110:111]
	v_mov_b32_e32 v118, v201
	v_pk_add_f32 v[110:111], v[110:111], v[112:113]
	v_pk_fma_f32 v[112:113], v[238:239], v[198:199], v[122:123] op_sel_hi:[1,0,1]
	s_set_vgpr_msb 1                        ;  msbs: dst=0 src0=1 src1=0 src2=0
	s_delay_alu instid0(VALU_DEP_3)
	v_pk_mul_f32 v[118:119], v[52:53] /*v[308:309]*/, v[118:119] op_sel_hi:[1,0]
	s_set_vgpr_msb 0                        ;  msbs: dst=0 src0=0 src1=0 src2=0
	v_mov_b32_e32 v117, v121
	v_pk_fma_f32 v[120:121], v[238:239], v[198:199], v[122:123] neg_lo:[0,0,1] neg_hi:[0,0,1]
	v_pk_add_f32 v[110:111], v[110:111], v[114:115]
	v_mov_b32_e32 v121, v113
	v_pk_fma_f32 v[112:113], v[240:241], v[200:201], v[118:119] op_sel_hi:[1,0,1]
	s_wait_loadcnt 0x1
	v_pk_mul_f32 v[114:115], v[242:243], v[202:203] op_sel:[1,1] op_sel_hi:[0,1]
	v_mov_b32_e32 v112, v205
	v_pk_add_f32 v[110:111], v[110:111], v[116:117]
	v_pk_fma_f32 v[118:119], v[240:241], v[200:201], v[118:119] neg_lo:[0,0,1] neg_hi:[0,0,1]
	v_mov_b32_e32 v119, v113
	v_pk_fma_f32 v[116:117], v[242:243], v[202:203], v[114:115] op_sel_hi:[1,0,1]
	s_set_vgpr_msb 1                        ;  msbs: dst=0 src0=1 src1=0 src2=0
	v_pk_mul_f32 v[112:113], v[54:55] /*v[310:311]*/, v[112:113] op_sel_hi:[1,0]
	s_set_vgpr_msb 0                        ;  msbs: dst=0 src0=0 src1=0 src2=0
	v_pk_add_f32 v[110:111], v[110:111], v[120:121]
	v_pk_fma_f32 v[114:115], v[242:243], v[202:203], v[114:115] neg_lo:[0,0,1] neg_hi:[0,0,1]
	v_mov_b32_e32 v115, v117
	v_pk_fma_f32 v[116:117], v[244:245], v[204:205], v[112:113] op_sel_hi:[1,0,1]
	s_delay_alu instid0(VALU_DEP_4) | instskip(SKIP_1) | instid1(VALU_DEP_3)
	v_pk_add_f32 v[110:111], v[110:111], v[118:119]
	v_pk_fma_f32 v[112:113], v[244:245], v[204:205], v[112:113] neg_lo:[0,0,1] neg_hi:[0,0,1]
	v_mov_b32_e32 v113, v117
	s_delay_alu instid0(VALU_DEP_3) | instskip(NEXT) | instid1(VALU_DEP_1)
	v_pk_add_f32 v[110:111], v[110:111], v[114:115]
	v_pk_add_f32 v[110:111], v[110:111], v[112:113]
	s_wait_loadcnt 0x0
	s_set_vgpr_msb 1                        ;  msbs: dst=0 src0=1 src1=0 src2=0
	s_delay_alu instid0(VALU_DEP_1)
	v_pk_add_f32 v[110:111], v[46:47] /*v[302:303]*/, v[110:111] neg_lo:[0,1] neg_hi:[0,1]
	scratch_store_b64 off, v[110:111], off offset:40
	s_wait_xcnt 0x0
	v_cmpx_lt_u32_e32 4, v0
	s_set_vgpr_msb 0                        ;  msbs: dst=0 src0=0 src1=0 src2=0
	s_cbranch_execz .LBB117_329
; %bb.328:
	scratch_load_b64 v[110:111], off, off offset:32
	v_mov_b64_e32 v[112:113], 0
	scratch_store_b64 off, v[112:113], off offset:32
	s_wait_loadcnt 0x0
	ds_store_b64 v1, v[110:111]
.LBB117_329:
	s_wait_xcnt 0x0
	s_or_b32 exec_lo, exec_lo, s0
	s_wait_storecnt_dscnt 0x0
	s_barrier_signal -1
	s_barrier_wait -1
	s_clause 0x1a
	scratch_load_b128 v[110:113], off, off offset:40
	scratch_load_b128 v[114:117], off, off offset:56
	;; [unrolled: 1-line block ×24, first 2 shown]
	s_set_vgpr_msb 64                       ;  msbs: dst=1 src0=0 src1=0 src2=0
	scratch_load_b64 v[46:47] /*v[302:303]*/, off, off offset:424
	scratch_load_b64 v[48:49] /*v[304:305]*/, off, off offset:32
	s_set_vgpr_msb 0                        ;  msbs: dst=0 src0=0 src1=0 src2=0
	v_mov_b32_e32 v7, 0
	ds_load_2addr_b64 v[206:209], v7 offset0:59 offset1:60
	ds_load_2addr_b64 v[210:213], v7 offset0:61 offset1:62
	;; [unrolled: 1-line block ×13, first 2 shown]
	s_set_vgpr_msb 64                       ;  msbs: dst=1 src0=0 src1=0 src2=0
	ds_load_2addr_b64 v[2:5] /*v[258:261]*/, v7 offset0:77 offset1:78
	ds_load_2addr_b64 v[6:9] /*v[262:265]*/, v7 offset0:79 offset1:80
	;; [unrolled: 1-line block ×11, first 2 shown]
	ds_load_b64 v[50:51] /*v[306:307]*/, v7 offset:856
	s_wait_dscnt 0x14
	v_dual_mov_b32 v52 /*v308*/, v225 :: v_dual_mov_b32 v53 /*v309*/, v224
	s_wait_dscnt 0x11
	v_dual_mov_b32 v54 /*v310*/, v237 :: v_dual_mov_b32 v55 /*v311*/, v236
	;; [unrolled: 2-line block ×4, first 2 shown]
	s_mov_b32 s0, exec_lo
	s_wait_loadcnt 0x19
	s_set_vgpr_msb 0                        ;  msbs: dst=0 src0=0 src1=0 src2=0
	v_dual_mul_f32 v9, v206, v111 :: v_dual_mul_f32 v87, v207, v111
	v_dual_mul_f32 v89, v209, v113 :: v_dual_mul_f32 v11, v208, v113
	s_wait_loadcnt 0x18
	v_mul_f32_e32 v13, v210, v115
	s_wait_loadcnt 0x16
	v_dual_mul_f32 v99, v219, v123 :: v_dual_fma_f32 v87, v206, v110, -v87
	v_dual_fmac_f32 v9, v207, v110 :: v_dual_mul_f32 v101, v221, v125
	v_dual_mul_f32 v91, v211, v115 :: v_dual_mul_f32 v93, v213, v117
	v_dual_fmac_f32 v11, v209, v112 :: v_dual_fma_f32 v89, v208, v112, -v89
	s_delay_alu instid0(VALU_DEP_3) | instskip(SKIP_3) | instid1(VALU_DEP_3)
	v_dual_add_f32 v9, 0, v9 :: v_dual_add_f32 v87, 0, v87
	v_dual_mul_f32 v15, v212, v117 :: v_dual_mul_f32 v17, v214, v119
	s_wait_loadcnt 0x15
	v_dual_mul_f32 v103, v227, v127 :: v_dual_fma_f32 v91, v210, v114, -v91
	v_dual_fmac_f32 v13, v211, v114 :: v_dual_add_f32 v9, v9, v11
	s_delay_alu instid0(VALU_DEP_3) | instskip(SKIP_2) | instid1(VALU_DEP_3)
	v_dual_add_f32 v11, v87, v89 :: v_dual_fmac_f32 v15, v213, v116
	v_dual_mul_f32 v95, v215, v119 :: v_dual_mul_f32 v97, v217, v121
	v_dual_mul_f32 v87, v229, v129 :: v_dual_fma_f32 v89, v212, v116, -v93
	v_dual_add_f32 v9, v9, v13 :: v_dual_add_f32 v11, v11, v91
	v_dual_mul_f32 v19, v216, v121 :: v_dual_mul_f32 v21, v218, v123
	s_wait_loadcnt 0x14
	v_dual_mul_f32 v13, v231, v131 :: v_dual_fma_f32 v91, v214, v118, -v95
	s_delay_alu instid0(VALU_DEP_3) | instskip(NEXT) | instid1(VALU_DEP_3)
	v_dual_fmac_f32 v17, v215, v118 :: v_dual_add_f32 v9, v9, v15
	v_dual_add_f32 v11, v11, v89 :: v_dual_fmac_f32 v19, v217, v120
	v_dual_mul_f32 v15, v233, v133 :: v_dual_fma_f32 v89, v216, v120, -v97
	s_delay_alu instid0(VALU_DEP_2) | instskip(SKIP_3) | instid1(VALU_DEP_3)
	v_dual_add_f32 v9, v9, v17 :: v_dual_add_f32 v11, v11, v91
	v_dual_mul_f32 v23, v220, v125 :: v_dual_mul_f32 v25, v226, v127
	s_wait_loadcnt 0x13
	v_dual_mul_f32 v17, v243, v135 :: v_dual_fma_f32 v91, v218, v122, -v99
	v_dual_fmac_f32 v21, v219, v122 :: v_dual_add_f32 v9, v9, v19
	s_delay_alu instid0(VALU_DEP_3) | instskip(SKIP_1) | instid1(VALU_DEP_2)
	v_dual_add_f32 v11, v11, v89 :: v_dual_fmac_f32 v23, v221, v124
	v_dual_mul_f32 v19, v245, v137 :: v_dual_fma_f32 v89, v220, v124, -v101
	v_dual_add_f32 v9, v9, v21 :: v_dual_add_f32 v11, v11, v91
	v_dual_mul_f32 v27, v228, v129 :: v_dual_mul_f32 v29, v230, v131
	s_wait_loadcnt 0x12
	v_dual_mul_f32 v21, v247, v139 :: v_dual_fma_f32 v91, v226, v126, -v103
	s_delay_alu instid0(VALU_DEP_3) | instskip(NEXT) | instid1(VALU_DEP_3)
	v_dual_fmac_f32 v25, v227, v126 :: v_dual_add_f32 v9, v9, v23
	v_dual_add_f32 v11, v11, v89 :: v_dual_fmac_f32 v27, v229, v128
	v_dual_mul_f32 v23, v249, v141 :: v_dual_fma_f32 v87, v228, v128, -v87
	s_delay_alu instid0(VALU_DEP_2) | instskip(SKIP_3) | instid1(VALU_DEP_3)
	v_dual_add_f32 v9, v9, v25 :: v_dual_add_f32 v11, v11, v91
	v_dual_mul_f32 v31, v232, v133 :: v_dual_mul_f32 v33, v242, v135
	s_wait_loadcnt_dscnt 0x110c
	v_dual_mul_f32 v25, v255, v143 :: v_dual_fma_f32 v13, v230, v130, -v13
	v_dual_fmac_f32 v29, v231, v130 :: v_dual_add_f32 v9, v9, v27
	s_delay_alu instid0(VALU_DEP_3) | instskip(SKIP_2) | instid1(VALU_DEP_4)
	v_dual_add_f32 v11, v11, v87 :: v_dual_fmac_f32 v31, v233, v132
	v_fma_f32 v15, v232, v132, -v15
	v_dual_mul_f32 v35, v244, v137 :: v_dual_mul_f32 v37, v246, v139
	v_add_f32_e32 v9, v9, v29
	s_delay_alu instid0(VALU_DEP_4) | instskip(NEXT) | instid1(VALU_DEP_3)
	v_dual_add_f32 v11, v11, v13 :: v_dual_fma_f32 v17, v242, v134, -v17
	v_dual_fmac_f32 v33, v243, v134 :: v_dual_fmac_f32 v35, v245, v136
	s_delay_alu instid0(VALU_DEP_3) | instskip(NEXT) | instid1(VALU_DEP_3)
	v_add_f32_e32 v9, v9, v31
	v_dual_add_f32 v11, v11, v15 :: v_dual_fma_f32 v19, v244, v136, -v19
	v_dual_mul_f32 v39, v248, v141 :: v_dual_mul_f32 v41, v254, v143
	s_delay_alu instid0(VALU_DEP_3) | instskip(NEXT) | instid1(VALU_DEP_3)
	v_add_f32_e32 v9, v9, v33
	v_dual_add_f32 v11, v11, v17 :: v_dual_fma_f32 v21, v246, v138, -v21
	s_delay_alu instid0(VALU_DEP_3) | instskip(NEXT) | instid1(VALU_DEP_3)
	v_dual_fmac_f32 v37, v247, v138 :: v_dual_fmac_f32 v39, v249, v140
	v_add_f32_e32 v9, v9, v35
	s_delay_alu instid0(VALU_DEP_3)
	v_dual_add_f32 v11, v11, v19 :: v_dual_fma_f32 v23, v248, v140, -v23
	s_wait_loadcnt_dscnt 0x100b
	s_set_vgpr_msb 1                        ;  msbs: dst=0 src0=1 src1=0 src2=0
	v_dual_mul_f32 v43, v0 /*v256*/, v145 :: v_dual_mul_f32 v45, v2 /*v258*/, v147
	s_set_vgpr_msb 0                        ;  msbs: dst=0 src0=0 src1=0 src2=0
	v_add_f32_e32 v9, v9, v37
	v_dual_add_f32 v11, v11, v21 :: v_dual_fma_f32 v25, v254, v142, -v25
	s_set_vgpr_msb 1                        ;  msbs: dst=0 src0=1 src1=0 src2=0
	v_dual_mul_f32 v27, v1 /*v257*/, v145 :: v_dual_mul_f32 v13, v3 /*v259*/, v147
	s_set_vgpr_msb 0                        ;  msbs: dst=0 src0=0 src1=0 src2=0
	v_dual_fmac_f32 v41, v255, v142 :: v_dual_add_f32 v9, v9, v39
	v_add_f32_e32 v11, v11, v23
	s_wait_loadcnt_dscnt 0xe09
	s_set_vgpr_msb 1                        ;  msbs: dst=0 src0=1 src1=0 src2=0
	v_dual_mul_f32 v23, v13 /*v269*/, v157 :: v_dual_fma_f32 v27, v0 /*v256*/, v144, -v27
	v_fmac_f32_e32 v43, v1 /*v257*/, v144
	s_set_vgpr_msb 0                        ;  msbs: dst=0 src0=0 src1=0 src2=0
	v_add_f32_e32 v9, v9, v41
	v_add_f32_e32 v11, v11, v25
	s_set_vgpr_msb 1                        ;  msbs: dst=0 src0=1 src1=0 src2=0
	v_dual_mul_f32 v47, v4 /*v260*/, v149 :: v_dual_mul_f32 v49, v6 /*v262*/, v151
	v_dual_mul_f32 v15, v5 /*v261*/, v149 :: v_dual_mul_f32 v17, v7 /*v263*/, v151
	s_wait_loadcnt_dscnt 0xd08
	v_mul_f32_e32 v25, v15 /*v271*/, v159
	v_fmac_f32_e32 v45, v3 /*v259*/, v146
	v_dual_fma_f32 v13, v2 /*v258*/, v146, -v13 :: v_dual_fmac_f32 v47, v5 /*v261*/, v148
	s_set_vgpr_msb 0                        ;  msbs: dst=0 src0=0 src1=0 src2=0
	v_add_f32_e32 v9, v9, v43
	v_add_f32_e32 v11, v11, v27
	s_set_vgpr_msb 1                        ;  msbs: dst=0 src0=1 src1=0 src2=0
	v_dual_mul_f32 v27, v17 /*v273*/, v161 :: v_dual_fma_f32 v15, v4 /*v260*/, v148, -v15
	v_dual_mul_f32 v51, v8 /*v264*/, v153 :: v_dual_mul_f32 v53, v10 /*v266*/, v155
	s_set_vgpr_msb 0                        ;  msbs: dst=0 src0=0 src1=0 src2=0
	v_add_f32_e32 v9, v9, v45
	v_add_f32_e32 v11, v11, v13
	s_set_vgpr_msb 1                        ;  msbs: dst=0 src0=1 src1=0 src2=0
	v_dual_mul_f32 v19, v9 /*v265*/, v153 :: v_dual_mul_f32 v21, v11 /*v267*/, v155
	s_wait_loadcnt_dscnt 0xc07
	v_mul_f32_e32 v13, v19 /*v275*/, v163
	v_fmac_f32_e32 v49, v7 /*v263*/, v150
	v_dual_fma_f32 v17, v6 /*v262*/, v150, -v17 :: v_dual_fmac_f32 v51, v9 /*v265*/, v152
	s_set_vgpr_msb 0                        ;  msbs: dst=0 src0=0 src1=0 src2=0
	v_add_f32_e32 v9, v9, v47
	v_add_f32_e32 v11, v11, v15
	s_set_vgpr_msb 1                        ;  msbs: dst=0 src0=1 src1=0 src2=0
	v_dual_mul_f32 v15, v21 /*v277*/, v165 :: v_dual_fma_f32 v19, v8 /*v264*/, v152, -v19
	v_dual_mul_f32 v55, v12 /*v268*/, v157 :: v_dual_mul_f32 v57, v14 /*v270*/, v159
	s_set_vgpr_msb 0                        ;  msbs: dst=0 src0=0 src1=0 src2=0
	v_add_f32_e32 v9, v9, v49
	v_add_f32_e32 v11, v11, v17
	s_wait_loadcnt_dscnt 0xb06
	s_set_vgpr_msb 1                        ;  msbs: dst=0 src0=1 src1=0 src2=0
	v_mul_f32_e32 v17, v23 /*v279*/, v167
	v_fmac_f32_e32 v53, v11 /*v267*/, v154
	v_dual_fma_f32 v21, v10 /*v266*/, v154, -v21 :: v_dual_fmac_f32 v55, v13 /*v269*/, v156
	s_set_vgpr_msb 0                        ;  msbs: dst=0 src0=0 src1=0 src2=0
	v_add_f32_e32 v9, v9, v51
	v_add_f32_e32 v11, v11, v19
	s_set_vgpr_msb 1                        ;  msbs: dst=0 src0=1 src1=0 src2=0
	v_dual_mul_f32 v19, v25 /*v281*/, v169 :: v_dual_fma_f32 v23, v12 /*v268*/, v156, -v23
	v_dual_mul_f32 v59, v16 /*v272*/, v161 :: v_dual_mul_f32 v61, v18 /*v274*/, v163
	s_set_vgpr_msb 0                        ;  msbs: dst=0 src0=0 src1=0 src2=0
	v_add_f32_e32 v9, v9, v53
	v_add_f32_e32 v11, v11, v21
	s_wait_loadcnt_dscnt 0xa05
	s_set_vgpr_msb 1                        ;  msbs: dst=0 src0=1 src1=0 src2=0
	;; [unrolled: 14-line block ×6, first 2 shown]
	v_mul_f32_e32 v21, v43 /*v299*/, v187
	v_fmac_f32_e32 v73, v31 /*v287*/, v174
	v_dual_fma_f32 v25, v30 /*v286*/, v174, -v25 :: v_dual_fmac_f32 v75, v33 /*v289*/, v176
	s_set_vgpr_msb 0                        ;  msbs: dst=0 src0=0 src1=0 src2=0
	v_add_f32_e32 v9, v9, v71
	v_add_f32_e32 v11, v11, v23
	s_set_vgpr_msb 1                        ;  msbs: dst=0 src0=1 src1=0 src2=0
	v_dual_mul_f32 v23, v45 /*v301*/, v189 :: v_dual_fma_f32 v27, v32 /*v288*/, v176, -v27
	v_fmac_f32_e32 v77, v35 /*v291*/, v178
	s_set_vgpr_msb 0                        ;  msbs: dst=0 src0=0 src1=0 src2=0
	v_add_f32_e32 v9, v9, v73
	v_add_f32_e32 v11, v11, v25
	s_set_vgpr_msb 1                        ;  msbs: dst=0 src0=1 src1=0 src2=0
	v_dual_mul_f32 v79, v36 /*v292*/, v181 :: v_dual_mul_f32 v81, v38 /*v294*/, v183
	v_fma_f32 v13, v34 /*v290*/, v178, -v13
	s_set_vgpr_msb 0                        ;  msbs: dst=0 src0=0 src1=0 src2=0
	v_add_f32_e32 v9, v9, v75
	v_add_f32_e32 v11, v11, v27
	s_set_vgpr_msb 1                        ;  msbs: dst=0 src0=1 src1=0 src2=0
	v_fmac_f32_e32 v79, v37 /*v293*/, v180
	v_dual_fma_f32 v15, v36 /*v292*/, v180, -v15 :: v_dual_fmac_f32 v81, v39 /*v295*/, v182
	s_set_vgpr_msb 0                        ;  msbs: dst=0 src0=0 src1=0 src2=0
	v_add_f32_e32 v9, v9, v77
	v_add_f32_e32 v11, v11, v13
	s_set_vgpr_msb 1                        ;  msbs: dst=0 src0=1 src1=0 src2=0
	v_dual_mul_f32 v83, v40 /*v296*/, v185 :: v_dual_mul_f32 v85, v42 /*v298*/, v187
	v_fma_f32 v13, v38 /*v294*/, v182, -v17
	s_set_vgpr_msb 0                        ;  msbs: dst=0 src0=0 src1=0 src2=0
	v_add_f32_e32 v9, v9, v79
	s_wait_loadcnt 0x4
	v_dual_add_f32 v11, v11, v15 :: v_dual_mov_b32 v114, v197
	v_dual_mul_f32 v25, v223, v191 :: v_dual_mov_b32 v110, v193
	s_set_vgpr_msb 1                        ;  msbs: dst=0 src0=1 src1=0 src2=0
	v_fmac_f32_e32 v83, v41 /*v297*/, v184
	v_dual_fma_f32 v15, v40 /*v296*/, v184, -v19 :: v_dual_fmac_f32 v85, v43 /*v299*/, v186
	s_set_vgpr_msb 0                        ;  msbs: dst=0 src0=0 src1=0 src2=0
	v_add_f32_e32 v11, v11, v13
	v_add_f32_e32 v9, v9, v81
	s_set_vgpr_msb 0x41                     ;  msbs: dst=1 src0=1 src1=0 src2=0
	v_dual_mul_f32 v61 /*v317*/, v44 /*v300*/, v189 :: v_dual_fma_f32 v60 /*v316*/, v44 /*v300*/, v188, -v23
	s_set_vgpr_msb 1                        ;  msbs: dst=0 src0=1 src1=0 src2=0
	v_fma_f32 v13, v42 /*v298*/, v186, -v21
	s_set_vgpr_msb 0                        ;  msbs: dst=0 src0=0 src1=0 src2=0
	v_add_f32_e32 v11, v11, v15
	v_add_f32_e32 v9, v9, v83
	s_set_vgpr_msb 1                        ;  msbs: dst=0 src0=1 src1=0 src2=0
	v_pk_mul_f32 v[110:111], v[52:53] /*v[308:309]*/, v[110:111] op_sel_hi:[1,0]
	s_set_vgpr_msb 64                       ;  msbs: dst=1 src0=0 src1=0 src2=0
	v_dual_mul_f32 v63 /*v319*/, v222, v191 :: v_dual_fma_f32 v62 /*v318*/, v222, v190, -v25
	s_set_vgpr_msb 0x41                     ;  msbs: dst=1 src0=1 src1=0 src2=0
	v_fmac_f32_e32 v61 /*v317*/, v45 /*v301*/, v188
	s_wait_loadcnt 0x3
	s_set_vgpr_msb 0                        ;  msbs: dst=0 src0=0 src1=0 src2=0
	v_dual_add_f32 v118, v11, v13 :: v_dual_mov_b32 v120, v201
	v_pk_fma_f32 v[122:123], v[224:225], v[192:193], v[110:111] op_sel_hi:[1,0,1]
	v_add_f32_e32 v119, v9, v85
	v_pk_fma_f32 v[110:111], v[224:225], v[192:193], v[110:111] neg_lo:[0,0,1] neg_hi:[0,0,1]
	v_pk_mul_f32 v[112:113], v[234:235], v[194:195] op_sel:[1,1] op_sel_hi:[0,1]
	s_set_vgpr_msb 64                       ;  msbs: dst=1 src0=0 src1=0 src2=0
	v_fmac_f32_e32 v63 /*v319*/, v223, v190
	s_set_vgpr_msb 4                        ;  msbs: dst=0 src0=0 src1=1 src2=0
	v_mov_b32_e32 v111, v123
	v_pk_add_f32 v[118:119], v[118:119], v[60:61] /*v[316:317]*/
	s_set_vgpr_msb 1                        ;  msbs: dst=0 src0=1 src1=0 src2=0
	v_pk_mul_f32 v[114:115], v[54:55] /*v[310:311]*/, v[114:115] op_sel_hi:[1,0]
	s_set_vgpr_msb 0                        ;  msbs: dst=0 src0=0 src1=0 src2=0
	v_pk_fma_f32 v[124:125], v[234:235], v[194:195], v[112:113] op_sel_hi:[1,0,1]
	v_pk_fma_f32 v[112:113], v[234:235], v[194:195], v[112:113] neg_lo:[0,0,1] neg_hi:[0,0,1]
	v_pk_mul_f32 v[116:117], v[238:239], v[198:199] op_sel:[1,1] op_sel_hi:[0,1]
	s_set_vgpr_msb 4                        ;  msbs: dst=0 src0=0 src1=1 src2=0
	v_pk_add_f32 v[118:119], v[118:119], v[62:63] /*v[318:319]*/
	s_set_vgpr_msb 1                        ;  msbs: dst=0 src0=1 src1=0 src2=0
	v_pk_mul_f32 v[120:121], v[56:57] /*v[312:313]*/, v[120:121] op_sel_hi:[1,0]
	s_set_vgpr_msb 0                        ;  msbs: dst=0 src0=0 src1=0 src2=0
	v_mov_b32_e32 v113, v125
	v_pk_fma_f32 v[124:125], v[236:237], v[196:197], v[114:115] op_sel_hi:[1,0,1]
	v_pk_fma_f32 v[114:115], v[236:237], v[196:197], v[114:115] neg_lo:[0,0,1] neg_hi:[0,0,1]
	v_pk_add_f32 v[110:111], v[118:119], v[110:111]
	v_pk_fma_f32 v[118:119], v[238:239], v[198:199], v[116:117] op_sel_hi:[1,0,1]
	v_pk_fma_f32 v[116:117], v[238:239], v[198:199], v[116:117] neg_lo:[0,0,1] neg_hi:[0,0,1]
	v_mov_b32_e32 v115, v125
	s_wait_loadcnt 0x2
	v_pk_mul_f32 v[122:123], v[250:251], v[202:203] op_sel:[1,1] op_sel_hi:[0,1]
	v_pk_add_f32 v[110:111], v[110:111], v[112:113]
	v_dual_mov_b32 v112, v205 :: v_dual_mov_b32 v117, v119
	v_pk_fma_f32 v[118:119], v[240:241], v[200:201], v[120:121] op_sel_hi:[1,0,1]
	v_pk_fma_f32 v[120:121], v[240:241], v[200:201], v[120:121] neg_lo:[0,0,1] neg_hi:[0,0,1]
	s_delay_alu instid0(VALU_DEP_4)
	v_pk_add_f32 v[110:111], v[110:111], v[114:115]
	v_pk_fma_f32 v[114:115], v[250:251], v[202:203], v[122:123] op_sel_hi:[1,0,1]
	s_set_vgpr_msb 1                        ;  msbs: dst=0 src0=1 src1=0 src2=0
	v_pk_mul_f32 v[112:113], v[58:59] /*v[314:315]*/, v[112:113] op_sel_hi:[1,0]
	s_set_vgpr_msb 0                        ;  msbs: dst=0 src0=0 src1=0 src2=0
	v_mov_b32_e32 v121, v119
	s_wait_loadcnt_dscnt 0x100
	s_set_vgpr_msb 5                        ;  msbs: dst=0 src0=1 src1=1 src2=0
	v_pk_mul_f32 v[118:119], v[50:51] /*v[306:307]*/, v[46:47] /*v[302:303]*/ op_sel:[1,1] op_sel_hi:[0,1]
	s_set_vgpr_msb 0                        ;  msbs: dst=0 src0=0 src1=0 src2=0
	v_pk_add_f32 v[110:111], v[110:111], v[116:117]
	v_pk_fma_f32 v[116:117], v[250:251], v[202:203], v[122:123] neg_lo:[0,0,1] neg_hi:[0,0,1]
	v_mov_b32_e32 v117, v115
	v_pk_fma_f32 v[114:115], v[252:253], v[204:205], v[112:113] op_sel_hi:[1,0,1]
	v_pk_fma_f32 v[112:113], v[252:253], v[204:205], v[112:113] neg_lo:[0,0,1] neg_hi:[0,0,1]
	v_pk_add_f32 v[110:111], v[110:111], v[120:121]
	s_delay_alu instid0(VALU_DEP_3)
	v_mov_b32_e32 v113, v115
	s_set_vgpr_msb 5                        ;  msbs: dst=0 src0=1 src1=1 src2=0
	v_pk_fma_f32 v[114:115], v[50:51] /*v[306:307]*/, v[46:47] /*v[302:303]*/, v[118:119] op_sel_hi:[1,0,1]
	s_set_vgpr_msb 0                        ;  msbs: dst=0 src0=0 src1=0 src2=0
	v_pk_add_f32 v[110:111], v[110:111], v[116:117]
	s_set_vgpr_msb 5                        ;  msbs: dst=0 src0=1 src1=1 src2=0
	v_pk_fma_f32 v[116:117], v[50:51] /*v[306:307]*/, v[46:47] /*v[302:303]*/, v[118:119] neg_lo:[0,0,1] neg_hi:[0,0,1]
	s_set_vgpr_msb 0                        ;  msbs: dst=0 src0=0 src1=0 src2=0
	v_mov_b32_e32 v117, v115
	v_pk_add_f32 v[110:111], v[110:111], v[112:113]
	s_delay_alu instid0(VALU_DEP_1) | instskip(SKIP_2) | instid1(VALU_DEP_1)
	v_pk_add_f32 v[110:111], v[110:111], v[116:117]
	s_wait_loadcnt 0x0
	s_set_vgpr_msb 1                        ;  msbs: dst=0 src0=1 src1=0 src2=0
	v_pk_add_f32 v[110:111], v[48:49] /*v[304:305]*/, v[110:111] neg_lo:[0,1] neg_hi:[0,1]
	scratch_store_b64 off, v[110:111], off offset:32
	s_wait_xcnt 0x0
	v_cmpx_lt_u32_e32 3, v0
	s_set_vgpr_msb 0                        ;  msbs: dst=0 src0=0 src1=0 src2=0
	s_cbranch_execz .LBB117_331
; %bb.330:
	scratch_load_b64 v[110:111], off, off offset:24
	v_mov_b64_e32 v[112:113], 0
	scratch_store_b64 off, v[112:113], off offset:24
	s_wait_loadcnt 0x0
	ds_store_b64 v1, v[110:111]
.LBB117_331:
	s_wait_xcnt 0x0
	s_or_b32 exec_lo, exec_lo, s0
	s_wait_storecnt_dscnt 0x0
	s_barrier_signal -1
	s_barrier_wait -1
	s_clause 0x18
	scratch_load_b128 v[110:113], off, off offset:32
	scratch_load_b128 v[114:117], off, off offset:48
	;; [unrolled: 1-line block ×25, first 2 shown]
	ds_load_b128 v[210:213], v7 offset:464
	ds_load_b128 v[214:217], v7 offset:480
	;; [unrolled: 1-line block ×12, first 2 shown]
	s_set_vgpr_msb 64                       ;  msbs: dst=1 src0=0 src1=0 src2=0
	ds_load_b128 v[2:5] /*v[258:261]*/, v7 offset:848
	ds_load_b128 v[6:9] /*v[262:265]*/, v7 offset:592
	;; [unrolled: 1-line block ×7, first 2 shown]
	scratch_load_b64 v[54:55] /*v[310:311]*/, off, off offset:24
	ds_load_b128 v[30:33] /*v[286:289]*/, v7 offset:688
	ds_load_b128 v[34:37] /*v[290:293]*/, v7 offset:704
	;; [unrolled: 1-line block ×6, first 2 shown]
	s_mov_b32 s0, exec_lo
	s_wait_dscnt 0x13
	v_dual_mov_b32 v56 /*v312*/, v233 :: v_dual_mov_b32 v57 /*v313*/, v232
	s_wait_dscnt 0x10
	v_dual_mov_b32 v58 /*v314*/, v245 :: v_dual_mov_b32 v59 /*v315*/, v244
	s_wait_dscnt 0xf
	v_dual_mov_b32 v60 /*v316*/, v249 :: v_dual_mov_b32 v61 /*v317*/, v248
	s_wait_dscnt 0xc
	s_set_vgpr_msb 0x41                     ;  msbs: dst=1 src0=1 src1=0 src2=0
	v_dual_mov_b32 v62 /*v318*/, v5 /*v261*/ :: v_dual_mov_b32 v63 /*v319*/, v4 /*v260*/
	s_wait_loadcnt 0x19
	s_set_vgpr_msb 0                        ;  msbs: dst=0 src0=0 src1=0 src2=0
	v_dual_mul_f32 v7, v210, v111 :: v_dual_mul_f32 v9, v212, v113
	s_wait_loadcnt 0x18
	v_dual_mul_f32 v87, v211, v111 :: v_dual_mul_f32 v93, v217, v117
	v_dual_mul_f32 v11, v214, v115 :: v_dual_mul_f32 v13, v216, v117
	s_delay_alu instid0(VALU_DEP_3) | instskip(SKIP_4) | instid1(VALU_DEP_3)
	v_dual_fmac_f32 v7, v211, v110 :: v_dual_fmac_f32 v9, v213, v112
	s_wait_loadcnt 0x12
	v_dual_mul_f32 v35, v254, v139 :: v_dual_mul_f32 v89, v213, v113
	v_dual_mul_f32 v91, v215, v115 :: v_dual_mul_f32 v97, v221, v121
	v_dual_mul_f32 v95, v219, v119 :: v_dual_fma_f32 v87, v210, v110, -v87
	v_dual_mul_f32 v99, v223, v123 :: v_dual_fma_f32 v89, v212, v112, -v89
	v_dual_add_f32 v7, 0, v7 :: v_dual_fmac_f32 v11, v215, v114
	v_fmac_f32_e32 v13, v217, v116
	s_wait_loadcnt_dscnt 0x600
	s_set_vgpr_msb 1                        ;  msbs: dst=0 src0=1 src1=0 src2=0
	v_dual_mul_f32 v85, v52 /*v308*/, v189 :: v_dual_add_f32 v87, 0, v87
	s_set_vgpr_msb 0                        ;  msbs: dst=0 src0=0 src1=0 src2=0
	v_dual_mul_f32 v101, v225, v125 :: v_dual_fma_f32 v91, v214, v114, -v91
	v_dual_add_f32 v7, v7, v9 :: v_dual_mul_f32 v15, v218, v119
	v_mul_f32_e32 v17, v220, v121
	v_dual_add_f32 v9, v87, v89 :: v_dual_fma_f32 v89, v216, v116, -v93
	s_delay_alu instid0(VALU_DEP_3) | instskip(NEXT) | instid1(VALU_DEP_4)
	v_add_f32_e32 v7, v7, v11
	v_dual_fmac_f32 v15, v219, v118 :: v_dual_mul_f32 v19, v222, v123
	s_delay_alu instid0(VALU_DEP_3) | instskip(NEXT) | instid1(VALU_DEP_3)
	v_dual_mul_f32 v21, v224, v125 :: v_dual_add_f32 v9, v9, v91
	v_dual_fma_f32 v91, v218, v118, -v95 :: v_dual_add_f32 v7, v7, v13
	v_dual_fmac_f32 v17, v221, v120 :: v_dual_mul_f32 v13, v239, v131
	s_delay_alu instid0(VALU_DEP_3) | instskip(NEXT) | instid1(VALU_DEP_3)
	v_dual_add_f32 v9, v9, v89 :: v_dual_fma_f32 v89, v220, v120, -v97
	v_add_f32_e32 v7, v7, v15
	v_dual_fmac_f32 v19, v223, v122 :: v_dual_mul_f32 v23, v234, v127
	s_delay_alu instid0(VALU_DEP_3) | instskip(NEXT) | instid1(VALU_DEP_3)
	v_dual_mul_f32 v25, v236, v129 :: v_dual_add_f32 v9, v9, v91
	v_dual_add_f32 v7, v7, v17 :: v_dual_fmac_f32 v21, v225, v124
	v_dual_mul_f32 v15, v241, v133 :: v_dual_fma_f32 v91, v222, v122, -v99
	s_delay_alu instid0(VALU_DEP_3) | instskip(NEXT) | instid1(VALU_DEP_3)
	v_dual_add_f32 v9, v9, v89 :: v_dual_mul_f32 v17, v251, v135
	v_dual_fma_f32 v89, v224, v124, -v101 :: v_dual_add_f32 v7, v7, v19
	v_dual_mul_f32 v87, v235, v127 :: v_dual_mul_f32 v11, v237, v129
	s_delay_alu instid0(VALU_DEP_3) | instskip(NEXT) | instid1(VALU_DEP_3)
	v_dual_add_f32 v9, v9, v91 :: v_dual_fmac_f32 v23, v235, v126
	v_dual_add_f32 v7, v7, v21 :: v_dual_fmac_f32 v25, v237, v128
	v_dual_mul_f32 v27, v238, v131 :: v_dual_mul_f32 v29, v240, v133
	s_delay_alu instid0(VALU_DEP_4) | instskip(NEXT) | instid1(VALU_DEP_4)
	v_dual_mul_f32 v19, v253, v137 :: v_dual_fma_f32 v87, v234, v126, -v87
	v_dual_add_f32 v9, v9, v89 :: v_dual_mul_f32 v21, v255, v139
	s_delay_alu instid0(VALU_DEP_4) | instskip(NEXT) | instid1(VALU_DEP_2)
	v_dual_fma_f32 v11, v236, v128, -v11 :: v_dual_add_f32 v7, v7, v23
	v_dual_fmac_f32 v27, v239, v130 :: v_dual_add_f32 v9, v9, v87
	v_fma_f32 v13, v238, v130, -v13
	v_dual_mul_f32 v31, v250, v135 :: v_dual_mul_f32 v33, v252, v137
	s_delay_alu instid0(VALU_DEP_3) | instskip(SKIP_1) | instid1(VALU_DEP_3)
	v_dual_add_f32 v7, v7, v25 :: v_dual_add_f32 v9, v9, v11
	v_dual_fma_f32 v15, v240, v132, -v15 :: v_dual_fmac_f32 v29, v241, v132
	v_fmac_f32_e32 v31, v251, v134
	s_delay_alu instid0(VALU_DEP_3)
	v_dual_add_f32 v7, v7, v27 :: v_dual_add_f32 v9, v9, v13
	v_fma_f32 v17, v250, v134, -v17
	s_set_vgpr_msb 1                        ;  msbs: dst=0 src0=1 src1=0 src2=0
	v_dual_mul_f32 v37, v0 /*v256*/, v141 :: v_dual_mul_f32 v39, v6 /*v262*/, v143
	s_set_vgpr_msb 0                        ;  msbs: dst=0 src0=0 src1=0 src2=0
	v_dual_add_f32 v7, v7, v29 :: v_dual_add_f32 v9, v9, v15
	v_dual_fma_f32 v19, v252, v136, -v19 :: v_dual_fmac_f32 v33, v253, v136
	s_set_vgpr_msb 1                        ;  msbs: dst=0 src0=1 src1=0 src2=0
	v_dual_mul_f32 v23, v1 /*v257*/, v141 :: v_dual_mul_f32 v11, v7 /*v263*/, v143
	s_set_vgpr_msb 0                        ;  msbs: dst=0 src0=0 src1=0 src2=0
	v_dual_add_f32 v7, v7, v31 :: v_dual_add_f32 v9, v9, v17
	v_dual_fmac_f32 v35, v255, v138 :: v_dual_fma_f32 v21, v254, v138, -v21
	s_set_vgpr_msb 1                        ;  msbs: dst=0 src0=1 src1=0 src2=0
	v_dual_fmac_f32 v37, v1 /*v257*/, v140 :: v_dual_fma_f32 v23, v0 /*v256*/, v140, -v23
	s_set_vgpr_msb 0                        ;  msbs: dst=0 src0=0 src1=0 src2=0
	v_add_f32_e32 v7, v7, v33
	s_set_vgpr_msb 1                        ;  msbs: dst=0 src0=1 src1=0 src2=0
	v_dual_mul_f32 v41, v8 /*v264*/, v145 :: v_dual_mul_f32 v43, v10 /*v266*/, v147
	v_dual_mul_f32 v13, v9 /*v265*/, v145 :: v_dual_mul_f32 v15, v11 /*v267*/, v147
	s_set_vgpr_msb 0                        ;  msbs: dst=0 src0=0 src1=0 src2=0
	v_add_f32_e32 v7, v7, v35
	v_add_f32_e32 v9, v9, v19
	s_set_vgpr_msb 1                        ;  msbs: dst=0 src0=1 src1=0 src2=0
	v_dual_fmac_f32 v39, v7 /*v263*/, v142 :: v_dual_fmac_f32 v41, v9 /*v265*/, v144
	v_fmac_f32_e32 v43, v11 /*v267*/, v146
	s_set_vgpr_msb 0                        ;  msbs: dst=0 src0=0 src1=0 src2=0
	v_add_f32_e32 v7, v7, v37
	v_add_f32_e32 v9, v9, v21
	s_set_vgpr_msb 1                        ;  msbs: dst=0 src0=1 src1=0 src2=0
	v_dual_mul_f32 v21, v17 /*v273*/, v153 :: v_dual_fma_f32 v13, v8 /*v264*/, v144, -v13
	v_dual_mul_f32 v45, v12 /*v268*/, v149 :: v_dual_mul_f32 v47, v14 /*v270*/, v151
	s_set_vgpr_msb 0                        ;  msbs: dst=0 src0=0 src1=0 src2=0
	v_add_f32_e32 v7, v7, v39
	s_set_vgpr_msb 1                        ;  msbs: dst=0 src0=1 src1=0 src2=0
	v_dual_mul_f32 v17, v13 /*v269*/, v149 :: v_dual_mul_f32 v19, v15 /*v271*/, v151
	s_set_vgpr_msb 0                        ;  msbs: dst=0 src0=0 src1=0 src2=0
	v_add_f32_e32 v9, v9, v23
	s_set_vgpr_msb 1                        ;  msbs: dst=0 src0=1 src1=0 src2=0
	v_dual_fma_f32 v11, v6 /*v262*/, v142, -v11 :: v_dual_mul_f32 v23, v19 /*v275*/, v155
	s_set_vgpr_msb 0                        ;  msbs: dst=0 src0=0 src1=0 src2=0
	v_add_f32_e32 v7, v7, v41
	s_set_vgpr_msb 1                        ;  msbs: dst=0 src0=1 src1=0 src2=0
	v_dual_fmac_f32 v45, v13 /*v269*/, v148 :: v_dual_fmac_f32 v47, v15 /*v271*/, v150
	v_fma_f32 v17, v12 /*v268*/, v148, -v17
	v_dual_mul_f32 v49, v16 /*v272*/, v153 :: v_dual_mul_f32 v51, v18 /*v274*/, v155
	s_set_vgpr_msb 0                        ;  msbs: dst=0 src0=0 src1=0 src2=0
	v_add_f32_e32 v7, v7, v43
	v_add_f32_e32 v9, v9, v11
	s_set_vgpr_msb 1                        ;  msbs: dst=0 src0=1 src1=0 src2=0
	v_dual_mul_f32 v11, v21 /*v277*/, v157 :: v_dual_fma_f32 v15, v10 /*v266*/, v146, -v15
	v_dual_fmac_f32 v49, v17 /*v273*/, v152 :: v_dual_fmac_f32 v51, v19 /*v275*/, v154
	s_set_vgpr_msb 0                        ;  msbs: dst=0 src0=0 src1=0 src2=0
	v_add_f32_e32 v7, v7, v45
	v_add_f32_e32 v9, v9, v13
	s_set_vgpr_msb 1                        ;  msbs: dst=0 src0=1 src1=0 src2=0
	v_fma_f32 v21, v16 /*v272*/, v152, -v21
	v_dual_mul_f32 v53, v20 /*v276*/, v157 :: v_dual_mul_f32 v55, v22 /*v278*/, v159
	s_set_vgpr_msb 0                        ;  msbs: dst=0 src0=0 src1=0 src2=0
	v_add_f32_e32 v7, v7, v47
	s_set_vgpr_msb 1                        ;  msbs: dst=0 src0=1 src1=0 src2=0
	v_mul_f32_e32 v13, v23 /*v279*/, v159
	s_set_vgpr_msb 0                        ;  msbs: dst=0 src0=0 src1=0 src2=0
	v_add_f32_e32 v9, v9, v15
	s_set_vgpr_msb 1                        ;  msbs: dst=0 src0=1 src1=0 src2=0
	v_dual_mul_f32 v15, v25 /*v281*/, v161 :: v_dual_fma_f32 v19, v14 /*v270*/, v150, -v19
	s_set_vgpr_msb 0                        ;  msbs: dst=0 src0=0 src1=0 src2=0
	v_add_f32_e32 v7, v7, v49
	s_set_vgpr_msb 1                        ;  msbs: dst=0 src0=1 src1=0 src2=0
	v_dual_fmac_f32 v53, v21 /*v277*/, v156 :: v_dual_fma_f32 v11, v20 /*v276*/, v156, -v11
	s_set_vgpr_msb 0                        ;  msbs: dst=0 src0=0 src1=0 src2=0
	v_add_f32_e32 v9, v9, v17
	s_set_vgpr_msb 1                        ;  msbs: dst=0 src0=1 src1=0 src2=0
	v_dual_fmac_f32 v55, v23 /*v279*/, v158 :: v_dual_fma_f32 v13, v22 /*v278*/, v158, -v13
	s_set_vgpr_msb 0                        ;  msbs: dst=0 src0=0 src1=0 src2=0
	v_add_f32_e32 v7, v7, v51
	s_set_vgpr_msb 1                        ;  msbs: dst=0 src0=1 src1=0 src2=0
	v_dual_mul_f32 v57, v24 /*v280*/, v161 :: v_dual_mul_f32 v59, v26 /*v282*/, v163
	v_mul_f32_e32 v17, v27 /*v283*/, v163
	s_set_vgpr_msb 0                        ;  msbs: dst=0 src0=0 src1=0 src2=0
	v_dual_add_f32 v9, v9, v19 :: v_dual_add_f32 v7, v7, v53
	s_set_vgpr_msb 1                        ;  msbs: dst=0 src0=1 src1=0 src2=0
	v_dual_mul_f32 v19, v29 /*v285*/, v165 :: v_dual_fma_f32 v23, v18 /*v274*/, v154, -v23
	v_dual_fmac_f32 v57, v25 /*v281*/, v160 :: v_dual_fma_f32 v15, v24 /*v280*/, v160, -v15
	s_set_vgpr_msb 0                        ;  msbs: dst=0 src0=0 src1=0 src2=0
	v_add_f32_e32 v9, v9, v21
	s_set_vgpr_msb 1                        ;  msbs: dst=0 src0=1 src1=0 src2=0
	v_dual_fmac_f32 v59, v27 /*v283*/, v162 :: v_dual_fma_f32 v17, v26 /*v282*/, v162, -v17
	s_set_vgpr_msb 0                        ;  msbs: dst=0 src0=0 src1=0 src2=0
	v_add_f32_e32 v7, v7, v55
	s_set_vgpr_msb 1                        ;  msbs: dst=0 src0=1 src1=0 src2=0
	v_dual_mul_f32 v61, v28 /*v284*/, v165 :: v_dual_mul_f32 v63, v30 /*v286*/, v167
	v_mul_f32_e32 v21, v31 /*v287*/, v167
	s_set_vgpr_msb 0                        ;  msbs: dst=0 src0=0 src1=0 src2=0
	v_dual_add_f32 v9, v9, v23 :: v_dual_add_f32 v7, v7, v57
	s_set_vgpr_msb 1                        ;  msbs: dst=0 src0=1 src1=0 src2=0
	v_dual_fmac_f32 v61, v29 /*v285*/, v164 :: v_dual_fma_f32 v19, v28 /*v284*/, v164, -v19
	v_dual_fmac_f32 v63, v31 /*v287*/, v166 :: v_dual_fma_f32 v21, v30 /*v286*/, v166, -v21
	s_set_vgpr_msb 0                        ;  msbs: dst=0 src0=0 src1=0 src2=0
	v_add_f32_e32 v7, v7, v59
	s_set_vgpr_msb 1                        ;  msbs: dst=0 src0=1 src1=0 src2=0
	v_dual_mul_f32 v65, v32 /*v288*/, v169 :: v_dual_mul_f32 v67, v34 /*v290*/, v171
	s_set_vgpr_msb 0                        ;  msbs: dst=0 src0=0 src1=0 src2=0
	v_add_f32_e32 v9, v9, v11
	s_set_vgpr_msb 1                        ;  msbs: dst=0 src0=1 src1=0 src2=0
	v_dual_mul_f32 v23, v33 /*v289*/, v169 :: v_dual_mul_f32 v11, v35 /*v291*/, v171
	s_set_vgpr_msb 0                        ;  msbs: dst=0 src0=0 src1=0 src2=0
	v_add_f32_e32 v7, v7, v61
	s_set_vgpr_msb 1                        ;  msbs: dst=0 src0=1 src1=0 src2=0
	v_fmac_f32_e32 v65, v33 /*v289*/, v168
	s_set_vgpr_msb 0                        ;  msbs: dst=0 src0=0 src1=0 src2=0
	v_add_f32_e32 v9, v9, v13
	s_set_vgpr_msb 1                        ;  msbs: dst=0 src0=1 src1=0 src2=0
	v_dual_mul_f32 v69, v36 /*v292*/, v173 :: v_dual_mul_f32 v71, v38 /*v294*/, v175
	s_set_vgpr_msb 0                        ;  msbs: dst=0 src0=0 src1=0 src2=0
	v_add_f32_e32 v7, v7, v63
	s_set_vgpr_msb 1                        ;  msbs: dst=0 src0=1 src1=0 src2=0
	v_fma_f32 v23, v32 /*v288*/, v168, -v23
	s_set_vgpr_msb 0                        ;  msbs: dst=0 src0=0 src1=0 src2=0
	v_add_f32_e32 v9, v9, v15
	s_set_vgpr_msb 1                        ;  msbs: dst=0 src0=1 src1=0 src2=0
	v_dual_fmac_f32 v67, v35 /*v291*/, v170 :: v_dual_fmac_f32 v69, v37 /*v293*/, v172
	s_set_vgpr_msb 0                        ;  msbs: dst=0 src0=0 src1=0 src2=0
	v_add_f32_e32 v7, v7, v65
	s_set_vgpr_msb 1                        ;  msbs: dst=0 src0=1 src1=0 src2=0
	v_dual_mul_f32 v73, v40 /*v296*/, v177 :: v_dual_mul_f32 v75, v42 /*v298*/, v179
	s_set_vgpr_msb 0                        ;  msbs: dst=0 src0=0 src1=0 src2=0
	v_add_f32_e32 v9, v9, v17
	s_set_vgpr_msb 1                        ;  msbs: dst=0 src0=1 src1=0 src2=0
	v_fmac_f32_e32 v71, v39 /*v295*/, v174
	s_set_vgpr_msb 0                        ;  msbs: dst=0 src0=0 src1=0 src2=0
	v_add_f32_e32 v7, v7, v67
	s_set_vgpr_msb 1                        ;  msbs: dst=0 src0=1 src1=0 src2=0
	v_dual_fmac_f32 v73, v41 /*v297*/, v176 :: v_dual_mul_f32 v77, v44 /*v300*/, v181
	v_mul_f32_e32 v79, v46 /*v302*/, v183
	s_set_vgpr_msb 0                        ;  msbs: dst=0 src0=0 src1=0 src2=0
	v_dual_add_f32 v9, v9, v19 :: v_dual_add_f32 v7, v7, v69
	s_set_vgpr_msb 1                        ;  msbs: dst=0 src0=1 src1=0 src2=0
	v_dual_mul_f32 v13, v37 /*v293*/, v173 :: v_dual_mul_f32 v15, v39 /*v295*/, v175
	v_fma_f32 v11, v34 /*v290*/, v170, -v11
	s_set_vgpr_msb 0                        ;  msbs: dst=0 src0=0 src1=0 src2=0
	v_dual_add_f32 v9, v9, v21 :: v_dual_add_f32 v7, v7, v71
	s_set_vgpr_msb 1                        ;  msbs: dst=0 src0=1 src1=0 src2=0
	v_dual_mul_f32 v21, v45 /*v301*/, v181 :: v_dual_fmac_f32 v75, v43 /*v299*/, v178
	v_fmac_f32_e32 v77, v45 /*v301*/, v180
	s_set_vgpr_msb 0                        ;  msbs: dst=0 src0=0 src1=0 src2=0
	v_dual_add_f32 v9, v9, v23 :: v_dual_add_f32 v7, v7, v73
	s_set_vgpr_msb 1                        ;  msbs: dst=0 src0=1 src1=0 src2=0
	v_dual_mul_f32 v23, v47 /*v303*/, v183 :: v_dual_fma_f32 v13, v36 /*v292*/, v172, -v13
	s_wait_loadcnt 0x4
	s_set_vgpr_msb 0                        ;  msbs: dst=0 src0=0 src1=0 src2=0
	v_mov_b32_e32 v112, v197
	s_set_vgpr_msb 1                        ;  msbs: dst=0 src0=1 src1=0 src2=0
	v_dual_mul_f32 v81, v48 /*v304*/, v185 :: v_dual_mul_f32 v83, v50 /*v306*/, v187
	s_set_vgpr_msb 0                        ;  msbs: dst=0 src0=0 src1=0 src2=0
	v_add_f32_e32 v7, v7, v75
	v_add_f32_e32 v9, v9, v11
	s_set_vgpr_msb 1                        ;  msbs: dst=0 src0=1 src1=0 src2=0
	v_dual_mul_f32 v17, v41 /*v297*/, v177 :: v_dual_mul_f32 v19, v43 /*v299*/, v179
	v_dual_mul_f32 v11, v49 /*v305*/, v185 :: v_dual_fma_f32 v15, v38 /*v294*/, v174, -v15
	v_dual_fma_f32 v21, v44 /*v300*/, v180, -v21 :: v_dual_fmac_f32 v79, v47 /*v303*/, v182
	s_set_vgpr_msb 0                        ;  msbs: dst=0 src0=0 src1=0 src2=0
	v_add_f32_e32 v7, v7, v77
	v_add_f32_e32 v9, v9, v13
	s_set_vgpr_msb 1                        ;  msbs: dst=0 src0=1 src1=0 src2=0
	v_dual_mul_f32 v13, v51 /*v307*/, v187 :: v_dual_fma_f32 v17, v40 /*v296*/, v176, -v17
	v_dual_fma_f32 v23, v46 /*v302*/, v182, -v23 :: v_dual_fmac_f32 v81, v49 /*v305*/, v184
	s_delay_alu instid0(VALU_DEP_2)
	v_dual_fma_f32 v11, v48 /*v304*/, v184, -v11 :: v_dual_fma_f32 v13, v50 /*v306*/, v186, -v13
	s_set_vgpr_msb 0                        ;  msbs: dst=0 src0=0 src1=0 src2=0
	v_add_f32_e32 v7, v7, v79
	v_add_f32_e32 v9, v9, v15
	s_set_vgpr_msb 1                        ;  msbs: dst=0 src0=1 src1=0 src2=0
	v_dual_mul_f32 v15, v53 /*v309*/, v189 :: v_dual_fma_f32 v19, v42 /*v298*/, v178, -v19
	v_dual_fmac_f32 v83, v51 /*v307*/, v186 :: v_dual_fmac_f32 v85, v53 /*v309*/, v188
	s_set_vgpr_msb 0                        ;  msbs: dst=0 src0=0 src1=0 src2=0
	v_add_f32_e32 v7, v7, v81
	v_add_f32_e32 v9, v9, v17
	s_wait_loadcnt 0x3
	v_mov_b32_e32 v116, v201
	s_set_vgpr_msb 64                       ;  msbs: dst=1 src0=0 src1=0 src2=0
	v_dual_mul_f32 v65 /*v321*/, v226, v191 :: v_dual_mul_f32 v67 /*v323*/, v228, v193
	s_set_vgpr_msb 0                        ;  msbs: dst=0 src0=0 src1=0 src2=0
	v_add_f32_e32 v7, v7, v83
	v_add_f32_e32 v9, v9, v19
	v_mul_f32_e32 v19, v229, v193
	v_pk_mul_f32 v[110:111], v[230:231], v[194:195] op_sel:[1,1] op_sel_hi:[0,1]
	s_set_vgpr_msb 64                       ;  msbs: dst=1 src0=0 src1=0 src2=0
	v_dual_fmac_f32 v65 /*v321*/, v227, v190 :: v_dual_fmac_f32 v67 /*v323*/, v229, v192
	s_set_vgpr_msb 0                        ;  msbs: dst=0 src0=0 src1=0 src2=0
	v_add_f32_e32 v119, v7, v85
	v_dual_mul_f32 v17, v227, v191 :: v_dual_add_f32 v9, v9, v21
	s_set_vgpr_msb 64                       ;  msbs: dst=1 src0=0 src1=0 src2=0
	v_fma_f32 v66 /*v322*/, v228, v192, -v19
	s_set_vgpr_msb 0                        ;  msbs: dst=0 src0=0 src1=0 src2=0
	v_pk_fma_f32 v[120:121], v[230:231], v[194:195], v[110:111] op_sel_hi:[1,0,1]
	s_set_vgpr_msb 1                        ;  msbs: dst=0 src0=1 src1=0 src2=0
	v_pk_mul_f32 v[112:113], v[56:57] /*v[312:313]*/, v[112:113] op_sel_hi:[1,0]
	s_set_vgpr_msb 64                       ;  msbs: dst=1 src0=0 src1=0 src2=0
	v_fma_f32 v64 /*v320*/, v226, v190, -v17
	s_set_vgpr_msb 0                        ;  msbs: dst=0 src0=0 src1=0 src2=0
	v_add_f32_e32 v9, v9, v23
	v_pk_fma_f32 v[110:111], v[230:231], v[194:195], v[110:111] neg_lo:[0,0,1] neg_hi:[0,0,1]
	v_pk_mul_f32 v[114:115], v[242:243], v[198:199] op_sel:[1,1] op_sel_hi:[0,1]
	v_mov_b32_e32 v111, v121
	v_pk_fma_f32 v[120:121], v[232:233], v[196:197], v[112:113] op_sel_hi:[1,0,1]
	v_add_f32_e32 v9, v9, v11
	s_set_vgpr_msb 1                        ;  msbs: dst=0 src0=1 src1=0 src2=0
	v_fma_f32 v11, v52 /*v308*/, v188, -v15
	s_set_vgpr_msb 0                        ;  msbs: dst=0 src0=0 src1=0 src2=0
	v_pk_fma_f32 v[112:113], v[232:233], v[196:197], v[112:113] neg_lo:[0,0,1] neg_hi:[0,0,1]
	v_pk_fma_f32 v[124:125], v[242:243], v[198:199], v[114:115] op_sel_hi:[1,0,1]
	s_set_vgpr_msb 1                        ;  msbs: dst=0 src0=1 src1=0 src2=0
	v_pk_mul_f32 v[116:117], v[58:59] /*v[314:315]*/, v[116:117] op_sel_hi:[1,0]
	s_set_vgpr_msb 0                        ;  msbs: dst=0 src0=0 src1=0 src2=0
	v_add_f32_e32 v9, v9, v13
	v_mov_b32_e32 v113, v121
	s_wait_loadcnt 0x2
	v_pk_mul_f32 v[122:123], v[246:247], v[202:203] op_sel:[1,1] op_sel_hi:[0,1]
	v_pk_fma_f32 v[114:115], v[242:243], v[198:199], v[114:115] neg_lo:[0,0,1] neg_hi:[0,0,1]
	v_mov_b32_e32 v115, v125
	v_add_f32_e32 v118, v9, v11
	v_pk_fma_f32 v[120:121], v[244:245], v[200:201], v[116:117] op_sel_hi:[1,0,1]
	v_pk_fma_f32 v[116:117], v[244:245], v[200:201], v[116:117] neg_lo:[0,0,1] neg_hi:[0,0,1]
	s_set_vgpr_msb 4                        ;  msbs: dst=0 src0=0 src1=1 src2=0
	s_delay_alu instid0(VALU_DEP_3) | instskip(NEXT) | instid1(VALU_DEP_1)
	v_pk_add_f32 v[118:119], v[118:119], v[64:65] /*v[320:321]*/
	v_pk_add_f32 v[118:119], v[118:119], v[66:67] /*v[322:323]*/
	s_set_vgpr_msb 0                        ;  msbs: dst=0 src0=0 src1=0 src2=0
	s_delay_alu instid0(VALU_DEP_1) | instskip(SKIP_1) | instid1(VALU_DEP_2)
	v_pk_add_f32 v[110:111], v[118:119], v[110:111]
	v_mov_b32_e32 v118, v205
	v_pk_add_f32 v[110:111], v[110:111], v[112:113]
	v_pk_fma_f32 v[112:113], v[246:247], v[202:203], v[122:123] op_sel_hi:[1,0,1]
	s_set_vgpr_msb 1                        ;  msbs: dst=0 src0=1 src1=0 src2=0
	s_delay_alu instid0(VALU_DEP_3)
	v_pk_mul_f32 v[118:119], v[60:61] /*v[316:317]*/, v[118:119] op_sel_hi:[1,0]
	s_set_vgpr_msb 0                        ;  msbs: dst=0 src0=0 src1=0 src2=0
	v_mov_b32_e32 v117, v121
	v_pk_fma_f32 v[120:121], v[246:247], v[202:203], v[122:123] neg_lo:[0,0,1] neg_hi:[0,0,1]
	v_pk_add_f32 v[110:111], v[110:111], v[114:115]
	v_mov_b32_e32 v121, v113
	v_pk_fma_f32 v[112:113], v[248:249], v[204:205], v[118:119] op_sel_hi:[1,0,1]
	s_wait_loadcnt 0x1
	s_set_vgpr_msb 1                        ;  msbs: dst=0 src0=1 src1=0 src2=0
	v_pk_mul_f32 v[114:115], v[2:3] /*v[258:259]*/, v[206:207] op_sel:[1,1] op_sel_hi:[0,1]
	s_set_vgpr_msb 0                        ;  msbs: dst=0 src0=0 src1=0 src2=0
	v_mov_b32_e32 v112, v209
	v_pk_add_f32 v[110:111], v[110:111], v[116:117]
	v_pk_fma_f32 v[118:119], v[248:249], v[204:205], v[118:119] neg_lo:[0,0,1] neg_hi:[0,0,1]
	v_mov_b32_e32 v119, v113
	s_set_vgpr_msb 1                        ;  msbs: dst=0 src0=1 src1=0 src2=0
	v_pk_fma_f32 v[116:117], v[2:3] /*v[258:259]*/, v[206:207], v[114:115] op_sel_hi:[1,0,1]
	v_pk_mul_f32 v[112:113], v[62:63] /*v[318:319]*/, v[112:113] op_sel_hi:[1,0]
	s_set_vgpr_msb 0                        ;  msbs: dst=0 src0=0 src1=0 src2=0
	v_pk_add_f32 v[110:111], v[110:111], v[120:121]
	s_set_vgpr_msb 1                        ;  msbs: dst=0 src0=1 src1=0 src2=0
	v_pk_fma_f32 v[114:115], v[2:3] /*v[258:259]*/, v[206:207], v[114:115] neg_lo:[0,0,1] neg_hi:[0,0,1]
	s_set_vgpr_msb 0                        ;  msbs: dst=0 src0=0 src1=0 src2=0
	v_mov_b32_e32 v115, v117
	s_set_vgpr_msb 1                        ;  msbs: dst=0 src0=1 src1=0 src2=0
	v_pk_fma_f32 v[116:117], v[4:5] /*v[260:261]*/, v[208:209], v[112:113] op_sel_hi:[1,0,1]
	s_set_vgpr_msb 0                        ;  msbs: dst=0 src0=0 src1=0 src2=0
	v_pk_add_f32 v[110:111], v[110:111], v[118:119]
	s_set_vgpr_msb 1                        ;  msbs: dst=0 src0=1 src1=0 src2=0
	v_pk_fma_f32 v[112:113], v[4:5] /*v[260:261]*/, v[208:209], v[112:113] neg_lo:[0,0,1] neg_hi:[0,0,1]
	s_set_vgpr_msb 0                        ;  msbs: dst=0 src0=0 src1=0 src2=0
	v_mov_b32_e32 v113, v117
	v_pk_add_f32 v[110:111], v[110:111], v[114:115]
	s_delay_alu instid0(VALU_DEP_1) | instskip(SKIP_2) | instid1(VALU_DEP_1)
	v_pk_add_f32 v[110:111], v[110:111], v[112:113]
	s_wait_loadcnt 0x0
	s_set_vgpr_msb 1                        ;  msbs: dst=0 src0=1 src1=0 src2=0
	v_pk_add_f32 v[110:111], v[54:55] /*v[310:311]*/, v[110:111] neg_lo:[0,1] neg_hi:[0,1]
	scratch_store_b64 off, v[110:111], off offset:24
	s_wait_xcnt 0x0
	v_cmpx_lt_u32_e32 2, v0
	s_set_vgpr_msb 0                        ;  msbs: dst=0 src0=0 src1=0 src2=0
	s_cbranch_execz .LBB117_333
; %bb.332:
	scratch_load_b64 v[110:111], off, off offset:16
	v_mov_b64_e32 v[112:113], 0
	scratch_store_b64 off, v[112:113], off offset:16
	s_wait_loadcnt 0x0
	ds_store_b64 v1, v[110:111]
.LBB117_333:
	s_wait_xcnt 0x0
	s_or_b32 exec_lo, exec_lo, s0
	s_wait_storecnt_dscnt 0x0
	s_barrier_signal -1
	s_barrier_wait -1
	s_clause 0x1b
	scratch_load_b128 v[110:113], off, off offset:24
	scratch_load_b128 v[114:117], off, off offset:40
	;; [unrolled: 1-line block ×25, first 2 shown]
	s_set_vgpr_msb 64                       ;  msbs: dst=1 src0=0 src1=0 src2=0
	scratch_load_b64 v[54:55] /*v[310:311]*/, off, off offset:424
	scratch_load_b64 v[56:57] /*v[312:313]*/, off, off offset:16
	s_set_vgpr_msb 0                        ;  msbs: dst=0 src0=0 src1=0 src2=0
	v_mov_b32_e32 v89, 0
	ds_load_2addr_b64 v[210:213], v89 offset0:57 offset1:58
	ds_load_2addr_b64 v[214:217], v89 offset0:59 offset1:60
	;; [unrolled: 1-line block ×12, first 2 shown]
	s_set_vgpr_msb 64                       ;  msbs: dst=1 src0=0 src1=0 src2=0
	ds_load_2addr_b64 v[2:5] /*v[258:261]*/, v89 offset0:105 offset1:106
	ds_load_2addr_b64 v[6:9] /*v[262:265]*/, v89 offset0:73 offset1:74
	ds_load_2addr_b64 v[10:13] /*v[266:269]*/, v89 offset0:75 offset1:76
	ds_load_2addr_b64 v[14:17] /*v[270:273]*/, v89 offset0:77 offset1:78
	ds_load_2addr_b64 v[18:21] /*v[274:277]*/, v89 offset0:79 offset1:80
	ds_load_2addr_b64 v[22:25] /*v[278:281]*/, v89 offset0:81 offset1:82
	ds_load_2addr_b64 v[26:29] /*v[282:285]*/, v89 offset0:83 offset1:84
	ds_load_2addr_b64 v[30:33] /*v[286:289]*/, v89 offset0:85 offset1:86
	ds_load_2addr_b64 v[34:37] /*v[290:293]*/, v89 offset0:87 offset1:88
	ds_load_2addr_b64 v[38:41] /*v[294:297]*/, v89 offset0:89 offset1:90
	ds_load_2addr_b64 v[42:45] /*v[298:301]*/, v89 offset0:91 offset1:92
	ds_load_2addr_b64 v[46:49] /*v[302:305]*/, v89 offset0:93 offset1:94
	ds_load_2addr_b64 v[50:53] /*v[306:309]*/, v89 offset0:95 offset1:96
	ds_load_b64 v[58:59] /*v[314:315]*/, v89 offset:856
	s_wait_dscnt 0x14
	v_dual_mov_b32 v60 /*v316*/, v233 :: v_dual_mov_b32 v61 /*v317*/, v232
	s_wait_dscnt 0x11
	v_dual_mov_b32 v62 /*v318*/, v245 :: v_dual_mov_b32 v63 /*v319*/, v244
	;; [unrolled: 2-line block ×3, first 2 shown]
	s_wait_dscnt 0xd
	s_set_vgpr_msb 0x41                     ;  msbs: dst=1 src0=1 src1=0 src2=0
	v_dual_mov_b32 v66 /*v322*/, v5 /*v261*/ :: v_dual_mov_b32 v67 /*v323*/, v4 /*v260*/
	s_mov_b32 s0, exec_lo
	s_wait_loadcnt 0x1a
	s_set_vgpr_msb 0                        ;  msbs: dst=0 src0=0 src1=0 src2=0
	v_dual_mul_f32 v7, v210, v111 :: v_dual_mul_f32 v91, v211, v111
	s_wait_loadcnt 0x19
	v_mul_f32_e32 v97, v217, v117
	v_dual_mul_f32 v9, v212, v113 :: v_dual_mul_f32 v11, v214, v115
	s_wait_loadcnt 0x18
	v_dual_mul_f32 v99, v219, v119 :: v_dual_fma_f32 v91, v210, v110, -v91
	s_delay_alu instid0(VALU_DEP_2) | instskip(SKIP_3) | instid1(VALU_DEP_2)
	v_dual_fmac_f32 v7, v211, v110 :: v_dual_fmac_f32 v9, v213, v112
	v_dual_mul_f32 v95, v215, v115 :: v_dual_mul_f32 v101, v221, v121
	v_dual_mul_f32 v13, v216, v117 :: v_dual_mul_f32 v15, v218, v119
	s_wait_loadcnt 0x16
	v_dual_mul_f32 v107, v235, v127 :: v_dual_fma_f32 v95, v214, v114, -v95
	v_dual_add_f32 v7, 0, v7 :: v_dual_mul_f32 v93, v213, v113
	v_dual_fmac_f32 v11, v215, v114 :: v_dual_mul_f32 v17, v220, v121
	v_mul_f32_e32 v19, v222, v123
	s_wait_loadcnt 0x6
	v_mul_f32_e32 v87, v226, v191
	s_wait_dscnt 0x1
	s_set_vgpr_msb 1                        ;  msbs: dst=0 src0=1 src1=0 src2=0
	v_mul_f32_e32 v85, v52 /*v308*/, v189
	s_set_vgpr_msb 0                        ;  msbs: dst=0 src0=0 src1=0 src2=0
	v_dual_fma_f32 v93, v212, v112, -v93 :: v_dual_add_f32 v91, 0, v91
	v_dual_add_f32 v7, v7, v9 :: v_dual_fmac_f32 v13, v217, v116
	v_dual_mul_f32 v103, v223, v123 :: v_dual_mul_f32 v105, v225, v125
	s_delay_alu instid0(VALU_DEP_3) | instskip(NEXT) | instid1(VALU_DEP_3)
	v_dual_add_f32 v9, v91, v93 :: v_dual_fma_f32 v93, v216, v116, -v97
	v_dual_mul_f32 v91, v237, v129 :: v_dual_add_f32 v7, v7, v11
	s_delay_alu instid0(VALU_DEP_2) | instskip(SKIP_1) | instid1(VALU_DEP_3)
	v_dual_fmac_f32 v15, v219, v118 :: v_dual_add_f32 v9, v9, v95
	v_dual_mul_f32 v11, v239, v131 :: v_dual_fma_f32 v95, v218, v118, -v99
	v_dual_add_f32 v7, v7, v13 :: v_dual_fmac_f32 v17, v221, v120
	s_delay_alu instid0(VALU_DEP_3) | instskip(SKIP_1) | instid1(VALU_DEP_3)
	v_add_f32_e32 v9, v9, v93
	v_dual_mul_f32 v13, v241, v133 :: v_dual_fma_f32 v93, v220, v120, -v101
	v_dual_add_f32 v7, v7, v15 :: v_dual_mul_f32 v21, v224, v125
	v_mul_f32_e32 v23, v234, v127
	s_delay_alu instid0(VALU_DEP_4) | instskip(SKIP_1) | instid1(VALU_DEP_4)
	v_dual_add_f32 v9, v9, v95 :: v_dual_fmac_f32 v19, v223, v122
	v_dual_mul_f32 v15, v251, v135 :: v_dual_fma_f32 v95, v222, v122, -v103
	v_dual_add_f32 v7, v7, v17 :: v_dual_fmac_f32 v21, v225, v124
	s_delay_alu instid0(VALU_DEP_3) | instskip(SKIP_1) | instid1(VALU_DEP_3)
	v_add_f32_e32 v9, v9, v93
	v_dual_mul_f32 v17, v253, v137 :: v_dual_fma_f32 v93, v224, v124, -v105
	v_dual_add_f32 v7, v7, v19 :: v_dual_mul_f32 v25, v236, v129
	v_mul_f32_e32 v27, v238, v131
	s_delay_alu instid0(VALU_DEP_4) | instskip(SKIP_1) | instid1(VALU_DEP_4)
	v_dual_add_f32 v9, v9, v95 :: v_dual_fmac_f32 v23, v235, v126
	v_dual_mul_f32 v19, v255, v139 :: v_dual_fma_f32 v95, v234, v126, -v107
	v_dual_add_f32 v7, v7, v21 :: v_dual_fmac_f32 v25, v237, v128
	s_delay_alu instid0(VALU_DEP_3) | instskip(SKIP_1) | instid1(VALU_DEP_3)
	v_dual_add_f32 v9, v9, v93 :: v_dual_fma_f32 v91, v236, v128, -v91
	v_dual_mul_f32 v29, v240, v133 :: v_dual_mul_f32 v31, v250, v135
	v_add_f32_e32 v7, v7, v23
	s_delay_alu instid0(VALU_DEP_3) | instskip(SKIP_1) | instid1(VALU_DEP_2)
	v_dual_add_f32 v9, v9, v95 :: v_dual_fmac_f32 v27, v239, v130
	v_dual_fma_f32 v11, v238, v130, -v11 :: v_dual_fma_f32 v13, v240, v132, -v13
	v_dual_add_f32 v7, v7, v25 :: v_dual_add_f32 v9, v9, v91
	v_dual_fmac_f32 v29, v241, v132 :: v_dual_mul_f32 v33, v252, v137
	v_mul_f32_e32 v35, v254, v139
	s_delay_alu instid0(VALU_DEP_3) | instskip(NEXT) | instid1(VALU_DEP_4)
	v_add_f32_e32 v7, v7, v27
	v_dual_add_f32 v9, v9, v11 :: v_dual_fmac_f32 v31, v251, v134
	v_dual_fma_f32 v15, v250, v134, -v15 :: v_dual_fma_f32 v17, v252, v136, -v17
	s_delay_alu instid0(VALU_DEP_3) | instskip(NEXT) | instid1(VALU_DEP_3)
	v_add_f32_e32 v7, v7, v29
	v_add_f32_e32 v9, v9, v13
	v_fmac_f32_e32 v33, v253, v136
	s_set_vgpr_msb 1                        ;  msbs: dst=0 src0=1 src1=0 src2=0
	v_dual_mul_f32 v37, v0 /*v256*/, v141 :: v_dual_mul_f32 v39, v6 /*v262*/, v143
	s_set_vgpr_msb 0                        ;  msbs: dst=0 src0=0 src1=0 src2=0
	v_add_f32_e32 v7, v7, v31
	v_dual_add_f32 v9, v9, v15 :: v_dual_fmac_f32 v35, v255, v138
	s_set_vgpr_msb 1                        ;  msbs: dst=0 src0=1 src1=0 src2=0
	v_dual_mul_f32 v21, v1 /*v257*/, v141 :: v_dual_mul_f32 v23, v7 /*v263*/, v143
	s_set_vgpr_msb 0                        ;  msbs: dst=0 src0=0 src1=0 src2=0
	v_dual_fma_f32 v19, v254, v138, -v19 :: v_dual_add_f32 v7, v7, v33
	v_add_f32_e32 v9, v9, v17
	s_set_vgpr_msb 1                        ;  msbs: dst=0 src0=1 src1=0 src2=0
	v_dual_mul_f32 v17, v17 /*v273*/, v153 :: v_dual_fma_f32 v21, v0 /*v256*/, v140, -v21
	v_fmac_f32_e32 v37, v1 /*v257*/, v140
	s_set_vgpr_msb 0                        ;  msbs: dst=0 src0=0 src1=0 src2=0
	v_add_f32_e32 v7, v7, v35
	v_add_f32_e32 v9, v9, v19
	s_set_vgpr_msb 1                        ;  msbs: dst=0 src0=1 src1=0 src2=0
	v_dual_mul_f32 v41, v8 /*v264*/, v145 :: v_dual_mul_f32 v43, v10 /*v266*/, v147
	v_dual_mul_f32 v25, v9 /*v265*/, v145 :: v_dual_mul_f32 v11, v11 /*v267*/, v147
	v_mul_f32_e32 v19, v19 /*v275*/, v155
	v_fmac_f32_e32 v39, v7 /*v263*/, v142
	s_delay_alu instid0(VALU_DEP_4)
	v_dual_fma_f32 v23, v6 /*v262*/, v142, -v23 :: v_dual_fmac_f32 v41, v9 /*v265*/, v144
	s_set_vgpr_msb 0                        ;  msbs: dst=0 src0=0 src1=0 src2=0
	v_add_f32_e32 v7, v7, v37
	v_add_f32_e32 v9, v9, v21
	s_set_vgpr_msb 1                        ;  msbs: dst=0 src0=1 src1=0 src2=0
	v_dual_mul_f32 v21, v21 /*v277*/, v157 :: v_dual_fma_f32 v25, v8 /*v264*/, v144, -v25
	v_dual_mul_f32 v45, v12 /*v268*/, v149 :: v_dual_mul_f32 v47, v14 /*v270*/, v151
	s_set_vgpr_msb 0                        ;  msbs: dst=0 src0=0 src1=0 src2=0
	v_add_f32_e32 v7, v7, v39
	v_add_f32_e32 v9, v9, v23
	s_set_vgpr_msb 1                        ;  msbs: dst=0 src0=1 src1=0 src2=0
	v_dual_mul_f32 v13, v13 /*v269*/, v149 :: v_dual_mul_f32 v15, v15 /*v271*/, v151
	v_mul_f32_e32 v23, v23 /*v279*/, v159
	v_fmac_f32_e32 v43, v11 /*v267*/, v146
	v_dual_fma_f32 v11, v10 /*v266*/, v146, -v11 :: v_dual_fmac_f32 v45, v13 /*v269*/, v148
	s_set_vgpr_msb 0                        ;  msbs: dst=0 src0=0 src1=0 src2=0
	v_add_f32_e32 v7, v7, v41
	v_add_f32_e32 v9, v9, v25
	s_set_vgpr_msb 1                        ;  msbs: dst=0 src0=1 src1=0 src2=0
	v_dual_mul_f32 v25, v25 /*v281*/, v161 :: v_dual_fma_f32 v13, v12 /*v268*/, v148, -v13
	v_dual_mul_f32 v49, v16 /*v272*/, v153 :: v_dual_mul_f32 v51, v18 /*v274*/, v155
	s_set_vgpr_msb 0                        ;  msbs: dst=0 src0=0 src1=0 src2=0
	v_add_f32_e32 v7, v7, v43
	v_add_f32_e32 v9, v9, v11
	s_set_vgpr_msb 1                        ;  msbs: dst=0 src0=1 src1=0 src2=0
	v_mul_f32_e32 v11, v27 /*v283*/, v163
	v_fmac_f32_e32 v47, v15 /*v271*/, v150
	v_dual_fma_f32 v15, v14 /*v270*/, v150, -v15 :: v_dual_fmac_f32 v49, v17 /*v273*/, v152
	s_set_vgpr_msb 0                        ;  msbs: dst=0 src0=0 src1=0 src2=0
	v_add_f32_e32 v7, v7, v45
	v_add_f32_e32 v9, v9, v13
	s_set_vgpr_msb 1                        ;  msbs: dst=0 src0=1 src1=0 src2=0
	v_dual_mul_f32 v13, v29 /*v285*/, v165 :: v_dual_fma_f32 v17, v16 /*v272*/, v152, -v17
	v_dual_mul_f32 v53, v20 /*v276*/, v157 :: v_dual_mul_f32 v55, v22 /*v278*/, v159
	s_set_vgpr_msb 0                        ;  msbs: dst=0 src0=0 src1=0 src2=0
	v_add_f32_e32 v7, v7, v47
	v_add_f32_e32 v9, v9, v15
	s_set_vgpr_msb 1                        ;  msbs: dst=0 src0=1 src1=0 src2=0
	;; [unrolled: 13-line block ×7, first 2 shown]
	v_mul_f32_e32 v19, v51 /*v307*/, v187
	v_fmac_f32_e32 v71, v39 /*v295*/, v174
	v_dual_fma_f32 v23, v38 /*v294*/, v174, -v23 :: v_dual_fmac_f32 v73, v41 /*v297*/, v176
	s_set_vgpr_msb 0                        ;  msbs: dst=0 src0=0 src1=0 src2=0
	v_add_f32_e32 v7, v7, v69
	v_add_f32_e32 v9, v9, v21
	s_set_vgpr_msb 1                        ;  msbs: dst=0 src0=1 src1=0 src2=0
	v_dual_mul_f32 v21, v53 /*v309*/, v189 :: v_dual_fma_f32 v25, v40 /*v296*/, v176, -v25
	v_fmac_f32_e32 v75, v43 /*v299*/, v178
	s_set_vgpr_msb 0                        ;  msbs: dst=0 src0=0 src1=0 src2=0
	v_add_f32_e32 v7, v7, v71
	v_add_f32_e32 v9, v9, v23
	s_set_vgpr_msb 1                        ;  msbs: dst=0 src0=1 src1=0 src2=0
	v_dual_mul_f32 v77, v44 /*v300*/, v181 :: v_dual_mul_f32 v79, v46 /*v302*/, v183
	v_fma_f32 v11, v42 /*v298*/, v178, -v11
	s_set_vgpr_msb 0                        ;  msbs: dst=0 src0=0 src1=0 src2=0
	v_add_f32_e32 v7, v7, v73
	v_dual_mul_f32 v23, v227, v191 :: v_dual_add_f32 v9, v9, v25
	v_mul_f32_e32 v25, v229, v193
	s_set_vgpr_msb 1                        ;  msbs: dst=0 src0=1 src1=0 src2=0
	v_fmac_f32_e32 v77, v45 /*v301*/, v180
	v_dual_fma_f32 v13, v44 /*v300*/, v180, -v13 :: v_dual_fmac_f32 v79, v47 /*v303*/, v182
	s_set_vgpr_msb 0                        ;  msbs: dst=0 src0=0 src1=0 src2=0
	v_add_f32_e32 v7, v7, v75
	v_add_f32_e32 v9, v9, v11
	s_set_vgpr_msb 1                        ;  msbs: dst=0 src0=1 src1=0 src2=0
	v_dual_mul_f32 v81, v48 /*v304*/, v185 :: v_dual_mul_f32 v83, v50 /*v306*/, v187
	v_fma_f32 v15, v46 /*v302*/, v182, -v15
	s_set_vgpr_msb 0                        ;  msbs: dst=0 src0=0 src1=0 src2=0
	v_add_f32_e32 v7, v7, v77
	s_wait_loadcnt 0x5
	v_dual_mul_f32 v11, v231, v195 :: v_dual_add_f32 v9, v9, v13
	v_mov_b32_e32 v110, v197
	s_set_vgpr_msb 1                        ;  msbs: dst=0 src0=1 src1=0 src2=0
	v_fmac_f32_e32 v81, v49 /*v305*/, v184
	v_dual_fma_f32 v13, v48 /*v304*/, v184, -v17 :: v_dual_fmac_f32 v83, v51 /*v307*/, v186
	s_set_vgpr_msb 0                        ;  msbs: dst=0 src0=0 src1=0 src2=0
	v_add_f32_e32 v7, v7, v79
	v_add_f32_e32 v9, v9, v15
	s_set_vgpr_msb 1                        ;  msbs: dst=0 src0=1 src1=0 src2=0
	v_dual_fma_f32 v15, v50 /*v306*/, v186, -v19 :: v_dual_fmac_f32 v85, v53 /*v309*/, v188
	s_set_vgpr_msb 64                       ;  msbs: dst=1 src0=0 src1=0 src2=0
	v_dual_mul_f32 v69 /*v325*/, v228, v193 :: v_dual_mul_f32 v71 /*v327*/, v230, v195
	s_set_vgpr_msb 0                        ;  msbs: dst=0 src0=0 src1=0 src2=0
	v_add_f32_e32 v7, v7, v81
	v_add_f32_e32 v9, v9, v13
	s_set_vgpr_msb 1                        ;  msbs: dst=0 src0=1 src1=0 src2=0
	v_fma_f32 v13, v52 /*v308*/, v188, -v21
	s_wait_loadcnt 0x4
	s_set_vgpr_msb 0                        ;  msbs: dst=0 src0=0 src1=0 src2=0
	v_dual_mov_b32 v114, v201 :: v_dual_fmac_f32 v87, v227, v190
	v_add_f32_e32 v7, v7, v83
	v_dual_add_f32 v9, v9, v15 :: v_dual_fma_f32 v15, v226, v190, -v23
	s_set_vgpr_msb 64                       ;  msbs: dst=1 src0=0 src1=0 src2=0
	v_dual_fmac_f32 v69 /*v325*/, v229, v192 :: v_dual_fmac_f32 v71 /*v327*/, v231, v194
	v_dual_fma_f32 v68 /*v324*/, v228, v192, -v25 :: v_dual_fma_f32 v70 /*v326*/, v230, v194, -v11
	s_set_vgpr_msb 0                        ;  msbs: dst=0 src0=0 src1=0 src2=0
	v_add_f32_e32 v9, v9, v13
	v_add_f32_e32 v7, v7, v85
	s_set_vgpr_msb 1                        ;  msbs: dst=0 src0=1 src1=0 src2=0
	v_pk_mul_f32 v[110:111], v[60:61] /*v[316:317]*/, v[110:111] op_sel_hi:[1,0]
	s_set_vgpr_msb 0                        ;  msbs: dst=0 src0=0 src1=0 src2=0
	v_pk_mul_f32 v[112:113], v[242:243], v[198:199] op_sel:[1,1] op_sel_hi:[0,1]
	s_set_vgpr_msb 1                        ;  msbs: dst=0 src0=1 src1=0 src2=0
	v_pk_mul_f32 v[114:115], v[62:63] /*v[318:319]*/, v[114:115] op_sel_hi:[1,0]
	s_set_vgpr_msb 0                        ;  msbs: dst=0 src0=0 src1=0 src2=0
	v_add_f32_e32 v118, v9, v15
	v_add_f32_e32 v119, v7, v87
	v_pk_fma_f32 v[122:123], v[232:233], v[196:197], v[110:111] op_sel_hi:[1,0,1]
	v_pk_fma_f32 v[110:111], v[232:233], v[196:197], v[110:111] neg_lo:[0,0,1] neg_hi:[0,0,1]
	s_wait_loadcnt 0x3
	v_mov_b32_e32 v120, v205
	v_pk_fma_f32 v[124:125], v[242:243], v[198:199], v[112:113] op_sel_hi:[1,0,1]
	s_set_vgpr_msb 4                        ;  msbs: dst=0 src0=0 src1=1 src2=0
	v_pk_add_f32 v[118:119], v[118:119], v[68:69] /*v[324:325]*/
	v_mov_b32_e32 v111, v123
	s_set_vgpr_msb 0                        ;  msbs: dst=0 src0=0 src1=0 src2=0
	v_pk_fma_f32 v[112:113], v[242:243], v[198:199], v[112:113] neg_lo:[0,0,1] neg_hi:[0,0,1]
	v_pk_mul_f32 v[116:117], v[246:247], v[202:203] op_sel:[1,1] op_sel_hi:[0,1]
	v_mov_b32_e32 v113, v125
	s_set_vgpr_msb 4                        ;  msbs: dst=0 src0=0 src1=1 src2=0
	v_pk_add_f32 v[118:119], v[118:119], v[70:71] /*v[326:327]*/
	s_set_vgpr_msb 0                        ;  msbs: dst=0 src0=0 src1=0 src2=0
	v_pk_fma_f32 v[124:125], v[244:245], v[200:201], v[114:115] op_sel_hi:[1,0,1]
	v_pk_fma_f32 v[114:115], v[244:245], v[200:201], v[114:115] neg_lo:[0,0,1] neg_hi:[0,0,1]
	s_set_vgpr_msb 1                        ;  msbs: dst=0 src0=1 src1=0 src2=0
	v_pk_mul_f32 v[120:121], v[64:65] /*v[320:321]*/, v[120:121] op_sel_hi:[1,0]
	s_wait_loadcnt 0x2
	v_pk_mul_f32 v[122:123], v[2:3] /*v[258:259]*/, v[206:207] op_sel:[1,1] op_sel_hi:[0,1]
	s_set_vgpr_msb 0                        ;  msbs: dst=0 src0=0 src1=0 src2=0
	v_pk_add_f32 v[110:111], v[118:119], v[110:111]
	v_pk_fma_f32 v[118:119], v[246:247], v[202:203], v[116:117] op_sel_hi:[1,0,1]
	v_mov_b32_e32 v115, v125
	v_pk_fma_f32 v[116:117], v[246:247], v[202:203], v[116:117] neg_lo:[0,0,1] neg_hi:[0,0,1]
	s_delay_alu instid0(VALU_DEP_4) | instskip(NEXT) | instid1(VALU_DEP_4)
	v_pk_add_f32 v[110:111], v[110:111], v[112:113]
	v_dual_mov_b32 v112, v209 :: v_dual_mov_b32 v117, v119
	v_pk_fma_f32 v[118:119], v[248:249], v[204:205], v[120:121] op_sel_hi:[1,0,1]
	v_pk_fma_f32 v[120:121], v[248:249], v[204:205], v[120:121] neg_lo:[0,0,1] neg_hi:[0,0,1]
	s_delay_alu instid0(VALU_DEP_4)
	v_pk_add_f32 v[110:111], v[110:111], v[114:115]
	s_set_vgpr_msb 1                        ;  msbs: dst=0 src0=1 src1=0 src2=0
	v_pk_fma_f32 v[114:115], v[2:3] /*v[258:259]*/, v[206:207], v[122:123] op_sel_hi:[1,0,1]
	v_pk_mul_f32 v[112:113], v[66:67] /*v[322:323]*/, v[112:113] op_sel_hi:[1,0]
	s_set_vgpr_msb 0                        ;  msbs: dst=0 src0=0 src1=0 src2=0
	v_mov_b32_e32 v121, v119
	s_wait_loadcnt_dscnt 0x100
	s_set_vgpr_msb 5                        ;  msbs: dst=0 src0=1 src1=1 src2=0
	v_pk_mul_f32 v[118:119], v[58:59] /*v[314:315]*/, v[54:55] /*v[310:311]*/ op_sel:[1,1] op_sel_hi:[0,1]
	s_set_vgpr_msb 0                        ;  msbs: dst=0 src0=0 src1=0 src2=0
	v_pk_add_f32 v[110:111], v[110:111], v[116:117]
	s_set_vgpr_msb 1                        ;  msbs: dst=0 src0=1 src1=0 src2=0
	v_pk_fma_f32 v[116:117], v[2:3] /*v[258:259]*/, v[206:207], v[122:123] neg_lo:[0,0,1] neg_hi:[0,0,1]
	s_set_vgpr_msb 0                        ;  msbs: dst=0 src0=0 src1=0 src2=0
	v_mov_b32_e32 v117, v115
	s_set_vgpr_msb 1                        ;  msbs: dst=0 src0=1 src1=0 src2=0
	v_pk_fma_f32 v[114:115], v[4:5] /*v[260:261]*/, v[208:209], v[112:113] op_sel_hi:[1,0,1]
	v_pk_fma_f32 v[112:113], v[4:5] /*v[260:261]*/, v[208:209], v[112:113] neg_lo:[0,0,1] neg_hi:[0,0,1]
	s_set_vgpr_msb 0                        ;  msbs: dst=0 src0=0 src1=0 src2=0
	v_pk_add_f32 v[110:111], v[110:111], v[120:121]
	s_delay_alu instid0(VALU_DEP_3)
	v_mov_b32_e32 v113, v115
	s_set_vgpr_msb 5                        ;  msbs: dst=0 src0=1 src1=1 src2=0
	v_pk_fma_f32 v[114:115], v[58:59] /*v[314:315]*/, v[54:55] /*v[310:311]*/, v[118:119] op_sel_hi:[1,0,1]
	s_set_vgpr_msb 0                        ;  msbs: dst=0 src0=0 src1=0 src2=0
	v_pk_add_f32 v[110:111], v[110:111], v[116:117]
	s_set_vgpr_msb 5                        ;  msbs: dst=0 src0=1 src1=1 src2=0
	v_pk_fma_f32 v[116:117], v[58:59] /*v[314:315]*/, v[54:55] /*v[310:311]*/, v[118:119] neg_lo:[0,0,1] neg_hi:[0,0,1]
	s_set_vgpr_msb 0                        ;  msbs: dst=0 src0=0 src1=0 src2=0
	v_mov_b32_e32 v117, v115
	v_pk_add_f32 v[110:111], v[110:111], v[112:113]
	s_delay_alu instid0(VALU_DEP_1) | instskip(SKIP_2) | instid1(VALU_DEP_1)
	v_pk_add_f32 v[110:111], v[110:111], v[116:117]
	s_wait_loadcnt 0x0
	s_set_vgpr_msb 1                        ;  msbs: dst=0 src0=1 src1=0 src2=0
	v_pk_add_f32 v[110:111], v[56:57] /*v[312:313]*/, v[110:111] neg_lo:[0,1] neg_hi:[0,1]
	scratch_store_b64 off, v[110:111], off offset:16
	s_wait_xcnt 0x0
	v_cmpx_lt_u32_e32 1, v0
	s_set_vgpr_msb 0                        ;  msbs: dst=0 src0=0 src1=0 src2=0
	s_cbranch_execz .LBB117_335
; %bb.334:
	scratch_load_b64 v[110:111], off, off offset:8
	v_mov_b64_e32 v[112:113], 0
	scratch_store_b64 off, v[112:113], off offset:8
	s_wait_loadcnt 0x0
	ds_store_b64 v1, v[110:111]
.LBB117_335:
	s_wait_xcnt 0x0
	s_or_b32 exec_lo, exec_lo, s0
	s_wait_storecnt_dscnt 0x0
	s_barrier_signal -1
	s_barrier_wait -1
	s_clause 0x18
	scratch_load_b128 v[110:113], off, off offset:16
	scratch_load_b128 v[114:117], off, off offset:32
	;; [unrolled: 1-line block ×25, first 2 shown]
	ds_load_b128 v[210:213], v89 offset:448
	ds_load_b128 v[214:217], v89 offset:464
	scratch_load_b128 v[218:221], off, off offset:416
	ds_load_b128 v[222:225], v89 offset:480
	ds_load_b128 v[226:229], v89 offset:496
	;; [unrolled: 1-line block ×8, first 2 shown]
	v_ashrrev_i32_e32 v87, 31, v86
	s_set_vgpr_msb 64                       ;  msbs: dst=1 src0=0 src1=0 src2=0
	scratch_load_b64 v[62:63] /*v[318:319]*/, off, off offset:8
	s_set_vgpr_msb 0                        ;  msbs: dst=0 src0=0 src1=0 src2=0
	ds_load_b128 v[254:257], v89 offset:832
	s_set_vgpr_msb 64                       ;  msbs: dst=1 src0=0 src1=0 src2=0
	ds_load_b128 v[2:5] /*v[258:261]*/, v89 offset:848
	ds_load_b128 v[6:9] /*v[262:265]*/, v89 offset:576
	;; [unrolled: 1-line block ×15, first 2 shown]
	s_set_vgpr_msb 0                        ;  msbs: dst=0 src0=0 src1=0 src2=0
	v_dual_ashrrev_i32 v7, 31, v6 :: v_dual_ashrrev_i32 v9, 31, v8
	v_dual_ashrrev_i32 v11, 31, v10 :: v_dual_ashrrev_i32 v13, 31, v12
	s_wait_dscnt 0xf
	s_set_vgpr_msb 0x41                     ;  msbs: dst=1 src0=1 src1=0 src2=0
	v_dual_mov_b32 v68 /*v324*/, v1 /*v257*/ :: v_dual_mov_b32 v69 /*v325*/, v0 /*v256*/
	s_wait_dscnt 0xe
	v_dual_mov_b32 v70 /*v326*/, v5 /*v261*/ :: v_dual_mov_b32 v71 /*v327*/, v4 /*v260*/
	s_set_vgpr_msb 0                        ;  msbs: dst=0 src0=0 src1=0 src2=0
	v_dual_ashrrev_i32 v15, 31, v14 :: v_dual_ashrrev_i32 v17, 31, v16
	v_dual_ashrrev_i32 v19, 31, v18 :: v_dual_ashrrev_i32 v21, 31, v20
	v_dual_ashrrev_i32 v23, 31, v22 :: v_dual_ashrrev_i32 v25, 31, v24
	s_set_vgpr_msb 64                       ;  msbs: dst=1 src0=0 src1=0 src2=0
	v_dual_mov_b32 v64 /*v320*/, v241 :: v_dual_mov_b32 v65 /*v321*/, v240
	v_dual_mov_b32 v66 /*v322*/, v253 :: v_dual_mov_b32 v67 /*v323*/, v252
	s_set_vgpr_msb 0                        ;  msbs: dst=0 src0=0 src1=0 src2=0
	v_dual_ashrrev_i32 v27, 31, v26 :: v_dual_ashrrev_i32 v29, 31, v28
	v_dual_ashrrev_i32 v31, 31, v30 :: v_dual_ashrrev_i32 v33, 31, v32
	;; [unrolled: 1-line block ×15, first 2 shown]
	s_mov_b32 s0, exec_lo
	s_wait_loadcnt 0x19
	v_dual_mul_f32 v89, v210, v111 :: v_dual_mul_f32 v95, v216, v117
	v_dual_mul_f32 v97, v211, v111 :: v_dual_mul_f32 v91, v212, v113
	;; [unrolled: 1-line block ×3, first 2 shown]
	v_mul_f32_e32 v101, v215, v115
	s_delay_alu instid0(VALU_DEP_3) | instskip(NEXT) | instid1(VALU_DEP_3)
	v_dual_fmac_f32 v89, v211, v110 :: v_dual_fmac_f32 v91, v213, v112
	v_dual_fma_f32 v97, v210, v110, -v97 :: v_dual_fma_f32 v99, v212, v112, -v99
	s_wait_loadcnt 0x17
	v_dual_mul_f32 v110, v228, v125 :: v_dual_mul_f32 v111, v223, v119
	v_mul_f32_e32 v115, v229, v125
	v_dual_mul_f32 v103, v217, v117 :: v_dual_mul_f32 v105, v222, v119
	v_dual_mul_f32 v112, v225, v121 :: v_dual_mul_f32 v113, v227, v123
	s_wait_loadcnt 0x16
	v_dual_mul_f32 v117, v230, v127 :: v_dual_fmac_f32 v110, v229, v124
	v_dual_fma_f32 v115, v228, v124, -v115 :: v_dual_add_f32 v89, 0, v89
	s_wait_loadcnt_dscnt 0x120d
	s_set_vgpr_msb 1                        ;  msbs: dst=0 src0=1 src1=0 src2=0
	v_dual_mul_f32 v124, v7 /*v263*/, v143 :: v_dual_add_f32 v97, 0, v97
	s_set_vgpr_msb 0                        ;  msbs: dst=0 src0=0 src1=0 src2=0
	v_dual_mul_f32 v107, v224, v121 :: v_dual_mul_f32 v109, v226, v123
	v_dual_fma_f32 v101, v214, v114, -v101 :: v_dual_fma_f32 v103, v216, v116, -v103
	v_dual_mul_f32 v119, v236, v133 :: v_dual_mul_f32 v121, v231, v127
	v_dual_add_f32 v97, v97, v99 :: v_dual_fmac_f32 v93, v215, v114
	v_dual_fmac_f32 v95, v217, v116 :: v_dual_mul_f32 v114, v232, v129
	s_delay_alu instid0(VALU_DEP_2) | instskip(SKIP_3) | instid1(VALU_DEP_4)
	v_dual_mul_f32 v116, v234, v131 :: v_dual_add_f32 v97, v97, v101
	v_dual_mul_f32 v123, v233, v129 :: v_dual_mul_f32 v125, v235, v131
	v_dual_mul_f32 v127, v237, v133 :: v_dual_mul_f32 v129, v242, v135
	v_dual_fma_f32 v111, v222, v118, -v111 :: v_dual_fma_f32 v112, v224, v120, -v112
	v_dual_fmac_f32 v116, v235, v130 :: v_dual_add_f32 v97, v97, v103
	v_dual_fmac_f32 v105, v223, v118 :: v_dual_fmac_f32 v107, v225, v120
	v_dual_mul_f32 v118, v244, v137 :: v_dual_mul_f32 v120, v243, v135
	s_delay_alu instid0(VALU_DEP_3) | instskip(SKIP_2) | instid1(VALU_DEP_3)
	v_add_f32_e32 v97, v97, v111
	v_dual_mul_f32 v131, v245, v137 :: v_dual_mul_f32 v133, v246, v139
	v_dual_fma_f32 v113, v226, v122, -v113 :: v_dual_add_f32 v89, v89, v91
	v_dual_fmac_f32 v117, v231, v126 :: v_dual_add_f32 v97, v97, v112
	s_delay_alu instid0(VALU_DEP_3) | instskip(NEXT) | instid1(VALU_DEP_3)
	v_fmac_f32_e32 v133, v247, v138
	v_dual_fma_f32 v111, v230, v126, -v121 :: v_dual_add_f32 v89, v89, v93
	s_delay_alu instid0(VALU_DEP_3) | instskip(SKIP_2) | instid1(VALU_DEP_4)
	v_dual_fma_f32 v121, v232, v128, -v123 :: v_dual_add_f32 v97, v97, v113
	v_fma_f32 v113, v236, v132, -v127
	v_dual_mul_f32 v135, v248, v141 :: v_dual_mul_f32 v137, v247, v139
	v_add_f32_e32 v89, v89, v95
	s_delay_alu instid0(VALU_DEP_4)
	v_add_f32_e32 v97, v97, v115
	v_dual_mul_f32 v139, v249, v141 :: v_dual_fmac_f32 v109, v227, v122
	v_fmac_f32_e32 v129, v243, v134
	s_wait_loadcnt_dscnt 0x100b
	s_set_vgpr_msb 1                        ;  msbs: dst=0 src0=1 src1=0 src2=0
	v_mul_f32_e32 v101, v16 /*v272*/, v153
	s_set_vgpr_msb 0                        ;  msbs: dst=0 src0=0 src1=0 src2=0
	v_dual_add_f32 v97, v97, v111 :: v_dual_fma_f32 v111, v234, v130, -v125
	v_add_f32_e32 v89, v89, v105
	s_wait_loadcnt_dscnt 0xf0a
	s_set_vgpr_msb 1                        ;  msbs: dst=0 src0=1 src1=0 src2=0
	v_dual_mul_f32 v95, v17 /*v273*/, v153 :: v_dual_mul_f32 v103, v18 /*v274*/, v155
	s_set_vgpr_msb 0                        ;  msbs: dst=0 src0=0 src1=0 src2=0
	v_add_f32_e32 v97, v97, v121
	s_set_vgpr_msb 1                        ;  msbs: dst=0 src0=1 src1=0 src2=0
	v_dual_mul_f32 v141, v6 /*v262*/, v143 :: v_dual_mul_f32 v122, v8 /*v264*/, v145
	s_set_vgpr_msb 0                        ;  msbs: dst=0 src0=0 src1=0 src2=0
	v_add_f32_e32 v89, v89, v107
	s_set_vgpr_msb 1                        ;  msbs: dst=0 src0=1 src1=0 src2=0
	v_dual_mul_f32 v143, v9 /*v265*/, v145 :: v_dual_mul_f32 v145, v10 /*v266*/, v147
	s_set_vgpr_msb 0                        ;  msbs: dst=0 src0=0 src1=0 src2=0
	v_dual_add_f32 v97, v97, v111 :: v_dual_fma_f32 v111, v242, v134, -v120
	s_set_vgpr_msb 1                        ;  msbs: dst=0 src0=1 src1=0 src2=0
	v_dual_mul_f32 v91, v12 /*v268*/, v149 :: v_dual_mul_f32 v99, v11 /*v267*/, v147
	v_dual_mul_f32 v147, v13 /*v269*/, v149 :: v_dual_mul_f32 v93, v14 /*v270*/, v151
	s_set_vgpr_msb 0                        ;  msbs: dst=0 src0=0 src1=0 src2=0
	v_dual_add_f32 v97, v97, v113 :: v_dual_fma_f32 v113, v244, v136, -v131
	v_add_f32_e32 v89, v89, v109
	s_set_vgpr_msb 1                        ;  msbs: dst=0 src0=1 src1=0 src2=0
	v_dual_mul_f32 v149, v15 /*v271*/, v151 :: v_dual_fmac_f32 v101, v17 /*v273*/, v152
	v_fma_f32 v95, v16 /*v272*/, v152, -v95
	s_set_vgpr_msb 0                        ;  msbs: dst=0 src0=0 src1=0 src2=0
	v_add_f32_e32 v97, v97, v111
	v_dual_fmac_f32 v114, v233, v128 :: v_dual_fma_f32 v111, v246, v138, -v137
	v_fmac_f32_e32 v119, v237, v132
	v_fmac_f32_e32 v118, v245, v136
	s_delay_alu instid0(VALU_DEP_4)
	v_dual_add_f32 v97, v97, v113 :: v_dual_fma_f32 v113, v248, v140, -v139
	v_add_f32_e32 v89, v89, v110
	v_fmac_f32_e32 v135, v249, v140
	s_wait_loadcnt_dscnt 0xe09
	s_set_vgpr_msb 1                        ;  msbs: dst=0 src0=1 src1=0 src2=0
	v_dual_mul_f32 v121, v25 /*v281*/, v161 :: v_dual_fmac_f32 v141, v7 /*v263*/, v142
	s_set_vgpr_msb 0                        ;  msbs: dst=0 src0=0 src1=0 src2=0
	v_add_f32_e32 v97, v97, v111
	v_add_f32_e32 v89, v89, v117
	s_set_vgpr_msb 1                        ;  msbs: dst=0 src0=1 src1=0 src2=0
	v_dual_fma_f32 v111, v6 /*v262*/, v142, -v124 :: v_dual_fmac_f32 v122, v9 /*v265*/, v144
	s_wait_loadcnt_dscnt 0x601
	v_dual_mul_f32 v125, v56 /*v312*/, v193 :: v_dual_fmac_f32 v145, v11 /*v267*/, v146
	s_set_vgpr_msb 0                        ;  msbs: dst=0 src0=0 src1=0 src2=0
	v_add_f32_e32 v89, v89, v114
	v_add_f32_e32 v97, v97, v113
	s_set_vgpr_msb 1                        ;  msbs: dst=0 src0=1 src1=0 src2=0
	v_dual_fmac_f32 v91, v13 /*v269*/, v148 :: v_dual_mul_f32 v151, v20 /*v276*/, v157
	v_mul_f32_e32 v105, v19 /*v275*/, v155
	s_set_vgpr_msb 0                        ;  msbs: dst=0 src0=0 src1=0 src2=0
	v_add_f32_e32 v89, v89, v116
	v_add_f32_e32 v97, v97, v111
	s_wait_loadcnt_dscnt 0x500
	s_set_vgpr_msb 1                        ;  msbs: dst=0 src0=1 src1=0 src2=0
	v_dual_mul_f32 v111, v58 /*v314*/, v195 :: v_dual_mul_f32 v153, v21 /*v277*/, v157
	v_mul_f32_e32 v155, v22 /*v278*/, v159
	s_set_vgpr_msb 0                        ;  msbs: dst=0 src0=0 src1=0 src2=0
	v_add_f32_e32 v89, v89, v119
	s_set_vgpr_msb 1                        ;  msbs: dst=0 src0=1 src1=0 src2=0
	v_dual_fmac_f32 v151, v21 /*v277*/, v156 :: v_dual_mul_f32 v107, v24 /*v280*/, v161
	v_dual_mul_f32 v112, v26 /*v282*/, v163 :: v_dual_fmac_f32 v93, v15 /*v271*/, v150
	s_set_vgpr_msb 0                        ;  msbs: dst=0 src0=0 src1=0 src2=0
	v_add_f32_e32 v89, v89, v129
	s_set_vgpr_msb 1                        ;  msbs: dst=0 src0=1 src1=0 src2=0
	v_fmac_f32_e32 v155, v23 /*v279*/, v158
	v_dual_fmac_f32 v107, v25 /*v281*/, v160 :: v_dual_fmac_f32 v112, v27 /*v283*/, v162
	v_dual_mul_f32 v123, v28 /*v284*/, v165 :: v_dual_mul_f32 v126, v30 /*v286*/, v167
	s_set_vgpr_msb 0                        ;  msbs: dst=0 src0=0 src1=0 src2=0
	v_add_f32_e32 v89, v89, v118
	s_set_vgpr_msb 1                        ;  msbs: dst=0 src0=1 src1=0 src2=0
	v_dual_mul_f32 v109, v32 /*v288*/, v169 :: v_dual_mul_f32 v128, v34 /*v290*/, v171
	v_dual_mul_f32 v157, v36 /*v292*/, v173 :: v_dual_mul_f32 v110, v38 /*v294*/, v175
	s_set_vgpr_msb 0                        ;  msbs: dst=0 src0=0 src1=0 src2=0
	v_add_f32_e32 v89, v89, v133
	s_set_vgpr_msb 1                        ;  msbs: dst=0 src0=1 src1=0 src2=0
	v_dual_fmac_f32 v126, v31 /*v287*/, v166 :: v_dual_fmac_f32 v109, v33 /*v289*/, v168
	v_fmac_f32_e32 v103, v19 /*v275*/, v154
	v_dual_fmac_f32 v128, v35 /*v291*/, v170 :: v_dual_fmac_f32 v157, v37 /*v293*/, v172
	s_set_vgpr_msb 0                        ;  msbs: dst=0 src0=0 src1=0 src2=0
	v_add_f32_e32 v89, v89, v135
	s_set_vgpr_msb 1                        ;  msbs: dst=0 src0=1 src1=0 src2=0
	v_dual_mul_f32 v115, v40 /*v296*/, v177 :: v_dual_mul_f32 v210, v42 /*v298*/, v179
	v_dual_fmac_f32 v110, v39 /*v295*/, v174 :: v_dual_mul_f32 v117, v44 /*v300*/, v181
	v_mul_f32_e32 v114, v46 /*v302*/, v183
	s_set_vgpr_msb 0                        ;  msbs: dst=0 src0=0 src1=0 src2=0
	v_add_f32_e32 v89, v89, v141
	s_set_vgpr_msb 1                        ;  msbs: dst=0 src0=1 src1=0 src2=0
	v_dual_fmac_f32 v115, v41 /*v297*/, v176 :: v_dual_fmac_f32 v210, v43 /*v299*/, v178
	v_dual_fmac_f32 v117, v45 /*v301*/, v180 :: v_dual_mul_f32 v116, v48 /*v304*/, v185
	v_mul_f32_e32 v119, v50 /*v306*/, v187
	s_set_vgpr_msb 0                        ;  msbs: dst=0 src0=0 src1=0 src2=0
	v_add_f32_e32 v89, v89, v122
	s_set_vgpr_msb 1                        ;  msbs: dst=0 src0=1 src1=0 src2=0
	v_dual_fma_f32 v122, v12 /*v268*/, v148, -v147 :: v_dual_fmac_f32 v114, v47 /*v303*/, v182
	v_dual_fmac_f32 v116, v49 /*v305*/, v184 :: v_dual_mul_f32 v120, v52 /*v308*/, v189
	v_mul_f32_e32 v118, v23 /*v279*/, v159
	s_set_vgpr_msb 0                        ;  msbs: dst=0 src0=0 src1=0 src2=0
	v_add_f32_e32 v89, v89, v145
	s_set_vgpr_msb 1                        ;  msbs: dst=0 src0=1 src1=0 src2=0
	v_dual_fmac_f32 v119, v51 /*v307*/, v186 :: v_dual_mul_f32 v124, v54 /*v310*/, v191
	v_fma_f32 v113, v8 /*v264*/, v144, -v143
	v_fmac_f32_e32 v120, v53 /*v309*/, v188
	s_set_vgpr_msb 0                        ;  msbs: dst=0 src0=0 src1=0 src2=0
	v_add_f32_e32 v89, v89, v91
	s_set_vgpr_msb 1                        ;  msbs: dst=0 src0=1 src1=0 src2=0
	v_fma_f32 v99, v10 /*v266*/, v146, -v99
	v_fmac_f32_e32 v124, v55 /*v311*/, v190
	s_set_vgpr_msb 0                        ;  msbs: dst=0 src0=0 src1=0 src2=0
	v_add_f32_e32 v97, v97, v113
	s_set_vgpr_msb 1                        ;  msbs: dst=0 src0=1 src1=0 src2=0
	v_fmac_f32_e32 v125, v57 /*v313*/, v192
	s_set_vgpr_msb 0                        ;  msbs: dst=0 src0=0 src1=0 src2=0
	v_add_f32_e32 v89, v89, v93
	s_set_vgpr_msb 1                        ;  msbs: dst=0 src0=1 src1=0 src2=0
	v_dual_mul_f32 v93, v29 /*v285*/, v165 :: v_dual_fmac_f32 v123, v29 /*v285*/, v164
	v_dual_mul_f32 v113, v60 /*v316*/, v197 :: v_dual_fmac_f32 v111, v59 /*v315*/, v194
	s_set_vgpr_msb 0                        ;  msbs: dst=0 src0=0 src1=0 src2=0
	v_add_f32_e32 v89, v89, v101
	s_set_vgpr_msb 1                        ;  msbs: dst=0 src0=1 src1=0 src2=0
	v_fma_f32 v101, v20 /*v276*/, v156, -v153
	v_fma_f32 v93, v28 /*v284*/, v164, -v93
	s_set_vgpr_msb 0                        ;  msbs: dst=0 src0=0 src1=0 src2=0
	v_add_f32_e32 v89, v89, v103
	s_set_vgpr_msb 1                        ;  msbs: dst=0 src0=1 src1=0 src2=0
	v_fma_f32 v103, v22 /*v278*/, v158, -v118
	s_set_vgpr_msb 0                        ;  msbs: dst=0 src0=0 src1=0 src2=0
	s_delay_alu instid0(VALU_DEP_2) | instskip(NEXT) | instid1(VALU_DEP_1)
	v_add_f32_e32 v89, v89, v151
	v_add_f32_e32 v89, v89, v155
	s_delay_alu instid0(VALU_DEP_1) | instskip(NEXT) | instid1(VALU_DEP_1)
	v_dual_add_f32 v89, v89, v107 :: v_dual_ashrrev_i32 v107, 31, v106
	v_add_f32_e32 v89, v89, v112
	s_delay_alu instid0(VALU_DEP_1) | instskip(NEXT) | instid1(VALU_DEP_1)
	v_add_f32_e32 v89, v89, v123
	v_add_f32_e32 v89, v89, v126
	s_delay_alu instid0(VALU_DEP_1) | instskip(NEXT) | instid1(VALU_DEP_1)
	v_dual_add_f32 v89, v89, v109 :: v_dual_ashrrev_i32 v109, 31, v108
	v_add_f32_e32 v89, v89, v128
	s_delay_alu instid0(VALU_DEP_1) | instskip(NEXT) | instid1(VALU_DEP_1)
	v_add_f32_e32 v89, v89, v157
	v_add_f32_e32 v89, v89, v110
	s_delay_alu instid0(VALU_DEP_1) | instskip(NEXT) | instid1(VALU_DEP_1)
	v_add_f32_e32 v89, v89, v115
	;; [unrolled: 3-line block ×3, first 2 shown]
	v_add_f32_e32 v89, v89, v114
	s_wait_loadcnt 0x4
	v_pk_mul_f32 v[114:115], v[238:239], v[198:199] op_sel:[1,1] op_sel_hi:[0,1]
	s_delay_alu instid0(VALU_DEP_2) | instskip(SKIP_1) | instid1(VALU_DEP_2)
	v_add_f32_e32 v89, v89, v116
	v_mov_b32_e32 v116, v201
	v_add_f32_e32 v89, v89, v119
	s_wait_loadcnt 0x3
	v_pk_mul_f32 v[118:119], v[250:251], v[202:203] op_sel:[1,1] op_sel_hi:[0,1]
	s_delay_alu instid0(VALU_DEP_2)
	v_add_f32_e32 v89, v89, v120
	v_mov_b32_e32 v120, v205
	s_set_vgpr_msb 1                        ;  msbs: dst=0 src0=1 src1=0 src2=0
	v_pk_mul_f32 v[116:117], v[64:65] /*v[320:321]*/, v[116:117] op_sel_hi:[1,0]
	s_set_vgpr_msb 0                        ;  msbs: dst=0 src0=0 src1=0 src2=0
	v_add_f32_e32 v89, v89, v124
	s_delay_alu instid0(VALU_DEP_1)
	v_dual_add_f32 v123, v89, v125 :: v_dual_ashrrev_i32 v89, 31, v88
	v_add_f32_e32 v97, v97, v99
	s_set_vgpr_msb 1                        ;  msbs: dst=0 src0=1 src1=0 src2=0
	v_fma_f32 v99, v14 /*v270*/, v150, -v149
	s_set_vgpr_msb 0                        ;  msbs: dst=0 src0=0 src1=0 src2=0
	v_pk_fma_f32 v[124:125], v[238:239], v[198:199], v[114:115] op_sel_hi:[1,0,1]
	v_pk_fma_f32 v[114:115], v[238:239], v[198:199], v[114:115] neg_lo:[0,0,1] neg_hi:[0,0,1]
	v_add_f32_e32 v91, v97, v122
	s_set_vgpr_msb 1                        ;  msbs: dst=0 src0=1 src1=0 src2=0
	v_mul_f32_e32 v97, v27 /*v283*/, v163
	s_set_vgpr_msb 0                        ;  msbs: dst=0 src0=0 src1=0 src2=0
	v_mov_b32_e32 v115, v125
	v_pk_fma_f32 v[124:125], v[240:241], v[200:201], v[116:117] op_sel_hi:[1,0,1]
	v_pk_fma_f32 v[116:117], v[240:241], v[200:201], v[116:117] neg_lo:[0,0,1] neg_hi:[0,0,1]
	v_add_f32_e32 v91, v91, v99
	s_set_vgpr_msb 1                        ;  msbs: dst=0 src0=1 src1=0 src2=0
	v_fma_f32 v99, v18 /*v274*/, v154, -v105
	v_fma_f32 v105, v24 /*v280*/, v160, -v121
	;; [unrolled: 1-line block ×3, first 2 shown]
	v_pk_mul_f32 v[120:121], v[66:67] /*v[322:323]*/, v[120:121] op_sel_hi:[1,0]
	s_set_vgpr_msb 0                        ;  msbs: dst=0 src0=0 src1=0 src2=0
	v_add_f32_e32 v91, v91, v95
	s_set_vgpr_msb 1                        ;  msbs: dst=0 src0=1 src1=0 src2=0
	v_mul_f32_e32 v95, v31 /*v287*/, v167
	s_set_vgpr_msb 0                        ;  msbs: dst=0 src0=0 src1=0 src2=0
	s_delay_alu instid0(VALU_DEP_2) | instskip(SKIP_1) | instid1(VALU_DEP_2)
	v_dual_mov_b32 v117, v125 :: v_dual_add_f32 v91, v91, v99
	s_set_vgpr_msb 1                        ;  msbs: dst=0 src0=1 src1=0 src2=0
	v_dual_mul_f32 v99, v33 /*v289*/, v169 :: v_dual_fma_f32 v95, v30 /*v286*/, v166, -v95
	s_set_vgpr_msb 0                        ;  msbs: dst=0 src0=0 src1=0 src2=0
	s_delay_alu instid0(VALU_DEP_2) | instskip(SKIP_1) | instid1(VALU_DEP_2)
	v_add_f32_e32 v91, v91, v101
	s_set_vgpr_msb 1                        ;  msbs: dst=0 src0=1 src1=0 src2=0
	v_dual_mul_f32 v101, v35 /*v291*/, v171 :: v_dual_fma_f32 v99, v32 /*v288*/, v168, -v99
	s_set_vgpr_msb 0                        ;  msbs: dst=0 src0=0 src1=0 src2=0
	s_delay_alu instid0(VALU_DEP_2) | instskip(SKIP_1) | instid1(VALU_DEP_2)
	v_add_f32_e32 v91, v91, v103
	;; [unrolled: 5-line block ×10, first 2 shown]
	s_set_vgpr_msb 1                        ;  msbs: dst=0 src0=1 src1=0 src2=0
	v_dual_mul_f32 v105, v53 /*v309*/, v189 :: v_dual_fma_f32 v103, v50 /*v306*/, v186, -v103
	s_set_vgpr_msb 0                        ;  msbs: dst=0 src0=0 src1=0 src2=0
	s_delay_alu instid0(VALU_DEP_2) | instskip(SKIP_3) | instid1(VALU_DEP_2)
	v_add_f32_e32 v91, v91, v97
	s_set_vgpr_msb 1                        ;  msbs: dst=0 src0=1 src1=0 src2=0
	v_mul_f32_e32 v97, v55 /*v311*/, v191
	s_set_vgpr_msb 0                        ;  msbs: dst=0 src0=0 src1=0 src2=0
	v_add_f32_e32 v91, v91, v93
	s_set_vgpr_msb 1                        ;  msbs: dst=0 src0=1 src1=0 src2=0
	s_delay_alu instid0(VALU_DEP_2) | instskip(SKIP_1) | instid1(VALU_DEP_2)
	v_dual_mul_f32 v93, v57 /*v313*/, v193 :: v_dual_fma_f32 v97, v54 /*v310*/, v190, -v97
	s_set_vgpr_msb 0                        ;  msbs: dst=0 src0=0 src1=0 src2=0
	v_add_f32_e32 v91, v91, v95
	s_set_vgpr_msb 1                        ;  msbs: dst=0 src0=1 src1=0 src2=0
	s_delay_alu instid0(VALU_DEP_2) | instskip(SKIP_1) | instid1(VALU_DEP_2)
	v_dual_mul_f32 v95, v59 /*v315*/, v195 :: v_dual_fma_f32 v93, v56 /*v312*/, v192, -v93
	s_set_vgpr_msb 0                        ;  msbs: dst=0 src0=0 src1=0 src2=0
	v_add_f32_e32 v91, v91, v99
	s_set_vgpr_msb 1                        ;  msbs: dst=0 src0=1 src1=0 src2=0
	s_delay_alu instid0(VALU_DEP_2)
	v_dual_mul_f32 v99, v61 /*v317*/, v197 :: v_dual_fma_f32 v110, v58 /*v314*/, v194, -v95
	v_dual_fmac_f32 v113, v61 /*v317*/, v196 :: v_dual_ashrrev_i32 v95, 31, v94
	s_set_vgpr_msb 0                        ;  msbs: dst=0 src0=0 src1=0 src2=0
	v_add_f32_e32 v91, v91, v101
	s_set_vgpr_msb 1                        ;  msbs: dst=0 src0=1 src1=0 src2=0
	v_fma_f32 v101, v52 /*v308*/, v188, -v105
	v_dual_fma_f32 v112, v60 /*v316*/, v196, -v99 :: v_dual_ashrrev_i32 v99, 31, v98
	s_set_vgpr_msb 0                        ;  msbs: dst=0 src0=0 src1=0 src2=0
	v_dual_ashrrev_i32 v105, 31, v104 :: v_dual_add_f32 v91, v91, v103
	s_delay_alu instid0(VALU_DEP_1) | instskip(NEXT) | instid1(VALU_DEP_1)
	v_dual_ashrrev_i32 v103, 31, v102 :: v_dual_add_f32 v91, v91, v101
	v_dual_ashrrev_i32 v101, 31, v100 :: v_dual_add_f32 v91, v91, v97
	s_delay_alu instid0(VALU_DEP_1) | instskip(SKIP_1) | instid1(VALU_DEP_2)
	v_dual_add_f32 v122, v91, v93 :: v_dual_ashrrev_i32 v97, 31, v96
	v_dual_ashrrev_i32 v91, 31, v90 :: v_dual_ashrrev_i32 v93, 31, v92
	v_pk_add_f32 v[110:111], v[122:123], v[110:111]
	s_wait_loadcnt 0x2
	v_pk_mul_f32 v[122:123], v[254:255], v[206:207] op_sel:[1,1] op_sel_hi:[0,1]
	s_delay_alu instid0(VALU_DEP_2) | instskip(SKIP_2) | instid1(VALU_DEP_3)
	v_pk_add_f32 v[110:111], v[110:111], v[112:113]
	v_pk_fma_f32 v[112:113], v[250:251], v[202:203], v[118:119] op_sel_hi:[1,0,1]
	v_mov_b32_e32 v112, v209
	v_pk_add_f32 v[110:111], v[110:111], v[114:115]
	v_pk_fma_f32 v[114:115], v[250:251], v[202:203], v[118:119] neg_lo:[0,0,1] neg_hi:[0,0,1]
	s_delay_alu instid0(VALU_DEP_4)
	v_mov_b32_e32 v115, v113
	v_pk_fma_f32 v[118:119], v[252:253], v[204:205], v[120:121] op_sel_hi:[1,0,1]
	s_set_vgpr_msb 1                        ;  msbs: dst=0 src0=1 src1=0 src2=0
	v_pk_mul_f32 v[112:113], v[68:69] /*v[324:325]*/, v[112:113] op_sel_hi:[1,0]
	s_set_vgpr_msb 0                        ;  msbs: dst=0 src0=0 src1=0 src2=0
	v_pk_add_f32 v[110:111], v[110:111], v[116:117]
	v_pk_fma_f32 v[116:117], v[254:255], v[206:207], v[122:123] op_sel_hi:[1,0,1]
	v_pk_fma_f32 v[120:121], v[252:253], v[204:205], v[120:121] neg_lo:[0,0,1] neg_hi:[0,0,1]
	v_mov_b32_e32 v121, v119
	v_pk_fma_f32 v[118:119], v[254:255], v[206:207], v[122:123] neg_lo:[0,0,1] neg_hi:[0,0,1]
	v_pk_add_f32 v[110:111], v[110:111], v[114:115]
	v_mov_b32_e32 v119, v117
	s_set_vgpr_msb 1                        ;  msbs: dst=0 src0=1 src1=0 src2=0
	v_pk_fma_f32 v[116:117], v[0:1] /*v[256:257]*/, v[208:209], v[112:113] op_sel_hi:[1,0,1]
	s_wait_loadcnt 0x1
	v_pk_mul_f32 v[114:115], v[2:3] /*v[258:259]*/, v[218:219] op_sel:[1,1] op_sel_hi:[0,1]
	s_set_vgpr_msb 0                        ;  msbs: dst=0 src0=0 src1=0 src2=0
	v_mov_b32_e32 v116, v221
	v_pk_add_f32 v[110:111], v[110:111], v[120:121]
	s_set_vgpr_msb 1                        ;  msbs: dst=0 src0=1 src1=0 src2=0
	v_pk_fma_f32 v[112:113], v[0:1] /*v[256:257]*/, v[208:209], v[112:113] neg_lo:[0,0,1] neg_hi:[0,0,1]
	v_pk_fma_f32 v[120:121], v[2:3] /*v[258:259]*/, v[218:219], v[114:115] op_sel_hi:[1,0,1]
	s_set_vgpr_msb 0                        ;  msbs: dst=0 src0=0 src1=0 src2=0
	v_mov_b32_e32 v113, v117
	v_pk_add_f32 v[110:111], v[110:111], v[118:119]
	s_set_vgpr_msb 1                        ;  msbs: dst=0 src0=1 src1=0 src2=0
	v_pk_mul_f32 v[116:117], v[70:71] /*v[326:327]*/, v[116:117] op_sel_hi:[1,0]
	v_pk_fma_f32 v[114:115], v[2:3] /*v[258:259]*/, v[218:219], v[114:115] neg_lo:[0,0,1] neg_hi:[0,0,1]
	s_set_vgpr_msb 0                        ;  msbs: dst=0 src0=0 src1=0 src2=0
	v_mov_b32_e32 v115, v121
	v_pk_add_f32 v[110:111], v[110:111], v[112:113]
	s_set_vgpr_msb 1                        ;  msbs: dst=0 src0=1 src1=0 src2=0
	v_pk_fma_f32 v[112:113], v[4:5] /*v[260:261]*/, v[220:221], v[116:117] op_sel_hi:[1,0,1]
	v_pk_fma_f32 v[116:117], v[4:5] /*v[260:261]*/, v[220:221], v[116:117] neg_lo:[0,0,1] neg_hi:[0,0,1]
	s_set_vgpr_msb 0                        ;  msbs: dst=0 src0=0 src1=0 src2=0
	v_pk_add_f32 v[110:111], v[110:111], v[114:115]
	s_delay_alu instid0(VALU_DEP_3) | instskip(NEXT) | instid1(VALU_DEP_1)
	v_mov_b32_e32 v117, v113
	v_pk_add_f32 v[110:111], v[110:111], v[116:117]
	s_wait_loadcnt 0x0
	s_set_vgpr_msb 1                        ;  msbs: dst=0 src0=1 src1=0 src2=0
	s_delay_alu instid0(VALU_DEP_1)
	v_pk_add_f32 v[110:111], v[62:63] /*v[318:319]*/, v[110:111] neg_lo:[0,1] neg_hi:[0,1]
	scratch_store_b64 off, v[110:111], off offset:8
	s_wait_xcnt 0x0
	v_cmpx_ne_u32_e32 0, v0
	s_set_vgpr_msb 0                        ;  msbs: dst=0 src0=0 src1=0 src2=0
	s_cbranch_execz .LBB117_337
; %bb.336:
	scratch_load_b64 v[110:111], off, off
	v_mov_b64_e32 v[112:113], 0
	scratch_store_b64 off, v[112:113], off
	s_wait_loadcnt 0x0
	ds_store_b64 v1, v[110:111]
.LBB117_337:
	s_wait_xcnt 0x0
	s_or_b32 exec_lo, exec_lo, s0
	s_wait_storecnt_dscnt 0x0
	s_barrier_signal -1
	s_barrier_wait -1
	s_clause 0xf
	scratch_load_b128 v[118:121], off, off offset:8
	scratch_load_b128 v[126:129], off, off offset:24
	;; [unrolled: 1-line block ×16, first 2 shown]
	v_mov_b32_e32 v112, 0
	s_clause 0x4
	scratch_load_b128 v[246:249], off, off offset:264
	scratch_load_b128 v[254:257], off, off offset:280
	s_set_vgpr_msb 64                       ;  msbs: dst=1 src0=0 src1=0 src2=0
	scratch_load_b128 v[6:9] /*v[262:265]*/, off, off offset:296
	scratch_load_b128 v[14:17] /*v[270:273]*/, off, off offset:312
	s_set_vgpr_msb 0                        ;  msbs: dst=0 src0=0 src1=0 src2=0
	ds_load_2addr_b64 v[114:117], v112 offset0:55 offset1:56
	ds_load_2addr_b64 v[122:125], v112 offset0:57 offset1:58
	s_set_vgpr_msb 64                       ;  msbs: dst=1 src0=0 src1=0 src2=0
	s_clause 0x2
	scratch_load_b128 v[22:25] /*v[278:281]*/, off, off offset:328
	scratch_load_b128 v[30:33] /*v[286:289]*/, off, off offset:344
	;; [unrolled: 1-line block ×3, first 2 shown]
	s_and_b32 vcc_lo, exec_lo, s12
	s_wait_loadcnt_dscnt 0x1601
	s_set_vgpr_msb 0                        ;  msbs: dst=0 src0=0 src1=0 src2=0
	v_dual_mul_f32 v0, v114, v119 :: v_dual_mul_f32 v1, v116, v121
	ds_load_2addr_b64 v[130:133], v112 offset0:59 offset1:60
	ds_load_2addr_b64 v[138:141], v112 offset0:61 offset1:62
	;; [unrolled: 1-line block ×4, first 2 shown]
	v_dual_fmac_f32 v0, v115, v118 :: v_dual_fmac_f32 v1, v117, v120
	ds_load_2addr_b64 v[162:165], v112 offset0:67 offset1:68
	ds_load_2addr_b64 v[170:173], v112 offset0:69 offset1:70
	;; [unrolled: 1-line block ×4, first 2 shown]
	v_add_f32_e32 v0, 0, v0
	ds_load_2addr_b64 v[194:197], v112 offset0:75 offset1:76
	ds_load_2addr_b64 v[202:205], v112 offset0:77 offset1:78
	;; [unrolled: 1-line block ×4, first 2 shown]
	s_wait_loadcnt_dscnt 0x150c
	v_dual_add_f32 v0, v0, v1 :: v_dual_mul_f32 v1, v122, v127
	ds_load_2addr_b64 v[226:229], v112 offset0:83 offset1:84
	ds_load_2addr_b64 v[234:237], v112 offset0:85 offset1:86
	;; [unrolled: 1-line block ×4, first 2 shown]
	v_fmac_f32_e32 v1, v123, v126
	s_set_vgpr_msb 64                       ;  msbs: dst=1 src0=0 src1=0 src2=0
	ds_load_2addr_b64 v[2:5] /*v[258:261]*/, v112 offset0:91 offset1:92
	ds_load_2addr_b64 v[10:13] /*v[266:269]*/, v112 offset0:93 offset1:94
	;; [unrolled: 1-line block ×4, first 2 shown]
	s_set_vgpr_msb 0                        ;  msbs: dst=0 src0=0 src1=0 src2=0
	v_add_f32_e32 v0, v0, v1
	v_mul_f32_e32 v1, v124, v129
	s_set_vgpr_msb 64                       ;  msbs: dst=1 src0=0 src1=0 src2=0
	ds_load_2addr_b64 v[34:37] /*v[290:293]*/, v112 offset0:99 offset1:100
	s_clause 0x3
	scratch_load_b128 v[42:45] /*v[298:301]*/, off, off offset:376
	scratch_load_b128 v[46:49] /*v[302:305]*/, off, off offset:392
	;; [unrolled: 1-line block ×3, first 2 shown]
	scratch_load_b64 v[56:57] /*v[312:313]*/, off, off offset:424
	s_set_vgpr_msb 0                        ;  msbs: dst=0 src0=0 src1=0 src2=0
	v_mul_f32_e32 v110, v117, v121
	v_fmac_f32_e32 v1, v125, v128
	s_delay_alu instid0(VALU_DEP_2) | instskip(SKIP_1) | instid1(VALU_DEP_2)
	v_fma_f32 v110, v116, v120, -v110
	s_wait_loadcnt_dscnt 0x1814
	v_dual_add_f32 v0, v0, v1 :: v_dual_mul_f32 v1, v130, v135
	s_delay_alu instid0(VALU_DEP_1)
	v_fmac_f32_e32 v1, v131, v134
	s_wait_loadcnt_dscnt 0x501
	s_set_vgpr_msb 5                        ;  msbs: dst=0 src0=1 src1=1 src2=0
	v_mul_f32_e32 v111, v28 /*v284*/, v33 /*v289*/
	s_set_vgpr_msb 0                        ;  msbs: dst=0 src0=0 src1=0 src2=0
	v_add_f32_e32 v0, v0, v1
	v_mul_f32_e32 v1, v132, v137
	s_wait_loadcnt_dscnt 0x400
	s_set_vgpr_msb 5                        ;  msbs: dst=0 src0=1 src1=1 src2=0
	v_dual_fmac_f32 v111, v29 /*v285*/, v32 /*v288*/ :: v_dual_mul_f32 v113, v35 /*v291*/, v39 /*v295*/
	s_set_vgpr_msb 0x45                     ;  msbs: dst=1 src0=1 src1=1 src2=0
	v_mul_f32_e32 v55 /*v311*/, v34 /*v290*/, v39 /*v295*/
	s_set_vgpr_msb 0                        ;  msbs: dst=0 src0=0 src1=0 src2=0
	v_fmac_f32_e32 v1, v133, v136
	s_set_vgpr_msb 0x45                     ;  msbs: dst=1 src0=1 src1=1 src2=0
	v_fma_f32 v54 /*v310*/, v34 /*v290*/, v38 /*v294*/, -v113
	v_fmac_f32_e32 v55 /*v311*/, v35 /*v291*/, v38 /*v294*/
	s_set_vgpr_msb 0                        ;  msbs: dst=0 src0=0 src1=0 src2=0
	v_dual_add_f32 v0, v0, v1 :: v_dual_mul_f32 v1, v138, v143
	s_delay_alu instid0(VALU_DEP_1) | instskip(NEXT) | instid1(VALU_DEP_1)
	v_fmac_f32_e32 v1, v139, v142
	v_add_f32_e32 v0, v0, v1
	v_mul_f32_e32 v1, v140, v145
	s_delay_alu instid0(VALU_DEP_1) | instskip(NEXT) | instid1(VALU_DEP_1)
	v_fmac_f32_e32 v1, v141, v144
	v_dual_add_f32 v0, v0, v1 :: v_dual_mul_f32 v1, v146, v151
	s_delay_alu instid0(VALU_DEP_1) | instskip(NEXT) | instid1(VALU_DEP_1)
	v_fmac_f32_e32 v1, v147, v150
	v_add_f32_e32 v0, v0, v1
	v_mul_f32_e32 v1, v148, v153
	s_delay_alu instid0(VALU_DEP_1) | instskip(NEXT) | instid1(VALU_DEP_1)
	v_fmac_f32_e32 v1, v149, v152
	;; [unrolled: 7-line block ×14, first 2 shown]
	v_dual_add_f32 v0, v0, v1 :: v_dual_mul_f32 v1, v250, v255
	s_delay_alu instid0(VALU_DEP_1) | instskip(NEXT) | instid1(VALU_DEP_1)
	v_fmac_f32_e32 v1, v251, v254
	v_add_f32_e32 v0, v0, v1
	s_set_vgpr_msb 4                        ;  msbs: dst=0 src0=0 src1=1 src2=0
	v_mul_f32_e32 v1, v252, v1 /*v257*/
	s_delay_alu instid0(VALU_DEP_1) | instskip(SKIP_1) | instid1(VALU_DEP_1)
	v_fmac_f32_e32 v1, v253, v0 /*v256*/
	s_set_vgpr_msb 0                        ;  msbs: dst=0 src0=0 src1=0 src2=0
	v_add_f32_e32 v0, v0, v1
	s_set_vgpr_msb 5                        ;  msbs: dst=0 src0=1 src1=1 src2=0
	v_mul_f32_e32 v1, v2 /*v258*/, v7 /*v263*/
	s_delay_alu instid0(VALU_DEP_1) | instskip(SKIP_1) | instid1(VALU_DEP_1)
	v_fmac_f32_e32 v1, v3 /*v259*/, v6 /*v262*/
	s_set_vgpr_msb 0                        ;  msbs: dst=0 src0=0 src1=0 src2=0
	v_add_f32_e32 v0, v0, v1
	s_set_vgpr_msb 5                        ;  msbs: dst=0 src0=1 src1=1 src2=0
	v_mul_f32_e32 v1, v4 /*v260*/, v9 /*v265*/
	s_delay_alu instid0(VALU_DEP_1) | instskip(SKIP_1) | instid1(VALU_DEP_1)
	v_fmac_f32_e32 v1, v5 /*v261*/, v8 /*v264*/
	;; [unrolled: 6-line block ×7, first 2 shown]
	s_set_vgpr_msb 0                        ;  msbs: dst=0 src0=0 src1=0 src2=0
	v_dual_add_f32 v1, v0, v1 :: v_dual_mul_f32 v0, v115, v119
	s_delay_alu instid0(VALU_DEP_1) | instskip(NEXT) | instid1(VALU_DEP_1)
	v_fma_f32 v0, v114, v118, -v0
	v_add_f32_e32 v0, 0, v0
	s_delay_alu instid0(VALU_DEP_1) | instskip(NEXT) | instid1(VALU_DEP_1)
	v_dual_add_f32 v0, v0, v110 :: v_dual_mul_f32 v110, v123, v127
	v_fma_f32 v110, v122, v126, -v110
	s_delay_alu instid0(VALU_DEP_1) | instskip(NEXT) | instid1(VALU_DEP_1)
	v_dual_add_f32 v0, v0, v110 :: v_dual_mul_f32 v110, v125, v129
	v_fma_f32 v110, v124, v128, -v110
	ds_load_2addr_b64 v[114:117], v112 offset0:101 offset1:102
	ds_load_2addr_b64 v[118:121], v112 offset0:103 offset1:104
	;; [unrolled: 1-line block ×3, first 2 shown]
	ds_load_b64 v[126:127], v112 offset:856
	s_set_vgpr_msb 1                        ;  msbs: dst=0 src0=1 src1=0 src2=0
	v_mov_b32_e32 v128, v41 /*v297*/
	s_set_vgpr_msb 0                        ;  msbs: dst=0 src0=0 src1=0 src2=0
	v_dual_add_f32 v0, v0, v110 :: v_dual_mul_f32 v110, v131, v135
	s_delay_alu instid0(VALU_DEP_1) | instskip(NEXT) | instid1(VALU_DEP_1)
	v_fma_f32 v110, v130, v134, -v110
	v_dual_add_f32 v0, v0, v110 :: v_dual_mul_f32 v110, v133, v137
	s_delay_alu instid0(VALU_DEP_1) | instskip(NEXT) | instid1(VALU_DEP_1)
	v_fma_f32 v110, v132, v136, -v110
	;; [unrolled: 3-line block ×31, first 2 shown]
	v_add_f32_e32 v0, v0, v110
	s_set_vgpr_msb 4                        ;  msbs: dst=0 src0=0 src1=1 src2=0
	v_mul_f32_e32 v110, v253, v1 /*v257*/
	s_delay_alu instid0(VALU_DEP_1) | instskip(SKIP_1) | instid1(VALU_DEP_1)
	v_fma_f32 v110, v252, v0 /*v256*/, -v110
	s_set_vgpr_msb 0                        ;  msbs: dst=0 src0=0 src1=0 src2=0
	v_add_f32_e32 v0, v0, v110
	s_set_vgpr_msb 5                        ;  msbs: dst=0 src0=1 src1=1 src2=0
	v_mul_f32_e32 v110, v3 /*v259*/, v7 /*v263*/
	s_delay_alu instid0(VALU_DEP_1) | instskip(SKIP_1) | instid1(VALU_DEP_1)
	v_fma_f32 v110, v2 /*v258*/, v6 /*v262*/, -v110
	s_set_vgpr_msb 0                        ;  msbs: dst=0 src0=0 src1=0 src2=0
	v_add_f32_e32 v0, v0, v110
	s_set_vgpr_msb 5                        ;  msbs: dst=0 src0=1 src1=1 src2=0
	v_mul_f32_e32 v110, v5 /*v261*/, v9 /*v265*/
	s_delay_alu instid0(VALU_DEP_1) | instskip(SKIP_1) | instid1(VALU_DEP_1)
	v_fma_f32 v110, v4 /*v260*/, v8 /*v264*/, -v110
	;; [unrolled: 6-line block ×8, first 2 shown]
	s_set_vgpr_msb 0                        ;  msbs: dst=0 src0=0 src1=0 src2=0
	v_pk_add_f32 v[0:1], v[0:1], v[110:111]
	s_set_vgpr_msb 1                        ;  msbs: dst=0 src0=1 src1=0 src2=0
	v_dual_mov_b32 v110, v37 /*v293*/ :: v_dual_mov_b32 v111, v36 /*v292*/
	s_set_vgpr_msb 4                        ;  msbs: dst=0 src0=0 src1=1 src2=0
	s_delay_alu instid0(VALU_DEP_2) | instskip(SKIP_1) | instid1(VALU_DEP_2)
	v_pk_add_f32 v[0:1], v[0:1], v[54:55] /*v[310:311]*/
	s_set_vgpr_msb 0                        ;  msbs: dst=0 src0=0 src1=0 src2=0
	v_pk_mul_f32 v[110:111], v[110:111], v[128:129] op_sel_hi:[1,0]
	s_set_vgpr_msb 5                        ;  msbs: dst=0 src0=1 src1=1 src2=0
	s_delay_alu instid0(VALU_DEP_1) | instskip(SKIP_2) | instid1(VALU_DEP_1)
	v_pk_fma_f32 v[128:129], v[36:37] /*v[292:293]*/, v[40:41] /*v[296:297]*/, v[110:111] neg_lo:[0,0,1] neg_hi:[0,0,1]
	v_pk_fma_f32 v[110:111], v[36:37] /*v[292:293]*/, v[40:41] /*v[296:297]*/, v[110:111] op_sel_hi:[1,0,1]
	s_set_vgpr_msb 4                        ;  msbs: dst=0 src0=0 src1=1 src2=0
	v_mov_b32_e32 v129, v111
	s_wait_loadcnt_dscnt 0x303
	v_pk_mul_f32 v[110:111], v[114:115], v[42:43] /*v[298:299]*/ op_sel:[1,1] op_sel_hi:[0,1]
	s_set_vgpr_msb 0                        ;  msbs: dst=0 src0=0 src1=0 src2=0
	s_delay_alu instid0(VALU_DEP_2) | instskip(SKIP_1) | instid1(VALU_DEP_2)
	v_pk_add_f32 v[0:1], v[0:1], v[128:129]
	s_set_vgpr_msb 4                        ;  msbs: dst=0 src0=0 src1=1 src2=0
	v_pk_fma_f32 v[128:129], v[114:115], v[42:43] /*v[298:299]*/, v[110:111] neg_lo:[0,0,1] neg_hi:[0,0,1]
	v_pk_fma_f32 v[110:111], v[114:115], v[42:43] /*v[298:299]*/, v[110:111] op_sel_hi:[1,0,1]
	v_mov_b32_e32 v110, v117
	s_set_vgpr_msb 1                        ;  msbs: dst=0 src0=1 src1=0 src2=0
	v_mov_b32_e32 v114, v45 /*v301*/
	s_set_vgpr_msb 0                        ;  msbs: dst=0 src0=0 src1=0 src2=0
	v_dual_mov_b32 v129, v111 :: v_dual_mov_b32 v111, v116
	s_delay_alu instid0(VALU_DEP_1) | instskip(NEXT) | instid1(VALU_DEP_2)
	v_pk_add_f32 v[0:1], v[0:1], v[128:129]
	v_pk_mul_f32 v[110:111], v[110:111], v[114:115] op_sel_hi:[1,0]
	s_set_vgpr_msb 4                        ;  msbs: dst=0 src0=0 src1=1 src2=0
	s_delay_alu instid0(VALU_DEP_1) | instskip(SKIP_1) | instid1(VALU_DEP_1)
	v_pk_fma_f32 v[114:115], v[116:117], v[44:45] /*v[300:301]*/, v[110:111] neg_lo:[0,0,1] neg_hi:[0,0,1]
	v_pk_fma_f32 v[110:111], v[116:117], v[44:45] /*v[300:301]*/, v[110:111] op_sel_hi:[1,0,1]
	v_mov_b32_e32 v115, v111
	s_wait_loadcnt_dscnt 0x202
	v_pk_mul_f32 v[110:111], v[118:119], v[46:47] /*v[302:303]*/ op_sel:[1,1] op_sel_hi:[0,1]
	s_set_vgpr_msb 0                        ;  msbs: dst=0 src0=0 src1=0 src2=0
	s_delay_alu instid0(VALU_DEP_2) | instskip(SKIP_1) | instid1(VALU_DEP_2)
	v_pk_add_f32 v[0:1], v[0:1], v[114:115]
	s_set_vgpr_msb 4                        ;  msbs: dst=0 src0=0 src1=1 src2=0
	v_pk_fma_f32 v[114:115], v[118:119], v[46:47] /*v[302:303]*/, v[110:111] neg_lo:[0,0,1] neg_hi:[0,0,1]
	v_pk_fma_f32 v[110:111], v[118:119], v[46:47] /*v[302:303]*/, v[110:111] op_sel_hi:[1,0,1]
	s_delay_alu instid0(VALU_DEP_1) | instskip(SKIP_2) | instid1(VALU_DEP_2)
	v_dual_mov_b32 v110, v121 :: v_dual_mov_b32 v115, v111
	v_mov_b32_e32 v111, v120
	s_set_vgpr_msb 0                        ;  msbs: dst=0 src0=0 src1=0 src2=0
	v_pk_add_f32 v[0:1], v[0:1], v[114:115]
	s_set_vgpr_msb 1                        ;  msbs: dst=0 src0=1 src1=0 src2=0
	v_mov_b32_e32 v114, v49 /*v305*/
	s_set_vgpr_msb 0                        ;  msbs: dst=0 src0=0 src1=0 src2=0
	s_delay_alu instid0(VALU_DEP_1) | instskip(SKIP_1) | instid1(VALU_DEP_1)
	v_pk_mul_f32 v[110:111], v[110:111], v[114:115] op_sel_hi:[1,0]
	s_set_vgpr_msb 4                        ;  msbs: dst=0 src0=0 src1=1 src2=0
	v_pk_fma_f32 v[114:115], v[120:121], v[48:49] /*v[304:305]*/, v[110:111] neg_lo:[0,0,1] neg_hi:[0,0,1]
	v_pk_fma_f32 v[110:111], v[120:121], v[48:49] /*v[304:305]*/, v[110:111] op_sel_hi:[1,0,1]
	s_delay_alu instid0(VALU_DEP_1) | instskip(SKIP_3) | instid1(VALU_DEP_2)
	v_mov_b32_e32 v115, v111
	s_wait_loadcnt_dscnt 0x101
	v_pk_mul_f32 v[110:111], v[122:123], v[50:51] /*v[306:307]*/ op_sel:[1,1] op_sel_hi:[0,1]
	s_set_vgpr_msb 0                        ;  msbs: dst=0 src0=0 src1=0 src2=0
	v_pk_add_f32 v[0:1], v[0:1], v[114:115]
	s_set_vgpr_msb 4                        ;  msbs: dst=0 src0=0 src1=1 src2=0
	s_delay_alu instid0(VALU_DEP_2) | instskip(SKIP_1) | instid1(VALU_DEP_1)
	v_pk_fma_f32 v[114:115], v[122:123], v[50:51] /*v[306:307]*/, v[110:111] neg_lo:[0,0,1] neg_hi:[0,0,1]
	v_pk_fma_f32 v[110:111], v[122:123], v[50:51] /*v[306:307]*/, v[110:111] op_sel_hi:[1,0,1]
	v_dual_mov_b32 v110, v125 :: v_dual_mov_b32 v115, v111
	v_mov_b32_e32 v111, v124
	s_set_vgpr_msb 0                        ;  msbs: dst=0 src0=0 src1=0 src2=0
	s_delay_alu instid0(VALU_DEP_2) | instskip(SKIP_3) | instid1(VALU_DEP_1)
	v_pk_add_f32 v[0:1], v[0:1], v[114:115]
	s_set_vgpr_msb 1                        ;  msbs: dst=0 src0=1 src1=0 src2=0
	v_mov_b32_e32 v114, v53 /*v309*/
	s_set_vgpr_msb 0                        ;  msbs: dst=0 src0=0 src1=0 src2=0
	v_pk_mul_f32 v[110:111], v[110:111], v[114:115] op_sel_hi:[1,0]
	s_set_vgpr_msb 4                        ;  msbs: dst=0 src0=0 src1=1 src2=0
	s_delay_alu instid0(VALU_DEP_1) | instskip(SKIP_1) | instid1(VALU_DEP_1)
	v_pk_fma_f32 v[114:115], v[124:125], v[52:53] /*v[308:309]*/, v[110:111] neg_lo:[0,0,1] neg_hi:[0,0,1]
	v_pk_fma_f32 v[110:111], v[124:125], v[52:53] /*v[308:309]*/, v[110:111] op_sel_hi:[1,0,1]
	v_mov_b32_e32 v115, v111
	s_wait_loadcnt_dscnt 0x0
	v_pk_mul_f32 v[110:111], v[126:127], v[56:57] /*v[312:313]*/ op_sel:[1,1] op_sel_hi:[0,1]
	s_set_vgpr_msb 0                        ;  msbs: dst=0 src0=0 src1=0 src2=0
	s_delay_alu instid0(VALU_DEP_2) | instskip(SKIP_1) | instid1(VALU_DEP_2)
	v_pk_add_f32 v[0:1], v[0:1], v[114:115]
	s_set_vgpr_msb 4                        ;  msbs: dst=0 src0=0 src1=1 src2=0
	v_pk_fma_f32 v[114:115], v[126:127], v[56:57] /*v[312:313]*/, v[110:111] neg_lo:[0,0,1] neg_hi:[0,0,1]
	v_pk_fma_f32 v[110:111], v[126:127], v[56:57] /*v[312:313]*/, v[110:111] op_sel_hi:[1,0,1]
	s_delay_alu instid0(VALU_DEP_1) | instskip(SKIP_4) | instid1(VALU_DEP_1)
	v_mov_b32_e32 v115, v111
	scratch_load_b64 v[110:111], off, off
	s_set_vgpr_msb 0                        ;  msbs: dst=0 src0=0 src1=0 src2=0
	v_pk_add_f32 v[0:1], v[0:1], v[114:115]
	s_wait_loadcnt 0x0
	v_pk_add_f32 v[110:111], v[110:111], v[0:1] neg_lo:[0,1] neg_hi:[0,1]
	scratch_store_b64 off, v[110:111], off
	s_cbranch_vccz .LBB117_444
; %bb.338:
	global_load_b32 v0, v112, s[8:9] offset:208
	s_wait_loadcnt 0x0
	v_cmp_ne_u32_e32 vcc_lo, 53, v0
	s_cbranch_vccz .LBB117_340
; %bb.339:
	v_lshlrev_b32_e32 v0, 3, v0
	s_wait_xcnt 0x0
	s_delay_alu instid0(VALU_DEP_1)
	v_mov_b32_e32 v112, v0
	scratch_load_b64 v[0:1], v112, off offset:-8
	scratch_load_b64 v[110:111], off, off offset:416
	s_wait_loadcnt 0x1
	scratch_store_b64 off, v[0:1], off offset:416
	s_wait_loadcnt 0x0
	scratch_store_b64 v112, v[110:111], off offset:-8
.LBB117_340:
	s_wait_xcnt 0x1
	v_mov_b32_e32 v0, 0
	global_load_b32 v1, v0, s[8:9] offset:204
	s_wait_loadcnt 0x0
	v_cmp_eq_u32_e32 vcc_lo, 52, v1
	s_cbranch_vccnz .LBB117_342
; %bb.341:
	v_lshlrev_b32_e32 v1, 3, v1
	scratch_load_b64 v[110:111], v1, off offset:-8
	scratch_load_b64 v[112:113], off, off offset:408
	s_wait_loadcnt 0x1
	scratch_store_b64 off, v[110:111], off offset:408
	s_wait_loadcnt 0x0
	scratch_store_b64 v1, v[112:113], off offset:-8
.LBB117_342:
	global_load_b32 v0, v0, s[8:9] offset:200
	s_wait_loadcnt 0x0
	v_cmp_eq_u32_e32 vcc_lo, 51, v0
	s_cbranch_vccnz .LBB117_344
; %bb.343:
	s_wait_xcnt 0x0
	v_lshlrev_b32_e32 v0, 3, v0
	s_delay_alu instid0(VALU_DEP_1)
	v_mov_b32_e32 v112, v0
	scratch_load_b64 v[0:1], v112, off offset:-8
	scratch_load_b64 v[110:111], off, off offset:400
	s_wait_loadcnt 0x1
	scratch_store_b64 off, v[0:1], off offset:400
	s_wait_loadcnt 0x0
	scratch_store_b64 v112, v[110:111], off offset:-8
.LBB117_344:
	s_wait_xcnt 0x0
	v_mov_b32_e32 v0, 0
	global_load_b32 v1, v0, s[8:9] offset:196
	s_wait_loadcnt 0x0
	v_cmp_eq_u32_e32 vcc_lo, 50, v1
	s_cbranch_vccnz .LBB117_346
; %bb.345:
	v_lshlrev_b32_e32 v1, 3, v1
	scratch_load_b64 v[110:111], v1, off offset:-8
	scratch_load_b64 v[112:113], off, off offset:392
	s_wait_loadcnt 0x1
	scratch_store_b64 off, v[110:111], off offset:392
	s_wait_loadcnt 0x0
	scratch_store_b64 v1, v[112:113], off offset:-8
.LBB117_346:
	global_load_b32 v0, v0, s[8:9] offset:192
	s_wait_loadcnt 0x0
	v_cmp_eq_u32_e32 vcc_lo, 49, v0
	s_cbranch_vccnz .LBB117_348
; %bb.347:
	s_wait_xcnt 0x0
	v_lshlrev_b32_e32 v0, 3, v0
	s_delay_alu instid0(VALU_DEP_1)
	v_mov_b32_e32 v112, v0
	scratch_load_b64 v[0:1], v112, off offset:-8
	scratch_load_b64 v[110:111], off, off offset:384
	s_wait_loadcnt 0x1
	scratch_store_b64 off, v[0:1], off offset:384
	s_wait_loadcnt 0x0
	scratch_store_b64 v112, v[110:111], off offset:-8
.LBB117_348:
	;; [unrolled: 31-line block ×25, first 2 shown]
	s_wait_xcnt 0x0
	v_mov_b32_e32 v0, 0
	global_load_b32 v1, v0, s[8:9] offset:4
	s_wait_loadcnt 0x0
	v_cmp_eq_u32_e32 vcc_lo, 2, v1
	s_cbranch_vccnz .LBB117_442
; %bb.441:
	v_lshlrev_b32_e32 v1, 3, v1
	scratch_load_b64 v[110:111], v1, off offset:-8
	scratch_load_b64 v[112:113], off, off offset:8
	s_wait_loadcnt 0x1
	scratch_store_b64 off, v[110:111], off offset:8
	s_wait_loadcnt 0x0
	scratch_store_b64 v1, v[112:113], off offset:-8
.LBB117_442:
	global_load_b32 v0, v0, s[8:9]
	scratch_load_b64 v[110:111], off, off
	s_wait_loadcnt 0x1
	v_cmp_eq_u32_e32 vcc_lo, 1, v0
	s_cbranch_vccnz .LBB117_444
; %bb.443:
	s_wait_xcnt 0x1
	v_lshlrev_b32_e32 v0, 3, v0
	s_delay_alu instid0(VALU_DEP_1)
	v_mov_b32_e32 v112, v0
	scratch_load_b64 v[0:1], v112, off offset:-8
	s_wait_loadcnt 0x0
	scratch_store_b64 off, v[0:1], off
	scratch_store_b64 v112, v[110:111], off offset:-8
	scratch_load_b64 v[110:111], off, off
.LBB117_444:
	s_wait_loadcnt 0x0
	flat_store_b64 v[2:3], v[110:111]
	scratch_load_b64 v[2:3], off, off offset:8
	v_lshl_add_u64 v[160:161], v[6:7], 3, s[2:3]
	v_lshl_add_u64 v[158:159], v[8:9], 3, s[2:3]
	;; [unrolled: 1-line block ×52, first 2 shown]
	s_wait_loadcnt 0x0
	flat_store_b64 v[4:5], v[2:3]
	scratch_load_b64 v[2:3], off, off offset:16
	s_wait_loadcnt 0x0
	flat_store_b64 v[160:161], v[2:3]
	scratch_load_b64 v[2:3], off, off offset:24
	;; [unrolled: 3-line block ×52, first 2 shown]
	s_wait_loadcnt 0x0
	flat_store_b64 v[0:1], v[2:3]
	s_sendmsg sendmsg(MSG_DEALLOC_VGPRS)
	s_endpgm
	.section	.rodata,"a",@progbits
	.p2align	6, 0x0
	.amdhsa_kernel _ZN9rocsolver6v33100L18getri_kernel_smallILi54E19rocblas_complex_numIfEPKPS3_EEvT1_iilPiilS8_bb
		.amdhsa_group_segment_fixed_size 868
		.amdhsa_private_segment_fixed_size 448
		.amdhsa_kernarg_size 60
		.amdhsa_user_sgpr_count 2
		.amdhsa_user_sgpr_dispatch_ptr 0
		.amdhsa_user_sgpr_queue_ptr 0
		.amdhsa_user_sgpr_kernarg_segment_ptr 1
		.amdhsa_user_sgpr_dispatch_id 0
		.amdhsa_user_sgpr_kernarg_preload_length 0
		.amdhsa_user_sgpr_kernarg_preload_offset 0
		.amdhsa_user_sgpr_private_segment_size 0
		.amdhsa_wavefront_size32 1
		.amdhsa_uses_dynamic_stack 0
		.amdhsa_enable_private_segment 1
		.amdhsa_system_sgpr_workgroup_id_x 1
		.amdhsa_system_sgpr_workgroup_id_y 0
		.amdhsa_system_sgpr_workgroup_id_z 0
		.amdhsa_system_sgpr_workgroup_info 0
		.amdhsa_system_vgpr_workitem_id 0
		.amdhsa_next_free_vgpr 328
		.amdhsa_next_free_sgpr 19
		.amdhsa_named_barrier_count 0
		.amdhsa_reserve_vcc 1
		.amdhsa_float_round_mode_32 0
		.amdhsa_float_round_mode_16_64 0
		.amdhsa_float_denorm_mode_32 3
		.amdhsa_float_denorm_mode_16_64 3
		.amdhsa_fp16_overflow 0
		.amdhsa_memory_ordered 1
		.amdhsa_forward_progress 1
		.amdhsa_inst_pref_size 255
		.amdhsa_round_robin_scheduling 0
		.amdhsa_exception_fp_ieee_invalid_op 0
		.amdhsa_exception_fp_denorm_src 0
		.amdhsa_exception_fp_ieee_div_zero 0
		.amdhsa_exception_fp_ieee_overflow 0
		.amdhsa_exception_fp_ieee_underflow 0
		.amdhsa_exception_fp_ieee_inexact 0
		.amdhsa_exception_int_div_zero 0
	.end_amdhsa_kernel
	.section	.text._ZN9rocsolver6v33100L18getri_kernel_smallILi54E19rocblas_complex_numIfEPKPS3_EEvT1_iilPiilS8_bb,"axG",@progbits,_ZN9rocsolver6v33100L18getri_kernel_smallILi54E19rocblas_complex_numIfEPKPS3_EEvT1_iilPiilS8_bb,comdat
.Lfunc_end117:
	.size	_ZN9rocsolver6v33100L18getri_kernel_smallILi54E19rocblas_complex_numIfEPKPS3_EEvT1_iilPiilS8_bb, .Lfunc_end117-_ZN9rocsolver6v33100L18getri_kernel_smallILi54E19rocblas_complex_numIfEPKPS3_EEvT1_iilPiilS8_bb
                                        ; -- End function
	.set _ZN9rocsolver6v33100L18getri_kernel_smallILi54E19rocblas_complex_numIfEPKPS3_EEvT1_iilPiilS8_bb.num_vgpr, 328
	.set _ZN9rocsolver6v33100L18getri_kernel_smallILi54E19rocblas_complex_numIfEPKPS3_EEvT1_iilPiilS8_bb.num_agpr, 0
	.set _ZN9rocsolver6v33100L18getri_kernel_smallILi54E19rocblas_complex_numIfEPKPS3_EEvT1_iilPiilS8_bb.numbered_sgpr, 19
	.set _ZN9rocsolver6v33100L18getri_kernel_smallILi54E19rocblas_complex_numIfEPKPS3_EEvT1_iilPiilS8_bb.num_named_barrier, 0
	.set _ZN9rocsolver6v33100L18getri_kernel_smallILi54E19rocblas_complex_numIfEPKPS3_EEvT1_iilPiilS8_bb.private_seg_size, 448
	.set _ZN9rocsolver6v33100L18getri_kernel_smallILi54E19rocblas_complex_numIfEPKPS3_EEvT1_iilPiilS8_bb.uses_vcc, 1
	.set _ZN9rocsolver6v33100L18getri_kernel_smallILi54E19rocblas_complex_numIfEPKPS3_EEvT1_iilPiilS8_bb.uses_flat_scratch, 1
	.set _ZN9rocsolver6v33100L18getri_kernel_smallILi54E19rocblas_complex_numIfEPKPS3_EEvT1_iilPiilS8_bb.has_dyn_sized_stack, 0
	.set _ZN9rocsolver6v33100L18getri_kernel_smallILi54E19rocblas_complex_numIfEPKPS3_EEvT1_iilPiilS8_bb.has_recursion, 0
	.set _ZN9rocsolver6v33100L18getri_kernel_smallILi54E19rocblas_complex_numIfEPKPS3_EEvT1_iilPiilS8_bb.has_indirect_call, 0
	.section	.AMDGPU.csdata,"",@progbits
; Kernel info:
; codeLenInByte = 108124
; TotalNumSgprs: 21
; NumVgprs: 328
; ScratchSize: 448
; MemoryBound: 0
; FloatMode: 240
; IeeeMode: 1
; LDSByteSize: 868 bytes/workgroup (compile time only)
; SGPRBlocks: 0
; VGPRBlocks: 20
; NumSGPRsForWavesPerEU: 21
; NumVGPRsForWavesPerEU: 328
; NamedBarCnt: 0
; Occupancy: 3
; WaveLimiterHint : 1
; COMPUTE_PGM_RSRC2:SCRATCH_EN: 1
; COMPUTE_PGM_RSRC2:USER_SGPR: 2
; COMPUTE_PGM_RSRC2:TRAP_HANDLER: 0
; COMPUTE_PGM_RSRC2:TGID_X_EN: 1
; COMPUTE_PGM_RSRC2:TGID_Y_EN: 0
; COMPUTE_PGM_RSRC2:TGID_Z_EN: 0
; COMPUTE_PGM_RSRC2:TIDIG_COMP_CNT: 0
	.section	.text._ZN9rocsolver6v33100L18getri_kernel_smallILi55E19rocblas_complex_numIfEPKPS3_EEvT1_iilPiilS8_bb,"axG",@progbits,_ZN9rocsolver6v33100L18getri_kernel_smallILi55E19rocblas_complex_numIfEPKPS3_EEvT1_iilPiilS8_bb,comdat
	.globl	_ZN9rocsolver6v33100L18getri_kernel_smallILi55E19rocblas_complex_numIfEPKPS3_EEvT1_iilPiilS8_bb ; -- Begin function _ZN9rocsolver6v33100L18getri_kernel_smallILi55E19rocblas_complex_numIfEPKPS3_EEvT1_iilPiilS8_bb
	.p2align	8
	.type	_ZN9rocsolver6v33100L18getri_kernel_smallILi55E19rocblas_complex_numIfEPKPS3_EEvT1_iilPiilS8_bb,@function
_ZN9rocsolver6v33100L18getri_kernel_smallILi55E19rocblas_complex_numIfEPKPS3_EEvT1_iilPiilS8_bb: ; @_ZN9rocsolver6v33100L18getri_kernel_smallILi55E19rocblas_complex_numIfEPKPS3_EEvT1_iilPiilS8_bb
; %bb.0:
	s_mov_b32 s2, exec_lo
	v_cmpx_gt_u32_e32 55, v0
	s_cbranch_execz .LBB118_234
; %bb.1:
	s_clause 0x1
	s_load_b32 s13, s[0:1], 0x38
	s_load_b64 s[2:3], s[0:1], 0x0
	s_getreg_b32 s6, hwreg(HW_REG_IB_STS2, 6, 4)
	s_wait_kmcnt 0x0
	s_bitcmp1_b32 s13, 8
	s_cselect_b32 s12, -1, 0
	s_bfe_u32 s4, ttmp6, 0x4000c
	s_and_b32 s5, ttmp6, 15
	s_add_co_i32 s4, s4, 1
	s_delay_alu instid0(SALU_CYCLE_1) | instskip(NEXT) | instid1(SALU_CYCLE_1)
	s_mul_i32 s4, ttmp9, s4
	s_add_co_i32 s5, s5, s4
	s_cmp_eq_u32 s6, 0
	s_cselect_b32 s10, ttmp9, s5
	s_load_b128 s[4:7], s[0:1], 0x28
	s_ashr_i32 s11, s10, 31
	s_delay_alu instid0(SALU_CYCLE_1) | instskip(NEXT) | instid1(SALU_CYCLE_1)
	s_lshl_b64 s[8:9], s[10:11], 3
	s_add_nc_u64 s[2:3], s[2:3], s[8:9]
	s_bfe_u32 s8, s13, 0x10008
	s_load_b64 s[2:3], s[2:3], 0x0
	s_cmp_eq_u32 s8, 0
                                        ; implicit-def: $sgpr8_sgpr9
	s_cbranch_scc1 .LBB118_3
; %bb.2:
	s_load_b96 s[16:18], s[0:1], 0x18
	s_wait_kmcnt 0x0
	s_mul_u64 s[4:5], s[4:5], s[10:11]
	s_delay_alu instid0(SALU_CYCLE_1) | instskip(SKIP_4) | instid1(SALU_CYCLE_1)
	s_lshl_b64 s[4:5], s[4:5], 2
	s_ashr_i32 s9, s18, 31
	s_mov_b32 s8, s18
	s_add_nc_u64 s[4:5], s[16:17], s[4:5]
	s_lshl_b64 s[8:9], s[8:9], 2
	s_add_nc_u64 s[8:9], s[4:5], s[8:9]
.LBB118_3:
	s_wait_kmcnt 0x0
	s_clause 0x1
	s_load_b64 s[4:5], s[0:1], 0x8
	s_load_b32 s13, s[0:1], 0x38
	v_dual_mov_b32 v113, 0 :: v_dual_lshlrev_b32 v112, 3, v0
	s_wait_kmcnt 0x0
	s_ashr_i32 s1, s4, 31
	s_mov_b32 s0, s4
	s_delay_alu instid0(SALU_CYCLE_1) | instskip(NEXT) | instid1(SALU_CYCLE_1)
	s_lshl_b64 s[0:1], s[0:1], 3
	s_add_nc_u64 s[2:3], s[2:3], s[0:1]
	s_ashr_i32 s1, s5, 31
	flat_load_b64 v[6:7], v0, s[2:3] scale_offset
	v_add_nc_u64_e32 v[2:3], s[2:3], v[112:113]
	s_mov_b32 s0, s5
	s_bitcmp0_b32 s13, 0
	s_delay_alu instid0(VALU_DEP_1)
	v_lshl_add_u64 v[4:5], s[0:1], 3, v[2:3]
	s_mov_b32 s1, -1
	s_wait_loadcnt_dscnt 0x0
	scratch_store_b64 off, v[6:7], off
	flat_load_b64 v[8:9], v[4:5]
	s_wait_xcnt 0x1
	v_add3_u32 v6, s5, s5, v0
	s_wait_loadcnt_dscnt 0x0
	scratch_store_b64 off, v[8:9], off offset:8
	flat_load_b64 v[10:11], v6, s[2:3] scale_offset
	s_wait_xcnt 0x1
	v_add_nc_u32_e32 v8, s5, v6
	s_wait_loadcnt_dscnt 0x0
	scratch_store_b64 off, v[10:11], off offset:16
	flat_load_b64 v[12:13], v8, s[2:3] scale_offset
	s_wait_xcnt 0x1
	v_add_nc_u32_e32 v10, s5, v8
	s_wait_loadcnt_dscnt 0x0
	scratch_store_b64 off, v[12:13], off offset:24
	flat_load_b64 v[14:15], v10, s[2:3] scale_offset
	s_wait_xcnt 0x1
	v_add_nc_u32_e32 v12, s5, v10
	s_wait_loadcnt_dscnt 0x0
	scratch_store_b64 off, v[14:15], off offset:32
	flat_load_b64 v[16:17], v12, s[2:3] scale_offset
	s_wait_xcnt 0x1
	v_add_nc_u32_e32 v14, s5, v12
	s_wait_loadcnt_dscnt 0x0
	scratch_store_b64 off, v[16:17], off offset:40
	flat_load_b64 v[18:19], v14, s[2:3] scale_offset
	s_wait_xcnt 0x1
	v_add_nc_u32_e32 v16, s5, v14
	s_wait_loadcnt_dscnt 0x0
	scratch_store_b64 off, v[18:19], off offset:48
	flat_load_b64 v[20:21], v16, s[2:3] scale_offset
	s_wait_xcnt 0x1
	v_add_nc_u32_e32 v18, s5, v16
	s_wait_loadcnt_dscnt 0x0
	scratch_store_b64 off, v[20:21], off offset:56
	flat_load_b64 v[22:23], v18, s[2:3] scale_offset
	s_wait_xcnt 0x1
	v_add_nc_u32_e32 v20, s5, v18
	s_wait_loadcnt_dscnt 0x0
	scratch_store_b64 off, v[22:23], off offset:64
	flat_load_b64 v[24:25], v20, s[2:3] scale_offset
	s_wait_xcnt 0x1
	v_add_nc_u32_e32 v22, s5, v20
	s_wait_loadcnt_dscnt 0x0
	scratch_store_b64 off, v[24:25], off offset:72
	flat_load_b64 v[26:27], v22, s[2:3] scale_offset
	s_wait_xcnt 0x1
	v_add_nc_u32_e32 v24, s5, v22
	s_wait_loadcnt_dscnt 0x0
	scratch_store_b64 off, v[26:27], off offset:80
	flat_load_b64 v[28:29], v24, s[2:3] scale_offset
	s_wait_xcnt 0x1
	v_add_nc_u32_e32 v26, s5, v24
	s_wait_loadcnt_dscnt 0x0
	scratch_store_b64 off, v[28:29], off offset:88
	flat_load_b64 v[30:31], v26, s[2:3] scale_offset
	s_wait_xcnt 0x1
	v_add_nc_u32_e32 v28, s5, v26
	s_wait_loadcnt_dscnt 0x0
	scratch_store_b64 off, v[30:31], off offset:96
	flat_load_b64 v[32:33], v28, s[2:3] scale_offset
	s_wait_xcnt 0x1
	v_add_nc_u32_e32 v30, s5, v28
	s_wait_loadcnt_dscnt 0x0
	scratch_store_b64 off, v[32:33], off offset:104
	flat_load_b64 v[34:35], v30, s[2:3] scale_offset
	s_wait_xcnt 0x1
	v_add_nc_u32_e32 v32, s5, v30
	s_wait_loadcnt_dscnt 0x0
	scratch_store_b64 off, v[34:35], off offset:112
	flat_load_b64 v[36:37], v32, s[2:3] scale_offset
	s_wait_xcnt 0x1
	v_add_nc_u32_e32 v34, s5, v32
	s_wait_loadcnt_dscnt 0x0
	scratch_store_b64 off, v[36:37], off offset:120
	flat_load_b64 v[38:39], v34, s[2:3] scale_offset
	s_wait_xcnt 0x1
	v_add_nc_u32_e32 v36, s5, v34
	s_wait_loadcnt_dscnt 0x0
	scratch_store_b64 off, v[38:39], off offset:128
	flat_load_b64 v[40:41], v36, s[2:3] scale_offset
	s_wait_xcnt 0x1
	v_add_nc_u32_e32 v38, s5, v36
	s_wait_loadcnt_dscnt 0x0
	scratch_store_b64 off, v[40:41], off offset:136
	flat_load_b64 v[42:43], v38, s[2:3] scale_offset
	s_wait_xcnt 0x1
	v_add_nc_u32_e32 v40, s5, v38
	s_wait_loadcnt_dscnt 0x0
	scratch_store_b64 off, v[42:43], off offset:144
	flat_load_b64 v[44:45], v40, s[2:3] scale_offset
	s_wait_xcnt 0x1
	v_add_nc_u32_e32 v42, s5, v40
	s_wait_loadcnt_dscnt 0x0
	scratch_store_b64 off, v[44:45], off offset:152
	flat_load_b64 v[46:47], v42, s[2:3] scale_offset
	s_wait_xcnt 0x1
	v_add_nc_u32_e32 v44, s5, v42
	s_wait_loadcnt_dscnt 0x0
	scratch_store_b64 off, v[46:47], off offset:160
	flat_load_b64 v[48:49], v44, s[2:3] scale_offset
	s_wait_xcnt 0x1
	v_add_nc_u32_e32 v46, s5, v44
	s_wait_loadcnt_dscnt 0x0
	scratch_store_b64 off, v[48:49], off offset:168
	flat_load_b64 v[50:51], v46, s[2:3] scale_offset
	s_wait_xcnt 0x1
	v_add_nc_u32_e32 v48, s5, v46
	s_wait_loadcnt_dscnt 0x0
	scratch_store_b64 off, v[50:51], off offset:176
	flat_load_b64 v[52:53], v48, s[2:3] scale_offset
	s_wait_xcnt 0x1
	v_add_nc_u32_e32 v50, s5, v48
	s_wait_loadcnt_dscnt 0x0
	scratch_store_b64 off, v[52:53], off offset:184
	flat_load_b64 v[54:55], v50, s[2:3] scale_offset
	s_wait_xcnt 0x1
	v_add_nc_u32_e32 v52, s5, v50
	s_wait_loadcnt_dscnt 0x0
	scratch_store_b64 off, v[54:55], off offset:192
	flat_load_b64 v[56:57], v52, s[2:3] scale_offset
	s_wait_xcnt 0x1
	v_add_nc_u32_e32 v54, s5, v52
	s_wait_loadcnt_dscnt 0x0
	scratch_store_b64 off, v[56:57], off offset:200
	flat_load_b64 v[58:59], v54, s[2:3] scale_offset
	s_wait_xcnt 0x1
	v_add_nc_u32_e32 v56, s5, v54
	s_wait_loadcnt_dscnt 0x0
	scratch_store_b64 off, v[58:59], off offset:208
	flat_load_b64 v[60:61], v56, s[2:3] scale_offset
	s_wait_xcnt 0x1
	v_add_nc_u32_e32 v58, s5, v56
	s_wait_loadcnt_dscnt 0x0
	scratch_store_b64 off, v[60:61], off offset:216
	flat_load_b64 v[62:63], v58, s[2:3] scale_offset
	s_wait_xcnt 0x1
	v_add_nc_u32_e32 v60, s5, v58
	s_wait_loadcnt_dscnt 0x0
	scratch_store_b64 off, v[62:63], off offset:224
	flat_load_b64 v[64:65], v60, s[2:3] scale_offset
	s_wait_xcnt 0x1
	v_add_nc_u32_e32 v62, s5, v60
	s_wait_loadcnt_dscnt 0x0
	scratch_store_b64 off, v[64:65], off offset:232
	flat_load_b64 v[66:67], v62, s[2:3] scale_offset
	s_wait_xcnt 0x1
	v_add_nc_u32_e32 v64, s5, v62
	s_wait_loadcnt_dscnt 0x0
	scratch_store_b64 off, v[66:67], off offset:240
	flat_load_b64 v[68:69], v64, s[2:3] scale_offset
	s_wait_xcnt 0x1
	v_add_nc_u32_e32 v66, s5, v64
	s_wait_loadcnt_dscnt 0x0
	scratch_store_b64 off, v[68:69], off offset:248
	flat_load_b64 v[70:71], v66, s[2:3] scale_offset
	s_wait_xcnt 0x1
	v_add_nc_u32_e32 v68, s5, v66
	s_wait_loadcnt_dscnt 0x0
	scratch_store_b64 off, v[70:71], off offset:256
	flat_load_b64 v[72:73], v68, s[2:3] scale_offset
	s_wait_xcnt 0x1
	v_add_nc_u32_e32 v70, s5, v68
	s_wait_loadcnt_dscnt 0x0
	scratch_store_b64 off, v[72:73], off offset:264
	flat_load_b64 v[74:75], v70, s[2:3] scale_offset
	s_wait_xcnt 0x1
	v_add_nc_u32_e32 v72, s5, v70
	s_wait_loadcnt_dscnt 0x0
	scratch_store_b64 off, v[74:75], off offset:272
	flat_load_b64 v[76:77], v72, s[2:3] scale_offset
	s_wait_xcnt 0x1
	v_add_nc_u32_e32 v74, s5, v72
	s_wait_loadcnt_dscnt 0x0
	scratch_store_b64 off, v[76:77], off offset:280
	flat_load_b64 v[78:79], v74, s[2:3] scale_offset
	s_wait_xcnt 0x1
	v_add_nc_u32_e32 v76, s5, v74
	s_wait_loadcnt_dscnt 0x0
	scratch_store_b64 off, v[78:79], off offset:288
	flat_load_b64 v[80:81], v76, s[2:3] scale_offset
	s_wait_xcnt 0x1
	v_add_nc_u32_e32 v78, s5, v76
	s_wait_loadcnt_dscnt 0x0
	scratch_store_b64 off, v[80:81], off offset:296
	flat_load_b64 v[82:83], v78, s[2:3] scale_offset
	s_wait_xcnt 0x1
	v_add_nc_u32_e32 v80, s5, v78
	s_wait_loadcnt_dscnt 0x0
	scratch_store_b64 off, v[82:83], off offset:304
	flat_load_b64 v[84:85], v80, s[2:3] scale_offset
	s_wait_xcnt 0x1
	v_add_nc_u32_e32 v82, s5, v80
	s_wait_loadcnt_dscnt 0x0
	scratch_store_b64 off, v[84:85], off offset:312
	flat_load_b64 v[86:87], v82, s[2:3] scale_offset
	s_wait_xcnt 0x1
	v_add_nc_u32_e32 v84, s5, v82
	s_wait_loadcnt_dscnt 0x0
	scratch_store_b64 off, v[86:87], off offset:320
	flat_load_b64 v[88:89], v84, s[2:3] scale_offset
	s_wait_xcnt 0x1
	v_add_nc_u32_e32 v86, s5, v84
	s_wait_loadcnt_dscnt 0x0
	scratch_store_b64 off, v[88:89], off offset:328
	flat_load_b64 v[90:91], v86, s[2:3] scale_offset
	s_wait_xcnt 0x1
	v_add_nc_u32_e32 v88, s5, v86
	s_wait_loadcnt_dscnt 0x0
	scratch_store_b64 off, v[90:91], off offset:336
	flat_load_b64 v[92:93], v88, s[2:3] scale_offset
	s_wait_xcnt 0x1
	v_add_nc_u32_e32 v90, s5, v88
	s_wait_loadcnt_dscnt 0x0
	scratch_store_b64 off, v[92:93], off offset:344
	flat_load_b64 v[94:95], v90, s[2:3] scale_offset
	s_wait_xcnt 0x1
	v_add_nc_u32_e32 v92, s5, v90
	s_wait_loadcnt_dscnt 0x0
	scratch_store_b64 off, v[94:95], off offset:352
	flat_load_b64 v[96:97], v92, s[2:3] scale_offset
	s_wait_xcnt 0x1
	v_add_nc_u32_e32 v94, s5, v92
	s_wait_loadcnt_dscnt 0x0
	scratch_store_b64 off, v[96:97], off offset:360
	flat_load_b64 v[98:99], v94, s[2:3] scale_offset
	s_wait_xcnt 0x1
	v_add_nc_u32_e32 v96, s5, v94
	s_wait_loadcnt_dscnt 0x0
	scratch_store_b64 off, v[98:99], off offset:368
	flat_load_b64 v[100:101], v96, s[2:3] scale_offset
	s_wait_xcnt 0x1
	v_add_nc_u32_e32 v98, s5, v96
	s_wait_loadcnt_dscnt 0x0
	scratch_store_b64 off, v[100:101], off offset:376
	flat_load_b64 v[102:103], v98, s[2:3] scale_offset
	s_wait_xcnt 0x1
	v_add_nc_u32_e32 v100, s5, v98
	s_wait_loadcnt_dscnt 0x0
	scratch_store_b64 off, v[102:103], off offset:384
	flat_load_b64 v[104:105], v100, s[2:3] scale_offset
	s_wait_xcnt 0x1
	v_add_nc_u32_e32 v102, s5, v100
	s_wait_loadcnt_dscnt 0x0
	scratch_store_b64 off, v[104:105], off offset:392
	flat_load_b64 v[106:107], v102, s[2:3] scale_offset
	s_wait_xcnt 0x1
	v_add_nc_u32_e32 v104, s5, v102
	s_wait_loadcnt_dscnt 0x0
	scratch_store_b64 off, v[106:107], off offset:400
	flat_load_b64 v[108:109], v104, s[2:3] scale_offset
	s_wait_xcnt 0x1
	v_add_nc_u32_e32 v106, s5, v104
	s_wait_loadcnt_dscnt 0x0
	scratch_store_b64 off, v[108:109], off offset:408
	flat_load_b64 v[110:111], v106, s[2:3] scale_offset
	s_wait_xcnt 0x1
	v_add_nc_u32_e32 v108, s5, v106
	s_wait_loadcnt_dscnt 0x0
	scratch_store_b64 off, v[110:111], off offset:416
	flat_load_b64 v[114:115], v108, s[2:3] scale_offset
	s_wait_xcnt 0x1
	v_add_nc_u32_e32 v110, s5, v108
	s_wait_loadcnt_dscnt 0x0
	scratch_store_b64 off, v[114:115], off offset:424
	flat_load_b64 v[114:115], v110, s[2:3] scale_offset
	s_wait_loadcnt_dscnt 0x0
	scratch_store_b64 off, v[114:115], off offset:432
	s_cbranch_scc1 .LBB118_232
; %bb.4:
	v_cmp_eq_u32_e64 s0, 0, v0
	s_wait_xcnt 0x0
	s_and_saveexec_b32 s1, s0
; %bb.5:
	v_mov_b32_e32 v1, 0
	ds_store_b32 v1, v1 offset:440
; %bb.6:
	s_or_b32 exec_lo, exec_lo, s1
	s_wait_storecnt_dscnt 0x0
	s_barrier_signal -1
	s_barrier_wait -1
	scratch_load_b64 v[114:115], v0, off scale_offset
	s_wait_loadcnt 0x0
	v_cmp_eq_f32_e32 vcc_lo, 0, v114
	v_cmp_eq_f32_e64 s1, 0, v115
	s_and_b32 s1, vcc_lo, s1
	s_delay_alu instid0(SALU_CYCLE_1)
	s_and_saveexec_b32 s4, s1
	s_cbranch_execz .LBB118_10
; %bb.7:
	v_mov_b32_e32 v1, 0
	s_mov_b32 s5, 0
	ds_load_b32 v7, v1 offset:440
	s_wait_dscnt 0x0
	v_readfirstlane_b32 s1, v7
	v_add_nc_u32_e32 v7, 1, v0
	s_cmp_eq_u32 s1, 0
	s_delay_alu instid0(VALU_DEP_1) | instskip(SKIP_1) | instid1(SALU_CYCLE_1)
	v_cmp_gt_i32_e32 vcc_lo, s1, v7
	s_cselect_b32 s13, -1, 0
	s_or_b32 s13, s13, vcc_lo
	s_delay_alu instid0(SALU_CYCLE_1)
	s_and_b32 exec_lo, exec_lo, s13
	s_cbranch_execz .LBB118_10
; %bb.8:
	v_mov_b32_e32 v9, s1
.LBB118_9:                              ; =>This Inner Loop Header: Depth=1
	ds_cmpstore_rtn_b32 v9, v1, v7, v9 offset:440
	s_wait_dscnt 0x0
	v_cmp_ne_u32_e32 vcc_lo, 0, v9
	v_cmp_le_i32_e64 s1, v9, v7
	s_and_b32 s1, vcc_lo, s1
	s_delay_alu instid0(SALU_CYCLE_1) | instskip(NEXT) | instid1(SALU_CYCLE_1)
	s_and_b32 s1, exec_lo, s1
	s_or_b32 s5, s1, s5
	s_delay_alu instid0(SALU_CYCLE_1)
	s_and_not1_b32 exec_lo, exec_lo, s5
	s_cbranch_execnz .LBB118_9
.LBB118_10:
	s_or_b32 exec_lo, exec_lo, s4
	v_mov_b32_e32 v1, 0
	s_barrier_signal -1
	s_barrier_wait -1
	ds_load_b32 v7, v1 offset:440
	s_and_saveexec_b32 s1, s0
	s_cbranch_execz .LBB118_12
; %bb.11:
	s_lshl_b64 s[4:5], s[10:11], 2
	s_delay_alu instid0(SALU_CYCLE_1)
	s_add_nc_u64 s[4:5], s[6:7], s[4:5]
	s_wait_dscnt 0x0
	global_store_b32 v1, v7, s[4:5]
.LBB118_12:
	s_wait_xcnt 0x0
	s_or_b32 exec_lo, exec_lo, s1
	s_wait_dscnt 0x0
	v_cmp_ne_u32_e32 vcc_lo, 0, v7
	s_mov_b32 s1, 0
	s_cbranch_vccnz .LBB118_232
; %bb.13:
	v_lshl_add_u32 v7, v0, 3, 0
                                        ; implicit-def: $vgpr117
                                        ; implicit-def: $vgpr118
	scratch_load_b64 v[114:115], v7, off
	s_wait_loadcnt 0x0
	v_cmp_ngt_f32_e64 s1, |v114|, |v115|
	s_wait_xcnt 0x0
	s_and_saveexec_b32 s4, s1
	s_delay_alu instid0(SALU_CYCLE_1)
	s_xor_b32 s1, exec_lo, s4
	s_cbranch_execz .LBB118_15
; %bb.14:
	v_div_scale_f32 v1, null, v115, v115, v114
	v_div_scale_f32 v13, vcc_lo, v114, v115, v114
	s_delay_alu instid0(VALU_DEP_2) | instskip(SKIP_1) | instid1(TRANS32_DEP_1)
	v_rcp_f32_e32 v9, v1
	v_nop
	v_fma_f32 v11, -v1, v9, 1.0
	s_delay_alu instid0(VALU_DEP_1) | instskip(NEXT) | instid1(VALU_DEP_1)
	v_fmac_f32_e32 v9, v11, v9
	v_mul_f32_e32 v11, v13, v9
	s_delay_alu instid0(VALU_DEP_1) | instskip(NEXT) | instid1(VALU_DEP_1)
	v_fma_f32 v15, -v1, v11, v13
	v_fmac_f32_e32 v11, v15, v9
	s_delay_alu instid0(VALU_DEP_1) | instskip(NEXT) | instid1(VALU_DEP_1)
	v_fma_f32 v1, -v1, v11, v13
	v_div_fmas_f32 v1, v1, v9, v11
	s_delay_alu instid0(VALU_DEP_1) | instskip(NEXT) | instid1(VALU_DEP_1)
	v_div_fixup_f32 v1, v1, v115, v114
	v_fmac_f32_e32 v115, v114, v1
	s_delay_alu instid0(VALU_DEP_1) | instskip(NEXT) | instid1(VALU_DEP_1)
	v_div_scale_f32 v9, null, v115, v115, -1.0
	v_rcp_f32_e32 v11, v9
	v_nop
	s_delay_alu instid0(TRANS32_DEP_1) | instskip(NEXT) | instid1(VALU_DEP_1)
	v_fma_f32 v13, -v9, v11, 1.0
	v_fmac_f32_e32 v11, v13, v11
	v_div_scale_f32 v13, vcc_lo, -1.0, v115, -1.0
	s_delay_alu instid0(VALU_DEP_1) | instskip(NEXT) | instid1(VALU_DEP_1)
	v_mul_f32_e32 v15, v13, v11
	v_fma_f32 v17, -v9, v15, v13
	s_delay_alu instid0(VALU_DEP_1) | instskip(NEXT) | instid1(VALU_DEP_1)
	v_fmac_f32_e32 v15, v17, v11
	v_fma_f32 v9, -v9, v15, v13
	s_delay_alu instid0(VALU_DEP_1) | instskip(NEXT) | instid1(VALU_DEP_1)
	v_div_fmas_f32 v9, v9, v11, v15
	v_div_fixup_f32 v117, v9, v115, -1.0
                                        ; implicit-def: $vgpr114_vgpr115
	s_delay_alu instid0(VALU_DEP_1) | instskip(NEXT) | instid1(VALU_DEP_1)
	v_mul_f32_e32 v118, v1, v117
	v_xor_b32_e32 v116, 0x80000000, v118
.LBB118_15:
	s_and_not1_saveexec_b32 s1, s1
	s_cbranch_execz .LBB118_17
; %bb.16:
	v_div_scale_f32 v1, null, v114, v114, v115
	v_div_scale_f32 v13, vcc_lo, v115, v114, v115
	s_delay_alu instid0(VALU_DEP_2) | instskip(SKIP_1) | instid1(TRANS32_DEP_1)
	v_rcp_f32_e32 v9, v1
	v_nop
	v_fma_f32 v11, -v1, v9, 1.0
	s_delay_alu instid0(VALU_DEP_1) | instskip(NEXT) | instid1(VALU_DEP_1)
	v_fmac_f32_e32 v9, v11, v9
	v_mul_f32_e32 v11, v13, v9
	s_delay_alu instid0(VALU_DEP_1) | instskip(NEXT) | instid1(VALU_DEP_1)
	v_fma_f32 v15, -v1, v11, v13
	v_fmac_f32_e32 v11, v15, v9
	s_delay_alu instid0(VALU_DEP_1) | instskip(NEXT) | instid1(VALU_DEP_1)
	v_fma_f32 v1, -v1, v11, v13
	v_div_fmas_f32 v1, v1, v9, v11
	s_delay_alu instid0(VALU_DEP_1) | instskip(NEXT) | instid1(VALU_DEP_1)
	v_div_fixup_f32 v1, v1, v114, v115
	v_fmac_f32_e32 v114, v115, v1
	s_delay_alu instid0(VALU_DEP_1) | instskip(SKIP_1) | instid1(VALU_DEP_2)
	v_div_scale_f32 v9, null, v114, v114, 1.0
	v_div_scale_f32 v15, vcc_lo, 1.0, v114, 1.0
	v_rcp_f32_e32 v11, v9
	v_nop
	s_delay_alu instid0(TRANS32_DEP_1) | instskip(NEXT) | instid1(VALU_DEP_1)
	v_fma_f32 v13, -v9, v11, 1.0
	v_fmac_f32_e32 v11, v13, v11
	s_delay_alu instid0(VALU_DEP_1) | instskip(NEXT) | instid1(VALU_DEP_1)
	v_mul_f32_e32 v13, v15, v11
	v_fma_f32 v17, -v9, v13, v15
	s_delay_alu instid0(VALU_DEP_1) | instskip(NEXT) | instid1(VALU_DEP_1)
	v_fmac_f32_e32 v13, v17, v11
	v_fma_f32 v9, -v9, v13, v15
	s_delay_alu instid0(VALU_DEP_1) | instskip(NEXT) | instid1(VALU_DEP_1)
	v_div_fmas_f32 v9, v9, v11, v13
	v_div_fixup_f32 v116, v9, v114, 1.0
	s_delay_alu instid0(VALU_DEP_1)
	v_xor_b32_e32 v118, 0x80000000, v116
	v_mul_f32_e64 v117, v1, -v116
.LBB118_17:
	s_or_b32 exec_lo, exec_lo, s1
	scratch_store_b64 v7, v[116:117], off
	scratch_load_b64 v[114:115], off, off offset:8
	v_xor_b32_e32 v119, 0x80000000, v117
	v_add_nc_u32_e32 v1, 0x1c0, v112
	s_wait_loadcnt 0x0
	ds_store_2addr_b64 v112, v[118:119], v[114:115] offset1:56
	s_wait_storecnt_dscnt 0x0
	s_barrier_signal -1
	s_barrier_wait -1
	s_wait_xcnt 0x0
	s_and_saveexec_b32 s1, s0
	s_cbranch_execz .LBB118_19
; %bb.18:
	scratch_load_b64 v[114:115], v7, off
	ds_load_b64 v[116:117], v1
	s_wait_loadcnt_dscnt 0x0
	v_pk_mul_f32 v[120:121], v[116:117], v[114:115] op_sel:[1,1] op_sel_hi:[0,1]
	s_delay_alu instid0(VALU_DEP_1) | instskip(SKIP_2) | instid1(VALU_DEP_3)
	v_pk_fma_f32 v[122:123], v[116:117], v[114:115], v[120:121] op_sel_hi:[1,0,1]
	v_mov_b32_e32 v9, 0
	v_pk_fma_f32 v[114:115], v[116:117], v[114:115], v[120:121] neg_lo:[0,0,1] neg_hi:[0,0,1]
	v_mov_b32_e32 v115, v123
	ds_load_b64 v[118:119], v9 offset:8
	v_pk_add_f32 v[114:115], v[114:115], 0 op_sel_hi:[1,0]
	s_wait_dscnt 0x0
	s_delay_alu instid0(VALU_DEP_1) | instskip(NEXT) | instid1(VALU_DEP_1)
	v_pk_mul_f32 v[116:117], v[114:115], v[118:119] op_sel:[1,1] op_sel_hi:[0,1]
	v_pk_fma_f32 v[120:121], v[114:115], v[118:119], v[116:117] op_sel_hi:[1,0,1]
	v_pk_fma_f32 v[114:115], v[114:115], v[118:119], v[116:117] neg_lo:[0,0,1] neg_hi:[0,0,1]
	s_delay_alu instid0(VALU_DEP_2)
	v_mov_b32_e32 v115, v121
	scratch_store_b64 off, v[114:115], off offset:8
.LBB118_19:
	s_wait_xcnt 0x0
	s_or_b32 exec_lo, exec_lo, s1
	s_wait_storecnt 0x0
	s_barrier_signal -1
	s_barrier_wait -1
	scratch_load_b64 v[114:115], off, off offset:16
	s_mov_b32 s1, exec_lo
	s_wait_loadcnt 0x0
	ds_store_b64 v1, v[114:115]
	s_wait_dscnt 0x0
	s_barrier_signal -1
	s_barrier_wait -1
	v_cmpx_gt_u32_e32 2, v0
	s_cbranch_execz .LBB118_23
; %bb.20:
	scratch_load_b64 v[114:115], v7, off
	ds_load_b64 v[116:117], v1
	s_wait_loadcnt_dscnt 0x0
	v_pk_mul_f32 v[118:119], v[116:117], v[114:115] op_sel:[1,1] op_sel_hi:[0,1]
	s_delay_alu instid0(VALU_DEP_1) | instskip(SKIP_1) | instid1(VALU_DEP_2)
	v_pk_fma_f32 v[120:121], v[116:117], v[114:115], v[118:119] op_sel_hi:[1,0,1]
	v_pk_fma_f32 v[114:115], v[116:117], v[114:115], v[118:119] neg_lo:[0,0,1] neg_hi:[0,0,1]
	v_mov_b32_e32 v115, v121
	s_delay_alu instid0(VALU_DEP_1)
	v_pk_add_f32 v[114:115], v[114:115], 0 op_sel_hi:[1,0]
	s_and_saveexec_b32 s4, s0
	s_cbranch_execz .LBB118_22
; %bb.21:
	scratch_load_b64 v[116:117], off, off offset:8
	v_mov_b32_e32 v7, 0
	ds_load_b64 v[118:119], v7 offset:456
	s_wait_loadcnt_dscnt 0x0
	v_pk_mul_f32 v[120:121], v[118:119], v[116:117] op_sel:[1,1] op_sel_hi:[0,1]
	s_delay_alu instid0(VALU_DEP_1) | instskip(SKIP_1) | instid1(VALU_DEP_2)
	v_pk_fma_f32 v[122:123], v[118:119], v[116:117], v[120:121] op_sel_hi:[1,0,1]
	v_pk_fma_f32 v[116:117], v[118:119], v[116:117], v[120:121] neg_lo:[0,0,1] neg_hi:[0,0,1]
	v_mov_b32_e32 v117, v123
	s_delay_alu instid0(VALU_DEP_1)
	v_pk_add_f32 v[114:115], v[114:115], v[116:117]
.LBB118_22:
	s_or_b32 exec_lo, exec_lo, s4
	v_mov_b32_e32 v7, 0
	ds_load_b64 v[116:117], v7 offset:16
	s_wait_dscnt 0x0
	v_pk_mul_f32 v[118:119], v[114:115], v[116:117] op_sel:[1,1] op_sel_hi:[0,1]
	s_delay_alu instid0(VALU_DEP_1) | instskip(SKIP_1) | instid1(VALU_DEP_2)
	v_pk_fma_f32 v[120:121], v[114:115], v[116:117], v[118:119] op_sel_hi:[1,0,1]
	v_pk_fma_f32 v[114:115], v[114:115], v[116:117], v[118:119] neg_lo:[0,0,1] neg_hi:[0,0,1]
	v_mov_b32_e32 v115, v121
	scratch_store_b64 off, v[114:115], off offset:16
.LBB118_23:
	s_wait_xcnt 0x0
	s_or_b32 exec_lo, exec_lo, s1
	s_wait_storecnt 0x0
	s_barrier_signal -1
	s_barrier_wait -1
	scratch_load_b64 v[114:115], off, off offset:24
	v_add_nc_u32_e32 v7, -1, v0
	s_mov_b32 s0, exec_lo
	s_wait_loadcnt 0x0
	ds_store_b64 v1, v[114:115]
	s_wait_dscnt 0x0
	s_barrier_signal -1
	s_barrier_wait -1
	v_cmpx_gt_u32_e32 3, v0
	s_cbranch_execz .LBB118_27
; %bb.24:
	v_dual_mov_b32 v114, 0 :: v_dual_add_nc_u32 v9, -1, v0
	v_add_nc_u32_e32 v11, 0x1c0, v112
	v_mov_b32_e32 v13, v112
	s_mov_b32 s1, 0
	s_delay_alu instid0(VALU_DEP_3)
	v_mov_b32_e32 v115, v114
.LBB118_25:                             ; =>This Inner Loop Header: Depth=1
	scratch_load_b64 v[116:117], v13, off
	ds_load_b64 v[118:119], v11
	s_wait_xcnt 0x0
	v_dual_add_nc_u32 v11, 8, v11 :: v_dual_add_nc_u32 v13, 8, v13
	s_wait_loadcnt_dscnt 0x0
	v_pk_mul_f32 v[120:121], v[118:119], v[116:117] op_sel:[1,1] op_sel_hi:[0,1]
	s_delay_alu instid0(VALU_DEP_1) | instskip(SKIP_2) | instid1(VALU_DEP_3)
	v_pk_fma_f32 v[122:123], v[118:119], v[116:117], v[120:121] op_sel_hi:[1,0,1]
	v_add_nc_u32_e32 v9, 1, v9
	v_pk_fma_f32 v[116:117], v[118:119], v[116:117], v[120:121] neg_lo:[0,0,1] neg_hi:[0,0,1]
	v_mov_b32_e32 v117, v123
	s_delay_alu instid0(VALU_DEP_3) | instskip(NEXT) | instid1(VALU_DEP_2)
	v_cmp_lt_u32_e32 vcc_lo, 1, v9
	v_pk_add_f32 v[114:115], v[114:115], v[116:117]
	s_or_b32 s1, vcc_lo, s1
	s_delay_alu instid0(SALU_CYCLE_1)
	s_and_not1_b32 exec_lo, exec_lo, s1
	s_cbranch_execnz .LBB118_25
; %bb.26:
	s_or_b32 exec_lo, exec_lo, s1
	v_mov_b32_e32 v9, 0
	ds_load_b64 v[116:117], v9 offset:24
	s_wait_dscnt 0x0
	v_pk_mul_f32 v[118:119], v[114:115], v[116:117] op_sel:[1,1] op_sel_hi:[0,1]
	s_delay_alu instid0(VALU_DEP_1) | instskip(SKIP_1) | instid1(VALU_DEP_2)
	v_pk_fma_f32 v[120:121], v[114:115], v[116:117], v[118:119] op_sel_hi:[1,0,1]
	v_pk_fma_f32 v[114:115], v[114:115], v[116:117], v[118:119] neg_lo:[0,0,1] neg_hi:[0,0,1]
	v_mov_b32_e32 v115, v121
	scratch_store_b64 off, v[114:115], off offset:24
.LBB118_27:
	s_wait_xcnt 0x0
	s_or_b32 exec_lo, exec_lo, s0
	s_wait_storecnt 0x0
	s_barrier_signal -1
	s_barrier_wait -1
	scratch_load_b64 v[114:115], off, off offset:32
	s_mov_b32 s0, exec_lo
	s_wait_loadcnt 0x0
	ds_store_b64 v1, v[114:115]
	s_wait_dscnt 0x0
	s_barrier_signal -1
	s_barrier_wait -1
	v_cmpx_gt_u32_e32 4, v0
	s_cbranch_execz .LBB118_31
; %bb.28:
	v_dual_mov_b32 v114, 0 :: v_dual_add_nc_u32 v9, -1, v0
	v_add_nc_u32_e32 v11, 0x1c0, v112
	v_mov_b32_e32 v13, v112
	s_mov_b32 s1, 0
	s_delay_alu instid0(VALU_DEP_3)
	v_mov_b32_e32 v115, v114
.LBB118_29:                             ; =>This Inner Loop Header: Depth=1
	scratch_load_b64 v[116:117], v13, off
	ds_load_b64 v[118:119], v11
	s_wait_xcnt 0x0
	v_dual_add_nc_u32 v11, 8, v11 :: v_dual_add_nc_u32 v13, 8, v13
	s_wait_loadcnt_dscnt 0x0
	v_pk_mul_f32 v[120:121], v[118:119], v[116:117] op_sel:[1,1] op_sel_hi:[0,1]
	s_delay_alu instid0(VALU_DEP_1) | instskip(SKIP_2) | instid1(VALU_DEP_3)
	v_pk_fma_f32 v[122:123], v[118:119], v[116:117], v[120:121] op_sel_hi:[1,0,1]
	v_add_nc_u32_e32 v9, 1, v9
	v_pk_fma_f32 v[116:117], v[118:119], v[116:117], v[120:121] neg_lo:[0,0,1] neg_hi:[0,0,1]
	v_mov_b32_e32 v117, v123
	s_delay_alu instid0(VALU_DEP_3) | instskip(NEXT) | instid1(VALU_DEP_2)
	v_cmp_lt_u32_e32 vcc_lo, 2, v9
	v_pk_add_f32 v[114:115], v[114:115], v[116:117]
	s_or_b32 s1, vcc_lo, s1
	s_delay_alu instid0(SALU_CYCLE_1)
	s_and_not1_b32 exec_lo, exec_lo, s1
	s_cbranch_execnz .LBB118_29
; %bb.30:
	s_or_b32 exec_lo, exec_lo, s1
	v_mov_b32_e32 v9, 0
	ds_load_b64 v[116:117], v9 offset:32
	s_wait_dscnt 0x0
	v_pk_mul_f32 v[118:119], v[114:115], v[116:117] op_sel:[1,1] op_sel_hi:[0,1]
	s_delay_alu instid0(VALU_DEP_1) | instskip(SKIP_1) | instid1(VALU_DEP_2)
	v_pk_fma_f32 v[120:121], v[114:115], v[116:117], v[118:119] op_sel_hi:[1,0,1]
	v_pk_fma_f32 v[114:115], v[114:115], v[116:117], v[118:119] neg_lo:[0,0,1] neg_hi:[0,0,1]
	v_mov_b32_e32 v115, v121
	scratch_store_b64 off, v[114:115], off offset:32
.LBB118_31:
	s_wait_xcnt 0x0
	s_or_b32 exec_lo, exec_lo, s0
	s_wait_storecnt 0x0
	s_barrier_signal -1
	s_barrier_wait -1
	scratch_load_b64 v[114:115], off, off offset:40
	;; [unrolled: 52-line block ×19, first 2 shown]
	s_mov_b32 s0, exec_lo
	s_wait_loadcnt 0x0
	ds_store_b64 v1, v[114:115]
	s_wait_dscnt 0x0
	s_barrier_signal -1
	s_barrier_wait -1
	v_cmpx_gt_u32_e32 22, v0
	s_cbranch_execz .LBB118_103
; %bb.100:
	v_dual_mov_b32 v114, 0 :: v_dual_add_nc_u32 v9, -1, v0
	v_add_nc_u32_e32 v11, 0x1c0, v112
	v_mov_b32_e32 v13, v112
	s_mov_b32 s1, 0
	s_delay_alu instid0(VALU_DEP_3)
	v_mov_b32_e32 v115, v114
.LBB118_101:                            ; =>This Inner Loop Header: Depth=1
	scratch_load_b64 v[116:117], v13, off
	ds_load_b64 v[118:119], v11
	s_wait_xcnt 0x0
	v_dual_add_nc_u32 v11, 8, v11 :: v_dual_add_nc_u32 v13, 8, v13
	s_wait_loadcnt_dscnt 0x0
	v_pk_mul_f32 v[120:121], v[118:119], v[116:117] op_sel:[1,1] op_sel_hi:[0,1]
	s_delay_alu instid0(VALU_DEP_1) | instskip(SKIP_2) | instid1(VALU_DEP_3)
	v_pk_fma_f32 v[122:123], v[118:119], v[116:117], v[120:121] op_sel_hi:[1,0,1]
	v_add_nc_u32_e32 v9, 1, v9
	v_pk_fma_f32 v[116:117], v[118:119], v[116:117], v[120:121] neg_lo:[0,0,1] neg_hi:[0,0,1]
	v_mov_b32_e32 v117, v123
	s_delay_alu instid0(VALU_DEP_3) | instskip(NEXT) | instid1(VALU_DEP_2)
	v_cmp_lt_u32_e32 vcc_lo, 20, v9
	v_pk_add_f32 v[114:115], v[114:115], v[116:117]
	s_or_b32 s1, vcc_lo, s1
	s_delay_alu instid0(SALU_CYCLE_1)
	s_and_not1_b32 exec_lo, exec_lo, s1
	s_cbranch_execnz .LBB118_101
; %bb.102:
	s_or_b32 exec_lo, exec_lo, s1
	v_mov_b32_e32 v9, 0
	ds_load_b64 v[116:117], v9 offset:176
	s_wait_dscnt 0x0
	v_pk_mul_f32 v[118:119], v[114:115], v[116:117] op_sel:[1,1] op_sel_hi:[0,1]
	s_delay_alu instid0(VALU_DEP_1) | instskip(SKIP_1) | instid1(VALU_DEP_2)
	v_pk_fma_f32 v[120:121], v[114:115], v[116:117], v[118:119] op_sel_hi:[1,0,1]
	v_pk_fma_f32 v[114:115], v[114:115], v[116:117], v[118:119] neg_lo:[0,0,1] neg_hi:[0,0,1]
	v_mov_b32_e32 v115, v121
	scratch_store_b64 off, v[114:115], off offset:176
.LBB118_103:
	s_wait_xcnt 0x0
	s_or_b32 exec_lo, exec_lo, s0
	s_wait_storecnt 0x0
	s_barrier_signal -1
	s_barrier_wait -1
	scratch_load_b64 v[114:115], off, off offset:184
	s_mov_b32 s0, exec_lo
	s_wait_loadcnt 0x0
	ds_store_b64 v1, v[114:115]
	s_wait_dscnt 0x0
	s_barrier_signal -1
	s_barrier_wait -1
	v_cmpx_gt_u32_e32 23, v0
	s_cbranch_execz .LBB118_107
; %bb.104:
	v_dual_mov_b32 v114, 0 :: v_dual_add_nc_u32 v9, -1, v0
	v_add_nc_u32_e32 v11, 0x1c0, v112
	v_mov_b32_e32 v13, v112
	s_mov_b32 s1, 0
	s_delay_alu instid0(VALU_DEP_3)
	v_mov_b32_e32 v115, v114
.LBB118_105:                            ; =>This Inner Loop Header: Depth=1
	scratch_load_b64 v[116:117], v13, off
	ds_load_b64 v[118:119], v11
	s_wait_xcnt 0x0
	v_dual_add_nc_u32 v11, 8, v11 :: v_dual_add_nc_u32 v13, 8, v13
	s_wait_loadcnt_dscnt 0x0
	v_pk_mul_f32 v[120:121], v[118:119], v[116:117] op_sel:[1,1] op_sel_hi:[0,1]
	s_delay_alu instid0(VALU_DEP_1) | instskip(SKIP_2) | instid1(VALU_DEP_3)
	v_pk_fma_f32 v[122:123], v[118:119], v[116:117], v[120:121] op_sel_hi:[1,0,1]
	v_add_nc_u32_e32 v9, 1, v9
	v_pk_fma_f32 v[116:117], v[118:119], v[116:117], v[120:121] neg_lo:[0,0,1] neg_hi:[0,0,1]
	v_mov_b32_e32 v117, v123
	s_delay_alu instid0(VALU_DEP_3) | instskip(NEXT) | instid1(VALU_DEP_2)
	v_cmp_lt_u32_e32 vcc_lo, 21, v9
	v_pk_add_f32 v[114:115], v[114:115], v[116:117]
	s_or_b32 s1, vcc_lo, s1
	s_delay_alu instid0(SALU_CYCLE_1)
	s_and_not1_b32 exec_lo, exec_lo, s1
	s_cbranch_execnz .LBB118_105
; %bb.106:
	s_or_b32 exec_lo, exec_lo, s1
	v_mov_b32_e32 v9, 0
	ds_load_b64 v[116:117], v9 offset:184
	s_wait_dscnt 0x0
	v_pk_mul_f32 v[118:119], v[114:115], v[116:117] op_sel:[1,1] op_sel_hi:[0,1]
	s_delay_alu instid0(VALU_DEP_1) | instskip(SKIP_1) | instid1(VALU_DEP_2)
	v_pk_fma_f32 v[120:121], v[114:115], v[116:117], v[118:119] op_sel_hi:[1,0,1]
	v_pk_fma_f32 v[114:115], v[114:115], v[116:117], v[118:119] neg_lo:[0,0,1] neg_hi:[0,0,1]
	v_mov_b32_e32 v115, v121
	scratch_store_b64 off, v[114:115], off offset:184
.LBB118_107:
	s_wait_xcnt 0x0
	s_or_b32 exec_lo, exec_lo, s0
	s_wait_storecnt 0x0
	s_barrier_signal -1
	s_barrier_wait -1
	scratch_load_b64 v[114:115], off, off offset:192
	;; [unrolled: 52-line block ×32, first 2 shown]
	s_mov_b32 s0, exec_lo
	s_wait_loadcnt 0x0
	ds_store_b64 v1, v[114:115]
	s_wait_dscnt 0x0
	s_barrier_signal -1
	s_barrier_wait -1
	v_cmpx_ne_u32_e32 54, v0
	s_cbranch_execz .LBB118_231
; %bb.228:
	v_dual_mov_b32 v114, 0 :: v_dual_mov_b32 v9, v112
	s_mov_b32 s1, 0
	s_delay_alu instid0(VALU_DEP_1)
	v_mov_b32_e32 v115, v114
.LBB118_229:                            ; =>This Inner Loop Header: Depth=1
	scratch_load_b64 v[112:113], v9, off
	ds_load_b64 v[116:117], v1
	v_add_nc_u32_e32 v1, 8, v1
	s_wait_xcnt 0x0
	v_add_nc_u32_e32 v9, 8, v9
	s_wait_loadcnt_dscnt 0x0
	v_pk_mul_f32 v[118:119], v[116:117], v[112:113] op_sel:[1,1] op_sel_hi:[0,1]
	s_delay_alu instid0(VALU_DEP_1) | instskip(SKIP_2) | instid1(VALU_DEP_3)
	v_pk_fma_f32 v[120:121], v[116:117], v[112:113], v[118:119] op_sel_hi:[1,0,1]
	v_add_nc_u32_e32 v7, 1, v7
	v_pk_fma_f32 v[112:113], v[116:117], v[112:113], v[118:119] neg_lo:[0,0,1] neg_hi:[0,0,1]
	v_mov_b32_e32 v113, v121
	s_delay_alu instid0(VALU_DEP_3) | instskip(NEXT) | instid1(VALU_DEP_2)
	v_cmp_lt_u32_e32 vcc_lo, 52, v7
	v_pk_add_f32 v[114:115], v[114:115], v[112:113]
	s_or_b32 s1, vcc_lo, s1
	s_delay_alu instid0(SALU_CYCLE_1)
	s_and_not1_b32 exec_lo, exec_lo, s1
	s_cbranch_execnz .LBB118_229
; %bb.230:
	s_or_b32 exec_lo, exec_lo, s1
	v_mov_b32_e32 v1, 0
	ds_load_b64 v[112:113], v1 offset:432
	s_wait_dscnt 0x0
	v_pk_mul_f32 v[116:117], v[114:115], v[112:113] op_sel:[1,1] op_sel_hi:[0,1]
	s_delay_alu instid0(VALU_DEP_1) | instskip(SKIP_1) | instid1(VALU_DEP_2)
	v_pk_fma_f32 v[118:119], v[114:115], v[112:113], v[116:117] op_sel_hi:[1,0,1]
	v_pk_fma_f32 v[112:113], v[114:115], v[112:113], v[116:117] neg_lo:[0,0,1] neg_hi:[0,0,1]
	v_mov_b32_e32 v113, v119
	scratch_store_b64 off, v[112:113], off offset:432
.LBB118_231:
	s_wait_xcnt 0x0
	s_or_b32 exec_lo, exec_lo, s0
	s_mov_b32 s1, -1
	s_wait_storecnt 0x0
	s_barrier_signal -1
	s_barrier_wait -1
.LBB118_232:
	s_and_b32 vcc_lo, exec_lo, s1
	s_cbranch_vccz .LBB118_234
; %bb.233:
	v_mov_b32_e32 v1, 0
	s_lshl_b64 s[0:1], s[10:11], 2
	s_delay_alu instid0(SALU_CYCLE_1)
	s_add_nc_u64 s[0:1], s[6:7], s[0:1]
	global_load_b32 v1, v1, s[0:1]
	s_wait_loadcnt 0x0
	v_cmp_ne_u32_e32 vcc_lo, 0, v1
	s_cbranch_vccz .LBB118_235
.LBB118_234:
	s_sendmsg sendmsg(MSG_DEALLOC_VGPRS)
	s_endpgm
.LBB118_235:
	s_wait_xcnt 0x0
	v_lshl_add_u32 v1, v0, 3, 0x1c0
	s_mov_b32 s0, exec_lo
	v_cmpx_eq_u32_e32 54, v0
	s_cbranch_execz .LBB118_237
; %bb.236:
	scratch_load_b64 v[112:113], off, off offset:424
	v_mov_b64_e32 v[114:115], 0
	scratch_store_b64 off, v[114:115], off offset:424
	s_wait_loadcnt 0x0
	ds_store_b64 v1, v[112:113]
.LBB118_237:
	s_wait_xcnt 0x0
	s_or_b32 exec_lo, exec_lo, s0
	s_wait_storecnt_dscnt 0x0
	s_barrier_signal -1
	s_barrier_wait -1
	s_clause 0x1
	scratch_load_b64 v[112:113], off, off offset:432
	scratch_load_b64 v[114:115], off, off offset:424
	v_mov_b32_e32 v7, 0
	s_mov_b32 s0, exec_lo
	ds_load_b64 v[116:117], v7 offset:880
	s_wait_loadcnt_dscnt 0x100
	v_pk_mul_f32 v[118:119], v[116:117], v[112:113] op_sel:[1,1] op_sel_hi:[0,1]
	s_delay_alu instid0(VALU_DEP_1) | instskip(SKIP_1) | instid1(VALU_DEP_2)
	v_pk_fma_f32 v[120:121], v[116:117], v[112:113], v[118:119] op_sel_hi:[1,0,1]
	v_pk_fma_f32 v[112:113], v[116:117], v[112:113], v[118:119] neg_lo:[0,0,1] neg_hi:[0,0,1]
	v_mov_b32_e32 v113, v121
	s_delay_alu instid0(VALU_DEP_1) | instskip(SKIP_1) | instid1(VALU_DEP_1)
	v_pk_add_f32 v[112:113], v[112:113], 0 op_sel_hi:[1,0]
	s_wait_loadcnt 0x0
	v_pk_add_f32 v[112:113], v[114:115], v[112:113] neg_lo:[0,1] neg_hi:[0,1]
	scratch_store_b64 off, v[112:113], off offset:424
	s_wait_xcnt 0x0
	v_cmpx_lt_u32_e32 52, v0
	s_cbranch_execz .LBB118_239
; %bb.238:
	scratch_load_b64 v[112:113], off, off offset:416
	v_mov_b64_e32 v[114:115], 0
	scratch_store_b64 off, v[114:115], off offset:416
	s_wait_loadcnt 0x0
	ds_store_b64 v1, v[112:113]
.LBB118_239:
	s_wait_xcnt 0x0
	s_or_b32 exec_lo, exec_lo, s0
	s_wait_storecnt_dscnt 0x0
	s_barrier_signal -1
	s_barrier_wait -1
	s_clause 0x1
	scratch_load_b128 v[112:115], off, off offset:424
	scratch_load_b64 v[120:121], off, off offset:416
	ds_load_2addr_b64 v[116:119], v7 offset0:109 offset1:110
	s_mov_b32 s0, exec_lo
	s_wait_dscnt 0x0
	v_dual_mov_b32 v122, v119 :: v_dual_mov_b32 v123, v118
	s_wait_loadcnt 0x1
	v_pk_mul_f32 v[124:125], v[116:117], v[112:113] op_sel:[1,1] op_sel_hi:[0,1]
	s_delay_alu instid0(VALU_DEP_1) | instskip(SKIP_2) | instid1(VALU_DEP_3)
	v_pk_fma_f32 v[128:129], v[116:117], v[112:113], v[124:125] op_sel_hi:[1,0,1]
	v_mov_b32_e32 v126, v115
	v_pk_fma_f32 v[112:113], v[116:117], v[112:113], v[124:125] neg_lo:[0,0,1] neg_hi:[0,0,1]
	v_mov_b32_e32 v113, v129
	s_delay_alu instid0(VALU_DEP_3) | instskip(NEXT) | instid1(VALU_DEP_2)
	v_pk_mul_f32 v[122:123], v[122:123], v[126:127] op_sel_hi:[1,0]
	v_pk_add_f32 v[112:113], v[112:113], 0 op_sel_hi:[1,0]
	s_delay_alu instid0(VALU_DEP_2) | instskip(SKIP_1) | instid1(VALU_DEP_2)
	v_pk_fma_f32 v[116:117], v[118:119], v[114:115], v[122:123] op_sel_hi:[1,0,1]
	v_pk_fma_f32 v[114:115], v[118:119], v[114:115], v[122:123] neg_lo:[0,0,1] neg_hi:[0,0,1]
	v_mov_b32_e32 v115, v117
	s_delay_alu instid0(VALU_DEP_1) | instskip(SKIP_1) | instid1(VALU_DEP_1)
	v_pk_add_f32 v[112:113], v[112:113], v[114:115]
	s_wait_loadcnt 0x0
	v_pk_add_f32 v[112:113], v[120:121], v[112:113] neg_lo:[0,1] neg_hi:[0,1]
	scratch_store_b64 off, v[112:113], off offset:416
	s_wait_xcnt 0x0
	v_cmpx_lt_u32_e32 51, v0
	s_cbranch_execz .LBB118_241
; %bb.240:
	scratch_load_b64 v[112:113], off, off offset:408
	v_mov_b64_e32 v[114:115], 0
	scratch_store_b64 off, v[114:115], off offset:408
	s_wait_loadcnt 0x0
	ds_store_b64 v1, v[112:113]
.LBB118_241:
	s_wait_xcnt 0x0
	s_or_b32 exec_lo, exec_lo, s0
	s_wait_storecnt_dscnt 0x0
	s_barrier_signal -1
	s_barrier_wait -1
	s_clause 0x2
	scratch_load_b128 v[112:115], off, off offset:416
	scratch_load_b64 v[120:121], off, off offset:432
	scratch_load_b64 v[122:123], off, off offset:408
	v_mov_b32_e32 v7, 0
	ds_load_b128 v[116:119], v7 offset:864
	ds_load_b64 v[124:125], v7 offset:880
	s_mov_b32 s0, exec_lo
	s_wait_dscnt 0x1
	v_dual_mov_b32 v126, v119 :: v_dual_mov_b32 v127, v118
	s_wait_loadcnt 0x2
	v_mov_b32_e32 v130, v115
	v_pk_mul_f32 v[128:129], v[116:117], v[112:113] op_sel:[1,1] op_sel_hi:[0,1]
	s_delay_alu instid0(VALU_DEP_2) | instskip(NEXT) | instid1(VALU_DEP_2)
	v_pk_mul_f32 v[126:127], v[126:127], v[130:131] op_sel_hi:[1,0]
	v_pk_fma_f32 v[132:133], v[116:117], v[112:113], v[128:129] op_sel_hi:[1,0,1]
	v_pk_fma_f32 v[112:113], v[116:117], v[112:113], v[128:129] neg_lo:[0,0,1] neg_hi:[0,0,1]
	s_wait_loadcnt_dscnt 0x100
	v_pk_mul_f32 v[128:129], v[124:125], v[120:121] op_sel:[1,1] op_sel_hi:[0,1]
	v_pk_fma_f32 v[116:117], v[118:119], v[114:115], v[126:127] op_sel_hi:[1,0,1]
	v_mov_b32_e32 v113, v133
	v_pk_fma_f32 v[114:115], v[118:119], v[114:115], v[126:127] neg_lo:[0,0,1] neg_hi:[0,0,1]
	s_delay_alu instid0(VALU_DEP_4) | instskip(NEXT) | instid1(VALU_DEP_4)
	v_pk_fma_f32 v[118:119], v[124:125], v[120:121], v[128:129] neg_lo:[0,0,1] neg_hi:[0,0,1]
	v_mov_b32_e32 v115, v117
	s_delay_alu instid0(VALU_DEP_4) | instskip(SKIP_1) | instid1(VALU_DEP_2)
	v_pk_add_f32 v[112:113], v[112:113], 0 op_sel_hi:[1,0]
	v_pk_fma_f32 v[116:117], v[124:125], v[120:121], v[128:129] op_sel_hi:[1,0,1]
	v_pk_add_f32 v[112:113], v[112:113], v[114:115]
	s_delay_alu instid0(VALU_DEP_2) | instskip(NEXT) | instid1(VALU_DEP_1)
	v_mov_b32_e32 v119, v117
	v_pk_add_f32 v[112:113], v[112:113], v[118:119]
	s_wait_loadcnt 0x0
	s_delay_alu instid0(VALU_DEP_1)
	v_pk_add_f32 v[112:113], v[122:123], v[112:113] neg_lo:[0,1] neg_hi:[0,1]
	scratch_store_b64 off, v[112:113], off offset:408
	s_wait_xcnt 0x0
	v_cmpx_lt_u32_e32 50, v0
	s_cbranch_execz .LBB118_243
; %bb.242:
	scratch_load_b64 v[112:113], off, off offset:400
	v_mov_b64_e32 v[114:115], 0
	scratch_store_b64 off, v[114:115], off offset:400
	s_wait_loadcnt 0x0
	ds_store_b64 v1, v[112:113]
.LBB118_243:
	s_wait_xcnt 0x0
	s_or_b32 exec_lo, exec_lo, s0
	s_wait_storecnt_dscnt 0x0
	s_barrier_signal -1
	s_barrier_wait -1
	s_clause 0x2
	scratch_load_b128 v[112:115], off, off offset:408
	scratch_load_b128 v[116:119], off, off offset:424
	scratch_load_b64 v[128:129], off, off offset:400
	ds_load_2addr_b64 v[120:123], v7 offset0:107 offset1:108
	ds_load_2addr_b64 v[124:127], v7 offset0:109 offset1:110
	s_mov_b32 s0, exec_lo
	s_wait_dscnt 0x1
	v_dual_mov_b32 v130, v123 :: v_dual_mov_b32 v131, v122
	s_wait_loadcnt_dscnt 0x200
	v_dual_mov_b32 v136, v127 :: v_dual_mov_b32 v134, v115
	v_pk_mul_f32 v[132:133], v[120:121], v[112:113] op_sel:[1,1] op_sel_hi:[0,1]
	s_delay_alu instid0(VALU_DEP_2) | instskip(NEXT) | instid1(VALU_DEP_2)
	v_pk_mul_f32 v[130:131], v[130:131], v[134:135] op_sel_hi:[1,0]
	v_pk_fma_f32 v[138:139], v[120:121], v[112:113], v[132:133] op_sel_hi:[1,0,1]
	v_pk_fma_f32 v[112:113], v[120:121], v[112:113], v[132:133] neg_lo:[0,0,1] neg_hi:[0,0,1]
	v_mov_b32_e32 v137, v126
	s_wait_loadcnt 0x1
	v_pk_mul_f32 v[134:135], v[124:125], v[116:117] op_sel:[1,1] op_sel_hi:[0,1]
	v_pk_fma_f32 v[120:121], v[122:123], v[114:115], v[130:131] op_sel_hi:[1,0,1]
	v_dual_mov_b32 v113, v139 :: v_dual_mov_b32 v120, v119
	v_pk_fma_f32 v[114:115], v[122:123], v[114:115], v[130:131] neg_lo:[0,0,1] neg_hi:[0,0,1]
	s_delay_alu instid0(VALU_DEP_4) | instskip(NEXT) | instid1(VALU_DEP_4)
	v_pk_fma_f32 v[132:133], v[124:125], v[116:117], v[134:135] op_sel_hi:[1,0,1]
	v_mov_b32_e32 v115, v121
	s_delay_alu instid0(VALU_DEP_4) | instskip(SKIP_2) | instid1(VALU_DEP_3)
	v_pk_add_f32 v[112:113], v[112:113], 0 op_sel_hi:[1,0]
	v_pk_mul_f32 v[120:121], v[136:137], v[120:121] op_sel_hi:[1,0]
	v_pk_fma_f32 v[116:117], v[124:125], v[116:117], v[134:135] neg_lo:[0,0,1] neg_hi:[0,0,1]
	v_pk_add_f32 v[112:113], v[112:113], v[114:115]
	s_delay_alu instid0(VALU_DEP_3) | instskip(SKIP_2) | instid1(VALU_DEP_3)
	v_pk_fma_f32 v[114:115], v[126:127], v[118:119], v[120:121] op_sel_hi:[1,0,1]
	v_mov_b32_e32 v117, v133
	v_pk_fma_f32 v[118:119], v[126:127], v[118:119], v[120:121] neg_lo:[0,0,1] neg_hi:[0,0,1]
	v_mov_b32_e32 v119, v115
	s_delay_alu instid0(VALU_DEP_3) | instskip(NEXT) | instid1(VALU_DEP_1)
	v_pk_add_f32 v[112:113], v[112:113], v[116:117]
	v_pk_add_f32 v[112:113], v[112:113], v[118:119]
	s_wait_loadcnt 0x0
	s_delay_alu instid0(VALU_DEP_1)
	v_pk_add_f32 v[112:113], v[128:129], v[112:113] neg_lo:[0,1] neg_hi:[0,1]
	scratch_store_b64 off, v[112:113], off offset:400
	s_wait_xcnt 0x0
	v_cmpx_lt_u32_e32 49, v0
	s_cbranch_execz .LBB118_245
; %bb.244:
	scratch_load_b64 v[112:113], off, off offset:392
	v_mov_b64_e32 v[114:115], 0
	scratch_store_b64 off, v[114:115], off offset:392
	s_wait_loadcnt 0x0
	ds_store_b64 v1, v[112:113]
.LBB118_245:
	s_wait_xcnt 0x0
	s_or_b32 exec_lo, exec_lo, s0
	s_wait_storecnt_dscnt 0x0
	s_barrier_signal -1
	s_barrier_wait -1
	s_clause 0x3
	scratch_load_b128 v[112:115], off, off offset:400
	scratch_load_b128 v[116:119], off, off offset:416
	scratch_load_b64 v[128:129], off, off offset:432
	scratch_load_b64 v[130:131], off, off offset:392
	v_mov_b32_e32 v7, 0
	ds_load_b128 v[120:123], v7 offset:848
	ds_load_b128 v[124:127], v7 offset:864
	s_mov_b32 s0, exec_lo
	s_wait_dscnt 0x1
	v_dual_mov_b32 v132, v123 :: v_dual_mov_b32 v133, v122
	ds_load_b64 v[138:139], v7 offset:880
	s_wait_dscnt 0x1
	v_dual_mov_b32 v140, v127 :: v_dual_mov_b32 v141, v126
	s_wait_loadcnt 0x3
	v_pk_mul_f32 v[134:135], v[120:121], v[112:113] op_sel:[1,1] op_sel_hi:[0,1]
	v_mov_b32_e32 v136, v115
	s_delay_alu instid0(VALU_DEP_2) | instskip(NEXT) | instid1(VALU_DEP_2)
	v_pk_fma_f32 v[142:143], v[120:121], v[112:113], v[134:135] op_sel_hi:[1,0,1]
	v_pk_mul_f32 v[132:133], v[132:133], v[136:137] op_sel_hi:[1,0]
	v_pk_fma_f32 v[112:113], v[120:121], v[112:113], v[134:135] neg_lo:[0,0,1] neg_hi:[0,0,1]
	s_wait_loadcnt 0x2
	v_pk_mul_f32 v[136:137], v[124:125], v[116:117] op_sel:[1,1] op_sel_hi:[0,1]
	v_dual_mov_b32 v142, v119 :: v_dual_mov_b32 v113, v143
	v_pk_fma_f32 v[120:121], v[122:123], v[114:115], v[132:133] op_sel_hi:[1,0,1]
	v_pk_fma_f32 v[114:115], v[122:123], v[114:115], v[132:133] neg_lo:[0,0,1] neg_hi:[0,0,1]
	s_delay_alu instid0(VALU_DEP_4) | instskip(NEXT) | instid1(VALU_DEP_4)
	v_pk_fma_f32 v[134:135], v[124:125], v[116:117], v[136:137] op_sel_hi:[1,0,1]
	v_pk_mul_f32 v[140:141], v[140:141], v[142:143] op_sel_hi:[1,0]
	v_pk_add_f32 v[112:113], v[112:113], 0 op_sel_hi:[1,0]
	v_mov_b32_e32 v115, v121
	v_pk_fma_f32 v[116:117], v[124:125], v[116:117], v[136:137] neg_lo:[0,0,1] neg_hi:[0,0,1]
	v_mov_b32_e32 v117, v135
	v_pk_fma_f32 v[120:121], v[126:127], v[118:119], v[140:141] op_sel_hi:[1,0,1]
	v_pk_fma_f32 v[118:119], v[126:127], v[118:119], v[140:141] neg_lo:[0,0,1] neg_hi:[0,0,1]
	v_pk_add_f32 v[112:113], v[112:113], v[114:115]
	s_wait_loadcnt_dscnt 0x100
	v_pk_mul_f32 v[114:115], v[138:139], v[128:129] op_sel:[1,1] op_sel_hi:[0,1]
	s_delay_alu instid0(VALU_DEP_2) | instskip(NEXT) | instid1(VALU_DEP_2)
	v_pk_add_f32 v[112:113], v[112:113], v[116:117]
	v_pk_fma_f32 v[116:117], v[138:139], v[128:129], v[114:115] op_sel_hi:[1,0,1]
	v_mov_b32_e32 v119, v121
	v_pk_fma_f32 v[114:115], v[138:139], v[128:129], v[114:115] neg_lo:[0,0,1] neg_hi:[0,0,1]
	s_delay_alu instid0(VALU_DEP_3) | instskip(NEXT) | instid1(VALU_DEP_3)
	v_mov_b32_e32 v115, v117
	v_pk_add_f32 v[112:113], v[112:113], v[118:119]
	s_delay_alu instid0(VALU_DEP_1) | instskip(SKIP_1) | instid1(VALU_DEP_1)
	v_pk_add_f32 v[112:113], v[112:113], v[114:115]
	s_wait_loadcnt 0x0
	v_pk_add_f32 v[112:113], v[130:131], v[112:113] neg_lo:[0,1] neg_hi:[0,1]
	scratch_store_b64 off, v[112:113], off offset:392
	s_wait_xcnt 0x0
	v_cmpx_lt_u32_e32 48, v0
	s_cbranch_execz .LBB118_247
; %bb.246:
	scratch_load_b64 v[112:113], off, off offset:384
	v_mov_b64_e32 v[114:115], 0
	scratch_store_b64 off, v[114:115], off offset:384
	s_wait_loadcnt 0x0
	ds_store_b64 v1, v[112:113]
.LBB118_247:
	s_wait_xcnt 0x0
	s_or_b32 exec_lo, exec_lo, s0
	s_wait_storecnt_dscnt 0x0
	s_barrier_signal -1
	s_barrier_wait -1
	s_clause 0x3
	scratch_load_b128 v[112:115], off, off offset:392
	scratch_load_b128 v[116:119], off, off offset:408
	scratch_load_b128 v[120:123], off, off offset:424
	scratch_load_b64 v[136:137], off, off offset:384
	ds_load_2addr_b64 v[124:127], v7 offset0:105 offset1:106
	ds_load_2addr_b64 v[128:131], v7 offset0:107 offset1:108
	;; [unrolled: 1-line block ×3, first 2 shown]
	s_mov_b32 s0, exec_lo
	s_wait_dscnt 0x2
	v_dual_mov_b32 v138, v127 :: v_dual_mov_b32 v139, v126
	s_wait_dscnt 0x1
	v_dual_mov_b32 v140, v131 :: v_dual_mov_b32 v141, v130
	;; [unrolled: 2-line block ×3, first 2 shown]
	s_wait_loadcnt 0x3
	v_pk_mul_f32 v[142:143], v[124:125], v[112:113] op_sel:[1,1] op_sel_hi:[0,1]
	v_mov_b32_e32 v144, v115
	s_delay_alu instid0(VALU_DEP_2) | instskip(NEXT) | instid1(VALU_DEP_2)
	v_pk_fma_f32 v[148:149], v[124:125], v[112:113], v[142:143] op_sel_hi:[1,0,1]
	v_pk_mul_f32 v[138:139], v[138:139], v[144:145] op_sel_hi:[1,0]
	v_pk_fma_f32 v[112:113], v[124:125], v[112:113], v[142:143] neg_lo:[0,0,1] neg_hi:[0,0,1]
	s_wait_loadcnt 0x2
	v_pk_mul_f32 v[144:145], v[128:129], v[116:117] op_sel:[1,1] op_sel_hi:[0,1]
	v_mov_b32_e32 v148, v119
	v_pk_fma_f32 v[124:125], v[126:127], v[114:115], v[138:139] op_sel_hi:[1,0,1]
	v_mov_b32_e32 v113, v149
	v_pk_fma_f32 v[114:115], v[126:127], v[114:115], v[138:139] neg_lo:[0,0,1] neg_hi:[0,0,1]
	v_pk_fma_f32 v[142:143], v[128:129], v[116:117], v[144:145] op_sel_hi:[1,0,1]
	v_pk_mul_f32 v[140:141], v[140:141], v[148:149] op_sel_hi:[1,0]
	v_mov_b32_e32 v115, v125
	v_pk_add_f32 v[112:113], v[112:113], 0 op_sel_hi:[1,0]
	v_pk_fma_f32 v[116:117], v[128:129], v[116:117], v[144:145] neg_lo:[0,0,1] neg_hi:[0,0,1]
	s_wait_loadcnt 0x1
	v_pk_mul_f32 v[124:125], v[132:133], v[120:121] op_sel:[1,1] op_sel_hi:[0,1]
	v_mov_b32_e32 v117, v143
	v_pk_fma_f32 v[126:127], v[130:131], v[118:119], v[140:141] op_sel_hi:[1,0,1]
	v_pk_add_f32 v[112:113], v[112:113], v[114:115]
	v_mov_b32_e32 v114, v123
	v_pk_fma_f32 v[118:119], v[130:131], v[118:119], v[140:141] neg_lo:[0,0,1] neg_hi:[0,0,1]
	v_pk_fma_f32 v[128:129], v[132:133], v[120:121], v[124:125] op_sel_hi:[1,0,1]
	v_mov_b32_e32 v119, v127
	v_pk_add_f32 v[112:113], v[112:113], v[116:117]
	v_pk_mul_f32 v[114:115], v[146:147], v[114:115] op_sel_hi:[1,0]
	v_pk_fma_f32 v[116:117], v[132:133], v[120:121], v[124:125] neg_lo:[0,0,1] neg_hi:[0,0,1]
	v_mov_b32_e32 v117, v129
	s_delay_alu instid0(VALU_DEP_4) | instskip(NEXT) | instid1(VALU_DEP_4)
	v_pk_add_f32 v[112:113], v[112:113], v[118:119]
	v_pk_fma_f32 v[118:119], v[134:135], v[122:123], v[114:115] op_sel_hi:[1,0,1]
	v_pk_fma_f32 v[114:115], v[134:135], v[122:123], v[114:115] neg_lo:[0,0,1] neg_hi:[0,0,1]
	s_delay_alu instid0(VALU_DEP_3) | instskip(NEXT) | instid1(VALU_DEP_3)
	v_pk_add_f32 v[112:113], v[112:113], v[116:117]
	v_mov_b32_e32 v115, v119
	s_delay_alu instid0(VALU_DEP_1) | instskip(SKIP_1) | instid1(VALU_DEP_1)
	v_pk_add_f32 v[112:113], v[112:113], v[114:115]
	s_wait_loadcnt 0x0
	v_pk_add_f32 v[112:113], v[136:137], v[112:113] neg_lo:[0,1] neg_hi:[0,1]
	scratch_store_b64 off, v[112:113], off offset:384
	s_wait_xcnt 0x0
	v_cmpx_lt_u32_e32 47, v0
	s_cbranch_execz .LBB118_249
; %bb.248:
	scratch_load_b64 v[112:113], off, off offset:376
	v_mov_b64_e32 v[114:115], 0
	scratch_store_b64 off, v[114:115], off offset:376
	s_wait_loadcnt 0x0
	ds_store_b64 v1, v[112:113]
.LBB118_249:
	s_wait_xcnt 0x0
	s_or_b32 exec_lo, exec_lo, s0
	s_wait_storecnt_dscnt 0x0
	s_barrier_signal -1
	s_barrier_wait -1
	s_clause 0x4
	scratch_load_b128 v[112:115], off, off offset:384
	scratch_load_b128 v[116:119], off, off offset:400
	;; [unrolled: 1-line block ×3, first 2 shown]
	scratch_load_b64 v[136:137], off, off offset:432
	scratch_load_b64 v[138:139], off, off offset:376
	v_mov_b32_e32 v7, 0
	ds_load_b128 v[124:127], v7 offset:832
	ds_load_b128 v[128:131], v7 offset:848
	;; [unrolled: 1-line block ×3, first 2 shown]
	ds_load_b64 v[140:141], v7 offset:880
	s_mov_b32 s0, exec_lo
	s_wait_dscnt 0x3
	v_dual_mov_b32 v142, v127 :: v_dual_mov_b32 v143, v126
	s_wait_dscnt 0x2
	v_dual_mov_b32 v144, v131 :: v_dual_mov_b32 v145, v130
	;; [unrolled: 2-line block ×3, first 2 shown]
	s_wait_loadcnt 0x4
	v_pk_mul_f32 v[146:147], v[124:125], v[112:113] op_sel:[1,1] op_sel_hi:[0,1]
	v_mov_b32_e32 v148, v115
	s_wait_loadcnt 0x3
	v_pk_mul_f32 v[152:153], v[128:129], v[116:117] op_sel:[1,1] op_sel_hi:[0,1]
	s_wait_loadcnt 0x2
	v_pk_mul_f32 v[156:157], v[132:133], v[120:121] op_sel:[1,1] op_sel_hi:[0,1]
	v_pk_fma_f32 v[154:155], v[124:125], v[112:113], v[146:147] op_sel_hi:[1,0,1]
	v_pk_mul_f32 v[142:143], v[142:143], v[148:149] op_sel_hi:[1,0]
	v_pk_fma_f32 v[112:113], v[124:125], v[112:113], v[146:147] neg_lo:[0,0,1] neg_hi:[0,0,1]
	v_mov_b32_e32 v148, v119
	v_pk_fma_f32 v[146:147], v[128:129], v[116:117], v[152:153] op_sel_hi:[1,0,1]
	v_mov_b32_e32 v113, v155
	v_pk_fma_f32 v[124:125], v[126:127], v[114:115], v[142:143] op_sel_hi:[1,0,1]
	v_pk_fma_f32 v[114:115], v[126:127], v[114:115], v[142:143] neg_lo:[0,0,1] neg_hi:[0,0,1]
	v_pk_mul_f32 v[144:145], v[144:145], v[148:149] op_sel_hi:[1,0]
	v_pk_fma_f32 v[116:117], v[128:129], v[116:117], v[152:153] neg_lo:[0,0,1] neg_hi:[0,0,1]
	v_pk_add_f32 v[112:113], v[112:113], 0 op_sel_hi:[1,0]
	v_dual_mov_b32 v115, v125 :: v_dual_mov_b32 v124, v123
	s_delay_alu instid0(VALU_DEP_4) | instskip(SKIP_2) | instid1(VALU_DEP_4)
	v_pk_fma_f32 v[126:127], v[130:131], v[118:119], v[144:145] op_sel_hi:[1,0,1]
	v_mov_b32_e32 v117, v147
	v_pk_fma_f32 v[118:119], v[130:131], v[118:119], v[144:145] neg_lo:[0,0,1] neg_hi:[0,0,1]
	v_pk_add_f32 v[112:113], v[112:113], v[114:115]
	v_pk_fma_f32 v[114:115], v[132:133], v[120:121], v[156:157] op_sel_hi:[1,0,1]
	v_pk_mul_f32 v[124:125], v[150:151], v[124:125] op_sel_hi:[1,0]
	v_mov_b32_e32 v119, v127
	s_delay_alu instid0(VALU_DEP_4)
	v_pk_add_f32 v[112:113], v[112:113], v[116:117]
	v_pk_fma_f32 v[116:117], v[132:133], v[120:121], v[156:157] neg_lo:[0,0,1] neg_hi:[0,0,1]
	v_mov_b32_e32 v117, v115
	v_pk_fma_f32 v[114:115], v[134:135], v[122:123], v[124:125] op_sel_hi:[1,0,1]
	v_pk_fma_f32 v[120:121], v[134:135], v[122:123], v[124:125] neg_lo:[0,0,1] neg_hi:[0,0,1]
	v_pk_add_f32 v[112:113], v[112:113], v[118:119]
	s_wait_loadcnt_dscnt 0x100
	v_pk_mul_f32 v[118:119], v[140:141], v[136:137] op_sel:[1,1] op_sel_hi:[0,1]
	v_mov_b32_e32 v121, v115
	s_delay_alu instid0(VALU_DEP_3) | instskip(NEXT) | instid1(VALU_DEP_3)
	v_pk_add_f32 v[112:113], v[112:113], v[116:117]
	v_pk_fma_f32 v[114:115], v[140:141], v[136:137], v[118:119] op_sel_hi:[1,0,1]
	v_pk_fma_f32 v[116:117], v[140:141], v[136:137], v[118:119] neg_lo:[0,0,1] neg_hi:[0,0,1]
	s_delay_alu instid0(VALU_DEP_3) | instskip(NEXT) | instid1(VALU_DEP_3)
	v_pk_add_f32 v[112:113], v[112:113], v[120:121]
	v_mov_b32_e32 v117, v115
	s_delay_alu instid0(VALU_DEP_1) | instskip(SKIP_1) | instid1(VALU_DEP_1)
	v_pk_add_f32 v[112:113], v[112:113], v[116:117]
	s_wait_loadcnt 0x0
	v_pk_add_f32 v[112:113], v[138:139], v[112:113] neg_lo:[0,1] neg_hi:[0,1]
	scratch_store_b64 off, v[112:113], off offset:376
	s_wait_xcnt 0x0
	v_cmpx_lt_u32_e32 46, v0
	s_cbranch_execz .LBB118_251
; %bb.250:
	scratch_load_b64 v[112:113], off, off offset:368
	v_mov_b64_e32 v[114:115], 0
	scratch_store_b64 off, v[114:115], off offset:368
	s_wait_loadcnt 0x0
	ds_store_b64 v1, v[112:113]
.LBB118_251:
	s_wait_xcnt 0x0
	s_or_b32 exec_lo, exec_lo, s0
	s_wait_storecnt_dscnt 0x0
	s_barrier_signal -1
	s_barrier_wait -1
	s_clause 0x4
	scratch_load_b128 v[112:115], off, off offset:376
	scratch_load_b128 v[116:119], off, off offset:392
	;; [unrolled: 1-line block ×4, first 2 shown]
	scratch_load_b64 v[144:145], off, off offset:368
	ds_load_2addr_b64 v[128:131], v7 offset0:103 offset1:104
	ds_load_2addr_b64 v[132:135], v7 offset0:105 offset1:106
	ds_load_2addr_b64 v[136:139], v7 offset0:107 offset1:108
	ds_load_2addr_b64 v[140:143], v7 offset0:109 offset1:110
	s_mov_b32 s0, exec_lo
	s_wait_dscnt 0x3
	v_dual_mov_b32 v146, v131 :: v_dual_mov_b32 v147, v130
	s_wait_dscnt 0x2
	v_dual_mov_b32 v148, v135 :: v_dual_mov_b32 v149, v134
	;; [unrolled: 2-line block ×3, first 2 shown]
	v_dual_mov_b32 v151, v138 :: v_dual_mov_b32 v156, v143
	s_wait_loadcnt 0x4
	v_mov_b32_e32 v154, v115
	v_pk_mul_f32 v[152:153], v[128:129], v[112:113] op_sel:[1,1] op_sel_hi:[0,1]
	s_wait_loadcnt 0x3
	v_pk_mul_f32 v[158:159], v[132:133], v[116:117] op_sel:[1,1] op_sel_hi:[0,1]
	s_wait_loadcnt 0x2
	v_pk_mul_f32 v[162:163], v[136:137], v[120:121] op_sel:[1,1] op_sel_hi:[0,1]
	v_pk_mul_f32 v[146:147], v[146:147], v[154:155] op_sel_hi:[1,0]
	v_pk_fma_f32 v[160:161], v[128:129], v[112:113], v[152:153] op_sel_hi:[1,0,1]
	v_pk_fma_f32 v[112:113], v[128:129], v[112:113], v[152:153] neg_lo:[0,0,1] neg_hi:[0,0,1]
	v_mov_b32_e32 v154, v119
	v_pk_fma_f32 v[152:153], v[132:133], v[116:117], v[158:159] op_sel_hi:[1,0,1]
	v_pk_fma_f32 v[128:129], v[130:131], v[114:115], v[146:147] op_sel_hi:[1,0,1]
	v_mov_b32_e32 v113, v161
	v_pk_fma_f32 v[114:115], v[130:131], v[114:115], v[146:147] neg_lo:[0,0,1] neg_hi:[0,0,1]
	v_pk_mul_f32 v[148:149], v[148:149], v[154:155] op_sel_hi:[1,0]
	s_delay_alu instid0(VALU_DEP_4) | instskip(NEXT) | instid1(VALU_DEP_4)
	v_dual_mov_b32 v128, v123 :: v_dual_mov_b32 v115, v129
	v_pk_add_f32 v[112:113], v[112:113], 0 op_sel_hi:[1,0]
	v_pk_fma_f32 v[116:117], v[132:133], v[116:117], v[158:159] neg_lo:[0,0,1] neg_hi:[0,0,1]
	v_mov_b32_e32 v117, v153
	v_pk_fma_f32 v[130:131], v[134:135], v[118:119], v[148:149] op_sel_hi:[1,0,1]
	v_pk_mul_f32 v[128:129], v[150:151], v[128:129] op_sel_hi:[1,0]
	v_pk_add_f32 v[112:113], v[112:113], v[114:115]
	v_pk_fma_f32 v[114:115], v[136:137], v[120:121], v[162:163] op_sel_hi:[1,0,1]
	v_pk_fma_f32 v[118:119], v[134:135], v[118:119], v[148:149] neg_lo:[0,0,1] neg_hi:[0,0,1]
	v_mov_b32_e32 v119, v131
	v_pk_fma_f32 v[120:121], v[136:137], v[120:121], v[162:163] neg_lo:[0,0,1] neg_hi:[0,0,1]
	v_pk_add_f32 v[112:113], v[112:113], v[116:117]
	v_mov_b32_e32 v121, v115
	v_pk_fma_f32 v[114:115], v[138:139], v[122:123], v[128:129] op_sel_hi:[1,0,1]
	s_wait_loadcnt 0x1
	v_pk_mul_f32 v[116:117], v[140:141], v[124:125] op_sel:[1,1] op_sel_hi:[0,1]
	v_mov_b32_e32 v114, v127
	v_pk_add_f32 v[112:113], v[112:113], v[118:119]
	v_pk_fma_f32 v[122:123], v[138:139], v[122:123], v[128:129] neg_lo:[0,0,1] neg_hi:[0,0,1]
	v_mov_b32_e32 v123, v115
	v_pk_fma_f32 v[118:119], v[140:141], v[124:125], v[116:117] op_sel_hi:[1,0,1]
	v_pk_mul_f32 v[114:115], v[156:157], v[114:115] op_sel_hi:[1,0]
	v_pk_add_f32 v[112:113], v[112:113], v[120:121]
	v_pk_fma_f32 v[116:117], v[140:141], v[124:125], v[116:117] neg_lo:[0,0,1] neg_hi:[0,0,1]
	s_delay_alu instid0(VALU_DEP_4) | instskip(NEXT) | instid1(VALU_DEP_4)
	v_mov_b32_e32 v117, v119
	v_pk_fma_f32 v[118:119], v[142:143], v[126:127], v[114:115] op_sel_hi:[1,0,1]
	s_delay_alu instid0(VALU_DEP_4) | instskip(SKIP_1) | instid1(VALU_DEP_3)
	v_pk_add_f32 v[112:113], v[112:113], v[122:123]
	v_pk_fma_f32 v[114:115], v[142:143], v[126:127], v[114:115] neg_lo:[0,0,1] neg_hi:[0,0,1]
	v_mov_b32_e32 v115, v119
	s_delay_alu instid0(VALU_DEP_3) | instskip(NEXT) | instid1(VALU_DEP_1)
	v_pk_add_f32 v[112:113], v[112:113], v[116:117]
	v_pk_add_f32 v[112:113], v[112:113], v[114:115]
	s_wait_loadcnt 0x0
	s_delay_alu instid0(VALU_DEP_1)
	v_pk_add_f32 v[112:113], v[144:145], v[112:113] neg_lo:[0,1] neg_hi:[0,1]
	scratch_store_b64 off, v[112:113], off offset:368
	s_wait_xcnt 0x0
	v_cmpx_lt_u32_e32 45, v0
	s_cbranch_execz .LBB118_253
; %bb.252:
	scratch_load_b64 v[112:113], off, off offset:360
	v_mov_b64_e32 v[114:115], 0
	scratch_store_b64 off, v[114:115], off offset:360
	s_wait_loadcnt 0x0
	ds_store_b64 v1, v[112:113]
.LBB118_253:
	s_wait_xcnt 0x0
	s_or_b32 exec_lo, exec_lo, s0
	s_wait_storecnt_dscnt 0x0
	s_barrier_signal -1
	s_barrier_wait -1
	s_clause 0x5
	scratch_load_b128 v[112:115], off, off offset:368
	scratch_load_b128 v[116:119], off, off offset:384
	scratch_load_b128 v[120:123], off, off offset:400
	scratch_load_b128 v[124:127], off, off offset:416
	scratch_load_b64 v[144:145], off, off offset:432
	scratch_load_b64 v[146:147], off, off offset:360
	v_mov_b32_e32 v7, 0
	ds_load_b128 v[128:131], v7 offset:816
	ds_load_b128 v[132:135], v7 offset:832
	;; [unrolled: 1-line block ×4, first 2 shown]
	ds_load_b64 v[148:149], v7 offset:880
	s_mov_b32 s0, exec_lo
	s_wait_dscnt 0x4
	v_dual_mov_b32 v150, v131 :: v_dual_mov_b32 v151, v130
	s_wait_dscnt 0x1
	v_dual_mov_b32 v152, v135 :: v_dual_mov_b32 v157, v142
	v_dual_mov_b32 v153, v134 :: v_dual_mov_b32 v154, v139
	v_dual_mov_b32 v155, v138 :: v_dual_mov_b32 v156, v143
	s_wait_loadcnt 0x5
	v_dual_mov_b32 v158, v115 :: v_dual_mul_f32 v159, v128, v113
	v_mul_f32_e32 v9, v129, v113
	s_wait_loadcnt 0x4
	v_pk_mul_f32 v[160:161], v[132:133], v[116:117] op_sel:[1,1] op_sel_hi:[0,1]
	v_mov_b32_e32 v162, v119
	s_wait_loadcnt 0x3
	v_pk_mul_f32 v[164:165], v[136:137], v[120:121] op_sel:[1,1] op_sel_hi:[0,1]
	v_pk_mul_f32 v[150:151], v[150:151], v[158:159] op_sel_hi:[1,0]
	v_dual_fmac_f32 v159, v129, v112 :: v_dual_fma_f32 v158, v128, v112, -v9
	v_mov_b32_e32 v112, v123
	v_pk_fma_f32 v[166:167], v[132:133], v[116:117], v[160:161] op_sel_hi:[1,0,1]
	s_delay_alu instid0(VALU_DEP_4)
	v_pk_fma_f32 v[128:129], v[130:131], v[114:115], v[150:151] op_sel_hi:[1,0,1]
	v_pk_fma_f32 v[114:115], v[130:131], v[114:115], v[150:151] neg_lo:[0,0,1] neg_hi:[0,0,1]
	v_pk_mul_f32 v[152:153], v[152:153], v[162:163] op_sel_hi:[1,0]
	v_pk_add_f32 v[158:159], v[158:159], 0 op_sel_hi:[1,0]
	v_pk_fma_f32 v[116:117], v[132:133], v[116:117], v[160:161] neg_lo:[0,0,1] neg_hi:[0,0,1]
	v_dual_mov_b32 v115, v129 :: v_dual_mov_b32 v117, v167
	s_delay_alu instid0(VALU_DEP_4) | instskip(SKIP_2) | instid1(VALU_DEP_4)
	v_pk_fma_f32 v[130:131], v[134:135], v[118:119], v[152:153] op_sel_hi:[1,0,1]
	v_pk_fma_f32 v[118:119], v[134:135], v[118:119], v[152:153] neg_lo:[0,0,1] neg_hi:[0,0,1]
	v_pk_fma_f32 v[132:133], v[136:137], v[120:121], v[164:165] op_sel_hi:[1,0,1]
	v_pk_add_f32 v[114:115], v[158:159], v[114:115]
	v_pk_mul_f32 v[112:113], v[154:155], v[112:113] op_sel_hi:[1,0]
	v_mov_b32_e32 v119, v131
	v_pk_fma_f32 v[120:121], v[136:137], v[120:121], v[164:165] neg_lo:[0,0,1] neg_hi:[0,0,1]
	s_wait_loadcnt 0x2
	v_pk_mul_f32 v[128:129], v[140:141], v[124:125] op_sel:[1,1] op_sel_hi:[0,1]
	v_pk_add_f32 v[114:115], v[114:115], v[116:117]
	v_mov_b32_e32 v116, v127
	v_pk_fma_f32 v[130:131], v[138:139], v[122:123], v[112:113] op_sel_hi:[1,0,1]
	v_mov_b32_e32 v121, v133
	v_pk_fma_f32 v[112:113], v[138:139], v[122:123], v[112:113] neg_lo:[0,0,1] neg_hi:[0,0,1]
	v_pk_add_f32 v[114:115], v[114:115], v[118:119]
	v_pk_fma_f32 v[118:119], v[140:141], v[124:125], v[128:129] op_sel_hi:[1,0,1]
	v_pk_mul_f32 v[116:117], v[156:157], v[116:117] op_sel_hi:[1,0]
	v_mov_b32_e32 v113, v131
	s_delay_alu instid0(VALU_DEP_4)
	v_pk_add_f32 v[114:115], v[114:115], v[120:121]
	v_pk_fma_f32 v[120:121], v[140:141], v[124:125], v[128:129] neg_lo:[0,0,1] neg_hi:[0,0,1]
	v_mov_b32_e32 v121, v119
	v_pk_fma_f32 v[118:119], v[142:143], v[126:127], v[116:117] op_sel_hi:[1,0,1]
	v_pk_fma_f32 v[116:117], v[142:143], v[126:127], v[116:117] neg_lo:[0,0,1] neg_hi:[0,0,1]
	v_pk_add_f32 v[112:113], v[114:115], v[112:113]
	s_wait_loadcnt_dscnt 0x100
	v_pk_mul_f32 v[114:115], v[148:149], v[144:145] op_sel:[1,1] op_sel_hi:[0,1]
	v_mov_b32_e32 v117, v119
	s_delay_alu instid0(VALU_DEP_3) | instskip(NEXT) | instid1(VALU_DEP_3)
	v_pk_add_f32 v[112:113], v[112:113], v[120:121]
	v_pk_fma_f32 v[118:119], v[148:149], v[144:145], v[114:115] op_sel_hi:[1,0,1]
	v_pk_fma_f32 v[114:115], v[148:149], v[144:145], v[114:115] neg_lo:[0,0,1] neg_hi:[0,0,1]
	s_delay_alu instid0(VALU_DEP_3) | instskip(NEXT) | instid1(VALU_DEP_3)
	v_pk_add_f32 v[112:113], v[112:113], v[116:117]
	v_mov_b32_e32 v115, v119
	s_delay_alu instid0(VALU_DEP_1) | instskip(SKIP_1) | instid1(VALU_DEP_1)
	v_pk_add_f32 v[112:113], v[112:113], v[114:115]
	s_wait_loadcnt 0x0
	v_pk_add_f32 v[112:113], v[146:147], v[112:113] neg_lo:[0,1] neg_hi:[0,1]
	scratch_store_b64 off, v[112:113], off offset:360
	s_wait_xcnt 0x0
	v_cmpx_lt_u32_e32 44, v0
	s_cbranch_execz .LBB118_255
; %bb.254:
	scratch_load_b64 v[112:113], off, off offset:352
	v_mov_b64_e32 v[114:115], 0
	scratch_store_b64 off, v[114:115], off offset:352
	s_wait_loadcnt 0x0
	ds_store_b64 v1, v[112:113]
.LBB118_255:
	s_wait_xcnt 0x0
	s_or_b32 exec_lo, exec_lo, s0
	s_wait_storecnt_dscnt 0x0
	s_barrier_signal -1
	s_barrier_wait -1
	s_clause 0x5
	scratch_load_b128 v[112:115], off, off offset:360
	scratch_load_b128 v[116:119], off, off offset:376
	;; [unrolled: 1-line block ×5, first 2 shown]
	scratch_load_b64 v[152:153], off, off offset:352
	ds_load_2addr_b64 v[132:135], v7 offset0:103 offset1:104
	ds_load_2addr_b64 v[136:139], v7 offset0:105 offset1:106
	;; [unrolled: 1-line block ×5, first 2 shown]
	s_mov_b32 s0, exec_lo
	s_wait_dscnt 0x4
	v_dual_mov_b32 v154, v135 :: v_dual_mov_b32 v155, v134
	s_wait_dscnt 0x3
	v_dual_mov_b32 v156, v139 :: v_dual_mov_b32 v157, v138
	;; [unrolled: 2-line block ×4, first 2 shown]
	s_wait_loadcnt_dscnt 0x500
	v_dual_mul_f32 v163, v148, v113 :: v_dual_mul_f32 v165, v150, v115
	v_dual_mul_f32 v7, v149, v113 :: v_dual_mul_f32 v9, v151, v115
	s_wait_loadcnt 0x4
	v_pk_mul_f32 v[166:167], v[132:133], v[116:117] op_sel:[1,1] op_sel_hi:[0,1]
	s_wait_loadcnt 0x3
	v_dual_mov_b32 v168, v119 :: v_dual_mov_b32 v172, v123
	v_dual_fmac_f32 v163, v149, v112 :: v_dual_fmac_f32 v165, v151, v114
	v_dual_fma_f32 v162, v148, v112, -v7 :: v_dual_fma_f32 v164, v150, v114, -v9
	v_pk_fma_f32 v[112:113], v[132:133], v[116:117], v[166:167] op_sel_hi:[1,0,1]
	s_delay_alu instid0(VALU_DEP_4) | instskip(SKIP_1) | instid1(VALU_DEP_4)
	v_pk_mul_f32 v[114:115], v[154:155], v[168:169] op_sel_hi:[1,0]
	v_pk_fma_f32 v[116:117], v[132:133], v[116:117], v[166:167] neg_lo:[0,0,1] neg_hi:[0,0,1]
	v_pk_add_f32 v[148:149], v[162:163], 0 op_sel_hi:[1,0]
	v_pk_mul_f32 v[170:171], v[136:137], v[120:121] op_sel:[1,1] op_sel_hi:[0,1]
	v_mov_b32_e32 v117, v113
	v_pk_fma_f32 v[112:113], v[134:135], v[118:119], v[114:115] op_sel_hi:[1,0,1]
	v_pk_fma_f32 v[114:115], v[134:135], v[118:119], v[114:115] neg_lo:[0,0,1] neg_hi:[0,0,1]
	v_pk_add_f32 v[132:133], v[148:149], v[164:165]
	v_pk_fma_f32 v[148:149], v[136:137], v[120:121], v[170:171] op_sel_hi:[1,0,1]
	v_pk_mul_f32 v[154:155], v[156:157], v[172:173] op_sel_hi:[1,0]
	v_mov_b32_e32 v115, v113
	s_wait_loadcnt 0x2
	v_pk_mul_f32 v[150:151], v[140:141], v[124:125] op_sel:[1,1] op_sel_hi:[0,1]
	v_pk_add_f32 v[112:113], v[132:133], v[116:117]
	v_mov_b32_e32 v116, v127
	v_pk_fma_f32 v[118:119], v[136:137], v[120:121], v[170:171] neg_lo:[0,0,1] neg_hi:[0,0,1]
	v_mov_b32_e32 v119, v149
	v_pk_fma_f32 v[120:121], v[138:139], v[122:123], v[154:155] op_sel_hi:[1,0,1]
	v_pk_add_f32 v[112:113], v[112:113], v[114:115]
	v_pk_fma_f32 v[114:115], v[140:141], v[124:125], v[150:151] op_sel_hi:[1,0,1]
	v_pk_mul_f32 v[116:117], v[158:159], v[116:117] op_sel_hi:[1,0]
	v_pk_fma_f32 v[122:123], v[138:139], v[122:123], v[154:155] neg_lo:[0,0,1] neg_hi:[0,0,1]
	v_mov_b32_e32 v123, v121
	v_pk_add_f32 v[112:113], v[112:113], v[118:119]
	v_pk_fma_f32 v[120:121], v[140:141], v[124:125], v[150:151] neg_lo:[0,0,1] neg_hi:[0,0,1]
	v_mov_b32_e32 v121, v115
	v_pk_fma_f32 v[114:115], v[142:143], v[126:127], v[116:117] op_sel_hi:[1,0,1]
	s_wait_loadcnt 0x1
	v_pk_mul_f32 v[118:119], v[144:145], v[128:129] op_sel:[1,1] op_sel_hi:[0,1]
	v_pk_add_f32 v[112:113], v[112:113], v[122:123]
	v_mov_b32_e32 v114, v131
	v_pk_fma_f32 v[116:117], v[142:143], v[126:127], v[116:117] neg_lo:[0,0,1] neg_hi:[0,0,1]
	v_mov_b32_e32 v117, v115
	v_pk_fma_f32 v[122:123], v[144:145], v[128:129], v[118:119] op_sel_hi:[1,0,1]
	v_pk_add_f32 v[112:113], v[112:113], v[120:121]
	v_pk_mul_f32 v[114:115], v[160:161], v[114:115] op_sel_hi:[1,0]
	v_pk_fma_f32 v[118:119], v[144:145], v[128:129], v[118:119] neg_lo:[0,0,1] neg_hi:[0,0,1]
	s_delay_alu instid0(VALU_DEP_3) | instskip(NEXT) | instid1(VALU_DEP_3)
	v_pk_add_f32 v[112:113], v[112:113], v[116:117]
	v_pk_fma_f32 v[116:117], v[146:147], v[130:131], v[114:115] op_sel_hi:[1,0,1]
	v_mov_b32_e32 v119, v123
	v_pk_fma_f32 v[114:115], v[146:147], v[130:131], v[114:115] neg_lo:[0,0,1] neg_hi:[0,0,1]
	s_delay_alu instid0(VALU_DEP_3) | instskip(NEXT) | instid1(VALU_DEP_3)
	v_mov_b32_e32 v115, v117
	v_pk_add_f32 v[112:113], v[112:113], v[118:119]
	s_delay_alu instid0(VALU_DEP_1) | instskip(SKIP_1) | instid1(VALU_DEP_1)
	v_pk_add_f32 v[112:113], v[112:113], v[114:115]
	s_wait_loadcnt 0x0
	v_pk_add_f32 v[112:113], v[152:153], v[112:113] neg_lo:[0,1] neg_hi:[0,1]
	scratch_store_b64 off, v[112:113], off offset:352
	s_wait_xcnt 0x0
	v_cmpx_lt_u32_e32 43, v0
	s_cbranch_execz .LBB118_257
; %bb.256:
	scratch_load_b64 v[112:113], off, off offset:344
	v_mov_b64_e32 v[114:115], 0
	scratch_store_b64 off, v[114:115], off offset:344
	s_wait_loadcnt 0x0
	ds_store_b64 v1, v[112:113]
.LBB118_257:
	s_wait_xcnt 0x0
	s_or_b32 exec_lo, exec_lo, s0
	s_wait_storecnt_dscnt 0x0
	s_barrier_signal -1
	s_barrier_wait -1
	s_clause 0x6
	scratch_load_b128 v[112:115], off, off offset:352
	scratch_load_b128 v[116:119], off, off offset:368
	;; [unrolled: 1-line block ×5, first 2 shown]
	scratch_load_b64 v[152:153], off, off offset:432
	scratch_load_b64 v[154:155], off, off offset:344
	v_mov_b32_e32 v7, 0
	ds_load_b128 v[132:135], v7 offset:816
	ds_load_b128 v[136:139], v7 offset:832
	;; [unrolled: 1-line block ×5, first 2 shown]
	ds_load_b64 v[156:157], v7 offset:880
	s_mov_b32 s0, exec_lo
	s_wait_dscnt 0x5
	v_dual_mov_b32 v158, v135 :: v_dual_mov_b32 v159, v134
	s_wait_dscnt 0x2
	v_dual_mov_b32 v160, v139 :: v_dual_mov_b32 v165, v146
	v_dual_mov_b32 v161, v138 :: v_dual_mov_b32 v162, v143
	;; [unrolled: 1-line block ×3, first 2 shown]
	s_wait_loadcnt_dscnt 0x601
	v_dual_mul_f32 v9, v148, v113 :: v_dual_mul_f32 v11, v149, v113
	v_dual_mul_f32 v13, v151, v115 :: v_dual_mul_f32 v167, v150, v115
	s_wait_loadcnt 0x5
	v_dual_mul_f32 v169, v132, v117 :: v_dual_mul_f32 v15, v133, v117
	s_wait_loadcnt 0x4
	v_dual_mov_b32 v168, v119 :: v_dual_mov_b32 v172, v123
	v_dual_fmac_f32 v9, v149, v112 :: v_dual_fma_f32 v11, v148, v112, -v11
	v_dual_fma_f32 v166, v150, v114, -v13 :: v_dual_fmac_f32 v167, v151, v114
	s_delay_alu instid0(VALU_DEP_3) | instskip(NEXT) | instid1(VALU_DEP_3)
	v_pk_mul_f32 v[112:113], v[158:159], v[168:169] op_sel_hi:[1,0]
	v_dual_add_f32 v115, 0, v9 :: v_dual_add_f32 v114, 0, v11
	s_wait_loadcnt 0x3
	v_mov_b32_e32 v148, v127
	v_pk_mul_f32 v[170:171], v[136:137], v[120:121] op_sel:[1,1] op_sel_hi:[0,1]
	v_dual_fmac_f32 v169, v133, v116 :: v_dual_fma_f32 v168, v132, v116, -v15
	v_pk_fma_f32 v[116:117], v[134:135], v[118:119], v[112:113] op_sel_hi:[1,0,1]
	v_pk_add_f32 v[114:115], v[114:115], v[166:167]
	v_pk_fma_f32 v[112:113], v[134:135], v[118:119], v[112:113] neg_lo:[0,0,1] neg_hi:[0,0,1]
	v_pk_fma_f32 v[132:133], v[136:137], v[120:121], v[170:171] op_sel_hi:[1,0,1]
	v_pk_mul_f32 v[150:151], v[160:161], v[172:173] op_sel_hi:[1,0]
	v_mov_b32_e32 v113, v117
	v_pk_add_f32 v[114:115], v[114:115], v[168:169]
	v_pk_fma_f32 v[118:119], v[136:137], v[120:121], v[170:171] neg_lo:[0,0,1] neg_hi:[0,0,1]
	v_pk_mul_f32 v[174:175], v[140:141], v[124:125] op_sel:[1,1] op_sel_hi:[0,1]
	v_mov_b32_e32 v119, v133
	v_pk_fma_f32 v[120:121], v[138:139], v[122:123], v[150:151] op_sel_hi:[1,0,1]
	v_pk_add_f32 v[112:113], v[114:115], v[112:113]
	v_pk_fma_f32 v[122:123], v[138:139], v[122:123], v[150:151] neg_lo:[0,0,1] neg_hi:[0,0,1]
	v_pk_fma_f32 v[114:115], v[140:141], v[124:125], v[174:175] op_sel_hi:[1,0,1]
	v_pk_mul_f32 v[132:133], v[162:163], v[148:149] op_sel_hi:[1,0]
	s_wait_loadcnt 0x2
	v_dual_mov_b32 v123, v121 :: v_dual_mov_b32 v114, v131
	v_pk_add_f32 v[112:113], v[112:113], v[118:119]
	v_pk_fma_f32 v[118:119], v[140:141], v[124:125], v[174:175] neg_lo:[0,0,1] neg_hi:[0,0,1]
	v_pk_mul_f32 v[116:117], v[144:145], v[128:129] op_sel:[1,1] op_sel_hi:[0,1]
	v_pk_fma_f32 v[120:121], v[142:143], v[126:127], v[132:133] op_sel_hi:[1,0,1]
	v_mov_b32_e32 v119, v115
	v_pk_add_f32 v[112:113], v[112:113], v[122:123]
	v_pk_fma_f32 v[124:125], v[142:143], v[126:127], v[132:133] neg_lo:[0,0,1] neg_hi:[0,0,1]
	v_pk_fma_f32 v[122:123], v[144:145], v[128:129], v[116:117] op_sel_hi:[1,0,1]
	v_pk_mul_f32 v[114:115], v[164:165], v[114:115] op_sel_hi:[1,0]
	v_mov_b32_e32 v125, v121
	v_pk_add_f32 v[112:113], v[112:113], v[118:119]
	v_pk_fma_f32 v[116:117], v[144:145], v[128:129], v[116:117] neg_lo:[0,0,1] neg_hi:[0,0,1]
	s_wait_loadcnt_dscnt 0x100
	v_pk_mul_f32 v[120:121], v[156:157], v[152:153] op_sel:[1,1] op_sel_hi:[0,1]
	v_pk_fma_f32 v[118:119], v[146:147], v[130:131], v[114:115] op_sel_hi:[1,0,1]
	v_mov_b32_e32 v117, v123
	v_pk_add_f32 v[112:113], v[112:113], v[124:125]
	v_pk_fma_f32 v[114:115], v[146:147], v[130:131], v[114:115] neg_lo:[0,0,1] neg_hi:[0,0,1]
	s_delay_alu instid0(VALU_DEP_4) | instskip(SKIP_1) | instid1(VALU_DEP_4)
	v_mov_b32_e32 v115, v119
	v_pk_fma_f32 v[118:119], v[156:157], v[152:153], v[120:121] neg_lo:[0,0,1] neg_hi:[0,0,1]
	v_pk_add_f32 v[112:113], v[112:113], v[116:117]
	v_pk_fma_f32 v[116:117], v[156:157], v[152:153], v[120:121] op_sel_hi:[1,0,1]
	s_delay_alu instid0(VALU_DEP_2) | instskip(NEXT) | instid1(VALU_DEP_2)
	v_pk_add_f32 v[112:113], v[112:113], v[114:115]
	v_mov_b32_e32 v119, v117
	s_delay_alu instid0(VALU_DEP_1) | instskip(SKIP_1) | instid1(VALU_DEP_1)
	v_pk_add_f32 v[112:113], v[112:113], v[118:119]
	s_wait_loadcnt 0x0
	v_pk_add_f32 v[112:113], v[154:155], v[112:113] neg_lo:[0,1] neg_hi:[0,1]
	scratch_store_b64 off, v[112:113], off offset:344
	s_wait_xcnt 0x0
	v_cmpx_lt_u32_e32 42, v0
	s_cbranch_execz .LBB118_259
; %bb.258:
	scratch_load_b64 v[112:113], off, off offset:336
	v_mov_b64_e32 v[114:115], 0
	scratch_store_b64 off, v[114:115], off offset:336
	s_wait_loadcnt 0x0
	ds_store_b64 v1, v[112:113]
.LBB118_259:
	s_wait_xcnt 0x0
	s_or_b32 exec_lo, exec_lo, s0
	s_wait_storecnt_dscnt 0x0
	s_barrier_signal -1
	s_barrier_wait -1
	s_clause 0x6
	scratch_load_b128 v[112:115], off, off offset:344
	scratch_load_b128 v[116:119], off, off offset:360
	;; [unrolled: 1-line block ×6, first 2 shown]
	scratch_load_b64 v[160:161], off, off offset:336
	ds_load_2addr_b64 v[136:139], v7 offset0:103 offset1:104
	ds_load_2addr_b64 v[140:143], v7 offset0:105 offset1:106
	ds_load_2addr_b64 v[144:147], v7 offset0:107 offset1:108
	ds_load_2addr_b64 v[148:151], v7 offset0:109 offset1:110
	ds_load_2addr_b64 v[152:155], v7 offset0:99 offset1:100
	ds_load_2addr_b64 v[156:159], v7 offset0:101 offset1:102
	s_mov_b32 s0, exec_lo
	s_wait_dscnt 0x5
	v_dual_mov_b32 v162, v139 :: v_dual_mov_b32 v163, v138
	s_wait_dscnt 0x4
	v_dual_mov_b32 v164, v143 :: v_dual_mov_b32 v165, v142
	;; [unrolled: 2-line block ×4, first 2 shown]
	s_wait_loadcnt_dscnt 0x601
	v_dual_mul_f32 v7, v152, v113 :: v_dual_mul_f32 v9, v154, v115
	v_dual_mul_f32 v11, v153, v113 :: v_dual_mul_f32 v13, v155, v115
	s_wait_loadcnt 0x4
	s_delay_alu instid0(VALU_DEP_2)
	v_dual_mov_b32 v176, v123 :: v_dual_fmac_f32 v7, v153, v112
	s_wait_dscnt 0x0
	v_dual_mul_f32 v171, v156, v117 :: v_dual_mul_f32 v173, v158, v119
	v_dual_fma_f32 v11, v152, v112, -v11 :: v_dual_fmac_f32 v9, v155, v114
	v_dual_mul_f32 v15, v157, v117 :: v_dual_mul_f32 v17, v159, v119
	v_dual_fma_f32 v13, v154, v114, -v13 :: v_dual_add_f32 v7, 0, v7
	s_wait_loadcnt 0x3
	s_delay_alu instid0(VALU_DEP_3) | instskip(SKIP_3) | instid1(VALU_DEP_4)
	v_dual_add_f32 v11, 0, v11 :: v_dual_mov_b32 v114, v127
	v_pk_mul_f32 v[174:175], v[136:137], v[120:121] op_sel:[1,1] op_sel_hi:[0,1]
	v_pk_mul_f32 v[112:113], v[140:141], v[124:125] op_sel:[1,1] op_sel_hi:[0,1]
	v_dual_fmac_f32 v171, v157, v116 :: v_dual_add_f32 v117, v7, v9
	v_dual_fma_f32 v170, v156, v116, -v15 :: v_dual_add_f32 v116, v11, v13
	v_fmac_f32_e32 v173, v159, v118
	v_fma_f32 v172, v158, v118, -v17
	v_pk_fma_f32 v[118:119], v[136:137], v[120:121], v[174:175] op_sel_hi:[1,0,1]
	v_pk_mul_f32 v[152:153], v[162:163], v[176:177] op_sel_hi:[1,0]
	v_pk_add_f32 v[116:117], v[116:117], v[170:171]
	v_pk_fma_f32 v[120:121], v[136:137], v[120:121], v[174:175] neg_lo:[0,0,1] neg_hi:[0,0,1]
	v_pk_fma_f32 v[136:137], v[140:141], v[124:125], v[112:113] op_sel_hi:[1,0,1]
	v_pk_fma_f32 v[112:113], v[140:141], v[124:125], v[112:113] neg_lo:[0,0,1] neg_hi:[0,0,1]
	v_mov_b32_e32 v121, v119
	v_pk_fma_f32 v[118:119], v[138:139], v[122:123], v[152:153] op_sel_hi:[1,0,1]
	v_pk_fma_f32 v[122:123], v[138:139], v[122:123], v[152:153] neg_lo:[0,0,1] neg_hi:[0,0,1]
	v_mov_b32_e32 v113, v137
	v_pk_add_f32 v[116:117], v[116:117], v[172:173]
	v_pk_mul_f32 v[114:115], v[164:165], v[114:115] op_sel_hi:[1,0]
	s_wait_loadcnt 0x2
	v_dual_mov_b32 v123, v119 :: v_dual_mov_b32 v118, v131
	v_pk_mul_f32 v[154:155], v[144:145], v[128:129] op_sel:[1,1] op_sel_hi:[0,1]
	v_pk_add_f32 v[116:117], v[116:117], v[120:121]
	v_pk_fma_f32 v[120:121], v[142:143], v[126:127], v[114:115] op_sel_hi:[1,0,1]
	v_pk_fma_f32 v[114:115], v[142:143], v[126:127], v[114:115] neg_lo:[0,0,1] neg_hi:[0,0,1]
	v_pk_mul_f32 v[118:119], v[166:167], v[118:119] op_sel_hi:[1,0]
	s_delay_alu instid0(VALU_DEP_4) | instskip(SKIP_3) | instid1(VALU_DEP_4)
	v_pk_add_f32 v[116:117], v[116:117], v[122:123]
	v_pk_fma_f32 v[122:123], v[144:145], v[128:129], v[154:155] op_sel_hi:[1,0,1]
	v_mov_b32_e32 v115, v121
	v_pk_fma_f32 v[120:121], v[144:145], v[128:129], v[154:155] neg_lo:[0,0,1] neg_hi:[0,0,1]
	v_pk_add_f32 v[112:113], v[116:117], v[112:113]
	s_wait_loadcnt 0x1
	v_pk_mul_f32 v[116:117], v[148:149], v[132:133] op_sel:[1,1] op_sel_hi:[0,1]
	v_mov_b32_e32 v121, v123
	v_pk_fma_f32 v[122:123], v[146:147], v[130:131], v[118:119] op_sel_hi:[1,0,1]
	v_pk_fma_f32 v[118:119], v[146:147], v[130:131], v[118:119] neg_lo:[0,0,1] neg_hi:[0,0,1]
	v_pk_add_f32 v[112:113], v[112:113], v[114:115]
	v_mov_b32_e32 v114, v135
	v_pk_fma_f32 v[124:125], v[148:149], v[132:133], v[116:117] op_sel_hi:[1,0,1]
	v_mov_b32_e32 v119, v123
	v_pk_fma_f32 v[116:117], v[148:149], v[132:133], v[116:117] neg_lo:[0,0,1] neg_hi:[0,0,1]
	v_pk_add_f32 v[112:113], v[112:113], v[120:121]
	v_pk_mul_f32 v[114:115], v[168:169], v[114:115] op_sel_hi:[1,0]
	s_delay_alu instid0(VALU_DEP_2) | instskip(NEXT) | instid1(VALU_DEP_2)
	v_pk_add_f32 v[112:113], v[112:113], v[118:119]
	v_pk_fma_f32 v[118:119], v[150:151], v[134:135], v[114:115] op_sel_hi:[1,0,1]
	v_mov_b32_e32 v117, v125
	v_pk_fma_f32 v[114:115], v[150:151], v[134:135], v[114:115] neg_lo:[0,0,1] neg_hi:[0,0,1]
	s_delay_alu instid0(VALU_DEP_3) | instskip(NEXT) | instid1(VALU_DEP_3)
	v_mov_b32_e32 v115, v119
	v_pk_add_f32 v[112:113], v[112:113], v[116:117]
	s_delay_alu instid0(VALU_DEP_1) | instskip(SKIP_1) | instid1(VALU_DEP_1)
	v_pk_add_f32 v[112:113], v[112:113], v[114:115]
	s_wait_loadcnt 0x0
	v_pk_add_f32 v[112:113], v[160:161], v[112:113] neg_lo:[0,1] neg_hi:[0,1]
	scratch_store_b64 off, v[112:113], off offset:336
	s_wait_xcnt 0x0
	v_cmpx_lt_u32_e32 41, v0
	s_cbranch_execz .LBB118_261
; %bb.260:
	scratch_load_b64 v[112:113], off, off offset:328
	v_mov_b64_e32 v[114:115], 0
	scratch_store_b64 off, v[114:115], off offset:328
	s_wait_loadcnt 0x0
	ds_store_b64 v1, v[112:113]
.LBB118_261:
	s_wait_xcnt 0x0
	s_or_b32 exec_lo, exec_lo, s0
	s_wait_storecnt_dscnt 0x0
	s_barrier_signal -1
	s_barrier_wait -1
	s_clause 0x7
	scratch_load_b128 v[112:115], off, off offset:336
	scratch_load_b128 v[116:119], off, off offset:352
	;; [unrolled: 1-line block ×6, first 2 shown]
	scratch_load_b64 v[160:161], off, off offset:432
	scratch_load_b64 v[162:163], off, off offset:328
	v_mov_b32_e32 v7, 0
	ds_load_b128 v[136:139], v7 offset:816
	ds_load_b128 v[140:143], v7 offset:832
	;; [unrolled: 1-line block ×6, first 2 shown]
	ds_load_b64 v[164:165], v7 offset:880
	s_mov_b32 s0, exec_lo
	s_wait_dscnt 0x6
	v_dual_mov_b32 v166, v139 :: v_dual_mov_b32 v167, v138
	s_wait_dscnt 0x3
	v_dual_mov_b32 v168, v143 :: v_dual_mov_b32 v173, v150
	v_dual_mov_b32 v169, v142 :: v_dual_mov_b32 v170, v147
	;; [unrolled: 1-line block ×3, first 2 shown]
	s_wait_loadcnt_dscnt 0x702
	v_dual_mul_f32 v9, v152, v113 :: v_dual_mul_f32 v15, v153, v113
	v_dual_mul_f32 v17, v155, v115 :: v_dual_mul_f32 v11, v154, v115
	s_wait_loadcnt_dscnt 0x601
	s_delay_alu instid0(VALU_DEP_2) | instskip(NEXT) | instid1(VALU_DEP_3)
	v_dual_mul_f32 v13, v156, v117 :: v_dual_fmac_f32 v9, v153, v112
	v_dual_fma_f32 v15, v152, v112, -v15 :: v_dual_mul_f32 v19, v157, v117
	v_mul_f32_e32 v21, v159, v119
	s_wait_loadcnt 0x4
	v_dual_mov_b32 v112, v127 :: v_dual_fma_f32 v17, v154, v114, -v17
	v_dual_fmac_f32 v11, v155, v114 :: v_dual_add_f32 v9, 0, v9
	v_dual_add_f32 v15, 0, v15 :: v_dual_fmac_f32 v13, v157, v116
	v_dual_mul_f32 v175, v158, v119 :: v_dual_mul_f32 v177, v136, v121
	v_dual_mul_f32 v23, v137, v121 :: v_dual_mov_b32 v176, v123
	s_delay_alu instid0(VALU_DEP_4) | instskip(NEXT) | instid1(VALU_DEP_4)
	v_dual_fma_f32 v19, v156, v116, -v19 :: v_dual_add_f32 v9, v9, v11
	v_dual_add_f32 v11, v15, v17 :: v_dual_fma_f32 v174, v158, v118, -v21
	s_delay_alu instid0(VALU_DEP_4) | instskip(NEXT) | instid1(VALU_DEP_4)
	v_fmac_f32_e32 v175, v159, v118
	v_pk_mul_f32 v[116:117], v[166:167], v[176:177] op_sel_hi:[1,0]
	s_delay_alu instid0(VALU_DEP_3)
	v_dual_add_f32 v119, v9, v13 :: v_dual_add_f32 v118, v11, v19
	v_fmac_f32_e32 v177, v137, v120
	v_pk_mul_f32 v[178:179], v[140:141], v[124:125] op_sel:[1,1] op_sel_hi:[0,1]
	s_wait_loadcnt 0x3
	v_dual_mov_b32 v152, v131 :: v_dual_fma_f32 v176, v136, v120, -v23
	v_pk_fma_f32 v[120:121], v[138:139], v[122:123], v[116:117] op_sel_hi:[1,0,1]
	v_pk_add_f32 v[118:119], v[118:119], v[174:175]
	v_pk_fma_f32 v[116:117], v[138:139], v[122:123], v[116:117] neg_lo:[0,0,1] neg_hi:[0,0,1]
	v_pk_fma_f32 v[136:137], v[140:141], v[124:125], v[178:179] op_sel_hi:[1,0,1]
	v_pk_mul_f32 v[112:113], v[168:169], v[112:113] op_sel_hi:[1,0]
	v_mov_b32_e32 v117, v121
	v_pk_add_f32 v[118:119], v[118:119], v[176:177]
	v_pk_fma_f32 v[122:123], v[140:141], v[124:125], v[178:179] neg_lo:[0,0,1] neg_hi:[0,0,1]
	v_pk_mul_f32 v[114:115], v[144:145], v[128:129] op_sel:[1,1] op_sel_hi:[0,1]
	v_mov_b32_e32 v123, v137
	v_pk_fma_f32 v[124:125], v[142:143], v[126:127], v[112:113] op_sel_hi:[1,0,1]
	v_pk_add_f32 v[116:117], v[118:119], v[116:117]
	v_pk_fma_f32 v[112:113], v[142:143], v[126:127], v[112:113] neg_lo:[0,0,1] neg_hi:[0,0,1]
	v_pk_fma_f32 v[118:119], v[144:145], v[128:129], v[114:115] op_sel_hi:[1,0,1]
	v_pk_mul_f32 v[136:137], v[170:171], v[152:153] op_sel_hi:[1,0]
	s_wait_loadcnt 0x2
	v_dual_mov_b32 v113, v125 :: v_dual_mov_b32 v118, v135
	v_pk_add_f32 v[116:117], v[116:117], v[122:123]
	v_pk_fma_f32 v[114:115], v[144:145], v[128:129], v[114:115] neg_lo:[0,0,1] neg_hi:[0,0,1]
	v_pk_mul_f32 v[120:121], v[148:149], v[132:133] op_sel:[1,1] op_sel_hi:[0,1]
	v_pk_fma_f32 v[122:123], v[146:147], v[130:131], v[136:137] op_sel_hi:[1,0,1]
	v_mov_b32_e32 v115, v119
	v_pk_add_f32 v[112:113], v[116:117], v[112:113]
	v_pk_fma_f32 v[124:125], v[146:147], v[130:131], v[136:137] neg_lo:[0,0,1] neg_hi:[0,0,1]
	v_pk_fma_f32 v[116:117], v[148:149], v[132:133], v[120:121] op_sel_hi:[1,0,1]
	v_pk_mul_f32 v[118:119], v[172:173], v[118:119] op_sel_hi:[1,0]
	v_mov_b32_e32 v125, v123
	v_pk_add_f32 v[112:113], v[112:113], v[114:115]
	v_pk_fma_f32 v[114:115], v[148:149], v[132:133], v[120:121] neg_lo:[0,0,1] neg_hi:[0,0,1]
	v_mov_b32_e32 v115, v117
	v_pk_fma_f32 v[116:117], v[150:151], v[134:135], v[118:119] op_sel_hi:[1,0,1]
	s_wait_loadcnt_dscnt 0x100
	v_pk_mul_f32 v[120:121], v[164:165], v[160:161] op_sel:[1,1] op_sel_hi:[0,1]
	v_pk_add_f32 v[112:113], v[112:113], v[124:125]
	v_pk_fma_f32 v[118:119], v[150:151], v[134:135], v[118:119] neg_lo:[0,0,1] neg_hi:[0,0,1]
	v_mov_b32_e32 v119, v117
	s_delay_alu instid0(VALU_DEP_4) | instskip(NEXT) | instid1(VALU_DEP_4)
	v_pk_fma_f32 v[116:117], v[164:165], v[160:161], v[120:121] neg_lo:[0,0,1] neg_hi:[0,0,1]
	v_pk_add_f32 v[112:113], v[112:113], v[114:115]
	v_pk_fma_f32 v[114:115], v[164:165], v[160:161], v[120:121] op_sel_hi:[1,0,1]
	s_delay_alu instid0(VALU_DEP_2) | instskip(NEXT) | instid1(VALU_DEP_2)
	v_pk_add_f32 v[112:113], v[112:113], v[118:119]
	v_mov_b32_e32 v117, v115
	s_delay_alu instid0(VALU_DEP_1) | instskip(SKIP_1) | instid1(VALU_DEP_1)
	v_pk_add_f32 v[112:113], v[112:113], v[116:117]
	s_wait_loadcnt 0x0
	v_pk_add_f32 v[112:113], v[162:163], v[112:113] neg_lo:[0,1] neg_hi:[0,1]
	scratch_store_b64 off, v[112:113], off offset:328
	s_wait_xcnt 0x0
	v_cmpx_lt_u32_e32 40, v0
	s_cbranch_execz .LBB118_263
; %bb.262:
	scratch_load_b64 v[112:113], off, off offset:320
	v_mov_b64_e32 v[114:115], 0
	scratch_store_b64 off, v[114:115], off offset:320
	s_wait_loadcnt 0x0
	ds_store_b64 v1, v[112:113]
.LBB118_263:
	s_wait_xcnt 0x0
	s_or_b32 exec_lo, exec_lo, s0
	s_wait_storecnt_dscnt 0x0
	s_barrier_signal -1
	s_barrier_wait -1
	s_clause 0x7
	scratch_load_b128 v[112:115], off, off offset:328
	scratch_load_b128 v[116:119], off, off offset:344
	;; [unrolled: 1-line block ×7, first 2 shown]
	scratch_load_b64 v[168:169], off, off offset:320
	ds_load_2addr_b64 v[140:143], v7 offset0:103 offset1:104
	ds_load_2addr_b64 v[144:147], v7 offset0:105 offset1:106
	;; [unrolled: 1-line block ×7, first 2 shown]
	s_mov_b32 s0, exec_lo
	s_wait_dscnt 0x6
	v_dual_mov_b32 v170, v143 :: v_dual_mov_b32 v171, v142
	s_wait_dscnt 0x5
	v_dual_mov_b32 v172, v147 :: v_dual_mov_b32 v173, v146
	;; [unrolled: 2-line block ×4, first 2 shown]
	s_wait_loadcnt_dscnt 0x702
	v_dual_mul_f32 v7, v156, v113 :: v_dual_mul_f32 v9, v158, v115
	v_dual_mul_f32 v15, v157, v113 :: v_dual_mul_f32 v17, v159, v115
	s_wait_loadcnt_dscnt 0x601
	v_dual_mul_f32 v11, v160, v117 :: v_dual_mul_f32 v13, v162, v119
	s_delay_alu instid0(VALU_DEP_3) | instskip(NEXT) | instid1(VALU_DEP_3)
	v_dual_fmac_f32 v7, v157, v112 :: v_dual_fmac_f32 v9, v159, v114
	v_dual_fma_f32 v15, v156, v112, -v15 :: v_dual_fma_f32 v17, v158, v114, -v17
	v_dual_mul_f32 v19, v161, v117 :: v_dual_mul_f32 v21, v163, v119
	s_wait_loadcnt 0x4
	s_delay_alu instid0(VALU_DEP_3) | instskip(NEXT) | instid1(VALU_DEP_3)
	v_dual_add_f32 v7, 0, v7 :: v_dual_mov_b32 v114, v127
	v_dual_add_f32 v15, 0, v15 :: v_dual_fmac_f32 v11, v161, v116
	s_delay_alu instid0(VALU_DEP_2) | instskip(SKIP_2) | instid1(VALU_DEP_3)
	v_dual_fma_f32 v19, v160, v116, -v19 :: v_dual_add_f32 v7, v7, v9
	s_wait_dscnt 0x0
	v_dual_mul_f32 v179, v164, v121 :: v_dual_mul_f32 v181, v166, v123
	v_dual_add_f32 v9, v15, v17 :: v_dual_fma_f32 v15, v162, v118, -v21
	v_dual_mul_f32 v23, v165, v121 :: v_dual_mul_f32 v25, v167, v123
	s_delay_alu instid0(VALU_DEP_2) | instskip(NEXT) | instid1(VALU_DEP_4)
	v_dual_fmac_f32 v13, v163, v118 :: v_dual_add_f32 v9, v9, v19
	v_dual_add_f32 v7, v7, v11 :: v_dual_fmac_f32 v179, v165, v120
	v_pk_mul_f32 v[112:113], v[140:141], v[124:125] op_sel:[1,1] op_sel_hi:[0,1]
	s_wait_loadcnt 0x3
	v_pk_mul_f32 v[116:117], v[144:145], v[128:129] op_sel:[1,1] op_sel_hi:[0,1]
	v_dual_mov_b32 v118, v131 :: v_dual_fma_f32 v178, v164, v120, -v23
	v_dual_add_f32 v121, v7, v13 :: v_dual_add_f32 v120, v9, v15
	v_fmac_f32_e32 v181, v167, v122
	v_fma_f32 v180, v166, v122, -v25
	v_pk_fma_f32 v[122:123], v[140:141], v[124:125], v[112:113] op_sel_hi:[1,0,1]
	v_pk_mul_f32 v[114:115], v[170:171], v[114:115] op_sel_hi:[1,0]
	v_pk_add_f32 v[120:121], v[120:121], v[178:179]
	v_pk_fma_f32 v[112:113], v[140:141], v[124:125], v[112:113] neg_lo:[0,0,1] neg_hi:[0,0,1]
	v_pk_fma_f32 v[124:125], v[144:145], v[128:129], v[116:117] op_sel_hi:[1,0,1]
	v_pk_fma_f32 v[116:117], v[144:145], v[128:129], v[116:117] neg_lo:[0,0,1] neg_hi:[0,0,1]
	v_mov_b32_e32 v113, v123
	v_pk_fma_f32 v[122:123], v[142:143], v[126:127], v[114:115] op_sel_hi:[1,0,1]
	v_pk_fma_f32 v[114:115], v[142:143], v[126:127], v[114:115] neg_lo:[0,0,1] neg_hi:[0,0,1]
	v_mov_b32_e32 v117, v125
	v_pk_add_f32 v[120:121], v[120:121], v[180:181]
	v_pk_mul_f32 v[118:119], v[172:173], v[118:119] op_sel_hi:[1,0]
	v_mov_b32_e32 v115, v123
	s_wait_loadcnt 0x2
	v_pk_mul_f32 v[156:157], v[148:149], v[132:133] op_sel:[1,1] op_sel_hi:[0,1]
	v_pk_add_f32 v[112:113], v[120:121], v[112:113]
	v_mov_b32_e32 v120, v135
	v_pk_fma_f32 v[122:123], v[146:147], v[130:131], v[118:119] op_sel_hi:[1,0,1]
	v_pk_fma_f32 v[118:119], v[146:147], v[130:131], v[118:119] neg_lo:[0,0,1] neg_hi:[0,0,1]
	s_delay_alu instid0(VALU_DEP_4)
	v_pk_add_f32 v[112:113], v[112:113], v[114:115]
	v_pk_fma_f32 v[114:115], v[148:149], v[132:133], v[156:157] op_sel_hi:[1,0,1]
	v_pk_mul_f32 v[120:121], v[174:175], v[120:121] op_sel_hi:[1,0]
	v_mov_b32_e32 v119, v123
	v_pk_fma_f32 v[122:123], v[148:149], v[132:133], v[156:157] neg_lo:[0,0,1] neg_hi:[0,0,1]
	v_pk_add_f32 v[112:113], v[112:113], v[116:117]
	v_mov_b32_e32 v123, v115
	v_pk_fma_f32 v[114:115], v[150:151], v[134:135], v[120:121] op_sel_hi:[1,0,1]
	s_wait_loadcnt 0x1
	v_pk_mul_f32 v[116:117], v[152:153], v[136:137] op_sel:[1,1] op_sel_hi:[0,1]
	v_mov_b32_e32 v114, v139
	v_pk_add_f32 v[112:113], v[112:113], v[118:119]
	v_pk_fma_f32 v[120:121], v[150:151], v[134:135], v[120:121] neg_lo:[0,0,1] neg_hi:[0,0,1]
	v_mov_b32_e32 v121, v115
	v_pk_fma_f32 v[118:119], v[152:153], v[136:137], v[116:117] op_sel_hi:[1,0,1]
	v_pk_mul_f32 v[114:115], v[176:177], v[114:115] op_sel_hi:[1,0]
	v_pk_add_f32 v[112:113], v[112:113], v[122:123]
	v_pk_fma_f32 v[116:117], v[152:153], v[136:137], v[116:117] neg_lo:[0,0,1] neg_hi:[0,0,1]
	s_delay_alu instid0(VALU_DEP_4) | instskip(NEXT) | instid1(VALU_DEP_4)
	v_mov_b32_e32 v117, v119
	v_pk_fma_f32 v[118:119], v[154:155], v[138:139], v[114:115] op_sel_hi:[1,0,1]
	s_delay_alu instid0(VALU_DEP_4) | instskip(SKIP_1) | instid1(VALU_DEP_3)
	v_pk_add_f32 v[112:113], v[112:113], v[120:121]
	v_pk_fma_f32 v[114:115], v[154:155], v[138:139], v[114:115] neg_lo:[0,0,1] neg_hi:[0,0,1]
	v_mov_b32_e32 v115, v119
	s_delay_alu instid0(VALU_DEP_3) | instskip(NEXT) | instid1(VALU_DEP_1)
	v_pk_add_f32 v[112:113], v[112:113], v[116:117]
	v_pk_add_f32 v[112:113], v[112:113], v[114:115]
	s_wait_loadcnt 0x0
	s_delay_alu instid0(VALU_DEP_1)
	v_pk_add_f32 v[112:113], v[168:169], v[112:113] neg_lo:[0,1] neg_hi:[0,1]
	scratch_store_b64 off, v[112:113], off offset:320
	s_wait_xcnt 0x0
	v_cmpx_lt_u32_e32 39, v0
	s_cbranch_execz .LBB118_265
; %bb.264:
	scratch_load_b64 v[112:113], off, off offset:312
	v_mov_b64_e32 v[114:115], 0
	scratch_store_b64 off, v[114:115], off offset:312
	s_wait_loadcnt 0x0
	ds_store_b64 v1, v[112:113]
.LBB118_265:
	s_wait_xcnt 0x0
	s_or_b32 exec_lo, exec_lo, s0
	s_wait_storecnt_dscnt 0x0
	s_barrier_signal -1
	s_barrier_wait -1
	s_clause 0x8
	scratch_load_b128 v[112:115], off, off offset:320
	scratch_load_b128 v[116:119], off, off offset:336
	;; [unrolled: 1-line block ×7, first 2 shown]
	scratch_load_b64 v[168:169], off, off offset:432
	scratch_load_b64 v[170:171], off, off offset:312
	v_mov_b32_e32 v7, 0
	ds_load_b128 v[140:143], v7 offset:816
	ds_load_b128 v[144:147], v7 offset:832
	;; [unrolled: 1-line block ×7, first 2 shown]
	ds_load_b64 v[172:173], v7 offset:880
	s_mov_b32 s0, exec_lo
	s_wait_dscnt 0x7
	v_dual_mov_b32 v174, v143 :: v_dual_mov_b32 v175, v142
	s_wait_dscnt 0x4
	v_dual_mov_b32 v176, v147 :: v_dual_mov_b32 v181, v154
	v_dual_mov_b32 v177, v146 :: v_dual_mov_b32 v178, v151
	;; [unrolled: 1-line block ×3, first 2 shown]
	s_wait_loadcnt_dscnt 0x803
	v_dual_mul_f32 v9, v156, v113 :: v_dual_mul_f32 v19, v157, v113
	v_dual_mul_f32 v21, v159, v115 :: v_dual_mul_f32 v11, v158, v115
	s_wait_loadcnt_dscnt 0x702
	v_mul_f32_e32 v13, v160, v117
	s_wait_loadcnt 0x5
	v_dual_mul_f32 v31, v141, v125 :: v_dual_fma_f32 v19, v156, v112, -v19
	v_dual_fmac_f32 v9, v157, v112 :: v_dual_mov_b32 v112, v127
	v_dual_mul_f32 v23, v161, v117 :: v_dual_mul_f32 v25, v163, v119
	v_dual_fmac_f32 v11, v159, v114 :: v_dual_fma_f32 v21, v158, v114, -v21
	s_delay_alu instid0(VALU_DEP_3) | instskip(SKIP_3) | instid1(VALU_DEP_3)
	v_dual_add_f32 v9, 0, v9 :: v_dual_add_f32 v19, 0, v19
	s_wait_dscnt 0x1
	v_dual_mul_f32 v15, v162, v119 :: v_dual_mul_f32 v17, v164, v121
	v_dual_fmac_f32 v13, v161, v116 :: v_dual_fma_f32 v23, v160, v116, -v23
	v_dual_add_f32 v9, v9, v11 :: v_dual_add_f32 v11, v19, v21
	v_dual_mul_f32 v27, v165, v121 :: v_dual_mul_f32 v29, v167, v123
	s_wait_loadcnt 0x4
	v_dual_mov_b32 v116, v131 :: v_dual_fma_f32 v19, v162, v118, -v25
	s_delay_alu instid0(VALU_DEP_3) | instskip(SKIP_2) | instid1(VALU_DEP_3)
	v_dual_fmac_f32 v15, v163, v118 :: v_dual_add_f32 v9, v9, v13
	v_dual_add_f32 v11, v11, v23 :: v_dual_fmac_f32 v17, v165, v120
	v_dual_mul_f32 v183, v166, v123 :: v_dual_mul_f32 v185, v140, v125
	v_dual_fma_f32 v13, v164, v120, -v27 :: v_dual_add_f32 v9, v9, v15
	s_delay_alu instid0(VALU_DEP_3) | instskip(NEXT) | instid1(VALU_DEP_3)
	v_dual_add_f32 v11, v11, v19 :: v_dual_fma_f32 v182, v166, v122, -v29
	v_fmac_f32_e32 v183, v167, v122
	v_pk_mul_f32 v[112:113], v[174:175], v[112:113] op_sel_hi:[1,0]
	s_delay_alu instid0(VALU_DEP_4) | instskip(NEXT) | instid1(VALU_DEP_4)
	v_add_f32_e32 v121, v9, v17
	v_dual_add_f32 v120, v11, v13 :: v_dual_fmac_f32 v185, v141, v124
	v_pk_mul_f32 v[114:115], v[144:145], v[128:129] op_sel:[1,1] op_sel_hi:[0,1]
	s_wait_loadcnt 0x3
	v_dual_mov_b32 v122, v135 :: v_dual_fma_f32 v184, v140, v124, -v31
	v_pk_fma_f32 v[124:125], v[142:143], v[126:127], v[112:113] op_sel_hi:[1,0,1]
	v_pk_add_f32 v[120:121], v[120:121], v[182:183]
	v_pk_fma_f32 v[112:113], v[142:143], v[126:127], v[112:113] neg_lo:[0,0,1] neg_hi:[0,0,1]
	v_pk_fma_f32 v[140:141], v[144:145], v[128:129], v[114:115] op_sel_hi:[1,0,1]
	v_pk_mul_f32 v[116:117], v[176:177], v[116:117] op_sel_hi:[1,0]
	v_mov_b32_e32 v113, v125
	v_pk_add_f32 v[120:121], v[120:121], v[184:185]
	v_pk_fma_f32 v[114:115], v[144:145], v[128:129], v[114:115] neg_lo:[0,0,1] neg_hi:[0,0,1]
	v_pk_mul_f32 v[118:119], v[148:149], v[132:133] op_sel:[1,1] op_sel_hi:[0,1]
	v_mov_b32_e32 v115, v141
	v_pk_fma_f32 v[126:127], v[146:147], v[130:131], v[116:117] op_sel_hi:[1,0,1]
	v_pk_add_f32 v[112:113], v[120:121], v[112:113]
	v_pk_fma_f32 v[116:117], v[146:147], v[130:131], v[116:117] neg_lo:[0,0,1] neg_hi:[0,0,1]
	v_pk_fma_f32 v[120:121], v[148:149], v[132:133], v[118:119] op_sel_hi:[1,0,1]
	v_pk_mul_f32 v[122:123], v[178:179], v[122:123] op_sel_hi:[1,0]
	v_mov_b32_e32 v117, v127
	v_pk_add_f32 v[112:113], v[112:113], v[114:115]
	v_pk_fma_f32 v[118:119], v[148:149], v[132:133], v[118:119] neg_lo:[0,0,1] neg_hi:[0,0,1]
	s_wait_loadcnt 0x2
	v_pk_mul_f32 v[124:125], v[152:153], v[136:137] op_sel:[1,1] op_sel_hi:[0,1]
	v_dual_mov_b32 v114, v139 :: v_dual_mov_b32 v119, v121
	v_pk_fma_f32 v[120:121], v[150:151], v[134:135], v[122:123] op_sel_hi:[1,0,1]
	v_pk_add_f32 v[112:113], v[112:113], v[116:117]
	v_pk_fma_f32 v[122:123], v[150:151], v[134:135], v[122:123] neg_lo:[0,0,1] neg_hi:[0,0,1]
	v_pk_fma_f32 v[116:117], v[152:153], v[136:137], v[124:125] op_sel_hi:[1,0,1]
	v_pk_mul_f32 v[114:115], v[180:181], v[114:115] op_sel_hi:[1,0]
	v_mov_b32_e32 v123, v121
	v_pk_add_f32 v[112:113], v[112:113], v[118:119]
	v_pk_fma_f32 v[118:119], v[152:153], v[136:137], v[124:125] neg_lo:[0,0,1] neg_hi:[0,0,1]
	v_mov_b32_e32 v119, v117
	v_pk_fma_f32 v[116:117], v[154:155], v[138:139], v[114:115] op_sel_hi:[1,0,1]
	s_wait_loadcnt_dscnt 0x100
	v_pk_mul_f32 v[120:121], v[172:173], v[168:169] op_sel:[1,1] op_sel_hi:[0,1]
	v_pk_add_f32 v[112:113], v[112:113], v[122:123]
	v_pk_fma_f32 v[114:115], v[154:155], v[138:139], v[114:115] neg_lo:[0,0,1] neg_hi:[0,0,1]
	v_mov_b32_e32 v115, v117
	s_delay_alu instid0(VALU_DEP_4) | instskip(NEXT) | instid1(VALU_DEP_4)
	v_pk_fma_f32 v[116:117], v[172:173], v[168:169], v[120:121] op_sel_hi:[1,0,1]
	v_pk_add_f32 v[112:113], v[112:113], v[118:119]
	v_pk_fma_f32 v[118:119], v[172:173], v[168:169], v[120:121] neg_lo:[0,0,1] neg_hi:[0,0,1]
	s_delay_alu instid0(VALU_DEP_3) | instskip(NEXT) | instid1(VALU_DEP_3)
	v_mov_b32_e32 v119, v117
	v_pk_add_f32 v[112:113], v[112:113], v[114:115]
	s_delay_alu instid0(VALU_DEP_1) | instskip(SKIP_1) | instid1(VALU_DEP_1)
	v_pk_add_f32 v[112:113], v[112:113], v[118:119]
	s_wait_loadcnt 0x0
	v_pk_add_f32 v[112:113], v[170:171], v[112:113] neg_lo:[0,1] neg_hi:[0,1]
	scratch_store_b64 off, v[112:113], off offset:312
	s_wait_xcnt 0x0
	v_cmpx_lt_u32_e32 38, v0
	s_cbranch_execz .LBB118_267
; %bb.266:
	scratch_load_b64 v[112:113], off, off offset:304
	v_mov_b64_e32 v[114:115], 0
	scratch_store_b64 off, v[114:115], off offset:304
	s_wait_loadcnt 0x0
	ds_store_b64 v1, v[112:113]
.LBB118_267:
	s_wait_xcnt 0x0
	s_or_b32 exec_lo, exec_lo, s0
	s_wait_storecnt_dscnt 0x0
	s_barrier_signal -1
	s_barrier_wait -1
	s_clause 0x8
	scratch_load_b128 v[112:115], off, off offset:312
	scratch_load_b128 v[116:119], off, off offset:328
	;; [unrolled: 1-line block ×8, first 2 shown]
	scratch_load_b64 v[176:177], off, off offset:304
	ds_load_2addr_b64 v[144:147], v7 offset0:103 offset1:104
	ds_load_2addr_b64 v[148:151], v7 offset0:105 offset1:106
	;; [unrolled: 1-line block ×8, first 2 shown]
	s_mov_b32 s0, exec_lo
	s_wait_dscnt 0x7
	v_dual_mov_b32 v178, v147 :: v_dual_mov_b32 v179, v146
	s_wait_dscnt 0x6
	v_dual_mov_b32 v180, v151 :: v_dual_mov_b32 v181, v150
	;; [unrolled: 2-line block ×4, first 2 shown]
	s_wait_loadcnt_dscnt 0x803
	v_dual_mul_f32 v7, v160, v113 :: v_dual_mul_f32 v9, v162, v115
	v_dual_mul_f32 v19, v161, v113 :: v_dual_mul_f32 v21, v163, v115
	s_wait_loadcnt_dscnt 0x702
	v_dual_mul_f32 v11, v164, v117 :: v_dual_mul_f32 v13, v166, v119
	s_delay_alu instid0(VALU_DEP_3) | instskip(SKIP_3) | instid1(VALU_DEP_3)
	v_dual_fmac_f32 v7, v161, v112 :: v_dual_fmac_f32 v9, v163, v114
	s_wait_loadcnt_dscnt 0x500
	v_dual_fma_f32 v19, v160, v112, -v19 :: v_dual_mul_f32 v31, v173, v125
	v_dual_mul_f32 v23, v165, v117 :: v_dual_mul_f32 v25, v167, v119
	v_dual_fma_f32 v21, v162, v114, -v21 :: v_dual_add_f32 v7, 0, v7
	s_delay_alu instid0(VALU_DEP_3) | instskip(SKIP_1) | instid1(VALU_DEP_4)
	v_dual_add_f32 v19, 0, v19 :: v_dual_fmac_f32 v11, v165, v116
	v_dual_mul_f32 v15, v168, v121 :: v_dual_mul_f32 v17, v170, v123
	v_dual_mul_f32 v33, v175, v127 :: v_dual_fma_f32 v23, v164, v116, -v23
	s_delay_alu instid0(VALU_DEP_4) | instskip(NEXT) | instid1(VALU_DEP_3)
	v_add_f32_e32 v7, v7, v9
	v_dual_add_f32 v9, v19, v21 :: v_dual_fmac_f32 v15, v169, v120
	v_dual_mul_f32 v27, v169, v121 :: v_dual_mul_f32 v29, v171, v123
	s_delay_alu instid0(VALU_DEP_2) | instskip(NEXT) | instid1(VALU_DEP_4)
	v_dual_fmac_f32 v13, v167, v118 :: v_dual_add_f32 v9, v9, v23
	v_dual_fma_f32 v19, v166, v118, -v25 :: v_dual_add_f32 v7, v7, v11
	s_wait_loadcnt 0x4
	s_delay_alu instid0(VALU_DEP_3) | instskip(SKIP_1) | instid1(VALU_DEP_3)
	v_dual_fma_f32 v11, v168, v120, -v27 :: v_dual_mov_b32 v114, v131
	v_dual_mul_f32 v187, v172, v125 :: v_dual_mul_f32 v189, v174, v127
	v_dual_add_f32 v7, v7, v13 :: v_dual_fma_f32 v13, v170, v122, -v29
	v_dual_add_f32 v9, v9, v19 :: v_dual_fmac_f32 v17, v171, v122
	v_pk_mul_f32 v[112:113], v[144:145], v[128:129] op_sel:[1,1] op_sel_hi:[0,1]
	s_delay_alu instid0(VALU_DEP_3) | instskip(SKIP_1) | instid1(VALU_DEP_3)
	v_dual_add_f32 v7, v7, v15 :: v_dual_fmac_f32 v187, v173, v124
	s_wait_loadcnt 0x3
	v_dual_add_f32 v9, v9, v11 :: v_dual_mov_b32 v118, v135
	s_delay_alu instid0(VALU_DEP_2) | instskip(NEXT) | instid1(VALU_DEP_2)
	v_dual_fma_f32 v186, v172, v124, -v31 :: v_dual_add_f32 v121, v7, v17
	v_dual_fma_f32 v188, v174, v126, -v33 :: v_dual_add_f32 v120, v9, v13
	v_fmac_f32_e32 v189, v175, v126
	v_pk_fma_f32 v[122:123], v[144:145], v[128:129], v[112:113] op_sel_hi:[1,0,1]
	v_pk_mul_f32 v[114:115], v[178:179], v[114:115] op_sel_hi:[1,0]
	v_pk_fma_f32 v[112:113], v[144:145], v[128:129], v[112:113] neg_lo:[0,0,1] neg_hi:[0,0,1]
	v_pk_add_f32 v[120:121], v[120:121], v[186:187]
	v_pk_mul_f32 v[116:117], v[148:149], v[132:133] op_sel:[1,1] op_sel_hi:[0,1]
	v_mov_b32_e32 v113, v123
	v_pk_fma_f32 v[122:123], v[146:147], v[130:131], v[114:115] op_sel_hi:[1,0,1]
	v_pk_fma_f32 v[114:115], v[146:147], v[130:131], v[114:115] neg_lo:[0,0,1] neg_hi:[0,0,1]
	v_pk_add_f32 v[120:121], v[120:121], v[188:189]
	v_pk_fma_f32 v[126:127], v[148:149], v[132:133], v[116:117] op_sel_hi:[1,0,1]
	v_pk_mul_f32 v[118:119], v[180:181], v[118:119] op_sel_hi:[1,0]
	v_mov_b32_e32 v115, v123
	s_wait_loadcnt 0x2
	v_pk_mul_f32 v[124:125], v[152:153], v[136:137] op_sel:[1,1] op_sel_hi:[0,1]
	v_pk_add_f32 v[112:113], v[120:121], v[112:113]
	v_mov_b32_e32 v120, v139
	v_pk_fma_f32 v[116:117], v[148:149], v[132:133], v[116:117] neg_lo:[0,0,1] neg_hi:[0,0,1]
	v_mov_b32_e32 v117, v127
	v_pk_fma_f32 v[122:123], v[150:151], v[134:135], v[118:119] op_sel_hi:[1,0,1]
	v_pk_add_f32 v[112:113], v[112:113], v[114:115]
	v_pk_fma_f32 v[114:115], v[152:153], v[136:137], v[124:125] op_sel_hi:[1,0,1]
	v_pk_mul_f32 v[120:121], v[182:183], v[120:121] op_sel_hi:[1,0]
	v_pk_fma_f32 v[118:119], v[150:151], v[134:135], v[118:119] neg_lo:[0,0,1] neg_hi:[0,0,1]
	v_mov_b32_e32 v119, v123
	v_pk_add_f32 v[112:113], v[112:113], v[116:117]
	v_pk_fma_f32 v[122:123], v[152:153], v[136:137], v[124:125] neg_lo:[0,0,1] neg_hi:[0,0,1]
	v_mov_b32_e32 v123, v115
	v_pk_fma_f32 v[114:115], v[154:155], v[138:139], v[120:121] op_sel_hi:[1,0,1]
	s_wait_loadcnt 0x1
	v_pk_mul_f32 v[116:117], v[156:157], v[140:141] op_sel:[1,1] op_sel_hi:[0,1]
	v_pk_add_f32 v[112:113], v[112:113], v[118:119]
	v_mov_b32_e32 v114, v143
	v_pk_fma_f32 v[120:121], v[154:155], v[138:139], v[120:121] neg_lo:[0,0,1] neg_hi:[0,0,1]
	v_mov_b32_e32 v121, v115
	v_pk_fma_f32 v[118:119], v[156:157], v[140:141], v[116:117] op_sel_hi:[1,0,1]
	v_pk_add_f32 v[112:113], v[112:113], v[122:123]
	v_pk_mul_f32 v[114:115], v[184:185], v[114:115] op_sel_hi:[1,0]
	v_pk_fma_f32 v[116:117], v[156:157], v[140:141], v[116:117] neg_lo:[0,0,1] neg_hi:[0,0,1]
	s_delay_alu instid0(VALU_DEP_4) | instskip(NEXT) | instid1(VALU_DEP_4)
	v_mov_b32_e32 v117, v119
	v_pk_add_f32 v[112:113], v[112:113], v[120:121]
	s_delay_alu instid0(VALU_DEP_4) | instskip(SKIP_1) | instid1(VALU_DEP_2)
	v_pk_fma_f32 v[118:119], v[158:159], v[142:143], v[114:115] op_sel_hi:[1,0,1]
	v_pk_fma_f32 v[114:115], v[158:159], v[142:143], v[114:115] neg_lo:[0,0,1] neg_hi:[0,0,1]
	v_mov_b32_e32 v115, v119
	s_delay_alu instid0(VALU_DEP_4) | instskip(NEXT) | instid1(VALU_DEP_1)
	v_pk_add_f32 v[112:113], v[112:113], v[116:117]
	v_pk_add_f32 v[112:113], v[112:113], v[114:115]
	s_wait_loadcnt 0x0
	s_delay_alu instid0(VALU_DEP_1)
	v_pk_add_f32 v[112:113], v[176:177], v[112:113] neg_lo:[0,1] neg_hi:[0,1]
	scratch_store_b64 off, v[112:113], off offset:304
	s_wait_xcnt 0x0
	v_cmpx_lt_u32_e32 37, v0
	s_cbranch_execz .LBB118_269
; %bb.268:
	scratch_load_b64 v[112:113], off, off offset:296
	v_mov_b64_e32 v[114:115], 0
	scratch_store_b64 off, v[114:115], off offset:296
	s_wait_loadcnt 0x0
	ds_store_b64 v1, v[112:113]
.LBB118_269:
	s_wait_xcnt 0x0
	s_or_b32 exec_lo, exec_lo, s0
	s_wait_storecnt_dscnt 0x0
	s_barrier_signal -1
	s_barrier_wait -1
	s_clause 0x9
	scratch_load_b128 v[112:115], off, off offset:304
	scratch_load_b128 v[116:119], off, off offset:320
	;; [unrolled: 1-line block ×8, first 2 shown]
	scratch_load_b64 v[176:177], off, off offset:432
	scratch_load_b64 v[178:179], off, off offset:296
	v_mov_b32_e32 v7, 0
	ds_load_b128 v[144:147], v7 offset:816
	ds_load_b128 v[148:151], v7 offset:832
	;; [unrolled: 1-line block ×8, first 2 shown]
	ds_load_b64 v[180:181], v7 offset:880
	s_mov_b32 s0, exec_lo
	s_wait_dscnt 0x8
	v_dual_mov_b32 v182, v147 :: v_dual_mov_b32 v183, v146
	s_wait_dscnt 0x5
	v_dual_mov_b32 v184, v151 :: v_dual_mov_b32 v189, v158
	v_dual_mov_b32 v185, v150 :: v_dual_mov_b32 v186, v155
	;; [unrolled: 1-line block ×3, first 2 shown]
	s_wait_loadcnt_dscnt 0x904
	v_dual_mul_f32 v9, v160, v113 :: v_dual_mul_f32 v23, v161, v113
	v_dual_mul_f32 v25, v163, v115 :: v_dual_mul_f32 v11, v162, v115
	s_wait_loadcnt_dscnt 0x803
	v_mul_f32_e32 v13, v164, v117
	s_wait_loadcnt_dscnt 0x601
	v_dual_mul_f32 v35, v173, v125 :: v_dual_fma_f32 v23, v160, v112, -v23
	v_dual_fmac_f32 v9, v161, v112 :: v_dual_mul_f32 v37, v175, v127
	v_dual_mul_f32 v27, v165, v117 :: v_dual_mul_f32 v29, v167, v119
	v_dual_fmac_f32 v11, v163, v114 :: v_dual_fma_f32 v25, v162, v114, -v25
	s_delay_alu instid0(VALU_DEP_3)
	v_dual_add_f32 v9, 0, v9 :: v_dual_add_f32 v23, 0, v23
	v_dual_mul_f32 v15, v166, v119 :: v_dual_mul_f32 v17, v168, v121
	s_wait_loadcnt 0x5
	v_dual_mul_f32 v39, v145, v129 :: v_dual_fma_f32 v27, v164, v116, -v27
	v_fmac_f32_e32 v13, v165, v116
	v_dual_add_f32 v9, v9, v11 :: v_dual_mov_b32 v112, v131
	v_add_f32_e32 v11, v23, v25
	v_dual_mul_f32 v31, v169, v121 :: v_dual_mul_f32 v33, v171, v123
	v_dual_fmac_f32 v15, v167, v118 :: v_dual_fma_f32 v23, v166, v118, -v29
	s_delay_alu instid0(VALU_DEP_3) | instskip(SKIP_1) | instid1(VALU_DEP_4)
	v_dual_add_f32 v9, v9, v13 :: v_dual_add_f32 v11, v11, v27
	v_dual_mul_f32 v19, v170, v123 :: v_dual_mul_f32 v21, v172, v125
	v_dual_fmac_f32 v17, v169, v120 :: v_dual_fma_f32 v13, v168, v120, -v31
	s_wait_loadcnt 0x4
	s_delay_alu instid0(VALU_DEP_3) | instskip(SKIP_1) | instid1(VALU_DEP_2)
	v_dual_add_f32 v9, v9, v15 :: v_dual_mov_b32 v116, v135
	v_dual_add_f32 v11, v11, v23 :: v_dual_fma_f32 v15, v170, v122, -v33
	v_dual_fmac_f32 v19, v171, v122 :: v_dual_add_f32 v9, v9, v17
	v_dual_mul_f32 v191, v174, v127 :: v_dual_mul_f32 v193, v144, v129
	s_delay_alu instid0(VALU_DEP_3) | instskip(NEXT) | instid1(VALU_DEP_3)
	v_dual_add_f32 v11, v11, v13 :: v_dual_fmac_f32 v21, v173, v124
	v_dual_fma_f32 v13, v172, v124, -v35 :: v_dual_add_f32 v9, v9, v19
	s_delay_alu instid0(VALU_DEP_3) | instskip(NEXT) | instid1(VALU_DEP_3)
	v_fmac_f32_e32 v191, v175, v126
	v_dual_add_f32 v11, v11, v15 :: v_dual_fma_f32 v190, v174, v126, -v37
	v_pk_mul_f32 v[112:113], v[182:183], v[112:113] op_sel_hi:[1,0]
	s_delay_alu instid0(VALU_DEP_4) | instskip(SKIP_1) | instid1(VALU_DEP_4)
	v_add_f32_e32 v121, v9, v21
	v_pk_mul_f32 v[114:115], v[148:149], v[132:133] op_sel:[1,1] op_sel_hi:[0,1]
	v_dual_add_f32 v120, v11, v13 :: v_dual_fmac_f32 v193, v145, v128
	s_wait_loadcnt 0x3
	v_dual_mov_b32 v122, v139 :: v_dual_fma_f32 v192, v144, v128, -v39
	v_pk_fma_f32 v[124:125], v[146:147], v[130:131], v[112:113] op_sel_hi:[1,0,1]
	s_delay_alu instid0(VALU_DEP_3)
	v_pk_add_f32 v[120:121], v[120:121], v[190:191]
	v_pk_fma_f32 v[112:113], v[146:147], v[130:131], v[112:113] neg_lo:[0,0,1] neg_hi:[0,0,1]
	v_pk_fma_f32 v[126:127], v[148:149], v[132:133], v[114:115] op_sel_hi:[1,0,1]
	v_pk_mul_f32 v[116:117], v[184:185], v[116:117] op_sel_hi:[1,0]
	v_mov_b32_e32 v113, v125
	v_pk_add_f32 v[120:121], v[120:121], v[192:193]
	v_pk_fma_f32 v[114:115], v[148:149], v[132:133], v[114:115] neg_lo:[0,0,1] neg_hi:[0,0,1]
	v_pk_mul_f32 v[118:119], v[152:153], v[136:137] op_sel:[1,1] op_sel_hi:[0,1]
	v_mov_b32_e32 v115, v127
	v_pk_fma_f32 v[126:127], v[150:151], v[134:135], v[116:117] op_sel_hi:[1,0,1]
	v_pk_add_f32 v[112:113], v[120:121], v[112:113]
	v_pk_fma_f32 v[116:117], v[150:151], v[134:135], v[116:117] neg_lo:[0,0,1] neg_hi:[0,0,1]
	v_pk_fma_f32 v[120:121], v[152:153], v[136:137], v[118:119] op_sel_hi:[1,0,1]
	v_pk_mul_f32 v[122:123], v[186:187], v[122:123] op_sel_hi:[1,0]
	v_mov_b32_e32 v117, v127
	v_pk_add_f32 v[112:113], v[112:113], v[114:115]
	v_pk_fma_f32 v[118:119], v[152:153], v[136:137], v[118:119] neg_lo:[0,0,1] neg_hi:[0,0,1]
	s_wait_loadcnt 0x2
	v_pk_mul_f32 v[124:125], v[156:157], v[140:141] op_sel:[1,1] op_sel_hi:[0,1]
	v_dual_mov_b32 v114, v143 :: v_dual_mov_b32 v119, v121
	v_pk_fma_f32 v[120:121], v[154:155], v[138:139], v[122:123] op_sel_hi:[1,0,1]
	v_pk_add_f32 v[112:113], v[112:113], v[116:117]
	v_pk_fma_f32 v[122:123], v[154:155], v[138:139], v[122:123] neg_lo:[0,0,1] neg_hi:[0,0,1]
	v_pk_fma_f32 v[116:117], v[156:157], v[140:141], v[124:125] op_sel_hi:[1,0,1]
	v_pk_mul_f32 v[114:115], v[188:189], v[114:115] op_sel_hi:[1,0]
	v_mov_b32_e32 v123, v121
	v_pk_add_f32 v[112:113], v[112:113], v[118:119]
	v_pk_fma_f32 v[118:119], v[156:157], v[140:141], v[124:125] neg_lo:[0,0,1] neg_hi:[0,0,1]
	v_mov_b32_e32 v119, v117
	v_pk_fma_f32 v[116:117], v[158:159], v[142:143], v[114:115] op_sel_hi:[1,0,1]
	s_wait_loadcnt_dscnt 0x100
	v_pk_mul_f32 v[120:121], v[180:181], v[176:177] op_sel:[1,1] op_sel_hi:[0,1]
	v_pk_add_f32 v[112:113], v[112:113], v[122:123]
	v_pk_fma_f32 v[114:115], v[158:159], v[142:143], v[114:115] neg_lo:[0,0,1] neg_hi:[0,0,1]
	v_mov_b32_e32 v115, v117
	s_delay_alu instid0(VALU_DEP_4) | instskip(NEXT) | instid1(VALU_DEP_4)
	v_pk_fma_f32 v[116:117], v[180:181], v[176:177], v[120:121] op_sel_hi:[1,0,1]
	v_pk_add_f32 v[112:113], v[112:113], v[118:119]
	v_pk_fma_f32 v[118:119], v[180:181], v[176:177], v[120:121] neg_lo:[0,0,1] neg_hi:[0,0,1]
	s_delay_alu instid0(VALU_DEP_3) | instskip(NEXT) | instid1(VALU_DEP_3)
	v_mov_b32_e32 v119, v117
	v_pk_add_f32 v[112:113], v[112:113], v[114:115]
	s_delay_alu instid0(VALU_DEP_1) | instskip(SKIP_1) | instid1(VALU_DEP_1)
	v_pk_add_f32 v[112:113], v[112:113], v[118:119]
	s_wait_loadcnt 0x0
	v_pk_add_f32 v[112:113], v[178:179], v[112:113] neg_lo:[0,1] neg_hi:[0,1]
	scratch_store_b64 off, v[112:113], off offset:296
	s_wait_xcnt 0x0
	v_cmpx_lt_u32_e32 36, v0
	s_cbranch_execz .LBB118_271
; %bb.270:
	scratch_load_b64 v[112:113], off, off offset:288
	v_mov_b64_e32 v[114:115], 0
	scratch_store_b64 off, v[114:115], off offset:288
	s_wait_loadcnt 0x0
	ds_store_b64 v1, v[112:113]
.LBB118_271:
	s_wait_xcnt 0x0
	s_or_b32 exec_lo, exec_lo, s0
	s_wait_storecnt_dscnt 0x0
	s_barrier_signal -1
	s_barrier_wait -1
	s_clause 0x9
	scratch_load_b128 v[112:115], off, off offset:296
	scratch_load_b128 v[116:119], off, off offset:312
	;; [unrolled: 1-line block ×9, first 2 shown]
	scratch_load_b64 v[184:185], off, off offset:288
	ds_load_2addr_b64 v[148:151], v7 offset0:103 offset1:104
	ds_load_2addr_b64 v[152:155], v7 offset0:105 offset1:106
	;; [unrolled: 1-line block ×9, first 2 shown]
	s_mov_b32 s0, exec_lo
	s_wait_dscnt 0x8
	v_dual_mov_b32 v186, v151 :: v_dual_mov_b32 v187, v150
	s_wait_dscnt 0x7
	v_dual_mov_b32 v188, v155 :: v_dual_mov_b32 v189, v154
	;; [unrolled: 2-line block ×4, first 2 shown]
	s_wait_loadcnt_dscnt 0x904
	v_dual_mul_f32 v7, v164, v113 :: v_dual_mul_f32 v9, v166, v115
	v_dual_mul_f32 v23, v165, v113 :: v_dual_mul_f32 v25, v167, v115
	s_wait_loadcnt_dscnt 0x803
	v_dual_mul_f32 v11, v168, v117 :: v_dual_mul_f32 v13, v170, v119
	s_delay_alu instid0(VALU_DEP_3) | instskip(SKIP_3) | instid1(VALU_DEP_3)
	v_dual_fmac_f32 v7, v165, v112 :: v_dual_fmac_f32 v9, v167, v114
	s_wait_loadcnt_dscnt 0x601
	v_dual_fma_f32 v23, v164, v112, -v23 :: v_dual_mul_f32 v35, v177, v125
	v_dual_mul_f32 v27, v169, v117 :: v_dual_mul_f32 v29, v171, v119
	v_dual_fma_f32 v25, v166, v114, -v25 :: v_dual_add_f32 v7, 0, v7
	s_delay_alu instid0(VALU_DEP_3) | instskip(SKIP_1) | instid1(VALU_DEP_4)
	v_dual_add_f32 v23, 0, v23 :: v_dual_fmac_f32 v11, v169, v116
	v_dual_mul_f32 v15, v172, v121 :: v_dual_mul_f32 v17, v174, v123
	v_dual_mul_f32 v37, v179, v127 :: v_dual_fma_f32 v27, v168, v116, -v27
	s_delay_alu instid0(VALU_DEP_4) | instskip(NEXT) | instid1(VALU_DEP_3)
	v_add_f32_e32 v7, v7, v9
	v_dual_add_f32 v9, v23, v25 :: v_dual_fmac_f32 v15, v173, v120
	v_dual_mul_f32 v31, v173, v121 :: v_dual_mul_f32 v33, v175, v123
	s_wait_loadcnt_dscnt 0x500
	v_dual_mul_f32 v23, v181, v129 :: v_dual_fmac_f32 v13, v171, v118
	v_dual_fma_f32 v25, v170, v118, -v29 :: v_dual_add_f32 v7, v7, v11
	s_delay_alu instid0(VALU_DEP_3) | instskip(SKIP_1) | instid1(VALU_DEP_3)
	v_dual_add_f32 v9, v9, v27 :: v_dual_fma_f32 v27, v172, v120, -v31
	v_dual_mul_f32 v19, v176, v125 :: v_dual_mul_f32 v21, v178, v127
	v_add_f32_e32 v7, v7, v13
	s_delay_alu instid0(VALU_DEP_3) | instskip(SKIP_1) | instid1(VALU_DEP_3)
	v_dual_mul_f32 v11, v183, v131 :: v_dual_add_f32 v9, v9, v25
	v_fmac_f32_e32 v17, v175, v122
	v_dual_fma_f32 v13, v174, v122, -v33 :: v_dual_add_f32 v7, v7, v15
	s_wait_loadcnt 0x4
	v_dual_mov_b32 v114, v135 :: v_dual_fmac_f32 v19, v177, v124
	v_dual_add_f32 v9, v9, v27 :: v_dual_fma_f32 v15, v176, v124, -v35
	s_delay_alu instid0(VALU_DEP_3) | instskip(SKIP_1) | instid1(VALU_DEP_3)
	v_add_f32_e32 v7, v7, v17
	v_dual_mul_f32 v195, v180, v129 :: v_dual_mul_f32 v197, v182, v131
	v_dual_add_f32 v9, v9, v13 :: v_dual_fmac_f32 v21, v179, v126
	s_delay_alu instid0(VALU_DEP_3) | instskip(SKIP_2) | instid1(VALU_DEP_3)
	v_dual_fma_f32 v13, v178, v126, -v37 :: v_dual_add_f32 v7, v7, v19
	v_pk_mul_f32 v[112:113], v[148:149], v[132:133] op_sel:[1,1] op_sel_hi:[0,1]
	s_wait_loadcnt 0x3
	v_dual_add_f32 v9, v9, v15 :: v_dual_mov_b32 v118, v139
	s_delay_alu instid0(VALU_DEP_3) | instskip(NEXT) | instid1(VALU_DEP_2)
	v_dual_fmac_f32 v195, v181, v128 :: v_dual_add_f32 v121, v7, v21
	v_dual_fma_f32 v194, v180, v128, -v23 :: v_dual_add_f32 v120, v9, v13
	v_dual_fmac_f32 v197, v183, v130 :: v_dual_fma_f32 v196, v182, v130, -v11
	v_pk_fma_f32 v[122:123], v[148:149], v[132:133], v[112:113] op_sel_hi:[1,0,1]
	v_pk_mul_f32 v[114:115], v[186:187], v[114:115] op_sel_hi:[1,0]
	s_delay_alu instid0(VALU_DEP_4)
	v_pk_add_f32 v[120:121], v[120:121], v[194:195]
	v_pk_fma_f32 v[112:113], v[148:149], v[132:133], v[112:113] neg_lo:[0,0,1] neg_hi:[0,0,1]
	v_pk_mul_f32 v[116:117], v[152:153], v[136:137] op_sel:[1,1] op_sel_hi:[0,1]
	v_mov_b32_e32 v113, v123
	v_pk_fma_f32 v[122:123], v[150:151], v[134:135], v[114:115] op_sel_hi:[1,0,1]
	v_pk_add_f32 v[120:121], v[120:121], v[196:197]
	v_pk_fma_f32 v[114:115], v[150:151], v[134:135], v[114:115] neg_lo:[0,0,1] neg_hi:[0,0,1]
	v_pk_fma_f32 v[126:127], v[152:153], v[136:137], v[116:117] op_sel_hi:[1,0,1]
	v_pk_mul_f32 v[118:119], v[188:189], v[118:119] op_sel_hi:[1,0]
	v_mov_b32_e32 v115, v123
	v_pk_add_f32 v[112:113], v[120:121], v[112:113]
	s_wait_loadcnt 0x2
	v_pk_mul_f32 v[124:125], v[156:157], v[140:141] op_sel:[1,1] op_sel_hi:[0,1]
	v_mov_b32_e32 v120, v143
	v_pk_fma_f32 v[116:117], v[152:153], v[136:137], v[116:117] neg_lo:[0,0,1] neg_hi:[0,0,1]
	v_mov_b32_e32 v117, v127
	v_pk_fma_f32 v[122:123], v[154:155], v[138:139], v[118:119] op_sel_hi:[1,0,1]
	v_pk_add_f32 v[112:113], v[112:113], v[114:115]
	v_pk_fma_f32 v[114:115], v[156:157], v[140:141], v[124:125] op_sel_hi:[1,0,1]
	v_pk_mul_f32 v[120:121], v[190:191], v[120:121] op_sel_hi:[1,0]
	v_pk_fma_f32 v[118:119], v[154:155], v[138:139], v[118:119] neg_lo:[0,0,1] neg_hi:[0,0,1]
	v_mov_b32_e32 v119, v123
	v_pk_add_f32 v[112:113], v[112:113], v[116:117]
	v_pk_fma_f32 v[122:123], v[156:157], v[140:141], v[124:125] neg_lo:[0,0,1] neg_hi:[0,0,1]
	v_mov_b32_e32 v123, v115
	v_pk_fma_f32 v[114:115], v[158:159], v[142:143], v[120:121] op_sel_hi:[1,0,1]
	s_wait_loadcnt 0x1
	v_pk_mul_f32 v[116:117], v[160:161], v[144:145] op_sel:[1,1] op_sel_hi:[0,1]
	v_pk_add_f32 v[112:113], v[112:113], v[118:119]
	v_mov_b32_e32 v114, v147
	v_pk_fma_f32 v[120:121], v[158:159], v[142:143], v[120:121] neg_lo:[0,0,1] neg_hi:[0,0,1]
	v_mov_b32_e32 v121, v115
	v_pk_fma_f32 v[118:119], v[160:161], v[144:145], v[116:117] op_sel_hi:[1,0,1]
	v_pk_add_f32 v[112:113], v[112:113], v[122:123]
	v_pk_mul_f32 v[114:115], v[192:193], v[114:115] op_sel_hi:[1,0]
	v_pk_fma_f32 v[116:117], v[160:161], v[144:145], v[116:117] neg_lo:[0,0,1] neg_hi:[0,0,1]
	s_delay_alu instid0(VALU_DEP_4) | instskip(NEXT) | instid1(VALU_DEP_4)
	v_mov_b32_e32 v117, v119
	v_pk_add_f32 v[112:113], v[112:113], v[120:121]
	s_delay_alu instid0(VALU_DEP_4) | instskip(SKIP_1) | instid1(VALU_DEP_2)
	v_pk_fma_f32 v[118:119], v[162:163], v[146:147], v[114:115] op_sel_hi:[1,0,1]
	v_pk_fma_f32 v[114:115], v[162:163], v[146:147], v[114:115] neg_lo:[0,0,1] neg_hi:[0,0,1]
	v_mov_b32_e32 v115, v119
	s_delay_alu instid0(VALU_DEP_4) | instskip(NEXT) | instid1(VALU_DEP_1)
	v_pk_add_f32 v[112:113], v[112:113], v[116:117]
	v_pk_add_f32 v[112:113], v[112:113], v[114:115]
	s_wait_loadcnt 0x0
	s_delay_alu instid0(VALU_DEP_1)
	v_pk_add_f32 v[112:113], v[184:185], v[112:113] neg_lo:[0,1] neg_hi:[0,1]
	scratch_store_b64 off, v[112:113], off offset:288
	s_wait_xcnt 0x0
	v_cmpx_lt_u32_e32 35, v0
	s_cbranch_execz .LBB118_273
; %bb.272:
	scratch_load_b64 v[112:113], off, off offset:280
	v_mov_b64_e32 v[114:115], 0
	scratch_store_b64 off, v[114:115], off offset:280
	s_wait_loadcnt 0x0
	ds_store_b64 v1, v[112:113]
.LBB118_273:
	s_wait_xcnt 0x0
	s_or_b32 exec_lo, exec_lo, s0
	s_wait_storecnt_dscnt 0x0
	s_barrier_signal -1
	s_barrier_wait -1
	s_clause 0xa
	scratch_load_b128 v[112:115], off, off offset:288
	scratch_load_b128 v[116:119], off, off offset:304
	;; [unrolled: 1-line block ×9, first 2 shown]
	scratch_load_b64 v[184:185], off, off offset:432
	scratch_load_b64 v[186:187], off, off offset:280
	v_mov_b32_e32 v7, 0
	ds_load_b128 v[148:151], v7 offset:816
	ds_load_b128 v[152:155], v7 offset:832
	;; [unrolled: 1-line block ×9, first 2 shown]
	ds_load_b64 v[188:189], v7 offset:880
	s_mov_b32 s0, exec_lo
	s_wait_dscnt 0x9
	v_dual_mov_b32 v190, v151 :: v_dual_mov_b32 v191, v150
	s_wait_dscnt 0x6
	v_dual_mov_b32 v192, v155 :: v_dual_mov_b32 v197, v162
	v_dual_mov_b32 v193, v154 :: v_dual_mov_b32 v194, v159
	;; [unrolled: 1-line block ×3, first 2 shown]
	s_wait_loadcnt_dscnt 0xa05
	v_dual_mul_f32 v9, v164, v113 :: v_dual_mul_f32 v27, v165, v113
	v_dual_mul_f32 v29, v167, v115 :: v_dual_mul_f32 v11, v166, v115
	s_wait_loadcnt_dscnt 0x904
	v_mul_f32_e32 v13, v168, v117
	s_wait_loadcnt_dscnt 0x702
	v_dual_mul_f32 v39, v177, v125 :: v_dual_fma_f32 v27, v164, v112, -v27
	v_dual_fmac_f32 v9, v165, v112 :: v_dual_mul_f32 v41, v179, v127
	v_dual_mul_f32 v31, v169, v117 :: v_dual_mul_f32 v33, v171, v119
	v_dual_fmac_f32 v11, v167, v114 :: v_dual_fma_f32 v29, v166, v114, -v29
	s_delay_alu instid0(VALU_DEP_3) | instskip(SKIP_4) | instid1(VALU_DEP_3)
	v_dual_add_f32 v9, 0, v9 :: v_dual_add_f32 v27, 0, v27
	v_dual_mul_f32 v15, v170, v119 :: v_dual_mul_f32 v17, v172, v121
	s_wait_loadcnt_dscnt 0x601
	v_dual_mul_f32 v43, v181, v129 :: v_dual_fma_f32 v31, v168, v116, -v31
	v_fmac_f32_e32 v13, v169, v116
	v_dual_add_f32 v9, v9, v11 :: v_dual_fmac_f32 v15, v171, v118
	v_add_f32_e32 v11, v27, v29
	v_dual_mul_f32 v35, v173, v121 :: v_dual_mul_f32 v37, v175, v123
	v_dual_mul_f32 v27, v183, v131 :: v_dual_fma_f32 v29, v170, v118, -v33
	s_delay_alu instid0(VALU_DEP_3) | instskip(SKIP_3) | instid1(VALU_DEP_3)
	v_dual_add_f32 v9, v9, v13 :: v_dual_add_f32 v11, v11, v31
	v_dual_mul_f32 v19, v174, v123 :: v_dual_mul_f32 v21, v176, v125
	s_wait_loadcnt 0x5
	v_dual_mul_f32 v13, v149, v133 :: v_dual_fma_f32 v31, v172, v120, -v35
	v_dual_fmac_f32 v17, v173, v120 :: v_dual_add_f32 v11, v11, v29
	v_dual_add_f32 v9, v9, v15 :: v_dual_mov_b32 v112, v135
	v_dual_fmac_f32 v19, v175, v122 :: v_dual_fma_f32 v15, v174, v122, -v37
	s_delay_alu instid0(VALU_DEP_2) | instskip(SKIP_3) | instid1(VALU_DEP_3)
	v_dual_add_f32 v11, v11, v31 :: v_dual_add_f32 v9, v9, v17
	v_dual_mul_f32 v23, v178, v127 :: v_dual_mul_f32 v25, v180, v129
	v_dual_fmac_f32 v21, v177, v124 :: v_dual_fma_f32 v17, v176, v124, -v39
	s_wait_loadcnt 0x4
	v_dual_add_f32 v9, v9, v19 :: v_dual_mov_b32 v116, v139
	v_dual_add_f32 v11, v11, v15 :: v_dual_fma_f32 v15, v178, v126, -v41
	s_delay_alu instid0(VALU_DEP_2) | instskip(SKIP_1) | instid1(VALU_DEP_3)
	v_dual_fmac_f32 v23, v179, v126 :: v_dual_add_f32 v9, v9, v21
	v_dual_mul_f32 v199, v182, v131 :: v_dual_mul_f32 v201, v148, v133
	v_dual_add_f32 v11, v11, v17 :: v_dual_fmac_f32 v25, v181, v128
	s_delay_alu instid0(VALU_DEP_3) | instskip(NEXT) | instid1(VALU_DEP_3)
	v_dual_fma_f32 v17, v180, v128, -v43 :: v_dual_add_f32 v9, v9, v23
	v_fmac_f32_e32 v199, v183, v130
	s_delay_alu instid0(VALU_DEP_3) | instskip(SKIP_1) | instid1(VALU_DEP_4)
	v_dual_add_f32 v11, v11, v15 :: v_dual_fma_f32 v198, v182, v130, -v27
	v_pk_mul_f32 v[112:113], v[190:191], v[112:113] op_sel_hi:[1,0]
	v_add_f32_e32 v121, v9, v25
	v_pk_mul_f32 v[114:115], v[152:153], v[136:137] op_sel:[1,1] op_sel_hi:[0,1]
	s_delay_alu instid0(VALU_DEP_4) | instskip(SKIP_3) | instid1(VALU_DEP_3)
	v_dual_add_f32 v120, v11, v17 :: v_dual_fmac_f32 v201, v149, v132
	s_wait_loadcnt 0x3
	v_dual_mov_b32 v122, v143 :: v_dual_fma_f32 v200, v148, v132, -v13
	v_pk_fma_f32 v[124:125], v[150:151], v[134:135], v[112:113] op_sel_hi:[1,0,1]
	v_pk_add_f32 v[120:121], v[120:121], v[198:199]
	v_pk_fma_f32 v[112:113], v[150:151], v[134:135], v[112:113] neg_lo:[0,0,1] neg_hi:[0,0,1]
	v_pk_fma_f32 v[126:127], v[152:153], v[136:137], v[114:115] op_sel_hi:[1,0,1]
	v_pk_mul_f32 v[116:117], v[192:193], v[116:117] op_sel_hi:[1,0]
	v_mov_b32_e32 v113, v125
	v_pk_add_f32 v[120:121], v[120:121], v[200:201]
	v_pk_fma_f32 v[114:115], v[152:153], v[136:137], v[114:115] neg_lo:[0,0,1] neg_hi:[0,0,1]
	v_pk_mul_f32 v[118:119], v[156:157], v[140:141] op_sel:[1,1] op_sel_hi:[0,1]
	v_mov_b32_e32 v115, v127
	v_pk_fma_f32 v[126:127], v[154:155], v[138:139], v[116:117] op_sel_hi:[1,0,1]
	v_pk_add_f32 v[112:113], v[120:121], v[112:113]
	v_pk_fma_f32 v[116:117], v[154:155], v[138:139], v[116:117] neg_lo:[0,0,1] neg_hi:[0,0,1]
	v_pk_fma_f32 v[120:121], v[156:157], v[140:141], v[118:119] op_sel_hi:[1,0,1]
	v_pk_mul_f32 v[122:123], v[194:195], v[122:123] op_sel_hi:[1,0]
	v_mov_b32_e32 v117, v127
	v_pk_add_f32 v[112:113], v[112:113], v[114:115]
	v_pk_fma_f32 v[118:119], v[156:157], v[140:141], v[118:119] neg_lo:[0,0,1] neg_hi:[0,0,1]
	s_wait_loadcnt 0x2
	v_pk_mul_f32 v[124:125], v[160:161], v[144:145] op_sel:[1,1] op_sel_hi:[0,1]
	v_dual_mov_b32 v114, v147 :: v_dual_mov_b32 v119, v121
	v_pk_fma_f32 v[120:121], v[158:159], v[142:143], v[122:123] op_sel_hi:[1,0,1]
	v_pk_add_f32 v[112:113], v[112:113], v[116:117]
	v_pk_fma_f32 v[122:123], v[158:159], v[142:143], v[122:123] neg_lo:[0,0,1] neg_hi:[0,0,1]
	v_pk_fma_f32 v[116:117], v[160:161], v[144:145], v[124:125] op_sel_hi:[1,0,1]
	v_pk_mul_f32 v[114:115], v[196:197], v[114:115] op_sel_hi:[1,0]
	v_mov_b32_e32 v123, v121
	v_pk_add_f32 v[112:113], v[112:113], v[118:119]
	v_pk_fma_f32 v[118:119], v[160:161], v[144:145], v[124:125] neg_lo:[0,0,1] neg_hi:[0,0,1]
	v_mov_b32_e32 v119, v117
	v_pk_fma_f32 v[116:117], v[162:163], v[146:147], v[114:115] op_sel_hi:[1,0,1]
	s_wait_loadcnt_dscnt 0x100
	v_pk_mul_f32 v[120:121], v[188:189], v[184:185] op_sel:[1,1] op_sel_hi:[0,1]
	v_pk_add_f32 v[112:113], v[112:113], v[122:123]
	v_pk_fma_f32 v[114:115], v[162:163], v[146:147], v[114:115] neg_lo:[0,0,1] neg_hi:[0,0,1]
	v_mov_b32_e32 v115, v117
	s_delay_alu instid0(VALU_DEP_4) | instskip(NEXT) | instid1(VALU_DEP_4)
	v_pk_fma_f32 v[116:117], v[188:189], v[184:185], v[120:121] op_sel_hi:[1,0,1]
	v_pk_add_f32 v[112:113], v[112:113], v[118:119]
	v_pk_fma_f32 v[118:119], v[188:189], v[184:185], v[120:121] neg_lo:[0,0,1] neg_hi:[0,0,1]
	s_delay_alu instid0(VALU_DEP_3) | instskip(NEXT) | instid1(VALU_DEP_3)
	v_mov_b32_e32 v119, v117
	v_pk_add_f32 v[112:113], v[112:113], v[114:115]
	s_delay_alu instid0(VALU_DEP_1) | instskip(SKIP_1) | instid1(VALU_DEP_1)
	v_pk_add_f32 v[112:113], v[112:113], v[118:119]
	s_wait_loadcnt 0x0
	v_pk_add_f32 v[112:113], v[186:187], v[112:113] neg_lo:[0,1] neg_hi:[0,1]
	scratch_store_b64 off, v[112:113], off offset:280
	s_wait_xcnt 0x0
	v_cmpx_lt_u32_e32 34, v0
	s_cbranch_execz .LBB118_275
; %bb.274:
	scratch_load_b64 v[112:113], off, off offset:272
	v_mov_b64_e32 v[114:115], 0
	scratch_store_b64 off, v[114:115], off offset:272
	s_wait_loadcnt 0x0
	ds_store_b64 v1, v[112:113]
.LBB118_275:
	s_wait_xcnt 0x0
	s_or_b32 exec_lo, exec_lo, s0
	s_wait_storecnt_dscnt 0x0
	s_barrier_signal -1
	s_barrier_wait -1
	s_clause 0xa
	scratch_load_b128 v[112:115], off, off offset:280
	scratch_load_b128 v[116:119], off, off offset:296
	;; [unrolled: 1-line block ×10, first 2 shown]
	scratch_load_b64 v[192:193], off, off offset:272
	ds_load_2addr_b64 v[152:155], v7 offset0:103 offset1:104
	ds_load_2addr_b64 v[156:159], v7 offset0:105 offset1:106
	;; [unrolled: 1-line block ×10, first 2 shown]
	s_mov_b32 s0, exec_lo
	s_wait_dscnt 0x9
	v_dual_mov_b32 v194, v155 :: v_dual_mov_b32 v195, v154
	s_wait_dscnt 0x8
	v_dual_mov_b32 v196, v159 :: v_dual_mov_b32 v197, v158
	s_wait_dscnt 0x7
	v_dual_mov_b32 v198, v163 :: v_dual_mov_b32 v199, v162
	s_wait_dscnt 0x6
	v_dual_mov_b32 v200, v167 :: v_dual_mov_b32 v201, v166
	s_wait_loadcnt_dscnt 0xa05
	v_dual_mul_f32 v7, v168, v113 :: v_dual_mul_f32 v9, v170, v115
	v_dual_mul_f32 v27, v169, v113 :: v_dual_mul_f32 v29, v171, v115
	s_wait_loadcnt_dscnt 0x904
	v_dual_mul_f32 v11, v172, v117 :: v_dual_mul_f32 v13, v174, v119
	s_delay_alu instid0(VALU_DEP_3) | instskip(SKIP_3) | instid1(VALU_DEP_3)
	v_dual_fmac_f32 v7, v169, v112 :: v_dual_fmac_f32 v9, v171, v114
	s_wait_loadcnt_dscnt 0x702
	v_dual_fma_f32 v27, v168, v112, -v27 :: v_dual_mul_f32 v39, v181, v125
	v_dual_mul_f32 v31, v173, v117 :: v_dual_mul_f32 v33, v175, v119
	v_dual_fma_f32 v29, v170, v114, -v29 :: v_dual_add_f32 v7, 0, v7
	s_delay_alu instid0(VALU_DEP_3) | instskip(SKIP_1) | instid1(VALU_DEP_4)
	v_dual_add_f32 v27, 0, v27 :: v_dual_fmac_f32 v11, v173, v116
	v_dual_mul_f32 v15, v176, v121 :: v_dual_mul_f32 v17, v178, v123
	v_dual_mul_f32 v41, v183, v127 :: v_dual_fma_f32 v31, v172, v116, -v31
	s_delay_alu instid0(VALU_DEP_4) | instskip(NEXT) | instid1(VALU_DEP_3)
	v_add_f32_e32 v7, v7, v9
	v_dual_add_f32 v9, v27, v29 :: v_dual_fmac_f32 v15, v177, v120
	v_dual_mul_f32 v35, v177, v121 :: v_dual_mul_f32 v37, v179, v123
	s_wait_loadcnt_dscnt 0x601
	v_dual_mul_f32 v27, v185, v129 :: v_dual_fmac_f32 v13, v175, v118
	v_dual_fma_f32 v29, v174, v118, -v33 :: v_dual_add_f32 v7, v7, v11
	s_delay_alu instid0(VALU_DEP_3) | instskip(SKIP_1) | instid1(VALU_DEP_3)
	v_dual_add_f32 v9, v9, v31 :: v_dual_fma_f32 v31, v176, v120, -v35
	v_dual_mul_f32 v19, v180, v125 :: v_dual_mul_f32 v21, v182, v127
	v_add_f32_e32 v7, v7, v13
	s_delay_alu instid0(VALU_DEP_3) | instskip(SKIP_2) | instid1(VALU_DEP_3)
	v_dual_mul_f32 v11, v187, v131 :: v_dual_add_f32 v9, v9, v29
	s_wait_loadcnt_dscnt 0x500
	v_dual_mul_f32 v13, v189, v133 :: v_dual_fmac_f32 v17, v179, v122
	v_dual_fma_f32 v29, v178, v122, -v37 :: v_dual_add_f32 v7, v7, v15
	s_delay_alu instid0(VALU_DEP_3) | instskip(SKIP_1) | instid1(VALU_DEP_3)
	v_dual_add_f32 v9, v9, v31 :: v_dual_fma_f32 v31, v180, v124, -v39
	v_dual_mul_f32 v15, v191, v135 :: v_dual_fmac_f32 v19, v181, v124
	v_dual_add_f32 v7, v7, v17 :: v_dual_fma_f32 v17, v182, v126, -v41
	s_delay_alu instid0(VALU_DEP_3) | instskip(SKIP_1) | instid1(VALU_DEP_3)
	v_dual_add_f32 v9, v9, v29 :: v_dual_fmac_f32 v21, v183, v126
	v_dual_mul_f32 v23, v184, v129 :: v_dual_mul_f32 v25, v186, v131
	v_add_f32_e32 v7, v7, v19
	s_wait_loadcnt 0x4
	s_delay_alu instid0(VALU_DEP_3) | instskip(NEXT) | instid1(VALU_DEP_3)
	v_dual_add_f32 v9, v9, v31 :: v_dual_mov_b32 v114, v139
	v_fmac_f32_e32 v23, v185, v128
	s_delay_alu instid0(VALU_DEP_3) | instskip(NEXT) | instid1(VALU_DEP_3)
	v_dual_fma_f32 v19, v184, v128, -v27 :: v_dual_add_f32 v7, v7, v21
	v_dual_add_f32 v9, v9, v17 :: v_dual_fmac_f32 v25, v187, v130
	v_dual_mul_f32 v203, v188, v133 :: v_dual_mul_f32 v205, v190, v135
	s_delay_alu instid0(VALU_DEP_3) | instskip(SKIP_1) | instid1(VALU_DEP_3)
	v_dual_fma_f32 v11, v186, v130, -v11 :: v_dual_add_f32 v7, v7, v23
	s_wait_loadcnt 0x3
	v_dual_add_f32 v9, v9, v19 :: v_dual_mov_b32 v118, v143
	v_pk_mul_f32 v[112:113], v[152:153], v[136:137] op_sel:[1,1] op_sel_hi:[0,1]
	v_dual_fmac_f32 v203, v189, v132 :: v_dual_fma_f32 v202, v188, v132, -v13
	s_delay_alu instid0(VALU_DEP_3) | instskip(SKIP_1) | instid1(VALU_DEP_4)
	v_dual_add_f32 v121, v7, v25 :: v_dual_add_f32 v120, v9, v11
	v_dual_fmac_f32 v205, v191, v134 :: v_dual_fma_f32 v204, v190, v134, -v15
	v_pk_fma_f32 v[122:123], v[152:153], v[136:137], v[112:113] op_sel_hi:[1,0,1]
	v_pk_mul_f32 v[114:115], v[194:195], v[114:115] op_sel_hi:[1,0]
	s_delay_alu instid0(VALU_DEP_4)
	v_pk_add_f32 v[120:121], v[120:121], v[202:203]
	v_pk_fma_f32 v[112:113], v[152:153], v[136:137], v[112:113] neg_lo:[0,0,1] neg_hi:[0,0,1]
	v_pk_mul_f32 v[116:117], v[156:157], v[140:141] op_sel:[1,1] op_sel_hi:[0,1]
	v_mov_b32_e32 v113, v123
	v_pk_fma_f32 v[122:123], v[154:155], v[138:139], v[114:115] op_sel_hi:[1,0,1]
	v_pk_add_f32 v[120:121], v[120:121], v[204:205]
	v_pk_fma_f32 v[114:115], v[154:155], v[138:139], v[114:115] neg_lo:[0,0,1] neg_hi:[0,0,1]
	v_pk_fma_f32 v[126:127], v[156:157], v[140:141], v[116:117] op_sel_hi:[1,0,1]
	v_pk_mul_f32 v[118:119], v[196:197], v[118:119] op_sel_hi:[1,0]
	v_mov_b32_e32 v115, v123
	v_pk_add_f32 v[112:113], v[120:121], v[112:113]
	s_wait_loadcnt 0x2
	v_pk_mul_f32 v[124:125], v[160:161], v[144:145] op_sel:[1,1] op_sel_hi:[0,1]
	v_mov_b32_e32 v120, v147
	v_pk_fma_f32 v[116:117], v[156:157], v[140:141], v[116:117] neg_lo:[0,0,1] neg_hi:[0,0,1]
	v_mov_b32_e32 v117, v127
	v_pk_fma_f32 v[122:123], v[158:159], v[142:143], v[118:119] op_sel_hi:[1,0,1]
	v_pk_add_f32 v[112:113], v[112:113], v[114:115]
	v_pk_fma_f32 v[114:115], v[160:161], v[144:145], v[124:125] op_sel_hi:[1,0,1]
	v_pk_mul_f32 v[120:121], v[198:199], v[120:121] op_sel_hi:[1,0]
	v_pk_fma_f32 v[118:119], v[158:159], v[142:143], v[118:119] neg_lo:[0,0,1] neg_hi:[0,0,1]
	v_mov_b32_e32 v119, v123
	v_pk_add_f32 v[112:113], v[112:113], v[116:117]
	v_pk_fma_f32 v[122:123], v[160:161], v[144:145], v[124:125] neg_lo:[0,0,1] neg_hi:[0,0,1]
	v_mov_b32_e32 v123, v115
	v_pk_fma_f32 v[114:115], v[162:163], v[146:147], v[120:121] op_sel_hi:[1,0,1]
	s_wait_loadcnt 0x1
	v_pk_mul_f32 v[116:117], v[164:165], v[148:149] op_sel:[1,1] op_sel_hi:[0,1]
	v_pk_add_f32 v[112:113], v[112:113], v[118:119]
	v_mov_b32_e32 v114, v151
	v_pk_fma_f32 v[120:121], v[162:163], v[146:147], v[120:121] neg_lo:[0,0,1] neg_hi:[0,0,1]
	v_mov_b32_e32 v121, v115
	v_pk_fma_f32 v[118:119], v[164:165], v[148:149], v[116:117] op_sel_hi:[1,0,1]
	v_pk_add_f32 v[112:113], v[112:113], v[122:123]
	v_pk_mul_f32 v[114:115], v[200:201], v[114:115] op_sel_hi:[1,0]
	v_pk_fma_f32 v[116:117], v[164:165], v[148:149], v[116:117] neg_lo:[0,0,1] neg_hi:[0,0,1]
	s_delay_alu instid0(VALU_DEP_4) | instskip(NEXT) | instid1(VALU_DEP_4)
	v_mov_b32_e32 v117, v119
	v_pk_add_f32 v[112:113], v[112:113], v[120:121]
	s_delay_alu instid0(VALU_DEP_4) | instskip(SKIP_1) | instid1(VALU_DEP_2)
	v_pk_fma_f32 v[118:119], v[166:167], v[150:151], v[114:115] op_sel_hi:[1,0,1]
	v_pk_fma_f32 v[114:115], v[166:167], v[150:151], v[114:115] neg_lo:[0,0,1] neg_hi:[0,0,1]
	v_mov_b32_e32 v115, v119
	s_delay_alu instid0(VALU_DEP_4) | instskip(NEXT) | instid1(VALU_DEP_1)
	v_pk_add_f32 v[112:113], v[112:113], v[116:117]
	v_pk_add_f32 v[112:113], v[112:113], v[114:115]
	s_wait_loadcnt 0x0
	s_delay_alu instid0(VALU_DEP_1)
	v_pk_add_f32 v[112:113], v[192:193], v[112:113] neg_lo:[0,1] neg_hi:[0,1]
	scratch_store_b64 off, v[112:113], off offset:272
	s_wait_xcnt 0x0
	v_cmpx_lt_u32_e32 33, v0
	s_cbranch_execz .LBB118_277
; %bb.276:
	scratch_load_b64 v[112:113], off, off offset:264
	v_mov_b64_e32 v[114:115], 0
	scratch_store_b64 off, v[114:115], off offset:264
	s_wait_loadcnt 0x0
	ds_store_b64 v1, v[112:113]
.LBB118_277:
	s_wait_xcnt 0x0
	s_or_b32 exec_lo, exec_lo, s0
	s_wait_storecnt_dscnt 0x0
	s_barrier_signal -1
	s_barrier_wait -1
	s_clause 0xb
	scratch_load_b128 v[112:115], off, off offset:272
	scratch_load_b128 v[116:119], off, off offset:288
	;; [unrolled: 1-line block ×10, first 2 shown]
	scratch_load_b64 v[192:193], off, off offset:432
	scratch_load_b64 v[194:195], off, off offset:264
	v_mov_b32_e32 v7, 0
	ds_load_b128 v[152:155], v7 offset:816
	ds_load_b128 v[156:159], v7 offset:832
	;; [unrolled: 1-line block ×10, first 2 shown]
	ds_load_b64 v[196:197], v7 offset:880
	s_mov_b32 s0, exec_lo
	s_wait_dscnt 0xa
	v_dual_mov_b32 v198, v155 :: v_dual_mov_b32 v199, v154
	s_wait_dscnt 0x7
	v_dual_mov_b32 v200, v159 :: v_dual_mov_b32 v205, v166
	v_dual_mov_b32 v201, v158 :: v_dual_mov_b32 v202, v163
	;; [unrolled: 1-line block ×3, first 2 shown]
	s_wait_loadcnt_dscnt 0xb06
	v_dual_mul_f32 v9, v168, v113 :: v_dual_mul_f32 v31, v169, v113
	v_dual_mul_f32 v33, v171, v115 :: v_dual_mul_f32 v11, v170, v115
	s_wait_loadcnt_dscnt 0xa05
	v_mul_f32_e32 v13, v172, v117
	s_wait_loadcnt_dscnt 0x803
	v_dual_mul_f32 v43, v181, v125 :: v_dual_fma_f32 v31, v168, v112, -v31
	v_dual_fmac_f32 v9, v169, v112 :: v_dual_mul_f32 v45, v183, v127
	v_dual_mul_f32 v35, v173, v117 :: v_dual_mul_f32 v37, v175, v119
	v_dual_fmac_f32 v11, v171, v114 :: v_dual_fma_f32 v33, v170, v114, -v33
	s_delay_alu instid0(VALU_DEP_3) | instskip(SKIP_4) | instid1(VALU_DEP_3)
	v_dual_add_f32 v9, 0, v9 :: v_dual_add_f32 v31, 0, v31
	v_dual_mul_f32 v15, v174, v119 :: v_dual_mul_f32 v17, v176, v121
	s_wait_loadcnt_dscnt 0x702
	v_dual_mul_f32 v47, v185, v129 :: v_dual_fma_f32 v35, v172, v116, -v35
	v_fmac_f32_e32 v13, v173, v116
	v_dual_add_f32 v9, v9, v11 :: v_dual_fmac_f32 v15, v175, v118
	v_add_f32_e32 v11, v31, v33
	v_dual_mul_f32 v39, v177, v121 :: v_dual_mul_f32 v41, v179, v123
	v_dual_mul_f32 v31, v187, v131 :: v_dual_fma_f32 v33, v174, v118, -v37
	s_delay_alu instid0(VALU_DEP_3) | instskip(SKIP_3) | instid1(VALU_DEP_3)
	v_dual_add_f32 v9, v9, v13 :: v_dual_add_f32 v11, v11, v35
	v_dual_mul_f32 v19, v178, v123 :: v_dual_mul_f32 v21, v180, v125
	s_wait_loadcnt_dscnt 0x601
	v_dual_mul_f32 v13, v189, v133 :: v_dual_fma_f32 v35, v176, v120, -v39
	v_dual_fmac_f32 v17, v177, v120 :: v_dual_add_f32 v11, v11, v33
	s_delay_alu instid0(VALU_DEP_3) | instskip(SKIP_1) | instid1(VALU_DEP_2)
	v_dual_add_f32 v9, v9, v15 :: v_dual_fmac_f32 v19, v179, v122
	v_dual_mul_f32 v15, v191, v135 :: v_dual_fma_f32 v33, v178, v122, -v41
	v_dual_add_f32 v11, v11, v35 :: v_dual_add_f32 v9, v9, v17
	v_dual_mul_f32 v23, v182, v127 :: v_dual_mul_f32 v25, v184, v129
	s_wait_loadcnt 0x5
	v_dual_mul_f32 v17, v153, v137 :: v_dual_fma_f32 v35, v180, v124, -v43
	s_delay_alu instid0(VALU_DEP_3) | instskip(SKIP_2) | instid1(VALU_DEP_2)
	v_dual_fmac_f32 v21, v181, v124 :: v_dual_add_f32 v11, v11, v33
	v_dual_add_f32 v9, v9, v19 :: v_dual_mov_b32 v112, v139
	v_dual_fmac_f32 v23, v183, v126 :: v_dual_fma_f32 v19, v182, v126, -v45
	v_dual_add_f32 v11, v11, v35 :: v_dual_add_f32 v9, v9, v21
	v_dual_mul_f32 v27, v186, v131 :: v_dual_mul_f32 v29, v188, v133
	v_dual_fmac_f32 v25, v185, v128 :: v_dual_fma_f32 v21, v184, v128, -v47
	s_wait_loadcnt 0x4
	s_delay_alu instid0(VALU_DEP_3) | instskip(SKIP_1) | instid1(VALU_DEP_2)
	v_dual_add_f32 v9, v9, v23 :: v_dual_mov_b32 v116, v143
	v_dual_add_f32 v11, v11, v19 :: v_dual_fma_f32 v19, v186, v130, -v31
	v_dual_fmac_f32 v27, v187, v130 :: v_dual_add_f32 v9, v9, v25
	v_dual_mul_f32 v207, v190, v135 :: v_dual_mul_f32 v209, v152, v137
	s_delay_alu instid0(VALU_DEP_3) | instskip(NEXT) | instid1(VALU_DEP_3)
	v_dual_add_f32 v11, v11, v21 :: v_dual_fmac_f32 v29, v189, v132
	v_dual_fma_f32 v13, v188, v132, -v13 :: v_dual_add_f32 v9, v9, v27
	s_delay_alu instid0(VALU_DEP_3) | instskip(NEXT) | instid1(VALU_DEP_3)
	v_fmac_f32_e32 v207, v191, v134
	v_dual_add_f32 v11, v11, v19 :: v_dual_fma_f32 v206, v190, v134, -v15
	v_pk_mul_f32 v[112:113], v[198:199], v[112:113] op_sel_hi:[1,0]
	s_delay_alu instid0(VALU_DEP_4) | instskip(SKIP_1) | instid1(VALU_DEP_4)
	v_add_f32_e32 v121, v9, v29
	v_pk_mul_f32 v[114:115], v[156:157], v[140:141] op_sel:[1,1] op_sel_hi:[0,1]
	v_dual_add_f32 v120, v11, v13 :: v_dual_fmac_f32 v209, v153, v136
	s_wait_loadcnt 0x3
	v_dual_mov_b32 v122, v147 :: v_dual_fma_f32 v208, v152, v136, -v17
	v_pk_fma_f32 v[124:125], v[154:155], v[138:139], v[112:113] op_sel_hi:[1,0,1]
	s_delay_alu instid0(VALU_DEP_3)
	v_pk_add_f32 v[120:121], v[120:121], v[206:207]
	v_pk_fma_f32 v[112:113], v[154:155], v[138:139], v[112:113] neg_lo:[0,0,1] neg_hi:[0,0,1]
	v_pk_fma_f32 v[126:127], v[156:157], v[140:141], v[114:115] op_sel_hi:[1,0,1]
	v_pk_mul_f32 v[116:117], v[200:201], v[116:117] op_sel_hi:[1,0]
	v_mov_b32_e32 v113, v125
	v_pk_add_f32 v[120:121], v[120:121], v[208:209]
	v_pk_fma_f32 v[114:115], v[156:157], v[140:141], v[114:115] neg_lo:[0,0,1] neg_hi:[0,0,1]
	v_pk_mul_f32 v[118:119], v[160:161], v[144:145] op_sel:[1,1] op_sel_hi:[0,1]
	v_mov_b32_e32 v115, v127
	v_pk_fma_f32 v[126:127], v[158:159], v[142:143], v[116:117] op_sel_hi:[1,0,1]
	v_pk_add_f32 v[112:113], v[120:121], v[112:113]
	v_pk_fma_f32 v[116:117], v[158:159], v[142:143], v[116:117] neg_lo:[0,0,1] neg_hi:[0,0,1]
	v_pk_fma_f32 v[120:121], v[160:161], v[144:145], v[118:119] op_sel_hi:[1,0,1]
	v_pk_mul_f32 v[122:123], v[202:203], v[122:123] op_sel_hi:[1,0]
	v_mov_b32_e32 v117, v127
	v_pk_add_f32 v[112:113], v[112:113], v[114:115]
	v_pk_fma_f32 v[118:119], v[160:161], v[144:145], v[118:119] neg_lo:[0,0,1] neg_hi:[0,0,1]
	s_wait_loadcnt 0x2
	v_pk_mul_f32 v[124:125], v[164:165], v[148:149] op_sel:[1,1] op_sel_hi:[0,1]
	v_dual_mov_b32 v114, v151 :: v_dual_mov_b32 v119, v121
	v_pk_fma_f32 v[120:121], v[162:163], v[146:147], v[122:123] op_sel_hi:[1,0,1]
	v_pk_add_f32 v[112:113], v[112:113], v[116:117]
	v_pk_fma_f32 v[122:123], v[162:163], v[146:147], v[122:123] neg_lo:[0,0,1] neg_hi:[0,0,1]
	v_pk_fma_f32 v[116:117], v[164:165], v[148:149], v[124:125] op_sel_hi:[1,0,1]
	v_pk_mul_f32 v[114:115], v[204:205], v[114:115] op_sel_hi:[1,0]
	v_mov_b32_e32 v123, v121
	v_pk_add_f32 v[112:113], v[112:113], v[118:119]
	v_pk_fma_f32 v[118:119], v[164:165], v[148:149], v[124:125] neg_lo:[0,0,1] neg_hi:[0,0,1]
	v_mov_b32_e32 v119, v117
	v_pk_fma_f32 v[116:117], v[166:167], v[150:151], v[114:115] op_sel_hi:[1,0,1]
	s_wait_loadcnt_dscnt 0x100
	v_pk_mul_f32 v[120:121], v[196:197], v[192:193] op_sel:[1,1] op_sel_hi:[0,1]
	v_pk_add_f32 v[112:113], v[112:113], v[122:123]
	v_pk_fma_f32 v[114:115], v[166:167], v[150:151], v[114:115] neg_lo:[0,0,1] neg_hi:[0,0,1]
	v_mov_b32_e32 v115, v117
	s_delay_alu instid0(VALU_DEP_4) | instskip(NEXT) | instid1(VALU_DEP_4)
	v_pk_fma_f32 v[116:117], v[196:197], v[192:193], v[120:121] op_sel_hi:[1,0,1]
	v_pk_add_f32 v[112:113], v[112:113], v[118:119]
	v_pk_fma_f32 v[118:119], v[196:197], v[192:193], v[120:121] neg_lo:[0,0,1] neg_hi:[0,0,1]
	s_delay_alu instid0(VALU_DEP_3) | instskip(NEXT) | instid1(VALU_DEP_3)
	v_mov_b32_e32 v119, v117
	v_pk_add_f32 v[112:113], v[112:113], v[114:115]
	s_delay_alu instid0(VALU_DEP_1) | instskip(SKIP_1) | instid1(VALU_DEP_1)
	v_pk_add_f32 v[112:113], v[112:113], v[118:119]
	s_wait_loadcnt 0x0
	v_pk_add_f32 v[112:113], v[194:195], v[112:113] neg_lo:[0,1] neg_hi:[0,1]
	scratch_store_b64 off, v[112:113], off offset:264
	s_wait_xcnt 0x0
	v_cmpx_lt_u32_e32 32, v0
	s_cbranch_execz .LBB118_279
; %bb.278:
	scratch_load_b64 v[112:113], off, off offset:256
	v_mov_b64_e32 v[114:115], 0
	scratch_store_b64 off, v[114:115], off offset:256
	s_wait_loadcnt 0x0
	ds_store_b64 v1, v[112:113]
.LBB118_279:
	s_wait_xcnt 0x0
	s_or_b32 exec_lo, exec_lo, s0
	s_wait_storecnt_dscnt 0x0
	s_barrier_signal -1
	s_barrier_wait -1
	s_clause 0xb
	scratch_load_b128 v[112:115], off, off offset:264
	scratch_load_b128 v[116:119], off, off offset:280
	;; [unrolled: 1-line block ×11, first 2 shown]
	scratch_load_b64 v[200:201], off, off offset:256
	ds_load_2addr_b64 v[156:159], v7 offset0:103 offset1:104
	ds_load_2addr_b64 v[160:163], v7 offset0:105 offset1:106
	;; [unrolled: 1-line block ×11, first 2 shown]
	s_mov_b32 s0, exec_lo
	s_wait_dscnt 0xa
	v_dual_mov_b32 v202, v159 :: v_dual_mov_b32 v203, v158
	s_wait_dscnt 0x9
	v_dual_mov_b32 v204, v163 :: v_dual_mov_b32 v205, v162
	;; [unrolled: 2-line block ×4, first 2 shown]
	s_wait_loadcnt_dscnt 0xb06
	v_dual_mul_f32 v7, v172, v113 :: v_dual_mul_f32 v9, v174, v115
	v_dual_mul_f32 v31, v173, v113 :: v_dual_mul_f32 v33, v175, v115
	s_wait_loadcnt_dscnt 0xa05
	v_dual_mul_f32 v11, v176, v117 :: v_dual_mul_f32 v13, v178, v119
	s_delay_alu instid0(VALU_DEP_3) | instskip(SKIP_3) | instid1(VALU_DEP_3)
	v_dual_fmac_f32 v7, v173, v112 :: v_dual_fmac_f32 v9, v175, v114
	s_wait_loadcnt_dscnt 0x803
	v_dual_fma_f32 v31, v172, v112, -v31 :: v_dual_mul_f32 v43, v185, v125
	v_dual_mul_f32 v35, v177, v117 :: v_dual_mul_f32 v37, v179, v119
	v_dual_fma_f32 v33, v174, v114, -v33 :: v_dual_add_f32 v7, 0, v7
	s_delay_alu instid0(VALU_DEP_3) | instskip(SKIP_1) | instid1(VALU_DEP_4)
	v_dual_add_f32 v31, 0, v31 :: v_dual_fmac_f32 v11, v177, v116
	v_dual_mul_f32 v15, v180, v121 :: v_dual_mul_f32 v17, v182, v123
	v_dual_mul_f32 v45, v187, v127 :: v_dual_fma_f32 v35, v176, v116, -v35
	s_delay_alu instid0(VALU_DEP_4) | instskip(NEXT) | instid1(VALU_DEP_3)
	v_add_f32_e32 v7, v7, v9
	v_dual_add_f32 v9, v31, v33 :: v_dual_fmac_f32 v15, v181, v120
	v_dual_mul_f32 v39, v181, v121 :: v_dual_mul_f32 v41, v183, v123
	s_wait_loadcnt_dscnt 0x702
	v_dual_mul_f32 v31, v189, v129 :: v_dual_fmac_f32 v13, v179, v118
	v_dual_fma_f32 v33, v178, v118, -v37 :: v_dual_add_f32 v7, v7, v11
	s_delay_alu instid0(VALU_DEP_3) | instskip(SKIP_1) | instid1(VALU_DEP_3)
	v_dual_add_f32 v9, v9, v35 :: v_dual_fma_f32 v35, v180, v120, -v39
	v_dual_mul_f32 v19, v184, v125 :: v_dual_mul_f32 v21, v186, v127
	v_add_f32_e32 v7, v7, v13
	s_delay_alu instid0(VALU_DEP_3) | instskip(SKIP_2) | instid1(VALU_DEP_3)
	v_dual_mul_f32 v11, v191, v131 :: v_dual_add_f32 v9, v9, v33
	s_wait_loadcnt_dscnt 0x601
	v_dual_mul_f32 v13, v193, v133 :: v_dual_fmac_f32 v17, v183, v122
	v_dual_fma_f32 v33, v182, v122, -v41 :: v_dual_add_f32 v7, v7, v15
	s_delay_alu instid0(VALU_DEP_3) | instskip(SKIP_1) | instid1(VALU_DEP_3)
	v_dual_add_f32 v9, v9, v35 :: v_dual_fma_f32 v35, v184, v124, -v43
	v_dual_mul_f32 v15, v195, v135 :: v_dual_fmac_f32 v19, v185, v124
	v_add_f32_e32 v7, v7, v17
	s_delay_alu instid0(VALU_DEP_3)
	v_dual_add_f32 v9, v9, v33 :: v_dual_fmac_f32 v21, v187, v126
	v_dual_mul_f32 v23, v188, v129 :: v_dual_mul_f32 v25, v190, v131
	s_wait_loadcnt_dscnt 0x500
	v_dual_fma_f32 v33, v186, v126, -v45 :: v_dual_mul_f32 v17, v197, v137
	v_add_f32_e32 v7, v7, v19
	v_dual_add_f32 v9, v9, v35 :: v_dual_fma_f32 v31, v188, v128, -v31
	v_dual_mul_f32 v19, v199, v139 :: v_dual_fmac_f32 v23, v189, v128
	s_delay_alu instid0(VALU_DEP_3) | instskip(NEXT) | instid1(VALU_DEP_3)
	v_dual_add_f32 v7, v7, v21 :: v_dual_fma_f32 v11, v190, v130, -v11
	v_dual_add_f32 v9, v9, v33 :: v_dual_fmac_f32 v25, v191, v130
	v_dual_mul_f32 v27, v192, v133 :: v_dual_mul_f32 v29, v194, v135
	s_delay_alu instid0(VALU_DEP_3) | instskip(SKIP_1) | instid1(VALU_DEP_3)
	v_add_f32_e32 v7, v7, v23
	s_wait_loadcnt 0x4
	v_dual_add_f32 v9, v9, v31 :: v_dual_mov_b32 v114, v143
	s_delay_alu instid0(VALU_DEP_3) | instskip(NEXT) | instid1(VALU_DEP_2)
	v_dual_fmac_f32 v27, v193, v132 :: v_dual_fma_f32 v13, v192, v132, -v13
	v_dual_add_f32 v7, v7, v25 :: v_dual_add_f32 v9, v9, v11
	v_dual_fmac_f32 v29, v195, v134 :: v_dual_mul_f32 v211, v196, v137
	v_mul_f32_e32 v213, v198, v139
	s_delay_alu instid0(VALU_DEP_3) | instskip(SKIP_4) | instid1(VALU_DEP_3)
	v_dual_fma_f32 v11, v194, v134, -v15 :: v_dual_add_f32 v7, v7, v27
	s_wait_loadcnt 0x3
	v_dual_add_f32 v9, v9, v13 :: v_dual_mov_b32 v118, v147
	v_pk_mul_f32 v[112:113], v[156:157], v[140:141] op_sel:[1,1] op_sel_hi:[0,1]
	v_dual_fmac_f32 v211, v197, v136 :: v_dual_fma_f32 v210, v196, v136, -v17
	v_dual_add_f32 v121, v7, v29 :: v_dual_add_f32 v120, v9, v11
	v_dual_fmac_f32 v213, v199, v138 :: v_dual_fma_f32 v212, v198, v138, -v19
	s_delay_alu instid0(VALU_DEP_4) | instskip(SKIP_1) | instid1(VALU_DEP_4)
	v_pk_fma_f32 v[122:123], v[156:157], v[140:141], v[112:113] op_sel_hi:[1,0,1]
	v_pk_mul_f32 v[114:115], v[202:203], v[114:115] op_sel_hi:[1,0]
	v_pk_add_f32 v[120:121], v[120:121], v[210:211]
	v_pk_fma_f32 v[112:113], v[156:157], v[140:141], v[112:113] neg_lo:[0,0,1] neg_hi:[0,0,1]
	v_pk_mul_f32 v[116:117], v[160:161], v[144:145] op_sel:[1,1] op_sel_hi:[0,1]
	v_mov_b32_e32 v113, v123
	v_pk_fma_f32 v[122:123], v[158:159], v[142:143], v[114:115] op_sel_hi:[1,0,1]
	v_pk_add_f32 v[120:121], v[120:121], v[212:213]
	v_pk_fma_f32 v[114:115], v[158:159], v[142:143], v[114:115] neg_lo:[0,0,1] neg_hi:[0,0,1]
	v_pk_fma_f32 v[126:127], v[160:161], v[144:145], v[116:117] op_sel_hi:[1,0,1]
	v_pk_mul_f32 v[118:119], v[204:205], v[118:119] op_sel_hi:[1,0]
	v_mov_b32_e32 v115, v123
	v_pk_add_f32 v[112:113], v[120:121], v[112:113]
	s_wait_loadcnt 0x2
	v_pk_mul_f32 v[124:125], v[164:165], v[148:149] op_sel:[1,1] op_sel_hi:[0,1]
	v_mov_b32_e32 v120, v151
	v_pk_fma_f32 v[116:117], v[160:161], v[144:145], v[116:117] neg_lo:[0,0,1] neg_hi:[0,0,1]
	v_mov_b32_e32 v117, v127
	v_pk_fma_f32 v[122:123], v[162:163], v[146:147], v[118:119] op_sel_hi:[1,0,1]
	v_pk_add_f32 v[112:113], v[112:113], v[114:115]
	v_pk_fma_f32 v[114:115], v[164:165], v[148:149], v[124:125] op_sel_hi:[1,0,1]
	v_pk_mul_f32 v[120:121], v[206:207], v[120:121] op_sel_hi:[1,0]
	v_pk_fma_f32 v[118:119], v[162:163], v[146:147], v[118:119] neg_lo:[0,0,1] neg_hi:[0,0,1]
	v_mov_b32_e32 v119, v123
	v_pk_add_f32 v[112:113], v[112:113], v[116:117]
	v_pk_fma_f32 v[122:123], v[164:165], v[148:149], v[124:125] neg_lo:[0,0,1] neg_hi:[0,0,1]
	v_mov_b32_e32 v123, v115
	v_pk_fma_f32 v[114:115], v[166:167], v[150:151], v[120:121] op_sel_hi:[1,0,1]
	s_wait_loadcnt 0x1
	v_pk_mul_f32 v[116:117], v[168:169], v[152:153] op_sel:[1,1] op_sel_hi:[0,1]
	v_pk_add_f32 v[112:113], v[112:113], v[118:119]
	v_mov_b32_e32 v114, v155
	v_pk_fma_f32 v[120:121], v[166:167], v[150:151], v[120:121] neg_lo:[0,0,1] neg_hi:[0,0,1]
	v_mov_b32_e32 v121, v115
	v_pk_fma_f32 v[118:119], v[168:169], v[152:153], v[116:117] op_sel_hi:[1,0,1]
	v_pk_add_f32 v[112:113], v[112:113], v[122:123]
	v_pk_mul_f32 v[114:115], v[208:209], v[114:115] op_sel_hi:[1,0]
	v_pk_fma_f32 v[116:117], v[168:169], v[152:153], v[116:117] neg_lo:[0,0,1] neg_hi:[0,0,1]
	s_delay_alu instid0(VALU_DEP_4) | instskip(NEXT) | instid1(VALU_DEP_4)
	v_mov_b32_e32 v117, v119
	v_pk_add_f32 v[112:113], v[112:113], v[120:121]
	s_delay_alu instid0(VALU_DEP_4) | instskip(SKIP_1) | instid1(VALU_DEP_2)
	v_pk_fma_f32 v[118:119], v[170:171], v[154:155], v[114:115] op_sel_hi:[1,0,1]
	v_pk_fma_f32 v[114:115], v[170:171], v[154:155], v[114:115] neg_lo:[0,0,1] neg_hi:[0,0,1]
	v_mov_b32_e32 v115, v119
	s_delay_alu instid0(VALU_DEP_4) | instskip(NEXT) | instid1(VALU_DEP_1)
	v_pk_add_f32 v[112:113], v[112:113], v[116:117]
	v_pk_add_f32 v[112:113], v[112:113], v[114:115]
	s_wait_loadcnt 0x0
	s_delay_alu instid0(VALU_DEP_1)
	v_pk_add_f32 v[112:113], v[200:201], v[112:113] neg_lo:[0,1] neg_hi:[0,1]
	scratch_store_b64 off, v[112:113], off offset:256
	s_wait_xcnt 0x0
	v_cmpx_lt_u32_e32 31, v0
	s_cbranch_execz .LBB118_281
; %bb.280:
	scratch_load_b64 v[112:113], off, off offset:248
	v_mov_b64_e32 v[114:115], 0
	scratch_store_b64 off, v[114:115], off offset:248
	s_wait_loadcnt 0x0
	ds_store_b64 v1, v[112:113]
.LBB118_281:
	s_wait_xcnt 0x0
	s_or_b32 exec_lo, exec_lo, s0
	s_wait_storecnt_dscnt 0x0
	s_barrier_signal -1
	s_barrier_wait -1
	s_clause 0xc
	scratch_load_b128 v[112:115], off, off offset:256
	scratch_load_b128 v[116:119], off, off offset:272
	;; [unrolled: 1-line block ×11, first 2 shown]
	scratch_load_b64 v[200:201], off, off offset:432
	scratch_load_b64 v[202:203], off, off offset:248
	v_mov_b32_e32 v7, 0
	ds_load_b128 v[156:159], v7 offset:816
	ds_load_b128 v[160:163], v7 offset:832
	;; [unrolled: 1-line block ×11, first 2 shown]
	ds_load_b64 v[204:205], v7 offset:880
	s_mov_b32 s0, exec_lo
	s_wait_dscnt 0xb
	v_dual_mov_b32 v206, v159 :: v_dual_mov_b32 v207, v158
	s_wait_dscnt 0x8
	v_dual_mov_b32 v208, v163 :: v_dual_mov_b32 v213, v170
	v_dual_mov_b32 v209, v162 :: v_dual_mov_b32 v210, v167
	;; [unrolled: 1-line block ×3, first 2 shown]
	s_wait_loadcnt_dscnt 0xc07
	v_dual_mul_f32 v9, v172, v113 :: v_dual_mul_f32 v35, v173, v113
	v_dual_mul_f32 v37, v175, v115 :: v_dual_mul_f32 v11, v174, v115
	s_wait_loadcnt_dscnt 0xb06
	v_mul_f32_e32 v13, v176, v117
	s_wait_loadcnt_dscnt 0x904
	v_dual_mul_f32 v47, v185, v125 :: v_dual_fma_f32 v35, v172, v112, -v35
	v_dual_fmac_f32 v9, v173, v112 :: v_dual_mul_f32 v49, v187, v127
	v_dual_mul_f32 v39, v177, v117 :: v_dual_mul_f32 v41, v179, v119
	v_dual_fmac_f32 v11, v175, v114 :: v_dual_fma_f32 v37, v174, v114, -v37
	s_delay_alu instid0(VALU_DEP_3) | instskip(SKIP_4) | instid1(VALU_DEP_3)
	v_dual_add_f32 v9, 0, v9 :: v_dual_add_f32 v35, 0, v35
	v_dual_mul_f32 v15, v178, v119 :: v_dual_mul_f32 v17, v180, v121
	s_wait_loadcnt_dscnt 0x803
	v_dual_mul_f32 v51, v189, v129 :: v_dual_fma_f32 v39, v176, v116, -v39
	v_fmac_f32_e32 v13, v177, v116
	v_dual_add_f32 v9, v9, v11 :: v_dual_fmac_f32 v15, v179, v118
	v_add_f32_e32 v11, v35, v37
	v_dual_mul_f32 v43, v181, v121 :: v_dual_mul_f32 v45, v183, v123
	v_dual_mul_f32 v35, v191, v131 :: v_dual_fma_f32 v37, v178, v118, -v41
	s_delay_alu instid0(VALU_DEP_3) | instskip(SKIP_3) | instid1(VALU_DEP_3)
	v_dual_add_f32 v9, v9, v13 :: v_dual_add_f32 v11, v11, v39
	v_dual_mul_f32 v19, v182, v123 :: v_dual_mul_f32 v21, v184, v125
	s_wait_loadcnt_dscnt 0x701
	v_dual_mul_f32 v13, v197, v133 :: v_dual_fma_f32 v39, v180, v120, -v43
	v_dual_fmac_f32 v17, v181, v120 :: v_dual_add_f32 v11, v11, v37
	s_delay_alu instid0(VALU_DEP_3) | instskip(SKIP_1) | instid1(VALU_DEP_2)
	v_dual_add_f32 v9, v9, v15 :: v_dual_fmac_f32 v19, v183, v122
	v_dual_mul_f32 v15, v199, v135 :: v_dual_fma_f32 v37, v182, v122, -v45
	v_dual_add_f32 v11, v11, v39 :: v_dual_add_f32 v9, v9, v17
	v_dual_mul_f32 v23, v186, v127 :: v_dual_mul_f32 v25, v188, v129
	s_wait_loadcnt 0x6
	v_dual_mul_f32 v17, v193, v137 :: v_dual_fma_f32 v39, v184, v124, -v47
	s_delay_alu instid0(VALU_DEP_3) | instskip(NEXT) | instid1(VALU_DEP_3)
	v_dual_fmac_f32 v21, v185, v124 :: v_dual_add_f32 v11, v11, v37
	v_dual_add_f32 v9, v9, v19 :: v_dual_fmac_f32 v23, v187, v126
	v_dual_mul_f32 v19, v195, v139 :: v_dual_fma_f32 v37, v186, v126, -v49
	s_delay_alu instid0(VALU_DEP_2) | instskip(SKIP_3) | instid1(VALU_DEP_3)
	v_dual_add_f32 v11, v11, v39 :: v_dual_add_f32 v9, v9, v21
	v_dual_mul_f32 v27, v190, v131 :: v_dual_mul_f32 v29, v196, v133
	s_wait_loadcnt 0x5
	v_dual_mul_f32 v21, v157, v141 :: v_dual_fma_f32 v39, v188, v128, -v51
	v_dual_fmac_f32 v25, v189, v128 :: v_dual_add_f32 v11, v11, v37
	v_dual_add_f32 v9, v9, v23 :: v_dual_mov_b32 v112, v143
	v_fmac_f32_e32 v27, v191, v130
	s_delay_alu instid0(VALU_DEP_3) | instskip(NEXT) | instid1(VALU_DEP_3)
	v_dual_fma_f32 v23, v190, v130, -v35 :: v_dual_add_f32 v11, v11, v39
	v_dual_add_f32 v9, v9, v25 :: v_dual_mul_f32 v31, v198, v135
	v_dual_mul_f32 v33, v192, v137 :: v_dual_fmac_f32 v29, v197, v132
	s_delay_alu instid0(VALU_DEP_3) | instskip(SKIP_1) | instid1(VALU_DEP_3)
	v_dual_add_f32 v11, v11, v23 :: v_dual_fma_f32 v13, v196, v132, -v13
	s_wait_loadcnt 0x4
	v_dual_add_f32 v9, v9, v27 :: v_dual_mov_b32 v116, v147
	v_fma_f32 v15, v198, v134, -v15
	v_fmac_f32_e32 v31, v199, v134
	v_dual_add_f32 v11, v11, v13 :: v_dual_fmac_f32 v33, v193, v136
	s_delay_alu instid0(VALU_DEP_4) | instskip(SKIP_1) | instid1(VALU_DEP_3)
	v_dual_add_f32 v9, v9, v29 :: v_dual_mul_f32 v215, v194, v139
	v_mul_f32_e32 v217, v156, v141
	v_dual_fma_f32 v13, v192, v136, -v17 :: v_dual_add_f32 v11, v11, v15
	s_delay_alu instid0(VALU_DEP_3) | instskip(NEXT) | instid1(VALU_DEP_4)
	v_dual_fma_f32 v214, v194, v138, -v19 :: v_dual_add_f32 v9, v9, v31
	v_fmac_f32_e32 v215, v195, v138
	v_pk_mul_f32 v[112:113], v[206:207], v[112:113] op_sel_hi:[1,0]
	s_delay_alu instid0(VALU_DEP_4) | instskip(NEXT) | instid1(VALU_DEP_4)
	v_dual_add_f32 v120, v11, v13 :: v_dual_fmac_f32 v217, v157, v140
	v_add_f32_e32 v121, v9, v33
	v_pk_mul_f32 v[114:115], v[160:161], v[144:145] op_sel:[1,1] op_sel_hi:[0,1]
	s_wait_loadcnt 0x3
	v_dual_mov_b32 v122, v151 :: v_dual_fma_f32 v216, v156, v140, -v21
	v_pk_fma_f32 v[124:125], v[158:159], v[142:143], v[112:113] op_sel_hi:[1,0,1]
	v_pk_add_f32 v[120:121], v[120:121], v[214:215]
	v_pk_fma_f32 v[112:113], v[158:159], v[142:143], v[112:113] neg_lo:[0,0,1] neg_hi:[0,0,1]
	v_pk_fma_f32 v[126:127], v[160:161], v[144:145], v[114:115] op_sel_hi:[1,0,1]
	v_pk_mul_f32 v[116:117], v[208:209], v[116:117] op_sel_hi:[1,0]
	v_mov_b32_e32 v113, v125
	v_pk_add_f32 v[120:121], v[120:121], v[216:217]
	v_pk_fma_f32 v[114:115], v[160:161], v[144:145], v[114:115] neg_lo:[0,0,1] neg_hi:[0,0,1]
	v_pk_mul_f32 v[118:119], v[164:165], v[148:149] op_sel:[1,1] op_sel_hi:[0,1]
	v_mov_b32_e32 v115, v127
	v_pk_fma_f32 v[126:127], v[162:163], v[146:147], v[116:117] op_sel_hi:[1,0,1]
	v_pk_add_f32 v[112:113], v[120:121], v[112:113]
	v_pk_fma_f32 v[116:117], v[162:163], v[146:147], v[116:117] neg_lo:[0,0,1] neg_hi:[0,0,1]
	v_pk_fma_f32 v[120:121], v[164:165], v[148:149], v[118:119] op_sel_hi:[1,0,1]
	v_pk_mul_f32 v[122:123], v[210:211], v[122:123] op_sel_hi:[1,0]
	v_mov_b32_e32 v117, v127
	v_pk_add_f32 v[112:113], v[112:113], v[114:115]
	v_pk_fma_f32 v[118:119], v[164:165], v[148:149], v[118:119] neg_lo:[0,0,1] neg_hi:[0,0,1]
	s_wait_loadcnt 0x2
	v_pk_mul_f32 v[124:125], v[168:169], v[152:153] op_sel:[1,1] op_sel_hi:[0,1]
	v_dual_mov_b32 v114, v155 :: v_dual_mov_b32 v119, v121
	v_pk_fma_f32 v[120:121], v[166:167], v[150:151], v[122:123] op_sel_hi:[1,0,1]
	v_pk_add_f32 v[112:113], v[112:113], v[116:117]
	v_pk_fma_f32 v[122:123], v[166:167], v[150:151], v[122:123] neg_lo:[0,0,1] neg_hi:[0,0,1]
	v_pk_fma_f32 v[116:117], v[168:169], v[152:153], v[124:125] op_sel_hi:[1,0,1]
	v_pk_mul_f32 v[114:115], v[212:213], v[114:115] op_sel_hi:[1,0]
	v_mov_b32_e32 v123, v121
	v_pk_add_f32 v[112:113], v[112:113], v[118:119]
	v_pk_fma_f32 v[118:119], v[168:169], v[152:153], v[124:125] neg_lo:[0,0,1] neg_hi:[0,0,1]
	v_mov_b32_e32 v119, v117
	v_pk_fma_f32 v[116:117], v[170:171], v[154:155], v[114:115] op_sel_hi:[1,0,1]
	s_wait_loadcnt_dscnt 0x100
	v_pk_mul_f32 v[120:121], v[204:205], v[200:201] op_sel:[1,1] op_sel_hi:[0,1]
	v_pk_add_f32 v[112:113], v[112:113], v[122:123]
	v_pk_fma_f32 v[114:115], v[170:171], v[154:155], v[114:115] neg_lo:[0,0,1] neg_hi:[0,0,1]
	v_mov_b32_e32 v115, v117
	s_delay_alu instid0(VALU_DEP_4) | instskip(NEXT) | instid1(VALU_DEP_4)
	v_pk_fma_f32 v[116:117], v[204:205], v[200:201], v[120:121] op_sel_hi:[1,0,1]
	v_pk_add_f32 v[112:113], v[112:113], v[118:119]
	v_pk_fma_f32 v[118:119], v[204:205], v[200:201], v[120:121] neg_lo:[0,0,1] neg_hi:[0,0,1]
	s_delay_alu instid0(VALU_DEP_3) | instskip(NEXT) | instid1(VALU_DEP_3)
	v_mov_b32_e32 v119, v117
	v_pk_add_f32 v[112:113], v[112:113], v[114:115]
	s_delay_alu instid0(VALU_DEP_1) | instskip(SKIP_1) | instid1(VALU_DEP_1)
	v_pk_add_f32 v[112:113], v[112:113], v[118:119]
	s_wait_loadcnt 0x0
	v_pk_add_f32 v[112:113], v[202:203], v[112:113] neg_lo:[0,1] neg_hi:[0,1]
	scratch_store_b64 off, v[112:113], off offset:248
	s_wait_xcnt 0x0
	v_cmpx_lt_u32_e32 30, v0
	s_cbranch_execz .LBB118_283
; %bb.282:
	scratch_load_b64 v[112:113], off, off offset:240
	v_mov_b64_e32 v[114:115], 0
	scratch_store_b64 off, v[114:115], off offset:240
	s_wait_loadcnt 0x0
	ds_store_b64 v1, v[112:113]
.LBB118_283:
	s_wait_xcnt 0x0
	s_or_b32 exec_lo, exec_lo, s0
	s_wait_storecnt_dscnt 0x0
	s_barrier_signal -1
	s_barrier_wait -1
	s_clause 0xc
	scratch_load_b128 v[112:115], off, off offset:248
	scratch_load_b128 v[116:119], off, off offset:264
	;; [unrolled: 1-line block ×12, first 2 shown]
	scratch_load_b64 v[208:209], off, off offset:240
	ds_load_2addr_b64 v[160:163], v7 offset0:103 offset1:104
	ds_load_2addr_b64 v[164:167], v7 offset0:105 offset1:106
	;; [unrolled: 1-line block ×12, first 2 shown]
	s_mov_b32 s0, exec_lo
	s_wait_dscnt 0xb
	v_dual_mov_b32 v210, v163 :: v_dual_mov_b32 v211, v162
	s_wait_dscnt 0xa
	v_dual_mov_b32 v212, v167 :: v_dual_mov_b32 v213, v166
	s_wait_dscnt 0x9
	v_dual_mov_b32 v214, v171 :: v_dual_mov_b32 v215, v170
	s_wait_dscnt 0x8
	v_dual_mov_b32 v216, v175 :: v_dual_mov_b32 v217, v174
	s_wait_loadcnt_dscnt 0xc07
	v_dual_mul_f32 v7, v176, v113 :: v_dual_mul_f32 v9, v178, v115
	v_dual_mul_f32 v35, v177, v113 :: v_dual_mul_f32 v37, v179, v115
	s_wait_loadcnt_dscnt 0xb06
	v_dual_mul_f32 v11, v180, v117 :: v_dual_mul_f32 v13, v182, v119
	s_delay_alu instid0(VALU_DEP_3) | instskip(SKIP_3) | instid1(VALU_DEP_3)
	v_dual_fmac_f32 v7, v177, v112 :: v_dual_fmac_f32 v9, v179, v114
	s_wait_loadcnt_dscnt 0x904
	v_dual_fma_f32 v35, v176, v112, -v35 :: v_dual_mul_f32 v47, v189, v125
	v_dual_mul_f32 v39, v181, v117 :: v_dual_mul_f32 v41, v183, v119
	v_dual_fma_f32 v37, v178, v114, -v37 :: v_dual_add_f32 v7, 0, v7
	s_delay_alu instid0(VALU_DEP_3) | instskip(SKIP_1) | instid1(VALU_DEP_4)
	v_dual_add_f32 v35, 0, v35 :: v_dual_fmac_f32 v11, v181, v116
	v_dual_mul_f32 v15, v184, v121 :: v_dual_mul_f32 v17, v186, v123
	v_dual_mul_f32 v49, v191, v127 :: v_dual_fma_f32 v39, v180, v116, -v39
	s_delay_alu instid0(VALU_DEP_4) | instskip(NEXT) | instid1(VALU_DEP_3)
	v_add_f32_e32 v7, v7, v9
	v_dual_add_f32 v9, v35, v37 :: v_dual_fmac_f32 v15, v185, v120
	v_dual_mul_f32 v43, v185, v121 :: v_dual_mul_f32 v45, v187, v123
	s_wait_loadcnt_dscnt 0x803
	v_dual_mul_f32 v35, v193, v129 :: v_dual_fmac_f32 v13, v183, v118
	v_dual_fma_f32 v37, v182, v118, -v41 :: v_dual_add_f32 v7, v7, v11
	s_delay_alu instid0(VALU_DEP_3) | instskip(SKIP_1) | instid1(VALU_DEP_3)
	v_dual_add_f32 v9, v9, v39 :: v_dual_fma_f32 v39, v184, v120, -v43
	v_dual_mul_f32 v19, v188, v125 :: v_dual_mul_f32 v21, v190, v127
	v_add_f32_e32 v7, v7, v13
	s_delay_alu instid0(VALU_DEP_3) | instskip(SKIP_2) | instid1(VALU_DEP_3)
	v_dual_mul_f32 v11, v195, v131 :: v_dual_add_f32 v9, v9, v37
	s_wait_loadcnt_dscnt 0x702
	v_dual_mul_f32 v13, v197, v133 :: v_dual_fmac_f32 v17, v187, v122
	v_dual_fma_f32 v37, v186, v122, -v45 :: v_dual_add_f32 v7, v7, v15
	s_delay_alu instid0(VALU_DEP_3) | instskip(SKIP_1) | instid1(VALU_DEP_3)
	v_dual_add_f32 v9, v9, v39 :: v_dual_fma_f32 v39, v188, v124, -v47
	v_dual_mul_f32 v15, v199, v135 :: v_dual_fmac_f32 v19, v189, v124
	v_add_f32_e32 v7, v7, v17
	s_delay_alu instid0(VALU_DEP_3)
	v_dual_add_f32 v9, v9, v37 :: v_dual_fmac_f32 v21, v191, v126
	v_dual_mul_f32 v23, v192, v129 :: v_dual_mul_f32 v25, v194, v131
	s_wait_loadcnt_dscnt 0x601
	v_dual_fma_f32 v37, v190, v126, -v49 :: v_dual_mul_f32 v17, v201, v137
	v_add_f32_e32 v7, v7, v19
	v_dual_add_f32 v9, v9, v39 :: v_dual_fma_f32 v35, v192, v128, -v35
	v_dual_mul_f32 v19, v203, v139 :: v_dual_fmac_f32 v23, v193, v128
	s_delay_alu instid0(VALU_DEP_3) | instskip(NEXT) | instid1(VALU_DEP_3)
	v_dual_add_f32 v7, v7, v21 :: v_dual_fma_f32 v11, v194, v130, -v11
	v_dual_add_f32 v9, v9, v37 :: v_dual_fmac_f32 v25, v195, v130
	v_dual_mul_f32 v27, v196, v133 :: v_dual_mul_f32 v29, v198, v135
	s_wait_loadcnt_dscnt 0x500
	s_delay_alu instid0(VALU_DEP_3) | instskip(NEXT) | instid1(VALU_DEP_3)
	v_dual_mul_f32 v21, v205, v141 :: v_dual_add_f32 v7, v7, v23
	v_dual_add_f32 v9, v9, v35 :: v_dual_fma_f32 v13, v196, v132, -v13
	s_delay_alu instid0(VALU_DEP_3) | instskip(NEXT) | instid1(VALU_DEP_2)
	v_dual_mul_f32 v23, v207, v143 :: v_dual_fmac_f32 v27, v197, v132
	v_dual_add_f32 v7, v7, v25 :: v_dual_add_f32 v9, v9, v11
	v_dual_mul_f32 v31, v200, v137 :: v_dual_mul_f32 v33, v202, v139
	v_dual_fmac_f32 v29, v199, v134 :: v_dual_fma_f32 v11, v198, v134, -v15
	s_delay_alu instid0(VALU_DEP_3) | instskip(SKIP_1) | instid1(VALU_DEP_3)
	v_dual_add_f32 v7, v7, v27 :: v_dual_add_f32 v9, v9, v13
	s_wait_loadcnt 0x4
	v_dual_mov_b32 v114, v147 :: v_dual_fmac_f32 v31, v201, v136
	s_delay_alu instid0(VALU_DEP_2) | instskip(NEXT) | instid1(VALU_DEP_3)
	v_dual_fma_f32 v13, v200, v136, -v17 :: v_dual_add_f32 v7, v7, v29
	v_dual_add_f32 v9, v9, v11 :: v_dual_fmac_f32 v33, v203, v138
	v_dual_mul_f32 v219, v204, v141 :: v_dual_mul_f32 v221, v206, v143
	s_delay_alu instid0(VALU_DEP_3) | instskip(SKIP_1) | instid1(VALU_DEP_3)
	v_dual_fma_f32 v11, v202, v138, -v19 :: v_dual_add_f32 v7, v7, v31
	s_wait_loadcnt 0x3
	v_dual_add_f32 v9, v9, v13 :: v_dual_mov_b32 v118, v151
	v_pk_mul_f32 v[112:113], v[160:161], v[144:145] op_sel:[1,1] op_sel_hi:[0,1]
	v_dual_fmac_f32 v219, v205, v140 :: v_dual_fma_f32 v218, v204, v140, -v21
	s_delay_alu instid0(VALU_DEP_3) | instskip(SKIP_1) | instid1(VALU_DEP_4)
	v_dual_add_f32 v121, v7, v33 :: v_dual_add_f32 v120, v9, v11
	v_dual_fmac_f32 v221, v207, v142 :: v_dual_fma_f32 v220, v206, v142, -v23
	v_pk_fma_f32 v[122:123], v[160:161], v[144:145], v[112:113] op_sel_hi:[1,0,1]
	v_pk_mul_f32 v[114:115], v[210:211], v[114:115] op_sel_hi:[1,0]
	s_delay_alu instid0(VALU_DEP_4)
	v_pk_add_f32 v[120:121], v[120:121], v[218:219]
	v_pk_fma_f32 v[112:113], v[160:161], v[144:145], v[112:113] neg_lo:[0,0,1] neg_hi:[0,0,1]
	v_pk_mul_f32 v[116:117], v[164:165], v[148:149] op_sel:[1,1] op_sel_hi:[0,1]
	v_mov_b32_e32 v113, v123
	v_pk_fma_f32 v[122:123], v[162:163], v[146:147], v[114:115] op_sel_hi:[1,0,1]
	v_pk_add_f32 v[120:121], v[120:121], v[220:221]
	v_pk_fma_f32 v[114:115], v[162:163], v[146:147], v[114:115] neg_lo:[0,0,1] neg_hi:[0,0,1]
	v_pk_fma_f32 v[126:127], v[164:165], v[148:149], v[116:117] op_sel_hi:[1,0,1]
	v_pk_mul_f32 v[118:119], v[212:213], v[118:119] op_sel_hi:[1,0]
	v_mov_b32_e32 v115, v123
	v_pk_add_f32 v[112:113], v[120:121], v[112:113]
	s_wait_loadcnt 0x2
	v_pk_mul_f32 v[124:125], v[168:169], v[152:153] op_sel:[1,1] op_sel_hi:[0,1]
	v_mov_b32_e32 v120, v155
	v_pk_fma_f32 v[116:117], v[164:165], v[148:149], v[116:117] neg_lo:[0,0,1] neg_hi:[0,0,1]
	v_mov_b32_e32 v117, v127
	v_pk_fma_f32 v[122:123], v[166:167], v[150:151], v[118:119] op_sel_hi:[1,0,1]
	v_pk_add_f32 v[112:113], v[112:113], v[114:115]
	v_pk_fma_f32 v[114:115], v[168:169], v[152:153], v[124:125] op_sel_hi:[1,0,1]
	v_pk_mul_f32 v[120:121], v[214:215], v[120:121] op_sel_hi:[1,0]
	v_pk_fma_f32 v[118:119], v[166:167], v[150:151], v[118:119] neg_lo:[0,0,1] neg_hi:[0,0,1]
	v_mov_b32_e32 v119, v123
	v_pk_add_f32 v[112:113], v[112:113], v[116:117]
	v_pk_fma_f32 v[122:123], v[168:169], v[152:153], v[124:125] neg_lo:[0,0,1] neg_hi:[0,0,1]
	v_mov_b32_e32 v123, v115
	v_pk_fma_f32 v[114:115], v[170:171], v[154:155], v[120:121] op_sel_hi:[1,0,1]
	s_wait_loadcnt 0x1
	v_pk_mul_f32 v[116:117], v[172:173], v[156:157] op_sel:[1,1] op_sel_hi:[0,1]
	v_pk_add_f32 v[112:113], v[112:113], v[118:119]
	v_mov_b32_e32 v114, v159
	v_pk_fma_f32 v[120:121], v[170:171], v[154:155], v[120:121] neg_lo:[0,0,1] neg_hi:[0,0,1]
	v_mov_b32_e32 v121, v115
	v_pk_fma_f32 v[118:119], v[172:173], v[156:157], v[116:117] op_sel_hi:[1,0,1]
	v_pk_add_f32 v[112:113], v[112:113], v[122:123]
	v_pk_mul_f32 v[114:115], v[216:217], v[114:115] op_sel_hi:[1,0]
	v_pk_fma_f32 v[116:117], v[172:173], v[156:157], v[116:117] neg_lo:[0,0,1] neg_hi:[0,0,1]
	s_delay_alu instid0(VALU_DEP_4) | instskip(NEXT) | instid1(VALU_DEP_4)
	v_mov_b32_e32 v117, v119
	v_pk_add_f32 v[112:113], v[112:113], v[120:121]
	s_delay_alu instid0(VALU_DEP_4) | instskip(SKIP_1) | instid1(VALU_DEP_2)
	v_pk_fma_f32 v[118:119], v[174:175], v[158:159], v[114:115] op_sel_hi:[1,0,1]
	v_pk_fma_f32 v[114:115], v[174:175], v[158:159], v[114:115] neg_lo:[0,0,1] neg_hi:[0,0,1]
	v_mov_b32_e32 v115, v119
	s_delay_alu instid0(VALU_DEP_4) | instskip(NEXT) | instid1(VALU_DEP_1)
	v_pk_add_f32 v[112:113], v[112:113], v[116:117]
	v_pk_add_f32 v[112:113], v[112:113], v[114:115]
	s_wait_loadcnt 0x0
	s_delay_alu instid0(VALU_DEP_1)
	v_pk_add_f32 v[112:113], v[208:209], v[112:113] neg_lo:[0,1] neg_hi:[0,1]
	scratch_store_b64 off, v[112:113], off offset:240
	s_wait_xcnt 0x0
	v_cmpx_lt_u32_e32 29, v0
	s_cbranch_execz .LBB118_285
; %bb.284:
	scratch_load_b64 v[112:113], off, off offset:232
	v_mov_b64_e32 v[114:115], 0
	scratch_store_b64 off, v[114:115], off offset:232
	s_wait_loadcnt 0x0
	ds_store_b64 v1, v[112:113]
.LBB118_285:
	s_wait_xcnt 0x0
	s_or_b32 exec_lo, exec_lo, s0
	s_wait_storecnt_dscnt 0x0
	s_barrier_signal -1
	s_barrier_wait -1
	s_clause 0xd
	scratch_load_b128 v[112:115], off, off offset:240
	scratch_load_b128 v[116:119], off, off offset:256
	;; [unrolled: 1-line block ×12, first 2 shown]
	scratch_load_b64 v[208:209], off, off offset:432
	scratch_load_b64 v[210:211], off, off offset:232
	v_mov_b32_e32 v7, 0
	ds_load_b128 v[160:163], v7 offset:816
	ds_load_b128 v[164:167], v7 offset:832
	ds_load_b128 v[168:171], v7 offset:848
	ds_load_b128 v[172:175], v7 offset:864
	ds_load_b128 v[176:179], v7 offset:688
	ds_load_b128 v[180:183], v7 offset:704
	ds_load_b128 v[184:187], v7 offset:720
	ds_load_b128 v[188:191], v7 offset:736
	ds_load_b128 v[192:195], v7 offset:752
	ds_load_b128 v[196:199], v7 offset:768
	ds_load_b128 v[200:203], v7 offset:784
	ds_load_b128 v[204:207], v7 offset:800
	ds_load_b64 v[212:213], v7 offset:880
	s_mov_b32 s0, exec_lo
	s_wait_dscnt 0xc
	v_dual_mov_b32 v214, v163 :: v_dual_mov_b32 v215, v162
	s_wait_dscnt 0x9
	v_dual_mov_b32 v216, v167 :: v_dual_mov_b32 v221, v174
	v_dual_mov_b32 v217, v166 :: v_dual_mov_b32 v218, v171
	;; [unrolled: 1-line block ×3, first 2 shown]
	s_wait_loadcnt_dscnt 0xd08
	v_dual_mul_f32 v9, v176, v113 :: v_dual_mul_f32 v39, v177, v113
	v_dual_mul_f32 v41, v179, v115 :: v_dual_mul_f32 v11, v178, v115
	s_wait_loadcnt_dscnt 0xc07
	v_mul_f32_e32 v13, v180, v117
	s_wait_loadcnt_dscnt 0xa05
	v_dual_mul_f32 v51, v189, v125 :: v_dual_fma_f32 v39, v176, v112, -v39
	v_dual_fmac_f32 v9, v177, v112 :: v_dual_mul_f32 v53, v191, v127
	v_dual_mul_f32 v43, v181, v117 :: v_dual_mul_f32 v45, v183, v119
	v_dual_fmac_f32 v11, v179, v114 :: v_dual_fma_f32 v41, v178, v114, -v41
	s_delay_alu instid0(VALU_DEP_3) | instskip(SKIP_4) | instid1(VALU_DEP_3)
	v_dual_add_f32 v9, 0, v9 :: v_dual_add_f32 v39, 0, v39
	v_dual_mul_f32 v15, v182, v119 :: v_dual_mul_f32 v17, v184, v121
	s_wait_loadcnt_dscnt 0x904
	v_dual_mul_f32 v55, v193, v129 :: v_dual_fma_f32 v43, v180, v116, -v43
	v_fmac_f32_e32 v13, v181, v116
	v_dual_add_f32 v9, v9, v11 :: v_dual_fmac_f32 v15, v183, v118
	v_add_f32_e32 v11, v39, v41
	v_dual_mul_f32 v47, v185, v121 :: v_dual_mul_f32 v49, v187, v123
	v_dual_mul_f32 v39, v195, v131 :: v_dual_fma_f32 v41, v182, v118, -v45
	s_delay_alu instid0(VALU_DEP_3) | instskip(SKIP_3) | instid1(VALU_DEP_3)
	v_dual_add_f32 v9, v9, v13 :: v_dual_add_f32 v11, v11, v43
	v_dual_mul_f32 v19, v186, v123 :: v_dual_mul_f32 v21, v188, v125
	s_wait_loadcnt_dscnt 0x803
	v_dual_mul_f32 v13, v197, v133 :: v_dual_fma_f32 v43, v184, v120, -v47
	v_dual_fmac_f32 v17, v185, v120 :: v_dual_add_f32 v11, v11, v41
	s_delay_alu instid0(VALU_DEP_3) | instskip(SKIP_1) | instid1(VALU_DEP_2)
	v_dual_add_f32 v9, v9, v15 :: v_dual_fmac_f32 v19, v187, v122
	v_dual_mul_f32 v15, v199, v135 :: v_dual_fma_f32 v41, v186, v122, -v49
	v_dual_add_f32 v11, v11, v43 :: v_dual_add_f32 v9, v9, v17
	v_dual_mul_f32 v23, v190, v127 :: v_dual_mul_f32 v25, v192, v129
	s_wait_loadcnt_dscnt 0x702
	v_dual_mul_f32 v17, v201, v137 :: v_dual_fma_f32 v43, v188, v124, -v51
	s_delay_alu instid0(VALU_DEP_3) | instskip(NEXT) | instid1(VALU_DEP_3)
	v_dual_fmac_f32 v21, v189, v124 :: v_dual_add_f32 v11, v11, v41
	v_dual_add_f32 v9, v9, v19 :: v_dual_fmac_f32 v23, v191, v126
	v_dual_mul_f32 v19, v203, v139 :: v_dual_fma_f32 v41, v190, v126, -v53
	s_delay_alu instid0(VALU_DEP_2) | instskip(SKIP_3) | instid1(VALU_DEP_3)
	v_dual_add_f32 v11, v11, v43 :: v_dual_add_f32 v9, v9, v21
	v_dual_mul_f32 v27, v194, v131 :: v_dual_mul_f32 v29, v196, v133
	s_wait_loadcnt_dscnt 0x601
	v_dual_mul_f32 v21, v205, v141 :: v_dual_fma_f32 v43, v192, v128, -v55
	v_dual_fmac_f32 v25, v193, v128 :: v_dual_add_f32 v11, v11, v41
	s_delay_alu instid0(VALU_DEP_3) | instskip(SKIP_1) | instid1(VALU_DEP_2)
	v_dual_add_f32 v9, v9, v23 :: v_dual_fmac_f32 v27, v195, v130
	v_dual_mul_f32 v23, v207, v143 :: v_dual_fma_f32 v39, v194, v130, -v39
	v_dual_add_f32 v11, v11, v43 :: v_dual_add_f32 v9, v9, v25
	v_dual_mul_f32 v31, v198, v135 :: v_dual_mul_f32 v33, v200, v137
	s_wait_loadcnt 0x5
	v_dual_mul_f32 v25, v161, v145 :: v_dual_fma_f32 v13, v196, v132, -v13
	s_delay_alu instid0(VALU_DEP_3) | instskip(SKIP_2) | instid1(VALU_DEP_3)
	v_dual_fmac_f32 v29, v197, v132 :: v_dual_add_f32 v11, v11, v39
	v_dual_add_f32 v9, v9, v27 :: v_dual_mov_b32 v112, v147
	v_fmac_f32_e32 v31, v199, v134
	v_dual_fma_f32 v15, v198, v134, -v15 :: v_dual_add_f32 v11, v11, v13
	s_delay_alu instid0(VALU_DEP_3) | instskip(SKIP_1) | instid1(VALU_DEP_3)
	v_dual_add_f32 v9, v9, v29 :: v_dual_mul_f32 v35, v202, v139
	v_dual_mul_f32 v37, v204, v141 :: v_dual_fmac_f32 v33, v201, v136
	v_dual_add_f32 v11, v11, v15 :: v_dual_fma_f32 v13, v200, v136, -v17
	s_wait_loadcnt 0x4
	s_delay_alu instid0(VALU_DEP_3) | instskip(SKIP_3) | instid1(VALU_DEP_4)
	v_dual_add_f32 v9, v9, v31 :: v_dual_mov_b32 v116, v151
	v_fma_f32 v15, v202, v138, -v19
	v_fmac_f32_e32 v35, v203, v138
	v_dual_add_f32 v11, v11, v13 :: v_dual_fmac_f32 v37, v205, v140
	v_dual_add_f32 v9, v9, v33 :: v_dual_mul_f32 v223, v206, v143
	v_mul_f32_e32 v225, v160, v145
	s_delay_alu instid0(VALU_DEP_3) | instskip(NEXT) | instid1(VALU_DEP_3)
	v_dual_fma_f32 v13, v204, v140, -v21 :: v_dual_add_f32 v11, v11, v15
	v_dual_fma_f32 v222, v206, v142, -v23 :: v_dual_add_f32 v9, v9, v35
	s_delay_alu instid0(VALU_DEP_4) | instskip(SKIP_1) | instid1(VALU_DEP_4)
	v_fmac_f32_e32 v223, v207, v142
	v_pk_mul_f32 v[112:113], v[214:215], v[112:113] op_sel_hi:[1,0]
	v_dual_add_f32 v120, v11, v13 :: v_dual_fmac_f32 v225, v161, v144
	s_delay_alu instid0(VALU_DEP_4)
	v_add_f32_e32 v121, v9, v37
	v_pk_mul_f32 v[114:115], v[164:165], v[148:149] op_sel:[1,1] op_sel_hi:[0,1]
	s_wait_loadcnt 0x3
	v_dual_mov_b32 v122, v155 :: v_dual_fma_f32 v224, v160, v144, -v25
	v_pk_fma_f32 v[124:125], v[162:163], v[146:147], v[112:113] op_sel_hi:[1,0,1]
	v_pk_add_f32 v[120:121], v[120:121], v[222:223]
	v_pk_fma_f32 v[112:113], v[162:163], v[146:147], v[112:113] neg_lo:[0,0,1] neg_hi:[0,0,1]
	v_pk_fma_f32 v[126:127], v[164:165], v[148:149], v[114:115] op_sel_hi:[1,0,1]
	v_pk_mul_f32 v[116:117], v[216:217], v[116:117] op_sel_hi:[1,0]
	v_mov_b32_e32 v113, v125
	v_pk_add_f32 v[120:121], v[120:121], v[224:225]
	v_pk_fma_f32 v[114:115], v[164:165], v[148:149], v[114:115] neg_lo:[0,0,1] neg_hi:[0,0,1]
	v_pk_mul_f32 v[118:119], v[168:169], v[152:153] op_sel:[1,1] op_sel_hi:[0,1]
	v_mov_b32_e32 v115, v127
	v_pk_fma_f32 v[126:127], v[166:167], v[150:151], v[116:117] op_sel_hi:[1,0,1]
	v_pk_add_f32 v[112:113], v[120:121], v[112:113]
	v_pk_fma_f32 v[116:117], v[166:167], v[150:151], v[116:117] neg_lo:[0,0,1] neg_hi:[0,0,1]
	v_pk_fma_f32 v[120:121], v[168:169], v[152:153], v[118:119] op_sel_hi:[1,0,1]
	v_pk_mul_f32 v[122:123], v[218:219], v[122:123] op_sel_hi:[1,0]
	v_mov_b32_e32 v117, v127
	v_pk_add_f32 v[112:113], v[112:113], v[114:115]
	v_pk_fma_f32 v[118:119], v[168:169], v[152:153], v[118:119] neg_lo:[0,0,1] neg_hi:[0,0,1]
	s_wait_loadcnt 0x2
	v_pk_mul_f32 v[124:125], v[172:173], v[156:157] op_sel:[1,1] op_sel_hi:[0,1]
	v_dual_mov_b32 v114, v159 :: v_dual_mov_b32 v119, v121
	v_pk_fma_f32 v[120:121], v[170:171], v[154:155], v[122:123] op_sel_hi:[1,0,1]
	v_pk_add_f32 v[112:113], v[112:113], v[116:117]
	v_pk_fma_f32 v[122:123], v[170:171], v[154:155], v[122:123] neg_lo:[0,0,1] neg_hi:[0,0,1]
	v_pk_fma_f32 v[116:117], v[172:173], v[156:157], v[124:125] op_sel_hi:[1,0,1]
	v_pk_mul_f32 v[114:115], v[220:221], v[114:115] op_sel_hi:[1,0]
	v_mov_b32_e32 v123, v121
	v_pk_add_f32 v[112:113], v[112:113], v[118:119]
	v_pk_fma_f32 v[118:119], v[172:173], v[156:157], v[124:125] neg_lo:[0,0,1] neg_hi:[0,0,1]
	v_mov_b32_e32 v119, v117
	v_pk_fma_f32 v[116:117], v[174:175], v[158:159], v[114:115] op_sel_hi:[1,0,1]
	s_wait_loadcnt_dscnt 0x100
	v_pk_mul_f32 v[120:121], v[212:213], v[208:209] op_sel:[1,1] op_sel_hi:[0,1]
	v_pk_add_f32 v[112:113], v[112:113], v[122:123]
	v_pk_fma_f32 v[114:115], v[174:175], v[158:159], v[114:115] neg_lo:[0,0,1] neg_hi:[0,0,1]
	v_mov_b32_e32 v115, v117
	s_delay_alu instid0(VALU_DEP_4) | instskip(NEXT) | instid1(VALU_DEP_4)
	v_pk_fma_f32 v[116:117], v[212:213], v[208:209], v[120:121] op_sel_hi:[1,0,1]
	v_pk_add_f32 v[112:113], v[112:113], v[118:119]
	v_pk_fma_f32 v[118:119], v[212:213], v[208:209], v[120:121] neg_lo:[0,0,1] neg_hi:[0,0,1]
	s_delay_alu instid0(VALU_DEP_3) | instskip(NEXT) | instid1(VALU_DEP_3)
	v_mov_b32_e32 v119, v117
	v_pk_add_f32 v[112:113], v[112:113], v[114:115]
	s_delay_alu instid0(VALU_DEP_1) | instskip(SKIP_1) | instid1(VALU_DEP_1)
	v_pk_add_f32 v[112:113], v[112:113], v[118:119]
	s_wait_loadcnt 0x0
	v_pk_add_f32 v[112:113], v[210:211], v[112:113] neg_lo:[0,1] neg_hi:[0,1]
	scratch_store_b64 off, v[112:113], off offset:232
	s_wait_xcnt 0x0
	v_cmpx_lt_u32_e32 28, v0
	s_cbranch_execz .LBB118_287
; %bb.286:
	scratch_load_b64 v[112:113], off, off offset:224
	v_mov_b64_e32 v[114:115], 0
	scratch_store_b64 off, v[114:115], off offset:224
	s_wait_loadcnt 0x0
	ds_store_b64 v1, v[112:113]
.LBB118_287:
	s_wait_xcnt 0x0
	s_or_b32 exec_lo, exec_lo, s0
	s_wait_storecnt_dscnt 0x0
	s_barrier_signal -1
	s_barrier_wait -1
	s_clause 0xd
	scratch_load_b128 v[112:115], off, off offset:232
	scratch_load_b128 v[116:119], off, off offset:248
	;; [unrolled: 1-line block ×13, first 2 shown]
	scratch_load_b64 v[216:217], off, off offset:224
	ds_load_2addr_b64 v[164:167], v7 offset0:103 offset1:104
	ds_load_2addr_b64 v[168:171], v7 offset0:105 offset1:106
	;; [unrolled: 1-line block ×13, first 2 shown]
	s_mov_b32 s0, exec_lo
	s_wait_dscnt 0xc
	v_dual_mov_b32 v218, v167 :: v_dual_mov_b32 v219, v166
	s_wait_dscnt 0xb
	v_dual_mov_b32 v220, v171 :: v_dual_mov_b32 v221, v170
	;; [unrolled: 2-line block ×4, first 2 shown]
	s_wait_loadcnt_dscnt 0xd08
	v_dual_mul_f32 v7, v180, v113 :: v_dual_mul_f32 v9, v182, v115
	v_dual_mul_f32 v39, v181, v113 :: v_dual_mul_f32 v41, v183, v115
	s_wait_loadcnt_dscnt 0xc07
	v_dual_mul_f32 v11, v184, v117 :: v_dual_mul_f32 v13, v186, v119
	s_delay_alu instid0(VALU_DEP_3) | instskip(SKIP_3) | instid1(VALU_DEP_3)
	v_dual_fmac_f32 v7, v181, v112 :: v_dual_fmac_f32 v9, v183, v114
	s_wait_loadcnt_dscnt 0xa05
	v_dual_fma_f32 v39, v180, v112, -v39 :: v_dual_mul_f32 v51, v193, v125
	v_dual_mul_f32 v43, v185, v117 :: v_dual_mul_f32 v45, v187, v119
	v_dual_fma_f32 v41, v182, v114, -v41 :: v_dual_add_f32 v7, 0, v7
	s_delay_alu instid0(VALU_DEP_3) | instskip(SKIP_1) | instid1(VALU_DEP_4)
	v_dual_add_f32 v39, 0, v39 :: v_dual_fmac_f32 v11, v185, v116
	v_dual_mul_f32 v15, v188, v121 :: v_dual_mul_f32 v17, v190, v123
	v_dual_mul_f32 v53, v195, v127 :: v_dual_fma_f32 v43, v184, v116, -v43
	s_delay_alu instid0(VALU_DEP_4) | instskip(NEXT) | instid1(VALU_DEP_3)
	v_add_f32_e32 v7, v7, v9
	v_dual_add_f32 v9, v39, v41 :: v_dual_fmac_f32 v15, v189, v120
	v_dual_mul_f32 v47, v189, v121 :: v_dual_mul_f32 v49, v191, v123
	s_wait_loadcnt_dscnt 0x903
	v_dual_mul_f32 v39, v201, v129 :: v_dual_fmac_f32 v13, v187, v118
	v_dual_fma_f32 v41, v186, v118, -v45 :: v_dual_add_f32 v7, v7, v11
	s_delay_alu instid0(VALU_DEP_3) | instskip(SKIP_1) | instid1(VALU_DEP_3)
	v_dual_add_f32 v9, v9, v43 :: v_dual_fma_f32 v43, v188, v120, -v47
	v_dual_mul_f32 v19, v192, v125 :: v_dual_mul_f32 v21, v194, v127
	v_add_f32_e32 v7, v7, v13
	s_delay_alu instid0(VALU_DEP_3) | instskip(SKIP_2) | instid1(VALU_DEP_3)
	v_dual_mul_f32 v11, v203, v131 :: v_dual_add_f32 v9, v9, v41
	s_wait_loadcnt_dscnt 0x802
	v_dual_mul_f32 v13, v205, v133 :: v_dual_fmac_f32 v17, v191, v122
	v_dual_fma_f32 v41, v190, v122, -v49 :: v_dual_add_f32 v7, v7, v15
	s_delay_alu instid0(VALU_DEP_3) | instskip(SKIP_1) | instid1(VALU_DEP_3)
	v_dual_add_f32 v9, v9, v43 :: v_dual_fma_f32 v43, v192, v124, -v51
	v_dual_mul_f32 v15, v207, v135 :: v_dual_fmac_f32 v19, v193, v124
	v_add_f32_e32 v7, v7, v17
	s_delay_alu instid0(VALU_DEP_3)
	v_dual_add_f32 v9, v9, v41 :: v_dual_fmac_f32 v21, v195, v126
	v_dual_mul_f32 v23, v200, v129 :: v_dual_mul_f32 v25, v202, v131
	s_wait_loadcnt_dscnt 0x701
	v_dual_fma_f32 v41, v194, v126, -v53 :: v_dual_mul_f32 v17, v209, v137
	v_add_f32_e32 v7, v7, v19
	v_dual_add_f32 v9, v9, v43 :: v_dual_fma_f32 v39, v200, v128, -v39
	v_dual_mul_f32 v19, v211, v139 :: v_dual_fmac_f32 v23, v201, v128
	s_delay_alu instid0(VALU_DEP_3) | instskip(NEXT) | instid1(VALU_DEP_3)
	v_dual_add_f32 v7, v7, v21 :: v_dual_fma_f32 v11, v202, v130, -v11
	v_dual_add_f32 v9, v9, v41 :: v_dual_fmac_f32 v25, v203, v130
	v_dual_mul_f32 v27, v204, v133 :: v_dual_mul_f32 v29, v206, v135
	s_wait_loadcnt_dscnt 0x600
	s_delay_alu instid0(VALU_DEP_3) | instskip(NEXT) | instid1(VALU_DEP_3)
	v_dual_mul_f32 v21, v213, v141 :: v_dual_add_f32 v7, v7, v23
	v_dual_add_f32 v9, v9, v39 :: v_dual_fma_f32 v13, v204, v132, -v13
	s_delay_alu instid0(VALU_DEP_3) | instskip(NEXT) | instid1(VALU_DEP_2)
	v_dual_mul_f32 v23, v215, v143 :: v_dual_fmac_f32 v27, v205, v132
	v_dual_add_f32 v7, v7, v25 :: v_dual_add_f32 v9, v9, v11
	v_dual_mul_f32 v31, v208, v137 :: v_dual_mul_f32 v33, v210, v139
	s_wait_loadcnt 0x5
	v_dual_mul_f32 v11, v197, v145 :: v_dual_fmac_f32 v29, v207, v134
	s_delay_alu instid0(VALU_DEP_3) | instskip(SKIP_2) | instid1(VALU_DEP_2)
	v_dual_fma_f32 v15, v206, v134, -v15 :: v_dual_add_f32 v7, v7, v27
	v_dual_add_f32 v9, v9, v13 :: v_dual_mul_f32 v13, v199, v147
	v_dual_fmac_f32 v31, v209, v136 :: v_dual_fma_f32 v17, v208, v136, -v17
	v_dual_add_f32 v7, v7, v29 :: v_dual_add_f32 v9, v9, v15
	v_dual_mul_f32 v35, v212, v141 :: v_dual_mul_f32 v37, v214, v143
	v_dual_fmac_f32 v33, v211, v138 :: v_dual_fma_f32 v15, v210, v138, -v19
	s_delay_alu instid0(VALU_DEP_3) | instskip(SKIP_1) | instid1(VALU_DEP_3)
	v_dual_add_f32 v7, v7, v31 :: v_dual_add_f32 v9, v9, v17
	s_wait_loadcnt 0x4
	v_dual_mov_b32 v114, v151 :: v_dual_fmac_f32 v35, v213, v140
	s_delay_alu instid0(VALU_DEP_2) | instskip(NEXT) | instid1(VALU_DEP_3)
	v_dual_fma_f32 v17, v212, v140, -v21 :: v_dual_add_f32 v7, v7, v33
	v_dual_add_f32 v9, v9, v15 :: v_dual_fmac_f32 v37, v215, v142
	v_dual_mul_f32 v227, v196, v145 :: v_dual_mul_f32 v229, v198, v147
	s_delay_alu instid0(VALU_DEP_3) | instskip(SKIP_1) | instid1(VALU_DEP_3)
	v_dual_fma_f32 v15, v214, v142, -v23 :: v_dual_add_f32 v7, v7, v35
	s_wait_loadcnt 0x3
	v_dual_add_f32 v9, v9, v17 :: v_dual_mov_b32 v118, v155
	v_pk_mul_f32 v[112:113], v[164:165], v[148:149] op_sel:[1,1] op_sel_hi:[0,1]
	s_delay_alu instid0(VALU_DEP_3) | instskip(NEXT) | instid1(VALU_DEP_3)
	v_dual_fmac_f32 v227, v197, v144 :: v_dual_add_f32 v121, v7, v37
	v_dual_fma_f32 v226, v196, v144, -v11 :: v_dual_add_f32 v120, v9, v15
	v_fmac_f32_e32 v229, v199, v146
	s_delay_alu instid0(VALU_DEP_4)
	v_pk_fma_f32 v[122:123], v[164:165], v[148:149], v[112:113] op_sel_hi:[1,0,1]
	v_fma_f32 v228, v198, v146, -v13
	v_pk_mul_f32 v[114:115], v[218:219], v[114:115] op_sel_hi:[1,0]
	v_pk_add_f32 v[120:121], v[120:121], v[226:227]
	v_pk_fma_f32 v[112:113], v[164:165], v[148:149], v[112:113] neg_lo:[0,0,1] neg_hi:[0,0,1]
	v_pk_mul_f32 v[116:117], v[168:169], v[152:153] op_sel:[1,1] op_sel_hi:[0,1]
	v_mov_b32_e32 v113, v123
	v_pk_fma_f32 v[122:123], v[166:167], v[150:151], v[114:115] op_sel_hi:[1,0,1]
	v_pk_add_f32 v[120:121], v[120:121], v[228:229]
	v_pk_fma_f32 v[114:115], v[166:167], v[150:151], v[114:115] neg_lo:[0,0,1] neg_hi:[0,0,1]
	v_pk_fma_f32 v[126:127], v[168:169], v[152:153], v[116:117] op_sel_hi:[1,0,1]
	v_pk_mul_f32 v[118:119], v[220:221], v[118:119] op_sel_hi:[1,0]
	v_mov_b32_e32 v115, v123
	v_pk_add_f32 v[112:113], v[120:121], v[112:113]
	s_wait_loadcnt 0x2
	v_pk_mul_f32 v[124:125], v[172:173], v[156:157] op_sel:[1,1] op_sel_hi:[0,1]
	v_mov_b32_e32 v120, v159
	v_pk_fma_f32 v[116:117], v[168:169], v[152:153], v[116:117] neg_lo:[0,0,1] neg_hi:[0,0,1]
	v_pk_fma_f32 v[122:123], v[170:171], v[154:155], v[118:119] op_sel_hi:[1,0,1]
	v_mov_b32_e32 v117, v127
	v_pk_add_f32 v[112:113], v[112:113], v[114:115]
	v_pk_fma_f32 v[114:115], v[172:173], v[156:157], v[124:125] op_sel_hi:[1,0,1]
	v_pk_mul_f32 v[120:121], v[222:223], v[120:121] op_sel_hi:[1,0]
	v_pk_fma_f32 v[118:119], v[170:171], v[154:155], v[118:119] neg_lo:[0,0,1] neg_hi:[0,0,1]
	v_mov_b32_e32 v119, v123
	v_pk_add_f32 v[112:113], v[112:113], v[116:117]
	v_pk_fma_f32 v[122:123], v[172:173], v[156:157], v[124:125] neg_lo:[0,0,1] neg_hi:[0,0,1]
	v_mov_b32_e32 v123, v115
	v_pk_fma_f32 v[114:115], v[174:175], v[158:159], v[120:121] op_sel_hi:[1,0,1]
	s_wait_loadcnt 0x1
	v_pk_mul_f32 v[116:117], v[176:177], v[160:161] op_sel:[1,1] op_sel_hi:[0,1]
	v_pk_add_f32 v[112:113], v[112:113], v[118:119]
	v_mov_b32_e32 v114, v163
	v_pk_fma_f32 v[120:121], v[174:175], v[158:159], v[120:121] neg_lo:[0,0,1] neg_hi:[0,0,1]
	s_delay_alu instid0(VALU_DEP_4)
	v_pk_fma_f32 v[118:119], v[176:177], v[160:161], v[116:117] op_sel_hi:[1,0,1]
	v_mov_b32_e32 v121, v115
	v_pk_add_f32 v[112:113], v[112:113], v[122:123]
	v_pk_mul_f32 v[114:115], v[224:225], v[114:115] op_sel_hi:[1,0]
	v_pk_fma_f32 v[116:117], v[176:177], v[160:161], v[116:117] neg_lo:[0,0,1] neg_hi:[0,0,1]
	v_mov_b32_e32 v117, v119
	s_delay_alu instid0(VALU_DEP_4) | instskip(NEXT) | instid1(VALU_DEP_4)
	v_pk_add_f32 v[112:113], v[112:113], v[120:121]
	v_pk_fma_f32 v[118:119], v[178:179], v[162:163], v[114:115] op_sel_hi:[1,0,1]
	v_pk_fma_f32 v[114:115], v[178:179], v[162:163], v[114:115] neg_lo:[0,0,1] neg_hi:[0,0,1]
	s_delay_alu instid0(VALU_DEP_3) | instskip(NEXT) | instid1(VALU_DEP_3)
	v_pk_add_f32 v[112:113], v[112:113], v[116:117]
	v_mov_b32_e32 v115, v119
	s_delay_alu instid0(VALU_DEP_1) | instskip(SKIP_1) | instid1(VALU_DEP_1)
	v_pk_add_f32 v[112:113], v[112:113], v[114:115]
	s_wait_loadcnt 0x0
	v_pk_add_f32 v[112:113], v[216:217], v[112:113] neg_lo:[0,1] neg_hi:[0,1]
	scratch_store_b64 off, v[112:113], off offset:224
	s_wait_xcnt 0x0
	v_cmpx_lt_u32_e32 27, v0
	s_cbranch_execz .LBB118_289
; %bb.288:
	scratch_load_b64 v[112:113], off, off offset:216
	v_mov_b64_e32 v[114:115], 0
	scratch_store_b64 off, v[114:115], off offset:216
	s_wait_loadcnt 0x0
	ds_store_b64 v1, v[112:113]
.LBB118_289:
	s_wait_xcnt 0x0
	s_or_b32 exec_lo, exec_lo, s0
	s_wait_storecnt_dscnt 0x0
	s_barrier_signal -1
	s_barrier_wait -1
	s_clause 0xe
	scratch_load_b128 v[112:115], off, off offset:224
	scratch_load_b128 v[116:119], off, off offset:240
	scratch_load_b128 v[120:123], off, off offset:256
	scratch_load_b128 v[124:127], off, off offset:272
	scratch_load_b128 v[128:131], off, off offset:288
	scratch_load_b128 v[132:135], off, off offset:304
	scratch_load_b128 v[136:139], off, off offset:320
	scratch_load_b128 v[140:143], off, off offset:336
	scratch_load_b128 v[144:147], off, off offset:352
	scratch_load_b128 v[148:151], off, off offset:368
	scratch_load_b128 v[152:155], off, off offset:384
	scratch_load_b128 v[156:159], off, off offset:400
	scratch_load_b128 v[160:163], off, off offset:416
	scratch_load_b64 v[216:217], off, off offset:432
	scratch_load_b64 v[218:219], off, off offset:216
	v_mov_b32_e32 v7, 0
	ds_load_b128 v[164:167], v7 offset:816
	ds_load_b128 v[168:171], v7 offset:832
	;; [unrolled: 1-line block ×13, first 2 shown]
	ds_load_b64 v[220:221], v7 offset:880
	s_mov_b32 s0, exec_lo
	s_wait_dscnt 0xd
	v_dual_mov_b32 v222, v167 :: v_dual_mov_b32 v223, v166
	s_wait_dscnt 0xa
	v_dual_mov_b32 v224, v171 :: v_dual_mov_b32 v229, v178
	v_dual_mov_b32 v225, v170 :: v_dual_mov_b32 v226, v175
	;; [unrolled: 1-line block ×3, first 2 shown]
	s_wait_loadcnt_dscnt 0xe09
	v_dual_mul_f32 v9, v180, v113 :: v_dual_mul_f32 v43, v181, v113
	v_dual_mul_f32 v45, v183, v115 :: v_dual_mul_f32 v11, v182, v115
	s_wait_loadcnt_dscnt 0xd08
	v_mul_f32_e32 v13, v184, v117
	s_wait_loadcnt_dscnt 0xb05
	v_dual_mul_f32 v55, v197, v125 :: v_dual_fma_f32 v43, v180, v112, -v43
	v_dual_fmac_f32 v9, v181, v112 :: v_dual_mul_f32 v57, v199, v127
	v_dual_mul_f32 v47, v185, v117 :: v_dual_mul_f32 v49, v187, v119
	v_dual_fmac_f32 v11, v183, v114 :: v_dual_fma_f32 v45, v182, v114, -v45
	s_delay_alu instid0(VALU_DEP_3) | instskip(SKIP_4) | instid1(VALU_DEP_3)
	v_dual_add_f32 v9, 0, v9 :: v_dual_add_f32 v43, 0, v43
	v_dual_mul_f32 v15, v186, v119 :: v_dual_mul_f32 v17, v188, v121
	s_wait_loadcnt_dscnt 0xa04
	v_dual_mul_f32 v59, v201, v129 :: v_dual_fma_f32 v47, v184, v116, -v47
	v_fmac_f32_e32 v13, v185, v116
	v_dual_add_f32 v9, v9, v11 :: v_dual_fmac_f32 v15, v187, v118
	v_add_f32_e32 v11, v43, v45
	v_dual_mul_f32 v51, v189, v121 :: v_dual_mul_f32 v53, v191, v123
	v_dual_mul_f32 v43, v203, v131 :: v_dual_fma_f32 v45, v186, v118, -v49
	s_delay_alu instid0(VALU_DEP_3) | instskip(SKIP_3) | instid1(VALU_DEP_3)
	v_dual_add_f32 v9, v9, v13 :: v_dual_add_f32 v11, v11, v47
	v_dual_mul_f32 v19, v190, v123 :: v_dual_mul_f32 v21, v196, v125
	s_wait_loadcnt_dscnt 0x903
	v_dual_mul_f32 v13, v205, v133 :: v_dual_fma_f32 v47, v188, v120, -v51
	v_dual_fmac_f32 v17, v189, v120 :: v_dual_add_f32 v11, v11, v45
	s_delay_alu instid0(VALU_DEP_3) | instskip(SKIP_1) | instid1(VALU_DEP_2)
	v_dual_add_f32 v9, v9, v15 :: v_dual_fmac_f32 v19, v191, v122
	v_dual_mul_f32 v15, v207, v135 :: v_dual_fma_f32 v45, v190, v122, -v53
	v_dual_add_f32 v11, v11, v47 :: v_dual_add_f32 v9, v9, v17
	v_dual_mul_f32 v23, v198, v127 :: v_dual_mul_f32 v25, v200, v129
	s_wait_loadcnt_dscnt 0x802
	v_dual_mul_f32 v17, v209, v137 :: v_dual_fma_f32 v47, v196, v124, -v55
	s_delay_alu instid0(VALU_DEP_3) | instskip(NEXT) | instid1(VALU_DEP_3)
	v_dual_fmac_f32 v21, v197, v124 :: v_dual_add_f32 v11, v11, v45
	v_dual_add_f32 v9, v9, v19 :: v_dual_fmac_f32 v23, v199, v126
	v_dual_mul_f32 v19, v211, v139 :: v_dual_fma_f32 v45, v198, v126, -v57
	s_delay_alu instid0(VALU_DEP_2) | instskip(SKIP_3) | instid1(VALU_DEP_3)
	v_dual_add_f32 v11, v11, v47 :: v_dual_add_f32 v9, v9, v21
	v_dual_mul_f32 v27, v202, v131 :: v_dual_mul_f32 v29, v204, v133
	s_wait_loadcnt_dscnt 0x701
	v_dual_mul_f32 v21, v213, v141 :: v_dual_fma_f32 v47, v200, v128, -v59
	v_dual_fmac_f32 v25, v201, v128 :: v_dual_add_f32 v11, v11, v45
	s_delay_alu instid0(VALU_DEP_3) | instskip(SKIP_1) | instid1(VALU_DEP_2)
	v_dual_add_f32 v9, v9, v23 :: v_dual_fmac_f32 v27, v203, v130
	v_dual_mul_f32 v23, v215, v143 :: v_dual_fma_f32 v43, v202, v130, -v43
	v_dual_add_f32 v11, v11, v47 :: v_dual_add_f32 v9, v9, v25
	v_dual_mul_f32 v31, v206, v135 :: v_dual_mul_f32 v33, v208, v137
	s_wait_loadcnt 0x6
	v_dual_mul_f32 v25, v193, v145 :: v_dual_fma_f32 v13, v204, v132, -v13
	s_delay_alu instid0(VALU_DEP_3) | instskip(NEXT) | instid1(VALU_DEP_3)
	v_dual_fmac_f32 v29, v205, v132 :: v_dual_add_f32 v11, v11, v43
	v_dual_add_f32 v9, v9, v27 :: v_dual_fmac_f32 v31, v207, v134
	v_dual_mul_f32 v27, v195, v147 :: v_dual_fma_f32 v15, v206, v134, -v15
	s_delay_alu instid0(VALU_DEP_3) | instskip(NEXT) | instid1(VALU_DEP_3)
	v_dual_add_f32 v11, v11, v13 :: v_dual_fmac_f32 v33, v209, v136
	v_dual_add_f32 v9, v9, v29 :: v_dual_fma_f32 v17, v208, v136, -v17
	v_dual_mul_f32 v35, v210, v139 :: v_dual_mul_f32 v37, v212, v141
	s_wait_loadcnt 0x5
	s_delay_alu instid0(VALU_DEP_3) | instskip(NEXT) | instid1(VALU_DEP_3)
	v_dual_mul_f32 v13, v165, v149 :: v_dual_add_f32 v11, v11, v15
	v_dual_add_f32 v9, v9, v31 :: v_dual_mov_b32 v112, v151
	s_delay_alu instid0(VALU_DEP_3) | instskip(NEXT) | instid1(VALU_DEP_3)
	v_fmac_f32_e32 v35, v211, v138
	v_dual_fma_f32 v15, v210, v138, -v19 :: v_dual_add_f32 v11, v11, v17
	s_delay_alu instid0(VALU_DEP_3) | instskip(SKIP_1) | instid1(VALU_DEP_3)
	v_dual_add_f32 v9, v9, v33 :: v_dual_mul_f32 v39, v214, v143
	v_dual_mul_f32 v41, v192, v145 :: v_dual_fmac_f32 v37, v213, v140
	v_dual_add_f32 v11, v11, v15 :: v_dual_fma_f32 v17, v212, v140, -v21
	s_wait_loadcnt 0x4
	s_delay_alu instid0(VALU_DEP_3) | instskip(SKIP_3) | instid1(VALU_DEP_4)
	v_dual_add_f32 v9, v9, v35 :: v_dual_mov_b32 v116, v155
	v_fma_f32 v15, v214, v142, -v23
	v_fmac_f32_e32 v39, v215, v142
	v_dual_add_f32 v11, v11, v17 :: v_dual_fmac_f32 v41, v193, v144
	v_dual_add_f32 v9, v9, v37 :: v_dual_mul_f32 v231, v194, v147
	v_mul_f32_e32 v233, v164, v149
	s_delay_alu instid0(VALU_DEP_3) | instskip(NEXT) | instid1(VALU_DEP_3)
	v_dual_fma_f32 v17, v192, v144, -v25 :: v_dual_add_f32 v11, v11, v15
	v_dual_fma_f32 v230, v194, v146, -v27 :: v_dual_add_f32 v9, v9, v39
	s_delay_alu instid0(VALU_DEP_4) | instskip(SKIP_1) | instid1(VALU_DEP_4)
	v_fmac_f32_e32 v231, v195, v146
	v_pk_mul_f32 v[112:113], v[222:223], v[112:113] op_sel_hi:[1,0]
	v_dual_add_f32 v120, v11, v17 :: v_dual_fmac_f32 v233, v165, v148
	s_delay_alu instid0(VALU_DEP_4)
	v_add_f32_e32 v121, v9, v41
	v_pk_mul_f32 v[114:115], v[168:169], v[152:153] op_sel:[1,1] op_sel_hi:[0,1]
	s_wait_loadcnt 0x3
	v_dual_mov_b32 v122, v159 :: v_dual_fma_f32 v232, v164, v148, -v13
	v_pk_fma_f32 v[124:125], v[166:167], v[150:151], v[112:113] op_sel_hi:[1,0,1]
	v_pk_add_f32 v[120:121], v[120:121], v[230:231]
	v_pk_fma_f32 v[112:113], v[166:167], v[150:151], v[112:113] neg_lo:[0,0,1] neg_hi:[0,0,1]
	v_pk_fma_f32 v[126:127], v[168:169], v[152:153], v[114:115] op_sel_hi:[1,0,1]
	v_pk_mul_f32 v[116:117], v[224:225], v[116:117] op_sel_hi:[1,0]
	v_mov_b32_e32 v113, v125
	v_pk_add_f32 v[120:121], v[120:121], v[232:233]
	v_pk_fma_f32 v[114:115], v[168:169], v[152:153], v[114:115] neg_lo:[0,0,1] neg_hi:[0,0,1]
	v_pk_mul_f32 v[118:119], v[172:173], v[156:157] op_sel:[1,1] op_sel_hi:[0,1]
	v_mov_b32_e32 v115, v127
	v_pk_fma_f32 v[126:127], v[170:171], v[154:155], v[116:117] op_sel_hi:[1,0,1]
	v_pk_add_f32 v[112:113], v[120:121], v[112:113]
	v_pk_fma_f32 v[116:117], v[170:171], v[154:155], v[116:117] neg_lo:[0,0,1] neg_hi:[0,0,1]
	v_pk_fma_f32 v[120:121], v[172:173], v[156:157], v[118:119] op_sel_hi:[1,0,1]
	v_pk_mul_f32 v[122:123], v[226:227], v[122:123] op_sel_hi:[1,0]
	v_mov_b32_e32 v117, v127
	v_pk_add_f32 v[112:113], v[112:113], v[114:115]
	v_pk_fma_f32 v[118:119], v[172:173], v[156:157], v[118:119] neg_lo:[0,0,1] neg_hi:[0,0,1]
	s_wait_loadcnt 0x2
	v_pk_mul_f32 v[124:125], v[176:177], v[160:161] op_sel:[1,1] op_sel_hi:[0,1]
	v_dual_mov_b32 v114, v163 :: v_dual_mov_b32 v119, v121
	v_pk_fma_f32 v[120:121], v[174:175], v[158:159], v[122:123] op_sel_hi:[1,0,1]
	v_pk_add_f32 v[112:113], v[112:113], v[116:117]
	v_pk_fma_f32 v[122:123], v[174:175], v[158:159], v[122:123] neg_lo:[0,0,1] neg_hi:[0,0,1]
	v_pk_fma_f32 v[116:117], v[176:177], v[160:161], v[124:125] op_sel_hi:[1,0,1]
	v_pk_mul_f32 v[114:115], v[228:229], v[114:115] op_sel_hi:[1,0]
	v_mov_b32_e32 v123, v121
	v_pk_add_f32 v[112:113], v[112:113], v[118:119]
	v_pk_fma_f32 v[118:119], v[176:177], v[160:161], v[124:125] neg_lo:[0,0,1] neg_hi:[0,0,1]
	v_mov_b32_e32 v119, v117
	v_pk_fma_f32 v[116:117], v[178:179], v[162:163], v[114:115] op_sel_hi:[1,0,1]
	s_wait_loadcnt_dscnt 0x100
	v_pk_mul_f32 v[120:121], v[220:221], v[216:217] op_sel:[1,1] op_sel_hi:[0,1]
	v_pk_add_f32 v[112:113], v[112:113], v[122:123]
	v_pk_fma_f32 v[114:115], v[178:179], v[162:163], v[114:115] neg_lo:[0,0,1] neg_hi:[0,0,1]
	v_mov_b32_e32 v115, v117
	s_delay_alu instid0(VALU_DEP_4) | instskip(NEXT) | instid1(VALU_DEP_4)
	v_pk_fma_f32 v[116:117], v[220:221], v[216:217], v[120:121] op_sel_hi:[1,0,1]
	v_pk_add_f32 v[112:113], v[112:113], v[118:119]
	v_pk_fma_f32 v[118:119], v[220:221], v[216:217], v[120:121] neg_lo:[0,0,1] neg_hi:[0,0,1]
	s_delay_alu instid0(VALU_DEP_3) | instskip(NEXT) | instid1(VALU_DEP_3)
	v_mov_b32_e32 v119, v117
	v_pk_add_f32 v[112:113], v[112:113], v[114:115]
	s_delay_alu instid0(VALU_DEP_1) | instskip(SKIP_1) | instid1(VALU_DEP_1)
	v_pk_add_f32 v[112:113], v[112:113], v[118:119]
	s_wait_loadcnt 0x0
	v_pk_add_f32 v[112:113], v[218:219], v[112:113] neg_lo:[0,1] neg_hi:[0,1]
	scratch_store_b64 off, v[112:113], off offset:216
	s_wait_xcnt 0x0
	v_cmpx_lt_u32_e32 26, v0
	s_cbranch_execz .LBB118_291
; %bb.290:
	scratch_load_b64 v[112:113], off, off offset:208
	v_mov_b64_e32 v[114:115], 0
	scratch_store_b64 off, v[114:115], off offset:208
	s_wait_loadcnt 0x0
	ds_store_b64 v1, v[112:113]
.LBB118_291:
	s_wait_xcnt 0x0
	s_or_b32 exec_lo, exec_lo, s0
	s_wait_storecnt_dscnt 0x0
	s_barrier_signal -1
	s_barrier_wait -1
	s_clause 0xe
	scratch_load_b128 v[112:115], off, off offset:216
	scratch_load_b128 v[116:119], off, off offset:232
	;; [unrolled: 1-line block ×14, first 2 shown]
	scratch_load_b64 v[224:225], off, off offset:208
	ds_load_2addr_b64 v[168:171], v7 offset0:103 offset1:104
	ds_load_2addr_b64 v[172:175], v7 offset0:105 offset1:106
	;; [unrolled: 1-line block ×14, first 2 shown]
	s_mov_b32 s0, exec_lo
	s_wait_dscnt 0xd
	v_dual_mov_b32 v226, v171 :: v_dual_mov_b32 v227, v170
	s_wait_dscnt 0xc
	v_dual_mov_b32 v228, v175 :: v_dual_mov_b32 v229, v174
	;; [unrolled: 2-line block ×4, first 2 shown]
	s_wait_loadcnt_dscnt 0xe09
	v_dual_mul_f32 v7, v184, v113 :: v_dual_mul_f32 v9, v186, v115
	v_dual_mul_f32 v43, v185, v113 :: v_dual_mul_f32 v45, v187, v115
	s_wait_loadcnt_dscnt 0xd08
	v_dual_mul_f32 v11, v188, v117 :: v_dual_mul_f32 v13, v190, v119
	s_delay_alu instid0(VALU_DEP_3) | instskip(SKIP_3) | instid1(VALU_DEP_3)
	v_dual_fmac_f32 v7, v185, v112 :: v_dual_fmac_f32 v9, v187, v114
	s_wait_loadcnt_dscnt 0xb06
	v_dual_fma_f32 v43, v184, v112, -v43 :: v_dual_mul_f32 v55, v197, v125
	v_dual_mul_f32 v47, v189, v117 :: v_dual_mul_f32 v49, v191, v119
	v_dual_fma_f32 v45, v186, v114, -v45 :: v_dual_add_f32 v7, 0, v7
	s_delay_alu instid0(VALU_DEP_3) | instskip(SKIP_1) | instid1(VALU_DEP_4)
	v_dual_add_f32 v43, 0, v43 :: v_dual_fmac_f32 v11, v189, v116
	v_dual_mul_f32 v15, v192, v121 :: v_dual_mul_f32 v17, v194, v123
	v_dual_mul_f32 v57, v199, v127 :: v_dual_fma_f32 v47, v188, v116, -v47
	s_delay_alu instid0(VALU_DEP_4) | instskip(NEXT) | instid1(VALU_DEP_3)
	v_add_f32_e32 v7, v7, v9
	v_dual_add_f32 v9, v43, v45 :: v_dual_fmac_f32 v15, v193, v120
	v_dual_mul_f32 v51, v193, v121 :: v_dual_mul_f32 v53, v195, v123
	s_wait_loadcnt_dscnt 0xa05
	v_dual_mul_f32 v43, v201, v129 :: v_dual_fmac_f32 v13, v191, v118
	v_dual_fma_f32 v45, v190, v118, -v49 :: v_dual_add_f32 v7, v7, v11
	s_delay_alu instid0(VALU_DEP_3) | instskip(SKIP_1) | instid1(VALU_DEP_3)
	v_dual_add_f32 v9, v9, v47 :: v_dual_fma_f32 v47, v192, v120, -v51
	v_dual_mul_f32 v19, v196, v125 :: v_dual_mul_f32 v21, v198, v127
	v_add_f32_e32 v7, v7, v13
	s_delay_alu instid0(VALU_DEP_3) | instskip(SKIP_2) | instid1(VALU_DEP_3)
	v_dual_mul_f32 v11, v203, v131 :: v_dual_add_f32 v9, v9, v45
	s_wait_loadcnt_dscnt 0x904
	v_dual_mul_f32 v13, v205, v133 :: v_dual_fmac_f32 v17, v195, v122
	v_dual_fma_f32 v45, v194, v122, -v53 :: v_dual_add_f32 v7, v7, v15
	s_delay_alu instid0(VALU_DEP_3) | instskip(SKIP_1) | instid1(VALU_DEP_3)
	v_dual_add_f32 v9, v9, v47 :: v_dual_fma_f32 v47, v196, v124, -v55
	v_dual_mul_f32 v15, v207, v135 :: v_dual_fmac_f32 v19, v197, v124
	v_add_f32_e32 v7, v7, v17
	s_delay_alu instid0(VALU_DEP_3)
	v_dual_add_f32 v9, v9, v45 :: v_dual_fmac_f32 v21, v199, v126
	v_dual_mul_f32 v23, v200, v129 :: v_dual_mul_f32 v25, v202, v131
	s_wait_loadcnt_dscnt 0x803
	v_dual_fma_f32 v45, v198, v126, -v57 :: v_dual_mul_f32 v17, v209, v137
	v_add_f32_e32 v7, v7, v19
	v_dual_add_f32 v9, v9, v47 :: v_dual_fma_f32 v43, v200, v128, -v43
	v_dual_mul_f32 v19, v211, v139 :: v_dual_fmac_f32 v23, v201, v128
	s_delay_alu instid0(VALU_DEP_3) | instskip(NEXT) | instid1(VALU_DEP_3)
	v_dual_add_f32 v7, v7, v21 :: v_dual_fma_f32 v11, v202, v130, -v11
	v_dual_add_f32 v9, v9, v45 :: v_dual_fmac_f32 v25, v203, v130
	v_dual_mul_f32 v27, v204, v133 :: v_dual_mul_f32 v29, v206, v135
	s_wait_loadcnt_dscnt 0x702
	s_delay_alu instid0(VALU_DEP_3) | instskip(NEXT) | instid1(VALU_DEP_3)
	v_dual_mul_f32 v21, v213, v141 :: v_dual_add_f32 v7, v7, v23
	v_dual_add_f32 v9, v9, v43 :: v_dual_fma_f32 v13, v204, v132, -v13
	s_delay_alu instid0(VALU_DEP_3) | instskip(NEXT) | instid1(VALU_DEP_2)
	v_dual_mul_f32 v23, v215, v143 :: v_dual_fmac_f32 v27, v205, v132
	v_dual_add_f32 v7, v7, v25 :: v_dual_add_f32 v9, v9, v11
	v_dual_mul_f32 v31, v208, v137 :: v_dual_mul_f32 v33, v210, v139
	s_wait_loadcnt_dscnt 0x601
	v_dual_mul_f32 v11, v217, v145 :: v_dual_fmac_f32 v29, v207, v134
	s_delay_alu instid0(VALU_DEP_3) | instskip(SKIP_2) | instid1(VALU_DEP_2)
	v_dual_fma_f32 v15, v206, v134, -v15 :: v_dual_add_f32 v7, v7, v27
	v_dual_add_f32 v9, v9, v13 :: v_dual_mul_f32 v13, v219, v147
	v_dual_fmac_f32 v31, v209, v136 :: v_dual_fma_f32 v17, v208, v136, -v17
	v_dual_add_f32 v7, v7, v29 :: v_dual_add_f32 v9, v9, v15
	v_dual_mul_f32 v35, v212, v141 :: v_dual_mul_f32 v37, v214, v143
	s_wait_loadcnt_dscnt 0x500
	v_dual_mul_f32 v15, v221, v149 :: v_dual_fmac_f32 v33, v211, v138
	s_delay_alu instid0(VALU_DEP_3) | instskip(SKIP_2) | instid1(VALU_DEP_2)
	v_dual_fma_f32 v19, v210, v138, -v19 :: v_dual_add_f32 v7, v7, v31
	v_dual_add_f32 v9, v9, v17 :: v_dual_mul_f32 v17, v223, v151
	v_dual_fmac_f32 v35, v213, v140 :: v_dual_fma_f32 v21, v212, v140, -v21
	v_dual_add_f32 v7, v7, v33 :: v_dual_add_f32 v9, v9, v19
	v_dual_mul_f32 v39, v216, v145 :: v_dual_mul_f32 v41, v218, v147
	v_dual_fmac_f32 v37, v215, v142 :: v_dual_fma_f32 v19, v214, v142, -v23
	s_delay_alu instid0(VALU_DEP_3) | instskip(SKIP_1) | instid1(VALU_DEP_3)
	v_dual_add_f32 v7, v7, v35 :: v_dual_add_f32 v9, v9, v21
	s_wait_loadcnt 0x4
	v_dual_mov_b32 v114, v155 :: v_dual_fmac_f32 v39, v217, v144
	s_delay_alu instid0(VALU_DEP_2) | instskip(NEXT) | instid1(VALU_DEP_3)
	v_dual_fma_f32 v11, v216, v144, -v11 :: v_dual_add_f32 v7, v7, v37
	v_dual_add_f32 v9, v9, v19 :: v_dual_fmac_f32 v41, v219, v146
	v_dual_mul_f32 v235, v220, v149 :: v_dual_mul_f32 v237, v222, v151
	s_delay_alu instid0(VALU_DEP_3) | instskip(SKIP_1) | instid1(VALU_DEP_3)
	v_dual_fma_f32 v13, v218, v146, -v13 :: v_dual_add_f32 v7, v7, v39
	s_wait_loadcnt 0x3
	v_dual_add_f32 v9, v9, v11 :: v_dual_mov_b32 v118, v159
	v_pk_mul_f32 v[112:113], v[168:169], v[152:153] op_sel:[1,1] op_sel_hi:[0,1]
	s_delay_alu instid0(VALU_DEP_3) | instskip(NEXT) | instid1(VALU_DEP_3)
	v_dual_fmac_f32 v235, v221, v148 :: v_dual_add_f32 v121, v7, v41
	v_dual_fma_f32 v234, v220, v148, -v15 :: v_dual_add_f32 v120, v9, v13
	v_fmac_f32_e32 v237, v223, v150
	s_delay_alu instid0(VALU_DEP_4)
	v_pk_fma_f32 v[122:123], v[168:169], v[152:153], v[112:113] op_sel_hi:[1,0,1]
	v_fma_f32 v236, v222, v150, -v17
	v_pk_mul_f32 v[114:115], v[226:227], v[114:115] op_sel_hi:[1,0]
	v_pk_add_f32 v[120:121], v[120:121], v[234:235]
	v_pk_fma_f32 v[112:113], v[168:169], v[152:153], v[112:113] neg_lo:[0,0,1] neg_hi:[0,0,1]
	v_pk_mul_f32 v[116:117], v[172:173], v[156:157] op_sel:[1,1] op_sel_hi:[0,1]
	v_mov_b32_e32 v113, v123
	v_pk_fma_f32 v[122:123], v[170:171], v[154:155], v[114:115] op_sel_hi:[1,0,1]
	v_pk_add_f32 v[120:121], v[120:121], v[236:237]
	v_pk_fma_f32 v[114:115], v[170:171], v[154:155], v[114:115] neg_lo:[0,0,1] neg_hi:[0,0,1]
	v_pk_fma_f32 v[126:127], v[172:173], v[156:157], v[116:117] op_sel_hi:[1,0,1]
	v_pk_mul_f32 v[118:119], v[228:229], v[118:119] op_sel_hi:[1,0]
	v_mov_b32_e32 v115, v123
	v_pk_add_f32 v[112:113], v[120:121], v[112:113]
	s_wait_loadcnt 0x2
	v_pk_mul_f32 v[124:125], v[176:177], v[160:161] op_sel:[1,1] op_sel_hi:[0,1]
	v_mov_b32_e32 v120, v163
	v_pk_fma_f32 v[116:117], v[172:173], v[156:157], v[116:117] neg_lo:[0,0,1] neg_hi:[0,0,1]
	v_pk_fma_f32 v[122:123], v[174:175], v[158:159], v[118:119] op_sel_hi:[1,0,1]
	v_mov_b32_e32 v117, v127
	v_pk_add_f32 v[112:113], v[112:113], v[114:115]
	v_pk_fma_f32 v[114:115], v[176:177], v[160:161], v[124:125] op_sel_hi:[1,0,1]
	v_pk_mul_f32 v[120:121], v[230:231], v[120:121] op_sel_hi:[1,0]
	v_pk_fma_f32 v[118:119], v[174:175], v[158:159], v[118:119] neg_lo:[0,0,1] neg_hi:[0,0,1]
	v_mov_b32_e32 v119, v123
	v_pk_add_f32 v[112:113], v[112:113], v[116:117]
	v_pk_fma_f32 v[122:123], v[176:177], v[160:161], v[124:125] neg_lo:[0,0,1] neg_hi:[0,0,1]
	v_mov_b32_e32 v123, v115
	v_pk_fma_f32 v[114:115], v[178:179], v[162:163], v[120:121] op_sel_hi:[1,0,1]
	s_wait_loadcnt 0x1
	v_pk_mul_f32 v[116:117], v[180:181], v[164:165] op_sel:[1,1] op_sel_hi:[0,1]
	v_pk_add_f32 v[112:113], v[112:113], v[118:119]
	v_mov_b32_e32 v114, v167
	v_pk_fma_f32 v[120:121], v[178:179], v[162:163], v[120:121] neg_lo:[0,0,1] neg_hi:[0,0,1]
	s_delay_alu instid0(VALU_DEP_4)
	v_pk_fma_f32 v[118:119], v[180:181], v[164:165], v[116:117] op_sel_hi:[1,0,1]
	v_mov_b32_e32 v121, v115
	v_pk_add_f32 v[112:113], v[112:113], v[122:123]
	v_pk_mul_f32 v[114:115], v[232:233], v[114:115] op_sel_hi:[1,0]
	v_pk_fma_f32 v[116:117], v[180:181], v[164:165], v[116:117] neg_lo:[0,0,1] neg_hi:[0,0,1]
	v_mov_b32_e32 v117, v119
	s_delay_alu instid0(VALU_DEP_4) | instskip(NEXT) | instid1(VALU_DEP_4)
	v_pk_add_f32 v[112:113], v[112:113], v[120:121]
	v_pk_fma_f32 v[118:119], v[182:183], v[166:167], v[114:115] op_sel_hi:[1,0,1]
	v_pk_fma_f32 v[114:115], v[182:183], v[166:167], v[114:115] neg_lo:[0,0,1] neg_hi:[0,0,1]
	s_delay_alu instid0(VALU_DEP_3) | instskip(NEXT) | instid1(VALU_DEP_3)
	v_pk_add_f32 v[112:113], v[112:113], v[116:117]
	v_mov_b32_e32 v115, v119
	s_delay_alu instid0(VALU_DEP_1) | instskip(SKIP_1) | instid1(VALU_DEP_1)
	v_pk_add_f32 v[112:113], v[112:113], v[114:115]
	s_wait_loadcnt 0x0
	v_pk_add_f32 v[112:113], v[224:225], v[112:113] neg_lo:[0,1] neg_hi:[0,1]
	scratch_store_b64 off, v[112:113], off offset:208
	s_wait_xcnt 0x0
	v_cmpx_lt_u32_e32 25, v0
	s_cbranch_execz .LBB118_293
; %bb.292:
	scratch_load_b64 v[112:113], off, off offset:200
	v_mov_b64_e32 v[114:115], 0
	scratch_store_b64 off, v[114:115], off offset:200
	s_wait_loadcnt 0x0
	ds_store_b64 v1, v[112:113]
.LBB118_293:
	s_wait_xcnt 0x0
	s_or_b32 exec_lo, exec_lo, s0
	s_wait_storecnt_dscnt 0x0
	s_barrier_signal -1
	s_barrier_wait -1
	s_clause 0xf
	scratch_load_b128 v[112:115], off, off offset:208
	scratch_load_b128 v[116:119], off, off offset:224
	scratch_load_b128 v[120:123], off, off offset:240
	scratch_load_b128 v[124:127], off, off offset:256
	scratch_load_b128 v[128:131], off, off offset:272
	scratch_load_b128 v[132:135], off, off offset:288
	scratch_load_b128 v[136:139], off, off offset:304
	scratch_load_b128 v[140:143], off, off offset:320
	scratch_load_b128 v[144:147], off, off offset:336
	scratch_load_b128 v[148:151], off, off offset:352
	scratch_load_b128 v[152:155], off, off offset:368
	scratch_load_b128 v[156:159], off, off offset:384
	scratch_load_b128 v[160:163], off, off offset:400
	scratch_load_b128 v[164:167], off, off offset:416
	scratch_load_b64 v[224:225], off, off offset:432
	scratch_load_b64 v[226:227], off, off offset:200
	v_mov_b32_e32 v7, 0
	ds_load_b128 v[168:171], v7 offset:816
	ds_load_b128 v[172:175], v7 offset:832
	;; [unrolled: 1-line block ×14, first 2 shown]
	ds_load_b64 v[228:229], v7 offset:880
	s_mov_b32 s0, exec_lo
	s_wait_dscnt 0xe
	v_dual_mov_b32 v230, v171 :: v_dual_mov_b32 v231, v170
	s_wait_dscnt 0xb
	v_dual_mov_b32 v232, v175 :: v_dual_mov_b32 v237, v182
	v_dual_mov_b32 v233, v174 :: v_dual_mov_b32 v234, v179
	;; [unrolled: 1-line block ×3, first 2 shown]
	s_wait_loadcnt_dscnt 0xf0a
	v_dual_mul_f32 v9, v184, v113 :: v_dual_mul_f32 v47, v185, v113
	v_dual_mul_f32 v49, v187, v115 :: v_dual_mul_f32 v11, v186, v115
	s_wait_loadcnt_dscnt 0xe09
	v_mul_f32_e32 v13, v188, v117
	s_wait_loadcnt_dscnt 0xc07
	v_dual_mul_f32 v59, v197, v125 :: v_dual_fma_f32 v47, v184, v112, -v47
	v_dual_fmac_f32 v9, v185, v112 :: v_dual_mul_f32 v61, v199, v127
	v_dual_mul_f32 v51, v189, v117 :: v_dual_mul_f32 v53, v191, v119
	v_dual_fmac_f32 v11, v187, v114 :: v_dual_fma_f32 v49, v186, v114, -v49
	s_delay_alu instid0(VALU_DEP_3) | instskip(SKIP_4) | instid1(VALU_DEP_3)
	v_dual_add_f32 v9, 0, v9 :: v_dual_add_f32 v47, 0, v47
	v_dual_mul_f32 v15, v190, v119 :: v_dual_mul_f32 v17, v192, v121
	s_wait_loadcnt_dscnt 0xb06
	v_dual_mul_f32 v63, v201, v129 :: v_dual_fma_f32 v51, v188, v116, -v51
	v_fmac_f32_e32 v13, v189, v116
	v_dual_add_f32 v9, v9, v11 :: v_dual_fmac_f32 v15, v191, v118
	v_add_f32_e32 v11, v47, v49
	v_dual_mul_f32 v55, v193, v121 :: v_dual_mul_f32 v57, v195, v123
	v_dual_mul_f32 v47, v203, v131 :: v_dual_fma_f32 v49, v190, v118, -v53
	s_delay_alu instid0(VALU_DEP_3) | instskip(SKIP_3) | instid1(VALU_DEP_3)
	v_dual_add_f32 v9, v9, v13 :: v_dual_add_f32 v11, v11, v51
	v_dual_mul_f32 v19, v194, v123 :: v_dual_mul_f32 v21, v196, v125
	s_wait_loadcnt_dscnt 0xa05
	v_dual_mul_f32 v13, v205, v133 :: v_dual_fma_f32 v51, v192, v120, -v55
	v_dual_fmac_f32 v17, v193, v120 :: v_dual_add_f32 v11, v11, v49
	s_delay_alu instid0(VALU_DEP_3) | instskip(SKIP_1) | instid1(VALU_DEP_2)
	v_dual_add_f32 v9, v9, v15 :: v_dual_fmac_f32 v19, v195, v122
	v_dual_mul_f32 v15, v207, v135 :: v_dual_fma_f32 v49, v194, v122, -v57
	v_dual_add_f32 v11, v11, v51 :: v_dual_add_f32 v9, v9, v17
	v_dual_mul_f32 v23, v198, v127 :: v_dual_mul_f32 v25, v200, v129
	s_wait_loadcnt_dscnt 0x904
	v_dual_mul_f32 v17, v209, v137 :: v_dual_fma_f32 v51, v196, v124, -v59
	s_delay_alu instid0(VALU_DEP_3) | instskip(NEXT) | instid1(VALU_DEP_3)
	v_dual_fmac_f32 v21, v197, v124 :: v_dual_add_f32 v11, v11, v49
	v_dual_add_f32 v9, v9, v19 :: v_dual_fmac_f32 v23, v199, v126
	v_dual_mul_f32 v19, v211, v139 :: v_dual_fma_f32 v49, v198, v126, -v61
	s_delay_alu instid0(VALU_DEP_2) | instskip(SKIP_3) | instid1(VALU_DEP_3)
	v_dual_add_f32 v11, v11, v51 :: v_dual_add_f32 v9, v9, v21
	v_dual_mul_f32 v27, v202, v131 :: v_dual_mul_f32 v29, v204, v133
	s_wait_loadcnt_dscnt 0x803
	v_dual_mul_f32 v21, v213, v141 :: v_dual_fma_f32 v51, v200, v128, -v63
	v_dual_fmac_f32 v25, v201, v128 :: v_dual_add_f32 v11, v11, v49
	s_delay_alu instid0(VALU_DEP_3) | instskip(SKIP_1) | instid1(VALU_DEP_2)
	v_dual_add_f32 v9, v9, v23 :: v_dual_fmac_f32 v27, v203, v130
	v_dual_mul_f32 v23, v215, v143 :: v_dual_fma_f32 v47, v202, v130, -v47
	v_dual_add_f32 v11, v11, v51 :: v_dual_add_f32 v9, v9, v25
	v_dual_mul_f32 v31, v206, v135 :: v_dual_mul_f32 v33, v208, v137
	s_wait_loadcnt_dscnt 0x702
	v_dual_mul_f32 v25, v217, v145 :: v_dual_fma_f32 v13, v204, v132, -v13
	s_delay_alu instid0(VALU_DEP_3) | instskip(NEXT) | instid1(VALU_DEP_3)
	v_dual_fmac_f32 v29, v205, v132 :: v_dual_add_f32 v11, v11, v47
	v_dual_add_f32 v9, v9, v27 :: v_dual_fmac_f32 v31, v207, v134
	v_dual_mul_f32 v27, v219, v147 :: v_dual_fma_f32 v15, v206, v134, -v15
	s_delay_alu instid0(VALU_DEP_3) | instskip(NEXT) | instid1(VALU_DEP_3)
	v_dual_add_f32 v11, v11, v13 :: v_dual_fmac_f32 v33, v209, v136
	v_dual_add_f32 v9, v9, v29 :: v_dual_fma_f32 v17, v208, v136, -v17
	v_dual_mul_f32 v35, v210, v139 :: v_dual_mul_f32 v37, v212, v141
	s_wait_loadcnt_dscnt 0x601
	s_delay_alu instid0(VALU_DEP_3) | instskip(NEXT) | instid1(VALU_DEP_2)
	v_dual_mul_f32 v13, v221, v149 :: v_dual_add_f32 v11, v11, v15
	v_dual_add_f32 v9, v9, v31 :: v_dual_fmac_f32 v35, v211, v138
	v_dual_mul_f32 v15, v223, v151 :: v_dual_fma_f32 v19, v210, v138, -v19
	s_delay_alu instid0(VALU_DEP_3) | instskip(NEXT) | instid1(VALU_DEP_3)
	v_dual_add_f32 v11, v11, v17 :: v_dual_fmac_f32 v37, v213, v140
	v_dual_add_f32 v9, v9, v33 :: v_dual_fma_f32 v21, v212, v140, -v21
	v_dual_mul_f32 v39, v214, v143 :: v_dual_mul_f32 v41, v216, v145
	s_wait_loadcnt 0x5
	s_delay_alu instid0(VALU_DEP_3) | instskip(NEXT) | instid1(VALU_DEP_3)
	v_dual_mul_f32 v17, v169, v153 :: v_dual_add_f32 v11, v11, v19
	v_dual_add_f32 v9, v9, v35 :: v_dual_mov_b32 v112, v155
	s_delay_alu instid0(VALU_DEP_3) | instskip(NEXT) | instid1(VALU_DEP_3)
	v_fmac_f32_e32 v39, v215, v142
	v_dual_fma_f32 v19, v214, v142, -v23 :: v_dual_add_f32 v11, v11, v21
	s_delay_alu instid0(VALU_DEP_3) | instskip(SKIP_1) | instid1(VALU_DEP_3)
	v_dual_add_f32 v9, v9, v37 :: v_dual_mul_f32 v43, v218, v147
	v_dual_mul_f32 v45, v220, v149 :: v_dual_fmac_f32 v41, v217, v144
	v_dual_add_f32 v11, v11, v19 :: v_dual_fma_f32 v21, v216, v144, -v25
	s_wait_loadcnt 0x4
	s_delay_alu instid0(VALU_DEP_3) | instskip(SKIP_3) | instid1(VALU_DEP_4)
	v_dual_add_f32 v9, v9, v39 :: v_dual_mov_b32 v116, v159
	v_fma_f32 v19, v218, v146, -v27
	v_fmac_f32_e32 v43, v219, v146
	v_dual_add_f32 v11, v11, v21 :: v_dual_fmac_f32 v45, v221, v148
	v_dual_add_f32 v9, v9, v41 :: v_dual_mul_f32 v239, v222, v151
	v_mul_f32_e32 v241, v168, v153
	s_delay_alu instid0(VALU_DEP_3) | instskip(NEXT) | instid1(VALU_DEP_3)
	v_dual_fma_f32 v13, v220, v148, -v13 :: v_dual_add_f32 v11, v11, v19
	v_dual_fma_f32 v238, v222, v150, -v15 :: v_dual_add_f32 v9, v9, v43
	s_delay_alu instid0(VALU_DEP_4) | instskip(SKIP_1) | instid1(VALU_DEP_4)
	v_fmac_f32_e32 v239, v223, v150
	v_pk_mul_f32 v[112:113], v[230:231], v[112:113] op_sel_hi:[1,0]
	v_dual_add_f32 v120, v11, v13 :: v_dual_fmac_f32 v241, v169, v152
	s_delay_alu instid0(VALU_DEP_4)
	v_add_f32_e32 v121, v9, v45
	v_pk_mul_f32 v[114:115], v[172:173], v[156:157] op_sel:[1,1] op_sel_hi:[0,1]
	s_wait_loadcnt 0x3
	v_dual_mov_b32 v122, v163 :: v_dual_fma_f32 v240, v168, v152, -v17
	v_pk_fma_f32 v[124:125], v[170:171], v[154:155], v[112:113] op_sel_hi:[1,0,1]
	v_pk_add_f32 v[120:121], v[120:121], v[238:239]
	v_pk_fma_f32 v[112:113], v[170:171], v[154:155], v[112:113] neg_lo:[0,0,1] neg_hi:[0,0,1]
	v_pk_fma_f32 v[126:127], v[172:173], v[156:157], v[114:115] op_sel_hi:[1,0,1]
	v_pk_mul_f32 v[116:117], v[232:233], v[116:117] op_sel_hi:[1,0]
	v_mov_b32_e32 v113, v125
	v_pk_add_f32 v[120:121], v[120:121], v[240:241]
	v_pk_fma_f32 v[114:115], v[172:173], v[156:157], v[114:115] neg_lo:[0,0,1] neg_hi:[0,0,1]
	v_pk_mul_f32 v[118:119], v[176:177], v[160:161] op_sel:[1,1] op_sel_hi:[0,1]
	v_mov_b32_e32 v115, v127
	v_pk_fma_f32 v[126:127], v[174:175], v[158:159], v[116:117] op_sel_hi:[1,0,1]
	v_pk_add_f32 v[112:113], v[120:121], v[112:113]
	v_pk_fma_f32 v[116:117], v[174:175], v[158:159], v[116:117] neg_lo:[0,0,1] neg_hi:[0,0,1]
	v_pk_fma_f32 v[120:121], v[176:177], v[160:161], v[118:119] op_sel_hi:[1,0,1]
	v_pk_mul_f32 v[122:123], v[234:235], v[122:123] op_sel_hi:[1,0]
	v_mov_b32_e32 v117, v127
	v_pk_add_f32 v[112:113], v[112:113], v[114:115]
	v_pk_fma_f32 v[118:119], v[176:177], v[160:161], v[118:119] neg_lo:[0,0,1] neg_hi:[0,0,1]
	s_wait_loadcnt 0x2
	v_pk_mul_f32 v[124:125], v[180:181], v[164:165] op_sel:[1,1] op_sel_hi:[0,1]
	v_dual_mov_b32 v114, v167 :: v_dual_mov_b32 v119, v121
	v_pk_fma_f32 v[120:121], v[178:179], v[162:163], v[122:123] op_sel_hi:[1,0,1]
	v_pk_add_f32 v[112:113], v[112:113], v[116:117]
	v_pk_fma_f32 v[122:123], v[178:179], v[162:163], v[122:123] neg_lo:[0,0,1] neg_hi:[0,0,1]
	v_pk_fma_f32 v[116:117], v[180:181], v[164:165], v[124:125] op_sel_hi:[1,0,1]
	v_pk_mul_f32 v[114:115], v[236:237], v[114:115] op_sel_hi:[1,0]
	v_mov_b32_e32 v123, v121
	v_pk_add_f32 v[112:113], v[112:113], v[118:119]
	v_pk_fma_f32 v[118:119], v[180:181], v[164:165], v[124:125] neg_lo:[0,0,1] neg_hi:[0,0,1]
	v_mov_b32_e32 v119, v117
	v_pk_fma_f32 v[116:117], v[182:183], v[166:167], v[114:115] op_sel_hi:[1,0,1]
	s_wait_loadcnt_dscnt 0x100
	v_pk_mul_f32 v[120:121], v[228:229], v[224:225] op_sel:[1,1] op_sel_hi:[0,1]
	v_pk_add_f32 v[112:113], v[112:113], v[122:123]
	v_pk_fma_f32 v[114:115], v[182:183], v[166:167], v[114:115] neg_lo:[0,0,1] neg_hi:[0,0,1]
	v_mov_b32_e32 v115, v117
	s_delay_alu instid0(VALU_DEP_4) | instskip(NEXT) | instid1(VALU_DEP_4)
	v_pk_fma_f32 v[116:117], v[228:229], v[224:225], v[120:121] op_sel_hi:[1,0,1]
	v_pk_add_f32 v[112:113], v[112:113], v[118:119]
	v_pk_fma_f32 v[118:119], v[228:229], v[224:225], v[120:121] neg_lo:[0,0,1] neg_hi:[0,0,1]
	s_delay_alu instid0(VALU_DEP_3) | instskip(NEXT) | instid1(VALU_DEP_3)
	v_mov_b32_e32 v119, v117
	v_pk_add_f32 v[112:113], v[112:113], v[114:115]
	s_delay_alu instid0(VALU_DEP_1) | instskip(SKIP_1) | instid1(VALU_DEP_1)
	v_pk_add_f32 v[112:113], v[112:113], v[118:119]
	s_wait_loadcnt 0x0
	v_pk_add_f32 v[112:113], v[226:227], v[112:113] neg_lo:[0,1] neg_hi:[0,1]
	scratch_store_b64 off, v[112:113], off offset:200
	s_wait_xcnt 0x0
	v_cmpx_lt_u32_e32 24, v0
	s_cbranch_execz .LBB118_295
; %bb.294:
	scratch_load_b64 v[112:113], off, off offset:192
	v_mov_b64_e32 v[114:115], 0
	scratch_store_b64 off, v[114:115], off offset:192
	s_wait_loadcnt 0x0
	ds_store_b64 v1, v[112:113]
.LBB118_295:
	s_wait_xcnt 0x0
	s_or_b32 exec_lo, exec_lo, s0
	s_wait_storecnt_dscnt 0x0
	s_barrier_signal -1
	s_barrier_wait -1
	s_clause 0xf
	scratch_load_b128 v[112:115], off, off offset:200
	scratch_load_b128 v[116:119], off, off offset:216
	;; [unrolled: 1-line block ×15, first 2 shown]
	scratch_load_b64 v[232:233], off, off offset:192
	ds_load_2addr_b64 v[172:175], v7 offset0:103 offset1:104
	ds_load_2addr_b64 v[176:179], v7 offset0:105 offset1:106
	;; [unrolled: 1-line block ×15, first 2 shown]
	s_mov_b32 s0, exec_lo
	s_wait_dscnt 0xe
	v_dual_mov_b32 v234, v175 :: v_dual_mov_b32 v235, v174
	s_wait_dscnt 0xd
	v_dual_mov_b32 v236, v179 :: v_dual_mov_b32 v237, v178
	;; [unrolled: 2-line block ×4, first 2 shown]
	s_wait_loadcnt_dscnt 0xf0a
	v_dual_mul_f32 v7, v188, v113 :: v_dual_mul_f32 v9, v190, v115
	v_dual_mul_f32 v47, v189, v113 :: v_dual_mul_f32 v49, v191, v115
	s_wait_loadcnt_dscnt 0xe09
	v_dual_mul_f32 v11, v192, v117 :: v_dual_mul_f32 v13, v194, v119
	s_delay_alu instid0(VALU_DEP_3) | instskip(SKIP_3) | instid1(VALU_DEP_3)
	v_dual_fmac_f32 v7, v189, v112 :: v_dual_fmac_f32 v9, v191, v114
	s_wait_loadcnt_dscnt 0xc06
	v_dual_fma_f32 v47, v188, v112, -v47 :: v_dual_mul_f32 v59, v205, v125
	v_dual_mul_f32 v51, v193, v117 :: v_dual_mul_f32 v53, v195, v119
	v_dual_fma_f32 v49, v190, v114, -v49 :: v_dual_add_f32 v7, 0, v7
	s_delay_alu instid0(VALU_DEP_3) | instskip(SKIP_1) | instid1(VALU_DEP_4)
	v_dual_add_f32 v47, 0, v47 :: v_dual_fmac_f32 v11, v193, v116
	v_dual_mul_f32 v15, v200, v121 :: v_dual_mul_f32 v17, v202, v123
	v_dual_mul_f32 v61, v207, v127 :: v_dual_fma_f32 v51, v192, v116, -v51
	s_delay_alu instid0(VALU_DEP_4) | instskip(NEXT) | instid1(VALU_DEP_3)
	v_add_f32_e32 v7, v7, v9
	v_dual_add_f32 v9, v47, v49 :: v_dual_fmac_f32 v15, v201, v120
	v_dual_mul_f32 v55, v201, v121 :: v_dual_mul_f32 v57, v203, v123
	s_wait_loadcnt_dscnt 0xb05
	v_dual_mul_f32 v47, v209, v129 :: v_dual_fmac_f32 v13, v195, v118
	v_dual_fma_f32 v49, v194, v118, -v53 :: v_dual_add_f32 v7, v7, v11
	s_delay_alu instid0(VALU_DEP_3) | instskip(SKIP_1) | instid1(VALU_DEP_3)
	v_dual_add_f32 v9, v9, v51 :: v_dual_fma_f32 v51, v200, v120, -v55
	v_dual_mul_f32 v19, v204, v125 :: v_dual_mul_f32 v21, v206, v127
	v_add_f32_e32 v7, v7, v13
	s_delay_alu instid0(VALU_DEP_3) | instskip(SKIP_2) | instid1(VALU_DEP_3)
	v_dual_mul_f32 v11, v211, v131 :: v_dual_add_f32 v9, v9, v49
	s_wait_loadcnt_dscnt 0xa04
	v_dual_mul_f32 v13, v213, v133 :: v_dual_fmac_f32 v17, v203, v122
	v_dual_fma_f32 v49, v202, v122, -v57 :: v_dual_add_f32 v7, v7, v15
	s_delay_alu instid0(VALU_DEP_3) | instskip(SKIP_1) | instid1(VALU_DEP_3)
	v_dual_add_f32 v9, v9, v51 :: v_dual_fma_f32 v51, v204, v124, -v59
	v_dual_mul_f32 v15, v215, v135 :: v_dual_fmac_f32 v19, v205, v124
	v_add_f32_e32 v7, v7, v17
	s_delay_alu instid0(VALU_DEP_3)
	v_dual_add_f32 v9, v9, v49 :: v_dual_fmac_f32 v21, v207, v126
	v_dual_mul_f32 v23, v208, v129 :: v_dual_mul_f32 v25, v210, v131
	s_wait_loadcnt_dscnt 0x903
	v_dual_fma_f32 v49, v206, v126, -v61 :: v_dual_mul_f32 v17, v217, v137
	v_add_f32_e32 v7, v7, v19
	v_dual_add_f32 v9, v9, v51 :: v_dual_fma_f32 v47, v208, v128, -v47
	v_dual_mul_f32 v19, v219, v139 :: v_dual_fmac_f32 v23, v209, v128
	s_delay_alu instid0(VALU_DEP_3) | instskip(NEXT) | instid1(VALU_DEP_3)
	v_dual_add_f32 v7, v7, v21 :: v_dual_fma_f32 v11, v210, v130, -v11
	v_dual_add_f32 v9, v9, v49 :: v_dual_fmac_f32 v25, v211, v130
	v_dual_mul_f32 v27, v212, v133 :: v_dual_mul_f32 v29, v214, v135
	s_wait_loadcnt_dscnt 0x802
	s_delay_alu instid0(VALU_DEP_3) | instskip(NEXT) | instid1(VALU_DEP_3)
	v_dual_mul_f32 v21, v221, v141 :: v_dual_add_f32 v7, v7, v23
	v_dual_add_f32 v9, v9, v47 :: v_dual_fma_f32 v13, v212, v132, -v13
	s_delay_alu instid0(VALU_DEP_3) | instskip(NEXT) | instid1(VALU_DEP_2)
	v_dual_mul_f32 v23, v223, v143 :: v_dual_fmac_f32 v27, v213, v132
	v_dual_add_f32 v7, v7, v25 :: v_dual_add_f32 v9, v9, v11
	v_dual_mul_f32 v31, v216, v137 :: v_dual_mul_f32 v33, v218, v139
	s_wait_loadcnt_dscnt 0x701
	v_dual_mul_f32 v11, v225, v145 :: v_dual_fmac_f32 v29, v215, v134
	s_delay_alu instid0(VALU_DEP_3) | instskip(SKIP_2) | instid1(VALU_DEP_2)
	v_dual_fma_f32 v15, v214, v134, -v15 :: v_dual_add_f32 v7, v7, v27
	v_dual_add_f32 v9, v9, v13 :: v_dual_mul_f32 v13, v227, v147
	v_dual_fmac_f32 v31, v217, v136 :: v_dual_fma_f32 v17, v216, v136, -v17
	v_dual_add_f32 v7, v7, v29 :: v_dual_add_f32 v9, v9, v15
	v_dual_mul_f32 v35, v220, v141 :: v_dual_mul_f32 v37, v222, v143
	s_wait_loadcnt_dscnt 0x600
	v_dual_mul_f32 v15, v229, v149 :: v_dual_fmac_f32 v33, v219, v138
	s_delay_alu instid0(VALU_DEP_3) | instskip(SKIP_2) | instid1(VALU_DEP_2)
	v_dual_fma_f32 v19, v218, v138, -v19 :: v_dual_add_f32 v7, v7, v31
	v_dual_add_f32 v9, v9, v17 :: v_dual_mul_f32 v17, v231, v151
	v_dual_fmac_f32 v35, v221, v140 :: v_dual_fma_f32 v21, v220, v140, -v21
	v_dual_add_f32 v7, v7, v33 :: v_dual_add_f32 v9, v9, v19
	v_dual_mul_f32 v39, v224, v145 :: v_dual_mul_f32 v41, v226, v147
	s_wait_loadcnt 0x5
	v_dual_mul_f32 v19, v197, v153 :: v_dual_fmac_f32 v37, v223, v142
	s_delay_alu instid0(VALU_DEP_3) | instskip(SKIP_2) | instid1(VALU_DEP_3)
	v_dual_fma_f32 v23, v222, v142, -v23 :: v_dual_add_f32 v7, v7, v35
	v_dual_add_f32 v9, v9, v21 :: v_dual_mul_f32 v21, v199, v155
	v_fmac_f32_e32 v39, v225, v144
	v_dual_fma_f32 v11, v224, v144, -v11 :: v_dual_add_f32 v7, v7, v37
	s_delay_alu instid0(VALU_DEP_3) | instskip(SKIP_1) | instid1(VALU_DEP_3)
	v_dual_add_f32 v9, v9, v23 :: v_dual_mul_f32 v43, v228, v149
	v_dual_mul_f32 v45, v230, v151 :: v_dual_fmac_f32 v41, v227, v146
	v_dual_fma_f32 v13, v226, v146, -v13 :: v_dual_add_f32 v7, v7, v39
	s_wait_loadcnt 0x4
	s_delay_alu instid0(VALU_DEP_3) | instskip(SKIP_1) | instid1(VALU_DEP_3)
	v_dual_add_f32 v9, v9, v11 :: v_dual_mov_b32 v114, v159
	v_fmac_f32_e32 v43, v229, v148
	v_dual_fma_f32 v11, v228, v148, -v15 :: v_dual_add_f32 v7, v7, v41
	s_delay_alu instid0(VALU_DEP_3) | instskip(SKIP_1) | instid1(VALU_DEP_3)
	v_dual_add_f32 v9, v9, v13 :: v_dual_fmac_f32 v45, v231, v150
	v_dual_mul_f32 v243, v196, v153 :: v_dual_mul_f32 v245, v198, v155
	v_dual_fma_f32 v13, v230, v150, -v17 :: v_dual_add_f32 v7, v7, v43
	s_wait_loadcnt 0x3
	s_delay_alu instid0(VALU_DEP_3) | instskip(SKIP_1) | instid1(VALU_DEP_3)
	v_dual_add_f32 v9, v9, v11 :: v_dual_mov_b32 v118, v163
	v_pk_mul_f32 v[112:113], v[172:173], v[156:157] op_sel:[1,1] op_sel_hi:[0,1]
	v_dual_fmac_f32 v243, v197, v152 :: v_dual_add_f32 v121, v7, v45
	s_delay_alu instid0(VALU_DEP_3) | instskip(SKIP_1) | instid1(VALU_DEP_4)
	v_dual_fma_f32 v242, v196, v152, -v19 :: v_dual_add_f32 v120, v9, v13
	v_fmac_f32_e32 v245, v199, v154
	v_pk_fma_f32 v[122:123], v[172:173], v[156:157], v[112:113] op_sel_hi:[1,0,1]
	v_fma_f32 v244, v198, v154, -v21
	v_pk_mul_f32 v[114:115], v[234:235], v[114:115] op_sel_hi:[1,0]
	v_pk_add_f32 v[120:121], v[120:121], v[242:243]
	v_pk_fma_f32 v[112:113], v[172:173], v[156:157], v[112:113] neg_lo:[0,0,1] neg_hi:[0,0,1]
	v_pk_mul_f32 v[116:117], v[176:177], v[160:161] op_sel:[1,1] op_sel_hi:[0,1]
	v_mov_b32_e32 v113, v123
	v_pk_fma_f32 v[122:123], v[174:175], v[158:159], v[114:115] op_sel_hi:[1,0,1]
	v_pk_add_f32 v[120:121], v[120:121], v[244:245]
	v_pk_fma_f32 v[114:115], v[174:175], v[158:159], v[114:115] neg_lo:[0,0,1] neg_hi:[0,0,1]
	v_pk_fma_f32 v[126:127], v[176:177], v[160:161], v[116:117] op_sel_hi:[1,0,1]
	v_pk_mul_f32 v[118:119], v[236:237], v[118:119] op_sel_hi:[1,0]
	v_mov_b32_e32 v115, v123
	v_pk_add_f32 v[112:113], v[120:121], v[112:113]
	s_wait_loadcnt 0x2
	v_pk_mul_f32 v[124:125], v[180:181], v[164:165] op_sel:[1,1] op_sel_hi:[0,1]
	v_mov_b32_e32 v120, v167
	v_pk_fma_f32 v[116:117], v[176:177], v[160:161], v[116:117] neg_lo:[0,0,1] neg_hi:[0,0,1]
	v_pk_fma_f32 v[122:123], v[178:179], v[162:163], v[118:119] op_sel_hi:[1,0,1]
	v_mov_b32_e32 v117, v127
	v_pk_add_f32 v[112:113], v[112:113], v[114:115]
	v_pk_fma_f32 v[114:115], v[180:181], v[164:165], v[124:125] op_sel_hi:[1,0,1]
	v_pk_mul_f32 v[120:121], v[238:239], v[120:121] op_sel_hi:[1,0]
	v_pk_fma_f32 v[118:119], v[178:179], v[162:163], v[118:119] neg_lo:[0,0,1] neg_hi:[0,0,1]
	v_mov_b32_e32 v119, v123
	v_pk_add_f32 v[112:113], v[112:113], v[116:117]
	v_pk_fma_f32 v[122:123], v[180:181], v[164:165], v[124:125] neg_lo:[0,0,1] neg_hi:[0,0,1]
	v_mov_b32_e32 v123, v115
	v_pk_fma_f32 v[114:115], v[182:183], v[166:167], v[120:121] op_sel_hi:[1,0,1]
	s_wait_loadcnt 0x1
	v_pk_mul_f32 v[116:117], v[184:185], v[168:169] op_sel:[1,1] op_sel_hi:[0,1]
	v_pk_add_f32 v[112:113], v[112:113], v[118:119]
	v_mov_b32_e32 v114, v171
	v_pk_fma_f32 v[120:121], v[182:183], v[166:167], v[120:121] neg_lo:[0,0,1] neg_hi:[0,0,1]
	s_delay_alu instid0(VALU_DEP_4)
	v_pk_fma_f32 v[118:119], v[184:185], v[168:169], v[116:117] op_sel_hi:[1,0,1]
	v_mov_b32_e32 v121, v115
	v_pk_add_f32 v[112:113], v[112:113], v[122:123]
	v_pk_mul_f32 v[114:115], v[240:241], v[114:115] op_sel_hi:[1,0]
	v_pk_fma_f32 v[116:117], v[184:185], v[168:169], v[116:117] neg_lo:[0,0,1] neg_hi:[0,0,1]
	v_mov_b32_e32 v117, v119
	s_delay_alu instid0(VALU_DEP_4) | instskip(NEXT) | instid1(VALU_DEP_4)
	v_pk_add_f32 v[112:113], v[112:113], v[120:121]
	v_pk_fma_f32 v[118:119], v[186:187], v[170:171], v[114:115] op_sel_hi:[1,0,1]
	v_pk_fma_f32 v[114:115], v[186:187], v[170:171], v[114:115] neg_lo:[0,0,1] neg_hi:[0,0,1]
	s_delay_alu instid0(VALU_DEP_3) | instskip(NEXT) | instid1(VALU_DEP_3)
	v_pk_add_f32 v[112:113], v[112:113], v[116:117]
	v_mov_b32_e32 v115, v119
	s_delay_alu instid0(VALU_DEP_1) | instskip(SKIP_1) | instid1(VALU_DEP_1)
	v_pk_add_f32 v[112:113], v[112:113], v[114:115]
	s_wait_loadcnt 0x0
	v_pk_add_f32 v[112:113], v[232:233], v[112:113] neg_lo:[0,1] neg_hi:[0,1]
	scratch_store_b64 off, v[112:113], off offset:192
	s_wait_xcnt 0x0
	v_cmpx_lt_u32_e32 23, v0
	s_cbranch_execz .LBB118_297
; %bb.296:
	scratch_load_b64 v[112:113], off, off offset:184
	v_mov_b64_e32 v[114:115], 0
	scratch_store_b64 off, v[114:115], off offset:184
	s_wait_loadcnt 0x0
	ds_store_b64 v1, v[112:113]
.LBB118_297:
	s_wait_xcnt 0x0
	s_or_b32 exec_lo, exec_lo, s0
	s_wait_storecnt_dscnt 0x0
	s_barrier_signal -1
	s_barrier_wait -1
	s_clause 0x10
	scratch_load_b128 v[112:115], off, off offset:192
	scratch_load_b128 v[116:119], off, off offset:208
	;; [unrolled: 1-line block ×15, first 2 shown]
	scratch_load_b64 v[232:233], off, off offset:432
	scratch_load_b64 v[234:235], off, off offset:184
	v_mov_b32_e32 v7, 0
	ds_load_b128 v[172:175], v7 offset:816
	ds_load_b128 v[176:179], v7 offset:832
	;; [unrolled: 1-line block ×15, first 2 shown]
	ds_load_b64 v[236:237], v7 offset:880
	s_mov_b32 s0, exec_lo
	s_wait_dscnt 0xf
	v_dual_mov_b32 v238, v175 :: v_dual_mov_b32 v239, v174
	s_wait_dscnt 0xc
	v_dual_mov_b32 v240, v179 :: v_dual_mov_b32 v245, v186
	v_dual_mov_b32 v241, v178 :: v_dual_mov_b32 v242, v183
	;; [unrolled: 1-line block ×3, first 2 shown]
	s_wait_loadcnt_dscnt 0x100b
	v_dual_mul_f32 v9, v188, v113 :: v_dual_mul_f32 v51, v189, v113
	v_dual_mul_f32 v53, v191, v115 :: v_dual_mul_f32 v11, v190, v115
	s_wait_loadcnt_dscnt 0xf09
	v_mul_f32_e32 v13, v196, v117
	s_wait_loadcnt_dscnt 0xd07
	v_dual_mul_f32 v63, v205, v125 :: v_dual_fma_f32 v51, v188, v112, -v51
	v_dual_fmac_f32 v9, v189, v112 :: v_dual_mul_f32 v65, v207, v127
	v_dual_mul_f32 v55, v197, v117 :: v_dual_mul_f32 v57, v199, v119
	v_dual_fmac_f32 v11, v191, v114 :: v_dual_fma_f32 v53, v190, v114, -v53
	s_delay_alu instid0(VALU_DEP_3) | instskip(SKIP_4) | instid1(VALU_DEP_3)
	v_dual_add_f32 v9, 0, v9 :: v_dual_add_f32 v51, 0, v51
	v_dual_mul_f32 v15, v198, v119 :: v_dual_mul_f32 v17, v200, v121
	s_wait_loadcnt_dscnt 0xc06
	v_dual_mul_f32 v67, v209, v129 :: v_dual_fma_f32 v55, v196, v116, -v55
	v_fmac_f32_e32 v13, v197, v116
	v_dual_add_f32 v9, v9, v11 :: v_dual_fmac_f32 v15, v199, v118
	v_add_f32_e32 v11, v51, v53
	v_dual_mul_f32 v59, v201, v121 :: v_dual_mul_f32 v61, v203, v123
	v_dual_mul_f32 v51, v211, v131 :: v_dual_fma_f32 v53, v198, v118, -v57
	s_delay_alu instid0(VALU_DEP_3) | instskip(SKIP_3) | instid1(VALU_DEP_3)
	v_dual_add_f32 v9, v9, v13 :: v_dual_add_f32 v11, v11, v55
	v_dual_mul_f32 v19, v202, v123 :: v_dual_mul_f32 v21, v204, v125
	s_wait_loadcnt_dscnt 0xb05
	v_dual_mul_f32 v13, v213, v133 :: v_dual_fma_f32 v55, v200, v120, -v59
	v_dual_fmac_f32 v17, v201, v120 :: v_dual_add_f32 v11, v11, v53
	s_delay_alu instid0(VALU_DEP_3) | instskip(SKIP_1) | instid1(VALU_DEP_2)
	v_dual_add_f32 v9, v9, v15 :: v_dual_fmac_f32 v19, v203, v122
	v_dual_mul_f32 v15, v215, v135 :: v_dual_fma_f32 v53, v202, v122, -v61
	v_dual_add_f32 v11, v11, v55 :: v_dual_add_f32 v9, v9, v17
	v_dual_mul_f32 v23, v206, v127 :: v_dual_mul_f32 v25, v208, v129
	s_wait_loadcnt_dscnt 0xa04
	v_dual_mul_f32 v17, v217, v137 :: v_dual_fma_f32 v55, v204, v124, -v63
	s_delay_alu instid0(VALU_DEP_3) | instskip(NEXT) | instid1(VALU_DEP_3)
	v_dual_fmac_f32 v21, v205, v124 :: v_dual_add_f32 v11, v11, v53
	v_dual_add_f32 v9, v9, v19 :: v_dual_fmac_f32 v23, v207, v126
	v_dual_mul_f32 v19, v219, v139 :: v_dual_fma_f32 v53, v206, v126, -v65
	s_delay_alu instid0(VALU_DEP_2) | instskip(SKIP_3) | instid1(VALU_DEP_3)
	v_dual_add_f32 v11, v11, v55 :: v_dual_add_f32 v9, v9, v21
	v_dual_mul_f32 v27, v210, v131 :: v_dual_mul_f32 v29, v212, v133
	s_wait_loadcnt_dscnt 0x903
	v_dual_mul_f32 v21, v221, v141 :: v_dual_fma_f32 v55, v208, v128, -v67
	v_dual_fmac_f32 v25, v209, v128 :: v_dual_add_f32 v11, v11, v53
	s_delay_alu instid0(VALU_DEP_3) | instskip(SKIP_1) | instid1(VALU_DEP_2)
	v_dual_add_f32 v9, v9, v23 :: v_dual_fmac_f32 v27, v211, v130
	v_dual_mul_f32 v23, v223, v143 :: v_dual_fma_f32 v51, v210, v130, -v51
	v_dual_add_f32 v11, v11, v55 :: v_dual_add_f32 v9, v9, v25
	v_dual_mul_f32 v31, v214, v135 :: v_dual_mul_f32 v33, v216, v137
	s_wait_loadcnt_dscnt 0x802
	v_dual_mul_f32 v25, v225, v145 :: v_dual_fma_f32 v13, v212, v132, -v13
	s_delay_alu instid0(VALU_DEP_3) | instskip(NEXT) | instid1(VALU_DEP_3)
	v_dual_fmac_f32 v29, v213, v132 :: v_dual_add_f32 v11, v11, v51
	v_dual_add_f32 v9, v9, v27 :: v_dual_fmac_f32 v31, v215, v134
	v_dual_mul_f32 v27, v227, v147 :: v_dual_fma_f32 v15, v214, v134, -v15
	s_delay_alu instid0(VALU_DEP_3) | instskip(NEXT) | instid1(VALU_DEP_3)
	v_dual_add_f32 v11, v11, v13 :: v_dual_fmac_f32 v33, v217, v136
	v_dual_add_f32 v9, v9, v29 :: v_dual_fma_f32 v17, v216, v136, -v17
	v_dual_mul_f32 v35, v218, v139 :: v_dual_mul_f32 v37, v220, v141
	s_wait_loadcnt_dscnt 0x701
	s_delay_alu instid0(VALU_DEP_3) | instskip(NEXT) | instid1(VALU_DEP_2)
	v_dual_mul_f32 v13, v229, v149 :: v_dual_add_f32 v11, v11, v15
	v_dual_add_f32 v9, v9, v31 :: v_dual_fmac_f32 v35, v219, v138
	v_dual_mul_f32 v15, v231, v151 :: v_dual_fma_f32 v19, v218, v138, -v19
	s_delay_alu instid0(VALU_DEP_3) | instskip(NEXT) | instid1(VALU_DEP_3)
	v_dual_add_f32 v11, v11, v17 :: v_dual_fmac_f32 v37, v221, v140
	v_dual_add_f32 v9, v9, v33 :: v_dual_fma_f32 v21, v220, v140, -v21
	v_dual_mul_f32 v39, v222, v143 :: v_dual_mul_f32 v41, v224, v145
	s_wait_loadcnt 0x6
	s_delay_alu instid0(VALU_DEP_3) | instskip(NEXT) | instid1(VALU_DEP_2)
	v_dual_mul_f32 v17, v193, v153 :: v_dual_add_f32 v11, v11, v19
	v_dual_add_f32 v9, v9, v35 :: v_dual_fmac_f32 v39, v223, v142
	v_dual_mul_f32 v19, v195, v155 :: v_dual_fma_f32 v23, v222, v142, -v23
	s_delay_alu instid0(VALU_DEP_3) | instskip(NEXT) | instid1(VALU_DEP_3)
	v_dual_add_f32 v11, v11, v21 :: v_dual_fmac_f32 v41, v225, v144
	v_dual_add_f32 v9, v9, v37 :: v_dual_fma_f32 v25, v224, v144, -v25
	v_dual_mul_f32 v43, v226, v147 :: v_dual_mul_f32 v45, v228, v149
	s_wait_loadcnt 0x5
	s_delay_alu instid0(VALU_DEP_3) | instskip(NEXT) | instid1(VALU_DEP_3)
	v_dual_mul_f32 v21, v173, v157 :: v_dual_add_f32 v11, v11, v23
	v_dual_add_f32 v9, v9, v39 :: v_dual_mov_b32 v112, v159
	s_delay_alu instid0(VALU_DEP_3) | instskip(NEXT) | instid1(VALU_DEP_3)
	v_fmac_f32_e32 v43, v227, v146
	v_dual_fma_f32 v23, v226, v146, -v27 :: v_dual_add_f32 v11, v11, v25
	s_delay_alu instid0(VALU_DEP_3) | instskip(SKIP_1) | instid1(VALU_DEP_3)
	v_dual_add_f32 v9, v9, v41 :: v_dual_mul_f32 v47, v230, v151
	v_dual_mul_f32 v49, v192, v153 :: v_dual_fmac_f32 v45, v229, v148
	v_dual_add_f32 v11, v11, v23 :: v_dual_fma_f32 v13, v228, v148, -v13
	s_wait_loadcnt 0x4
	s_delay_alu instid0(VALU_DEP_3) | instskip(SKIP_3) | instid1(VALU_DEP_4)
	v_dual_add_f32 v9, v9, v43 :: v_dual_mov_b32 v116, v163
	v_fma_f32 v15, v230, v150, -v15
	v_fmac_f32_e32 v47, v231, v150
	v_dual_add_f32 v11, v11, v13 :: v_dual_fmac_f32 v49, v193, v152
	v_dual_add_f32 v9, v9, v45 :: v_dual_mul_f32 v247, v194, v155
	v_mul_f32_e32 v249, v172, v157
	s_delay_alu instid0(VALU_DEP_3) | instskip(NEXT) | instid1(VALU_DEP_3)
	v_dual_fma_f32 v13, v192, v152, -v17 :: v_dual_add_f32 v11, v11, v15
	v_dual_fma_f32 v246, v194, v154, -v19 :: v_dual_add_f32 v9, v9, v47
	s_delay_alu instid0(VALU_DEP_4) | instskip(SKIP_1) | instid1(VALU_DEP_4)
	v_fmac_f32_e32 v247, v195, v154
	v_pk_mul_f32 v[112:113], v[238:239], v[112:113] op_sel_hi:[1,0]
	v_dual_add_f32 v120, v11, v13 :: v_dual_fmac_f32 v249, v173, v156
	s_delay_alu instid0(VALU_DEP_4)
	v_add_f32_e32 v121, v9, v49
	v_pk_mul_f32 v[114:115], v[176:177], v[160:161] op_sel:[1,1] op_sel_hi:[0,1]
	s_wait_loadcnt 0x3
	v_dual_mov_b32 v122, v167 :: v_dual_fma_f32 v248, v172, v156, -v21
	v_pk_fma_f32 v[124:125], v[174:175], v[158:159], v[112:113] op_sel_hi:[1,0,1]
	v_pk_add_f32 v[120:121], v[120:121], v[246:247]
	v_pk_fma_f32 v[112:113], v[174:175], v[158:159], v[112:113] neg_lo:[0,0,1] neg_hi:[0,0,1]
	v_pk_fma_f32 v[126:127], v[176:177], v[160:161], v[114:115] op_sel_hi:[1,0,1]
	v_pk_mul_f32 v[116:117], v[240:241], v[116:117] op_sel_hi:[1,0]
	v_mov_b32_e32 v113, v125
	v_pk_add_f32 v[120:121], v[120:121], v[248:249]
	v_pk_fma_f32 v[114:115], v[176:177], v[160:161], v[114:115] neg_lo:[0,0,1] neg_hi:[0,0,1]
	v_pk_mul_f32 v[118:119], v[180:181], v[164:165] op_sel:[1,1] op_sel_hi:[0,1]
	v_mov_b32_e32 v115, v127
	v_pk_fma_f32 v[126:127], v[178:179], v[162:163], v[116:117] op_sel_hi:[1,0,1]
	v_pk_add_f32 v[112:113], v[120:121], v[112:113]
	v_pk_fma_f32 v[116:117], v[178:179], v[162:163], v[116:117] neg_lo:[0,0,1] neg_hi:[0,0,1]
	v_pk_fma_f32 v[120:121], v[180:181], v[164:165], v[118:119] op_sel_hi:[1,0,1]
	v_pk_mul_f32 v[122:123], v[242:243], v[122:123] op_sel_hi:[1,0]
	v_mov_b32_e32 v117, v127
	v_pk_add_f32 v[112:113], v[112:113], v[114:115]
	v_pk_fma_f32 v[118:119], v[180:181], v[164:165], v[118:119] neg_lo:[0,0,1] neg_hi:[0,0,1]
	s_wait_loadcnt 0x2
	v_pk_mul_f32 v[124:125], v[184:185], v[168:169] op_sel:[1,1] op_sel_hi:[0,1]
	v_dual_mov_b32 v114, v171 :: v_dual_mov_b32 v119, v121
	v_pk_fma_f32 v[120:121], v[182:183], v[166:167], v[122:123] op_sel_hi:[1,0,1]
	v_pk_add_f32 v[112:113], v[112:113], v[116:117]
	v_pk_fma_f32 v[122:123], v[182:183], v[166:167], v[122:123] neg_lo:[0,0,1] neg_hi:[0,0,1]
	v_pk_fma_f32 v[116:117], v[184:185], v[168:169], v[124:125] op_sel_hi:[1,0,1]
	v_pk_mul_f32 v[114:115], v[244:245], v[114:115] op_sel_hi:[1,0]
	v_mov_b32_e32 v123, v121
	v_pk_add_f32 v[112:113], v[112:113], v[118:119]
	v_pk_fma_f32 v[118:119], v[184:185], v[168:169], v[124:125] neg_lo:[0,0,1] neg_hi:[0,0,1]
	v_mov_b32_e32 v119, v117
	v_pk_fma_f32 v[116:117], v[186:187], v[170:171], v[114:115] op_sel_hi:[1,0,1]
	s_wait_loadcnt_dscnt 0x100
	v_pk_mul_f32 v[120:121], v[236:237], v[232:233] op_sel:[1,1] op_sel_hi:[0,1]
	v_pk_add_f32 v[112:113], v[112:113], v[122:123]
	v_pk_fma_f32 v[114:115], v[186:187], v[170:171], v[114:115] neg_lo:[0,0,1] neg_hi:[0,0,1]
	v_mov_b32_e32 v115, v117
	s_delay_alu instid0(VALU_DEP_4) | instskip(NEXT) | instid1(VALU_DEP_4)
	v_pk_fma_f32 v[116:117], v[236:237], v[232:233], v[120:121] op_sel_hi:[1,0,1]
	v_pk_add_f32 v[112:113], v[112:113], v[118:119]
	v_pk_fma_f32 v[118:119], v[236:237], v[232:233], v[120:121] neg_lo:[0,0,1] neg_hi:[0,0,1]
	s_delay_alu instid0(VALU_DEP_3) | instskip(NEXT) | instid1(VALU_DEP_3)
	v_mov_b32_e32 v119, v117
	v_pk_add_f32 v[112:113], v[112:113], v[114:115]
	s_delay_alu instid0(VALU_DEP_1) | instskip(SKIP_1) | instid1(VALU_DEP_1)
	v_pk_add_f32 v[112:113], v[112:113], v[118:119]
	s_wait_loadcnt 0x0
	v_pk_add_f32 v[112:113], v[234:235], v[112:113] neg_lo:[0,1] neg_hi:[0,1]
	scratch_store_b64 off, v[112:113], off offset:184
	s_wait_xcnt 0x0
	v_cmpx_lt_u32_e32 22, v0
	s_cbranch_execz .LBB118_299
; %bb.298:
	scratch_load_b64 v[112:113], off, off offset:176
	v_mov_b64_e32 v[114:115], 0
	scratch_store_b64 off, v[114:115], off offset:176
	s_wait_loadcnt 0x0
	ds_store_b64 v1, v[112:113]
.LBB118_299:
	s_wait_xcnt 0x0
	s_or_b32 exec_lo, exec_lo, s0
	s_wait_storecnt_dscnt 0x0
	s_barrier_signal -1
	s_barrier_wait -1
	s_clause 0x10
	scratch_load_b128 v[112:115], off, off offset:184
	scratch_load_b128 v[116:119], off, off offset:200
	;; [unrolled: 1-line block ×16, first 2 shown]
	scratch_load_b64 v[240:241], off, off offset:176
	ds_load_2addr_b64 v[176:179], v7 offset0:103 offset1:104
	ds_load_2addr_b64 v[180:183], v7 offset0:105 offset1:106
	;; [unrolled: 1-line block ×16, first 2 shown]
	s_mov_b32 s0, exec_lo
	s_wait_dscnt 0xf
	v_dual_mov_b32 v242, v179 :: v_dual_mov_b32 v243, v178
	s_wait_dscnt 0xe
	v_dual_mov_b32 v244, v183 :: v_dual_mov_b32 v245, v182
	;; [unrolled: 2-line block ×4, first 2 shown]
	s_wait_loadcnt_dscnt 0x100b
	v_dual_mul_f32 v7, v192, v113 :: v_dual_mul_f32 v9, v194, v115
	v_dual_mul_f32 v51, v193, v113 :: v_dual_mul_f32 v53, v195, v115
	s_wait_loadcnt_dscnt 0xf0a
	v_dual_mul_f32 v11, v196, v117 :: v_dual_mul_f32 v13, v198, v119
	s_delay_alu instid0(VALU_DEP_3) | instskip(SKIP_3) | instid1(VALU_DEP_3)
	v_dual_fmac_f32 v7, v193, v112 :: v_dual_fmac_f32 v9, v195, v114
	s_wait_loadcnt_dscnt 0xd08
	v_dual_fma_f32 v51, v192, v112, -v51 :: v_dual_mul_f32 v63, v205, v125
	v_dual_mul_f32 v55, v197, v117 :: v_dual_mul_f32 v57, v199, v119
	v_dual_fma_f32 v53, v194, v114, -v53 :: v_dual_add_f32 v7, 0, v7
	s_delay_alu instid0(VALU_DEP_3) | instskip(SKIP_1) | instid1(VALU_DEP_4)
	v_dual_add_f32 v51, 0, v51 :: v_dual_fmac_f32 v11, v197, v116
	v_dual_mul_f32 v15, v200, v121 :: v_dual_mul_f32 v17, v202, v123
	v_dual_mul_f32 v65, v207, v127 :: v_dual_fma_f32 v55, v196, v116, -v55
	s_delay_alu instid0(VALU_DEP_4) | instskip(NEXT) | instid1(VALU_DEP_3)
	v_add_f32_e32 v7, v7, v9
	v_dual_add_f32 v9, v51, v53 :: v_dual_fmac_f32 v15, v201, v120
	v_dual_mul_f32 v59, v201, v121 :: v_dual_mul_f32 v61, v203, v123
	s_wait_loadcnt_dscnt 0xc07
	v_dual_mul_f32 v51, v209, v129 :: v_dual_fmac_f32 v13, v199, v118
	v_dual_fma_f32 v53, v198, v118, -v57 :: v_dual_add_f32 v7, v7, v11
	s_delay_alu instid0(VALU_DEP_3) | instskip(SKIP_1) | instid1(VALU_DEP_3)
	v_dual_add_f32 v9, v9, v55 :: v_dual_fma_f32 v55, v200, v120, -v59
	v_dual_mul_f32 v19, v204, v125 :: v_dual_mul_f32 v21, v206, v127
	v_add_f32_e32 v7, v7, v13
	s_delay_alu instid0(VALU_DEP_3) | instskip(SKIP_2) | instid1(VALU_DEP_3)
	v_dual_mul_f32 v11, v211, v131 :: v_dual_add_f32 v9, v9, v53
	s_wait_loadcnt_dscnt 0xb06
	v_dual_mul_f32 v13, v213, v133 :: v_dual_fmac_f32 v17, v203, v122
	v_dual_fma_f32 v53, v202, v122, -v61 :: v_dual_add_f32 v7, v7, v15
	s_delay_alu instid0(VALU_DEP_3) | instskip(SKIP_1) | instid1(VALU_DEP_3)
	v_dual_add_f32 v9, v9, v55 :: v_dual_fma_f32 v55, v204, v124, -v63
	v_dual_mul_f32 v15, v215, v135 :: v_dual_fmac_f32 v19, v205, v124
	v_add_f32_e32 v7, v7, v17
	s_delay_alu instid0(VALU_DEP_3)
	v_dual_add_f32 v9, v9, v53 :: v_dual_fmac_f32 v21, v207, v126
	v_dual_mul_f32 v23, v208, v129 :: v_dual_mul_f32 v25, v210, v131
	s_wait_loadcnt_dscnt 0xa05
	v_dual_fma_f32 v53, v206, v126, -v65 :: v_dual_mul_f32 v17, v217, v137
	v_add_f32_e32 v7, v7, v19
	v_dual_add_f32 v9, v9, v55 :: v_dual_fma_f32 v51, v208, v128, -v51
	v_dual_mul_f32 v19, v219, v139 :: v_dual_fmac_f32 v23, v209, v128
	s_delay_alu instid0(VALU_DEP_3) | instskip(NEXT) | instid1(VALU_DEP_3)
	v_dual_add_f32 v7, v7, v21 :: v_dual_fma_f32 v11, v210, v130, -v11
	v_dual_add_f32 v9, v9, v53 :: v_dual_fmac_f32 v25, v211, v130
	v_dual_mul_f32 v27, v212, v133 :: v_dual_mul_f32 v29, v214, v135
	s_wait_loadcnt_dscnt 0x904
	s_delay_alu instid0(VALU_DEP_3) | instskip(NEXT) | instid1(VALU_DEP_3)
	v_dual_mul_f32 v21, v221, v141 :: v_dual_add_f32 v7, v7, v23
	v_dual_add_f32 v9, v9, v51 :: v_dual_fma_f32 v13, v212, v132, -v13
	s_delay_alu instid0(VALU_DEP_3) | instskip(NEXT) | instid1(VALU_DEP_2)
	v_dual_mul_f32 v23, v223, v143 :: v_dual_fmac_f32 v27, v213, v132
	v_dual_add_f32 v7, v7, v25 :: v_dual_add_f32 v9, v9, v11
	v_dual_mul_f32 v31, v216, v137 :: v_dual_mul_f32 v33, v218, v139
	s_wait_loadcnt_dscnt 0x803
	v_dual_mul_f32 v11, v225, v145 :: v_dual_fmac_f32 v29, v215, v134
	s_delay_alu instid0(VALU_DEP_3) | instskip(SKIP_2) | instid1(VALU_DEP_2)
	v_dual_fma_f32 v15, v214, v134, -v15 :: v_dual_add_f32 v7, v7, v27
	v_dual_add_f32 v9, v9, v13 :: v_dual_mul_f32 v13, v227, v147
	v_dual_fmac_f32 v31, v217, v136 :: v_dual_fma_f32 v17, v216, v136, -v17
	v_dual_add_f32 v7, v7, v29 :: v_dual_add_f32 v9, v9, v15
	v_dual_mul_f32 v35, v220, v141 :: v_dual_mul_f32 v37, v222, v143
	s_wait_loadcnt_dscnt 0x702
	v_dual_mul_f32 v15, v229, v149 :: v_dual_fmac_f32 v33, v219, v138
	s_delay_alu instid0(VALU_DEP_3) | instskip(SKIP_2) | instid1(VALU_DEP_2)
	v_dual_fma_f32 v19, v218, v138, -v19 :: v_dual_add_f32 v7, v7, v31
	v_dual_add_f32 v9, v9, v17 :: v_dual_mul_f32 v17, v231, v151
	v_dual_fmac_f32 v35, v221, v140 :: v_dual_fma_f32 v21, v220, v140, -v21
	v_dual_add_f32 v7, v7, v33 :: v_dual_add_f32 v9, v9, v19
	v_dual_mul_f32 v39, v224, v145 :: v_dual_mul_f32 v41, v226, v147
	s_wait_loadcnt_dscnt 0x601
	v_dual_mul_f32 v19, v233, v153 :: v_dual_fmac_f32 v37, v223, v142
	s_delay_alu instid0(VALU_DEP_3) | instskip(SKIP_2) | instid1(VALU_DEP_3)
	v_dual_fma_f32 v23, v222, v142, -v23 :: v_dual_add_f32 v7, v7, v35
	v_dual_add_f32 v9, v9, v21 :: v_dual_mul_f32 v21, v235, v155
	v_fmac_f32_e32 v39, v225, v144
	v_dual_fma_f32 v11, v224, v144, -v11 :: v_dual_add_f32 v7, v7, v37
	s_delay_alu instid0(VALU_DEP_3)
	v_dual_add_f32 v9, v9, v23 :: v_dual_mul_f32 v43, v228, v149
	s_wait_loadcnt_dscnt 0x500
	v_dual_mul_f32 v45, v230, v151 :: v_dual_mul_f32 v23, v237, v157
	v_fmac_f32_e32 v41, v227, v146
	v_dual_fma_f32 v13, v226, v146, -v13 :: v_dual_add_f32 v7, v7, v39
	v_dual_add_f32 v9, v9, v11 :: v_dual_fma_f32 v15, v228, v148, -v15
	v_dual_mul_f32 v11, v239, v159 :: v_dual_fmac_f32 v43, v229, v148
	s_delay_alu instid0(VALU_DEP_3) | instskip(NEXT) | instid1(VALU_DEP_3)
	v_add_f32_e32 v7, v7, v41
	v_dual_add_f32 v9, v9, v13 :: v_dual_fmac_f32 v45, v231, v150
	v_dual_mul_f32 v47, v232, v153 :: v_dual_mul_f32 v49, v234, v155
	s_delay_alu instid0(VALU_DEP_3) | instskip(SKIP_1) | instid1(VALU_DEP_3)
	v_dual_fma_f32 v13, v230, v150, -v17 :: v_dual_add_f32 v7, v7, v43
	s_wait_loadcnt 0x4
	v_dual_add_f32 v9, v9, v15 :: v_dual_mov_b32 v114, v163
	s_delay_alu instid0(VALU_DEP_3) | instskip(NEXT) | instid1(VALU_DEP_3)
	v_fmac_f32_e32 v47, v233, v152
	v_dual_fma_f32 v15, v232, v152, -v19 :: v_dual_add_f32 v7, v7, v45
	s_delay_alu instid0(VALU_DEP_3) | instskip(SKIP_1) | instid1(VALU_DEP_3)
	v_dual_add_f32 v9, v9, v13 :: v_dual_fmac_f32 v49, v235, v154
	v_dual_mul_f32 v251, v236, v157 :: v_dual_mul_f32 v253, v238, v159
	v_dual_fma_f32 v13, v234, v154, -v21 :: v_dual_add_f32 v7, v7, v47
	s_wait_loadcnt 0x3
	s_delay_alu instid0(VALU_DEP_3) | instskip(SKIP_1) | instid1(VALU_DEP_3)
	v_dual_add_f32 v9, v9, v15 :: v_dual_mov_b32 v118, v167
	v_pk_mul_f32 v[112:113], v[176:177], v[160:161] op_sel:[1,1] op_sel_hi:[0,1]
	v_dual_fmac_f32 v251, v237, v156 :: v_dual_add_f32 v121, v7, v49
	s_delay_alu instid0(VALU_DEP_3) | instskip(SKIP_1) | instid1(VALU_DEP_4)
	v_dual_fma_f32 v250, v236, v156, -v23 :: v_dual_add_f32 v120, v9, v13
	v_dual_fmac_f32 v253, v239, v158 :: v_dual_fma_f32 v252, v238, v158, -v11
	v_pk_fma_f32 v[122:123], v[176:177], v[160:161], v[112:113] op_sel_hi:[1,0,1]
	v_pk_mul_f32 v[114:115], v[242:243], v[114:115] op_sel_hi:[1,0]
	s_delay_alu instid0(VALU_DEP_4)
	v_pk_add_f32 v[120:121], v[120:121], v[250:251]
	v_pk_fma_f32 v[112:113], v[176:177], v[160:161], v[112:113] neg_lo:[0,0,1] neg_hi:[0,0,1]
	v_pk_mul_f32 v[116:117], v[180:181], v[164:165] op_sel:[1,1] op_sel_hi:[0,1]
	v_mov_b32_e32 v113, v123
	v_pk_fma_f32 v[122:123], v[178:179], v[162:163], v[114:115] op_sel_hi:[1,0,1]
	v_pk_add_f32 v[120:121], v[120:121], v[252:253]
	v_pk_fma_f32 v[114:115], v[178:179], v[162:163], v[114:115] neg_lo:[0,0,1] neg_hi:[0,0,1]
	v_pk_fma_f32 v[126:127], v[180:181], v[164:165], v[116:117] op_sel_hi:[1,0,1]
	v_pk_mul_f32 v[118:119], v[244:245], v[118:119] op_sel_hi:[1,0]
	v_mov_b32_e32 v115, v123
	v_pk_add_f32 v[112:113], v[120:121], v[112:113]
	s_wait_loadcnt 0x2
	v_pk_mul_f32 v[124:125], v[184:185], v[168:169] op_sel:[1,1] op_sel_hi:[0,1]
	v_mov_b32_e32 v120, v171
	v_pk_fma_f32 v[116:117], v[180:181], v[164:165], v[116:117] neg_lo:[0,0,1] neg_hi:[0,0,1]
	v_mov_b32_e32 v117, v127
	v_pk_fma_f32 v[122:123], v[182:183], v[166:167], v[118:119] op_sel_hi:[1,0,1]
	v_pk_add_f32 v[112:113], v[112:113], v[114:115]
	v_pk_fma_f32 v[114:115], v[184:185], v[168:169], v[124:125] op_sel_hi:[1,0,1]
	v_pk_mul_f32 v[120:121], v[246:247], v[120:121] op_sel_hi:[1,0]
	v_pk_fma_f32 v[118:119], v[182:183], v[166:167], v[118:119] neg_lo:[0,0,1] neg_hi:[0,0,1]
	v_mov_b32_e32 v119, v123
	v_pk_add_f32 v[112:113], v[112:113], v[116:117]
	v_pk_fma_f32 v[122:123], v[184:185], v[168:169], v[124:125] neg_lo:[0,0,1] neg_hi:[0,0,1]
	v_mov_b32_e32 v123, v115
	v_pk_fma_f32 v[114:115], v[186:187], v[170:171], v[120:121] op_sel_hi:[1,0,1]
	s_wait_loadcnt 0x1
	v_pk_mul_f32 v[116:117], v[188:189], v[172:173] op_sel:[1,1] op_sel_hi:[0,1]
	v_pk_add_f32 v[112:113], v[112:113], v[118:119]
	v_mov_b32_e32 v114, v175
	v_pk_fma_f32 v[120:121], v[186:187], v[170:171], v[120:121] neg_lo:[0,0,1] neg_hi:[0,0,1]
	v_mov_b32_e32 v121, v115
	v_pk_fma_f32 v[118:119], v[188:189], v[172:173], v[116:117] op_sel_hi:[1,0,1]
	v_pk_add_f32 v[112:113], v[112:113], v[122:123]
	v_pk_mul_f32 v[114:115], v[248:249], v[114:115] op_sel_hi:[1,0]
	v_pk_fma_f32 v[116:117], v[188:189], v[172:173], v[116:117] neg_lo:[0,0,1] neg_hi:[0,0,1]
	s_delay_alu instid0(VALU_DEP_4) | instskip(NEXT) | instid1(VALU_DEP_4)
	v_mov_b32_e32 v117, v119
	v_pk_add_f32 v[112:113], v[112:113], v[120:121]
	s_delay_alu instid0(VALU_DEP_4) | instskip(SKIP_1) | instid1(VALU_DEP_2)
	v_pk_fma_f32 v[118:119], v[190:191], v[174:175], v[114:115] op_sel_hi:[1,0,1]
	v_pk_fma_f32 v[114:115], v[190:191], v[174:175], v[114:115] neg_lo:[0,0,1] neg_hi:[0,0,1]
	v_mov_b32_e32 v115, v119
	s_delay_alu instid0(VALU_DEP_4) | instskip(NEXT) | instid1(VALU_DEP_1)
	v_pk_add_f32 v[112:113], v[112:113], v[116:117]
	v_pk_add_f32 v[112:113], v[112:113], v[114:115]
	s_wait_loadcnt 0x0
	s_delay_alu instid0(VALU_DEP_1)
	v_pk_add_f32 v[112:113], v[240:241], v[112:113] neg_lo:[0,1] neg_hi:[0,1]
	scratch_store_b64 off, v[112:113], off offset:176
	s_wait_xcnt 0x0
	v_cmpx_lt_u32_e32 21, v0
	s_cbranch_execz .LBB118_301
; %bb.300:
	scratch_load_b64 v[112:113], off, off offset:168
	v_mov_b64_e32 v[114:115], 0
	scratch_store_b64 off, v[114:115], off offset:168
	s_wait_loadcnt 0x0
	ds_store_b64 v1, v[112:113]
.LBB118_301:
	s_wait_xcnt 0x0
	s_or_b32 exec_lo, exec_lo, s0
	s_wait_storecnt_dscnt 0x0
	s_barrier_signal -1
	s_barrier_wait -1
	s_clause 0x11
	scratch_load_b128 v[112:115], off, off offset:176
	scratch_load_b128 v[116:119], off, off offset:192
	;; [unrolled: 1-line block ×16, first 2 shown]
	scratch_load_b64 v[240:241], off, off offset:432
	scratch_load_b64 v[242:243], off, off offset:168
	v_mov_b32_e32 v7, 0
	ds_load_b128 v[176:179], v7 offset:816
	ds_load_b128 v[180:183], v7 offset:832
	;; [unrolled: 1-line block ×16, first 2 shown]
	ds_load_b64 v[244:245], v7 offset:880
	s_mov_b32 s0, exec_lo
	s_wait_dscnt 0x10
	v_dual_mov_b32 v246, v179 :: v_dual_mov_b32 v247, v178
	s_wait_dscnt 0xd
	v_dual_mov_b32 v248, v183 :: v_dual_mov_b32 v253, v190
	v_dual_mov_b32 v249, v182 :: v_dual_mov_b32 v250, v187
	;; [unrolled: 1-line block ×3, first 2 shown]
	s_wait_loadcnt_dscnt 0x110c
	v_dual_mul_f32 v9, v192, v113 :: v_dual_mul_f32 v11, v194, v115
	s_wait_loadcnt_dscnt 0x100b
	v_dual_mul_f32 v13, v196, v117 :: v_dual_mul_f32 v57, v195, v115
	;; [unrolled: 2-line block ×3, first 2 shown]
	v_dual_mul_f32 v15, v198, v119 :: v_dual_mul_f32 v17, v200, v121
	v_dual_mul_f32 v55, v193, v113 :: v_dual_fmac_f32 v9, v193, v112
	v_fma_f32 v57, v194, v114, -v57
	s_wait_loadcnt_dscnt 0x601
	v_mul_f32_e32 v255, v238, v159
	v_dual_mul_f32 v61, v199, v119 :: v_dual_mul_f32 v63, v201, v121
	v_fma_f32 v55, v192, v112, -v55
	v_dual_fmac_f32 v11, v195, v114 :: v_dual_add_f32 v9, 0, v9
	v_mul_f32_e32 v71, v209, v129
	v_dual_fmac_f32 v13, v197, v116 :: v_dual_fma_f32 v59, v196, v116, -v59
	s_delay_alu instid0(VALU_DEP_4) | instskip(NEXT) | instid1(VALU_DEP_4)
	v_add_f32_e32 v55, 0, v55
	v_add_f32_e32 v9, v9, v11
	v_dual_mul_f32 v19, v202, v123 :: v_dual_mul_f32 v21, v204, v125
	v_dual_mul_f32 v65, v203, v123 :: v_dual_mul_f32 v67, v205, v125
	s_delay_alu instid0(VALU_DEP_4) | instskip(SKIP_2) | instid1(VALU_DEP_3)
	v_add_f32_e32 v11, v55, v57
	v_dual_mul_f32 v55, v211, v131 :: v_dual_fma_f32 v57, v198, v118, -v61
	v_dual_fmac_f32 v15, v199, v118 :: v_dual_add_f32 v9, v9, v13
	v_dual_add_f32 v11, v11, v59 :: v_dual_mul_f32 v13, v213, v133
	v_dual_fmac_f32 v17, v201, v120 :: v_dual_fma_f32 v59, v200, v120, -v63
	s_delay_alu instid0(VALU_DEP_2) | instskip(SKIP_1) | instid1(VALU_DEP_2)
	v_dual_add_f32 v9, v9, v15 :: v_dual_add_f32 v11, v11, v57
	v_dual_mul_f32 v15, v215, v135 :: v_dual_fma_f32 v57, v202, v122, -v65
	v_dual_fmac_f32 v19, v203, v122 :: v_dual_add_f32 v9, v9, v17
	s_delay_alu instid0(VALU_DEP_3) | instskip(SKIP_2) | instid1(VALU_DEP_3)
	v_dual_add_f32 v11, v11, v59 :: v_dual_mul_f32 v17, v217, v137
	v_dual_mul_f32 v23, v206, v127 :: v_dual_mul_f32 v25, v208, v129
	v_dual_fmac_f32 v21, v205, v124 :: v_dual_fma_f32 v59, v204, v124, -v67
	v_dual_add_f32 v9, v9, v19 :: v_dual_add_f32 v11, v11, v57
	v_dual_mul_f32 v19, v219, v139 :: v_dual_fma_f32 v57, v206, v126, -v69
	s_delay_alu instid0(VALU_DEP_2) | instskip(NEXT) | instid1(VALU_DEP_3)
	v_dual_fmac_f32 v23, v207, v126 :: v_dual_add_f32 v9, v9, v21
	v_dual_add_f32 v11, v11, v59 :: v_dual_mul_f32 v21, v221, v141
	v_dual_mul_f32 v27, v210, v131 :: v_dual_mul_f32 v29, v212, v133
	v_dual_fmac_f32 v25, v209, v128 :: v_dual_fma_f32 v59, v208, v128, -v71
	s_delay_alu instid0(VALU_DEP_3) | instskip(SKIP_1) | instid1(VALU_DEP_2)
	v_dual_add_f32 v9, v9, v23 :: v_dual_add_f32 v11, v11, v57
	v_dual_mul_f32 v23, v223, v143 :: v_dual_fma_f32 v55, v210, v130, -v55
	v_dual_fmac_f32 v27, v211, v130 :: v_dual_add_f32 v9, v9, v25
	s_delay_alu instid0(VALU_DEP_3) | instskip(SKIP_1) | instid1(VALU_DEP_2)
	v_dual_add_f32 v11, v11, v59 :: v_dual_mul_f32 v25, v225, v145
	v_dual_mul_f32 v31, v214, v135 :: v_dual_mul_f32 v33, v216, v137
	v_dual_fmac_f32 v29, v213, v132 :: v_dual_add_f32 v11, v11, v55
	s_delay_alu instid0(VALU_DEP_4) | instskip(SKIP_1) | instid1(VALU_DEP_4)
	v_dual_fma_f32 v13, v212, v132, -v13 :: v_dual_add_f32 v9, v9, v27
	v_dual_mul_f32 v27, v227, v147 :: v_dual_fma_f32 v15, v214, v134, -v15
	v_fmac_f32_e32 v31, v215, v134
	s_delay_alu instid0(VALU_DEP_3) | instskip(NEXT) | instid1(VALU_DEP_4)
	v_dual_add_f32 v11, v11, v13 :: v_dual_fmac_f32 v33, v217, v136
	v_dual_add_f32 v9, v9, v29 :: v_dual_mul_f32 v35, v218, v139
	v_mul_f32_e32 v37, v220, v141
	v_dual_mul_f32 v13, v229, v149 :: v_dual_fma_f32 v17, v216, v136, -v17
	s_delay_alu instid0(VALU_DEP_3) | instskip(SKIP_1) | instid1(VALU_DEP_2)
	v_dual_add_f32 v9, v9, v31 :: v_dual_fmac_f32 v35, v219, v138
	v_dual_add_f32 v11, v11, v15 :: v_dual_fma_f32 v19, v218, v138, -v19
	v_dual_mul_f32 v15, v231, v151 :: v_dual_add_f32 v9, v9, v33
	v_dual_mul_f32 v39, v222, v143 :: v_dual_mul_f32 v41, v224, v145
	s_delay_alu instid0(VALU_DEP_3) | instskip(SKIP_1) | instid1(VALU_DEP_3)
	v_dual_add_f32 v11, v11, v17 :: v_dual_fmac_f32 v37, v221, v140
	v_dual_mul_f32 v17, v233, v153 :: v_dual_fma_f32 v21, v220, v140, -v21
	v_dual_add_f32 v9, v9, v35 :: v_dual_fmac_f32 v39, v223, v142
	s_delay_alu instid0(VALU_DEP_3) | instskip(NEXT) | instid1(VALU_DEP_2)
	v_dual_add_f32 v11, v11, v19 :: v_dual_fma_f32 v23, v222, v142, -v23
	v_dual_mul_f32 v19, v235, v155 :: v_dual_add_f32 v9, v9, v37
	v_dual_mul_f32 v43, v226, v147 :: v_dual_mul_f32 v45, v228, v149
	s_delay_alu instid0(VALU_DEP_3) | instskip(SKIP_1) | instid1(VALU_DEP_3)
	v_dual_add_f32 v11, v11, v21 :: v_dual_fmac_f32 v41, v225, v144
	v_dual_mul_f32 v21, v237, v157 :: v_dual_fma_f32 v25, v224, v144, -v25
	v_dual_add_f32 v9, v9, v39 :: v_dual_fmac_f32 v43, v227, v146
	s_delay_alu instid0(VALU_DEP_3) | instskip(NEXT) | instid1(VALU_DEP_2)
	v_dual_add_f32 v11, v11, v23 :: v_dual_fma_f32 v27, v226, v146, -v27
	v_dual_mul_f32 v23, v239, v159 :: v_dual_add_f32 v9, v9, v41
	v_dual_mul_f32 v47, v230, v151 :: v_dual_mul_f32 v49, v232, v153
	s_delay_alu instid0(VALU_DEP_3) | instskip(SKIP_3) | instid1(VALU_DEP_3)
	v_dual_add_f32 v11, v11, v25 :: v_dual_fmac_f32 v45, v229, v148
	s_wait_loadcnt 0x5
	v_dual_mul_f32 v25, v177, v161 :: v_dual_fma_f32 v13, v228, v148, -v13
	v_dual_add_f32 v9, v9, v43 :: v_dual_mov_b32 v112, v163
	v_dual_add_f32 v11, v11, v27 :: v_dual_fma_f32 v15, v230, v150, -v15
	s_delay_alu instid0(VALU_DEP_2) | instskip(SKIP_1) | instid1(VALU_DEP_3)
	v_dual_fmac_f32 v47, v231, v150 :: v_dual_add_f32 v9, v9, v45
	v_dual_mul_f32 v51, v234, v155 :: v_dual_mul_f32 v53, v236, v157
	v_dual_add_f32 v11, v11, v13 :: v_dual_fmac_f32 v49, v233, v152
	s_delay_alu instid0(VALU_DEP_3) | instskip(SKIP_2) | instid1(VALU_DEP_3)
	v_dual_fma_f32 v13, v232, v152, -v17 :: v_dual_add_f32 v9, v9, v47
	s_wait_loadcnt 0x4
	v_mov_b32_e32 v116, v167
	v_dual_add_f32 v11, v11, v15 :: v_dual_fma_f32 v15, v234, v154, -v19
	v_dual_fmac_f32 v51, v235, v154 :: v_dual_fmac_f32 v53, v237, v156
	v_add_f32_e32 v9, v9, v49
	s_delay_alu instid0(VALU_DEP_3)
	v_dual_add_f32 v11, v11, v13 :: v_dual_fma_f32 v13, v236, v156, -v21
	v_pk_mul_f32 v[112:113], v[246:247], v[112:113] op_sel_hi:[1,0]
	s_set_vgpr_msb 64                       ;  msbs: dst=1 src0=0 src1=0 src2=0
	v_dual_mul_f32 v1 /*v257*/, v176, v161 :: v_dual_fma_f32 v0 /*v256*/, v176, v160, -v25
	s_set_vgpr_msb 0                        ;  msbs: dst=0 src0=0 src1=0 src2=0
	v_dual_add_f32 v9, v9, v51 :: v_dual_fmac_f32 v255, v239, v158
	v_dual_add_f32 v11, v11, v15 :: v_dual_fma_f32 v254, v238, v158, -v23
	v_pk_fma_f32 v[124:125], v[178:179], v[162:163], v[112:113] op_sel_hi:[1,0,1]
	s_wait_loadcnt 0x3
	s_delay_alu instid0(VALU_DEP_3) | instskip(NEXT) | instid1(VALU_DEP_3)
	v_dual_add_f32 v121, v9, v53 :: v_dual_mov_b32 v122, v171
	v_add_f32_e32 v120, v11, v13
	v_pk_fma_f32 v[112:113], v[178:179], v[162:163], v[112:113] neg_lo:[0,0,1] neg_hi:[0,0,1]
	v_pk_mul_f32 v[114:115], v[180:181], v[164:165] op_sel:[1,1] op_sel_hi:[0,1]
	s_set_vgpr_msb 64                       ;  msbs: dst=1 src0=0 src1=0 src2=0
	v_fmac_f32_e32 v1 /*v257*/, v177, v160
	s_set_vgpr_msb 0                        ;  msbs: dst=0 src0=0 src1=0 src2=0
	v_mov_b32_e32 v113, v125
	v_pk_add_f32 v[120:121], v[120:121], v[254:255]
	v_pk_mul_f32 v[116:117], v[248:249], v[116:117] op_sel_hi:[1,0]
	v_pk_fma_f32 v[126:127], v[180:181], v[164:165], v[114:115] op_sel_hi:[1,0,1]
	v_pk_fma_f32 v[114:115], v[180:181], v[164:165], v[114:115] neg_lo:[0,0,1] neg_hi:[0,0,1]
	v_pk_mul_f32 v[118:119], v[184:185], v[168:169] op_sel:[1,1] op_sel_hi:[0,1]
	s_set_vgpr_msb 4                        ;  msbs: dst=0 src0=0 src1=1 src2=0
	v_pk_add_f32 v[120:121], v[120:121], v[0:1] /*v[256:257]*/
	s_set_vgpr_msb 0                        ;  msbs: dst=0 src0=0 src1=0 src2=0
	v_pk_mul_f32 v[122:123], v[250:251], v[122:123] op_sel_hi:[1,0]
	v_mov_b32_e32 v115, v127
	v_pk_fma_f32 v[126:127], v[182:183], v[166:167], v[116:117] op_sel_hi:[1,0,1]
	v_pk_fma_f32 v[116:117], v[182:183], v[166:167], v[116:117] neg_lo:[0,0,1] neg_hi:[0,0,1]
	v_pk_add_f32 v[112:113], v[120:121], v[112:113]
	v_pk_fma_f32 v[120:121], v[184:185], v[168:169], v[118:119] op_sel_hi:[1,0,1]
	v_pk_fma_f32 v[118:119], v[184:185], v[168:169], v[118:119] neg_lo:[0,0,1] neg_hi:[0,0,1]
	v_mov_b32_e32 v117, v127
	s_wait_loadcnt 0x2
	v_pk_mul_f32 v[124:125], v[188:189], v[172:173] op_sel:[1,1] op_sel_hi:[0,1]
	v_pk_add_f32 v[112:113], v[112:113], v[114:115]
	v_dual_mov_b32 v114, v175 :: v_dual_mov_b32 v119, v121
	v_pk_fma_f32 v[120:121], v[186:187], v[170:171], v[122:123] op_sel_hi:[1,0,1]
	v_pk_fma_f32 v[122:123], v[186:187], v[170:171], v[122:123] neg_lo:[0,0,1] neg_hi:[0,0,1]
	s_delay_alu instid0(VALU_DEP_4)
	v_pk_add_f32 v[112:113], v[112:113], v[116:117]
	v_pk_fma_f32 v[116:117], v[188:189], v[172:173], v[124:125] op_sel_hi:[1,0,1]
	v_pk_mul_f32 v[114:115], v[252:253], v[114:115] op_sel_hi:[1,0]
	v_mov_b32_e32 v123, v121
	s_wait_loadcnt_dscnt 0x100
	v_pk_mul_f32 v[120:121], v[244:245], v[240:241] op_sel:[1,1] op_sel_hi:[0,1]
	v_pk_add_f32 v[112:113], v[112:113], v[118:119]
	v_pk_fma_f32 v[118:119], v[188:189], v[172:173], v[124:125] neg_lo:[0,0,1] neg_hi:[0,0,1]
	v_mov_b32_e32 v119, v117
	v_pk_fma_f32 v[116:117], v[190:191], v[174:175], v[114:115] op_sel_hi:[1,0,1]
	v_pk_fma_f32 v[114:115], v[190:191], v[174:175], v[114:115] neg_lo:[0,0,1] neg_hi:[0,0,1]
	v_pk_add_f32 v[112:113], v[112:113], v[122:123]
	s_delay_alu instid0(VALU_DEP_3) | instskip(SKIP_1) | instid1(VALU_DEP_3)
	v_mov_b32_e32 v115, v117
	v_pk_fma_f32 v[116:117], v[244:245], v[240:241], v[120:121] op_sel_hi:[1,0,1]
	v_pk_add_f32 v[112:113], v[112:113], v[118:119]
	v_pk_fma_f32 v[118:119], v[244:245], v[240:241], v[120:121] neg_lo:[0,0,1] neg_hi:[0,0,1]
	s_delay_alu instid0(VALU_DEP_3) | instskip(NEXT) | instid1(VALU_DEP_3)
	v_mov_b32_e32 v119, v117
	v_pk_add_f32 v[112:113], v[112:113], v[114:115]
	s_delay_alu instid0(VALU_DEP_1) | instskip(SKIP_1) | instid1(VALU_DEP_1)
	v_pk_add_f32 v[112:113], v[112:113], v[118:119]
	s_wait_loadcnt 0x0
	v_pk_add_f32 v[112:113], v[242:243], v[112:113] neg_lo:[0,1] neg_hi:[0,1]
	scratch_store_b64 off, v[112:113], off offset:168
	s_wait_xcnt 0x0
	v_cmpx_lt_u32_e32 20, v0
	s_cbranch_execz .LBB118_303
; %bb.302:
	scratch_load_b64 v[112:113], off, off offset:160
	v_mov_b64_e32 v[114:115], 0
	scratch_store_b64 off, v[114:115], off offset:160
	s_wait_loadcnt 0x0
	ds_store_b64 v1, v[112:113]
.LBB118_303:
	s_wait_xcnt 0x0
	s_or_b32 exec_lo, exec_lo, s0
	s_wait_storecnt_dscnt 0x0
	s_barrier_signal -1
	s_barrier_wait -1
	s_clause 0x11
	scratch_load_b128 v[112:115], off, off offset:168
	scratch_load_b128 v[116:119], off, off offset:184
	;; [unrolled: 1-line block ×17, first 2 shown]
	scratch_load_b64 v[248:249], off, off offset:160
	ds_load_2addr_b64 v[180:183], v7 offset0:103 offset1:104
	ds_load_2addr_b64 v[184:187], v7 offset0:105 offset1:106
	;; [unrolled: 1-line block ×17, first 2 shown]
	s_mov_b32 s0, exec_lo
	s_wait_dscnt 0x10
	v_dual_mov_b32 v250, v183 :: v_dual_mov_b32 v251, v182
	s_wait_dscnt 0xf
	v_dual_mov_b32 v252, v187 :: v_dual_mov_b32 v253, v186
	;; [unrolled: 2-line block ×3, first 2 shown]
	s_wait_dscnt 0xd
	s_set_vgpr_msb 64                       ;  msbs: dst=1 src0=0 src1=0 src2=0
	v_dual_mov_b32 v0 /*v256*/, v195 :: v_dual_mov_b32 v1 /*v257*/, v194
	s_wait_loadcnt_dscnt 0x110b
	s_set_vgpr_msb 0                        ;  msbs: dst=0 src0=0 src1=0 src2=0
	v_dual_mul_f32 v7, v200, v113 :: v_dual_mul_f32 v9, v202, v115
	v_dual_mul_f32 v55, v201, v113 :: v_dual_mul_f32 v57, v203, v115
	s_wait_loadcnt_dscnt 0x100a
	v_dual_mul_f32 v11, v204, v117 :: v_dual_mul_f32 v13, v206, v119
	s_delay_alu instid0(VALU_DEP_3) | instskip(SKIP_3) | instid1(VALU_DEP_3)
	v_dual_fmac_f32 v7, v201, v112 :: v_dual_fmac_f32 v9, v203, v114
	s_wait_loadcnt_dscnt 0xe08
	v_dual_fma_f32 v55, v200, v112, -v55 :: v_dual_mul_f32 v67, v213, v125
	v_dual_mul_f32 v59, v205, v117 :: v_dual_mul_f32 v61, v207, v119
	v_dual_fma_f32 v57, v202, v114, -v57 :: v_dual_add_f32 v7, 0, v7
	s_delay_alu instid0(VALU_DEP_3) | instskip(SKIP_1) | instid1(VALU_DEP_4)
	v_dual_add_f32 v55, 0, v55 :: v_dual_fmac_f32 v11, v205, v116
	v_dual_mul_f32 v15, v208, v121 :: v_dual_mul_f32 v17, v210, v123
	v_dual_mul_f32 v69, v215, v127 :: v_dual_fma_f32 v59, v204, v116, -v59
	s_delay_alu instid0(VALU_DEP_4) | instskip(NEXT) | instid1(VALU_DEP_3)
	v_add_f32_e32 v7, v7, v9
	v_dual_add_f32 v9, v55, v57 :: v_dual_fmac_f32 v15, v209, v120
	v_dual_mul_f32 v63, v209, v121 :: v_dual_mul_f32 v65, v211, v123
	s_wait_loadcnt_dscnt 0xd07
	v_dual_mul_f32 v55, v217, v129 :: v_dual_fmac_f32 v13, v207, v118
	v_dual_fma_f32 v57, v206, v118, -v61 :: v_dual_add_f32 v7, v7, v11
	s_delay_alu instid0(VALU_DEP_3) | instskip(SKIP_1) | instid1(VALU_DEP_3)
	v_dual_add_f32 v9, v9, v59 :: v_dual_fma_f32 v59, v208, v120, -v63
	v_dual_mul_f32 v19, v212, v125 :: v_dual_mul_f32 v21, v214, v127
	v_add_f32_e32 v7, v7, v13
	s_delay_alu instid0(VALU_DEP_3) | instskip(SKIP_2) | instid1(VALU_DEP_3)
	v_dual_mul_f32 v11, v219, v131 :: v_dual_add_f32 v9, v9, v57
	s_wait_loadcnt_dscnt 0xc06
	v_dual_mul_f32 v13, v221, v133 :: v_dual_fmac_f32 v17, v211, v122
	v_dual_fma_f32 v57, v210, v122, -v65 :: v_dual_add_f32 v7, v7, v15
	s_delay_alu instid0(VALU_DEP_3) | instskip(SKIP_1) | instid1(VALU_DEP_3)
	v_dual_add_f32 v9, v9, v59 :: v_dual_fma_f32 v59, v212, v124, -v67
	v_dual_mul_f32 v15, v223, v135 :: v_dual_fmac_f32 v19, v213, v124
	v_add_f32_e32 v7, v7, v17
	s_delay_alu instid0(VALU_DEP_3)
	v_dual_add_f32 v9, v9, v57 :: v_dual_fmac_f32 v21, v215, v126
	v_dual_mul_f32 v23, v216, v129 :: v_dual_mul_f32 v25, v218, v131
	s_wait_loadcnt_dscnt 0xb05
	v_dual_fma_f32 v57, v214, v126, -v69 :: v_dual_mul_f32 v17, v225, v137
	v_add_f32_e32 v7, v7, v19
	v_dual_add_f32 v9, v9, v59 :: v_dual_fma_f32 v55, v216, v128, -v55
	v_dual_mul_f32 v19, v227, v139 :: v_dual_fmac_f32 v23, v217, v128
	s_delay_alu instid0(VALU_DEP_3) | instskip(NEXT) | instid1(VALU_DEP_3)
	v_dual_add_f32 v7, v7, v21 :: v_dual_fma_f32 v11, v218, v130, -v11
	v_dual_add_f32 v9, v9, v57 :: v_dual_fmac_f32 v25, v219, v130
	v_dual_mul_f32 v27, v220, v133 :: v_dual_mul_f32 v29, v222, v135
	s_wait_loadcnt_dscnt 0xa04
	s_delay_alu instid0(VALU_DEP_3) | instskip(NEXT) | instid1(VALU_DEP_3)
	v_dual_mul_f32 v21, v229, v141 :: v_dual_add_f32 v7, v7, v23
	v_dual_add_f32 v9, v9, v55 :: v_dual_fma_f32 v13, v220, v132, -v13
	s_delay_alu instid0(VALU_DEP_3) | instskip(NEXT) | instid1(VALU_DEP_2)
	v_dual_mul_f32 v23, v231, v143 :: v_dual_fmac_f32 v27, v221, v132
	v_dual_add_f32 v7, v7, v25 :: v_dual_add_f32 v9, v9, v11
	v_dual_mul_f32 v31, v224, v137 :: v_dual_mul_f32 v33, v226, v139
	s_wait_loadcnt_dscnt 0x903
	v_dual_mul_f32 v11, v233, v145 :: v_dual_fmac_f32 v29, v223, v134
	s_delay_alu instid0(VALU_DEP_3) | instskip(SKIP_2) | instid1(VALU_DEP_2)
	v_dual_fma_f32 v15, v222, v134, -v15 :: v_dual_add_f32 v7, v7, v27
	v_dual_add_f32 v9, v9, v13 :: v_dual_mul_f32 v13, v235, v147
	v_dual_fmac_f32 v31, v225, v136 :: v_dual_fma_f32 v17, v224, v136, -v17
	v_dual_add_f32 v7, v7, v29 :: v_dual_add_f32 v9, v9, v15
	v_dual_mul_f32 v35, v228, v141 :: v_dual_mul_f32 v37, v230, v143
	s_wait_loadcnt_dscnt 0x802
	v_dual_mul_f32 v15, v237, v149 :: v_dual_fmac_f32 v33, v227, v138
	s_delay_alu instid0(VALU_DEP_3) | instskip(SKIP_2) | instid1(VALU_DEP_2)
	v_dual_fma_f32 v19, v226, v138, -v19 :: v_dual_add_f32 v7, v7, v31
	v_dual_add_f32 v9, v9, v17 :: v_dual_mul_f32 v17, v239, v151
	v_dual_fmac_f32 v35, v229, v140 :: v_dual_fma_f32 v21, v228, v140, -v21
	v_dual_add_f32 v7, v7, v33 :: v_dual_add_f32 v9, v9, v19
	v_dual_mul_f32 v39, v232, v145 :: v_dual_mul_f32 v41, v234, v147
	s_wait_loadcnt_dscnt 0x701
	v_dual_mul_f32 v19, v241, v153 :: v_dual_fmac_f32 v37, v231, v142
	s_delay_alu instid0(VALU_DEP_3) | instskip(SKIP_2) | instid1(VALU_DEP_3)
	v_dual_fma_f32 v23, v230, v142, -v23 :: v_dual_add_f32 v7, v7, v35
	v_dual_add_f32 v9, v9, v21 :: v_dual_mul_f32 v21, v243, v155
	v_fmac_f32_e32 v39, v233, v144
	v_dual_fma_f32 v11, v232, v144, -v11 :: v_dual_add_f32 v7, v7, v37
	s_delay_alu instid0(VALU_DEP_3)
	v_dual_add_f32 v9, v9, v23 :: v_dual_mul_f32 v43, v236, v149
	s_wait_loadcnt_dscnt 0x600
	v_dual_mul_f32 v45, v238, v151 :: v_dual_mul_f32 v23, v245, v157
	v_fmac_f32_e32 v41, v235, v146
	v_dual_fma_f32 v13, v234, v146, -v13 :: v_dual_add_f32 v7, v7, v39
	v_dual_add_f32 v9, v9, v11 :: v_dual_fma_f32 v15, v236, v148, -v15
	v_dual_mul_f32 v11, v247, v159 :: v_dual_fmac_f32 v43, v237, v148
	s_delay_alu instid0(VALU_DEP_3) | instskip(NEXT) | instid1(VALU_DEP_3)
	v_dual_add_f32 v7, v7, v41 :: v_dual_fma_f32 v17, v238, v150, -v17
	v_dual_add_f32 v9, v9, v13 :: v_dual_fmac_f32 v45, v239, v150
	v_dual_mul_f32 v47, v240, v153 :: v_dual_mul_f32 v49, v242, v155
	s_wait_loadcnt 0x5
	s_delay_alu instid0(VALU_DEP_3) | instskip(NEXT) | instid1(VALU_DEP_3)
	v_dual_mul_f32 v13, v197, v161 :: v_dual_add_f32 v7, v7, v43
	v_dual_add_f32 v9, v9, v15 :: v_dual_fma_f32 v19, v240, v152, -v19
	s_delay_alu instid0(VALU_DEP_3) | instskip(NEXT) | instid1(VALU_DEP_3)
	v_dual_mul_f32 v15, v199, v163 :: v_dual_fmac_f32 v47, v241, v152
	v_add_f32_e32 v7, v7, v45
	s_delay_alu instid0(VALU_DEP_3) | instskip(SKIP_1) | instid1(VALU_DEP_3)
	v_dual_add_f32 v9, v9, v17 :: v_dual_fmac_f32 v49, v243, v154
	v_dual_mul_f32 v51, v244, v157 :: v_dual_mul_f32 v53, v246, v159
	v_dual_fma_f32 v17, v242, v154, -v21 :: v_dual_add_f32 v7, v7, v47
	s_wait_loadcnt 0x4
	s_delay_alu instid0(VALU_DEP_3) | instskip(NEXT) | instid1(VALU_DEP_3)
	v_dual_add_f32 v9, v9, v19 :: v_dual_mov_b32 v114, v167
	v_fmac_f32_e32 v51, v245, v156
	s_delay_alu instid0(VALU_DEP_3) | instskip(NEXT) | instid1(VALU_DEP_3)
	v_dual_fma_f32 v19, v244, v156, -v23 :: v_dual_add_f32 v7, v7, v49
	v_dual_add_f32 v9, v9, v17 :: v_dual_fmac_f32 v53, v247, v158
	s_set_vgpr_msb 64                       ;  msbs: dst=1 src0=0 src1=0 src2=0
	v_dual_mul_f32 v3 /*v259*/, v196, v161 :: v_dual_mul_f32 v5 /*v261*/, v198, v163
	s_set_vgpr_msb 0                        ;  msbs: dst=0 src0=0 src1=0 src2=0
	v_dual_fma_f32 v11, v246, v158, -v11 :: v_dual_add_f32 v7, v7, v51
	s_wait_loadcnt 0x3
	v_dual_add_f32 v9, v9, v19 :: v_dual_mov_b32 v118, v171
	v_pk_mul_f32 v[112:113], v[180:181], v[164:165] op_sel:[1,1] op_sel_hi:[0,1]
	s_set_vgpr_msb 64                       ;  msbs: dst=1 src0=0 src1=0 src2=0
	v_dual_fmac_f32 v3 /*v259*/, v197, v160 :: v_dual_fmac_f32 v5 /*v261*/, v199, v162
	v_dual_fma_f32 v2 /*v258*/, v196, v160, -v13 :: v_dual_fma_f32 v4 /*v260*/, v198, v162, -v15
	s_set_vgpr_msb 0                        ;  msbs: dst=0 src0=0 src1=0 src2=0
	v_dual_add_f32 v121, v7, v53 :: v_dual_add_f32 v120, v9, v11
	v_pk_fma_f32 v[122:123], v[180:181], v[164:165], v[112:113] op_sel_hi:[1,0,1]
	v_pk_mul_f32 v[114:115], v[250:251], v[114:115] op_sel_hi:[1,0]
	v_pk_fma_f32 v[112:113], v[180:181], v[164:165], v[112:113] neg_lo:[0,0,1] neg_hi:[0,0,1]
	v_pk_mul_f32 v[116:117], v[184:185], v[168:169] op_sel:[1,1] op_sel_hi:[0,1]
	s_set_vgpr_msb 4                        ;  msbs: dst=0 src0=0 src1=1 src2=0
	v_pk_add_f32 v[120:121], v[120:121], v[2:3] /*v[258:259]*/
	v_mov_b32_e32 v113, v123
	s_set_vgpr_msb 0                        ;  msbs: dst=0 src0=0 src1=0 src2=0
	v_pk_fma_f32 v[122:123], v[182:183], v[166:167], v[114:115] op_sel_hi:[1,0,1]
	v_pk_fma_f32 v[114:115], v[182:183], v[166:167], v[114:115] neg_lo:[0,0,1] neg_hi:[0,0,1]
	v_pk_fma_f32 v[126:127], v[184:185], v[168:169], v[116:117] op_sel_hi:[1,0,1]
	s_set_vgpr_msb 4                        ;  msbs: dst=0 src0=0 src1=1 src2=0
	v_pk_add_f32 v[120:121], v[120:121], v[4:5] /*v[260:261]*/
	s_set_vgpr_msb 0                        ;  msbs: dst=0 src0=0 src1=0 src2=0
	v_pk_mul_f32 v[118:119], v[252:253], v[118:119] op_sel_hi:[1,0]
	v_mov_b32_e32 v115, v123
	s_wait_loadcnt 0x2
	v_pk_mul_f32 v[124:125], v[188:189], v[172:173] op_sel:[1,1] op_sel_hi:[0,1]
	v_pk_fma_f32 v[116:117], v[184:185], v[168:169], v[116:117] neg_lo:[0,0,1] neg_hi:[0,0,1]
	v_pk_add_f32 v[112:113], v[120:121], v[112:113]
	v_dual_mov_b32 v120, v175 :: v_dual_mov_b32 v117, v127
	v_pk_fma_f32 v[122:123], v[186:187], v[170:171], v[118:119] op_sel_hi:[1,0,1]
	v_pk_fma_f32 v[118:119], v[186:187], v[170:171], v[118:119] neg_lo:[0,0,1] neg_hi:[0,0,1]
	s_delay_alu instid0(VALU_DEP_4)
	v_pk_add_f32 v[112:113], v[112:113], v[114:115]
	v_pk_fma_f32 v[114:115], v[188:189], v[172:173], v[124:125] op_sel_hi:[1,0,1]
	v_pk_mul_f32 v[120:121], v[254:255], v[120:121] op_sel_hi:[1,0]
	v_mov_b32_e32 v119, v123
	v_pk_fma_f32 v[122:123], v[188:189], v[172:173], v[124:125] neg_lo:[0,0,1] neg_hi:[0,0,1]
	v_pk_add_f32 v[112:113], v[112:113], v[116:117]
	v_mov_b32_e32 v123, v115
	v_pk_fma_f32 v[114:115], v[190:191], v[174:175], v[120:121] op_sel_hi:[1,0,1]
	s_wait_loadcnt 0x1
	v_pk_mul_f32 v[116:117], v[192:193], v[176:177] op_sel:[1,1] op_sel_hi:[0,1]
	v_mov_b32_e32 v114, v179
	v_pk_add_f32 v[112:113], v[112:113], v[118:119]
	v_pk_fma_f32 v[120:121], v[190:191], v[174:175], v[120:121] neg_lo:[0,0,1] neg_hi:[0,0,1]
	v_mov_b32_e32 v121, v115
	v_pk_fma_f32 v[118:119], v[192:193], v[176:177], v[116:117] op_sel_hi:[1,0,1]
	s_set_vgpr_msb 1                        ;  msbs: dst=0 src0=1 src1=0 src2=0
	v_pk_mul_f32 v[114:115], v[0:1] /*v[256:257]*/, v[114:115] op_sel_hi:[1,0]
	s_set_vgpr_msb 0                        ;  msbs: dst=0 src0=0 src1=0 src2=0
	v_pk_add_f32 v[112:113], v[112:113], v[122:123]
	v_pk_fma_f32 v[116:117], v[192:193], v[176:177], v[116:117] neg_lo:[0,0,1] neg_hi:[0,0,1]
	v_mov_b32_e32 v117, v119
	v_pk_fma_f32 v[118:119], v[194:195], v[178:179], v[114:115] op_sel_hi:[1,0,1]
	s_delay_alu instid0(VALU_DEP_4) | instskip(SKIP_1) | instid1(VALU_DEP_3)
	v_pk_add_f32 v[112:113], v[112:113], v[120:121]
	v_pk_fma_f32 v[114:115], v[194:195], v[178:179], v[114:115] neg_lo:[0,0,1] neg_hi:[0,0,1]
	v_mov_b32_e32 v115, v119
	s_delay_alu instid0(VALU_DEP_3) | instskip(NEXT) | instid1(VALU_DEP_1)
	v_pk_add_f32 v[112:113], v[112:113], v[116:117]
	v_pk_add_f32 v[112:113], v[112:113], v[114:115]
	s_wait_loadcnt 0x0
	s_delay_alu instid0(VALU_DEP_1)
	v_pk_add_f32 v[112:113], v[248:249], v[112:113] neg_lo:[0,1] neg_hi:[0,1]
	scratch_store_b64 off, v[112:113], off offset:160
	s_wait_xcnt 0x0
	v_cmpx_lt_u32_e32 19, v0
	s_cbranch_execz .LBB118_305
; %bb.304:
	scratch_load_b64 v[112:113], off, off offset:152
	v_mov_b64_e32 v[114:115], 0
	scratch_store_b64 off, v[114:115], off offset:152
	s_wait_loadcnt 0x0
	ds_store_b64 v1, v[112:113]
.LBB118_305:
	s_wait_xcnt 0x0
	s_or_b32 exec_lo, exec_lo, s0
	s_wait_storecnt_dscnt 0x0
	s_barrier_signal -1
	s_barrier_wait -1
	s_clause 0x12
	scratch_load_b128 v[112:115], off, off offset:160
	scratch_load_b128 v[116:119], off, off offset:176
	;; [unrolled: 1-line block ×17, first 2 shown]
	scratch_load_b64 v[248:249], off, off offset:432
	scratch_load_b64 v[250:251], off, off offset:152
	v_mov_b32_e32 v7, 0
	ds_load_b128 v[180:183], v7 offset:816
	ds_load_b128 v[184:187], v7 offset:832
	;; [unrolled: 1-line block ×17, first 2 shown]
	ds_load_b64 v[252:253], v7 offset:880
	s_mov_b32 s0, exec_lo
	s_wait_dscnt 0x11
	v_dual_mov_b32 v255, v182 :: v_dual_mov_b32 v254, v183
	s_wait_dscnt 0x10
	s_set_vgpr_msb 64                       ;  msbs: dst=1 src0=0 src1=0 src2=0
	v_dual_mov_b32 v0 /*v256*/, v187 :: v_dual_mov_b32 v1 /*v257*/, v186
	s_wait_dscnt 0xf
	v_dual_mov_b32 v2 /*v258*/, v191 :: v_dual_mov_b32 v3 /*v259*/, v190
	s_wait_dscnt 0xd
	v_dual_mov_b32 v4 /*v260*/, v199 :: v_dual_mov_b32 v5 /*v261*/, v198
	s_wait_loadcnt_dscnt 0x120c
	s_set_vgpr_msb 0                        ;  msbs: dst=0 src0=0 src1=0 src2=0
	v_dual_mul_f32 v9, v200, v113 :: v_dual_mul_f32 v59, v201, v113
	v_dual_mul_f32 v61, v203, v115 :: v_dual_mul_f32 v11, v202, v115
	s_wait_loadcnt_dscnt 0x110b
	v_mul_f32_e32 v13, v204, v117
	s_wait_loadcnt_dscnt 0xf09
	v_dual_mul_f32 v71, v213, v125 :: v_dual_fma_f32 v59, v200, v112, -v59
	v_dual_fmac_f32 v9, v201, v112 :: v_dual_mul_f32 v73, v215, v127
	v_dual_mul_f32 v63, v205, v117 :: v_dual_mul_f32 v65, v207, v119
	v_dual_fmac_f32 v11, v203, v114 :: v_dual_fma_f32 v61, v202, v114, -v61
	s_delay_alu instid0(VALU_DEP_3) | instskip(SKIP_4) | instid1(VALU_DEP_3)
	v_dual_add_f32 v9, 0, v9 :: v_dual_add_f32 v59, 0, v59
	v_dual_mul_f32 v15, v206, v119 :: v_dual_mul_f32 v17, v208, v121
	s_wait_loadcnt_dscnt 0xe08
	v_dual_mul_f32 v75, v217, v129 :: v_dual_fma_f32 v63, v204, v116, -v63
	v_fmac_f32_e32 v13, v205, v116
	v_dual_add_f32 v9, v9, v11 :: v_dual_fmac_f32 v15, v207, v118
	v_add_f32_e32 v11, v59, v61
	v_dual_mul_f32 v67, v209, v121 :: v_dual_mul_f32 v69, v211, v123
	v_dual_mul_f32 v59, v219, v131 :: v_dual_fma_f32 v61, v206, v118, -v65
	s_delay_alu instid0(VALU_DEP_3) | instskip(SKIP_3) | instid1(VALU_DEP_3)
	v_dual_add_f32 v9, v9, v13 :: v_dual_add_f32 v11, v11, v63
	v_dual_mul_f32 v19, v210, v123 :: v_dual_mul_f32 v21, v212, v125
	s_wait_loadcnt_dscnt 0xd07
	v_dual_mul_f32 v13, v221, v133 :: v_dual_fma_f32 v63, v208, v120, -v67
	v_dual_fmac_f32 v17, v209, v120 :: v_dual_add_f32 v11, v11, v61
	s_delay_alu instid0(VALU_DEP_3) | instskip(SKIP_1) | instid1(VALU_DEP_2)
	v_dual_add_f32 v9, v9, v15 :: v_dual_fmac_f32 v19, v211, v122
	v_dual_mul_f32 v15, v223, v135 :: v_dual_fma_f32 v61, v210, v122, -v69
	v_dual_add_f32 v11, v11, v63 :: v_dual_add_f32 v9, v9, v17
	v_dual_mul_f32 v23, v214, v127 :: v_dual_mul_f32 v25, v216, v129
	s_wait_loadcnt_dscnt 0xc06
	v_dual_mul_f32 v17, v225, v137 :: v_dual_fma_f32 v63, v212, v124, -v71
	s_delay_alu instid0(VALU_DEP_3) | instskip(NEXT) | instid1(VALU_DEP_3)
	v_dual_fmac_f32 v21, v213, v124 :: v_dual_add_f32 v11, v11, v61
	v_dual_add_f32 v9, v9, v19 :: v_dual_fmac_f32 v23, v215, v126
	v_dual_mul_f32 v19, v227, v139 :: v_dual_fma_f32 v61, v214, v126, -v73
	s_delay_alu instid0(VALU_DEP_2) | instskip(SKIP_3) | instid1(VALU_DEP_3)
	v_dual_add_f32 v11, v11, v63 :: v_dual_add_f32 v9, v9, v21
	v_dual_mul_f32 v27, v218, v131 :: v_dual_mul_f32 v29, v220, v133
	s_wait_loadcnt_dscnt 0xb05
	v_dual_mul_f32 v21, v229, v141 :: v_dual_fma_f32 v63, v216, v128, -v75
	v_dual_fmac_f32 v25, v217, v128 :: v_dual_add_f32 v11, v11, v61
	s_delay_alu instid0(VALU_DEP_3) | instskip(SKIP_1) | instid1(VALU_DEP_2)
	v_dual_add_f32 v9, v9, v23 :: v_dual_fmac_f32 v27, v219, v130
	v_dual_mul_f32 v23, v231, v143 :: v_dual_fma_f32 v59, v218, v130, -v59
	v_dual_add_f32 v11, v11, v63 :: v_dual_add_f32 v9, v9, v25
	v_dual_mul_f32 v31, v222, v135 :: v_dual_mul_f32 v33, v224, v137
	s_wait_loadcnt_dscnt 0xa04
	v_dual_mul_f32 v25, v233, v145 :: v_dual_fma_f32 v13, v220, v132, -v13
	s_delay_alu instid0(VALU_DEP_3) | instskip(NEXT) | instid1(VALU_DEP_3)
	v_dual_fmac_f32 v29, v221, v132 :: v_dual_add_f32 v11, v11, v59
	v_dual_add_f32 v9, v9, v27 :: v_dual_fmac_f32 v31, v223, v134
	v_dual_mul_f32 v27, v235, v147 :: v_dual_fma_f32 v15, v222, v134, -v15
	s_delay_alu instid0(VALU_DEP_3) | instskip(NEXT) | instid1(VALU_DEP_3)
	v_dual_add_f32 v11, v11, v13 :: v_dual_fmac_f32 v33, v225, v136
	v_dual_add_f32 v9, v9, v29 :: v_dual_fma_f32 v17, v224, v136, -v17
	v_dual_mul_f32 v35, v226, v139 :: v_dual_mul_f32 v37, v228, v141
	s_wait_loadcnt_dscnt 0x903
	s_delay_alu instid0(VALU_DEP_3) | instskip(NEXT) | instid1(VALU_DEP_2)
	v_dual_mul_f32 v13, v237, v149 :: v_dual_add_f32 v11, v11, v15
	v_dual_add_f32 v9, v9, v31 :: v_dual_fmac_f32 v35, v227, v138
	v_dual_mul_f32 v15, v239, v151 :: v_dual_fma_f32 v19, v226, v138, -v19
	s_delay_alu instid0(VALU_DEP_3) | instskip(NEXT) | instid1(VALU_DEP_3)
	v_dual_add_f32 v11, v11, v17 :: v_dual_fmac_f32 v37, v229, v140
	v_dual_add_f32 v9, v9, v33 :: v_dual_fma_f32 v21, v228, v140, -v21
	v_dual_mul_f32 v39, v230, v143 :: v_dual_mul_f32 v41, v232, v145
	s_wait_loadcnt_dscnt 0x802
	s_delay_alu instid0(VALU_DEP_3) | instskip(NEXT) | instid1(VALU_DEP_2)
	v_dual_mul_f32 v17, v241, v153 :: v_dual_add_f32 v11, v11, v19
	;; [unrolled: 9-line block ×3, first 2 shown]
	v_dual_add_f32 v9, v9, v39 :: v_dual_fmac_f32 v43, v235, v146
	v_dual_mul_f32 v23, v247, v159 :: v_dual_fma_f32 v27, v234, v146, -v27
	s_delay_alu instid0(VALU_DEP_3) | instskip(NEXT) | instid1(VALU_DEP_3)
	v_dual_add_f32 v11, v11, v25 :: v_dual_fmac_f32 v45, v237, v148
	v_dual_add_f32 v9, v9, v41 :: v_dual_fma_f32 v13, v236, v148, -v13
	v_dual_mul_f32 v47, v238, v151 :: v_dual_mul_f32 v49, v240, v153
	s_wait_loadcnt 0x6
	s_delay_alu instid0(VALU_DEP_3) | instskip(NEXT) | instid1(VALU_DEP_2)
	v_dual_mul_f32 v25, v193, v161 :: v_dual_add_f32 v11, v11, v27
	v_dual_add_f32 v9, v9, v43 :: v_dual_fmac_f32 v47, v239, v150
	v_dual_mul_f32 v27, v195, v163 :: v_dual_fma_f32 v15, v238, v150, -v15
	s_delay_alu instid0(VALU_DEP_3) | instskip(NEXT) | instid1(VALU_DEP_3)
	v_dual_add_f32 v11, v11, v13 :: v_dual_fmac_f32 v49, v241, v152
	v_dual_add_f32 v9, v9, v45 :: v_dual_fma_f32 v17, v240, v152, -v17
	v_dual_mul_f32 v51, v242, v155 :: v_dual_mul_f32 v53, v244, v157
	s_wait_loadcnt 0x5
	s_delay_alu instid0(VALU_DEP_3) | instskip(NEXT) | instid1(VALU_DEP_3)
	v_dual_mul_f32 v13, v181, v165 :: v_dual_add_f32 v11, v11, v15
	v_dual_add_f32 v9, v9, v47 :: v_dual_mov_b32 v112, v167
	s_delay_alu instid0(VALU_DEP_3) | instskip(NEXT) | instid1(VALU_DEP_3)
	v_fmac_f32_e32 v51, v243, v154
	v_dual_fma_f32 v15, v242, v154, -v19 :: v_dual_add_f32 v11, v11, v17
	s_delay_alu instid0(VALU_DEP_3) | instskip(SKIP_1) | instid1(VALU_DEP_3)
	v_dual_add_f32 v9, v9, v49 :: v_dual_mul_f32 v55, v246, v159
	v_dual_mul_f32 v57, v192, v161 :: v_dual_fmac_f32 v53, v245, v156
	v_dual_add_f32 v11, v11, v15 :: v_dual_fma_f32 v17, v244, v156, -v21
	s_wait_loadcnt 0x4
	s_delay_alu instid0(VALU_DEP_3) | instskip(SKIP_3) | instid1(VALU_DEP_4)
	v_dual_add_f32 v9, v9, v51 :: v_dual_mov_b32 v116, v171
	v_fma_f32 v15, v246, v158, -v23
	v_fmac_f32_e32 v55, v247, v158
	v_dual_add_f32 v11, v11, v17 :: v_dual_fmac_f32 v57, v193, v160
	v_add_f32_e32 v9, v9, v53
	s_set_vgpr_msb 64                       ;  msbs: dst=1 src0=0 src1=0 src2=0
	v_dual_mul_f32 v7 /*v263*/, v194, v163 :: v_dual_mul_f32 v9 /*v265*/, v180, v165
	s_set_vgpr_msb 0                        ;  msbs: dst=0 src0=0 src1=0 src2=0
	v_fma_f32 v17, v192, v160, -v25
	v_pk_mul_f32 v[112:113], v[254:255], v[112:113] op_sel_hi:[1,0]
	v_add_f32_e32 v9, v9, v55
	v_add_f32_e32 v11, v11, v15
	s_set_vgpr_msb 64                       ;  msbs: dst=1 src0=0 src1=0 src2=0
	v_dual_fmac_f32 v7 /*v263*/, v195, v162 :: v_dual_fmac_f32 v9 /*v265*/, v181, v164
	v_dual_fma_f32 v6 /*v262*/, v194, v162, -v27 :: v_dual_fma_f32 v8 /*v264*/, v180, v164, -v13
	s_set_vgpr_msb 0                        ;  msbs: dst=0 src0=0 src1=0 src2=0
	v_add_f32_e32 v121, v9, v57
	v_pk_fma_f32 v[124:125], v[182:183], v[166:167], v[112:113] op_sel_hi:[1,0,1]
	v_add_f32_e32 v120, v11, v17
	v_pk_fma_f32 v[112:113], v[182:183], v[166:167], v[112:113] neg_lo:[0,0,1] neg_hi:[0,0,1]
	v_pk_mul_f32 v[114:115], v[184:185], v[168:169] op_sel:[1,1] op_sel_hi:[0,1]
	s_set_vgpr_msb 1                        ;  msbs: dst=0 src0=1 src1=0 src2=0
	v_pk_mul_f32 v[116:117], v[0:1] /*v[256:257]*/, v[116:117] op_sel_hi:[1,0]
	s_set_vgpr_msb 4                        ;  msbs: dst=0 src0=0 src1=1 src2=0
	v_mov_b32_e32 v113, v125
	v_pk_add_f32 v[120:121], v[120:121], v[6:7] /*v[262:263]*/
	s_wait_loadcnt 0x3
	s_set_vgpr_msb 0                        ;  msbs: dst=0 src0=0 src1=0 src2=0
	v_pk_mul_f32 v[118:119], v[188:189], v[172:173] op_sel:[1,1] op_sel_hi:[0,1]
	v_pk_fma_f32 v[126:127], v[184:185], v[168:169], v[114:115] op_sel_hi:[1,0,1]
	v_pk_fma_f32 v[114:115], v[184:185], v[168:169], v[114:115] neg_lo:[0,0,1] neg_hi:[0,0,1]
	v_mov_b32_e32 v122, v175
	s_set_vgpr_msb 4                        ;  msbs: dst=0 src0=0 src1=1 src2=0
	v_pk_add_f32 v[120:121], v[120:121], v[8:9] /*v[264:265]*/
	s_wait_loadcnt 0x2
	s_set_vgpr_msb 0                        ;  msbs: dst=0 src0=0 src1=0 src2=0
	v_pk_mul_f32 v[124:125], v[196:197], v[176:177] op_sel:[1,1] op_sel_hi:[0,1]
	v_mov_b32_e32 v115, v127
	v_pk_fma_f32 v[126:127], v[186:187], v[170:171], v[116:117] op_sel_hi:[1,0,1]
	v_pk_fma_f32 v[116:117], v[186:187], v[170:171], v[116:117] neg_lo:[0,0,1] neg_hi:[0,0,1]
	v_pk_add_f32 v[112:113], v[120:121], v[112:113]
	v_pk_fma_f32 v[120:121], v[188:189], v[172:173], v[118:119] op_sel_hi:[1,0,1]
	s_set_vgpr_msb 1                        ;  msbs: dst=0 src0=1 src1=0 src2=0
	v_pk_mul_f32 v[122:123], v[2:3] /*v[258:259]*/, v[122:123] op_sel_hi:[1,0]
	s_set_vgpr_msb 0                        ;  msbs: dst=0 src0=0 src1=0 src2=0
	v_mov_b32_e32 v117, v127
	v_pk_fma_f32 v[118:119], v[188:189], v[172:173], v[118:119] neg_lo:[0,0,1] neg_hi:[0,0,1]
	v_pk_add_f32 v[112:113], v[112:113], v[114:115]
	v_dual_mov_b32 v114, v179 :: v_dual_mov_b32 v119, v121
	v_pk_fma_f32 v[120:121], v[190:191], v[174:175], v[122:123] op_sel_hi:[1,0,1]
	v_pk_fma_f32 v[122:123], v[190:191], v[174:175], v[122:123] neg_lo:[0,0,1] neg_hi:[0,0,1]
	s_delay_alu instid0(VALU_DEP_4)
	v_pk_add_f32 v[112:113], v[112:113], v[116:117]
	v_pk_fma_f32 v[116:117], v[196:197], v[176:177], v[124:125] op_sel_hi:[1,0,1]
	s_set_vgpr_msb 1                        ;  msbs: dst=0 src0=1 src1=0 src2=0
	v_pk_mul_f32 v[114:115], v[4:5] /*v[260:261]*/, v[114:115] op_sel_hi:[1,0]
	s_set_vgpr_msb 0                        ;  msbs: dst=0 src0=0 src1=0 src2=0
	v_mov_b32_e32 v123, v121
	s_wait_loadcnt_dscnt 0x100
	v_pk_mul_f32 v[120:121], v[252:253], v[248:249] op_sel:[1,1] op_sel_hi:[0,1]
	v_pk_add_f32 v[112:113], v[112:113], v[118:119]
	v_pk_fma_f32 v[118:119], v[196:197], v[176:177], v[124:125] neg_lo:[0,0,1] neg_hi:[0,0,1]
	v_mov_b32_e32 v119, v117
	v_pk_fma_f32 v[116:117], v[198:199], v[178:179], v[114:115] op_sel_hi:[1,0,1]
	v_pk_fma_f32 v[114:115], v[198:199], v[178:179], v[114:115] neg_lo:[0,0,1] neg_hi:[0,0,1]
	v_pk_add_f32 v[112:113], v[112:113], v[122:123]
	s_delay_alu instid0(VALU_DEP_3) | instskip(SKIP_1) | instid1(VALU_DEP_3)
	v_mov_b32_e32 v115, v117
	v_pk_fma_f32 v[116:117], v[252:253], v[248:249], v[120:121] op_sel_hi:[1,0,1]
	v_pk_add_f32 v[112:113], v[112:113], v[118:119]
	v_pk_fma_f32 v[118:119], v[252:253], v[248:249], v[120:121] neg_lo:[0,0,1] neg_hi:[0,0,1]
	s_delay_alu instid0(VALU_DEP_3) | instskip(NEXT) | instid1(VALU_DEP_3)
	v_mov_b32_e32 v119, v117
	v_pk_add_f32 v[112:113], v[112:113], v[114:115]
	s_delay_alu instid0(VALU_DEP_1) | instskip(SKIP_1) | instid1(VALU_DEP_1)
	v_pk_add_f32 v[112:113], v[112:113], v[118:119]
	s_wait_loadcnt 0x0
	v_pk_add_f32 v[112:113], v[250:251], v[112:113] neg_lo:[0,1] neg_hi:[0,1]
	scratch_store_b64 off, v[112:113], off offset:152
	s_wait_xcnt 0x0
	v_cmpx_lt_u32_e32 18, v0
	s_cbranch_execz .LBB118_307
; %bb.306:
	scratch_load_b64 v[112:113], off, off offset:144
	v_mov_b64_e32 v[114:115], 0
	scratch_store_b64 off, v[114:115], off offset:144
	s_wait_loadcnt 0x0
	ds_store_b64 v1, v[112:113]
.LBB118_307:
	s_wait_xcnt 0x0
	s_or_b32 exec_lo, exec_lo, s0
	s_wait_storecnt_dscnt 0x0
	s_barrier_signal -1
	s_barrier_wait -1
	s_clause 0x13
	scratch_load_b128 v[112:115], off, off offset:152
	scratch_load_b128 v[116:119], off, off offset:168
	;; [unrolled: 1-line block ×18, first 2 shown]
	s_set_vgpr_msb 64                       ;  msbs: dst=1 src0=0 src1=0 src2=0
	scratch_load_b64 v[0:1] /*v[256:257]*/, off, off offset:144
	s_set_vgpr_msb 0                        ;  msbs: dst=0 src0=0 src1=0 src2=0
	ds_load_2addr_b64 v[184:187], v7 offset0:103 offset1:104
	ds_load_2addr_b64 v[188:191], v7 offset0:105 offset1:106
	;; [unrolled: 1-line block ×18, first 2 shown]
	s_mov_b32 s0, exec_lo
	s_wait_dscnt 0x11
	s_set_vgpr_msb 64                       ;  msbs: dst=1 src0=0 src1=0 src2=0
	v_dual_mov_b32 v2 /*v258*/, v187 :: v_dual_mov_b32 v3 /*v259*/, v186
	s_wait_dscnt 0x10
	v_dual_mov_b32 v4 /*v260*/, v191 :: v_dual_mov_b32 v5 /*v261*/, v190
	s_wait_dscnt 0xf
	v_dual_mov_b32 v6 /*v262*/, v195 :: v_dual_mov_b32 v7 /*v263*/, v194
	s_wait_dscnt 0xe
	v_dual_mov_b32 v8 /*v264*/, v199 :: v_dual_mov_b32 v9 /*v265*/, v198
	s_wait_loadcnt_dscnt 0x120d
	s_set_vgpr_msb 0                        ;  msbs: dst=0 src0=0 src1=0 src2=0
	v_dual_mul_f32 v7, v200, v113 :: v_dual_mul_f32 v9, v202, v115
	v_dual_mul_f32 v59, v201, v113 :: v_dual_mul_f32 v61, v203, v115
	s_wait_loadcnt_dscnt 0x110c
	v_dual_mul_f32 v11, v204, v117 :: v_dual_mul_f32 v13, v206, v119
	s_delay_alu instid0(VALU_DEP_3) | instskip(SKIP_3) | instid1(VALU_DEP_3)
	v_dual_fmac_f32 v7, v201, v112 :: v_dual_fmac_f32 v9, v203, v114
	s_wait_loadcnt_dscnt 0xf0a
	v_dual_fma_f32 v59, v200, v112, -v59 :: v_dual_mul_f32 v71, v213, v125
	v_dual_mul_f32 v63, v205, v117 :: v_dual_mul_f32 v65, v207, v119
	v_dual_fma_f32 v61, v202, v114, -v61 :: v_dual_add_f32 v7, 0, v7
	s_delay_alu instid0(VALU_DEP_3) | instskip(SKIP_1) | instid1(VALU_DEP_4)
	v_dual_add_f32 v59, 0, v59 :: v_dual_fmac_f32 v11, v205, v116
	v_dual_mul_f32 v15, v208, v121 :: v_dual_mul_f32 v17, v210, v123
	v_dual_mul_f32 v73, v215, v127 :: v_dual_fma_f32 v63, v204, v116, -v63
	s_delay_alu instid0(VALU_DEP_4) | instskip(NEXT) | instid1(VALU_DEP_3)
	v_add_f32_e32 v7, v7, v9
	v_dual_add_f32 v9, v59, v61 :: v_dual_fmac_f32 v15, v209, v120
	v_dual_mul_f32 v67, v209, v121 :: v_dual_mul_f32 v69, v211, v123
	s_wait_loadcnt_dscnt 0xe09
	v_dual_mul_f32 v59, v217, v129 :: v_dual_fmac_f32 v13, v207, v118
	v_dual_fma_f32 v61, v206, v118, -v65 :: v_dual_add_f32 v7, v7, v11
	s_delay_alu instid0(VALU_DEP_3) | instskip(SKIP_1) | instid1(VALU_DEP_3)
	v_dual_add_f32 v9, v9, v63 :: v_dual_fma_f32 v63, v208, v120, -v67
	v_dual_mul_f32 v19, v212, v125 :: v_dual_mul_f32 v21, v214, v127
	v_add_f32_e32 v7, v7, v13
	s_delay_alu instid0(VALU_DEP_3) | instskip(SKIP_2) | instid1(VALU_DEP_3)
	v_dual_mul_f32 v11, v219, v131 :: v_dual_add_f32 v9, v9, v61
	s_wait_loadcnt_dscnt 0xd08
	v_dual_mul_f32 v13, v221, v133 :: v_dual_fmac_f32 v17, v211, v122
	v_dual_fma_f32 v61, v210, v122, -v69 :: v_dual_add_f32 v7, v7, v15
	s_delay_alu instid0(VALU_DEP_3) | instskip(SKIP_1) | instid1(VALU_DEP_3)
	v_dual_add_f32 v9, v9, v63 :: v_dual_fma_f32 v63, v212, v124, -v71
	v_dual_mul_f32 v15, v223, v135 :: v_dual_fmac_f32 v19, v213, v124
	v_add_f32_e32 v7, v7, v17
	s_delay_alu instid0(VALU_DEP_3)
	v_dual_add_f32 v9, v9, v61 :: v_dual_fmac_f32 v21, v215, v126
	v_dual_mul_f32 v23, v216, v129 :: v_dual_mul_f32 v25, v218, v131
	s_wait_loadcnt_dscnt 0xc07
	v_dual_fma_f32 v61, v214, v126, -v73 :: v_dual_mul_f32 v17, v225, v137
	v_add_f32_e32 v7, v7, v19
	v_dual_add_f32 v9, v9, v63 :: v_dual_fma_f32 v59, v216, v128, -v59
	v_dual_mul_f32 v19, v227, v139 :: v_dual_fmac_f32 v23, v217, v128
	s_delay_alu instid0(VALU_DEP_3) | instskip(NEXT) | instid1(VALU_DEP_3)
	v_dual_add_f32 v7, v7, v21 :: v_dual_fma_f32 v11, v218, v130, -v11
	v_dual_add_f32 v9, v9, v61 :: v_dual_fmac_f32 v25, v219, v130
	v_dual_mul_f32 v27, v220, v133 :: v_dual_mul_f32 v29, v222, v135
	s_wait_loadcnt_dscnt 0xb06
	s_delay_alu instid0(VALU_DEP_3) | instskip(NEXT) | instid1(VALU_DEP_3)
	v_dual_mul_f32 v21, v229, v141 :: v_dual_add_f32 v7, v7, v23
	v_dual_add_f32 v9, v9, v59 :: v_dual_fma_f32 v13, v220, v132, -v13
	s_delay_alu instid0(VALU_DEP_3) | instskip(NEXT) | instid1(VALU_DEP_2)
	v_dual_mul_f32 v23, v231, v143 :: v_dual_fmac_f32 v27, v221, v132
	v_dual_add_f32 v7, v7, v25 :: v_dual_add_f32 v9, v9, v11
	v_dual_mul_f32 v31, v224, v137 :: v_dual_mul_f32 v33, v226, v139
	s_wait_loadcnt_dscnt 0xa05
	v_dual_mul_f32 v11, v233, v145 :: v_dual_fmac_f32 v29, v223, v134
	s_delay_alu instid0(VALU_DEP_3) | instskip(SKIP_2) | instid1(VALU_DEP_2)
	v_dual_fma_f32 v15, v222, v134, -v15 :: v_dual_add_f32 v7, v7, v27
	v_dual_add_f32 v9, v9, v13 :: v_dual_mul_f32 v13, v235, v147
	v_dual_fmac_f32 v31, v225, v136 :: v_dual_fma_f32 v17, v224, v136, -v17
	v_dual_add_f32 v7, v7, v29 :: v_dual_add_f32 v9, v9, v15
	v_dual_mul_f32 v35, v228, v141 :: v_dual_mul_f32 v37, v230, v143
	s_wait_loadcnt_dscnt 0x904
	v_dual_mul_f32 v15, v237, v149 :: v_dual_fmac_f32 v33, v227, v138
	s_delay_alu instid0(VALU_DEP_3) | instskip(SKIP_2) | instid1(VALU_DEP_2)
	v_dual_fma_f32 v19, v226, v138, -v19 :: v_dual_add_f32 v7, v7, v31
	v_dual_add_f32 v9, v9, v17 :: v_dual_mul_f32 v17, v239, v151
	v_dual_fmac_f32 v35, v229, v140 :: v_dual_fma_f32 v21, v228, v140, -v21
	v_dual_add_f32 v7, v7, v33 :: v_dual_add_f32 v9, v9, v19
	v_dual_mul_f32 v39, v232, v145 :: v_dual_mul_f32 v41, v234, v147
	s_wait_loadcnt_dscnt 0x803
	v_dual_mul_f32 v19, v241, v153 :: v_dual_fmac_f32 v37, v231, v142
	s_delay_alu instid0(VALU_DEP_3) | instskip(SKIP_2) | instid1(VALU_DEP_3)
	v_dual_fma_f32 v23, v230, v142, -v23 :: v_dual_add_f32 v7, v7, v35
	v_dual_add_f32 v9, v9, v21 :: v_dual_mul_f32 v21, v243, v155
	v_fmac_f32_e32 v39, v233, v144
	v_dual_fma_f32 v11, v232, v144, -v11 :: v_dual_add_f32 v7, v7, v37
	s_delay_alu instid0(VALU_DEP_3)
	v_dual_add_f32 v9, v9, v23 :: v_dual_mul_f32 v43, v236, v149
	s_wait_loadcnt_dscnt 0x702
	v_dual_mul_f32 v45, v238, v151 :: v_dual_mul_f32 v23, v245, v157
	v_fmac_f32_e32 v41, v235, v146
	v_dual_fma_f32 v13, v234, v146, -v13 :: v_dual_add_f32 v7, v7, v39
	v_dual_add_f32 v9, v9, v11 :: v_dual_fma_f32 v15, v236, v148, -v15
	v_dual_mul_f32 v11, v247, v159 :: v_dual_fmac_f32 v43, v237, v148
	s_delay_alu instid0(VALU_DEP_3) | instskip(NEXT) | instid1(VALU_DEP_3)
	v_dual_add_f32 v7, v7, v41 :: v_dual_fma_f32 v17, v238, v150, -v17
	v_dual_add_f32 v9, v9, v13 :: v_dual_fmac_f32 v45, v239, v150
	v_dual_mul_f32 v47, v240, v153 :: v_dual_mul_f32 v49, v242, v155
	s_wait_loadcnt_dscnt 0x601
	s_delay_alu instid0(VALU_DEP_3) | instskip(NEXT) | instid1(VALU_DEP_3)
	v_dual_mul_f32 v13, v249, v161 :: v_dual_add_f32 v7, v7, v43
	v_dual_add_f32 v9, v9, v15 :: v_dual_fma_f32 v19, v240, v152, -v19
	s_delay_alu instid0(VALU_DEP_3) | instskip(NEXT) | instid1(VALU_DEP_3)
	v_dual_mul_f32 v15, v251, v163 :: v_dual_fmac_f32 v47, v241, v152
	v_dual_add_f32 v7, v7, v45 :: v_dual_fma_f32 v21, v242, v154, -v21
	s_delay_alu instid0(VALU_DEP_3) | instskip(SKIP_2) | instid1(VALU_DEP_3)
	v_dual_add_f32 v9, v9, v17 :: v_dual_fmac_f32 v49, v243, v154
	v_dual_mul_f32 v51, v244, v157 :: v_dual_mul_f32 v53, v246, v159
	s_wait_loadcnt_dscnt 0x500
	v_dual_mul_f32 v17, v253, v165 :: v_dual_add_f32 v7, v7, v47
	s_delay_alu instid0(VALU_DEP_3) | instskip(NEXT) | instid1(VALU_DEP_3)
	v_dual_add_f32 v9, v9, v19 :: v_dual_fma_f32 v23, v244, v156, -v23
	v_dual_mul_f32 v19, v255, v167 :: v_dual_fmac_f32 v51, v245, v156
	s_delay_alu instid0(VALU_DEP_3) | instskip(NEXT) | instid1(VALU_DEP_3)
	v_dual_add_f32 v7, v7, v49 :: v_dual_fma_f32 v11, v246, v158, -v11
	v_dual_add_f32 v9, v9, v21 :: v_dual_fmac_f32 v53, v247, v158
	v_dual_mul_f32 v55, v248, v161 :: v_dual_mul_f32 v57, v250, v163
	s_delay_alu instid0(VALU_DEP_3) | instskip(SKIP_1) | instid1(VALU_DEP_3)
	v_add_f32_e32 v7, v7, v51
	s_wait_loadcnt 0x4
	v_dual_add_f32 v9, v9, v23 :: v_dual_mov_b32 v114, v171
	s_delay_alu instid0(VALU_DEP_3) | instskip(NEXT) | instid1(VALU_DEP_2)
	v_dual_fmac_f32 v55, v249, v160 :: v_dual_fma_f32 v13, v248, v160, -v13
	v_dual_add_f32 v7, v7, v53 :: v_dual_add_f32 v9, v9, v11
	v_fmac_f32_e32 v57, v251, v162
	s_set_vgpr_msb 64                       ;  msbs: dst=1 src0=0 src1=0 src2=0
	v_dual_mul_f32 v11 /*v267*/, v252, v165 :: v_dual_mul_f32 v13 /*v269*/, v254, v167
	s_set_vgpr_msb 0                        ;  msbs: dst=0 src0=0 src1=0 src2=0
	v_dual_fma_f32 v11, v250, v162, -v15 :: v_dual_add_f32 v7, v7, v55
	s_wait_loadcnt 0x3
	v_dual_add_f32 v9, v9, v13 :: v_dual_mov_b32 v118, v175
	v_pk_mul_f32 v[112:113], v[184:185], v[168:169] op_sel:[1,1] op_sel_hi:[0,1]
	s_set_vgpr_msb 64                       ;  msbs: dst=1 src0=0 src1=0 src2=0
	v_dual_fmac_f32 v11 /*v267*/, v253, v164 :: v_dual_fmac_f32 v13 /*v269*/, v255, v166
	v_dual_fma_f32 v10 /*v266*/, v252, v164, -v17 :: v_dual_fma_f32 v12 /*v268*/, v254, v166, -v19
	s_set_vgpr_msb 0                        ;  msbs: dst=0 src0=0 src1=0 src2=0
	v_dual_add_f32 v121, v7, v57 :: v_dual_add_f32 v120, v9, v11
	v_pk_fma_f32 v[122:123], v[184:185], v[168:169], v[112:113] op_sel_hi:[1,0,1]
	s_set_vgpr_msb 1                        ;  msbs: dst=0 src0=1 src1=0 src2=0
	v_pk_mul_f32 v[114:115], v[2:3] /*v[258:259]*/, v[114:115] op_sel_hi:[1,0]
	s_set_vgpr_msb 0                        ;  msbs: dst=0 src0=0 src1=0 src2=0
	v_pk_fma_f32 v[112:113], v[184:185], v[168:169], v[112:113] neg_lo:[0,0,1] neg_hi:[0,0,1]
	v_pk_mul_f32 v[116:117], v[188:189], v[172:173] op_sel:[1,1] op_sel_hi:[0,1]
	s_set_vgpr_msb 4                        ;  msbs: dst=0 src0=0 src1=1 src2=0
	v_pk_add_f32 v[120:121], v[120:121], v[10:11] /*v[266:267]*/
	v_mov_b32_e32 v113, v123
	s_set_vgpr_msb 0                        ;  msbs: dst=0 src0=0 src1=0 src2=0
	v_pk_fma_f32 v[122:123], v[186:187], v[170:171], v[114:115] op_sel_hi:[1,0,1]
	v_pk_fma_f32 v[114:115], v[186:187], v[170:171], v[114:115] neg_lo:[0,0,1] neg_hi:[0,0,1]
	v_pk_fma_f32 v[126:127], v[188:189], v[172:173], v[116:117] op_sel_hi:[1,0,1]
	s_set_vgpr_msb 4                        ;  msbs: dst=0 src0=0 src1=1 src2=0
	v_pk_add_f32 v[120:121], v[120:121], v[12:13] /*v[268:269]*/
	s_set_vgpr_msb 1                        ;  msbs: dst=0 src0=1 src1=0 src2=0
	v_pk_mul_f32 v[118:119], v[4:5] /*v[260:261]*/, v[118:119] op_sel_hi:[1,0]
	s_set_vgpr_msb 0                        ;  msbs: dst=0 src0=0 src1=0 src2=0
	v_mov_b32_e32 v115, v123
	s_wait_loadcnt 0x2
	v_pk_mul_f32 v[124:125], v[192:193], v[176:177] op_sel:[1,1] op_sel_hi:[0,1]
	v_pk_fma_f32 v[116:117], v[188:189], v[172:173], v[116:117] neg_lo:[0,0,1] neg_hi:[0,0,1]
	v_pk_add_f32 v[112:113], v[120:121], v[112:113]
	v_dual_mov_b32 v120, v179 :: v_dual_mov_b32 v117, v127
	v_pk_fma_f32 v[122:123], v[190:191], v[174:175], v[118:119] op_sel_hi:[1,0,1]
	v_pk_fma_f32 v[118:119], v[190:191], v[174:175], v[118:119] neg_lo:[0,0,1] neg_hi:[0,0,1]
	s_delay_alu instid0(VALU_DEP_4)
	v_pk_add_f32 v[112:113], v[112:113], v[114:115]
	v_pk_fma_f32 v[114:115], v[192:193], v[176:177], v[124:125] op_sel_hi:[1,0,1]
	s_set_vgpr_msb 1                        ;  msbs: dst=0 src0=1 src1=0 src2=0
	v_pk_mul_f32 v[120:121], v[6:7] /*v[262:263]*/, v[120:121] op_sel_hi:[1,0]
	s_set_vgpr_msb 0                        ;  msbs: dst=0 src0=0 src1=0 src2=0
	v_mov_b32_e32 v119, v123
	v_pk_fma_f32 v[122:123], v[192:193], v[176:177], v[124:125] neg_lo:[0,0,1] neg_hi:[0,0,1]
	v_pk_add_f32 v[112:113], v[112:113], v[116:117]
	v_mov_b32_e32 v123, v115
	v_pk_fma_f32 v[114:115], v[194:195], v[178:179], v[120:121] op_sel_hi:[1,0,1]
	s_wait_loadcnt 0x1
	v_pk_mul_f32 v[116:117], v[196:197], v[180:181] op_sel:[1,1] op_sel_hi:[0,1]
	v_mov_b32_e32 v114, v183
	v_pk_add_f32 v[112:113], v[112:113], v[118:119]
	v_pk_fma_f32 v[120:121], v[194:195], v[178:179], v[120:121] neg_lo:[0,0,1] neg_hi:[0,0,1]
	v_mov_b32_e32 v121, v115
	v_pk_fma_f32 v[118:119], v[196:197], v[180:181], v[116:117] op_sel_hi:[1,0,1]
	s_set_vgpr_msb 1                        ;  msbs: dst=0 src0=1 src1=0 src2=0
	v_pk_mul_f32 v[114:115], v[8:9] /*v[264:265]*/, v[114:115] op_sel_hi:[1,0]
	s_set_vgpr_msb 0                        ;  msbs: dst=0 src0=0 src1=0 src2=0
	v_pk_add_f32 v[112:113], v[112:113], v[122:123]
	v_pk_fma_f32 v[116:117], v[196:197], v[180:181], v[116:117] neg_lo:[0,0,1] neg_hi:[0,0,1]
	v_mov_b32_e32 v117, v119
	v_pk_fma_f32 v[118:119], v[198:199], v[182:183], v[114:115] op_sel_hi:[1,0,1]
	s_delay_alu instid0(VALU_DEP_4) | instskip(SKIP_1) | instid1(VALU_DEP_3)
	v_pk_add_f32 v[112:113], v[112:113], v[120:121]
	v_pk_fma_f32 v[114:115], v[198:199], v[182:183], v[114:115] neg_lo:[0,0,1] neg_hi:[0,0,1]
	v_mov_b32_e32 v115, v119
	s_delay_alu instid0(VALU_DEP_3) | instskip(NEXT) | instid1(VALU_DEP_1)
	v_pk_add_f32 v[112:113], v[112:113], v[116:117]
	v_pk_add_f32 v[112:113], v[112:113], v[114:115]
	s_wait_loadcnt 0x0
	s_set_vgpr_msb 1                        ;  msbs: dst=0 src0=1 src1=0 src2=0
	s_delay_alu instid0(VALU_DEP_1)
	v_pk_add_f32 v[112:113], v[0:1] /*v[256:257]*/, v[112:113] neg_lo:[0,1] neg_hi:[0,1]
	scratch_store_b64 off, v[112:113], off offset:144
	s_wait_xcnt 0x0
	v_cmpx_lt_u32_e32 17, v0
	s_set_vgpr_msb 0                        ;  msbs: dst=0 src0=0 src1=0 src2=0
	s_cbranch_execz .LBB118_309
; %bb.308:
	scratch_load_b64 v[112:113], off, off offset:136
	v_mov_b64_e32 v[114:115], 0
	scratch_store_b64 off, v[114:115], off offset:136
	s_wait_loadcnt 0x0
	ds_store_b64 v1, v[112:113]
.LBB118_309:
	s_wait_xcnt 0x0
	s_or_b32 exec_lo, exec_lo, s0
	s_wait_storecnt_dscnt 0x0
	s_barrier_signal -1
	s_barrier_wait -1
	s_clause 0x14
	scratch_load_b128 v[112:115], off, off offset:144
	scratch_load_b128 v[116:119], off, off offset:160
	scratch_load_b128 v[120:123], off, off offset:176
	scratch_load_b128 v[124:127], off, off offset:192
	scratch_load_b128 v[128:131], off, off offset:208
	scratch_load_b128 v[132:135], off, off offset:224
	scratch_load_b128 v[136:139], off, off offset:240
	scratch_load_b128 v[140:143], off, off offset:256
	scratch_load_b128 v[144:147], off, off offset:272
	scratch_load_b128 v[148:151], off, off offset:288
	scratch_load_b128 v[152:155], off, off offset:304
	scratch_load_b128 v[156:159], off, off offset:320
	scratch_load_b128 v[160:163], off, off offset:336
	scratch_load_b128 v[164:167], off, off offset:352
	scratch_load_b128 v[168:171], off, off offset:368
	scratch_load_b128 v[172:175], off, off offset:384
	scratch_load_b128 v[176:179], off, off offset:400
	scratch_load_b128 v[180:183], off, off offset:416
	s_set_vgpr_msb 64                       ;  msbs: dst=1 src0=0 src1=0 src2=0
	scratch_load_b64 v[0:1] /*v[256:257]*/, off, off offset:432
	scratch_load_b64 v[2:3] /*v[258:259]*/, off, off offset:136
	s_set_vgpr_msb 0                        ;  msbs: dst=0 src0=0 src1=0 src2=0
	v_mov_b32_e32 v7, 0
	ds_load_b128 v[184:187], v7 offset:816
	ds_load_b128 v[188:191], v7 offset:832
	;; [unrolled: 1-line block ×18, first 2 shown]
	s_set_vgpr_msb 64                       ;  msbs: dst=1 src0=0 src1=0 src2=0
	ds_load_b64 v[4:5] /*v[260:261]*/, v7 offset:880
	s_mov_b32 s0, exec_lo
	s_wait_dscnt 0x12
	v_dual_mov_b32 v6 /*v262*/, v187 :: v_dual_mov_b32 v7 /*v263*/, v186
	s_wait_dscnt 0x11
	v_dual_mov_b32 v8 /*v264*/, v191 :: v_dual_mov_b32 v9 /*v265*/, v190
	;; [unrolled: 2-line block ×4, first 2 shown]
	s_wait_loadcnt 0x13
	s_set_vgpr_msb 0                        ;  msbs: dst=0 src0=0 src1=0 src2=0
	v_dual_mul_f32 v9, v196, v113 :: v_dual_mul_f32 v63, v197, v113
	v_dual_mul_f32 v65, v199, v115 :: v_dual_mul_f32 v11, v198, v115
	s_wait_loadcnt 0x12
	v_mul_f32_e32 v13, v200, v117
	s_wait_loadcnt_dscnt 0x100b
	v_dual_mul_f32 v75, v213, v125 :: v_dual_fma_f32 v63, v196, v112, -v63
	v_dual_fmac_f32 v9, v197, v112 :: v_dual_mul_f32 v77, v215, v127
	v_dual_mul_f32 v67, v201, v117 :: v_dual_mul_f32 v69, v203, v119
	v_dual_fmac_f32 v11, v199, v114 :: v_dual_fma_f32 v65, v198, v114, -v65
	s_delay_alu instid0(VALU_DEP_3) | instskip(SKIP_4) | instid1(VALU_DEP_3)
	v_dual_add_f32 v9, 0, v9 :: v_dual_add_f32 v63, 0, v63
	v_dual_mul_f32 v15, v202, v119 :: v_dual_mul_f32 v17, v208, v121
	s_wait_loadcnt_dscnt 0xf0a
	v_dual_mul_f32 v79, v217, v129 :: v_dual_fma_f32 v67, v200, v116, -v67
	v_fmac_f32_e32 v13, v201, v116
	v_dual_add_f32 v9, v9, v11 :: v_dual_fmac_f32 v15, v203, v118
	v_add_f32_e32 v11, v63, v65
	v_dual_mul_f32 v71, v209, v121 :: v_dual_mul_f32 v73, v211, v123
	v_dual_mul_f32 v63, v219, v131 :: v_dual_fma_f32 v65, v202, v118, -v69
	s_delay_alu instid0(VALU_DEP_3) | instskip(SKIP_3) | instid1(VALU_DEP_3)
	v_dual_add_f32 v9, v9, v13 :: v_dual_add_f32 v11, v11, v67
	v_dual_mul_f32 v19, v210, v123 :: v_dual_mul_f32 v21, v212, v125
	s_wait_loadcnt_dscnt 0xe09
	v_dual_mul_f32 v13, v221, v133 :: v_dual_fma_f32 v67, v208, v120, -v71
	v_dual_fmac_f32 v17, v209, v120 :: v_dual_add_f32 v11, v11, v65
	s_delay_alu instid0(VALU_DEP_3) | instskip(SKIP_1) | instid1(VALU_DEP_2)
	v_dual_add_f32 v9, v9, v15 :: v_dual_fmac_f32 v19, v211, v122
	v_dual_mul_f32 v15, v223, v135 :: v_dual_fma_f32 v65, v210, v122, -v73
	v_dual_add_f32 v11, v11, v67 :: v_dual_add_f32 v9, v9, v17
	v_dual_mul_f32 v23, v214, v127 :: v_dual_mul_f32 v25, v216, v129
	s_wait_loadcnt_dscnt 0xd08
	v_dual_mul_f32 v17, v225, v137 :: v_dual_fma_f32 v67, v212, v124, -v75
	s_delay_alu instid0(VALU_DEP_3) | instskip(NEXT) | instid1(VALU_DEP_3)
	v_dual_fmac_f32 v21, v213, v124 :: v_dual_add_f32 v11, v11, v65
	v_dual_add_f32 v9, v9, v19 :: v_dual_fmac_f32 v23, v215, v126
	v_dual_mul_f32 v19, v227, v139 :: v_dual_fma_f32 v65, v214, v126, -v77
	s_delay_alu instid0(VALU_DEP_2) | instskip(SKIP_3) | instid1(VALU_DEP_3)
	v_dual_add_f32 v11, v11, v67 :: v_dual_add_f32 v9, v9, v21
	v_dual_mul_f32 v27, v218, v131 :: v_dual_mul_f32 v29, v220, v133
	s_wait_loadcnt_dscnt 0xc07
	v_dual_mul_f32 v21, v229, v141 :: v_dual_fma_f32 v67, v216, v128, -v79
	v_dual_fmac_f32 v25, v217, v128 :: v_dual_add_f32 v11, v11, v65
	s_delay_alu instid0(VALU_DEP_3) | instskip(SKIP_1) | instid1(VALU_DEP_2)
	v_dual_add_f32 v9, v9, v23 :: v_dual_fmac_f32 v27, v219, v130
	v_dual_mul_f32 v23, v231, v143 :: v_dual_fma_f32 v63, v218, v130, -v63
	v_dual_add_f32 v11, v11, v67 :: v_dual_add_f32 v9, v9, v25
	v_dual_mul_f32 v31, v222, v135 :: v_dual_mul_f32 v33, v224, v137
	s_wait_loadcnt_dscnt 0xb06
	v_dual_mul_f32 v25, v233, v145 :: v_dual_fma_f32 v13, v220, v132, -v13
	s_delay_alu instid0(VALU_DEP_3) | instskip(NEXT) | instid1(VALU_DEP_3)
	v_dual_fmac_f32 v29, v221, v132 :: v_dual_add_f32 v11, v11, v63
	v_dual_add_f32 v9, v9, v27 :: v_dual_fmac_f32 v31, v223, v134
	v_dual_mul_f32 v27, v235, v147 :: v_dual_fma_f32 v15, v222, v134, -v15
	s_delay_alu instid0(VALU_DEP_3) | instskip(NEXT) | instid1(VALU_DEP_3)
	v_dual_add_f32 v11, v11, v13 :: v_dual_fmac_f32 v33, v225, v136
	v_dual_add_f32 v9, v9, v29 :: v_dual_fma_f32 v17, v224, v136, -v17
	v_dual_mul_f32 v35, v226, v139 :: v_dual_mul_f32 v37, v228, v141
	s_wait_loadcnt_dscnt 0xa05
	s_delay_alu instid0(VALU_DEP_3) | instskip(NEXT) | instid1(VALU_DEP_2)
	v_dual_mul_f32 v13, v237, v149 :: v_dual_add_f32 v11, v11, v15
	v_dual_add_f32 v9, v9, v31 :: v_dual_fmac_f32 v35, v227, v138
	v_dual_mul_f32 v15, v239, v151 :: v_dual_fma_f32 v19, v226, v138, -v19
	s_delay_alu instid0(VALU_DEP_3) | instskip(NEXT) | instid1(VALU_DEP_3)
	v_dual_add_f32 v11, v11, v17 :: v_dual_fmac_f32 v37, v229, v140
	v_dual_add_f32 v9, v9, v33 :: v_dual_fma_f32 v21, v228, v140, -v21
	v_dual_mul_f32 v39, v230, v143 :: v_dual_mul_f32 v41, v232, v145
	s_wait_loadcnt_dscnt 0x904
	s_delay_alu instid0(VALU_DEP_3) | instskip(NEXT) | instid1(VALU_DEP_2)
	v_dual_mul_f32 v17, v241, v153 :: v_dual_add_f32 v11, v11, v19
	;; [unrolled: 9-line block ×5, first 2 shown]
	v_dual_add_f32 v9, v9, v47 :: v_dual_fmac_f32 v51, v243, v154
	v_dual_mul_f32 v15, v255, v167 :: v_dual_fma_f32 v19, v242, v154, -v19
	s_delay_alu instid0(VALU_DEP_3) | instskip(NEXT) | instid1(VALU_DEP_3)
	v_dual_add_f32 v11, v11, v17 :: v_dual_fmac_f32 v53, v245, v156
	v_dual_add_f32 v9, v9, v49 :: v_dual_fma_f32 v21, v244, v156, -v21
	v_dual_mul_f32 v55, v246, v159 :: v_dual_mul_f32 v57, v248, v161
	s_wait_loadcnt 0x5
	s_delay_alu instid0(VALU_DEP_3) | instskip(NEXT) | instid1(VALU_DEP_3)
	v_dual_mul_f32 v17, v185, v169 :: v_dual_add_f32 v11, v11, v19
	v_dual_add_f32 v9, v9, v51 :: v_dual_mov_b32 v112, v171
	s_delay_alu instid0(VALU_DEP_3) | instskip(NEXT) | instid1(VALU_DEP_3)
	v_fmac_f32_e32 v55, v247, v158
	v_dual_fma_f32 v19, v246, v158, -v23 :: v_dual_add_f32 v11, v11, v21
	s_delay_alu instid0(VALU_DEP_3) | instskip(SKIP_1) | instid1(VALU_DEP_3)
	v_dual_add_f32 v9, v9, v53 :: v_dual_mul_f32 v59, v250, v163
	v_dual_mul_f32 v61, v252, v165 :: v_dual_fmac_f32 v57, v249, v160
	v_dual_add_f32 v11, v11, v19 :: v_dual_fma_f32 v21, v248, v160, -v25
	s_wait_loadcnt 0x4
	s_delay_alu instid0(VALU_DEP_3) | instskip(SKIP_3) | instid1(VALU_DEP_4)
	v_dual_add_f32 v9, v9, v55 :: v_dual_mov_b32 v116, v175
	v_fma_f32 v19, v250, v162, -v27
	v_fmac_f32_e32 v59, v251, v162
	v_dual_add_f32 v11, v11, v21 :: v_dual_fmac_f32 v61, v253, v164
	v_add_f32_e32 v9, v9, v57
	s_set_vgpr_msb 64                       ;  msbs: dst=1 src0=0 src1=0 src2=0
	v_dual_mul_f32 v15 /*v271*/, v254, v167 :: v_dual_mul_f32 v17 /*v273*/, v184, v169
	s_set_vgpr_msb 0                        ;  msbs: dst=0 src0=0 src1=0 src2=0
	v_fma_f32 v13, v252, v164, -v13
	s_set_vgpr_msb 1                        ;  msbs: dst=0 src0=1 src1=0 src2=0
	v_pk_mul_f32 v[112:113], v[6:7] /*v[262:263]*/, v[112:113] op_sel_hi:[1,0]
	s_set_vgpr_msb 0                        ;  msbs: dst=0 src0=0 src1=0 src2=0
	v_add_f32_e32 v9, v9, v59
	v_add_f32_e32 v11, v11, v19
	s_set_vgpr_msb 64                       ;  msbs: dst=1 src0=0 src1=0 src2=0
	v_dual_fmac_f32 v15 /*v271*/, v255, v166 :: v_dual_fmac_f32 v17 /*v273*/, v185, v168
	v_dual_fma_f32 v14 /*v270*/, v254, v166, -v15 :: v_dual_fma_f32 v16 /*v272*/, v184, v168, -v17
	s_set_vgpr_msb 0                        ;  msbs: dst=0 src0=0 src1=0 src2=0
	v_add_f32_e32 v121, v9, v61
	v_pk_fma_f32 v[124:125], v[186:187], v[170:171], v[112:113] op_sel_hi:[1,0,1]
	v_add_f32_e32 v120, v11, v13
	v_pk_fma_f32 v[112:113], v[186:187], v[170:171], v[112:113] neg_lo:[0,0,1] neg_hi:[0,0,1]
	v_pk_mul_f32 v[114:115], v[188:189], v[172:173] op_sel:[1,1] op_sel_hi:[0,1]
	s_set_vgpr_msb 1                        ;  msbs: dst=0 src0=1 src1=0 src2=0
	v_pk_mul_f32 v[116:117], v[8:9] /*v[264:265]*/, v[116:117] op_sel_hi:[1,0]
	s_set_vgpr_msb 4                        ;  msbs: dst=0 src0=0 src1=1 src2=0
	v_mov_b32_e32 v113, v125
	v_pk_add_f32 v[120:121], v[120:121], v[14:15] /*v[270:271]*/
	s_wait_loadcnt 0x3
	s_set_vgpr_msb 0                        ;  msbs: dst=0 src0=0 src1=0 src2=0
	v_pk_mul_f32 v[118:119], v[192:193], v[176:177] op_sel:[1,1] op_sel_hi:[0,1]
	v_pk_fma_f32 v[126:127], v[188:189], v[172:173], v[114:115] op_sel_hi:[1,0,1]
	v_pk_fma_f32 v[114:115], v[188:189], v[172:173], v[114:115] neg_lo:[0,0,1] neg_hi:[0,0,1]
	v_mov_b32_e32 v122, v179
	s_set_vgpr_msb 4                        ;  msbs: dst=0 src0=0 src1=1 src2=0
	v_pk_add_f32 v[120:121], v[120:121], v[16:17] /*v[272:273]*/
	s_wait_loadcnt 0x2
	s_set_vgpr_msb 0                        ;  msbs: dst=0 src0=0 src1=0 src2=0
	v_pk_mul_f32 v[124:125], v[204:205], v[180:181] op_sel:[1,1] op_sel_hi:[0,1]
	v_mov_b32_e32 v115, v127
	v_pk_fma_f32 v[126:127], v[190:191], v[174:175], v[116:117] op_sel_hi:[1,0,1]
	v_pk_fma_f32 v[116:117], v[190:191], v[174:175], v[116:117] neg_lo:[0,0,1] neg_hi:[0,0,1]
	v_pk_add_f32 v[112:113], v[120:121], v[112:113]
	v_pk_fma_f32 v[120:121], v[192:193], v[176:177], v[118:119] op_sel_hi:[1,0,1]
	s_set_vgpr_msb 1                        ;  msbs: dst=0 src0=1 src1=0 src2=0
	v_pk_mul_f32 v[122:123], v[10:11] /*v[266:267]*/, v[122:123] op_sel_hi:[1,0]
	s_set_vgpr_msb 0                        ;  msbs: dst=0 src0=0 src1=0 src2=0
	v_mov_b32_e32 v117, v127
	v_pk_fma_f32 v[118:119], v[192:193], v[176:177], v[118:119] neg_lo:[0,0,1] neg_hi:[0,0,1]
	v_pk_add_f32 v[112:113], v[112:113], v[114:115]
	v_dual_mov_b32 v114, v183 :: v_dual_mov_b32 v119, v121
	v_pk_fma_f32 v[120:121], v[194:195], v[178:179], v[122:123] op_sel_hi:[1,0,1]
	v_pk_fma_f32 v[122:123], v[194:195], v[178:179], v[122:123] neg_lo:[0,0,1] neg_hi:[0,0,1]
	s_delay_alu instid0(VALU_DEP_4)
	v_pk_add_f32 v[112:113], v[112:113], v[116:117]
	v_pk_fma_f32 v[116:117], v[204:205], v[180:181], v[124:125] op_sel_hi:[1,0,1]
	s_set_vgpr_msb 1                        ;  msbs: dst=0 src0=1 src1=0 src2=0
	v_pk_mul_f32 v[114:115], v[12:13] /*v[268:269]*/, v[114:115] op_sel_hi:[1,0]
	s_set_vgpr_msb 0                        ;  msbs: dst=0 src0=0 src1=0 src2=0
	v_mov_b32_e32 v123, v121
	s_wait_loadcnt_dscnt 0x100
	s_set_vgpr_msb 5                        ;  msbs: dst=0 src0=1 src1=1 src2=0
	v_pk_mul_f32 v[120:121], v[4:5] /*v[260:261]*/, v[0:1] /*v[256:257]*/ op_sel:[1,1] op_sel_hi:[0,1]
	s_set_vgpr_msb 0                        ;  msbs: dst=0 src0=0 src1=0 src2=0
	v_pk_add_f32 v[112:113], v[112:113], v[118:119]
	v_pk_fma_f32 v[118:119], v[204:205], v[180:181], v[124:125] neg_lo:[0,0,1] neg_hi:[0,0,1]
	v_mov_b32_e32 v119, v117
	v_pk_fma_f32 v[116:117], v[206:207], v[182:183], v[114:115] op_sel_hi:[1,0,1]
	v_pk_fma_f32 v[114:115], v[206:207], v[182:183], v[114:115] neg_lo:[0,0,1] neg_hi:[0,0,1]
	v_pk_add_f32 v[112:113], v[112:113], v[122:123]
	s_delay_alu instid0(VALU_DEP_3)
	v_mov_b32_e32 v115, v117
	s_set_vgpr_msb 5                        ;  msbs: dst=0 src0=1 src1=1 src2=0
	v_pk_fma_f32 v[116:117], v[4:5] /*v[260:261]*/, v[0:1] /*v[256:257]*/, v[120:121] op_sel_hi:[1,0,1]
	s_set_vgpr_msb 0                        ;  msbs: dst=0 src0=0 src1=0 src2=0
	v_pk_add_f32 v[112:113], v[112:113], v[118:119]
	s_set_vgpr_msb 5                        ;  msbs: dst=0 src0=1 src1=1 src2=0
	v_pk_fma_f32 v[118:119], v[4:5] /*v[260:261]*/, v[0:1] /*v[256:257]*/, v[120:121] neg_lo:[0,0,1] neg_hi:[0,0,1]
	s_set_vgpr_msb 0                        ;  msbs: dst=0 src0=0 src1=0 src2=0
	v_mov_b32_e32 v119, v117
	v_pk_add_f32 v[112:113], v[112:113], v[114:115]
	s_delay_alu instid0(VALU_DEP_1) | instskip(SKIP_2) | instid1(VALU_DEP_1)
	v_pk_add_f32 v[112:113], v[112:113], v[118:119]
	s_wait_loadcnt 0x0
	s_set_vgpr_msb 1                        ;  msbs: dst=0 src0=1 src1=0 src2=0
	v_pk_add_f32 v[112:113], v[2:3] /*v[258:259]*/, v[112:113] neg_lo:[0,1] neg_hi:[0,1]
	scratch_store_b64 off, v[112:113], off offset:136
	s_wait_xcnt 0x0
	v_cmpx_lt_u32_e32 16, v0
	s_set_vgpr_msb 0                        ;  msbs: dst=0 src0=0 src1=0 src2=0
	s_cbranch_execz .LBB118_311
; %bb.310:
	scratch_load_b64 v[112:113], off, off offset:128
	v_mov_b64_e32 v[114:115], 0
	scratch_store_b64 off, v[114:115], off offset:128
	s_wait_loadcnt 0x0
	ds_store_b64 v1, v[112:113]
.LBB118_311:
	s_wait_xcnt 0x0
	s_or_b32 exec_lo, exec_lo, s0
	s_wait_storecnt_dscnt 0x0
	s_barrier_signal -1
	s_barrier_wait -1
	s_clause 0x14
	scratch_load_b128 v[112:115], off, off offset:136
	scratch_load_b128 v[116:119], off, off offset:152
	;; [unrolled: 1-line block ×19, first 2 shown]
	s_set_vgpr_msb 64                       ;  msbs: dst=1 src0=0 src1=0 src2=0
	scratch_load_b64 v[8:9] /*v[264:265]*/, off, off offset:128
	s_set_vgpr_msb 0                        ;  msbs: dst=0 src0=0 src1=0 src2=0
	ds_load_2addr_b64 v[188:191], v7 offset0:103 offset1:104
	ds_load_2addr_b64 v[192:195], v7 offset0:105 offset1:106
	;; [unrolled: 1-line block ×17, first 2 shown]
	s_set_vgpr_msb 64                       ;  msbs: dst=1 src0=0 src1=0 src2=0
	ds_load_2addr_b64 v[0:3] /*v[256:259]*/, v7 offset0:97 offset1:98
	ds_load_2addr_b64 v[4:7] /*v[260:263]*/, v7 offset0:99 offset1:100
	s_mov_b32 s0, exec_lo
	s_wait_dscnt 0x12
	v_dual_mov_b32 v10 /*v266*/, v191 :: v_dual_mov_b32 v11 /*v267*/, v190
	s_wait_dscnt 0x11
	v_dual_mov_b32 v12 /*v268*/, v195 :: v_dual_mov_b32 v13 /*v269*/, v194
	;; [unrolled: 2-line block ×4, first 2 shown]
	s_wait_loadcnt_dscnt 0x130d
	s_set_vgpr_msb 0                        ;  msbs: dst=0 src0=0 src1=0 src2=0
	v_dual_mul_f32 v7, v208, v113 :: v_dual_mul_f32 v9, v210, v115
	v_dual_mul_f32 v63, v209, v113 :: v_dual_mul_f32 v65, v211, v115
	s_wait_loadcnt_dscnt 0x120c
	v_dual_mul_f32 v11, v212, v117 :: v_dual_mul_f32 v13, v214, v119
	s_delay_alu instid0(VALU_DEP_3) | instskip(SKIP_3) | instid1(VALU_DEP_3)
	v_dual_fmac_f32 v7, v209, v112 :: v_dual_fmac_f32 v9, v211, v114
	s_wait_loadcnt_dscnt 0x100a
	v_dual_fma_f32 v63, v208, v112, -v63 :: v_dual_mul_f32 v75, v221, v125
	v_dual_mul_f32 v67, v213, v117 :: v_dual_mul_f32 v69, v215, v119
	v_dual_fma_f32 v65, v210, v114, -v65 :: v_dual_add_f32 v7, 0, v7
	s_delay_alu instid0(VALU_DEP_3) | instskip(SKIP_1) | instid1(VALU_DEP_4)
	v_dual_add_f32 v63, 0, v63 :: v_dual_fmac_f32 v11, v213, v116
	v_dual_mul_f32 v15, v216, v121 :: v_dual_mul_f32 v17, v218, v123
	v_dual_mul_f32 v77, v223, v127 :: v_dual_fma_f32 v67, v212, v116, -v67
	s_delay_alu instid0(VALU_DEP_4) | instskip(NEXT) | instid1(VALU_DEP_3)
	v_add_f32_e32 v7, v7, v9
	v_dual_add_f32 v9, v63, v65 :: v_dual_fmac_f32 v15, v217, v120
	v_dual_mul_f32 v71, v217, v121 :: v_dual_mul_f32 v73, v219, v123
	s_wait_loadcnt_dscnt 0xf09
	v_dual_mul_f32 v63, v225, v129 :: v_dual_fmac_f32 v13, v215, v118
	v_dual_fma_f32 v65, v214, v118, -v69 :: v_dual_add_f32 v7, v7, v11
	s_delay_alu instid0(VALU_DEP_3) | instskip(SKIP_1) | instid1(VALU_DEP_3)
	v_dual_add_f32 v9, v9, v67 :: v_dual_fma_f32 v67, v216, v120, -v71
	v_dual_mul_f32 v19, v220, v125 :: v_dual_mul_f32 v21, v222, v127
	v_add_f32_e32 v7, v7, v13
	s_delay_alu instid0(VALU_DEP_3) | instskip(SKIP_2) | instid1(VALU_DEP_3)
	v_dual_mul_f32 v11, v227, v131 :: v_dual_add_f32 v9, v9, v65
	s_wait_loadcnt_dscnt 0xe08
	v_dual_mul_f32 v13, v229, v133 :: v_dual_fmac_f32 v17, v219, v122
	v_dual_fma_f32 v65, v218, v122, -v73 :: v_dual_add_f32 v7, v7, v15
	s_delay_alu instid0(VALU_DEP_3) | instskip(SKIP_1) | instid1(VALU_DEP_3)
	v_dual_add_f32 v9, v9, v67 :: v_dual_fma_f32 v67, v220, v124, -v75
	v_dual_mul_f32 v15, v231, v135 :: v_dual_fmac_f32 v19, v221, v124
	v_add_f32_e32 v7, v7, v17
	s_delay_alu instid0(VALU_DEP_3)
	v_dual_add_f32 v9, v9, v65 :: v_dual_fmac_f32 v21, v223, v126
	v_dual_mul_f32 v23, v224, v129 :: v_dual_mul_f32 v25, v226, v131
	s_wait_loadcnt_dscnt 0xd07
	v_dual_fma_f32 v65, v222, v126, -v77 :: v_dual_mul_f32 v17, v233, v137
	v_add_f32_e32 v7, v7, v19
	v_dual_add_f32 v9, v9, v67 :: v_dual_fma_f32 v63, v224, v128, -v63
	v_dual_mul_f32 v19, v235, v139 :: v_dual_fmac_f32 v23, v225, v128
	s_delay_alu instid0(VALU_DEP_3) | instskip(NEXT) | instid1(VALU_DEP_3)
	v_dual_add_f32 v7, v7, v21 :: v_dual_fma_f32 v11, v226, v130, -v11
	v_dual_add_f32 v9, v9, v65 :: v_dual_fmac_f32 v25, v227, v130
	v_dual_mul_f32 v27, v228, v133 :: v_dual_mul_f32 v29, v230, v135
	s_wait_loadcnt_dscnt 0xc06
	s_delay_alu instid0(VALU_DEP_3) | instskip(NEXT) | instid1(VALU_DEP_3)
	v_dual_mul_f32 v21, v237, v141 :: v_dual_add_f32 v7, v7, v23
	v_dual_add_f32 v9, v9, v63 :: v_dual_fma_f32 v13, v228, v132, -v13
	s_delay_alu instid0(VALU_DEP_3) | instskip(NEXT) | instid1(VALU_DEP_2)
	v_dual_mul_f32 v23, v239, v143 :: v_dual_fmac_f32 v27, v229, v132
	v_dual_add_f32 v7, v7, v25 :: v_dual_add_f32 v9, v9, v11
	v_dual_mul_f32 v31, v232, v137 :: v_dual_mul_f32 v33, v234, v139
	s_wait_loadcnt_dscnt 0xb05
	v_dual_mul_f32 v11, v241, v145 :: v_dual_fmac_f32 v29, v231, v134
	s_delay_alu instid0(VALU_DEP_3) | instskip(SKIP_2) | instid1(VALU_DEP_2)
	v_dual_fma_f32 v15, v230, v134, -v15 :: v_dual_add_f32 v7, v7, v27
	v_dual_add_f32 v9, v9, v13 :: v_dual_mul_f32 v13, v243, v147
	v_dual_fmac_f32 v31, v233, v136 :: v_dual_fma_f32 v17, v232, v136, -v17
	v_dual_add_f32 v7, v7, v29 :: v_dual_add_f32 v9, v9, v15
	v_dual_mul_f32 v35, v236, v141 :: v_dual_mul_f32 v37, v238, v143
	s_wait_loadcnt_dscnt 0xa04
	v_dual_mul_f32 v15, v245, v149 :: v_dual_fmac_f32 v33, v235, v138
	s_delay_alu instid0(VALU_DEP_3) | instskip(SKIP_2) | instid1(VALU_DEP_2)
	v_dual_fma_f32 v19, v234, v138, -v19 :: v_dual_add_f32 v7, v7, v31
	v_dual_add_f32 v9, v9, v17 :: v_dual_mul_f32 v17, v247, v151
	v_dual_fmac_f32 v35, v237, v140 :: v_dual_fma_f32 v21, v236, v140, -v21
	v_dual_add_f32 v7, v7, v33 :: v_dual_add_f32 v9, v9, v19
	v_dual_mul_f32 v39, v240, v145 :: v_dual_mul_f32 v41, v242, v147
	s_wait_loadcnt_dscnt 0x903
	v_dual_mul_f32 v19, v249, v153 :: v_dual_fmac_f32 v37, v239, v142
	s_delay_alu instid0(VALU_DEP_3) | instskip(SKIP_2) | instid1(VALU_DEP_3)
	v_dual_fma_f32 v23, v238, v142, -v23 :: v_dual_add_f32 v7, v7, v35
	v_dual_add_f32 v9, v9, v21 :: v_dual_mul_f32 v21, v251, v155
	v_fmac_f32_e32 v39, v241, v144
	v_dual_fma_f32 v11, v240, v144, -v11 :: v_dual_add_f32 v7, v7, v37
	s_delay_alu instid0(VALU_DEP_3)
	v_dual_add_f32 v9, v9, v23 :: v_dual_mul_f32 v43, v244, v149
	s_wait_loadcnt_dscnt 0x802
	v_dual_mul_f32 v45, v246, v151 :: v_dual_mul_f32 v23, v253, v157
	v_fmac_f32_e32 v41, v243, v146
	v_dual_fma_f32 v13, v242, v146, -v13 :: v_dual_add_f32 v7, v7, v39
	v_dual_add_f32 v9, v9, v11 :: v_dual_fma_f32 v15, v244, v148, -v15
	v_dual_mul_f32 v11, v255, v159 :: v_dual_fmac_f32 v43, v245, v148
	s_delay_alu instid0(VALU_DEP_3) | instskip(NEXT) | instid1(VALU_DEP_3)
	v_dual_add_f32 v7, v7, v41 :: v_dual_fma_f32 v17, v246, v150, -v17
	v_dual_add_f32 v9, v9, v13 :: v_dual_fmac_f32 v45, v247, v150
	v_dual_mul_f32 v47, v248, v153 :: v_dual_mul_f32 v49, v250, v155
	s_delay_alu instid0(VALU_DEP_3) | instskip(NEXT) | instid1(VALU_DEP_3)
	v_add_f32_e32 v7, v7, v43
	v_dual_add_f32 v9, v9, v15 :: v_dual_fma_f32 v19, v248, v152, -v19
	s_delay_alu instid0(VALU_DEP_3) | instskip(NEXT) | instid1(VALU_DEP_3)
	v_dual_fmac_f32 v47, v249, v152 :: v_dual_mul_f32 v51, v252, v157
	v_dual_mul_f32 v53, v254, v159 :: v_dual_add_f32 v7, v7, v45
	s_delay_alu instid0(VALU_DEP_3) | instskip(NEXT) | instid1(VALU_DEP_3)
	v_dual_fma_f32 v21, v250, v154, -v21 :: v_dual_add_f32 v9, v9, v17
	v_dual_fmac_f32 v49, v251, v154 :: v_dual_fmac_f32 v51, v253, v156
	s_delay_alu instid0(VALU_DEP_3) | instskip(NEXT) | instid1(VALU_DEP_3)
	v_dual_add_f32 v7, v7, v47 :: v_dual_fma_f32 v23, v252, v156, -v23
	v_add_f32_e32 v9, v9, v19
	s_wait_loadcnt_dscnt 0x701
	s_set_vgpr_msb 1                        ;  msbs: dst=0 src0=1 src1=0 src2=0
	v_dual_mul_f32 v55, v0 /*v256*/, v161 :: v_dual_mul_f32 v57, v2 /*v258*/, v163
	s_set_vgpr_msb 0                        ;  msbs: dst=0 src0=0 src1=0 src2=0
	v_dual_add_f32 v7, v7, v49 :: v_dual_fma_f32 v11, v254, v158, -v11
	v_dual_add_f32 v9, v9, v21 :: v_dual_fmac_f32 v53, v255, v158
	s_set_vgpr_msb 1                        ;  msbs: dst=0 src0=1 src1=0 src2=0
	v_dual_mul_f32 v13, v1 /*v257*/, v161 :: v_dual_mul_f32 v15, v3 /*v259*/, v163
	s_wait_loadcnt 0x5
	s_set_vgpr_msb 0                        ;  msbs: dst=0 src0=0 src1=0 src2=0
	v_dual_mul_f32 v21, v197, v169 :: v_dual_add_f32 v7, v7, v51
	v_add_f32_e32 v9, v9, v23
	s_set_vgpr_msb 1                        ;  msbs: dst=0 src0=1 src1=0 src2=0
	v_dual_fmac_f32 v55, v1 /*v257*/, v160 :: v_dual_fma_f32 v13, v0 /*v256*/, v160, -v13
	s_wait_dscnt 0x0
	v_dual_mul_f32 v59, v4 /*v260*/, v165 :: v_dual_mul_f32 v61, v6 /*v262*/, v167
	s_set_vgpr_msb 0                        ;  msbs: dst=0 src0=0 src1=0 src2=0
	v_dual_add_f32 v7, v7, v53 :: v_dual_add_f32 v9, v9, v11
	s_wait_loadcnt 0x4
	v_mov_b32_e32 v114, v175
	s_set_vgpr_msb 1                        ;  msbs: dst=0 src0=1 src1=0 src2=0
	v_dual_mul_f32 v17, v5 /*v261*/, v165 :: v_dual_mul_f32 v19, v7 /*v263*/, v167
	s_set_vgpr_msb 0                        ;  msbs: dst=0 src0=0 src1=0 src2=0
	v_dual_mul_f32 v23, v199, v171 :: v_dual_add_f32 v9, v9, v13
	s_set_vgpr_msb 1                        ;  msbs: dst=0 src0=1 src1=0 src2=0
	v_dual_fmac_f32 v57, v3 /*v259*/, v162 :: v_dual_fma_f32 v11, v2 /*v258*/, v162, -v15
	v_dual_fmac_f32 v59, v5 /*v261*/, v164 :: v_dual_fma_f32 v13, v4 /*v260*/, v164, -v17
	s_wait_loadcnt 0x3
	s_set_vgpr_msb 0                        ;  msbs: dst=0 src0=0 src1=0 src2=0
	v_mov_b32_e32 v118, v179
	s_set_vgpr_msb 1                        ;  msbs: dst=0 src0=1 src1=0 src2=0
	v_fmac_f32_e32 v61, v7 /*v263*/, v166
	s_set_vgpr_msb 0                        ;  msbs: dst=0 src0=0 src1=0 src2=0
	v_add_f32_e32 v9, v9, v11
	v_add_f32_e32 v7, v7, v55
	s_set_vgpr_msb 1                        ;  msbs: dst=0 src0=1 src1=0 src2=0
	v_fma_f32 v11, v6 /*v262*/, v166, -v19
	s_set_vgpr_msb 64                       ;  msbs: dst=1 src0=0 src1=0 src2=0
	v_dual_mul_f32 v19 /*v275*/, v196, v169 :: v_dual_mul_f32 v21 /*v277*/, v198, v171
	s_set_vgpr_msb 0                        ;  msbs: dst=0 src0=0 src1=0 src2=0
	v_add_f32_e32 v9, v9, v13
	v_add_f32_e32 v7, v7, v57
	v_pk_mul_f32 v[112:113], v[188:189], v[172:173] op_sel:[1,1] op_sel_hi:[0,1]
	s_set_vgpr_msb 64                       ;  msbs: dst=1 src0=0 src1=0 src2=0
	v_dual_fmac_f32 v19 /*v275*/, v197, v168 :: v_dual_fmac_f32 v21 /*v277*/, v199, v170
	s_set_vgpr_msb 0                        ;  msbs: dst=0 src0=0 src1=0 src2=0
	v_add_f32_e32 v120, v9, v11
	v_add_f32_e32 v7, v7, v59
	s_set_vgpr_msb 64                       ;  msbs: dst=1 src0=0 src1=0 src2=0
	v_dual_fma_f32 v18 /*v274*/, v196, v168, -v21 :: v_dual_fma_f32 v20 /*v276*/, v198, v170, -v23
	s_set_vgpr_msb 0                        ;  msbs: dst=0 src0=0 src1=0 src2=0
	v_pk_fma_f32 v[122:123], v[188:189], v[172:173], v[112:113] op_sel_hi:[1,0,1]
	s_set_vgpr_msb 1                        ;  msbs: dst=0 src0=1 src1=0 src2=0
	v_pk_mul_f32 v[114:115], v[10:11] /*v[266:267]*/, v[114:115] op_sel_hi:[1,0]
	s_set_vgpr_msb 0                        ;  msbs: dst=0 src0=0 src1=0 src2=0
	v_add_f32_e32 v121, v7, v61
	v_pk_fma_f32 v[112:113], v[188:189], v[172:173], v[112:113] neg_lo:[0,0,1] neg_hi:[0,0,1]
	v_pk_mul_f32 v[116:117], v[192:193], v[176:177] op_sel:[1,1] op_sel_hi:[0,1]
	v_mov_b32_e32 v113, v123
	v_pk_fma_f32 v[122:123], v[190:191], v[174:175], v[114:115] op_sel_hi:[1,0,1]
	s_set_vgpr_msb 4                        ;  msbs: dst=0 src0=0 src1=1 src2=0
	v_pk_add_f32 v[120:121], v[120:121], v[18:19] /*v[274:275]*/
	s_set_vgpr_msb 0                        ;  msbs: dst=0 src0=0 src1=0 src2=0
	v_pk_fma_f32 v[114:115], v[190:191], v[174:175], v[114:115] neg_lo:[0,0,1] neg_hi:[0,0,1]
	v_pk_fma_f32 v[126:127], v[192:193], v[176:177], v[116:117] op_sel_hi:[1,0,1]
	s_set_vgpr_msb 1                        ;  msbs: dst=0 src0=1 src1=0 src2=0
	v_pk_mul_f32 v[118:119], v[12:13] /*v[268:269]*/, v[118:119] op_sel_hi:[1,0]
	s_set_vgpr_msb 4                        ;  msbs: dst=0 src0=0 src1=1 src2=0
	v_mov_b32_e32 v115, v123
	v_pk_add_f32 v[120:121], v[120:121], v[20:21] /*v[276:277]*/
	s_wait_loadcnt 0x2
	s_set_vgpr_msb 0                        ;  msbs: dst=0 src0=0 src1=0 src2=0
	v_pk_mul_f32 v[124:125], v[200:201], v[180:181] op_sel:[1,1] op_sel_hi:[0,1]
	v_pk_fma_f32 v[116:117], v[192:193], v[176:177], v[116:117] neg_lo:[0,0,1] neg_hi:[0,0,1]
	v_mov_b32_e32 v117, v127
	v_pk_fma_f32 v[122:123], v[194:195], v[178:179], v[118:119] op_sel_hi:[1,0,1]
	v_pk_add_f32 v[112:113], v[120:121], v[112:113]
	v_mov_b32_e32 v120, v183
	v_pk_fma_f32 v[118:119], v[194:195], v[178:179], v[118:119] neg_lo:[0,0,1] neg_hi:[0,0,1]
	s_delay_alu instid0(VALU_DEP_3)
	v_pk_add_f32 v[112:113], v[112:113], v[114:115]
	v_pk_fma_f32 v[114:115], v[200:201], v[180:181], v[124:125] op_sel_hi:[1,0,1]
	s_set_vgpr_msb 1                        ;  msbs: dst=0 src0=1 src1=0 src2=0
	v_pk_mul_f32 v[120:121], v[14:15] /*v[270:271]*/, v[120:121] op_sel_hi:[1,0]
	s_set_vgpr_msb 0                        ;  msbs: dst=0 src0=0 src1=0 src2=0
	v_mov_b32_e32 v119, v123
	v_pk_fma_f32 v[122:123], v[200:201], v[180:181], v[124:125] neg_lo:[0,0,1] neg_hi:[0,0,1]
	v_pk_add_f32 v[112:113], v[112:113], v[116:117]
	v_mov_b32_e32 v123, v115
	v_pk_fma_f32 v[114:115], v[202:203], v[182:183], v[120:121] op_sel_hi:[1,0,1]
	s_wait_loadcnt 0x1
	v_pk_mul_f32 v[116:117], v[204:205], v[184:185] op_sel:[1,1] op_sel_hi:[0,1]
	v_mov_b32_e32 v114, v187
	v_pk_add_f32 v[112:113], v[112:113], v[118:119]
	v_pk_fma_f32 v[120:121], v[202:203], v[182:183], v[120:121] neg_lo:[0,0,1] neg_hi:[0,0,1]
	v_mov_b32_e32 v121, v115
	v_pk_fma_f32 v[118:119], v[204:205], v[184:185], v[116:117] op_sel_hi:[1,0,1]
	s_set_vgpr_msb 1                        ;  msbs: dst=0 src0=1 src1=0 src2=0
	v_pk_mul_f32 v[114:115], v[16:17] /*v[272:273]*/, v[114:115] op_sel_hi:[1,0]
	s_set_vgpr_msb 0                        ;  msbs: dst=0 src0=0 src1=0 src2=0
	v_pk_add_f32 v[112:113], v[112:113], v[122:123]
	v_pk_fma_f32 v[116:117], v[204:205], v[184:185], v[116:117] neg_lo:[0,0,1] neg_hi:[0,0,1]
	v_mov_b32_e32 v117, v119
	v_pk_fma_f32 v[118:119], v[206:207], v[186:187], v[114:115] op_sel_hi:[1,0,1]
	s_delay_alu instid0(VALU_DEP_4) | instskip(SKIP_1) | instid1(VALU_DEP_3)
	v_pk_add_f32 v[112:113], v[112:113], v[120:121]
	v_pk_fma_f32 v[114:115], v[206:207], v[186:187], v[114:115] neg_lo:[0,0,1] neg_hi:[0,0,1]
	v_mov_b32_e32 v115, v119
	s_delay_alu instid0(VALU_DEP_3) | instskip(NEXT) | instid1(VALU_DEP_1)
	v_pk_add_f32 v[112:113], v[112:113], v[116:117]
	v_pk_add_f32 v[112:113], v[112:113], v[114:115]
	s_wait_loadcnt 0x0
	s_set_vgpr_msb 1                        ;  msbs: dst=0 src0=1 src1=0 src2=0
	s_delay_alu instid0(VALU_DEP_1)
	v_pk_add_f32 v[112:113], v[8:9] /*v[264:265]*/, v[112:113] neg_lo:[0,1] neg_hi:[0,1]
	scratch_store_b64 off, v[112:113], off offset:128
	s_wait_xcnt 0x0
	v_cmpx_lt_u32_e32 15, v0
	s_set_vgpr_msb 0                        ;  msbs: dst=0 src0=0 src1=0 src2=0
	s_cbranch_execz .LBB118_313
; %bb.312:
	scratch_load_b64 v[112:113], off, off offset:120
	v_mov_b64_e32 v[114:115], 0
	scratch_store_b64 off, v[114:115], off offset:120
	s_wait_loadcnt 0x0
	ds_store_b64 v1, v[112:113]
.LBB118_313:
	s_wait_xcnt 0x0
	s_or_b32 exec_lo, exec_lo, s0
	v_mov_b32_e32 v7, 0
	s_wait_storecnt_dscnt 0x0
	s_barrier_signal -1
	s_barrier_wait -1
	ds_load_b128 v[112:115], v7 offset:576
	ds_load_b128 v[116:119], v7 offset:592
	;; [unrolled: 1-line block ×4, first 2 shown]
	s_clause 0xf
	scratch_load_b128 v[128:131], off, off offset:128
	scratch_load_b128 v[132:135], off, off offset:144
	;; [unrolled: 1-line block ×16, first 2 shown]
	s_mov_b32 s0, exec_lo
	s_wait_loadcnt_dscnt 0xf03
	v_mul_f32_e32 v9, v112, v129
	ds_load_b128 v[224:227], v7 offset:800
	ds_load_b128 v[232:235], v7 offset:816
	;; [unrolled: 1-line block ×4, first 2 shown]
	v_dual_fmac_f32 v9, v113, v128 :: v_dual_mul_f32 v11, v114, v131
	ds_load_b128 v[160:163], v7 offset:672
	ds_load_b128 v[168:171], v7 offset:688
	;; [unrolled: 1-line block ×4, first 2 shown]
	v_dual_add_f32 v9, 0, v9 :: v_dual_fmac_f32 v11, v115, v130
	ds_load_b128 v[192:195], v7 offset:736
	ds_load_b128 v[200:203], v7 offset:752
	;; [unrolled: 1-line block ×4, first 2 shown]
	s_wait_loadcnt_dscnt 0xe0e
	v_dual_add_f32 v9, v9, v11 :: v_dual_mul_f32 v11, v116, v133
	s_clause 0x4
	scratch_load_b128 v[240:243], off, off offset:384
	scratch_load_b128 v[244:247], off, off offset:400
	;; [unrolled: 1-line block ×3, first 2 shown]
	s_set_vgpr_msb 64                       ;  msbs: dst=1 src0=0 src1=0 src2=0
	scratch_load_b64 v[2:3] /*v[258:259]*/, off, off offset:432
	s_wait_loadcnt_dscnt 0x110b
	s_set_vgpr_msb 0                        ;  msbs: dst=0 src0=0 src1=0 src2=0
	v_dual_mul_f32 v255, v226, v231 :: v_dual_fmac_f32 v11, v117, v132
	s_delay_alu instid0(VALU_DEP_1) | instskip(SKIP_1) | instid1(VALU_DEP_1)
	v_dual_fmac_f32 v255, v227, v230 :: v_dual_add_f32 v9, v9, v11
	v_mul_f32_e32 v11, v118, v135
	v_fmac_f32_e32 v11, v119, v134
	s_wait_loadcnt 0xf
	s_delay_alu instid0(VALU_DEP_1) | instskip(NEXT) | instid1(VALU_DEP_1)
	v_dual_add_f32 v9, v9, v11 :: v_dual_mul_f32 v11, v120, v137
	v_fmac_f32_e32 v11, v121, v136
	s_delay_alu instid0(VALU_DEP_1) | instskip(SKIP_1) | instid1(VALU_DEP_1)
	v_add_f32_e32 v9, v9, v11
	v_mul_f32_e32 v11, v122, v139
	v_fmac_f32_e32 v11, v123, v138
	s_wait_loadcnt 0xe
	s_delay_alu instid0(VALU_DEP_1) | instskip(NEXT) | instid1(VALU_DEP_1)
	v_dual_add_f32 v9, v9, v11 :: v_dual_mul_f32 v11, v124, v141
	v_fmac_f32_e32 v11, v125, v140
	s_delay_alu instid0(VALU_DEP_1) | instskip(SKIP_1) | instid1(VALU_DEP_1)
	v_add_f32_e32 v9, v9, v11
	v_mul_f32_e32 v11, v126, v143
	v_fmac_f32_e32 v11, v127, v142
	s_wait_loadcnt_dscnt 0xd09
	s_delay_alu instid0(VALU_DEP_1) | instskip(NEXT) | instid1(VALU_DEP_1)
	v_dual_add_f32 v9, v9, v11 :: v_dual_mul_f32 v11, v144, v149
	v_fmac_f32_e32 v11, v145, v148
	s_delay_alu instid0(VALU_DEP_1) | instskip(SKIP_1) | instid1(VALU_DEP_1)
	v_add_f32_e32 v9, v9, v11
	v_mul_f32_e32 v11, v146, v151
	v_fmac_f32_e32 v11, v147, v150
	s_wait_loadcnt_dscnt 0xc08
	;; [unrolled: 8-line block ×10, first 2 shown]
	s_delay_alu instid0(VALU_DEP_1) | instskip(NEXT) | instid1(VALU_DEP_1)
	v_dual_add_f32 v9, v9, v11 :: v_dual_mul_f32 v11, v216, v221
	v_fmac_f32_e32 v11, v217, v220
	s_delay_alu instid0(VALU_DEP_1) | instskip(SKIP_1) | instid1(VALU_DEP_1)
	v_add_f32_e32 v9, v9, v11
	v_mul_f32_e32 v11, v218, v223
	v_fmac_f32_e32 v11, v219, v222
	s_delay_alu instid0(VALU_DEP_1) | instskip(NEXT) | instid1(VALU_DEP_1)
	v_dual_add_f32 v9, v9, v11 :: v_dual_mul_f32 v11, v224, v229
	v_fmac_f32_e32 v11, v225, v228
	s_delay_alu instid0(VALU_DEP_1) | instskip(SKIP_1) | instid1(VALU_DEP_1)
	v_add_f32_e32 v253, v9, v11
	v_dual_mul_f32 v9, v113, v129 :: v_dual_mul_f32 v11, v115, v131
	v_dual_mov_b32 v129, v234 :: v_dual_fma_f32 v9, v112, v128, -v9
	s_delay_alu instid0(VALU_DEP_2) | instskip(NEXT) | instid1(VALU_DEP_2)
	v_dual_fma_f32 v11, v114, v130, -v11 :: v_dual_mov_b32 v128, v235
	v_dual_mov_b32 v130, v239 :: v_dual_add_f32 v9, 0, v9
	s_delay_alu instid0(VALU_DEP_1) | instskip(NEXT) | instid1(VALU_DEP_2)
	v_pk_mul_f32 v[128:129], v[128:129], v[130:131] op_sel_hi:[1,0]
	v_add_f32_e32 v9, v9, v11
	v_mul_f32_e32 v11, v117, v133
	s_delay_alu instid0(VALU_DEP_3) | instskip(SKIP_1) | instid1(VALU_DEP_1)
	v_pk_fma_f32 v[130:131], v[234:235], v[238:239], v[128:129] neg_lo:[0,0,1] neg_hi:[0,0,1]
	v_pk_fma_f32 v[128:129], v[234:235], v[238:239], v[128:129] op_sel_hi:[1,0,1]
	v_dual_fma_f32 v11, v116, v132, -v11 :: v_dual_mov_b32 v131, v129
	s_delay_alu instid0(VALU_DEP_1) | instskip(SKIP_1) | instid1(VALU_DEP_1)
	v_add_f32_e32 v9, v9, v11
	v_mul_f32_e32 v11, v119, v135
	v_fma_f32 v11, v118, v134, -v11
	s_delay_alu instid0(VALU_DEP_1) | instskip(SKIP_1) | instid1(VALU_DEP_1)
	v_add_f32_e32 v9, v9, v11
	v_mul_f32_e32 v11, v121, v137
	v_fma_f32 v11, v120, v136, -v11
	;; [unrolled: 4-line block ×4, first 2 shown]
	ds_load_b128 v[112:115], v7 offset:832
	ds_load_b128 v[116:119], v7 offset:848
	ds_load_b128 v[120:123], v7 offset:864
	ds_load_b64 v[124:125], v7 offset:880
	v_add_f32_e32 v9, v9, v11
	v_mul_f32_e32 v11, v127, v143
	s_delay_alu instid0(VALU_DEP_1) | instskip(NEXT) | instid1(VALU_DEP_1)
	v_fma_f32 v11, v126, v142, -v11
	v_add_f32_e32 v9, v9, v11
	v_mul_f32_e32 v11, v145, v149
	s_wait_loadcnt_dscnt 0x303
	v_pk_mul_f32 v[128:129], v[112:113], v[240:241] op_sel:[1,1] op_sel_hi:[0,1]
	s_delay_alu instid0(VALU_DEP_2) | instskip(NEXT) | instid1(VALU_DEP_1)
	v_fma_f32 v11, v144, v148, -v11
	v_add_f32_e32 v9, v9, v11
	v_mul_f32_e32 v11, v147, v151
	s_delay_alu instid0(VALU_DEP_1) | instskip(NEXT) | instid1(VALU_DEP_1)
	v_fma_f32 v11, v146, v150, -v11
	v_add_f32_e32 v9, v9, v11
	v_mul_f32_e32 v11, v153, v157
	s_delay_alu instid0(VALU_DEP_1) | instskip(NEXT) | instid1(VALU_DEP_1)
	;; [unrolled: 4-line block ×20, first 2 shown]
	v_fma_f32 v11, v224, v228, -v11
	v_add_f32_e32 v252, v9, v11
	v_mul_f32_e32 v9, v227, v231
	s_delay_alu instid0(VALU_DEP_1) | instskip(SKIP_3) | instid1(VALU_DEP_2)
	v_dual_fma_f32 v254, v226, v230, -v9 :: v_dual_mul_f32 v9, v233, v237
	s_set_vgpr_msb 64                       ;  msbs: dst=1 src0=0 src1=0 src2=0
	v_mul_f32_e32 v1 /*v257*/, v232, v237
	s_set_vgpr_msb 0                        ;  msbs: dst=0 src0=0 src1=0 src2=0
	v_pk_add_f32 v[126:127], v[252:253], v[254:255]
	s_set_vgpr_msb 64                       ;  msbs: dst=1 src0=0 src1=0 src2=0
	v_fma_f32 v0 /*v256*/, v232, v236, -v9
	v_fmac_f32_e32 v1 /*v257*/, v233, v236
	s_set_vgpr_msb 4                        ;  msbs: dst=0 src0=0 src1=1 src2=0
	s_delay_alu instid0(VALU_DEP_1) | instskip(SKIP_1) | instid1(VALU_DEP_1)
	v_pk_add_f32 v[126:127], v[126:127], v[0:1] /*v[256:257]*/
	s_set_vgpr_msb 0                        ;  msbs: dst=0 src0=0 src1=0 src2=0
	v_pk_add_f32 v[126:127], v[126:127], v[130:131]
	v_pk_fma_f32 v[130:131], v[112:113], v[240:241], v[128:129] neg_lo:[0,0,1] neg_hi:[0,0,1]
	v_pk_fma_f32 v[112:113], v[112:113], v[240:241], v[128:129] op_sel_hi:[1,0,1]
	s_delay_alu instid0(VALU_DEP_1) | instskip(NEXT) | instid1(VALU_DEP_1)
	v_dual_mov_b32 v128, v243 :: v_dual_mov_b32 v131, v113
	v_pk_add_f32 v[112:113], v[126:127], v[130:131]
	v_dual_mov_b32 v126, v115 :: v_dual_mov_b32 v127, v114
	s_delay_alu instid0(VALU_DEP_1) | instskip(NEXT) | instid1(VALU_DEP_1)
	v_pk_mul_f32 v[126:127], v[126:127], v[128:129] op_sel_hi:[1,0]
	v_pk_fma_f32 v[128:129], v[114:115], v[242:243], v[126:127] neg_lo:[0,0,1] neg_hi:[0,0,1]
	v_pk_fma_f32 v[114:115], v[114:115], v[242:243], v[126:127] op_sel_hi:[1,0,1]
	s_delay_alu instid0(VALU_DEP_1) | instskip(SKIP_2) | instid1(VALU_DEP_2)
	v_mov_b32_e32 v129, v115
	s_wait_loadcnt_dscnt 0x202
	v_pk_mul_f32 v[114:115], v[116:117], v[244:245] op_sel:[1,1] op_sel_hi:[0,1]
	v_pk_add_f32 v[112:113], v[112:113], v[128:129]
	s_delay_alu instid0(VALU_DEP_2) | instskip(SKIP_2) | instid1(VALU_DEP_2)
	v_pk_fma_f32 v[126:127], v[116:117], v[244:245], v[114:115] neg_lo:[0,0,1] neg_hi:[0,0,1]
	v_pk_fma_f32 v[114:115], v[116:117], v[244:245], v[114:115] op_sel_hi:[1,0,1]
	v_dual_mov_b32 v114, v119 :: v_dual_mov_b32 v116, v247
	v_dual_mov_b32 v127, v115 :: v_dual_mov_b32 v115, v118
	s_delay_alu instid0(VALU_DEP_1) | instskip(NEXT) | instid1(VALU_DEP_2)
	v_pk_add_f32 v[112:113], v[112:113], v[126:127]
	v_pk_mul_f32 v[114:115], v[114:115], v[116:117] op_sel_hi:[1,0]
	s_delay_alu instid0(VALU_DEP_1) | instskip(SKIP_1) | instid1(VALU_DEP_1)
	v_pk_fma_f32 v[116:117], v[118:119], v[246:247], v[114:115] neg_lo:[0,0,1] neg_hi:[0,0,1]
	v_pk_fma_f32 v[114:115], v[118:119], v[246:247], v[114:115] op_sel_hi:[1,0,1]
	v_mov_b32_e32 v117, v115
	s_wait_loadcnt_dscnt 0x101
	v_pk_mul_f32 v[114:115], v[120:121], v[248:249] op_sel:[1,1] op_sel_hi:[0,1]
	s_delay_alu instid0(VALU_DEP_2) | instskip(NEXT) | instid1(VALU_DEP_2)
	v_pk_add_f32 v[112:113], v[112:113], v[116:117]
	v_pk_fma_f32 v[116:117], v[120:121], v[248:249], v[114:115] neg_lo:[0,0,1] neg_hi:[0,0,1]
	v_pk_fma_f32 v[114:115], v[120:121], v[248:249], v[114:115] op_sel_hi:[1,0,1]
	s_delay_alu instid0(VALU_DEP_1) | instskip(SKIP_1) | instid1(VALU_DEP_2)
	v_dual_mov_b32 v114, v123 :: v_dual_mov_b32 v117, v115
	v_mov_b32_e32 v115, v122
	v_pk_add_f32 v[112:113], v[112:113], v[116:117]
	v_mov_b32_e32 v116, v251
	s_delay_alu instid0(VALU_DEP_1) | instskip(NEXT) | instid1(VALU_DEP_1)
	v_pk_mul_f32 v[114:115], v[114:115], v[116:117] op_sel_hi:[1,0]
	v_pk_fma_f32 v[116:117], v[122:123], v[250:251], v[114:115] neg_lo:[0,0,1] neg_hi:[0,0,1]
	v_pk_fma_f32 v[114:115], v[122:123], v[250:251], v[114:115] op_sel_hi:[1,0,1]
	s_delay_alu instid0(VALU_DEP_1)
	v_mov_b32_e32 v117, v115
	s_wait_loadcnt_dscnt 0x0
	s_set_vgpr_msb 4                        ;  msbs: dst=0 src0=0 src1=1 src2=0
	v_pk_mul_f32 v[114:115], v[124:125], v[2:3] /*v[258:259]*/ op_sel:[1,1] op_sel_hi:[0,1]
	s_set_vgpr_msb 0                        ;  msbs: dst=0 src0=0 src1=0 src2=0
	v_pk_add_f32 v[112:113], v[112:113], v[116:117]
	s_set_vgpr_msb 4                        ;  msbs: dst=0 src0=0 src1=1 src2=0
	s_delay_alu instid0(VALU_DEP_2) | instskip(SKIP_1) | instid1(VALU_DEP_1)
	v_pk_fma_f32 v[116:117], v[124:125], v[2:3] /*v[258:259]*/, v[114:115] neg_lo:[0,0,1] neg_hi:[0,0,1]
	v_pk_fma_f32 v[114:115], v[124:125], v[2:3] /*v[258:259]*/, v[114:115] op_sel_hi:[1,0,1]
	v_mov_b32_e32 v117, v115
	scratch_load_b64 v[114:115], off, off offset:120
	s_set_vgpr_msb 0                        ;  msbs: dst=0 src0=0 src1=0 src2=0
	v_pk_add_f32 v[112:113], v[112:113], v[116:117]
	s_wait_loadcnt 0x0
	s_delay_alu instid0(VALU_DEP_1)
	v_pk_add_f32 v[112:113], v[114:115], v[112:113] neg_lo:[0,1] neg_hi:[0,1]
	scratch_store_b64 off, v[112:113], off offset:120
	s_wait_xcnt 0x0
	v_cmpx_lt_u32_e32 14, v0
	s_cbranch_execz .LBB118_315
; %bb.314:
	scratch_load_b64 v[112:113], off, off offset:112
	v_mov_b64_e32 v[114:115], 0
	scratch_store_b64 off, v[114:115], off offset:112
	s_wait_loadcnt 0x0
	ds_store_b64 v1, v[112:113]
.LBB118_315:
	s_wait_xcnt 0x0
	s_or_b32 exec_lo, exec_lo, s0
	s_wait_storecnt_dscnt 0x0
	s_barrier_signal -1
	s_barrier_wait -1
	s_clause 0xf
	scratch_load_b128 v[116:119], off, off offset:120
	scratch_load_b128 v[124:127], off, off offset:136
	;; [unrolled: 1-line block ×16, first 2 shown]
	ds_load_2addr_b64 v[112:115], v7 offset0:71 offset1:72
	ds_load_2addr_b64 v[120:123], v7 offset0:73 offset1:74
	;; [unrolled: 1-line block ×16, first 2 shown]
	s_clause 0x3
	scratch_load_b128 v[240:243], off, off offset:376
	scratch_load_b128 v[244:247], off, off offset:392
	;; [unrolled: 1-line block ×4, first 2 shown]
	s_mov_b32 s0, exec_lo
	s_wait_loadcnt_dscnt 0x130f
	v_dual_mul_f32 v9, v112, v117 :: v_dual_mul_f32 v11, v114, v119
	s_delay_alu instid0(VALU_DEP_1) | instskip(NEXT) | instid1(VALU_DEP_1)
	v_dual_fmac_f32 v9, v113, v116 :: v_dual_fmac_f32 v11, v115, v118
	v_add_f32_e32 v9, 0, v9
	s_wait_loadcnt_dscnt 0x120e
	s_delay_alu instid0(VALU_DEP_1)
	v_dual_add_f32 v9, v9, v11 :: v_dual_mul_f32 v11, v120, v125
	s_wait_loadcnt_dscnt 0x408
	s_set_vgpr_msb 64                       ;  msbs: dst=1 src0=0 src1=0 src2=0
	v_dual_mul_f32 v3 /*v259*/, v232, v237 :: v_dual_mul_f32 v5 /*v261*/, v234, v239
	s_set_vgpr_msb 0                        ;  msbs: dst=0 src0=0 src1=0 src2=0
	v_fmac_f32_e32 v11, v121, v124
	s_set_vgpr_msb 64                       ;  msbs: dst=1 src0=0 src1=0 src2=0
	s_delay_alu instid0(VALU_DEP_2) | instskip(SKIP_1) | instid1(VALU_DEP_2)
	v_fmac_f32_e32 v3 /*v259*/, v233, v236
	s_set_vgpr_msb 0                        ;  msbs: dst=0 src0=0 src1=0 src2=0
	v_add_f32_e32 v9, v9, v11
	v_mul_f32_e32 v11, v122, v127
	s_delay_alu instid0(VALU_DEP_1) | instskip(NEXT) | instid1(VALU_DEP_1)
	v_fmac_f32_e32 v11, v123, v126
	v_dual_add_f32 v9, v9, v11 :: v_dual_mul_f32 v11, v128, v133
	s_delay_alu instid0(VALU_DEP_1) | instskip(NEXT) | instid1(VALU_DEP_1)
	v_fmac_f32_e32 v11, v129, v132
	v_add_f32_e32 v9, v9, v11
	v_mul_f32_e32 v11, v130, v135
	s_delay_alu instid0(VALU_DEP_1) | instskip(NEXT) | instid1(VALU_DEP_1)
	v_fmac_f32_e32 v11, v131, v134
	v_dual_add_f32 v9, v9, v11 :: v_dual_mul_f32 v11, v136, v141
	s_delay_alu instid0(VALU_DEP_1) | instskip(NEXT) | instid1(VALU_DEP_1)
	v_fmac_f32_e32 v11, v137, v140
	;; [unrolled: 7-line block ×4, first 2 shown]
	v_add_f32_e32 v9, v9, v11
	v_mul_f32_e32 v11, v154, v159
	s_delay_alu instid0(VALU_DEP_1) | instskip(SKIP_1) | instid1(VALU_DEP_1)
	v_fmac_f32_e32 v11, v155, v158
	s_wait_dscnt 0x7
	v_dual_add_f32 v9, v9, v11 :: v_dual_mul_f32 v11, v160, v165
	s_delay_alu instid0(VALU_DEP_1) | instskip(NEXT) | instid1(VALU_DEP_1)
	v_fmac_f32_e32 v11, v161, v164
	v_add_f32_e32 v9, v9, v11
	v_mul_f32_e32 v11, v162, v167
	s_delay_alu instid0(VALU_DEP_1) | instskip(SKIP_1) | instid1(VALU_DEP_1)
	v_fmac_f32_e32 v11, v163, v166
	s_wait_dscnt 0x6
	v_dual_add_f32 v9, v9, v11 :: v_dual_mul_f32 v11, v168, v173
	s_delay_alu instid0(VALU_DEP_1) | instskip(NEXT) | instid1(VALU_DEP_1)
	v_fmac_f32_e32 v11, v169, v172
	;; [unrolled: 8-line block ×8, first 2 shown]
	v_add_f32_e32 v9, v9, v11
	v_mul_f32_e32 v11, v218, v223
	s_delay_alu instid0(VALU_DEP_1) | instskip(NEXT) | instid1(VALU_DEP_1)
	v_fmac_f32_e32 v11, v219, v222
	v_dual_add_f32 v9, v9, v11 :: v_dual_mul_f32 v11, v224, v229
	s_delay_alu instid0(VALU_DEP_1) | instskip(NEXT) | instid1(VALU_DEP_1)
	v_fmac_f32_e32 v11, v225, v228
	v_add_f32_e32 v9, v9, v11
	v_mul_f32_e32 v11, v226, v231
	s_delay_alu instid0(VALU_DEP_1) | instskip(SKIP_1) | instid1(VALU_DEP_1)
	v_fmac_f32_e32 v11, v227, v230
	s_set_vgpr_msb 64                       ;  msbs: dst=1 src0=0 src1=0 src2=0
	v_add_f32_e32 v1 /*v257*/, v9, v11
	s_set_vgpr_msb 0                        ;  msbs: dst=0 src0=0 src1=0 src2=0
	v_dual_mul_f32 v9, v113, v117 :: v_dual_mul_f32 v11, v115, v119
	s_delay_alu instid0(VALU_DEP_1) | instskip(NEXT) | instid1(VALU_DEP_1)
	v_dual_fma_f32 v9, v112, v116, -v9 :: v_dual_fma_f32 v11, v114, v118, -v11
	v_add_f32_e32 v9, 0, v9
	s_delay_alu instid0(VALU_DEP_1) | instskip(SKIP_1) | instid1(VALU_DEP_1)
	v_add_f32_e32 v9, v9, v11
	v_mul_f32_e32 v11, v121, v125
	v_fma_f32 v11, v120, v124, -v11
	s_delay_alu instid0(VALU_DEP_1) | instskip(SKIP_1) | instid1(VALU_DEP_1)
	v_add_f32_e32 v9, v9, v11
	v_mul_f32_e32 v11, v123, v127
	v_fma_f32 v11, v122, v126, -v11
	ds_load_2addr_b64 v[112:115], v7 offset0:103 offset1:104
	ds_load_2addr_b64 v[116:119], v7 offset0:105 offset1:106
	;; [unrolled: 1-line block ×4, first 2 shown]
	v_add_f32_e32 v9, v9, v11
	v_mul_f32_e32 v11, v129, v133
	s_delay_alu instid0(VALU_DEP_1) | instskip(NEXT) | instid1(VALU_DEP_1)
	v_fma_f32 v11, v128, v132, -v11
	v_add_f32_e32 v9, v9, v11
	v_mul_f32_e32 v11, v131, v135
	s_delay_alu instid0(VALU_DEP_1) | instskip(SKIP_2) | instid1(VALU_DEP_2)
	v_fma_f32 v11, v130, v134, -v11
	s_wait_loadcnt_dscnt 0x303
	v_pk_mul_f32 v[130:131], v[112:113], v[240:241] op_sel:[1,1] op_sel_hi:[0,1]
	v_add_f32_e32 v9, v9, v11
	v_mul_f32_e32 v11, v137, v141
	s_delay_alu instid0(VALU_DEP_3) | instskip(SKIP_1) | instid1(VALU_DEP_3)
	v_pk_fma_f32 v[132:133], v[112:113], v[240:241], v[130:131] neg_lo:[0,0,1] neg_hi:[0,0,1]
	v_pk_fma_f32 v[112:113], v[112:113], v[240:241], v[130:131] op_sel_hi:[1,0,1]
	v_dual_mov_b32 v130, v243 :: v_dual_fma_f32 v11, v136, v140, -v11
	s_delay_alu instid0(VALU_DEP_2) | instskip(NEXT) | instid1(VALU_DEP_2)
	v_mov_b32_e32 v133, v113
	v_add_f32_e32 v9, v9, v11
	v_mul_f32_e32 v11, v139, v143
	s_delay_alu instid0(VALU_DEP_1) | instskip(NEXT) | instid1(VALU_DEP_1)
	v_fma_f32 v11, v138, v142, -v11
	v_add_f32_e32 v9, v9, v11
	v_mul_f32_e32 v11, v145, v149
	s_delay_alu instid0(VALU_DEP_1) | instskip(NEXT) | instid1(VALU_DEP_1)
	v_fma_f32 v11, v144, v148, -v11
	;; [unrolled: 4-line block ×22, first 2 shown]
	v_add_f32_e32 v9, v9, v11
	v_mul_f32_e32 v11, v227, v231
	s_delay_alu instid0(VALU_DEP_1) | instskip(SKIP_1) | instid1(VALU_DEP_1)
	v_fma_f32 v11, v226, v230, -v11
	s_set_vgpr_msb 64                       ;  msbs: dst=1 src0=0 src1=0 src2=0
	v_dual_fmac_f32 v5 /*v261*/, v235, v238 :: v_dual_add_f32 v0 /*v256*/, v9, v11
	s_set_vgpr_msb 0                        ;  msbs: dst=0 src0=0 src1=0 src2=0
	v_mul_f32_e32 v9, v233, v237
	s_set_vgpr_msb 64                       ;  msbs: dst=1 src0=0 src1=0 src2=0
	s_delay_alu instid0(VALU_DEP_1) | instskip(SKIP_3) | instid1(VALU_DEP_1)
	v_fma_f32 v2 /*v258*/, v232, v236, -v9
	s_set_vgpr_msb 0                        ;  msbs: dst=0 src0=0 src1=0 src2=0
	v_mul_f32_e32 v9, v235, v239
	s_set_vgpr_msb 64                       ;  msbs: dst=1 src0=0 src1=0 src2=0
	v_fma_f32 v4 /*v260*/, v234, v238, -v9
	s_set_vgpr_msb 5                        ;  msbs: dst=0 src0=1 src1=1 src2=0
	v_pk_add_f32 v[128:129], v[0:1] /*v[256:257]*/, v[2:3] /*v[258:259]*/
	s_set_vgpr_msb 4                        ;  msbs: dst=0 src0=0 src1=1 src2=0
	s_delay_alu instid0(VALU_DEP_1) | instskip(SKIP_1) | instid1(VALU_DEP_1)
	v_pk_add_f32 v[128:129], v[128:129], v[4:5] /*v[260:261]*/
	s_set_vgpr_msb 0                        ;  msbs: dst=0 src0=0 src1=0 src2=0
	v_pk_add_f32 v[112:113], v[128:129], v[132:133]
	v_dual_mov_b32 v128, v115 :: v_dual_mov_b32 v129, v114
	s_delay_alu instid0(VALU_DEP_1) | instskip(NEXT) | instid1(VALU_DEP_1)
	v_pk_mul_f32 v[128:129], v[128:129], v[130:131] op_sel_hi:[1,0]
	v_pk_fma_f32 v[130:131], v[114:115], v[242:243], v[128:129] neg_lo:[0,0,1] neg_hi:[0,0,1]
	v_pk_fma_f32 v[114:115], v[114:115], v[242:243], v[128:129] op_sel_hi:[1,0,1]
	s_delay_alu instid0(VALU_DEP_1) | instskip(SKIP_2) | instid1(VALU_DEP_2)
	v_mov_b32_e32 v131, v115
	s_wait_loadcnt_dscnt 0x202
	v_pk_mul_f32 v[114:115], v[116:117], v[244:245] op_sel:[1,1] op_sel_hi:[0,1]
	v_pk_add_f32 v[112:113], v[112:113], v[130:131]
	s_delay_alu instid0(VALU_DEP_2) | instskip(SKIP_2) | instid1(VALU_DEP_2)
	v_pk_fma_f32 v[128:129], v[116:117], v[244:245], v[114:115] neg_lo:[0,0,1] neg_hi:[0,0,1]
	v_pk_fma_f32 v[114:115], v[116:117], v[244:245], v[114:115] op_sel_hi:[1,0,1]
	v_dual_mov_b32 v114, v119 :: v_dual_mov_b32 v116, v247
	v_dual_mov_b32 v129, v115 :: v_dual_mov_b32 v115, v118
	s_delay_alu instid0(VALU_DEP_1) | instskip(NEXT) | instid1(VALU_DEP_2)
	v_pk_add_f32 v[112:113], v[112:113], v[128:129]
	v_pk_mul_f32 v[114:115], v[114:115], v[116:117] op_sel_hi:[1,0]
	s_delay_alu instid0(VALU_DEP_1) | instskip(SKIP_1) | instid1(VALU_DEP_1)
	v_pk_fma_f32 v[116:117], v[118:119], v[246:247], v[114:115] neg_lo:[0,0,1] neg_hi:[0,0,1]
	v_pk_fma_f32 v[114:115], v[118:119], v[246:247], v[114:115] op_sel_hi:[1,0,1]
	v_mov_b32_e32 v117, v115
	s_wait_loadcnt_dscnt 0x101
	v_pk_mul_f32 v[114:115], v[120:121], v[248:249] op_sel:[1,1] op_sel_hi:[0,1]
	s_delay_alu instid0(VALU_DEP_2) | instskip(NEXT) | instid1(VALU_DEP_2)
	v_pk_add_f32 v[112:113], v[112:113], v[116:117]
	v_pk_fma_f32 v[116:117], v[120:121], v[248:249], v[114:115] neg_lo:[0,0,1] neg_hi:[0,0,1]
	v_pk_fma_f32 v[114:115], v[120:121], v[248:249], v[114:115] op_sel_hi:[1,0,1]
	s_delay_alu instid0(VALU_DEP_1) | instskip(SKIP_1) | instid1(VALU_DEP_2)
	v_dual_mov_b32 v114, v123 :: v_dual_mov_b32 v117, v115
	v_mov_b32_e32 v115, v122
	v_pk_add_f32 v[112:113], v[112:113], v[116:117]
	v_mov_b32_e32 v116, v251
	s_delay_alu instid0(VALU_DEP_1) | instskip(NEXT) | instid1(VALU_DEP_1)
	v_pk_mul_f32 v[114:115], v[114:115], v[116:117] op_sel_hi:[1,0]
	v_pk_fma_f32 v[116:117], v[122:123], v[250:251], v[114:115] neg_lo:[0,0,1] neg_hi:[0,0,1]
	v_pk_fma_f32 v[114:115], v[122:123], v[250:251], v[114:115] op_sel_hi:[1,0,1]
	s_delay_alu instid0(VALU_DEP_1) | instskip(SKIP_2) | instid1(VALU_DEP_2)
	v_mov_b32_e32 v117, v115
	s_wait_loadcnt_dscnt 0x0
	v_pk_mul_f32 v[114:115], v[124:125], v[252:253] op_sel:[1,1] op_sel_hi:[0,1]
	v_pk_add_f32 v[112:113], v[112:113], v[116:117]
	s_delay_alu instid0(VALU_DEP_2) | instskip(SKIP_1) | instid1(VALU_DEP_1)
	v_pk_fma_f32 v[116:117], v[124:125], v[252:253], v[114:115] neg_lo:[0,0,1] neg_hi:[0,0,1]
	v_pk_fma_f32 v[114:115], v[124:125], v[252:253], v[114:115] op_sel_hi:[1,0,1]
	v_dual_mov_b32 v114, v127 :: v_dual_mov_b32 v117, v115
	v_mov_b32_e32 v115, v126
	s_delay_alu instid0(VALU_DEP_2) | instskip(SKIP_1) | instid1(VALU_DEP_1)
	v_pk_add_f32 v[112:113], v[112:113], v[116:117]
	v_mov_b32_e32 v116, v255
	v_pk_mul_f32 v[114:115], v[114:115], v[116:117] op_sel_hi:[1,0]
	s_delay_alu instid0(VALU_DEP_1) | instskip(SKIP_1) | instid1(VALU_DEP_1)
	v_pk_fma_f32 v[116:117], v[126:127], v[254:255], v[114:115] neg_lo:[0,0,1] neg_hi:[0,0,1]
	v_pk_fma_f32 v[114:115], v[126:127], v[254:255], v[114:115] op_sel_hi:[1,0,1]
	v_mov_b32_e32 v117, v115
	scratch_load_b64 v[114:115], off, off offset:112
	v_pk_add_f32 v[112:113], v[112:113], v[116:117]
	s_wait_loadcnt 0x0
	s_delay_alu instid0(VALU_DEP_1)
	v_pk_add_f32 v[112:113], v[114:115], v[112:113] neg_lo:[0,1] neg_hi:[0,1]
	scratch_store_b64 off, v[112:113], off offset:112
	s_wait_xcnt 0x0
	v_cmpx_lt_u32_e32 13, v0
	s_cbranch_execz .LBB118_317
; %bb.316:
	scratch_load_b64 v[112:113], off, off offset:104
	v_mov_b64_e32 v[114:115], 0
	scratch_store_b64 off, v[114:115], off offset:104
	s_wait_loadcnt 0x0
	ds_store_b64 v1, v[112:113]
.LBB118_317:
	s_wait_xcnt 0x0
	s_or_b32 exec_lo, exec_lo, s0
	v_mov_b32_e32 v7, 0
	s_wait_storecnt_dscnt 0x0
	s_barrier_signal -1
	s_barrier_wait -1
	ds_load_b128 v[112:115], v7 offset:560
	ds_load_b128 v[116:119], v7 offset:576
	;; [unrolled: 1-line block ×4, first 2 shown]
	s_clause 0x10
	scratch_load_b128 v[128:131], off, off offset:112
	scratch_load_b128 v[132:135], off, off offset:128
	;; [unrolled: 1-line block ×17, first 2 shown]
	s_mov_b32 s0, exec_lo
	s_wait_loadcnt_dscnt 0x1003
	v_mul_f32_e32 v9, v112, v129
	ds_load_b128 v[224:227], v7 offset:784
	ds_load_b128 v[232:235], v7 offset:800
	;; [unrolled: 1-line block ×4, first 2 shown]
	v_dual_fmac_f32 v9, v113, v128 :: v_dual_mul_f32 v11, v114, v131
	ds_load_b128 v[240:243], v7 offset:816
	ds_load_b128 v[160:163], v7 offset:656
	;; [unrolled: 1-line block ×3, first 2 shown]
	v_dual_add_f32 v9, 0, v9 :: v_dual_fmac_f32 v11, v115, v130
	ds_load_b128 v[176:179], v7 offset:688
	ds_load_b128 v[184:187], v7 offset:704
	;; [unrolled: 1-line block ×4, first 2 shown]
	s_wait_loadcnt_dscnt 0xf0d
	v_dual_add_f32 v9, v9, v11 :: v_dual_mul_f32 v11, v116, v133
	ds_load_b128 v[208:211], v7 offset:752
	ds_load_b128 v[216:219], v7 offset:768
	s_clause 0x4
	scratch_load_b128 v[248:251], off, off offset:384
	scratch_load_b128 v[252:255], off, off offset:400
	s_set_vgpr_msb 64                       ;  msbs: dst=1 src0=0 src1=0 src2=0
	scratch_load_b128 v[0:3] /*v[256:259]*/, off, off offset:416
	scratch_load_b64 v[10:11] /*v[266:267]*/, off, off offset:432
	s_set_vgpr_msb 0                        ;  msbs: dst=0 src0=0 src1=0 src2=0
	v_fmac_f32_e32 v11, v117, v132
	s_wait_loadcnt_dscnt 0x408
	s_set_vgpr_msb 64                       ;  msbs: dst=1 src0=0 src1=0 src2=0
	v_dual_mul_f32 v7 /*v263*/, v234, v239 :: v_dual_mul_f32 v9 /*v265*/, v240, v245
	s_set_vgpr_msb 0                        ;  msbs: dst=0 src0=0 src1=0 src2=0
	v_add_f32_e32 v9, v9, v11
	v_mul_f32_e32 v11, v118, v135
	s_set_vgpr_msb 64                       ;  msbs: dst=1 src0=0 src1=0 src2=0
	v_dual_fmac_f32 v7 /*v263*/, v235, v238 :: v_dual_fmac_f32 v9 /*v265*/, v241, v244
	s_set_vgpr_msb 0                        ;  msbs: dst=0 src0=0 src1=0 src2=0
	s_delay_alu instid0(VALU_DEP_2) | instskip(NEXT) | instid1(VALU_DEP_1)
	v_fmac_f32_e32 v11, v119, v134
	v_dual_add_f32 v9, v9, v11 :: v_dual_mul_f32 v11, v120, v137
	s_delay_alu instid0(VALU_DEP_1) | instskip(NEXT) | instid1(VALU_DEP_1)
	v_fmac_f32_e32 v11, v121, v136
	v_add_f32_e32 v9, v9, v11
	v_mul_f32_e32 v11, v122, v139
	s_delay_alu instid0(VALU_DEP_1) | instskip(NEXT) | instid1(VALU_DEP_1)
	v_fmac_f32_e32 v11, v123, v138
	v_dual_add_f32 v9, v9, v11 :: v_dual_mul_f32 v11, v124, v141
	s_delay_alu instid0(VALU_DEP_1) | instskip(NEXT) | instid1(VALU_DEP_1)
	v_fmac_f32_e32 v11, v125, v140
	v_add_f32_e32 v9, v9, v11
	v_mul_f32_e32 v11, v126, v143
	s_delay_alu instid0(VALU_DEP_1) | instskip(NEXT) | instid1(VALU_DEP_1)
	;; [unrolled: 7-line block ×3, first 2 shown]
	v_fmac_f32_e32 v11, v147, v150
	v_dual_add_f32 v9, v9, v11 :: v_dual_mul_f32 v11, v152, v157
	s_delay_alu instid0(VALU_DEP_1) | instskip(NEXT) | instid1(VALU_DEP_1)
	v_fmac_f32_e32 v11, v153, v156
	v_add_f32_e32 v9, v9, v11
	v_mul_f32_e32 v11, v154, v159
	s_delay_alu instid0(VALU_DEP_1) | instskip(SKIP_1) | instid1(VALU_DEP_1)
	v_fmac_f32_e32 v11, v155, v158
	s_wait_dscnt 0x7
	v_dual_add_f32 v9, v9, v11 :: v_dual_mul_f32 v11, v160, v165
	s_delay_alu instid0(VALU_DEP_1) | instskip(NEXT) | instid1(VALU_DEP_1)
	v_fmac_f32_e32 v11, v161, v164
	v_add_f32_e32 v9, v9, v11
	v_mul_f32_e32 v11, v162, v167
	s_delay_alu instid0(VALU_DEP_1) | instskip(SKIP_1) | instid1(VALU_DEP_1)
	v_fmac_f32_e32 v11, v163, v166
	s_wait_dscnt 0x6
	;; [unrolled: 8-line block ×8, first 2 shown]
	v_dual_add_f32 v9, v9, v11 :: v_dual_mul_f32 v11, v216, v221
	s_delay_alu instid0(VALU_DEP_1) | instskip(NEXT) | instid1(VALU_DEP_1)
	v_fmac_f32_e32 v11, v217, v220
	v_add_f32_e32 v9, v9, v11
	v_mul_f32_e32 v11, v218, v223
	s_delay_alu instid0(VALU_DEP_1) | instskip(NEXT) | instid1(VALU_DEP_1)
	v_fmac_f32_e32 v11, v219, v222
	v_dual_add_f32 v9, v9, v11 :: v_dual_mul_f32 v11, v224, v229
	s_delay_alu instid0(VALU_DEP_1) | instskip(NEXT) | instid1(VALU_DEP_1)
	v_fmac_f32_e32 v11, v225, v228
	v_add_f32_e32 v9, v9, v11
	v_mul_f32_e32 v11, v226, v231
	s_delay_alu instid0(VALU_DEP_1) | instskip(NEXT) | instid1(VALU_DEP_1)
	v_fmac_f32_e32 v11, v227, v230
	v_dual_add_f32 v9, v9, v11 :: v_dual_mul_f32 v11, v232, v237
	s_delay_alu instid0(VALU_DEP_1) | instskip(SKIP_1) | instid1(VALU_DEP_1)
	v_fmac_f32_e32 v11, v233, v236
	s_set_vgpr_msb 64                       ;  msbs: dst=1 src0=0 src1=0 src2=0
	v_add_f32_e32 v5 /*v261*/, v9, v11
	s_set_vgpr_msb 0                        ;  msbs: dst=0 src0=0 src1=0 src2=0
	v_dual_mul_f32 v9, v113, v129 :: v_dual_mul_f32 v11, v115, v131
	s_delay_alu instid0(VALU_DEP_1) | instskip(NEXT) | instid1(VALU_DEP_2)
	v_dual_mov_b32 v129, v242 :: v_dual_fma_f32 v9, v112, v128, -v9
	v_dual_fma_f32 v11, v114, v130, -v11 :: v_dual_mov_b32 v128, v243
	s_delay_alu instid0(VALU_DEP_2) | instskip(NEXT) | instid1(VALU_DEP_1)
	v_dual_mov_b32 v130, v247 :: v_dual_add_f32 v9, 0, v9
	v_pk_mul_f32 v[128:129], v[128:129], v[130:131] op_sel_hi:[1,0]
	s_delay_alu instid0(VALU_DEP_2) | instskip(SKIP_1) | instid1(VALU_DEP_3)
	v_add_f32_e32 v9, v9, v11
	v_mul_f32_e32 v11, v117, v133
	v_pk_fma_f32 v[130:131], v[242:243], v[246:247], v[128:129] neg_lo:[0,0,1] neg_hi:[0,0,1]
	v_pk_fma_f32 v[128:129], v[242:243], v[246:247], v[128:129] op_sel_hi:[1,0,1]
	s_delay_alu instid0(VALU_DEP_1) | instskip(NEXT) | instid1(VALU_DEP_1)
	v_dual_fma_f32 v11, v116, v132, -v11 :: v_dual_mov_b32 v131, v129
	v_add_f32_e32 v9, v9, v11
	v_mul_f32_e32 v11, v119, v135
	s_delay_alu instid0(VALU_DEP_1) | instskip(NEXT) | instid1(VALU_DEP_1)
	v_fma_f32 v11, v118, v134, -v11
	v_add_f32_e32 v9, v9, v11
	v_mul_f32_e32 v11, v121, v137
	s_delay_alu instid0(VALU_DEP_1) | instskip(NEXT) | instid1(VALU_DEP_1)
	v_fma_f32 v11, v120, v136, -v11
	;; [unrolled: 4-line block ×3, first 2 shown]
	v_add_f32_e32 v9, v9, v11
	v_mul_f32_e32 v11, v125, v141
	s_delay_alu instid0(VALU_DEP_1)
	v_fma_f32 v11, v124, v140, -v11
	ds_load_b128 v[112:115], v7 offset:832
	ds_load_b128 v[116:119], v7 offset:848
	;; [unrolled: 1-line block ×3, first 2 shown]
	ds_load_b64 v[124:125], v7 offset:880
	v_add_f32_e32 v9, v9, v11
	v_mul_f32_e32 v11, v127, v143
	s_delay_alu instid0(VALU_DEP_1) | instskip(NEXT) | instid1(VALU_DEP_1)
	v_fma_f32 v11, v126, v142, -v11
	v_add_f32_e32 v9, v9, v11
	v_mul_f32_e32 v11, v145, v149
	s_wait_loadcnt_dscnt 0x303
	v_pk_mul_f32 v[128:129], v[112:113], v[248:249] op_sel:[1,1] op_sel_hi:[0,1]
	s_delay_alu instid0(VALU_DEP_2) | instskip(NEXT) | instid1(VALU_DEP_1)
	v_fma_f32 v11, v144, v148, -v11
	v_add_f32_e32 v9, v9, v11
	v_mul_f32_e32 v11, v147, v151
	s_delay_alu instid0(VALU_DEP_1) | instskip(NEXT) | instid1(VALU_DEP_1)
	v_fma_f32 v11, v146, v150, -v11
	v_add_f32_e32 v9, v9, v11
	v_mul_f32_e32 v11, v153, v157
	s_delay_alu instid0(VALU_DEP_1) | instskip(NEXT) | instid1(VALU_DEP_1)
	;; [unrolled: 4-line block ×21, first 2 shown]
	v_fma_f32 v11, v226, v230, -v11
	v_add_f32_e32 v9, v9, v11
	v_mul_f32_e32 v11, v233, v237
	s_delay_alu instid0(VALU_DEP_1) | instskip(SKIP_1) | instid1(VALU_DEP_1)
	v_fma_f32 v11, v232, v236, -v11
	s_set_vgpr_msb 64                       ;  msbs: dst=1 src0=0 src1=0 src2=0
	v_add_f32_e32 v4 /*v260*/, v9, v11
	s_set_vgpr_msb 0                        ;  msbs: dst=0 src0=0 src1=0 src2=0
	v_mul_f32_e32 v9, v235, v239
	s_set_vgpr_msb 64                       ;  msbs: dst=1 src0=0 src1=0 src2=0
	s_delay_alu instid0(VALU_DEP_1) | instskip(SKIP_3) | instid1(VALU_DEP_2)
	v_fma_f32 v6 /*v262*/, v234, v238, -v9
	s_set_vgpr_msb 0                        ;  msbs: dst=0 src0=0 src1=0 src2=0
	v_mul_f32_e32 v9, v241, v245
	s_set_vgpr_msb 5                        ;  msbs: dst=0 src0=1 src1=1 src2=0
	v_pk_add_f32 v[126:127], v[4:5] /*v[260:261]*/, v[6:7] /*v[262:263]*/
	s_set_vgpr_msb 64                       ;  msbs: dst=1 src0=0 src1=0 src2=0
	s_delay_alu instid0(VALU_DEP_2) | instskip(SKIP_1) | instid1(VALU_DEP_1)
	v_fma_f32 v8 /*v264*/, v240, v244, -v9
	s_set_vgpr_msb 4                        ;  msbs: dst=0 src0=0 src1=1 src2=0
	v_pk_add_f32 v[126:127], v[126:127], v[8:9] /*v[264:265]*/
	s_set_vgpr_msb 0                        ;  msbs: dst=0 src0=0 src1=0 src2=0
	s_delay_alu instid0(VALU_DEP_1) | instskip(SKIP_2) | instid1(VALU_DEP_1)
	v_pk_add_f32 v[126:127], v[126:127], v[130:131]
	v_pk_fma_f32 v[130:131], v[112:113], v[248:249], v[128:129] neg_lo:[0,0,1] neg_hi:[0,0,1]
	v_pk_fma_f32 v[112:113], v[112:113], v[248:249], v[128:129] op_sel_hi:[1,0,1]
	v_dual_mov_b32 v128, v251 :: v_dual_mov_b32 v131, v113
	s_delay_alu instid0(VALU_DEP_1) | instskip(SKIP_1) | instid1(VALU_DEP_1)
	v_pk_add_f32 v[112:113], v[126:127], v[130:131]
	v_dual_mov_b32 v126, v115 :: v_dual_mov_b32 v127, v114
	v_pk_mul_f32 v[126:127], v[126:127], v[128:129] op_sel_hi:[1,0]
	s_delay_alu instid0(VALU_DEP_1) | instskip(SKIP_1) | instid1(VALU_DEP_1)
	v_pk_fma_f32 v[128:129], v[114:115], v[250:251], v[126:127] neg_lo:[0,0,1] neg_hi:[0,0,1]
	v_pk_fma_f32 v[114:115], v[114:115], v[250:251], v[126:127] op_sel_hi:[1,0,1]
	v_mov_b32_e32 v129, v115
	s_wait_loadcnt_dscnt 0x202
	v_pk_mul_f32 v[114:115], v[116:117], v[252:253] op_sel:[1,1] op_sel_hi:[0,1]
	s_delay_alu instid0(VALU_DEP_2) | instskip(NEXT) | instid1(VALU_DEP_2)
	v_pk_add_f32 v[112:113], v[112:113], v[128:129]
	v_pk_fma_f32 v[126:127], v[116:117], v[252:253], v[114:115] neg_lo:[0,0,1] neg_hi:[0,0,1]
	v_pk_fma_f32 v[114:115], v[116:117], v[252:253], v[114:115] op_sel_hi:[1,0,1]
	v_dual_mov_b32 v114, v119 :: v_dual_mov_b32 v116, v255
	s_delay_alu instid0(VALU_DEP_2) | instskip(NEXT) | instid1(VALU_DEP_1)
	v_dual_mov_b32 v127, v115 :: v_dual_mov_b32 v115, v118
	v_pk_add_f32 v[112:113], v[112:113], v[126:127]
	s_delay_alu instid0(VALU_DEP_2) | instskip(NEXT) | instid1(VALU_DEP_1)
	v_pk_mul_f32 v[114:115], v[114:115], v[116:117] op_sel_hi:[1,0]
	v_pk_fma_f32 v[116:117], v[118:119], v[254:255], v[114:115] neg_lo:[0,0,1] neg_hi:[0,0,1]
	v_pk_fma_f32 v[114:115], v[118:119], v[254:255], v[114:115] op_sel_hi:[1,0,1]
	s_delay_alu instid0(VALU_DEP_1)
	v_mov_b32_e32 v117, v115
	s_wait_loadcnt_dscnt 0x101
	s_set_vgpr_msb 4                        ;  msbs: dst=0 src0=0 src1=1 src2=0
	v_pk_mul_f32 v[114:115], v[120:121], v[0:1] /*v[256:257]*/ op_sel:[1,1] op_sel_hi:[0,1]
	s_set_vgpr_msb 0                        ;  msbs: dst=0 src0=0 src1=0 src2=0
	v_pk_add_f32 v[112:113], v[112:113], v[116:117]
	s_set_vgpr_msb 4                        ;  msbs: dst=0 src0=0 src1=1 src2=0
	s_delay_alu instid0(VALU_DEP_2) | instskip(SKIP_1) | instid1(VALU_DEP_1)
	v_pk_fma_f32 v[116:117], v[120:121], v[0:1] /*v[256:257]*/, v[114:115] neg_lo:[0,0,1] neg_hi:[0,0,1]
	v_pk_fma_f32 v[114:115], v[120:121], v[0:1] /*v[256:257]*/, v[114:115] op_sel_hi:[1,0,1]
	v_dual_mov_b32 v114, v123 :: v_dual_mov_b32 v117, v115
	v_mov_b32_e32 v115, v122
	s_set_vgpr_msb 0                        ;  msbs: dst=0 src0=0 src1=0 src2=0
	s_delay_alu instid0(VALU_DEP_2) | instskip(SKIP_3) | instid1(VALU_DEP_1)
	v_pk_add_f32 v[112:113], v[112:113], v[116:117]
	s_set_vgpr_msb 1                        ;  msbs: dst=0 src0=1 src1=0 src2=0
	v_mov_b32_e32 v116, v3 /*v259*/
	s_set_vgpr_msb 0                        ;  msbs: dst=0 src0=0 src1=0 src2=0
	v_pk_mul_f32 v[114:115], v[114:115], v[116:117] op_sel_hi:[1,0]
	s_set_vgpr_msb 4                        ;  msbs: dst=0 src0=0 src1=1 src2=0
	s_delay_alu instid0(VALU_DEP_1) | instskip(SKIP_1) | instid1(VALU_DEP_1)
	v_pk_fma_f32 v[116:117], v[122:123], v[2:3] /*v[258:259]*/, v[114:115] neg_lo:[0,0,1] neg_hi:[0,0,1]
	v_pk_fma_f32 v[114:115], v[122:123], v[2:3] /*v[258:259]*/, v[114:115] op_sel_hi:[1,0,1]
	v_mov_b32_e32 v117, v115
	s_wait_loadcnt_dscnt 0x0
	v_pk_mul_f32 v[114:115], v[124:125], v[10:11] /*v[266:267]*/ op_sel:[1,1] op_sel_hi:[0,1]
	s_set_vgpr_msb 0                        ;  msbs: dst=0 src0=0 src1=0 src2=0
	s_delay_alu instid0(VALU_DEP_2) | instskip(SKIP_1) | instid1(VALU_DEP_2)
	v_pk_add_f32 v[112:113], v[112:113], v[116:117]
	s_set_vgpr_msb 4                        ;  msbs: dst=0 src0=0 src1=1 src2=0
	v_pk_fma_f32 v[116:117], v[124:125], v[10:11] /*v[266:267]*/, v[114:115] neg_lo:[0,0,1] neg_hi:[0,0,1]
	v_pk_fma_f32 v[114:115], v[124:125], v[10:11] /*v[266:267]*/, v[114:115] op_sel_hi:[1,0,1]
	s_delay_alu instid0(VALU_DEP_1) | instskip(SKIP_4) | instid1(VALU_DEP_1)
	v_mov_b32_e32 v117, v115
	scratch_load_b64 v[114:115], off, off offset:104
	s_set_vgpr_msb 0                        ;  msbs: dst=0 src0=0 src1=0 src2=0
	v_pk_add_f32 v[112:113], v[112:113], v[116:117]
	s_wait_loadcnt 0x0
	v_pk_add_f32 v[112:113], v[114:115], v[112:113] neg_lo:[0,1] neg_hi:[0,1]
	scratch_store_b64 off, v[112:113], off offset:104
	s_wait_xcnt 0x0
	v_cmpx_lt_u32_e32 12, v0
	s_cbranch_execz .LBB118_319
; %bb.318:
	scratch_load_b64 v[112:113], off, off offset:96
	v_mov_b64_e32 v[114:115], 0
	scratch_store_b64 off, v[114:115], off offset:96
	s_wait_loadcnt 0x0
	ds_store_b64 v1, v[112:113]
.LBB118_319:
	s_wait_xcnt 0x0
	s_or_b32 exec_lo, exec_lo, s0
	s_wait_storecnt_dscnt 0x0
	s_barrier_signal -1
	s_barrier_wait -1
	s_clause 0xf
	scratch_load_b128 v[116:119], off, off offset:104
	scratch_load_b128 v[124:127], off, off offset:120
	;; [unrolled: 1-line block ×16, first 2 shown]
	ds_load_2addr_b64 v[112:115], v7 offset0:69 offset1:70
	ds_load_2addr_b64 v[120:123], v7 offset0:71 offset1:72
	;; [unrolled: 1-line block ×7, first 2 shown]
	scratch_load_b128 v[244:247], off, off offset:360
	ds_load_2addr_b64 v[160:163], v7 offset0:81 offset1:82
	ds_load_2addr_b64 v[168:171], v7 offset0:83 offset1:84
	;; [unrolled: 1-line block ×10, first 2 shown]
	s_clause 0x4
	scratch_load_b128 v[248:251], off, off offset:376
	scratch_load_b128 v[252:255], off, off offset:392
	s_set_vgpr_msb 64                       ;  msbs: dst=1 src0=0 src1=0 src2=0
	scratch_load_b128 v[0:3] /*v[256:259]*/, off, off offset:408
	scratch_load_b128 v[4:7] /*v[260:263]*/, off, off offset:424
	s_mov_b32 s0, exec_lo
	s_wait_loadcnt_dscnt 0x1410
	s_set_vgpr_msb 0                        ;  msbs: dst=0 src0=0 src1=0 src2=0
	v_dual_mul_f32 v9, v112, v117 :: v_dual_mul_f32 v11, v114, v119
	s_delay_alu instid0(VALU_DEP_1) | instskip(NEXT) | instid1(VALU_DEP_1)
	v_dual_fmac_f32 v9, v113, v116 :: v_dual_fmac_f32 v11, v115, v118
	v_add_f32_e32 v9, 0, v9
	s_wait_loadcnt_dscnt 0x130f
	s_delay_alu instid0(VALU_DEP_1) | instskip(NEXT) | instid1(VALU_DEP_1)
	v_dual_add_f32 v9, v9, v11 :: v_dual_mul_f32 v11, v120, v125
	v_fmac_f32_e32 v11, v121, v124
	s_wait_loadcnt_dscnt 0x40a
	s_set_vgpr_msb 64                       ;  msbs: dst=1 src0=0 src1=0 src2=0
	v_dual_mul_f32 v11 /*v267*/, v240, v245 :: v_dual_mul_f32 v13 /*v269*/, v242, v247
	s_set_vgpr_msb 0                        ;  msbs: dst=0 src0=0 src1=0 src2=0
	v_add_f32_e32 v9, v9, v11
	v_mul_f32_e32 v11, v122, v127
	s_set_vgpr_msb 64                       ;  msbs: dst=1 src0=0 src1=0 src2=0
	v_fmac_f32_e32 v11 /*v267*/, v241, v244
	s_set_vgpr_msb 0                        ;  msbs: dst=0 src0=0 src1=0 src2=0
	s_delay_alu instid0(VALU_DEP_2) | instskip(NEXT) | instid1(VALU_DEP_1)
	v_fmac_f32_e32 v11, v123, v126
	v_dual_add_f32 v9, v9, v11 :: v_dual_mul_f32 v11, v128, v133
	s_delay_alu instid0(VALU_DEP_1) | instskip(NEXT) | instid1(VALU_DEP_1)
	v_fmac_f32_e32 v11, v129, v132
	v_add_f32_e32 v9, v9, v11
	v_mul_f32_e32 v11, v130, v135
	s_delay_alu instid0(VALU_DEP_1) | instskip(NEXT) | instid1(VALU_DEP_1)
	v_fmac_f32_e32 v11, v131, v134
	v_dual_add_f32 v9, v9, v11 :: v_dual_mul_f32 v11, v136, v141
	s_delay_alu instid0(VALU_DEP_1) | instskip(NEXT) | instid1(VALU_DEP_1)
	v_fmac_f32_e32 v11, v137, v140
	v_add_f32_e32 v9, v9, v11
	v_mul_f32_e32 v11, v138, v143
	s_delay_alu instid0(VALU_DEP_1) | instskip(NEXT) | instid1(VALU_DEP_1)
	v_fmac_f32_e32 v11, v139, v142
	v_dual_add_f32 v9, v9, v11 :: v_dual_mul_f32 v11, v144, v149
	s_delay_alu instid0(VALU_DEP_1) | instskip(NEXT) | instid1(VALU_DEP_1)
	v_fmac_f32_e32 v11, v145, v148
	v_add_f32_e32 v9, v9, v11
	v_mul_f32_e32 v11, v146, v151
	s_delay_alu instid0(VALU_DEP_1) | instskip(NEXT) | instid1(VALU_DEP_1)
	v_fmac_f32_e32 v11, v147, v150
	v_dual_add_f32 v9, v9, v11 :: v_dual_mul_f32 v11, v152, v157
	s_delay_alu instid0(VALU_DEP_1) | instskip(NEXT) | instid1(VALU_DEP_1)
	v_fmac_f32_e32 v11, v153, v156
	v_add_f32_e32 v9, v9, v11
	v_mul_f32_e32 v11, v154, v159
	s_delay_alu instid0(VALU_DEP_1) | instskip(SKIP_1) | instid1(VALU_DEP_1)
	v_fmac_f32_e32 v11, v155, v158
	s_wait_dscnt 0x9
	v_dual_add_f32 v9, v9, v11 :: v_dual_mul_f32 v11, v160, v165
	s_delay_alu instid0(VALU_DEP_1) | instskip(NEXT) | instid1(VALU_DEP_1)
	v_fmac_f32_e32 v11, v161, v164
	v_add_f32_e32 v9, v9, v11
	v_mul_f32_e32 v11, v162, v167
	s_delay_alu instid0(VALU_DEP_1) | instskip(SKIP_1) | instid1(VALU_DEP_1)
	v_fmac_f32_e32 v11, v163, v166
	s_wait_dscnt 0x8
	;; [unrolled: 8-line block ×10, first 2 shown]
	v_dual_add_f32 v9, v9, v11 :: v_dual_mul_f32 v11, v232, v237
	s_delay_alu instid0(VALU_DEP_1) | instskip(NEXT) | instid1(VALU_DEP_1)
	v_fmac_f32_e32 v11, v233, v236
	v_add_f32_e32 v9, v9, v11
	v_mul_f32_e32 v11, v234, v239
	s_delay_alu instid0(VALU_DEP_1) | instskip(SKIP_1) | instid1(VALU_DEP_1)
	v_fmac_f32_e32 v11, v235, v238
	s_set_vgpr_msb 64                       ;  msbs: dst=1 src0=0 src1=0 src2=0
	v_add_f32_e32 v9 /*v265*/, v9, v11
	s_set_vgpr_msb 0                        ;  msbs: dst=0 src0=0 src1=0 src2=0
	v_dual_mul_f32 v9, v113, v117 :: v_dual_mul_f32 v11, v115, v119
	s_delay_alu instid0(VALU_DEP_1) | instskip(NEXT) | instid1(VALU_DEP_1)
	v_dual_fma_f32 v9, v112, v116, -v9 :: v_dual_fma_f32 v11, v114, v118, -v11
	v_add_f32_e32 v9, 0, v9
	s_delay_alu instid0(VALU_DEP_1) | instskip(SKIP_1) | instid1(VALU_DEP_1)
	v_add_f32_e32 v9, v9, v11
	v_mul_f32_e32 v11, v121, v125
	v_fma_f32 v11, v120, v124, -v11
	s_delay_alu instid0(VALU_DEP_1) | instskip(SKIP_1) | instid1(VALU_DEP_1)
	v_add_f32_e32 v9, v9, v11
	v_mul_f32_e32 v11, v123, v127
	v_fma_f32 v11, v122, v126, -v11
	ds_load_2addr_b64 v[112:115], v7 offset0:103 offset1:104
	ds_load_2addr_b64 v[116:119], v7 offset0:105 offset1:106
	;; [unrolled: 1-line block ×4, first 2 shown]
	v_add_f32_e32 v9, v9, v11
	v_mul_f32_e32 v11, v129, v133
	s_delay_alu instid0(VALU_DEP_1) | instskip(NEXT) | instid1(VALU_DEP_1)
	v_fma_f32 v11, v128, v132, -v11
	v_add_f32_e32 v9, v9, v11
	v_mul_f32_e32 v11, v131, v135
	s_delay_alu instid0(VALU_DEP_1) | instskip(SKIP_2) | instid1(VALU_DEP_2)
	v_fma_f32 v11, v130, v134, -v11
	s_wait_loadcnt_dscnt 0x303
	v_pk_mul_f32 v[130:131], v[112:113], v[248:249] op_sel:[1,1] op_sel_hi:[0,1]
	v_add_f32_e32 v9, v9, v11
	v_mul_f32_e32 v11, v137, v141
	s_delay_alu instid0(VALU_DEP_3) | instskip(SKIP_1) | instid1(VALU_DEP_3)
	v_pk_fma_f32 v[132:133], v[112:113], v[248:249], v[130:131] neg_lo:[0,0,1] neg_hi:[0,0,1]
	v_pk_fma_f32 v[112:113], v[112:113], v[248:249], v[130:131] op_sel_hi:[1,0,1]
	v_dual_mov_b32 v130, v251 :: v_dual_fma_f32 v11, v136, v140, -v11
	s_delay_alu instid0(VALU_DEP_2) | instskip(NEXT) | instid1(VALU_DEP_2)
	v_mov_b32_e32 v133, v113
	v_add_f32_e32 v9, v9, v11
	v_mul_f32_e32 v11, v139, v143
	s_delay_alu instid0(VALU_DEP_1) | instskip(NEXT) | instid1(VALU_DEP_1)
	v_fma_f32 v11, v138, v142, -v11
	v_add_f32_e32 v9, v9, v11
	v_mul_f32_e32 v11, v145, v149
	s_delay_alu instid0(VALU_DEP_1) | instskip(NEXT) | instid1(VALU_DEP_1)
	v_fma_f32 v11, v144, v148, -v11
	;; [unrolled: 4-line block ×24, first 2 shown]
	v_add_f32_e32 v9, v9, v11
	v_mul_f32_e32 v11, v235, v239
	s_delay_alu instid0(VALU_DEP_1) | instskip(SKIP_1) | instid1(VALU_DEP_1)
	v_fma_f32 v11, v234, v238, -v11
	s_set_vgpr_msb 64                       ;  msbs: dst=1 src0=0 src1=0 src2=0
	v_dual_fmac_f32 v13 /*v269*/, v243, v246 :: v_dual_add_f32 v8 /*v264*/, v9, v11
	s_set_vgpr_msb 0                        ;  msbs: dst=0 src0=0 src1=0 src2=0
	v_mul_f32_e32 v9, v241, v245
	s_set_vgpr_msb 64                       ;  msbs: dst=1 src0=0 src1=0 src2=0
	s_delay_alu instid0(VALU_DEP_1) | instskip(SKIP_3) | instid1(VALU_DEP_1)
	v_fma_f32 v10 /*v266*/, v240, v244, -v9
	s_set_vgpr_msb 0                        ;  msbs: dst=0 src0=0 src1=0 src2=0
	v_mul_f32_e32 v9, v243, v247
	s_set_vgpr_msb 64                       ;  msbs: dst=1 src0=0 src1=0 src2=0
	v_fma_f32 v12 /*v268*/, v242, v246, -v9
	s_set_vgpr_msb 5                        ;  msbs: dst=0 src0=1 src1=1 src2=0
	v_pk_add_f32 v[128:129], v[8:9] /*v[264:265]*/, v[10:11] /*v[266:267]*/
	s_set_vgpr_msb 4                        ;  msbs: dst=0 src0=0 src1=1 src2=0
	s_delay_alu instid0(VALU_DEP_1) | instskip(SKIP_1) | instid1(VALU_DEP_1)
	v_pk_add_f32 v[128:129], v[128:129], v[12:13] /*v[268:269]*/
	s_set_vgpr_msb 0                        ;  msbs: dst=0 src0=0 src1=0 src2=0
	v_pk_add_f32 v[112:113], v[128:129], v[132:133]
	v_dual_mov_b32 v128, v115 :: v_dual_mov_b32 v129, v114
	s_delay_alu instid0(VALU_DEP_1) | instskip(NEXT) | instid1(VALU_DEP_1)
	v_pk_mul_f32 v[128:129], v[128:129], v[130:131] op_sel_hi:[1,0]
	v_pk_fma_f32 v[130:131], v[114:115], v[250:251], v[128:129] neg_lo:[0,0,1] neg_hi:[0,0,1]
	v_pk_fma_f32 v[114:115], v[114:115], v[250:251], v[128:129] op_sel_hi:[1,0,1]
	s_delay_alu instid0(VALU_DEP_1) | instskip(SKIP_2) | instid1(VALU_DEP_2)
	v_mov_b32_e32 v131, v115
	s_wait_loadcnt_dscnt 0x202
	v_pk_mul_f32 v[114:115], v[116:117], v[252:253] op_sel:[1,1] op_sel_hi:[0,1]
	v_pk_add_f32 v[112:113], v[112:113], v[130:131]
	s_delay_alu instid0(VALU_DEP_2) | instskip(SKIP_2) | instid1(VALU_DEP_2)
	v_pk_fma_f32 v[128:129], v[116:117], v[252:253], v[114:115] neg_lo:[0,0,1] neg_hi:[0,0,1]
	v_pk_fma_f32 v[114:115], v[116:117], v[252:253], v[114:115] op_sel_hi:[1,0,1]
	v_dual_mov_b32 v114, v119 :: v_dual_mov_b32 v116, v255
	v_dual_mov_b32 v129, v115 :: v_dual_mov_b32 v115, v118
	s_delay_alu instid0(VALU_DEP_1) | instskip(NEXT) | instid1(VALU_DEP_2)
	v_pk_add_f32 v[112:113], v[112:113], v[128:129]
	v_pk_mul_f32 v[114:115], v[114:115], v[116:117] op_sel_hi:[1,0]
	s_delay_alu instid0(VALU_DEP_1) | instskip(SKIP_1) | instid1(VALU_DEP_1)
	v_pk_fma_f32 v[116:117], v[118:119], v[254:255], v[114:115] neg_lo:[0,0,1] neg_hi:[0,0,1]
	v_pk_fma_f32 v[114:115], v[118:119], v[254:255], v[114:115] op_sel_hi:[1,0,1]
	v_mov_b32_e32 v117, v115
	s_wait_loadcnt_dscnt 0x101
	s_set_vgpr_msb 4                        ;  msbs: dst=0 src0=0 src1=1 src2=0
	v_pk_mul_f32 v[114:115], v[120:121], v[0:1] /*v[256:257]*/ op_sel:[1,1] op_sel_hi:[0,1]
	s_set_vgpr_msb 0                        ;  msbs: dst=0 src0=0 src1=0 src2=0
	v_pk_add_f32 v[112:113], v[112:113], v[116:117]
	s_set_vgpr_msb 4                        ;  msbs: dst=0 src0=0 src1=1 src2=0
	s_delay_alu instid0(VALU_DEP_2) | instskip(SKIP_1) | instid1(VALU_DEP_1)
	v_pk_fma_f32 v[116:117], v[120:121], v[0:1] /*v[256:257]*/, v[114:115] neg_lo:[0,0,1] neg_hi:[0,0,1]
	v_pk_fma_f32 v[114:115], v[120:121], v[0:1] /*v[256:257]*/, v[114:115] op_sel_hi:[1,0,1]
	v_dual_mov_b32 v114, v123 :: v_dual_mov_b32 v117, v115
	v_mov_b32_e32 v115, v122
	s_set_vgpr_msb 0                        ;  msbs: dst=0 src0=0 src1=0 src2=0
	s_delay_alu instid0(VALU_DEP_2) | instskip(SKIP_3) | instid1(VALU_DEP_1)
	v_pk_add_f32 v[112:113], v[112:113], v[116:117]
	s_set_vgpr_msb 1                        ;  msbs: dst=0 src0=1 src1=0 src2=0
	v_mov_b32_e32 v116, v3 /*v259*/
	s_set_vgpr_msb 0                        ;  msbs: dst=0 src0=0 src1=0 src2=0
	v_pk_mul_f32 v[114:115], v[114:115], v[116:117] op_sel_hi:[1,0]
	s_set_vgpr_msb 4                        ;  msbs: dst=0 src0=0 src1=1 src2=0
	s_delay_alu instid0(VALU_DEP_1) | instskip(SKIP_1) | instid1(VALU_DEP_1)
	v_pk_fma_f32 v[116:117], v[122:123], v[2:3] /*v[258:259]*/, v[114:115] neg_lo:[0,0,1] neg_hi:[0,0,1]
	v_pk_fma_f32 v[114:115], v[122:123], v[2:3] /*v[258:259]*/, v[114:115] op_sel_hi:[1,0,1]
	v_mov_b32_e32 v117, v115
	s_wait_loadcnt_dscnt 0x0
	v_pk_mul_f32 v[114:115], v[124:125], v[4:5] /*v[260:261]*/ op_sel:[1,1] op_sel_hi:[0,1]
	s_set_vgpr_msb 0                        ;  msbs: dst=0 src0=0 src1=0 src2=0
	s_delay_alu instid0(VALU_DEP_2) | instskip(SKIP_1) | instid1(VALU_DEP_2)
	v_pk_add_f32 v[112:113], v[112:113], v[116:117]
	s_set_vgpr_msb 4                        ;  msbs: dst=0 src0=0 src1=1 src2=0
	v_pk_fma_f32 v[116:117], v[124:125], v[4:5] /*v[260:261]*/, v[114:115] neg_lo:[0,0,1] neg_hi:[0,0,1]
	v_pk_fma_f32 v[114:115], v[124:125], v[4:5] /*v[260:261]*/, v[114:115] op_sel_hi:[1,0,1]
	s_delay_alu instid0(VALU_DEP_1) | instskip(SKIP_2) | instid1(VALU_DEP_2)
	v_dual_mov_b32 v114, v127 :: v_dual_mov_b32 v117, v115
	v_mov_b32_e32 v115, v126
	s_set_vgpr_msb 0                        ;  msbs: dst=0 src0=0 src1=0 src2=0
	v_pk_add_f32 v[112:113], v[112:113], v[116:117]
	s_set_vgpr_msb 1                        ;  msbs: dst=0 src0=1 src1=0 src2=0
	v_mov_b32_e32 v116, v7 /*v263*/
	s_set_vgpr_msb 0                        ;  msbs: dst=0 src0=0 src1=0 src2=0
	s_delay_alu instid0(VALU_DEP_1) | instskip(SKIP_1) | instid1(VALU_DEP_1)
	v_pk_mul_f32 v[114:115], v[114:115], v[116:117] op_sel_hi:[1,0]
	s_set_vgpr_msb 4                        ;  msbs: dst=0 src0=0 src1=1 src2=0
	v_pk_fma_f32 v[116:117], v[126:127], v[6:7] /*v[262:263]*/, v[114:115] neg_lo:[0,0,1] neg_hi:[0,0,1]
	v_pk_fma_f32 v[114:115], v[126:127], v[6:7] /*v[262:263]*/, v[114:115] op_sel_hi:[1,0,1]
	s_delay_alu instid0(VALU_DEP_1) | instskip(SKIP_4) | instid1(VALU_DEP_1)
	v_mov_b32_e32 v117, v115
	scratch_load_b64 v[114:115], off, off offset:96
	s_set_vgpr_msb 0                        ;  msbs: dst=0 src0=0 src1=0 src2=0
	v_pk_add_f32 v[112:113], v[112:113], v[116:117]
	s_wait_loadcnt 0x0
	v_pk_add_f32 v[112:113], v[114:115], v[112:113] neg_lo:[0,1] neg_hi:[0,1]
	scratch_store_b64 off, v[112:113], off offset:96
	s_wait_xcnt 0x0
	v_cmpx_lt_u32_e32 11, v0
	s_cbranch_execz .LBB118_321
; %bb.320:
	scratch_load_b64 v[112:113], off, off offset:88
	v_mov_b64_e32 v[114:115], 0
	scratch_store_b64 off, v[114:115], off offset:88
	s_wait_loadcnt 0x0
	ds_store_b64 v1, v[112:113]
.LBB118_321:
	s_wait_xcnt 0x0
	s_or_b32 exec_lo, exec_lo, s0
	v_mov_b32_e32 v7, 0
	s_wait_storecnt_dscnt 0x0
	s_barrier_signal -1
	s_barrier_wait -1
	ds_load_b128 v[112:115], v7 offset:544
	ds_load_b128 v[116:119], v7 offset:560
	;; [unrolled: 1-line block ×4, first 2 shown]
	s_clause 0x11
	scratch_load_b128 v[128:131], off, off offset:96
	scratch_load_b128 v[132:135], off, off offset:112
	;; [unrolled: 1-line block ×18, first 2 shown]
	s_mov_b32 s0, exec_lo
	s_wait_loadcnt_dscnt 0x1103
	v_mul_f32_e32 v9, v112, v129
	ds_load_b128 v[240:243], v7 offset:800
	ds_load_b128 v[248:251], v7 offset:816
	;; [unrolled: 1-line block ×4, first 2 shown]
	v_dual_fmac_f32 v9, v113, v128 :: v_dual_mul_f32 v11, v114, v131
	ds_load_b128 v[160:163], v7 offset:640
	ds_load_b128 v[168:171], v7 offset:656
	;; [unrolled: 1-line block ×4, first 2 shown]
	v_dual_add_f32 v9, 0, v9 :: v_dual_fmac_f32 v11, v115, v130
	ds_load_b128 v[192:195], v7 offset:704
	ds_load_b128 v[200:203], v7 offset:720
	;; [unrolled: 1-line block ×4, first 2 shown]
	s_wait_loadcnt_dscnt 0x100e
	v_dual_add_f32 v9, v9, v11 :: v_dual_mul_f32 v11, v116, v133
	ds_load_b128 v[224:227], v7 offset:768
	ds_load_b128 v[232:235], v7 offset:784
	s_wait_loadcnt_dscnt 0xc
	s_set_vgpr_msb 64                       ;  msbs: dst=1 src0=0 src1=0 src2=0
	v_dual_mul_f32 v15 /*v271*/, v242, v247 :: v_dual_mul_f32 v17 /*v273*/, v248, v253
	s_set_vgpr_msb 0                        ;  msbs: dst=0 src0=0 src1=0 src2=0
	v_fmac_f32_e32 v11, v117, v132
	s_set_vgpr_msb 64                       ;  msbs: dst=1 src0=0 src1=0 src2=0
	s_clause 0x3
	scratch_load_b128 v[0:3] /*v[256:259]*/, off, off offset:384
	scratch_load_b128 v[4:7] /*v[260:263]*/, off, off offset:400
	;; [unrolled: 1-line block ×3, first 2 shown]
	scratch_load_b64 v[18:19] /*v[274:275]*/, off, off offset:432
	v_dual_fmac_f32 v15 /*v271*/, v243, v246 :: v_dual_fmac_f32 v17 /*v273*/, v249, v252
	s_set_vgpr_msb 0                        ;  msbs: dst=0 src0=0 src1=0 src2=0
	v_add_f32_e32 v9, v9, v11
	v_mul_f32_e32 v11, v118, v135
	s_delay_alu instid0(VALU_DEP_1) | instskip(NEXT) | instid1(VALU_DEP_1)
	v_fmac_f32_e32 v11, v119, v134
	v_dual_add_f32 v9, v9, v11 :: v_dual_mul_f32 v11, v120, v137
	s_delay_alu instid0(VALU_DEP_1) | instskip(NEXT) | instid1(VALU_DEP_1)
	v_fmac_f32_e32 v11, v121, v136
	v_add_f32_e32 v9, v9, v11
	v_mul_f32_e32 v11, v122, v139
	s_delay_alu instid0(VALU_DEP_1) | instskip(NEXT) | instid1(VALU_DEP_1)
	v_fmac_f32_e32 v11, v123, v138
	v_dual_add_f32 v9, v9, v11 :: v_dual_mul_f32 v11, v124, v141
	s_delay_alu instid0(VALU_DEP_1) | instskip(NEXT) | instid1(VALU_DEP_1)
	v_fmac_f32_e32 v11, v125, v140
	v_add_f32_e32 v9, v9, v11
	v_mul_f32_e32 v11, v126, v143
	s_delay_alu instid0(VALU_DEP_1) | instskip(SKIP_1) | instid1(VALU_DEP_1)
	v_fmac_f32_e32 v11, v127, v142
	s_wait_dscnt 0xb
	v_dual_add_f32 v9, v9, v11 :: v_dual_mul_f32 v11, v144, v149
	s_delay_alu instid0(VALU_DEP_1) | instskip(NEXT) | instid1(VALU_DEP_1)
	v_fmac_f32_e32 v11, v145, v148
	v_add_f32_e32 v9, v9, v11
	v_mul_f32_e32 v11, v146, v151
	s_delay_alu instid0(VALU_DEP_1) | instskip(SKIP_1) | instid1(VALU_DEP_1)
	v_fmac_f32_e32 v11, v147, v150
	s_wait_dscnt 0xa
	;; [unrolled: 8-line block ×12, first 2 shown]
	v_dual_add_f32 v9, v9, v11 :: v_dual_mul_f32 v11, v232, v237
	s_delay_alu instid0(VALU_DEP_1) | instskip(NEXT) | instid1(VALU_DEP_1)
	v_fmac_f32_e32 v11, v233, v236
	v_add_f32_e32 v9, v9, v11
	v_mul_f32_e32 v11, v234, v239
	s_delay_alu instid0(VALU_DEP_1) | instskip(NEXT) | instid1(VALU_DEP_1)
	v_fmac_f32_e32 v11, v235, v238
	v_dual_add_f32 v9, v9, v11 :: v_dual_mul_f32 v11, v240, v245
	s_delay_alu instid0(VALU_DEP_1) | instskip(SKIP_1) | instid1(VALU_DEP_1)
	v_fmac_f32_e32 v11, v241, v244
	s_set_vgpr_msb 64                       ;  msbs: dst=1 src0=0 src1=0 src2=0
	v_add_f32_e32 v13 /*v269*/, v9, v11
	s_set_vgpr_msb 0                        ;  msbs: dst=0 src0=0 src1=0 src2=0
	v_dual_mul_f32 v9, v113, v129 :: v_dual_mul_f32 v11, v115, v131
	s_delay_alu instid0(VALU_DEP_1) | instskip(NEXT) | instid1(VALU_DEP_2)
	v_dual_mov_b32 v129, v250 :: v_dual_fma_f32 v9, v112, v128, -v9
	v_dual_fma_f32 v11, v114, v130, -v11 :: v_dual_mov_b32 v128, v251
	s_delay_alu instid0(VALU_DEP_2) | instskip(NEXT) | instid1(VALU_DEP_1)
	v_dual_mov_b32 v130, v255 :: v_dual_add_f32 v9, 0, v9
	v_pk_mul_f32 v[128:129], v[128:129], v[130:131] op_sel_hi:[1,0]
	s_delay_alu instid0(VALU_DEP_2) | instskip(SKIP_1) | instid1(VALU_DEP_3)
	v_add_f32_e32 v9, v9, v11
	v_mul_f32_e32 v11, v117, v133
	v_pk_fma_f32 v[130:131], v[250:251], v[254:255], v[128:129] neg_lo:[0,0,1] neg_hi:[0,0,1]
	v_pk_fma_f32 v[128:129], v[250:251], v[254:255], v[128:129] op_sel_hi:[1,0,1]
	s_delay_alu instid0(VALU_DEP_1) | instskip(NEXT) | instid1(VALU_DEP_1)
	v_dual_fma_f32 v11, v116, v132, -v11 :: v_dual_mov_b32 v131, v129
	v_add_f32_e32 v9, v9, v11
	v_mul_f32_e32 v11, v119, v135
	s_delay_alu instid0(VALU_DEP_1) | instskip(NEXT) | instid1(VALU_DEP_1)
	v_fma_f32 v11, v118, v134, -v11
	v_add_f32_e32 v9, v9, v11
	v_mul_f32_e32 v11, v121, v137
	s_delay_alu instid0(VALU_DEP_1) | instskip(NEXT) | instid1(VALU_DEP_1)
	v_fma_f32 v11, v120, v136, -v11
	;; [unrolled: 4-line block ×3, first 2 shown]
	v_add_f32_e32 v9, v9, v11
	v_mul_f32_e32 v11, v125, v141
	s_delay_alu instid0(VALU_DEP_1)
	v_fma_f32 v11, v124, v140, -v11
	ds_load_b128 v[112:115], v7 offset:832
	ds_load_b128 v[116:119], v7 offset:848
	;; [unrolled: 1-line block ×3, first 2 shown]
	ds_load_b64 v[124:125], v7 offset:880
	v_add_f32_e32 v9, v9, v11
	v_mul_f32_e32 v11, v127, v143
	s_delay_alu instid0(VALU_DEP_1) | instskip(NEXT) | instid1(VALU_DEP_1)
	v_fma_f32 v11, v126, v142, -v11
	v_add_f32_e32 v9, v9, v11
	v_mul_f32_e32 v11, v145, v149
	s_wait_loadcnt_dscnt 0x303
	s_set_vgpr_msb 4                        ;  msbs: dst=0 src0=0 src1=1 src2=0
	v_pk_mul_f32 v[128:129], v[112:113], v[0:1] /*v[256:257]*/ op_sel:[1,1] op_sel_hi:[0,1]
	s_set_vgpr_msb 0                        ;  msbs: dst=0 src0=0 src1=0 src2=0
	v_fma_f32 v11, v144, v148, -v11
	s_delay_alu instid0(VALU_DEP_1) | instskip(SKIP_1) | instid1(VALU_DEP_1)
	v_add_f32_e32 v9, v9, v11
	v_mul_f32_e32 v11, v147, v151
	v_fma_f32 v11, v146, v150, -v11
	s_delay_alu instid0(VALU_DEP_1) | instskip(SKIP_1) | instid1(VALU_DEP_1)
	v_add_f32_e32 v9, v9, v11
	v_mul_f32_e32 v11, v153, v157
	;; [unrolled: 4-line block ×24, first 2 shown]
	v_fma_f32 v11, v240, v244, -v11
	s_set_vgpr_msb 64                       ;  msbs: dst=1 src0=0 src1=0 src2=0
	s_delay_alu instid0(VALU_DEP_1) | instskip(SKIP_3) | instid1(VALU_DEP_1)
	v_add_f32_e32 v12 /*v268*/, v9, v11
	s_set_vgpr_msb 0                        ;  msbs: dst=0 src0=0 src1=0 src2=0
	v_mul_f32_e32 v9, v243, v247
	s_set_vgpr_msb 64                       ;  msbs: dst=1 src0=0 src1=0 src2=0
	v_fma_f32 v14 /*v270*/, v242, v246, -v9
	s_set_vgpr_msb 0                        ;  msbs: dst=0 src0=0 src1=0 src2=0
	v_mul_f32_e32 v9, v249, v253
	s_set_vgpr_msb 5                        ;  msbs: dst=0 src0=1 src1=1 src2=0
	s_delay_alu instid0(VALU_DEP_2) | instskip(SKIP_1) | instid1(VALU_DEP_2)
	v_pk_add_f32 v[126:127], v[12:13] /*v[268:269]*/, v[14:15] /*v[270:271]*/
	s_set_vgpr_msb 64                       ;  msbs: dst=1 src0=0 src1=0 src2=0
	v_fma_f32 v16 /*v272*/, v248, v252, -v9
	s_set_vgpr_msb 4                        ;  msbs: dst=0 src0=0 src1=1 src2=0
	s_delay_alu instid0(VALU_DEP_1) | instskip(SKIP_1) | instid1(VALU_DEP_1)
	v_pk_add_f32 v[126:127], v[126:127], v[16:17] /*v[272:273]*/
	s_set_vgpr_msb 0                        ;  msbs: dst=0 src0=0 src1=0 src2=0
	v_pk_add_f32 v[126:127], v[126:127], v[130:131]
	s_set_vgpr_msb 4                        ;  msbs: dst=0 src0=0 src1=1 src2=0
	v_pk_fma_f32 v[130:131], v[112:113], v[0:1] /*v[256:257]*/, v[128:129] neg_lo:[0,0,1] neg_hi:[0,0,1]
	v_pk_fma_f32 v[112:113], v[112:113], v[0:1] /*v[256:257]*/, v[128:129] op_sel_hi:[1,0,1]
	s_set_vgpr_msb 1                        ;  msbs: dst=0 src0=1 src1=0 src2=0
	v_mov_b32_e32 v128, v3 /*v259*/
	s_set_vgpr_msb 0                        ;  msbs: dst=0 src0=0 src1=0 src2=0
	s_delay_alu instid0(VALU_DEP_2) | instskip(NEXT) | instid1(VALU_DEP_1)
	v_mov_b32_e32 v131, v113
	v_pk_add_f32 v[112:113], v[126:127], v[130:131]
	v_dual_mov_b32 v126, v115 :: v_dual_mov_b32 v127, v114
	s_delay_alu instid0(VALU_DEP_1) | instskip(SKIP_1) | instid1(VALU_DEP_1)
	v_pk_mul_f32 v[126:127], v[126:127], v[128:129] op_sel_hi:[1,0]
	s_set_vgpr_msb 4                        ;  msbs: dst=0 src0=0 src1=1 src2=0
	v_pk_fma_f32 v[128:129], v[114:115], v[2:3] /*v[258:259]*/, v[126:127] neg_lo:[0,0,1] neg_hi:[0,0,1]
	v_pk_fma_f32 v[114:115], v[114:115], v[2:3] /*v[258:259]*/, v[126:127] op_sel_hi:[1,0,1]
	s_delay_alu instid0(VALU_DEP_1) | instskip(SKIP_3) | instid1(VALU_DEP_2)
	v_mov_b32_e32 v129, v115
	s_wait_loadcnt_dscnt 0x202
	v_pk_mul_f32 v[114:115], v[116:117], v[4:5] /*v[260:261]*/ op_sel:[1,1] op_sel_hi:[0,1]
	s_set_vgpr_msb 0                        ;  msbs: dst=0 src0=0 src1=0 src2=0
	v_pk_add_f32 v[112:113], v[112:113], v[128:129]
	s_set_vgpr_msb 4                        ;  msbs: dst=0 src0=0 src1=1 src2=0
	s_delay_alu instid0(VALU_DEP_2)
	v_pk_fma_f32 v[126:127], v[116:117], v[4:5] /*v[260:261]*/, v[114:115] neg_lo:[0,0,1] neg_hi:[0,0,1]
	v_pk_fma_f32 v[114:115], v[116:117], v[4:5] /*v[260:261]*/, v[114:115] op_sel_hi:[1,0,1]
	v_mov_b32_e32 v114, v119
	s_set_vgpr_msb 1                        ;  msbs: dst=0 src0=1 src1=0 src2=0
	v_mov_b32_e32 v116, v7 /*v263*/
	s_set_vgpr_msb 0                        ;  msbs: dst=0 src0=0 src1=0 src2=0
	v_dual_mov_b32 v127, v115 :: v_dual_mov_b32 v115, v118
	s_delay_alu instid0(VALU_DEP_1) | instskip(NEXT) | instid1(VALU_DEP_2)
	v_pk_add_f32 v[112:113], v[112:113], v[126:127]
	v_pk_mul_f32 v[114:115], v[114:115], v[116:117] op_sel_hi:[1,0]
	s_set_vgpr_msb 4                        ;  msbs: dst=0 src0=0 src1=1 src2=0
	s_delay_alu instid0(VALU_DEP_1) | instskip(SKIP_1) | instid1(VALU_DEP_1)
	v_pk_fma_f32 v[116:117], v[118:119], v[6:7] /*v[262:263]*/, v[114:115] neg_lo:[0,0,1] neg_hi:[0,0,1]
	v_pk_fma_f32 v[114:115], v[118:119], v[6:7] /*v[262:263]*/, v[114:115] op_sel_hi:[1,0,1]
	v_mov_b32_e32 v117, v115
	s_wait_loadcnt_dscnt 0x101
	v_pk_mul_f32 v[114:115], v[120:121], v[8:9] /*v[264:265]*/ op_sel:[1,1] op_sel_hi:[0,1]
	s_set_vgpr_msb 0                        ;  msbs: dst=0 src0=0 src1=0 src2=0
	s_delay_alu instid0(VALU_DEP_2) | instskip(SKIP_1) | instid1(VALU_DEP_2)
	v_pk_add_f32 v[112:113], v[112:113], v[116:117]
	s_set_vgpr_msb 4                        ;  msbs: dst=0 src0=0 src1=1 src2=0
	v_pk_fma_f32 v[116:117], v[120:121], v[8:9] /*v[264:265]*/, v[114:115] neg_lo:[0,0,1] neg_hi:[0,0,1]
	v_pk_fma_f32 v[114:115], v[120:121], v[8:9] /*v[264:265]*/, v[114:115] op_sel_hi:[1,0,1]
	s_delay_alu instid0(VALU_DEP_1) | instskip(SKIP_2) | instid1(VALU_DEP_2)
	v_dual_mov_b32 v114, v123 :: v_dual_mov_b32 v117, v115
	v_mov_b32_e32 v115, v122
	s_set_vgpr_msb 0                        ;  msbs: dst=0 src0=0 src1=0 src2=0
	v_pk_add_f32 v[112:113], v[112:113], v[116:117]
	s_set_vgpr_msb 1                        ;  msbs: dst=0 src0=1 src1=0 src2=0
	v_mov_b32_e32 v116, v11 /*v267*/
	s_set_vgpr_msb 0                        ;  msbs: dst=0 src0=0 src1=0 src2=0
	s_delay_alu instid0(VALU_DEP_1) | instskip(SKIP_1) | instid1(VALU_DEP_1)
	v_pk_mul_f32 v[114:115], v[114:115], v[116:117] op_sel_hi:[1,0]
	s_set_vgpr_msb 4                        ;  msbs: dst=0 src0=0 src1=1 src2=0
	v_pk_fma_f32 v[116:117], v[122:123], v[10:11] /*v[266:267]*/, v[114:115] neg_lo:[0,0,1] neg_hi:[0,0,1]
	v_pk_fma_f32 v[114:115], v[122:123], v[10:11] /*v[266:267]*/, v[114:115] op_sel_hi:[1,0,1]
	s_delay_alu instid0(VALU_DEP_1) | instskip(SKIP_3) | instid1(VALU_DEP_2)
	v_mov_b32_e32 v117, v115
	s_wait_loadcnt_dscnt 0x0
	v_pk_mul_f32 v[114:115], v[124:125], v[18:19] /*v[274:275]*/ op_sel:[1,1] op_sel_hi:[0,1]
	s_set_vgpr_msb 0                        ;  msbs: dst=0 src0=0 src1=0 src2=0
	v_pk_add_f32 v[112:113], v[112:113], v[116:117]
	s_set_vgpr_msb 4                        ;  msbs: dst=0 src0=0 src1=1 src2=0
	s_delay_alu instid0(VALU_DEP_2) | instskip(SKIP_1) | instid1(VALU_DEP_1)
	v_pk_fma_f32 v[116:117], v[124:125], v[18:19] /*v[274:275]*/, v[114:115] neg_lo:[0,0,1] neg_hi:[0,0,1]
	v_pk_fma_f32 v[114:115], v[124:125], v[18:19] /*v[274:275]*/, v[114:115] op_sel_hi:[1,0,1]
	v_mov_b32_e32 v117, v115
	scratch_load_b64 v[114:115], off, off offset:88
	s_set_vgpr_msb 0                        ;  msbs: dst=0 src0=0 src1=0 src2=0
	v_pk_add_f32 v[112:113], v[112:113], v[116:117]
	s_wait_loadcnt 0x0
	s_delay_alu instid0(VALU_DEP_1)
	v_pk_add_f32 v[112:113], v[114:115], v[112:113] neg_lo:[0,1] neg_hi:[0,1]
	scratch_store_b64 off, v[112:113], off offset:88
	s_wait_xcnt 0x0
	v_cmpx_lt_u32_e32 10, v0
	s_cbranch_execz .LBB118_323
; %bb.322:
	scratch_load_b64 v[112:113], off, off offset:80
	v_mov_b64_e32 v[114:115], 0
	scratch_store_b64 off, v[114:115], off offset:80
	s_wait_loadcnt 0x0
	ds_store_b64 v1, v[112:113]
.LBB118_323:
	s_wait_xcnt 0x0
	s_or_b32 exec_lo, exec_lo, s0
	s_wait_storecnt_dscnt 0x0
	s_barrier_signal -1
	s_barrier_wait -1
	s_clause 0xf
	scratch_load_b128 v[116:119], off, off offset:88
	scratch_load_b128 v[124:127], off, off offset:104
	;; [unrolled: 1-line block ×16, first 2 shown]
	ds_load_2addr_b64 v[112:115], v7 offset0:67 offset1:68
	ds_load_2addr_b64 v[120:123], v7 offset0:69 offset1:70
	s_clause 0x1
	scratch_load_b128 v[244:247], off, off offset:344
	scratch_load_b128 v[252:255], off, off offset:360
	ds_load_2addr_b64 v[128:131], v7 offset0:71 offset1:72
	ds_load_2addr_b64 v[136:139], v7 offset0:73 offset1:74
	;; [unrolled: 1-line block ×16, first 2 shown]
	s_set_vgpr_msb 64                       ;  msbs: dst=1 src0=0 src1=0 src2=0
	s_clause 0x3
	scratch_load_b128 v[0:3] /*v[256:259]*/, off, off offset:376
	scratch_load_b128 v[4:7] /*v[260:263]*/, off, off offset:392
	;; [unrolled: 1-line block ×4, first 2 shown]
	s_mov_b32 s0, exec_lo
	s_wait_loadcnt_dscnt 0x1511
	s_set_vgpr_msb 0                        ;  msbs: dst=0 src0=0 src1=0 src2=0
	v_dual_mul_f32 v9, v112, v117 :: v_dual_mul_f32 v11, v114, v119
	s_delay_alu instid0(VALU_DEP_1) | instskip(NEXT) | instid1(VALU_DEP_1)
	v_dual_fmac_f32 v9, v113, v116 :: v_dual_fmac_f32 v11, v115, v118
	v_add_f32_e32 v9, 0, v9
	s_wait_loadcnt_dscnt 0x1410
	s_delay_alu instid0(VALU_DEP_1)
	v_dual_add_f32 v9, v9, v11 :: v_dual_mul_f32 v11, v120, v125
	s_wait_loadcnt_dscnt 0x40a
	s_set_vgpr_msb 64                       ;  msbs: dst=1 src0=0 src1=0 src2=0
	v_dual_mul_f32 v19 /*v275*/, v248, v253 :: v_dual_mul_f32 v21 /*v277*/, v250, v255
	s_set_vgpr_msb 0                        ;  msbs: dst=0 src0=0 src1=0 src2=0
	v_fmac_f32_e32 v11, v121, v124
	s_set_vgpr_msb 64                       ;  msbs: dst=1 src0=0 src1=0 src2=0
	s_delay_alu instid0(VALU_DEP_2) | instskip(SKIP_1) | instid1(VALU_DEP_2)
	v_fmac_f32_e32 v19 /*v275*/, v249, v252
	s_set_vgpr_msb 0                        ;  msbs: dst=0 src0=0 src1=0 src2=0
	v_add_f32_e32 v9, v9, v11
	v_mul_f32_e32 v11, v122, v127
	s_delay_alu instid0(VALU_DEP_1) | instskip(NEXT) | instid1(VALU_DEP_1)
	v_fmac_f32_e32 v11, v123, v126
	v_dual_add_f32 v9, v9, v11 :: v_dual_mul_f32 v11, v128, v133
	s_delay_alu instid0(VALU_DEP_1) | instskip(NEXT) | instid1(VALU_DEP_1)
	v_fmac_f32_e32 v11, v129, v132
	v_add_f32_e32 v9, v9, v11
	v_mul_f32_e32 v11, v130, v135
	s_delay_alu instid0(VALU_DEP_1) | instskip(NEXT) | instid1(VALU_DEP_1)
	v_fmac_f32_e32 v11, v131, v134
	v_dual_add_f32 v9, v9, v11 :: v_dual_mul_f32 v11, v136, v141
	s_delay_alu instid0(VALU_DEP_1) | instskip(NEXT) | instid1(VALU_DEP_1)
	v_fmac_f32_e32 v11, v137, v140
	;; [unrolled: 7-line block ×4, first 2 shown]
	v_add_f32_e32 v9, v9, v11
	v_mul_f32_e32 v11, v154, v159
	s_delay_alu instid0(VALU_DEP_1) | instskip(SKIP_1) | instid1(VALU_DEP_1)
	v_fmac_f32_e32 v11, v155, v158
	s_wait_dscnt 0x9
	v_dual_add_f32 v9, v9, v11 :: v_dual_mul_f32 v11, v160, v165
	s_delay_alu instid0(VALU_DEP_1) | instskip(NEXT) | instid1(VALU_DEP_1)
	v_fmac_f32_e32 v11, v161, v164
	v_add_f32_e32 v9, v9, v11
	v_mul_f32_e32 v11, v162, v167
	s_delay_alu instid0(VALU_DEP_1) | instskip(SKIP_1) | instid1(VALU_DEP_1)
	v_fmac_f32_e32 v11, v163, v166
	s_wait_dscnt 0x8
	v_dual_add_f32 v9, v9, v11 :: v_dual_mul_f32 v11, v168, v173
	s_delay_alu instid0(VALU_DEP_1) | instskip(NEXT) | instid1(VALU_DEP_1)
	v_fmac_f32_e32 v11, v169, v172
	;; [unrolled: 8-line block ×10, first 2 shown]
	v_add_f32_e32 v9, v9, v11
	v_mul_f32_e32 v11, v234, v239
	s_delay_alu instid0(VALU_DEP_1) | instskip(NEXT) | instid1(VALU_DEP_1)
	v_fmac_f32_e32 v11, v235, v238
	v_dual_add_f32 v9, v9, v11 :: v_dual_mul_f32 v11, v240, v245
	s_delay_alu instid0(VALU_DEP_1) | instskip(NEXT) | instid1(VALU_DEP_1)
	v_fmac_f32_e32 v11, v241, v244
	v_add_f32_e32 v9, v9, v11
	v_mul_f32_e32 v11, v242, v247
	s_delay_alu instid0(VALU_DEP_1) | instskip(SKIP_1) | instid1(VALU_DEP_1)
	v_fmac_f32_e32 v11, v243, v246
	s_set_vgpr_msb 64                       ;  msbs: dst=1 src0=0 src1=0 src2=0
	v_add_f32_e32 v17 /*v273*/, v9, v11
	s_set_vgpr_msb 0                        ;  msbs: dst=0 src0=0 src1=0 src2=0
	v_dual_mul_f32 v9, v113, v117 :: v_dual_mul_f32 v11, v115, v119
	s_delay_alu instid0(VALU_DEP_1) | instskip(NEXT) | instid1(VALU_DEP_1)
	v_dual_fma_f32 v9, v112, v116, -v9 :: v_dual_fma_f32 v11, v114, v118, -v11
	v_add_f32_e32 v9, 0, v9
	s_delay_alu instid0(VALU_DEP_1) | instskip(SKIP_1) | instid1(VALU_DEP_1)
	v_add_f32_e32 v9, v9, v11
	v_mul_f32_e32 v11, v121, v125
	v_fma_f32 v11, v120, v124, -v11
	s_delay_alu instid0(VALU_DEP_1) | instskip(SKIP_1) | instid1(VALU_DEP_1)
	v_add_f32_e32 v9, v9, v11
	v_mul_f32_e32 v11, v123, v127
	v_fma_f32 v11, v122, v126, -v11
	ds_load_2addr_b64 v[112:115], v7 offset0:103 offset1:104
	ds_load_2addr_b64 v[116:119], v7 offset0:105 offset1:106
	;; [unrolled: 1-line block ×4, first 2 shown]
	v_add_f32_e32 v9, v9, v11
	v_mul_f32_e32 v11, v129, v133
	s_delay_alu instid0(VALU_DEP_1) | instskip(NEXT) | instid1(VALU_DEP_1)
	v_fma_f32 v11, v128, v132, -v11
	v_add_f32_e32 v9, v9, v11
	v_mul_f32_e32 v11, v131, v135
	s_delay_alu instid0(VALU_DEP_1)
	v_fma_f32 v11, v130, v134, -v11
	s_wait_loadcnt_dscnt 0x303
	s_set_vgpr_msb 4                        ;  msbs: dst=0 src0=0 src1=1 src2=0
	v_pk_mul_f32 v[130:131], v[112:113], v[0:1] /*v[256:257]*/ op_sel:[1,1] op_sel_hi:[0,1]
	s_set_vgpr_msb 0                        ;  msbs: dst=0 src0=0 src1=0 src2=0
	v_add_f32_e32 v9, v9, v11
	v_mul_f32_e32 v11, v137, v141
	s_set_vgpr_msb 4                        ;  msbs: dst=0 src0=0 src1=1 src2=0
	v_pk_fma_f32 v[132:133], v[112:113], v[0:1] /*v[256:257]*/, v[130:131] neg_lo:[0,0,1] neg_hi:[0,0,1]
	v_pk_fma_f32 v[112:113], v[112:113], v[0:1] /*v[256:257]*/, v[130:131] op_sel_hi:[1,0,1]
	s_set_vgpr_msb 1                        ;  msbs: dst=0 src0=1 src1=0 src2=0
	v_mov_b32_e32 v130, v3 /*v259*/
	s_set_vgpr_msb 0                        ;  msbs: dst=0 src0=0 src1=0 src2=0
	s_delay_alu instid0(VALU_DEP_2) | instskip(NEXT) | instid1(VALU_DEP_1)
	v_dual_fma_f32 v11, v136, v140, -v11 :: v_dual_mov_b32 v133, v113
	v_add_f32_e32 v9, v9, v11
	v_mul_f32_e32 v11, v139, v143
	s_delay_alu instid0(VALU_DEP_1) | instskip(NEXT) | instid1(VALU_DEP_1)
	v_fma_f32 v11, v138, v142, -v11
	v_add_f32_e32 v9, v9, v11
	v_mul_f32_e32 v11, v145, v149
	s_delay_alu instid0(VALU_DEP_1) | instskip(NEXT) | instid1(VALU_DEP_1)
	v_fma_f32 v11, v144, v148, -v11
	;; [unrolled: 4-line block ×26, first 2 shown]
	v_add_f32_e32 v9, v9, v11
	v_mul_f32_e32 v11, v243, v247
	s_delay_alu instid0(VALU_DEP_1) | instskip(SKIP_1) | instid1(VALU_DEP_1)
	v_fma_f32 v11, v242, v246, -v11
	s_set_vgpr_msb 64                       ;  msbs: dst=1 src0=0 src1=0 src2=0
	v_dual_fmac_f32 v21 /*v277*/, v251, v254 :: v_dual_add_f32 v16 /*v272*/, v9, v11
	s_set_vgpr_msb 0                        ;  msbs: dst=0 src0=0 src1=0 src2=0
	v_mul_f32_e32 v9, v249, v253
	s_set_vgpr_msb 64                       ;  msbs: dst=1 src0=0 src1=0 src2=0
	s_delay_alu instid0(VALU_DEP_1) | instskip(SKIP_3) | instid1(VALU_DEP_1)
	v_fma_f32 v18 /*v274*/, v248, v252, -v9
	s_set_vgpr_msb 0                        ;  msbs: dst=0 src0=0 src1=0 src2=0
	v_mul_f32_e32 v9, v251, v255
	s_set_vgpr_msb 64                       ;  msbs: dst=1 src0=0 src1=0 src2=0
	v_fma_f32 v20 /*v276*/, v250, v254, -v9
	s_set_vgpr_msb 5                        ;  msbs: dst=0 src0=1 src1=1 src2=0
	v_pk_add_f32 v[128:129], v[16:17] /*v[272:273]*/, v[18:19] /*v[274:275]*/
	s_set_vgpr_msb 4                        ;  msbs: dst=0 src0=0 src1=1 src2=0
	s_delay_alu instid0(VALU_DEP_1) | instskip(SKIP_1) | instid1(VALU_DEP_1)
	v_pk_add_f32 v[128:129], v[128:129], v[20:21] /*v[276:277]*/
	s_set_vgpr_msb 0                        ;  msbs: dst=0 src0=0 src1=0 src2=0
	v_pk_add_f32 v[112:113], v[128:129], v[132:133]
	v_dual_mov_b32 v128, v115 :: v_dual_mov_b32 v129, v114
	s_delay_alu instid0(VALU_DEP_1) | instskip(SKIP_1) | instid1(VALU_DEP_1)
	v_pk_mul_f32 v[128:129], v[128:129], v[130:131] op_sel_hi:[1,0]
	s_set_vgpr_msb 4                        ;  msbs: dst=0 src0=0 src1=1 src2=0
	v_pk_fma_f32 v[130:131], v[114:115], v[2:3] /*v[258:259]*/, v[128:129] neg_lo:[0,0,1] neg_hi:[0,0,1]
	v_pk_fma_f32 v[114:115], v[114:115], v[2:3] /*v[258:259]*/, v[128:129] op_sel_hi:[1,0,1]
	s_delay_alu instid0(VALU_DEP_1) | instskip(SKIP_3) | instid1(VALU_DEP_2)
	v_mov_b32_e32 v131, v115
	s_wait_loadcnt_dscnt 0x202
	v_pk_mul_f32 v[114:115], v[116:117], v[4:5] /*v[260:261]*/ op_sel:[1,1] op_sel_hi:[0,1]
	s_set_vgpr_msb 0                        ;  msbs: dst=0 src0=0 src1=0 src2=0
	v_pk_add_f32 v[112:113], v[112:113], v[130:131]
	s_set_vgpr_msb 4                        ;  msbs: dst=0 src0=0 src1=1 src2=0
	s_delay_alu instid0(VALU_DEP_2)
	v_pk_fma_f32 v[128:129], v[116:117], v[4:5] /*v[260:261]*/, v[114:115] neg_lo:[0,0,1] neg_hi:[0,0,1]
	v_pk_fma_f32 v[114:115], v[116:117], v[4:5] /*v[260:261]*/, v[114:115] op_sel_hi:[1,0,1]
	v_mov_b32_e32 v114, v119
	s_set_vgpr_msb 1                        ;  msbs: dst=0 src0=1 src1=0 src2=0
	v_mov_b32_e32 v116, v7 /*v263*/
	s_set_vgpr_msb 0                        ;  msbs: dst=0 src0=0 src1=0 src2=0
	v_dual_mov_b32 v129, v115 :: v_dual_mov_b32 v115, v118
	s_delay_alu instid0(VALU_DEP_1) | instskip(NEXT) | instid1(VALU_DEP_2)
	v_pk_add_f32 v[112:113], v[112:113], v[128:129]
	v_pk_mul_f32 v[114:115], v[114:115], v[116:117] op_sel_hi:[1,0]
	s_set_vgpr_msb 4                        ;  msbs: dst=0 src0=0 src1=1 src2=0
	s_delay_alu instid0(VALU_DEP_1) | instskip(SKIP_1) | instid1(VALU_DEP_1)
	v_pk_fma_f32 v[116:117], v[118:119], v[6:7] /*v[262:263]*/, v[114:115] neg_lo:[0,0,1] neg_hi:[0,0,1]
	v_pk_fma_f32 v[114:115], v[118:119], v[6:7] /*v[262:263]*/, v[114:115] op_sel_hi:[1,0,1]
	v_mov_b32_e32 v117, v115
	s_wait_loadcnt_dscnt 0x101
	v_pk_mul_f32 v[114:115], v[120:121], v[8:9] /*v[264:265]*/ op_sel:[1,1] op_sel_hi:[0,1]
	s_set_vgpr_msb 0                        ;  msbs: dst=0 src0=0 src1=0 src2=0
	s_delay_alu instid0(VALU_DEP_2) | instskip(SKIP_1) | instid1(VALU_DEP_2)
	v_pk_add_f32 v[112:113], v[112:113], v[116:117]
	s_set_vgpr_msb 4                        ;  msbs: dst=0 src0=0 src1=1 src2=0
	v_pk_fma_f32 v[116:117], v[120:121], v[8:9] /*v[264:265]*/, v[114:115] neg_lo:[0,0,1] neg_hi:[0,0,1]
	v_pk_fma_f32 v[114:115], v[120:121], v[8:9] /*v[264:265]*/, v[114:115] op_sel_hi:[1,0,1]
	s_delay_alu instid0(VALU_DEP_1) | instskip(SKIP_2) | instid1(VALU_DEP_2)
	v_dual_mov_b32 v114, v123 :: v_dual_mov_b32 v117, v115
	v_mov_b32_e32 v115, v122
	s_set_vgpr_msb 0                        ;  msbs: dst=0 src0=0 src1=0 src2=0
	v_pk_add_f32 v[112:113], v[112:113], v[116:117]
	s_set_vgpr_msb 1                        ;  msbs: dst=0 src0=1 src1=0 src2=0
	v_mov_b32_e32 v116, v11 /*v267*/
	s_set_vgpr_msb 0                        ;  msbs: dst=0 src0=0 src1=0 src2=0
	s_delay_alu instid0(VALU_DEP_1) | instskip(SKIP_1) | instid1(VALU_DEP_1)
	v_pk_mul_f32 v[114:115], v[114:115], v[116:117] op_sel_hi:[1,0]
	s_set_vgpr_msb 4                        ;  msbs: dst=0 src0=0 src1=1 src2=0
	v_pk_fma_f32 v[116:117], v[122:123], v[10:11] /*v[266:267]*/, v[114:115] neg_lo:[0,0,1] neg_hi:[0,0,1]
	v_pk_fma_f32 v[114:115], v[122:123], v[10:11] /*v[266:267]*/, v[114:115] op_sel_hi:[1,0,1]
	s_delay_alu instid0(VALU_DEP_1) | instskip(SKIP_3) | instid1(VALU_DEP_2)
	v_mov_b32_e32 v117, v115
	s_wait_loadcnt_dscnt 0x0
	v_pk_mul_f32 v[114:115], v[124:125], v[12:13] /*v[268:269]*/ op_sel:[1,1] op_sel_hi:[0,1]
	s_set_vgpr_msb 0                        ;  msbs: dst=0 src0=0 src1=0 src2=0
	v_pk_add_f32 v[112:113], v[112:113], v[116:117]
	s_set_vgpr_msb 4                        ;  msbs: dst=0 src0=0 src1=1 src2=0
	s_delay_alu instid0(VALU_DEP_2) | instskip(SKIP_1) | instid1(VALU_DEP_1)
	v_pk_fma_f32 v[116:117], v[124:125], v[12:13] /*v[268:269]*/, v[114:115] neg_lo:[0,0,1] neg_hi:[0,0,1]
	v_pk_fma_f32 v[114:115], v[124:125], v[12:13] /*v[268:269]*/, v[114:115] op_sel_hi:[1,0,1]
	v_dual_mov_b32 v114, v127 :: v_dual_mov_b32 v117, v115
	v_mov_b32_e32 v115, v126
	s_set_vgpr_msb 0                        ;  msbs: dst=0 src0=0 src1=0 src2=0
	s_delay_alu instid0(VALU_DEP_2) | instskip(SKIP_3) | instid1(VALU_DEP_1)
	v_pk_add_f32 v[112:113], v[112:113], v[116:117]
	s_set_vgpr_msb 1                        ;  msbs: dst=0 src0=1 src1=0 src2=0
	v_mov_b32_e32 v116, v15 /*v271*/
	s_set_vgpr_msb 0                        ;  msbs: dst=0 src0=0 src1=0 src2=0
	v_pk_mul_f32 v[114:115], v[114:115], v[116:117] op_sel_hi:[1,0]
	s_set_vgpr_msb 4                        ;  msbs: dst=0 src0=0 src1=1 src2=0
	s_delay_alu instid0(VALU_DEP_1) | instskip(SKIP_1) | instid1(VALU_DEP_1)
	v_pk_fma_f32 v[116:117], v[126:127], v[14:15] /*v[270:271]*/, v[114:115] neg_lo:[0,0,1] neg_hi:[0,0,1]
	v_pk_fma_f32 v[114:115], v[126:127], v[14:15] /*v[270:271]*/, v[114:115] op_sel_hi:[1,0,1]
	v_mov_b32_e32 v117, v115
	scratch_load_b64 v[114:115], off, off offset:80
	s_set_vgpr_msb 0                        ;  msbs: dst=0 src0=0 src1=0 src2=0
	v_pk_add_f32 v[112:113], v[112:113], v[116:117]
	s_wait_loadcnt 0x0
	s_delay_alu instid0(VALU_DEP_1)
	v_pk_add_f32 v[112:113], v[114:115], v[112:113] neg_lo:[0,1] neg_hi:[0,1]
	scratch_store_b64 off, v[112:113], off offset:80
	s_wait_xcnt 0x0
	v_cmpx_lt_u32_e32 9, v0
	s_cbranch_execz .LBB118_325
; %bb.324:
	scratch_load_b64 v[112:113], off, off offset:72
	v_mov_b64_e32 v[114:115], 0
	scratch_store_b64 off, v[114:115], off offset:72
	s_wait_loadcnt 0x0
	ds_store_b64 v1, v[112:113]
.LBB118_325:
	s_wait_xcnt 0x0
	s_or_b32 exec_lo, exec_lo, s0
	v_mov_b32_e32 v7, 0
	s_wait_storecnt_dscnt 0x0
	s_barrier_signal -1
	s_barrier_wait -1
	ds_load_b128 v[112:115], v7 offset:528
	ds_load_b128 v[116:119], v7 offset:544
	;; [unrolled: 1-line block ×4, first 2 shown]
	s_clause 0x13
	scratch_load_b128 v[128:131], off, off offset:80
	scratch_load_b128 v[132:135], off, off offset:96
	scratch_load_b128 v[136:139], off, off offset:112
	scratch_load_b128 v[140:143], off, off offset:128
	scratch_load_b128 v[148:151], off, off offset:144
	scratch_load_b128 v[156:159], off, off offset:160
	scratch_load_b128 v[164:167], off, off offset:176
	scratch_load_b128 v[172:175], off, off offset:192
	scratch_load_b128 v[180:183], off, off offset:208
	scratch_load_b128 v[188:191], off, off offset:224
	scratch_load_b128 v[196:199], off, off offset:240
	scratch_load_b128 v[204:207], off, off offset:256
	scratch_load_b128 v[212:215], off, off offset:272
	scratch_load_b128 v[220:223], off, off offset:288
	scratch_load_b128 v[228:231], off, off offset:304
	scratch_load_b128 v[236:239], off, off offset:320
	scratch_load_b128 v[244:247], off, off offset:336
	scratch_load_b128 v[252:255], off, off offset:352
	s_set_vgpr_msb 64                       ;  msbs: dst=1 src0=0 src1=0 src2=0
	scratch_load_b128 v[4:7] /*v[260:263]*/, off, off offset:368
	s_mov_b32 s0, exec_lo
	s_wait_loadcnt_dscnt 0x1203
	s_set_vgpr_msb 0                        ;  msbs: dst=0 src0=0 src1=0 src2=0
	v_mul_f32_e32 v9, v112, v129
	ds_load_b128 v[240:243], v7 offset:784
	ds_load_b128 v[248:251], v7 offset:800
	;; [unrolled: 1-line block ×4, first 2 shown]
	v_dual_fmac_f32 v9, v113, v128 :: v_dual_mul_f32 v11, v114, v131
	ds_load_b128 v[160:163], v7 offset:624
	ds_load_b128 v[168:171], v7 offset:640
	;; [unrolled: 1-line block ×4, first 2 shown]
	v_dual_add_f32 v9, 0, v9 :: v_dual_fmac_f32 v11, v115, v130
	ds_load_b128 v[192:195], v7 offset:688
	ds_load_b128 v[200:203], v7 offset:704
	;; [unrolled: 1-line block ×4, first 2 shown]
	s_wait_loadcnt_dscnt 0x110e
	v_dual_add_f32 v9, v9, v11 :: v_dual_mul_f32 v11, v116, v133
	ds_load_b128 v[224:227], v7 offset:752
	ds_load_b128 v[232:235], v7 offset:768
	s_set_vgpr_msb 64                       ;  msbs: dst=1 src0=0 src1=0 src2=0
	ds_load_b128 v[0:3] /*v[256:259]*/, v7 offset:816
	s_wait_loadcnt_dscnt 0x10d
	v_mul_f32_e32 v23 /*v279*/, v250, v255
	s_set_vgpr_msb 0                        ;  msbs: dst=0 src0=0 src1=0 src2=0
	v_fmac_f32_e32 v11, v117, v132
	s_set_vgpr_msb 64                       ;  msbs: dst=1 src0=0 src1=0 src2=0
	s_clause 0x3
	scratch_load_b128 v[8:11] /*v[264:267]*/, off, off offset:384
	scratch_load_b128 v[12:15] /*v[268:271]*/, off, off offset:400
	scratch_load_b128 v[16:19] /*v[272:275]*/, off, off offset:416
	scratch_load_b64 v[26:27] /*v[282:283]*/, off, off offset:432
	s_set_vgpr_msb 0                        ;  msbs: dst=0 src0=0 src1=0 src2=0
	v_add_f32_e32 v9, v9, v11
	v_mul_f32_e32 v11, v118, v135
	s_delay_alu instid0(VALU_DEP_1) | instskip(NEXT) | instid1(VALU_DEP_1)
	v_fmac_f32_e32 v11, v119, v134
	v_dual_add_f32 v9, v9, v11 :: v_dual_mul_f32 v11, v120, v137
	s_delay_alu instid0(VALU_DEP_1) | instskip(NEXT) | instid1(VALU_DEP_1)
	v_fmac_f32_e32 v11, v121, v136
	v_add_f32_e32 v9, v9, v11
	v_mul_f32_e32 v11, v122, v139
	s_delay_alu instid0(VALU_DEP_1) | instskip(NEXT) | instid1(VALU_DEP_1)
	v_fmac_f32_e32 v11, v123, v138
	v_dual_add_f32 v9, v9, v11 :: v_dual_mul_f32 v11, v124, v141
	s_delay_alu instid0(VALU_DEP_1) | instskip(NEXT) | instid1(VALU_DEP_1)
	v_fmac_f32_e32 v11, v125, v140
	v_add_f32_e32 v9, v9, v11
	v_mul_f32_e32 v11, v126, v143
	s_delay_alu instid0(VALU_DEP_1) | instskip(SKIP_1) | instid1(VALU_DEP_1)
	v_fmac_f32_e32 v11, v127, v142
	s_wait_dscnt 0xc
	v_dual_add_f32 v9, v9, v11 :: v_dual_mul_f32 v11, v144, v149
	s_delay_alu instid0(VALU_DEP_1) | instskip(NEXT) | instid1(VALU_DEP_1)
	v_fmac_f32_e32 v11, v145, v148
	v_add_f32_e32 v9, v9, v11
	v_mul_f32_e32 v11, v146, v151
	s_delay_alu instid0(VALU_DEP_1) | instskip(SKIP_1) | instid1(VALU_DEP_1)
	v_fmac_f32_e32 v11, v147, v150
	s_wait_dscnt 0xb
	;; [unrolled: 8-line block ×12, first 2 shown]
	v_dual_add_f32 v9, v9, v11 :: v_dual_mul_f32 v11, v232, v237
	s_delay_alu instid0(VALU_DEP_1) | instskip(NEXT) | instid1(VALU_DEP_1)
	v_fmac_f32_e32 v11, v233, v236
	v_add_f32_e32 v9, v9, v11
	v_mul_f32_e32 v11, v234, v239
	s_delay_alu instid0(VALU_DEP_1) | instskip(NEXT) | instid1(VALU_DEP_1)
	v_fmac_f32_e32 v11, v235, v238
	v_dual_add_f32 v9, v9, v11 :: v_dual_mul_f32 v11, v240, v245
	s_delay_alu instid0(VALU_DEP_1) | instskip(NEXT) | instid1(VALU_DEP_1)
	v_fmac_f32_e32 v11, v241, v244
	v_add_f32_e32 v9, v9, v11
	v_mul_f32_e32 v11, v242, v247
	s_delay_alu instid0(VALU_DEP_1) | instskip(NEXT) | instid1(VALU_DEP_1)
	v_fmac_f32_e32 v11, v243, v246
	v_dual_add_f32 v9, v9, v11 :: v_dual_mul_f32 v11, v248, v253
	s_delay_alu instid0(VALU_DEP_1) | instskip(SKIP_1) | instid1(VALU_DEP_1)
	v_fmac_f32_e32 v11, v249, v252
	s_set_vgpr_msb 64                       ;  msbs: dst=1 src0=0 src1=0 src2=0
	v_add_f32_e32 v21 /*v277*/, v9, v11
	s_set_vgpr_msb 0                        ;  msbs: dst=0 src0=0 src1=0 src2=0
	v_dual_mul_f32 v9, v113, v129 :: v_dual_mul_f32 v11, v115, v131
	s_wait_dscnt 0x0
	s_set_vgpr_msb 1                        ;  msbs: dst=0 src0=1 src1=0 src2=0
	v_mov_b32_e32 v129, v2 /*v258*/
	s_set_vgpr_msb 0                        ;  msbs: dst=0 src0=0 src1=0 src2=0
	v_dual_fma_f32 v9, v112, v128, -v9 :: v_dual_fma_f32 v11, v114, v130, -v11
	s_wait_loadcnt 0x4
	s_set_vgpr_msb 1                        ;  msbs: dst=0 src0=1 src1=0 src2=0
	v_dual_mov_b32 v130, v7 /*v263*/ :: v_dual_mov_b32 v128, v3 /*v259*/
	s_delay_alu instid0(VALU_DEP_2) | instskip(SKIP_1) | instid1(VALU_DEP_2)
	v_add_f32_e32 v9, 0, v9
	s_set_vgpr_msb 0                        ;  msbs: dst=0 src0=0 src1=0 src2=0
	v_pk_mul_f32 v[128:129], v[128:129], v[130:131] op_sel_hi:[1,0]
	s_delay_alu instid0(VALU_DEP_2) | instskip(SKIP_2) | instid1(VALU_DEP_3)
	v_add_f32_e32 v9, v9, v11
	v_mul_f32_e32 v11, v117, v133
	s_set_vgpr_msb 5                        ;  msbs: dst=0 src0=1 src1=1 src2=0
	v_pk_fma_f32 v[130:131], v[2:3] /*v[258:259]*/, v[6:7] /*v[262:263]*/, v[128:129] neg_lo:[0,0,1] neg_hi:[0,0,1]
	v_pk_fma_f32 v[128:129], v[2:3] /*v[258:259]*/, v[6:7] /*v[262:263]*/, v[128:129] op_sel_hi:[1,0,1]
	s_set_vgpr_msb 0                        ;  msbs: dst=0 src0=0 src1=0 src2=0
	s_delay_alu instid0(VALU_DEP_1) | instskip(NEXT) | instid1(VALU_DEP_1)
	v_dual_fma_f32 v11, v116, v132, -v11 :: v_dual_mov_b32 v131, v129
	v_add_f32_e32 v9, v9, v11
	v_mul_f32_e32 v11, v119, v135
	s_delay_alu instid0(VALU_DEP_1) | instskip(NEXT) | instid1(VALU_DEP_1)
	v_fma_f32 v11, v118, v134, -v11
	v_add_f32_e32 v9, v9, v11
	v_mul_f32_e32 v11, v121, v137
	s_delay_alu instid0(VALU_DEP_1) | instskip(NEXT) | instid1(VALU_DEP_1)
	v_fma_f32 v11, v120, v136, -v11
	;; [unrolled: 4-line block ×3, first 2 shown]
	v_add_f32_e32 v9, v9, v11
	v_mul_f32_e32 v11, v125, v141
	s_delay_alu instid0(VALU_DEP_1)
	v_fma_f32 v11, v124, v140, -v11
	ds_load_b128 v[112:115], v7 offset:832
	ds_load_b128 v[116:119], v7 offset:848
	;; [unrolled: 1-line block ×3, first 2 shown]
	ds_load_b64 v[124:125], v7 offset:880
	v_add_f32_e32 v9, v9, v11
	v_mul_f32_e32 v11, v127, v143
	s_delay_alu instid0(VALU_DEP_1) | instskip(NEXT) | instid1(VALU_DEP_1)
	v_fma_f32 v11, v126, v142, -v11
	v_add_f32_e32 v9, v9, v11
	v_mul_f32_e32 v11, v145, v149
	s_wait_loadcnt_dscnt 0x303
	s_set_vgpr_msb 4                        ;  msbs: dst=0 src0=0 src1=1 src2=0
	v_pk_mul_f32 v[128:129], v[112:113], v[8:9] /*v[264:265]*/ op_sel:[1,1] op_sel_hi:[0,1]
	s_set_vgpr_msb 0                        ;  msbs: dst=0 src0=0 src1=0 src2=0
	v_fma_f32 v11, v144, v148, -v11
	s_delay_alu instid0(VALU_DEP_1) | instskip(SKIP_1) | instid1(VALU_DEP_1)
	v_add_f32_e32 v9, v9, v11
	v_mul_f32_e32 v11, v147, v151
	v_fma_f32 v11, v146, v150, -v11
	s_delay_alu instid0(VALU_DEP_1) | instskip(SKIP_1) | instid1(VALU_DEP_1)
	v_add_f32_e32 v9, v9, v11
	v_mul_f32_e32 v11, v153, v157
	;; [unrolled: 4-line block ×26, first 2 shown]
	v_fma_f32 v11, v248, v252, -v11
	s_set_vgpr_msb 64                       ;  msbs: dst=1 src0=0 src1=0 src2=0
	s_delay_alu instid0(VALU_DEP_1) | instskip(SKIP_3) | instid1(VALU_DEP_1)
	v_add_f32_e32 v20 /*v276*/, v9, v11
	s_set_vgpr_msb 0                        ;  msbs: dst=0 src0=0 src1=0 src2=0
	v_mul_f32_e32 v9, v251, v255
	s_set_vgpr_msb 64                       ;  msbs: dst=1 src0=0 src1=0 src2=0
	v_fma_f32 v22 /*v278*/, v250, v254, -v9
	s_set_vgpr_msb 5                        ;  msbs: dst=0 src0=1 src1=1 src2=0
	v_mul_f32_e32 v9, v1 /*v257*/, v5 /*v261*/
	s_set_vgpr_msb 64                       ;  msbs: dst=1 src0=0 src1=0 src2=0
	v_fmac_f32_e32 v23 /*v279*/, v251, v254
	s_set_vgpr_msb 0x45                     ;  msbs: dst=1 src0=1 src1=1 src2=0
	s_delay_alu instid0(VALU_DEP_2) | instskip(SKIP_1) | instid1(VALU_DEP_2)
	v_dual_mul_f32 v25 /*v281*/, v0 /*v256*/, v5 /*v261*/ :: v_dual_fma_f32 v24 /*v280*/, v0 /*v256*/, v4 /*v260*/, -v9
	s_set_vgpr_msb 5                        ;  msbs: dst=0 src0=1 src1=1 src2=0
	v_pk_add_f32 v[126:127], v[20:21] /*v[276:277]*/, v[22:23] /*v[278:279]*/
	s_set_vgpr_msb 0x45                     ;  msbs: dst=1 src0=1 src1=1 src2=0
	s_delay_alu instid0(VALU_DEP_2) | instskip(SKIP_1) | instid1(VALU_DEP_1)
	v_fmac_f32_e32 v25 /*v281*/, v1 /*v257*/, v4 /*v260*/
	s_set_vgpr_msb 4                        ;  msbs: dst=0 src0=0 src1=1 src2=0
	v_pk_add_f32 v[126:127], v[126:127], v[24:25] /*v[280:281]*/
	s_set_vgpr_msb 0                        ;  msbs: dst=0 src0=0 src1=0 src2=0
	s_delay_alu instid0(VALU_DEP_1)
	v_pk_add_f32 v[126:127], v[126:127], v[130:131]
	s_set_vgpr_msb 4                        ;  msbs: dst=0 src0=0 src1=1 src2=0
	v_pk_fma_f32 v[130:131], v[112:113], v[8:9] /*v[264:265]*/, v[128:129] neg_lo:[0,0,1] neg_hi:[0,0,1]
	v_pk_fma_f32 v[112:113], v[112:113], v[8:9] /*v[264:265]*/, v[128:129] op_sel_hi:[1,0,1]
	s_set_vgpr_msb 1                        ;  msbs: dst=0 src0=1 src1=0 src2=0
	v_mov_b32_e32 v128, v11 /*v267*/
	s_set_vgpr_msb 0                        ;  msbs: dst=0 src0=0 src1=0 src2=0
	s_delay_alu instid0(VALU_DEP_2) | instskip(NEXT) | instid1(VALU_DEP_1)
	v_mov_b32_e32 v131, v113
	v_pk_add_f32 v[112:113], v[126:127], v[130:131]
	v_dual_mov_b32 v126, v115 :: v_dual_mov_b32 v127, v114
	s_delay_alu instid0(VALU_DEP_1) | instskip(SKIP_1) | instid1(VALU_DEP_1)
	v_pk_mul_f32 v[126:127], v[126:127], v[128:129] op_sel_hi:[1,0]
	s_set_vgpr_msb 4                        ;  msbs: dst=0 src0=0 src1=1 src2=0
	v_pk_fma_f32 v[128:129], v[114:115], v[10:11] /*v[266:267]*/, v[126:127] neg_lo:[0,0,1] neg_hi:[0,0,1]
	v_pk_fma_f32 v[114:115], v[114:115], v[10:11] /*v[266:267]*/, v[126:127] op_sel_hi:[1,0,1]
	s_delay_alu instid0(VALU_DEP_1) | instskip(SKIP_3) | instid1(VALU_DEP_2)
	v_mov_b32_e32 v129, v115
	s_wait_loadcnt_dscnt 0x202
	v_pk_mul_f32 v[114:115], v[116:117], v[12:13] /*v[268:269]*/ op_sel:[1,1] op_sel_hi:[0,1]
	s_set_vgpr_msb 0                        ;  msbs: dst=0 src0=0 src1=0 src2=0
	v_pk_add_f32 v[112:113], v[112:113], v[128:129]
	s_set_vgpr_msb 4                        ;  msbs: dst=0 src0=0 src1=1 src2=0
	s_delay_alu instid0(VALU_DEP_2)
	v_pk_fma_f32 v[126:127], v[116:117], v[12:13] /*v[268:269]*/, v[114:115] neg_lo:[0,0,1] neg_hi:[0,0,1]
	v_pk_fma_f32 v[114:115], v[116:117], v[12:13] /*v[268:269]*/, v[114:115] op_sel_hi:[1,0,1]
	v_mov_b32_e32 v114, v119
	s_set_vgpr_msb 1                        ;  msbs: dst=0 src0=1 src1=0 src2=0
	v_mov_b32_e32 v116, v15 /*v271*/
	s_set_vgpr_msb 0                        ;  msbs: dst=0 src0=0 src1=0 src2=0
	v_dual_mov_b32 v127, v115 :: v_dual_mov_b32 v115, v118
	s_delay_alu instid0(VALU_DEP_1) | instskip(NEXT) | instid1(VALU_DEP_2)
	v_pk_add_f32 v[112:113], v[112:113], v[126:127]
	v_pk_mul_f32 v[114:115], v[114:115], v[116:117] op_sel_hi:[1,0]
	s_set_vgpr_msb 4                        ;  msbs: dst=0 src0=0 src1=1 src2=0
	s_delay_alu instid0(VALU_DEP_1) | instskip(SKIP_1) | instid1(VALU_DEP_1)
	v_pk_fma_f32 v[116:117], v[118:119], v[14:15] /*v[270:271]*/, v[114:115] neg_lo:[0,0,1] neg_hi:[0,0,1]
	v_pk_fma_f32 v[114:115], v[118:119], v[14:15] /*v[270:271]*/, v[114:115] op_sel_hi:[1,0,1]
	v_mov_b32_e32 v117, v115
	s_wait_loadcnt_dscnt 0x101
	v_pk_mul_f32 v[114:115], v[120:121], v[16:17] /*v[272:273]*/ op_sel:[1,1] op_sel_hi:[0,1]
	s_set_vgpr_msb 0                        ;  msbs: dst=0 src0=0 src1=0 src2=0
	s_delay_alu instid0(VALU_DEP_2) | instskip(SKIP_1) | instid1(VALU_DEP_2)
	v_pk_add_f32 v[112:113], v[112:113], v[116:117]
	s_set_vgpr_msb 4                        ;  msbs: dst=0 src0=0 src1=1 src2=0
	v_pk_fma_f32 v[116:117], v[120:121], v[16:17] /*v[272:273]*/, v[114:115] neg_lo:[0,0,1] neg_hi:[0,0,1]
	v_pk_fma_f32 v[114:115], v[120:121], v[16:17] /*v[272:273]*/, v[114:115] op_sel_hi:[1,0,1]
	s_delay_alu instid0(VALU_DEP_1) | instskip(SKIP_2) | instid1(VALU_DEP_2)
	v_dual_mov_b32 v114, v123 :: v_dual_mov_b32 v117, v115
	v_mov_b32_e32 v115, v122
	s_set_vgpr_msb 0                        ;  msbs: dst=0 src0=0 src1=0 src2=0
	v_pk_add_f32 v[112:113], v[112:113], v[116:117]
	s_set_vgpr_msb 1                        ;  msbs: dst=0 src0=1 src1=0 src2=0
	v_mov_b32_e32 v116, v19 /*v275*/
	s_set_vgpr_msb 0                        ;  msbs: dst=0 src0=0 src1=0 src2=0
	s_delay_alu instid0(VALU_DEP_1) | instskip(SKIP_1) | instid1(VALU_DEP_1)
	v_pk_mul_f32 v[114:115], v[114:115], v[116:117] op_sel_hi:[1,0]
	s_set_vgpr_msb 4                        ;  msbs: dst=0 src0=0 src1=1 src2=0
	v_pk_fma_f32 v[116:117], v[122:123], v[18:19] /*v[274:275]*/, v[114:115] neg_lo:[0,0,1] neg_hi:[0,0,1]
	v_pk_fma_f32 v[114:115], v[122:123], v[18:19] /*v[274:275]*/, v[114:115] op_sel_hi:[1,0,1]
	s_delay_alu instid0(VALU_DEP_1) | instskip(SKIP_3) | instid1(VALU_DEP_2)
	v_mov_b32_e32 v117, v115
	s_wait_loadcnt_dscnt 0x0
	v_pk_mul_f32 v[114:115], v[124:125], v[26:27] /*v[282:283]*/ op_sel:[1,1] op_sel_hi:[0,1]
	s_set_vgpr_msb 0                        ;  msbs: dst=0 src0=0 src1=0 src2=0
	v_pk_add_f32 v[112:113], v[112:113], v[116:117]
	s_set_vgpr_msb 4                        ;  msbs: dst=0 src0=0 src1=1 src2=0
	s_delay_alu instid0(VALU_DEP_2) | instskip(SKIP_1) | instid1(VALU_DEP_1)
	v_pk_fma_f32 v[116:117], v[124:125], v[26:27] /*v[282:283]*/, v[114:115] neg_lo:[0,0,1] neg_hi:[0,0,1]
	v_pk_fma_f32 v[114:115], v[124:125], v[26:27] /*v[282:283]*/, v[114:115] op_sel_hi:[1,0,1]
	v_mov_b32_e32 v117, v115
	scratch_load_b64 v[114:115], off, off offset:72
	s_set_vgpr_msb 0                        ;  msbs: dst=0 src0=0 src1=0 src2=0
	v_pk_add_f32 v[112:113], v[112:113], v[116:117]
	s_wait_loadcnt 0x0
	s_delay_alu instid0(VALU_DEP_1)
	v_pk_add_f32 v[112:113], v[114:115], v[112:113] neg_lo:[0,1] neg_hi:[0,1]
	scratch_store_b64 off, v[112:113], off offset:72
	s_wait_xcnt 0x0
	v_cmpx_lt_u32_e32 8, v0
	s_cbranch_execz .LBB118_327
; %bb.326:
	scratch_load_b64 v[112:113], off, off offset:64
	v_mov_b64_e32 v[114:115], 0
	scratch_store_b64 off, v[114:115], off offset:64
	s_wait_loadcnt 0x0
	ds_store_b64 v1, v[112:113]
.LBB118_327:
	s_wait_xcnt 0x0
	s_or_b32 exec_lo, exec_lo, s0
	s_wait_storecnt_dscnt 0x0
	s_barrier_signal -1
	s_barrier_wait -1
	s_clause 0xf
	scratch_load_b128 v[116:119], off, off offset:72
	scratch_load_b128 v[124:127], off, off offset:88
	;; [unrolled: 1-line block ×16, first 2 shown]
	ds_load_2addr_b64 v[112:115], v7 offset0:65 offset1:66
	ds_load_2addr_b64 v[120:123], v7 offset0:67 offset1:68
	s_clause 0x1
	scratch_load_b128 v[244:247], off, off offset:328
	scratch_load_b128 v[252:255], off, off offset:344
	ds_load_2addr_b64 v[128:131], v7 offset0:69 offset1:70
	ds_load_2addr_b64 v[136:139], v7 offset0:71 offset1:72
	;; [unrolled: 1-line block ×16, first 2 shown]
	s_set_vgpr_msb 64                       ;  msbs: dst=1 src0=0 src1=0 src2=0
	scratch_load_b128 v[4:7] /*v[260:263]*/, off, off offset:360
	ds_load_2addr_b64 v[0:3] /*v[256:259]*/, v7 offset0:101 offset1:102
	s_clause 0x3
	scratch_load_b128 v[8:11] /*v[264:267]*/, off, off offset:376
	scratch_load_b128 v[12:15] /*v[268:271]*/, off, off offset:392
	;; [unrolled: 1-line block ×4, first 2 shown]
	s_mov_b32 s0, exec_lo
	s_wait_loadcnt_dscnt 0x1612
	s_set_vgpr_msb 0                        ;  msbs: dst=0 src0=0 src1=0 src2=0
	v_dual_mul_f32 v9, v112, v117 :: v_dual_mul_f32 v11, v114, v119
	s_delay_alu instid0(VALU_DEP_1) | instskip(NEXT) | instid1(VALU_DEP_1)
	v_dual_fmac_f32 v9, v113, v116 :: v_dual_fmac_f32 v11, v115, v118
	v_add_f32_e32 v9, 0, v9
	s_wait_loadcnt_dscnt 0x1511
	s_delay_alu instid0(VALU_DEP_1) | instskip(NEXT) | instid1(VALU_DEP_1)
	v_dual_add_f32 v9, v9, v11 :: v_dual_mul_f32 v11, v120, v125
	v_fmac_f32_e32 v11, v121, v124
	s_delay_alu instid0(VALU_DEP_1) | instskip(SKIP_1) | instid1(VALU_DEP_1)
	v_add_f32_e32 v9, v9, v11
	v_mul_f32_e32 v11, v122, v127
	v_fmac_f32_e32 v11, v123, v126
	s_wait_loadcnt_dscnt 0x400
	s_set_vgpr_msb 0x45                     ;  msbs: dst=1 src0=1 src1=1 src2=0
	v_dual_mul_f32 v27 /*v283*/, v0 /*v256*/, v5 /*v261*/ :: v_dual_mul_f32 v29 /*v285*/, v2 /*v258*/, v7 /*v263*/
	s_set_vgpr_msb 0                        ;  msbs: dst=0 src0=0 src1=0 src2=0
	v_dual_add_f32 v9, v9, v11 :: v_dual_mul_f32 v11, v128, v133
	s_set_vgpr_msb 0x45                     ;  msbs: dst=1 src0=1 src1=1 src2=0
	s_delay_alu instid0(VALU_DEP_2) | instskip(SKIP_1) | instid1(VALU_DEP_2)
	v_dual_fmac_f32 v27 /*v283*/, v1 /*v257*/, v4 /*v260*/ :: v_dual_fmac_f32 v29 /*v285*/, v3 /*v259*/, v6 /*v262*/
	s_set_vgpr_msb 0                        ;  msbs: dst=0 src0=0 src1=0 src2=0
	v_fmac_f32_e32 v11, v129, v132
	s_delay_alu instid0(VALU_DEP_1) | instskip(SKIP_1) | instid1(VALU_DEP_1)
	v_add_f32_e32 v9, v9, v11
	v_mul_f32_e32 v11, v130, v135
	v_fmac_f32_e32 v11, v131, v134
	s_delay_alu instid0(VALU_DEP_1) | instskip(NEXT) | instid1(VALU_DEP_1)
	v_dual_add_f32 v9, v9, v11 :: v_dual_mul_f32 v11, v136, v141
	v_fmac_f32_e32 v11, v137, v140
	s_delay_alu instid0(VALU_DEP_1) | instskip(SKIP_1) | instid1(VALU_DEP_1)
	v_add_f32_e32 v9, v9, v11
	v_mul_f32_e32 v11, v138, v143
	v_fmac_f32_e32 v11, v139, v142
	s_delay_alu instid0(VALU_DEP_1) | instskip(NEXT) | instid1(VALU_DEP_1)
	v_dual_add_f32 v9, v9, v11 :: v_dual_mul_f32 v11, v144, v149
	;; [unrolled: 7-line block ×15, first 2 shown]
	v_fmac_f32_e32 v11, v249, v252
	s_delay_alu instid0(VALU_DEP_1) | instskip(SKIP_1) | instid1(VALU_DEP_1)
	v_add_f32_e32 v9, v9, v11
	v_mul_f32_e32 v11, v250, v255
	v_fmac_f32_e32 v11, v251, v254
	s_set_vgpr_msb 64                       ;  msbs: dst=1 src0=0 src1=0 src2=0
	s_delay_alu instid0(VALU_DEP_1) | instskip(SKIP_2) | instid1(VALU_DEP_1)
	v_add_f32_e32 v25 /*v281*/, v9, v11
	s_set_vgpr_msb 0                        ;  msbs: dst=0 src0=0 src1=0 src2=0
	v_dual_mul_f32 v9, v113, v117 :: v_dual_mul_f32 v11, v115, v119
	v_dual_fma_f32 v9, v112, v116, -v9 :: v_dual_fma_f32 v11, v114, v118, -v11
	s_delay_alu instid0(VALU_DEP_1) | instskip(NEXT) | instid1(VALU_DEP_1)
	v_add_f32_e32 v9, 0, v9
	v_add_f32_e32 v9, v9, v11
	v_mul_f32_e32 v11, v121, v125
	s_delay_alu instid0(VALU_DEP_1) | instskip(NEXT) | instid1(VALU_DEP_1)
	v_fma_f32 v11, v120, v124, -v11
	v_add_f32_e32 v9, v9, v11
	v_mul_f32_e32 v11, v123, v127
	s_delay_alu instid0(VALU_DEP_1)
	v_fma_f32 v11, v122, v126, -v11
	ds_load_2addr_b64 v[112:115], v7 offset0:103 offset1:104
	ds_load_2addr_b64 v[116:119], v7 offset0:105 offset1:106
	;; [unrolled: 1-line block ×4, first 2 shown]
	v_add_f32_e32 v9, v9, v11
	v_mul_f32_e32 v11, v129, v133
	s_delay_alu instid0(VALU_DEP_1) | instskip(NEXT) | instid1(VALU_DEP_1)
	v_fma_f32 v11, v128, v132, -v11
	v_add_f32_e32 v9, v9, v11
	v_mul_f32_e32 v11, v131, v135
	s_delay_alu instid0(VALU_DEP_1)
	v_fma_f32 v11, v130, v134, -v11
	s_wait_loadcnt_dscnt 0x303
	s_set_vgpr_msb 4                        ;  msbs: dst=0 src0=0 src1=1 src2=0
	v_pk_mul_f32 v[130:131], v[112:113], v[8:9] /*v[264:265]*/ op_sel:[1,1] op_sel_hi:[0,1]
	s_set_vgpr_msb 0                        ;  msbs: dst=0 src0=0 src1=0 src2=0
	v_add_f32_e32 v9, v9, v11
	v_mul_f32_e32 v11, v137, v141
	s_set_vgpr_msb 4                        ;  msbs: dst=0 src0=0 src1=1 src2=0
	v_pk_fma_f32 v[132:133], v[112:113], v[8:9] /*v[264:265]*/, v[130:131] neg_lo:[0,0,1] neg_hi:[0,0,1]
	v_pk_fma_f32 v[112:113], v[112:113], v[8:9] /*v[264:265]*/, v[130:131] op_sel_hi:[1,0,1]
	s_set_vgpr_msb 1                        ;  msbs: dst=0 src0=1 src1=0 src2=0
	v_mov_b32_e32 v130, v11 /*v267*/
	s_set_vgpr_msb 0                        ;  msbs: dst=0 src0=0 src1=0 src2=0
	s_delay_alu instid0(VALU_DEP_2) | instskip(NEXT) | instid1(VALU_DEP_1)
	v_dual_fma_f32 v11, v136, v140, -v11 :: v_dual_mov_b32 v133, v113
	v_add_f32_e32 v9, v9, v11
	v_mul_f32_e32 v11, v139, v143
	s_delay_alu instid0(VALU_DEP_1) | instskip(NEXT) | instid1(VALU_DEP_1)
	v_fma_f32 v11, v138, v142, -v11
	v_add_f32_e32 v9, v9, v11
	v_mul_f32_e32 v11, v145, v149
	s_delay_alu instid0(VALU_DEP_1) | instskip(NEXT) | instid1(VALU_DEP_1)
	v_fma_f32 v11, v144, v148, -v11
	;; [unrolled: 4-line block ×28, first 2 shown]
	v_add_f32_e32 v9, v9, v11
	v_mul_f32_e32 v11, v251, v255
	s_delay_alu instid0(VALU_DEP_1) | instskip(SKIP_1) | instid1(VALU_DEP_1)
	v_fma_f32 v11, v250, v254, -v11
	s_set_vgpr_msb 64                       ;  msbs: dst=1 src0=0 src1=0 src2=0
	v_add_f32_e32 v24 /*v280*/, v9, v11
	s_set_vgpr_msb 5                        ;  msbs: dst=0 src0=1 src1=1 src2=0
	v_mul_f32_e32 v9, v1 /*v257*/, v5 /*v261*/
	s_set_vgpr_msb 0x45                     ;  msbs: dst=1 src0=1 src1=1 src2=0
	s_delay_alu instid0(VALU_DEP_1) | instskip(SKIP_3) | instid1(VALU_DEP_1)
	v_fma_f32 v26 /*v282*/, v0 /*v256*/, v4 /*v260*/, -v9
	s_set_vgpr_msb 5                        ;  msbs: dst=0 src0=1 src1=1 src2=0
	v_mul_f32_e32 v9, v3 /*v259*/, v7 /*v263*/
	s_set_vgpr_msb 0x45                     ;  msbs: dst=1 src0=1 src1=1 src2=0
	v_fma_f32 v28 /*v284*/, v2 /*v258*/, v6 /*v262*/, -v9
	s_set_vgpr_msb 5                        ;  msbs: dst=0 src0=1 src1=1 src2=0
	v_pk_add_f32 v[128:129], v[24:25] /*v[280:281]*/, v[26:27] /*v[282:283]*/
	s_set_vgpr_msb 4                        ;  msbs: dst=0 src0=0 src1=1 src2=0
	s_delay_alu instid0(VALU_DEP_1) | instskip(SKIP_1) | instid1(VALU_DEP_1)
	v_pk_add_f32 v[128:129], v[128:129], v[28:29] /*v[284:285]*/
	s_set_vgpr_msb 0                        ;  msbs: dst=0 src0=0 src1=0 src2=0
	v_pk_add_f32 v[112:113], v[128:129], v[132:133]
	v_dual_mov_b32 v128, v115 :: v_dual_mov_b32 v129, v114
	s_delay_alu instid0(VALU_DEP_1) | instskip(SKIP_1) | instid1(VALU_DEP_1)
	v_pk_mul_f32 v[128:129], v[128:129], v[130:131] op_sel_hi:[1,0]
	s_set_vgpr_msb 4                        ;  msbs: dst=0 src0=0 src1=1 src2=0
	v_pk_fma_f32 v[130:131], v[114:115], v[10:11] /*v[266:267]*/, v[128:129] neg_lo:[0,0,1] neg_hi:[0,0,1]
	v_pk_fma_f32 v[114:115], v[114:115], v[10:11] /*v[266:267]*/, v[128:129] op_sel_hi:[1,0,1]
	s_delay_alu instid0(VALU_DEP_1) | instskip(SKIP_3) | instid1(VALU_DEP_2)
	v_mov_b32_e32 v131, v115
	s_wait_loadcnt_dscnt 0x202
	v_pk_mul_f32 v[114:115], v[116:117], v[12:13] /*v[268:269]*/ op_sel:[1,1] op_sel_hi:[0,1]
	s_set_vgpr_msb 0                        ;  msbs: dst=0 src0=0 src1=0 src2=0
	v_pk_add_f32 v[112:113], v[112:113], v[130:131]
	s_set_vgpr_msb 4                        ;  msbs: dst=0 src0=0 src1=1 src2=0
	s_delay_alu instid0(VALU_DEP_2)
	v_pk_fma_f32 v[128:129], v[116:117], v[12:13] /*v[268:269]*/, v[114:115] neg_lo:[0,0,1] neg_hi:[0,0,1]
	v_pk_fma_f32 v[114:115], v[116:117], v[12:13] /*v[268:269]*/, v[114:115] op_sel_hi:[1,0,1]
	v_mov_b32_e32 v114, v119
	s_set_vgpr_msb 1                        ;  msbs: dst=0 src0=1 src1=0 src2=0
	v_mov_b32_e32 v116, v15 /*v271*/
	s_set_vgpr_msb 0                        ;  msbs: dst=0 src0=0 src1=0 src2=0
	v_dual_mov_b32 v129, v115 :: v_dual_mov_b32 v115, v118
	s_delay_alu instid0(VALU_DEP_1) | instskip(NEXT) | instid1(VALU_DEP_2)
	v_pk_add_f32 v[112:113], v[112:113], v[128:129]
	v_pk_mul_f32 v[114:115], v[114:115], v[116:117] op_sel_hi:[1,0]
	s_set_vgpr_msb 4                        ;  msbs: dst=0 src0=0 src1=1 src2=0
	s_delay_alu instid0(VALU_DEP_1) | instskip(SKIP_1) | instid1(VALU_DEP_1)
	v_pk_fma_f32 v[116:117], v[118:119], v[14:15] /*v[270:271]*/, v[114:115] neg_lo:[0,0,1] neg_hi:[0,0,1]
	v_pk_fma_f32 v[114:115], v[118:119], v[14:15] /*v[270:271]*/, v[114:115] op_sel_hi:[1,0,1]
	v_mov_b32_e32 v117, v115
	s_wait_loadcnt_dscnt 0x101
	v_pk_mul_f32 v[114:115], v[120:121], v[16:17] /*v[272:273]*/ op_sel:[1,1] op_sel_hi:[0,1]
	s_set_vgpr_msb 0                        ;  msbs: dst=0 src0=0 src1=0 src2=0
	s_delay_alu instid0(VALU_DEP_2) | instskip(SKIP_1) | instid1(VALU_DEP_2)
	v_pk_add_f32 v[112:113], v[112:113], v[116:117]
	s_set_vgpr_msb 4                        ;  msbs: dst=0 src0=0 src1=1 src2=0
	v_pk_fma_f32 v[116:117], v[120:121], v[16:17] /*v[272:273]*/, v[114:115] neg_lo:[0,0,1] neg_hi:[0,0,1]
	v_pk_fma_f32 v[114:115], v[120:121], v[16:17] /*v[272:273]*/, v[114:115] op_sel_hi:[1,0,1]
	s_delay_alu instid0(VALU_DEP_1) | instskip(SKIP_2) | instid1(VALU_DEP_2)
	v_dual_mov_b32 v114, v123 :: v_dual_mov_b32 v117, v115
	v_mov_b32_e32 v115, v122
	s_set_vgpr_msb 0                        ;  msbs: dst=0 src0=0 src1=0 src2=0
	v_pk_add_f32 v[112:113], v[112:113], v[116:117]
	s_set_vgpr_msb 1                        ;  msbs: dst=0 src0=1 src1=0 src2=0
	v_mov_b32_e32 v116, v19 /*v275*/
	s_set_vgpr_msb 0                        ;  msbs: dst=0 src0=0 src1=0 src2=0
	s_delay_alu instid0(VALU_DEP_1) | instskip(SKIP_1) | instid1(VALU_DEP_1)
	v_pk_mul_f32 v[114:115], v[114:115], v[116:117] op_sel_hi:[1,0]
	s_set_vgpr_msb 4                        ;  msbs: dst=0 src0=0 src1=1 src2=0
	v_pk_fma_f32 v[116:117], v[122:123], v[18:19] /*v[274:275]*/, v[114:115] neg_lo:[0,0,1] neg_hi:[0,0,1]
	v_pk_fma_f32 v[114:115], v[122:123], v[18:19] /*v[274:275]*/, v[114:115] op_sel_hi:[1,0,1]
	s_delay_alu instid0(VALU_DEP_1) | instskip(SKIP_3) | instid1(VALU_DEP_2)
	v_mov_b32_e32 v117, v115
	s_wait_loadcnt_dscnt 0x0
	v_pk_mul_f32 v[114:115], v[124:125], v[20:21] /*v[276:277]*/ op_sel:[1,1] op_sel_hi:[0,1]
	s_set_vgpr_msb 0                        ;  msbs: dst=0 src0=0 src1=0 src2=0
	v_pk_add_f32 v[112:113], v[112:113], v[116:117]
	s_set_vgpr_msb 4                        ;  msbs: dst=0 src0=0 src1=1 src2=0
	s_delay_alu instid0(VALU_DEP_2) | instskip(SKIP_1) | instid1(VALU_DEP_1)
	v_pk_fma_f32 v[116:117], v[124:125], v[20:21] /*v[276:277]*/, v[114:115] neg_lo:[0,0,1] neg_hi:[0,0,1]
	v_pk_fma_f32 v[114:115], v[124:125], v[20:21] /*v[276:277]*/, v[114:115] op_sel_hi:[1,0,1]
	v_dual_mov_b32 v114, v127 :: v_dual_mov_b32 v117, v115
	v_mov_b32_e32 v115, v126
	s_set_vgpr_msb 0                        ;  msbs: dst=0 src0=0 src1=0 src2=0
	s_delay_alu instid0(VALU_DEP_2) | instskip(SKIP_3) | instid1(VALU_DEP_1)
	v_pk_add_f32 v[112:113], v[112:113], v[116:117]
	s_set_vgpr_msb 1                        ;  msbs: dst=0 src0=1 src1=0 src2=0
	v_mov_b32_e32 v116, v23 /*v279*/
	s_set_vgpr_msb 0                        ;  msbs: dst=0 src0=0 src1=0 src2=0
	v_pk_mul_f32 v[114:115], v[114:115], v[116:117] op_sel_hi:[1,0]
	s_set_vgpr_msb 4                        ;  msbs: dst=0 src0=0 src1=1 src2=0
	s_delay_alu instid0(VALU_DEP_1) | instskip(SKIP_1) | instid1(VALU_DEP_1)
	v_pk_fma_f32 v[116:117], v[126:127], v[22:23] /*v[278:279]*/, v[114:115] neg_lo:[0,0,1] neg_hi:[0,0,1]
	v_pk_fma_f32 v[114:115], v[126:127], v[22:23] /*v[278:279]*/, v[114:115] op_sel_hi:[1,0,1]
	v_mov_b32_e32 v117, v115
	scratch_load_b64 v[114:115], off, off offset:64
	s_set_vgpr_msb 0                        ;  msbs: dst=0 src0=0 src1=0 src2=0
	v_pk_add_f32 v[112:113], v[112:113], v[116:117]
	s_wait_loadcnt 0x0
	s_delay_alu instid0(VALU_DEP_1)
	v_pk_add_f32 v[112:113], v[114:115], v[112:113] neg_lo:[0,1] neg_hi:[0,1]
	scratch_store_b64 off, v[112:113], off offset:64
	s_wait_xcnt 0x0
	v_cmpx_lt_u32_e32 7, v0
	s_cbranch_execz .LBB118_329
; %bb.328:
	scratch_load_b64 v[112:113], off, off offset:56
	v_mov_b64_e32 v[114:115], 0
	scratch_store_b64 off, v[114:115], off offset:56
	s_wait_loadcnt 0x0
	ds_store_b64 v1, v[112:113]
.LBB118_329:
	s_wait_xcnt 0x0
	s_or_b32 exec_lo, exec_lo, s0
	v_mov_b32_e32 v7, 0
	s_wait_storecnt_dscnt 0x0
	s_barrier_signal -1
	s_barrier_wait -1
	ds_load_b128 v[112:115], v7 offset:512
	ds_load_b128 v[116:119], v7 offset:528
	;; [unrolled: 1-line block ×4, first 2 shown]
	s_clause 0x14
	scratch_load_b128 v[128:131], off, off offset:64
	scratch_load_b128 v[132:135], off, off offset:80
	;; [unrolled: 1-line block ×18, first 2 shown]
	s_set_vgpr_msb 64                       ;  msbs: dst=1 src0=0 src1=0 src2=0
	scratch_load_b128 v[4:7] /*v[260:263]*/, off, off offset:352
	scratch_load_b128 v[12:15] /*v[268:271]*/, off, off offset:368
	s_mov_b32 s0, exec_lo
	s_wait_loadcnt_dscnt 0x1303
	s_set_vgpr_msb 0                        ;  msbs: dst=0 src0=0 src1=0 src2=0
	v_mul_f32_e32 v9, v112, v129
	ds_load_b128 v[144:147], v7 offset:576
	ds_load_b128 v[152:155], v7 offset:592
	;; [unrolled: 1-line block ×4, first 2 shown]
	v_dual_fmac_f32 v9, v113, v128 :: v_dual_mul_f32 v11, v114, v131
	ds_load_b128 v[176:179], v7 offset:640
	ds_load_b128 v[184:187], v7 offset:656
	;; [unrolled: 1-line block ×4, first 2 shown]
	v_dual_add_f32 v9, 0, v9 :: v_dual_fmac_f32 v11, v115, v130
	ds_load_b128 v[208:211], v7 offset:704
	ds_load_b128 v[216:219], v7 offset:720
	;; [unrolled: 1-line block ×4, first 2 shown]
	s_wait_loadcnt_dscnt 0x120e
	v_dual_add_f32 v9, v9, v11 :: v_dual_mul_f32 v11, v116, v133
	ds_load_b128 v[240:243], v7 offset:768
	ds_load_b128 v[248:251], v7 offset:784
	s_set_vgpr_msb 64                       ;  msbs: dst=1 src0=0 src1=0 src2=0
	ds_load_b128 v[0:3] /*v[256:259]*/, v7 offset:800
	ds_load_b128 v[8:11] /*v[264:267]*/, v7 offset:816
	s_set_vgpr_msb 0                        ;  msbs: dst=0 src0=0 src1=0 src2=0
	v_fmac_f32_e32 v11, v117, v132
	s_set_vgpr_msb 64                       ;  msbs: dst=1 src0=0 src1=0 src2=0
	s_clause 0x3
	scratch_load_b128 v[16:19] /*v[272:275]*/, off, off offset:384
	scratch_load_b128 v[20:23] /*v[276:279]*/, off, off offset:400
	;; [unrolled: 1-line block ×3, first 2 shown]
	scratch_load_b64 v[34:35] /*v[290:291]*/, off, off offset:432
	s_set_vgpr_msb 0                        ;  msbs: dst=0 src0=0 src1=0 src2=0
	v_add_f32_e32 v9, v9, v11
	v_mul_f32_e32 v11, v118, v135
	s_delay_alu instid0(VALU_DEP_1) | instskip(SKIP_1) | instid1(VALU_DEP_1)
	v_fmac_f32_e32 v11, v119, v134
	s_wait_loadcnt_dscnt 0x1511
	v_dual_add_f32 v9, v9, v11 :: v_dual_mul_f32 v11, v120, v137
	s_wait_loadcnt_dscnt 0x400
	s_set_vgpr_msb 0x45                     ;  msbs: dst=1 src0=1 src1=1 src2=0
	v_dual_mul_f32 v31 /*v287*/, v2 /*v258*/, v7 /*v263*/ :: v_dual_mul_f32 v33 /*v289*/, v8 /*v264*/, v13 /*v269*/
	s_set_vgpr_msb 0                        ;  msbs: dst=0 src0=0 src1=0 src2=0
	v_fmac_f32_e32 v11, v121, v136
	s_set_vgpr_msb 0x45                     ;  msbs: dst=1 src0=1 src1=1 src2=0
	s_delay_alu instid0(VALU_DEP_2) | instskip(SKIP_1) | instid1(VALU_DEP_2)
	v_dual_fmac_f32 v31 /*v287*/, v3 /*v259*/, v6 /*v262*/ :: v_dual_fmac_f32 v33 /*v289*/, v9 /*v265*/, v12 /*v268*/
	s_set_vgpr_msb 0                        ;  msbs: dst=0 src0=0 src1=0 src2=0
	v_add_f32_e32 v9, v9, v11
	v_mul_f32_e32 v11, v122, v139
	s_delay_alu instid0(VALU_DEP_1) | instskip(NEXT) | instid1(VALU_DEP_1)
	v_fmac_f32_e32 v11, v123, v138
	v_dual_add_f32 v9, v9, v11 :: v_dual_mul_f32 v11, v124, v141
	s_delay_alu instid0(VALU_DEP_1) | instskip(NEXT) | instid1(VALU_DEP_1)
	v_fmac_f32_e32 v11, v125, v140
	v_add_f32_e32 v9, v9, v11
	v_mul_f32_e32 v11, v126, v143
	s_delay_alu instid0(VALU_DEP_1) | instskip(NEXT) | instid1(VALU_DEP_1)
	v_fmac_f32_e32 v11, v127, v142
	v_dual_add_f32 v9, v9, v11 :: v_dual_mul_f32 v11, v144, v149
	s_delay_alu instid0(VALU_DEP_1) | instskip(NEXT) | instid1(VALU_DEP_1)
	v_fmac_f32_e32 v11, v145, v148
	;; [unrolled: 7-line block ×15, first 2 shown]
	v_add_f32_e32 v9, v9, v11
	v_mul_f32_e32 v11, v250, v255
	s_delay_alu instid0(VALU_DEP_1) | instskip(NEXT) | instid1(VALU_DEP_1)
	v_fmac_f32_e32 v11, v251, v254
	v_add_f32_e32 v9, v9, v11
	s_set_vgpr_msb 5                        ;  msbs: dst=0 src0=1 src1=1 src2=0
	v_mul_f32_e32 v11, v0 /*v256*/, v5 /*v261*/
	s_delay_alu instid0(VALU_DEP_1) | instskip(SKIP_1) | instid1(VALU_DEP_1)
	v_fmac_f32_e32 v11, v1 /*v257*/, v4 /*v260*/
	s_set_vgpr_msb 64                       ;  msbs: dst=1 src0=0 src1=0 src2=0
	v_add_f32_e32 v29 /*v285*/, v9, v11
	s_set_vgpr_msb 0                        ;  msbs: dst=0 src0=0 src1=0 src2=0
	v_dual_mul_f32 v9, v113, v129 :: v_dual_mul_f32 v11, v115, v131
	s_set_vgpr_msb 1                        ;  msbs: dst=0 src0=1 src1=0 src2=0
	v_mov_b32_e32 v129, v10 /*v266*/
	s_set_vgpr_msb 0                        ;  msbs: dst=0 src0=0 src1=0 src2=0
	s_delay_alu instid0(VALU_DEP_2) | instskip(SKIP_2) | instid1(VALU_DEP_2)
	v_dual_fma_f32 v9, v112, v128, -v9 :: v_dual_fma_f32 v11, v114, v130, -v11
	s_set_vgpr_msb 1                        ;  msbs: dst=0 src0=1 src1=0 src2=0
	v_dual_mov_b32 v128, v11 /*v267*/ :: v_dual_mov_b32 v130, v15 /*v271*/
	v_add_f32_e32 v9, 0, v9
	s_set_vgpr_msb 0                        ;  msbs: dst=0 src0=0 src1=0 src2=0
	s_delay_alu instid0(VALU_DEP_2) | instskip(NEXT) | instid1(VALU_DEP_2)
	v_pk_mul_f32 v[128:129], v[128:129], v[130:131] op_sel_hi:[1,0]
	v_add_f32_e32 v9, v9, v11
	v_mul_f32_e32 v11, v117, v133
	s_set_vgpr_msb 5                        ;  msbs: dst=0 src0=1 src1=1 src2=0
	s_delay_alu instid0(VALU_DEP_3) | instskip(SKIP_2) | instid1(VALU_DEP_1)
	v_pk_fma_f32 v[130:131], v[10:11] /*v[266:267]*/, v[14:15] /*v[270:271]*/, v[128:129] neg_lo:[0,0,1] neg_hi:[0,0,1]
	v_pk_fma_f32 v[128:129], v[10:11] /*v[266:267]*/, v[14:15] /*v[270:271]*/, v[128:129] op_sel_hi:[1,0,1]
	s_set_vgpr_msb 0                        ;  msbs: dst=0 src0=0 src1=0 src2=0
	v_dual_fma_f32 v11, v116, v132, -v11 :: v_dual_mov_b32 v131, v129
	s_delay_alu instid0(VALU_DEP_1) | instskip(SKIP_1) | instid1(VALU_DEP_1)
	v_add_f32_e32 v9, v9, v11
	v_mul_f32_e32 v11, v119, v135
	v_fma_f32 v11, v118, v134, -v11
	s_delay_alu instid0(VALU_DEP_1) | instskip(SKIP_1) | instid1(VALU_DEP_1)
	v_add_f32_e32 v9, v9, v11
	v_mul_f32_e32 v11, v121, v137
	v_fma_f32 v11, v120, v136, -v11
	;; [unrolled: 4-line block ×4, first 2 shown]
	ds_load_b128 v[112:115], v7 offset:832
	ds_load_b128 v[116:119], v7 offset:848
	;; [unrolled: 1-line block ×3, first 2 shown]
	ds_load_b64 v[124:125], v7 offset:880
	v_add_f32_e32 v9, v9, v11
	v_mul_f32_e32 v11, v127, v143
	s_delay_alu instid0(VALU_DEP_1) | instskip(NEXT) | instid1(VALU_DEP_1)
	v_fma_f32 v11, v126, v142, -v11
	v_add_f32_e32 v9, v9, v11
	v_mul_f32_e32 v11, v145, v149
	s_wait_loadcnt_dscnt 0x303
	s_set_vgpr_msb 4                        ;  msbs: dst=0 src0=0 src1=1 src2=0
	v_pk_mul_f32 v[128:129], v[112:113], v[16:17] /*v[272:273]*/ op_sel:[1,1] op_sel_hi:[0,1]
	s_set_vgpr_msb 0                        ;  msbs: dst=0 src0=0 src1=0 src2=0
	v_fma_f32 v11, v144, v148, -v11
	s_delay_alu instid0(VALU_DEP_1) | instskip(SKIP_1) | instid1(VALU_DEP_1)
	v_add_f32_e32 v9, v9, v11
	v_mul_f32_e32 v11, v147, v151
	v_fma_f32 v11, v146, v150, -v11
	s_delay_alu instid0(VALU_DEP_1) | instskip(SKIP_1) | instid1(VALU_DEP_1)
	v_add_f32_e32 v9, v9, v11
	v_mul_f32_e32 v11, v153, v157
	;; [unrolled: 4-line block ×27, first 2 shown]
	v_fma_f32 v11, v250, v254, -v11
	s_delay_alu instid0(VALU_DEP_1) | instskip(SKIP_2) | instid1(VALU_DEP_1)
	v_add_f32_e32 v9, v9, v11
	s_set_vgpr_msb 5                        ;  msbs: dst=0 src0=1 src1=1 src2=0
	v_mul_f32_e32 v11, v1 /*v257*/, v5 /*v261*/
	v_fma_f32 v11, v0 /*v256*/, v4 /*v260*/, -v11
	s_set_vgpr_msb 64                       ;  msbs: dst=1 src0=0 src1=0 src2=0
	s_delay_alu instid0(VALU_DEP_1) | instskip(SKIP_3) | instid1(VALU_DEP_1)
	v_add_f32_e32 v28 /*v284*/, v9, v11
	s_set_vgpr_msb 5                        ;  msbs: dst=0 src0=1 src1=1 src2=0
	v_mul_f32_e32 v9, v3 /*v259*/, v7 /*v263*/
	s_set_vgpr_msb 0x45                     ;  msbs: dst=1 src0=1 src1=1 src2=0
	v_fma_f32 v30 /*v286*/, v2 /*v258*/, v6 /*v262*/, -v9
	s_set_vgpr_msb 5                        ;  msbs: dst=0 src0=1 src1=1 src2=0
	v_mul_f32_e32 v9, v9 /*v265*/, v13 /*v269*/
	s_set_vgpr_msb 0x45                     ;  msbs: dst=1 src0=1 src1=1 src2=0
	s_delay_alu instid0(VALU_DEP_1) | instskip(SKIP_3) | instid1(VALU_DEP_1)
	v_fma_f32 v32 /*v288*/, v8 /*v264*/, v12 /*v268*/, -v9
	s_set_vgpr_msb 5                        ;  msbs: dst=0 src0=1 src1=1 src2=0
	v_pk_add_f32 v[126:127], v[28:29] /*v[284:285]*/, v[30:31] /*v[286:287]*/
	s_set_vgpr_msb 4                        ;  msbs: dst=0 src0=0 src1=1 src2=0
	v_pk_add_f32 v[126:127], v[126:127], v[32:33] /*v[288:289]*/
	s_set_vgpr_msb 0                        ;  msbs: dst=0 src0=0 src1=0 src2=0
	s_delay_alu instid0(VALU_DEP_1)
	v_pk_add_f32 v[126:127], v[126:127], v[130:131]
	s_set_vgpr_msb 4                        ;  msbs: dst=0 src0=0 src1=1 src2=0
	v_pk_fma_f32 v[130:131], v[112:113], v[16:17] /*v[272:273]*/, v[128:129] neg_lo:[0,0,1] neg_hi:[0,0,1]
	v_pk_fma_f32 v[112:113], v[112:113], v[16:17] /*v[272:273]*/, v[128:129] op_sel_hi:[1,0,1]
	s_set_vgpr_msb 1                        ;  msbs: dst=0 src0=1 src1=0 src2=0
	v_mov_b32_e32 v128, v19 /*v275*/
	s_set_vgpr_msb 0                        ;  msbs: dst=0 src0=0 src1=0 src2=0
	s_delay_alu instid0(VALU_DEP_2) | instskip(NEXT) | instid1(VALU_DEP_1)
	v_mov_b32_e32 v131, v113
	v_pk_add_f32 v[112:113], v[126:127], v[130:131]
	v_dual_mov_b32 v126, v115 :: v_dual_mov_b32 v127, v114
	s_delay_alu instid0(VALU_DEP_1) | instskip(SKIP_1) | instid1(VALU_DEP_1)
	v_pk_mul_f32 v[126:127], v[126:127], v[128:129] op_sel_hi:[1,0]
	s_set_vgpr_msb 4                        ;  msbs: dst=0 src0=0 src1=1 src2=0
	v_pk_fma_f32 v[128:129], v[114:115], v[18:19] /*v[274:275]*/, v[126:127] neg_lo:[0,0,1] neg_hi:[0,0,1]
	v_pk_fma_f32 v[114:115], v[114:115], v[18:19] /*v[274:275]*/, v[126:127] op_sel_hi:[1,0,1]
	s_delay_alu instid0(VALU_DEP_1) | instskip(SKIP_3) | instid1(VALU_DEP_2)
	v_mov_b32_e32 v129, v115
	s_wait_loadcnt_dscnt 0x202
	v_pk_mul_f32 v[114:115], v[116:117], v[20:21] /*v[276:277]*/ op_sel:[1,1] op_sel_hi:[0,1]
	s_set_vgpr_msb 0                        ;  msbs: dst=0 src0=0 src1=0 src2=0
	v_pk_add_f32 v[112:113], v[112:113], v[128:129]
	s_set_vgpr_msb 4                        ;  msbs: dst=0 src0=0 src1=1 src2=0
	s_delay_alu instid0(VALU_DEP_2)
	v_pk_fma_f32 v[126:127], v[116:117], v[20:21] /*v[276:277]*/, v[114:115] neg_lo:[0,0,1] neg_hi:[0,0,1]
	v_pk_fma_f32 v[114:115], v[116:117], v[20:21] /*v[276:277]*/, v[114:115] op_sel_hi:[1,0,1]
	v_mov_b32_e32 v114, v119
	s_set_vgpr_msb 1                        ;  msbs: dst=0 src0=1 src1=0 src2=0
	v_mov_b32_e32 v116, v23 /*v279*/
	s_set_vgpr_msb 0                        ;  msbs: dst=0 src0=0 src1=0 src2=0
	v_dual_mov_b32 v127, v115 :: v_dual_mov_b32 v115, v118
	s_delay_alu instid0(VALU_DEP_1) | instskip(NEXT) | instid1(VALU_DEP_2)
	v_pk_add_f32 v[112:113], v[112:113], v[126:127]
	v_pk_mul_f32 v[114:115], v[114:115], v[116:117] op_sel_hi:[1,0]
	s_set_vgpr_msb 4                        ;  msbs: dst=0 src0=0 src1=1 src2=0
	s_delay_alu instid0(VALU_DEP_1) | instskip(SKIP_1) | instid1(VALU_DEP_1)
	v_pk_fma_f32 v[116:117], v[118:119], v[22:23] /*v[278:279]*/, v[114:115] neg_lo:[0,0,1] neg_hi:[0,0,1]
	v_pk_fma_f32 v[114:115], v[118:119], v[22:23] /*v[278:279]*/, v[114:115] op_sel_hi:[1,0,1]
	v_mov_b32_e32 v117, v115
	s_wait_loadcnt_dscnt 0x101
	v_pk_mul_f32 v[114:115], v[120:121], v[24:25] /*v[280:281]*/ op_sel:[1,1] op_sel_hi:[0,1]
	s_set_vgpr_msb 0                        ;  msbs: dst=0 src0=0 src1=0 src2=0
	s_delay_alu instid0(VALU_DEP_2) | instskip(SKIP_1) | instid1(VALU_DEP_2)
	v_pk_add_f32 v[112:113], v[112:113], v[116:117]
	s_set_vgpr_msb 4                        ;  msbs: dst=0 src0=0 src1=1 src2=0
	v_pk_fma_f32 v[116:117], v[120:121], v[24:25] /*v[280:281]*/, v[114:115] neg_lo:[0,0,1] neg_hi:[0,0,1]
	v_pk_fma_f32 v[114:115], v[120:121], v[24:25] /*v[280:281]*/, v[114:115] op_sel_hi:[1,0,1]
	s_delay_alu instid0(VALU_DEP_1) | instskip(SKIP_2) | instid1(VALU_DEP_2)
	v_dual_mov_b32 v114, v123 :: v_dual_mov_b32 v117, v115
	v_mov_b32_e32 v115, v122
	s_set_vgpr_msb 0                        ;  msbs: dst=0 src0=0 src1=0 src2=0
	v_pk_add_f32 v[112:113], v[112:113], v[116:117]
	s_set_vgpr_msb 1                        ;  msbs: dst=0 src0=1 src1=0 src2=0
	v_mov_b32_e32 v116, v27 /*v283*/
	s_set_vgpr_msb 0                        ;  msbs: dst=0 src0=0 src1=0 src2=0
	s_delay_alu instid0(VALU_DEP_1) | instskip(SKIP_1) | instid1(VALU_DEP_1)
	v_pk_mul_f32 v[114:115], v[114:115], v[116:117] op_sel_hi:[1,0]
	s_set_vgpr_msb 4                        ;  msbs: dst=0 src0=0 src1=1 src2=0
	v_pk_fma_f32 v[116:117], v[122:123], v[26:27] /*v[282:283]*/, v[114:115] neg_lo:[0,0,1] neg_hi:[0,0,1]
	v_pk_fma_f32 v[114:115], v[122:123], v[26:27] /*v[282:283]*/, v[114:115] op_sel_hi:[1,0,1]
	s_delay_alu instid0(VALU_DEP_1) | instskip(SKIP_3) | instid1(VALU_DEP_2)
	v_mov_b32_e32 v117, v115
	s_wait_loadcnt_dscnt 0x0
	v_pk_mul_f32 v[114:115], v[124:125], v[34:35] /*v[290:291]*/ op_sel:[1,1] op_sel_hi:[0,1]
	s_set_vgpr_msb 0                        ;  msbs: dst=0 src0=0 src1=0 src2=0
	v_pk_add_f32 v[112:113], v[112:113], v[116:117]
	s_set_vgpr_msb 4                        ;  msbs: dst=0 src0=0 src1=1 src2=0
	s_delay_alu instid0(VALU_DEP_2) | instskip(SKIP_1) | instid1(VALU_DEP_1)
	v_pk_fma_f32 v[116:117], v[124:125], v[34:35] /*v[290:291]*/, v[114:115] neg_lo:[0,0,1] neg_hi:[0,0,1]
	v_pk_fma_f32 v[114:115], v[124:125], v[34:35] /*v[290:291]*/, v[114:115] op_sel_hi:[1,0,1]
	v_mov_b32_e32 v117, v115
	scratch_load_b64 v[114:115], off, off offset:56
	s_set_vgpr_msb 0                        ;  msbs: dst=0 src0=0 src1=0 src2=0
	v_pk_add_f32 v[112:113], v[112:113], v[116:117]
	s_wait_loadcnt 0x0
	s_delay_alu instid0(VALU_DEP_1)
	v_pk_add_f32 v[112:113], v[114:115], v[112:113] neg_lo:[0,1] neg_hi:[0,1]
	scratch_store_b64 off, v[112:113], off offset:56
	s_wait_xcnt 0x0
	v_cmpx_lt_u32_e32 6, v0
	s_cbranch_execz .LBB118_331
; %bb.330:
	scratch_load_b64 v[112:113], off, off offset:48
	v_mov_b64_e32 v[114:115], 0
	scratch_store_b64 off, v[114:115], off offset:48
	s_wait_loadcnt 0x0
	ds_store_b64 v1, v[112:113]
.LBB118_331:
	s_wait_xcnt 0x0
	s_or_b32 exec_lo, exec_lo, s0
	s_wait_storecnt_dscnt 0x0
	s_barrier_signal -1
	s_barrier_wait -1
	s_clause 0x17
	scratch_load_b128 v[112:115], off, off offset:56
	scratch_load_b128 v[116:119], off, off offset:72
	;; [unrolled: 1-line block ×24, first 2 shown]
	ds_load_2addr_b64 v[208:211], v7 offset0:63 offset1:64
	ds_load_2addr_b64 v[212:215], v7 offset0:65 offset1:66
	;; [unrolled: 1-line block ×6, first 2 shown]
	s_set_vgpr_msb 64                       ;  msbs: dst=1 src0=0 src1=0 src2=0
	scratch_load_b64 v[48:49] /*v[304:305]*/, off, off offset:48
	s_set_vgpr_msb 0                        ;  msbs: dst=0 src0=0 src1=0 src2=0
	ds_load_2addr_b64 v[232:235], v7 offset0:71 offset1:72
	ds_load_2addr_b64 v[236:239], v7 offset0:73 offset1:74
	;; [unrolled: 1-line block ×6, first 2 shown]
	s_set_vgpr_msb 64                       ;  msbs: dst=1 src0=0 src1=0 src2=0
	ds_load_2addr_b64 v[0:3] /*v[256:259]*/, v7 offset0:79 offset1:80
	ds_load_2addr_b64 v[4:7] /*v[260:263]*/, v7 offset0:81 offset1:82
	ds_load_2addr_b64 v[8:11] /*v[264:267]*/, v7 offset0:83 offset1:84
	ds_load_2addr_b64 v[12:15] /*v[268:271]*/, v7 offset0:85 offset1:86
	ds_load_2addr_b64 v[16:19] /*v[272:275]*/, v7 offset0:87 offset1:88
	ds_load_2addr_b64 v[20:23] /*v[276:279]*/, v7 offset0:89 offset1:90
	ds_load_2addr_b64 v[24:27] /*v[280:283]*/, v7 offset0:91 offset1:92
	ds_load_2addr_b64 v[28:31] /*v[284:287]*/, v7 offset0:93 offset1:94
	ds_load_2addr_b64 v[32:35] /*v[288:291]*/, v7 offset0:95 offset1:96
	ds_load_2addr_b64 v[36:39] /*v[292:295]*/, v7 offset0:97 offset1:98
	ds_load_2addr_b64 v[40:43] /*v[296:299]*/, v7 offset0:99 offset1:100
	ds_load_2addr_b64 v[44:47] /*v[300:303]*/, v7 offset0:101 offset1:102
	s_mov_b32 s0, exec_lo
	s_wait_dscnt 0xf
	v_dual_mov_b32 v54 /*v310*/, v243 :: v_dual_mov_b32 v55 /*v311*/, v242
	s_wait_dscnt 0xe
	v_dual_mov_b32 v56 /*v312*/, v247 :: v_dual_mov_b32 v57 /*v313*/, v246
	v_dual_mov_b32 v50 /*v306*/, v227 :: v_dual_mov_b32 v51 /*v307*/, v226
	;; [unrolled: 1-line block ×3, first 2 shown]
	s_wait_loadcnt 0x18
	s_set_vgpr_msb 0                        ;  msbs: dst=0 src0=0 src1=0 src2=0
	v_dual_mul_f32 v7, v208, v113 :: v_dual_mul_f32 v9, v210, v115
	v_dual_mul_f32 v83, v209, v113 :: v_dual_mul_f32 v85, v211, v115
	s_wait_loadcnt 0x17
	v_dual_mul_f32 v11, v212, v117 :: v_dual_mul_f32 v13, v214, v119
	s_delay_alu instid0(VALU_DEP_3) | instskip(SKIP_3) | instid1(VALU_DEP_3)
	v_dual_fmac_f32 v7, v209, v112 :: v_dual_fmac_f32 v9, v211, v114
	s_wait_loadcnt 0x15
	v_dual_fma_f32 v83, v208, v112, -v83 :: v_dual_mul_f32 v95, v221, v125
	v_dual_mul_f32 v87, v213, v117 :: v_dual_mul_f32 v89, v215, v119
	v_dual_fma_f32 v85, v210, v114, -v85 :: v_dual_add_f32 v7, 0, v7
	s_delay_alu instid0(VALU_DEP_3) | instskip(SKIP_1) | instid1(VALU_DEP_4)
	v_dual_add_f32 v83, 0, v83 :: v_dual_fmac_f32 v11, v213, v116
	v_dual_mul_f32 v15, v216, v121 :: v_dual_mul_f32 v17, v218, v123
	v_dual_mul_f32 v97, v223, v127 :: v_dual_fma_f32 v87, v212, v116, -v87
	s_delay_alu instid0(VALU_DEP_4) | instskip(NEXT) | instid1(VALU_DEP_3)
	v_add_f32_e32 v7, v7, v9
	v_dual_add_f32 v9, v83, v85 :: v_dual_fmac_f32 v15, v217, v120
	v_dual_mul_f32 v91, v217, v121 :: v_dual_mul_f32 v93, v219, v123
	s_wait_loadcnt 0x14
	v_dual_mul_f32 v83, v233, v129 :: v_dual_fmac_f32 v13, v215, v118
	v_dual_fma_f32 v85, v214, v118, -v89 :: v_dual_add_f32 v7, v7, v11
	s_delay_alu instid0(VALU_DEP_3) | instskip(SKIP_1) | instid1(VALU_DEP_3)
	v_dual_add_f32 v9, v9, v87 :: v_dual_fma_f32 v87, v216, v120, -v91
	v_dual_mul_f32 v19, v220, v125 :: v_dual_mul_f32 v21, v222, v127
	v_add_f32_e32 v7, v7, v13
	s_delay_alu instid0(VALU_DEP_3) | instskip(SKIP_2) | instid1(VALU_DEP_3)
	v_dual_mul_f32 v11, v235, v131 :: v_dual_add_f32 v9, v9, v85
	s_wait_loadcnt 0x13
	v_dual_mul_f32 v13, v237, v133 :: v_dual_fmac_f32 v17, v219, v122
	v_dual_fma_f32 v85, v218, v122, -v93 :: v_dual_add_f32 v7, v7, v15
	s_delay_alu instid0(VALU_DEP_3) | instskip(SKIP_1) | instid1(VALU_DEP_3)
	v_dual_add_f32 v9, v9, v87 :: v_dual_fma_f32 v87, v220, v124, -v95
	v_dual_mul_f32 v15, v239, v135 :: v_dual_fmac_f32 v19, v221, v124
	v_add_f32_e32 v7, v7, v17
	s_delay_alu instid0(VALU_DEP_3)
	v_dual_add_f32 v9, v9, v85 :: v_dual_fmac_f32 v21, v223, v126
	v_dual_mul_f32 v23, v232, v129 :: v_dual_mul_f32 v25, v234, v131
	s_wait_loadcnt_dscnt 0x120d
	v_dual_fma_f32 v85, v222, v126, -v97 :: v_dual_mul_f32 v17, v249, v137
	v_add_f32_e32 v7, v7, v19
	v_dual_add_f32 v9, v9, v87 :: v_dual_fma_f32 v83, v232, v128, -v83
	v_dual_mul_f32 v19, v251, v139 :: v_dual_fmac_f32 v23, v233, v128
	s_delay_alu instid0(VALU_DEP_3) | instskip(NEXT) | instid1(VALU_DEP_3)
	v_dual_add_f32 v7, v7, v21 :: v_dual_fma_f32 v11, v234, v130, -v11
	v_dual_add_f32 v9, v9, v85 :: v_dual_fmac_f32 v25, v235, v130
	v_dual_mul_f32 v27, v236, v133 :: v_dual_mul_f32 v29, v238, v135
	s_wait_loadcnt_dscnt 0x110c
	s_delay_alu instid0(VALU_DEP_3) | instskip(NEXT) | instid1(VALU_DEP_3)
	v_dual_mul_f32 v21, v253, v141 :: v_dual_add_f32 v7, v7, v23
	v_dual_add_f32 v9, v9, v83 :: v_dual_fma_f32 v13, v236, v132, -v13
	s_delay_alu instid0(VALU_DEP_3) | instskip(NEXT) | instid1(VALU_DEP_2)
	v_dual_mul_f32 v23, v255, v143 :: v_dual_fmac_f32 v27, v237, v132
	v_dual_add_f32 v7, v7, v25 :: v_dual_add_f32 v9, v9, v11
	v_dual_mul_f32 v31, v248, v137 :: v_dual_mul_f32 v33, v250, v139
	v_dual_fmac_f32 v29, v239, v134 :: v_dual_fma_f32 v15, v238, v134, -v15
	s_delay_alu instid0(VALU_DEP_3) | instskip(NEXT) | instid1(VALU_DEP_3)
	v_dual_add_f32 v7, v7, v27 :: v_dual_add_f32 v9, v9, v13
	v_dual_fmac_f32 v31, v249, v136 :: v_dual_fma_f32 v17, v248, v136, -v17
	v_dual_mul_f32 v35, v252, v141 :: v_dual_mul_f32 v37, v254, v143
	s_delay_alu instid0(VALU_DEP_3) | instskip(SKIP_1) | instid1(VALU_DEP_3)
	v_dual_add_f32 v7, v7, v29 :: v_dual_add_f32 v9, v9, v15
	v_dual_fmac_f32 v33, v251, v138 :: v_dual_fma_f32 v19, v250, v138, -v19
	v_dual_fmac_f32 v35, v253, v140 :: v_dual_fma_f32 v21, v252, v140, -v21
	s_delay_alu instid0(VALU_DEP_3)
	v_dual_add_f32 v7, v7, v31 :: v_dual_add_f32 v9, v9, v17
	s_wait_loadcnt_dscnt 0x100b
	s_set_vgpr_msb 1                        ;  msbs: dst=0 src0=1 src1=0 src2=0
	v_dual_mul_f32 v11, v1 /*v257*/, v145 :: v_dual_mul_f32 v13, v3 /*v259*/, v147
	s_set_vgpr_msb 0                        ;  msbs: dst=0 src0=0 src1=0 src2=0
	v_dual_fmac_f32 v37, v255, v142 :: v_dual_fma_f32 v23, v254, v142, -v23
	v_dual_add_f32 v7, v7, v33 :: v_dual_add_f32 v9, v9, v19
	s_set_vgpr_msb 1                        ;  msbs: dst=0 src0=1 src1=0 src2=0
	v_dual_mul_f32 v39, v0 /*v256*/, v145 :: v_dual_mul_f32 v41, v2 /*v258*/, v147
	v_fma_f32 v11, v0 /*v256*/, v144, -v11
	s_set_vgpr_msb 0                        ;  msbs: dst=0 src0=0 src1=0 src2=0
	v_dual_add_f32 v7, v7, v35 :: v_dual_add_f32 v9, v9, v21
	s_wait_loadcnt_dscnt 0xf0a
	s_set_vgpr_msb 1                        ;  msbs: dst=0 src0=1 src1=0 src2=0
	v_dual_mul_f32 v15, v5 /*v261*/, v149 :: v_dual_mul_f32 v17, v7 /*v263*/, v151
	v_dual_fmac_f32 v39, v1 /*v257*/, v144 :: v_dual_fmac_f32 v41, v3 /*v259*/, v146
	s_set_vgpr_msb 0                        ;  msbs: dst=0 src0=0 src1=0 src2=0
	v_dual_add_f32 v7, v7, v37 :: v_dual_add_f32 v9, v9, v23
	s_wait_loadcnt_dscnt 0xd08
	s_set_vgpr_msb 1                        ;  msbs: dst=0 src0=1 src1=0 src2=0
	v_dual_mul_f32 v23, v13 /*v269*/, v157 :: v_dual_fma_f32 v13, v2 /*v258*/, v146, -v13
	v_dual_mul_f32 v43, v4 /*v260*/, v149 :: v_dual_mul_f32 v45, v6 /*v262*/, v151
	s_set_vgpr_msb 0                        ;  msbs: dst=0 src0=0 src1=0 src2=0
	v_add_f32_e32 v9, v9, v11
	s_set_vgpr_msb 1                        ;  msbs: dst=0 src0=1 src1=0 src2=0
	v_mul_f32_e32 v11, v15 /*v271*/, v159
	s_set_vgpr_msb 0                        ;  msbs: dst=0 src0=0 src1=0 src2=0
	v_add_f32_e32 v7, v7, v39
	s_set_vgpr_msb 1                        ;  msbs: dst=0 src0=1 src1=0 src2=0
	v_dual_fma_f32 v15, v4 /*v260*/, v148, -v15 :: v_dual_mul_f32 v19, v9 /*v265*/, v153
	v_mul_f32_e32 v21, v11 /*v267*/, v155
	s_set_vgpr_msb 0                        ;  msbs: dst=0 src0=0 src1=0 src2=0
	v_add_f32_e32 v9, v9, v13
	s_set_vgpr_msb 1                        ;  msbs: dst=0 src0=1 src1=0 src2=0
	v_dual_fmac_f32 v43, v5 /*v261*/, v148 :: v_dual_fmac_f32 v45, v7 /*v263*/, v150
	s_set_vgpr_msb 0                        ;  msbs: dst=0 src0=0 src1=0 src2=0
	v_add_f32_e32 v7, v7, v41
	s_wait_loadcnt_dscnt 0xc07
	s_set_vgpr_msb 1                        ;  msbs: dst=0 src0=1 src1=0 src2=0
	v_dual_mul_f32 v13, v17 /*v273*/, v161 :: v_dual_fma_f32 v17, v6 /*v262*/, v150, -v17
	s_set_vgpr_msb 0                        ;  msbs: dst=0 src0=0 src1=0 src2=0
	v_add_f32_e32 v9, v9, v15
	s_set_vgpr_msb 1                        ;  msbs: dst=0 src0=1 src1=0 src2=0
	v_dual_mul_f32 v47, v8 /*v264*/, v153 :: v_dual_mul_f32 v49, v10 /*v266*/, v155
	v_mul_f32_e32 v15, v19 /*v275*/, v163
	s_set_vgpr_msb 0                        ;  msbs: dst=0 src0=0 src1=0 src2=0
	v_dual_add_f32 v7, v7, v43 :: v_dual_add_f32 v9, v9, v17
	s_wait_loadcnt_dscnt 0xb06
	s_set_vgpr_msb 1                        ;  msbs: dst=0 src0=1 src1=0 src2=0
	v_dual_fma_f32 v19, v8 /*v264*/, v152, -v19 :: v_dual_mul_f32 v17, v21 /*v277*/, v165
	v_dual_fmac_f32 v47, v9 /*v265*/, v152 :: v_dual_fmac_f32 v49, v11 /*v267*/, v154
	s_set_vgpr_msb 0                        ;  msbs: dst=0 src0=0 src1=0 src2=0
	v_add_f32_e32 v7, v7, v45
	s_set_vgpr_msb 1                        ;  msbs: dst=0 src0=1 src1=0 src2=0
	v_fma_f32 v21, v10 /*v266*/, v154, -v21
	s_set_vgpr_msb 0                        ;  msbs: dst=0 src0=0 src1=0 src2=0
	v_add_f32_e32 v9, v9, v19
	s_set_vgpr_msb 1                        ;  msbs: dst=0 src0=1 src1=0 src2=0
	v_dual_mul_f32 v51, v12 /*v268*/, v157 :: v_dual_mul_f32 v53, v14 /*v270*/, v159
	v_mul_f32_e32 v19, v23 /*v279*/, v167
	s_set_vgpr_msb 0                        ;  msbs: dst=0 src0=0 src1=0 src2=0
	v_dual_add_f32 v7, v7, v47 :: v_dual_add_f32 v9, v9, v21
	s_wait_loadcnt_dscnt 0xa05
	s_set_vgpr_msb 1                        ;  msbs: dst=0 src0=1 src1=0 src2=0
	v_dual_fma_f32 v23, v12 /*v268*/, v156, -v23 :: v_dual_mul_f32 v21, v25 /*v281*/, v169
	v_dual_mul_f32 v55, v16 /*v272*/, v161 :: v_dual_mul_f32 v57, v18 /*v274*/, v163
	v_dual_mul_f32 v59, v20 /*v276*/, v165 :: v_dual_mul_f32 v61, v22 /*v278*/, v167
	v_dual_fmac_f32 v51, v13 /*v269*/, v156 :: v_dual_fmac_f32 v53, v15 /*v271*/, v158
	v_fma_f32 v11, v14 /*v270*/, v158, -v11
	s_set_vgpr_msb 0                        ;  msbs: dst=0 src0=0 src1=0 src2=0
	v_dual_add_f32 v9, v9, v23 :: v_dual_add_f32 v7, v7, v49
	s_set_vgpr_msb 1                        ;  msbs: dst=0 src0=1 src1=0 src2=0
	v_dual_mul_f32 v23, v27 /*v283*/, v171 :: v_dual_fmac_f32 v55, v17 /*v273*/, v160
	v_fma_f32 v13, v16 /*v272*/, v160, -v13
	v_dual_fmac_f32 v57, v19 /*v275*/, v162 :: v_dual_fmac_f32 v59, v21 /*v277*/, v164
	s_set_vgpr_msb 0                        ;  msbs: dst=0 src0=0 src1=0 src2=0
	v_add_f32_e32 v9, v9, v11
	s_set_vgpr_msb 1                        ;  msbs: dst=0 src0=1 src1=0 src2=0
	v_dual_mul_f32 v63, v24 /*v280*/, v169 :: v_dual_mul_f32 v65, v26 /*v282*/, v171
	s_set_vgpr_msb 0                        ;  msbs: dst=0 src0=0 src1=0 src2=0
	v_add_f32_e32 v7, v7, v51
	s_wait_loadcnt_dscnt 0x904
	s_set_vgpr_msb 1                        ;  msbs: dst=0 src0=1 src1=0 src2=0
	v_dual_mul_f32 v11, v29 /*v285*/, v173 :: v_dual_fma_f32 v15, v18 /*v274*/, v162, -v15
	s_set_vgpr_msb 0                        ;  msbs: dst=0 src0=0 src1=0 src2=0
	v_add_f32_e32 v9, v9, v13
	s_set_vgpr_msb 1                        ;  msbs: dst=0 src0=1 src1=0 src2=0
	v_dual_mul_f32 v13, v31 /*v287*/, v175 :: v_dual_fma_f32 v17, v20 /*v276*/, v164, -v17
	s_set_vgpr_msb 0                        ;  msbs: dst=0 src0=0 src1=0 src2=0
	v_add_f32_e32 v7, v7, v53
	s_set_vgpr_msb 1                        ;  msbs: dst=0 src0=1 src1=0 src2=0
	v_dual_fmac_f32 v61, v23 /*v279*/, v166 :: v_dual_fmac_f32 v63, v25 /*v281*/, v168
	s_set_vgpr_msb 0                        ;  msbs: dst=0 src0=0 src1=0 src2=0
	v_add_f32_e32 v9, v9, v15
	s_set_vgpr_msb 1                        ;  msbs: dst=0 src0=1 src1=0 src2=0
	v_dual_mul_f32 v67, v28 /*v284*/, v173 :: v_dual_mul_f32 v69, v30 /*v286*/, v175
	s_set_vgpr_msb 0                        ;  msbs: dst=0 src0=0 src1=0 src2=0
	v_add_f32_e32 v7, v7, v55
	s_wait_loadcnt_dscnt 0x803
	s_set_vgpr_msb 1                        ;  msbs: dst=0 src0=1 src1=0 src2=0
	v_dual_mul_f32 v15, v33 /*v289*/, v177 :: v_dual_fma_f32 v19, v22 /*v278*/, v166, -v19
	s_set_vgpr_msb 0                        ;  msbs: dst=0 src0=0 src1=0 src2=0
	v_add_f32_e32 v9, v9, v17
	s_set_vgpr_msb 1                        ;  msbs: dst=0 src0=1 src1=0 src2=0
	v_dual_mul_f32 v17, v35 /*v291*/, v179 :: v_dual_fma_f32 v21, v24 /*v280*/, v168, -v21
	s_set_vgpr_msb 0                        ;  msbs: dst=0 src0=0 src1=0 src2=0
	v_add_f32_e32 v7, v7, v57
	s_set_vgpr_msb 1                        ;  msbs: dst=0 src0=1 src1=0 src2=0
	v_dual_fmac_f32 v65, v27 /*v283*/, v170 :: v_dual_fmac_f32 v67, v29 /*v285*/, v172
	s_set_vgpr_msb 0                        ;  msbs: dst=0 src0=0 src1=0 src2=0
	v_add_f32_e32 v9, v9, v19
	s_set_vgpr_msb 1                        ;  msbs: dst=0 src0=1 src1=0 src2=0
	v_dual_mul_f32 v71, v32 /*v288*/, v177 :: v_dual_mul_f32 v73, v34 /*v290*/, v179
	s_set_vgpr_msb 0                        ;  msbs: dst=0 src0=0 src1=0 src2=0
	v_add_f32_e32 v7, v7, v59
	s_wait_loadcnt_dscnt 0x702
	s_set_vgpr_msb 1                        ;  msbs: dst=0 src0=1 src1=0 src2=0
	v_dual_mul_f32 v19, v37 /*v293*/, v181 :: v_dual_fma_f32 v23, v26 /*v282*/, v170, -v23
	s_set_vgpr_msb 0                        ;  msbs: dst=0 src0=0 src1=0 src2=0
	v_add_f32_e32 v9, v9, v21
	s_set_vgpr_msb 1                        ;  msbs: dst=0 src0=1 src1=0 src2=0
	v_dual_mul_f32 v75, v36 /*v292*/, v181 :: v_dual_mul_f32 v77, v38 /*v294*/, v183
	s_set_vgpr_msb 0                        ;  msbs: dst=0 src0=0 src1=0 src2=0
	v_add_f32_e32 v7, v7, v61
	s_set_vgpr_msb 1                        ;  msbs: dst=0 src0=1 src1=0 src2=0
	v_dual_mul_f32 v21, v39 /*v295*/, v183 :: v_dual_fma_f32 v11, v28 /*v284*/, v172, -v11
	v_dual_fmac_f32 v69, v31 /*v287*/, v174 :: v_dual_fmac_f32 v71, v33 /*v289*/, v176
	s_set_vgpr_msb 0                        ;  msbs: dst=0 src0=0 src1=0 src2=0
	v_add_f32_e32 v9, v9, v23
	s_wait_loadcnt_dscnt 0x601
	s_set_vgpr_msb 1                        ;  msbs: dst=0 src0=1 src1=0 src2=0
	v_dual_mul_f32 v23, v41 /*v297*/, v185 :: v_dual_fma_f32 v13, v30 /*v286*/, v174, -v13
	v_dual_fmac_f32 v73, v35 /*v291*/, v178 :: v_dual_fmac_f32 v75, v37 /*v293*/, v180
	s_set_vgpr_msb 0                        ;  msbs: dst=0 src0=0 src1=0 src2=0
	v_add_f32_e32 v9, v9, v11
	v_add_f32_e32 v7, v7, v63
	s_set_vgpr_msb 1                        ;  msbs: dst=0 src0=1 src1=0 src2=0
	v_dual_mul_f32 v11, v43 /*v299*/, v187 :: v_dual_fma_f32 v15, v32 /*v288*/, v176, -v15
	v_fma_f32 v17, v34 /*v290*/, v178, -v17
	s_set_vgpr_msb 0                        ;  msbs: dst=0 src0=0 src1=0 src2=0
	v_add_f32_e32 v9, v9, v13
	v_add_f32_e32 v7, v7, v65
	s_wait_loadcnt_dscnt 0x500
	s_set_vgpr_msb 1                        ;  msbs: dst=0 src0=1 src1=0 src2=0
	v_mul_f32_e32 v13, v45 /*v301*/, v189
	s_wait_loadcnt 0x4
	s_set_vgpr_msb 0                        ;  msbs: dst=0 src0=0 src1=0 src2=0
	v_mov_b32_e32 v114, v195
	s_set_vgpr_msb 1                        ;  msbs: dst=0 src0=1 src1=0 src2=0
	v_dual_mul_f32 v79, v40 /*v296*/, v185 :: v_dual_mul_f32 v81, v42 /*v298*/, v187
	s_set_vgpr_msb 0                        ;  msbs: dst=0 src0=0 src1=0 src2=0
	v_add_f32_e32 v9, v9, v15
	v_add_f32_e32 v7, v7, v67
	s_set_vgpr_msb 1                        ;  msbs: dst=0 src0=1 src1=0 src2=0
	v_dual_mul_f32 v15, v47 /*v303*/, v191 :: v_dual_fma_f32 v19, v36 /*v292*/, v180, -v19
	v_dual_fmac_f32 v77, v39 /*v295*/, v182 :: v_dual_fmac_f32 v79, v41 /*v297*/, v184
	s_set_vgpr_msb 0                        ;  msbs: dst=0 src0=0 src1=0 src2=0
	v_add_f32_e32 v9, v9, v17
	v_add_f32_e32 v7, v7, v69
	s_set_vgpr_msb 1                        ;  msbs: dst=0 src0=1 src1=0 src2=0
	v_fma_f32 v17, v38 /*v294*/, v182, -v21
	s_set_vgpr_msb 0x41                     ;  msbs: dst=1 src0=1 src1=0 src2=0
	v_dual_mul_f32 v59 /*v315*/, v44 /*v300*/, v189 :: v_dual_mul_f32 v61 /*v317*/, v46 /*v302*/, v191
	s_set_vgpr_msb 0                        ;  msbs: dst=0 src0=0 src1=0 src2=0
	v_add_f32_e32 v9, v9, v19
	s_set_vgpr_msb 1                        ;  msbs: dst=0 src0=1 src1=0 src2=0
	v_fma_f32 v19, v40 /*v296*/, v184, -v23
	s_set_vgpr_msb 0                        ;  msbs: dst=0 src0=0 src1=0 src2=0
	v_add_f32_e32 v7, v7, v71
	s_set_vgpr_msb 1                        ;  msbs: dst=0 src0=1 src1=0 src2=0
	v_dual_fmac_f32 v81, v43 /*v299*/, v186 :: v_dual_fma_f32 v11, v42 /*v298*/, v186, -v11
	s_set_vgpr_msb 0                        ;  msbs: dst=0 src0=0 src1=0 src2=0
	v_add_f32_e32 v9, v9, v17
	v_pk_mul_f32 v[112:113], v[224:225], v[192:193] op_sel:[1,1] op_sel_hi:[0,1]
	v_add_f32_e32 v7, v7, v73
	s_wait_loadcnt 0x3
	v_mov_b32_e32 v118, v199
	s_set_vgpr_msb 0x41                     ;  msbs: dst=1 src0=1 src1=0 src2=0
	v_dual_fmac_f32 v59 /*v315*/, v45 /*v301*/, v188 :: v_dual_fmac_f32 v61 /*v317*/, v47 /*v303*/, v190
	s_set_vgpr_msb 0                        ;  msbs: dst=0 src0=0 src1=0 src2=0
	v_add_f32_e32 v9, v9, v19
	v_add_f32_e32 v7, v7, v75
	s_set_vgpr_msb 0x41                     ;  msbs: dst=1 src0=1 src1=0 src2=0
	v_dual_fma_f32 v58 /*v314*/, v44 /*v300*/, v188, -v13 :: v_dual_fma_f32 v60 /*v316*/, v46 /*v302*/, v190, -v15
	s_set_vgpr_msb 0                        ;  msbs: dst=0 src0=0 src1=0 src2=0
	v_pk_fma_f32 v[122:123], v[224:225], v[192:193], v[112:113] op_sel_hi:[1,0,1]
	v_dual_add_f32 v120, v9, v11 :: v_dual_add_f32 v7, v7, v77
	s_set_vgpr_msb 1                        ;  msbs: dst=0 src0=1 src1=0 src2=0
	v_pk_mul_f32 v[114:115], v[50:51] /*v[306:307]*/, v[114:115] op_sel_hi:[1,0]
	s_set_vgpr_msb 0                        ;  msbs: dst=0 src0=0 src1=0 src2=0
	v_pk_fma_f32 v[112:113], v[224:225], v[192:193], v[112:113] neg_lo:[0,0,1] neg_hi:[0,0,1]
	v_pk_mul_f32 v[116:117], v[228:229], v[196:197] op_sel:[1,1] op_sel_hi:[0,1]
	v_mov_b32_e32 v113, v123
	v_add_f32_e32 v7, v7, v79
	v_pk_fma_f32 v[122:123], v[226:227], v[194:195], v[114:115] op_sel_hi:[1,0,1]
	v_pk_fma_f32 v[114:115], v[226:227], v[194:195], v[114:115] neg_lo:[0,0,1] neg_hi:[0,0,1]
	v_pk_fma_f32 v[126:127], v[228:229], v[196:197], v[116:117] op_sel_hi:[1,0,1]
	s_set_vgpr_msb 1                        ;  msbs: dst=0 src0=1 src1=0 src2=0
	v_pk_mul_f32 v[118:119], v[52:53] /*v[308:309]*/, v[118:119] op_sel_hi:[1,0]
	s_set_vgpr_msb 0                        ;  msbs: dst=0 src0=0 src1=0 src2=0
	v_add_f32_e32 v121, v7, v81
	v_mov_b32_e32 v115, v123
	s_wait_loadcnt 0x2
	v_pk_mul_f32 v[124:125], v[240:241], v[200:201] op_sel:[1,1] op_sel_hi:[0,1]
	v_pk_fma_f32 v[116:117], v[228:229], v[196:197], v[116:117] neg_lo:[0,0,1] neg_hi:[0,0,1]
	v_mov_b32_e32 v117, v127
	s_set_vgpr_msb 4                        ;  msbs: dst=0 src0=0 src1=1 src2=0
	v_pk_add_f32 v[120:121], v[120:121], v[58:59] /*v[314:315]*/
	s_set_vgpr_msb 0                        ;  msbs: dst=0 src0=0 src1=0 src2=0
	v_pk_fma_f32 v[122:123], v[230:231], v[198:199], v[118:119] op_sel_hi:[1,0,1]
	v_pk_fma_f32 v[118:119], v[230:231], v[198:199], v[118:119] neg_lo:[0,0,1] neg_hi:[0,0,1]
	s_set_vgpr_msb 4                        ;  msbs: dst=0 src0=0 src1=1 src2=0
	v_pk_add_f32 v[120:121], v[120:121], v[60:61] /*v[316:317]*/
	s_set_vgpr_msb 0                        ;  msbs: dst=0 src0=0 src1=0 src2=0
	s_delay_alu instid0(VALU_DEP_1) | instskip(SKIP_1) | instid1(VALU_DEP_2)
	v_pk_add_f32 v[112:113], v[120:121], v[112:113]
	v_mov_b32_e32 v120, v203
	v_pk_add_f32 v[112:113], v[112:113], v[114:115]
	v_pk_fma_f32 v[114:115], v[240:241], v[200:201], v[124:125] op_sel_hi:[1,0,1]
	s_set_vgpr_msb 1                        ;  msbs: dst=0 src0=1 src1=0 src2=0
	s_delay_alu instid0(VALU_DEP_3)
	v_pk_mul_f32 v[120:121], v[54:55] /*v[310:311]*/, v[120:121] op_sel_hi:[1,0]
	s_set_vgpr_msb 0                        ;  msbs: dst=0 src0=0 src1=0 src2=0
	v_mov_b32_e32 v119, v123
	v_pk_fma_f32 v[122:123], v[240:241], v[200:201], v[124:125] neg_lo:[0,0,1] neg_hi:[0,0,1]
	v_pk_add_f32 v[112:113], v[112:113], v[116:117]
	v_mov_b32_e32 v123, v115
	v_pk_fma_f32 v[114:115], v[242:243], v[202:203], v[120:121] op_sel_hi:[1,0,1]
	s_wait_loadcnt 0x1
	v_pk_mul_f32 v[116:117], v[244:245], v[204:205] op_sel:[1,1] op_sel_hi:[0,1]
	v_mov_b32_e32 v114, v207
	v_pk_add_f32 v[112:113], v[112:113], v[118:119]
	v_pk_fma_f32 v[120:121], v[242:243], v[202:203], v[120:121] neg_lo:[0,0,1] neg_hi:[0,0,1]
	v_mov_b32_e32 v121, v115
	v_pk_fma_f32 v[118:119], v[244:245], v[204:205], v[116:117] op_sel_hi:[1,0,1]
	s_set_vgpr_msb 1                        ;  msbs: dst=0 src0=1 src1=0 src2=0
	v_pk_mul_f32 v[114:115], v[56:57] /*v[312:313]*/, v[114:115] op_sel_hi:[1,0]
	s_set_vgpr_msb 0                        ;  msbs: dst=0 src0=0 src1=0 src2=0
	v_pk_add_f32 v[112:113], v[112:113], v[122:123]
	v_pk_fma_f32 v[116:117], v[244:245], v[204:205], v[116:117] neg_lo:[0,0,1] neg_hi:[0,0,1]
	v_mov_b32_e32 v117, v119
	v_pk_fma_f32 v[118:119], v[246:247], v[206:207], v[114:115] op_sel_hi:[1,0,1]
	s_delay_alu instid0(VALU_DEP_4) | instskip(SKIP_1) | instid1(VALU_DEP_3)
	v_pk_add_f32 v[112:113], v[112:113], v[120:121]
	v_pk_fma_f32 v[114:115], v[246:247], v[206:207], v[114:115] neg_lo:[0,0,1] neg_hi:[0,0,1]
	v_mov_b32_e32 v115, v119
	s_delay_alu instid0(VALU_DEP_3) | instskip(NEXT) | instid1(VALU_DEP_1)
	v_pk_add_f32 v[112:113], v[112:113], v[116:117]
	v_pk_add_f32 v[112:113], v[112:113], v[114:115]
	s_wait_loadcnt 0x0
	s_set_vgpr_msb 1                        ;  msbs: dst=0 src0=1 src1=0 src2=0
	s_delay_alu instid0(VALU_DEP_1)
	v_pk_add_f32 v[112:113], v[48:49] /*v[304:305]*/, v[112:113] neg_lo:[0,1] neg_hi:[0,1]
	scratch_store_b64 off, v[112:113], off offset:48
	s_wait_xcnt 0x0
	v_cmpx_lt_u32_e32 5, v0
	s_set_vgpr_msb 0                        ;  msbs: dst=0 src0=0 src1=0 src2=0
	s_cbranch_execz .LBB118_333
; %bb.332:
	scratch_load_b64 v[112:113], off, off offset:40
	v_mov_b64_e32 v[114:115], 0
	scratch_store_b64 off, v[114:115], off offset:40
	s_wait_loadcnt 0x0
	ds_store_b64 v1, v[112:113]
.LBB118_333:
	s_wait_xcnt 0x0
	s_or_b32 exec_lo, exec_lo, s0
	s_wait_storecnt_dscnt 0x0
	s_barrier_signal -1
	s_barrier_wait -1
	s_clause 0x1a
	scratch_load_b128 v[112:115], off, off offset:48
	scratch_load_b128 v[116:119], off, off offset:64
	;; [unrolled: 1-line block ×24, first 2 shown]
	s_set_vgpr_msb 64                       ;  msbs: dst=1 src0=0 src1=0 src2=0
	scratch_load_b64 v[48:49] /*v[304:305]*/, off, off offset:432
	scratch_load_b64 v[50:51] /*v[306:307]*/, off, off offset:40
	s_set_vgpr_msb 0                        ;  msbs: dst=0 src0=0 src1=0 src2=0
	v_mov_b32_e32 v7, 0
	ds_load_b128 v[208:211], v7 offset:496
	ds_load_b128 v[212:215], v7 offset:512
	;; [unrolled: 1-line block ×12, first 2 shown]
	s_set_vgpr_msb 64                       ;  msbs: dst=1 src0=0 src1=0 src2=0
	ds_load_b128 v[0:3] /*v[256:259]*/, v7 offset:624
	ds_load_b128 v[4:7] /*v[260:263]*/, v7 offset:640
	;; [unrolled: 1-line block ×12, first 2 shown]
	ds_load_b64 v[52:53] /*v[308:309]*/, v7 offset:880
	s_wait_dscnt 0x14
	v_dual_mov_b32 v54 /*v310*/, v227 :: v_dual_mov_b32 v55 /*v311*/, v226
	s_wait_dscnt 0x11
	v_dual_mov_b32 v56 /*v312*/, v239 :: v_dual_mov_b32 v57 /*v313*/, v238
	;; [unrolled: 2-line block ×4, first 2 shown]
	s_mov_b32 s0, exec_lo
	s_wait_loadcnt 0x19
	s_set_vgpr_msb 0                        ;  msbs: dst=0 src0=0 src1=0 src2=0
	v_dual_mul_f32 v9, v208, v113 :: v_dual_mul_f32 v11, v210, v115
	s_wait_loadcnt 0x18
	v_mul_f32_e32 v13, v212, v117
	v_dual_mul_f32 v87, v209, v113 :: v_dual_mul_f32 v89, v211, v115
	v_mul_f32_e32 v91, v213, v117
	s_wait_loadcnt 0x12
	v_dual_fmac_f32 v9, v209, v112 :: v_dual_mul_f32 v39, v250, v143
	s_delay_alu instid0(VALU_DEP_3) | instskip(SKIP_1) | instid1(VALU_DEP_3)
	v_dual_fma_f32 v87, v208, v112, -v87 :: v_dual_mul_f32 v101, v223, v127
	v_dual_fma_f32 v89, v210, v114, -v89 :: v_dual_fmac_f32 v11, v211, v114
	v_dual_add_f32 v9, 0, v9 :: v_dual_mul_f32 v15, v214, v119
	s_delay_alu instid0(VALU_DEP_3)
	v_dual_mul_f32 v17, v216, v121 :: v_dual_add_f32 v87, 0, v87
	v_dual_mul_f32 v93, v215, v119 :: v_dual_mul_f32 v95, v217, v121
	v_dual_mul_f32 v103, v229, v129 :: v_dual_fma_f32 v91, v212, v116, -v91
	s_wait_loadcnt_dscnt 0x601
	s_set_vgpr_msb 1                        ;  msbs: dst=0 src0=1 src1=0 src2=0
	v_mul_f32_e32 v85, v44 /*v300*/, v189
	s_set_vgpr_msb 0                        ;  msbs: dst=0 src0=0 src1=0 src2=0
	v_fmac_f32_e32 v13, v213, v116
	v_dual_add_f32 v9, v9, v11 :: v_dual_fmac_f32 v15, v215, v118
	v_add_f32_e32 v11, v87, v89
	v_dual_mul_f32 v87, v231, v131 :: v_dual_fma_f32 v89, v214, v118, -v93
	s_delay_alu instid0(VALU_DEP_3) | instskip(NEXT) | instid1(VALU_DEP_3)
	v_dual_add_f32 v9, v9, v13 :: v_dual_mul_f32 v19, v218, v123
	v_dual_mul_f32 v21, v220, v125 :: v_dual_add_f32 v11, v11, v91
	v_dual_mul_f32 v97, v219, v123 :: v_dual_mul_f32 v99, v221, v125
	v_dual_mul_f32 v13, v233, v133 :: v_dual_fma_f32 v91, v216, v120, -v95
	s_delay_alu instid0(VALU_DEP_3) | instskip(SKIP_1) | instid1(VALU_DEP_4)
	v_dual_fmac_f32 v17, v217, v120 :: v_dual_add_f32 v11, v11, v89
	v_dual_add_f32 v9, v9, v15 :: v_dual_fmac_f32 v19, v219, v122
	v_dual_mul_f32 v15, v235, v135 :: v_dual_fma_f32 v89, v218, v122, -v97
	s_delay_alu instid0(VALU_DEP_2) | instskip(SKIP_2) | instid1(VALU_DEP_3)
	v_dual_add_f32 v11, v11, v91 :: v_dual_add_f32 v9, v9, v17
	v_dual_mul_f32 v23, v222, v127 :: v_dual_mul_f32 v25, v228, v129
	v_dual_mul_f32 v17, v245, v137 :: v_dual_fma_f32 v91, v220, v124, -v99
	v_dual_fmac_f32 v21, v221, v124 :: v_dual_add_f32 v11, v11, v89
	s_delay_alu instid0(VALU_DEP_3) | instskip(SKIP_1) | instid1(VALU_DEP_2)
	v_dual_add_f32 v9, v9, v19 :: v_dual_fmac_f32 v23, v223, v126
	v_dual_mul_f32 v19, v247, v139 :: v_dual_fma_f32 v89, v222, v126, -v101
	v_dual_add_f32 v11, v11, v91 :: v_dual_add_f32 v9, v9, v21
	v_dual_mul_f32 v27, v230, v131 :: v_dual_mul_f32 v29, v232, v133
	v_dual_mul_f32 v21, v249, v141 :: v_dual_fma_f32 v91, v228, v128, -v103
	s_delay_alu instid0(VALU_DEP_3) | instskip(NEXT) | instid1(VALU_DEP_3)
	v_dual_fmac_f32 v25, v229, v128 :: v_dual_add_f32 v11, v11, v89
	v_dual_add_f32 v9, v9, v23 :: v_dual_fmac_f32 v27, v231, v130
	v_dual_mul_f32 v23, v251, v143 :: v_dual_fma_f32 v87, v230, v130, -v87
	s_delay_alu instid0(VALU_DEP_2) | instskip(SKIP_1) | instid1(VALU_DEP_2)
	v_dual_add_f32 v11, v11, v91 :: v_dual_add_f32 v9, v9, v25
	v_dual_mul_f32 v31, v234, v135 :: v_dual_mul_f32 v33, v244, v137
	v_dual_fmac_f32 v29, v233, v132 :: v_dual_add_f32 v11, v11, v87
	s_delay_alu instid0(VALU_DEP_3) | instskip(NEXT) | instid1(VALU_DEP_3)
	v_dual_fma_f32 v13, v232, v132, -v13 :: v_dual_add_f32 v9, v9, v27
	v_fmac_f32_e32 v31, v235, v134
	v_fma_f32 v15, v234, v134, -v15
	v_dual_mul_f32 v35, v246, v139 :: v_dual_mul_f32 v37, v248, v141
	s_delay_alu instid0(VALU_DEP_4)
	v_add_f32_e32 v9, v9, v29
	v_dual_add_f32 v11, v11, v13 :: v_dual_fmac_f32 v33, v245, v136
	v_fma_f32 v17, v244, v136, -v17
	s_set_vgpr_msb 1                        ;  msbs: dst=0 src0=1 src1=0 src2=0
	v_dual_mul_f32 v41, v0 /*v256*/, v145 :: v_dual_mul_f32 v43, v2 /*v258*/, v147
	s_set_vgpr_msb 0                        ;  msbs: dst=0 src0=0 src1=0 src2=0
	v_add_f32_e32 v9, v9, v31
	v_add_f32_e32 v11, v11, v15
	v_fmac_f32_e32 v35, v247, v138
	v_fma_f32 v19, v246, v138, -v19
	s_set_vgpr_msb 1                        ;  msbs: dst=0 src0=1 src1=0 src2=0
	v_dual_mul_f32 v25, v1 /*v257*/, v145 :: v_dual_mul_f32 v27, v3 /*v259*/, v147
	s_set_vgpr_msb 0                        ;  msbs: dst=0 src0=0 src1=0 src2=0
	v_add_f32_e32 v9, v9, v33
	v_dual_add_f32 v11, v11, v17 :: v_dual_fmac_f32 v37, v249, v140
	v_fma_f32 v21, v248, v140, -v21
	s_set_vgpr_msb 1                        ;  msbs: dst=0 src0=1 src1=0 src2=0
	v_fmac_f32_e32 v41, v1 /*v257*/, v144
	s_set_vgpr_msb 0                        ;  msbs: dst=0 src0=0 src1=0 src2=0
	v_add_f32_e32 v9, v9, v35
	v_add_f32_e32 v11, v11, v19
	v_fmac_f32_e32 v39, v251, v142
	v_fma_f32 v23, v250, v142, -v23
	s_set_vgpr_msb 1                        ;  msbs: dst=0 src0=1 src1=0 src2=0
	v_fma_f32 v25, v0 /*v256*/, v144, -v25
	s_set_vgpr_msb 0                        ;  msbs: dst=0 src0=0 src1=0 src2=0
	v_add_f32_e32 v9, v9, v37
	v_add_f32_e32 v11, v11, v21
	s_set_vgpr_msb 1                        ;  msbs: dst=0 src0=1 src1=0 src2=0
	v_mul_f32_e32 v21, v13 /*v269*/, v157
	v_dual_mul_f32 v45, v4 /*v260*/, v149 :: v_dual_mul_f32 v47, v6 /*v262*/, v151
	v_dual_mul_f32 v13, v5 /*v261*/, v149 :: v_dual_mul_f32 v15, v7 /*v263*/, v151
	s_set_vgpr_msb 0                        ;  msbs: dst=0 src0=0 src1=0 src2=0
	v_add_f32_e32 v11, v11, v23
	v_add_f32_e32 v9, v9, v39
	s_set_vgpr_msb 1                        ;  msbs: dst=0 src0=1 src1=0 src2=0
	v_mul_f32_e32 v23, v15 /*v271*/, v159
	v_fmac_f32_e32 v43, v3 /*v259*/, v146
	v_dual_fma_f32 v27, v2 /*v258*/, v146, -v27 :: v_dual_fmac_f32 v45, v5 /*v261*/, v148
	s_set_vgpr_msb 0                        ;  msbs: dst=0 src0=0 src1=0 src2=0
	v_add_f32_e32 v11, v11, v25
	v_add_f32_e32 v9, v9, v41
	s_set_vgpr_msb 1                        ;  msbs: dst=0 src0=1 src1=0 src2=0
	v_dual_mul_f32 v25, v17 /*v273*/, v161 :: v_dual_fma_f32 v13, v4 /*v260*/, v148, -v13
	v_dual_mul_f32 v49, v8 /*v264*/, v153 :: v_dual_mul_f32 v51, v10 /*v266*/, v155
	s_set_vgpr_msb 0                        ;  msbs: dst=0 src0=0 src1=0 src2=0
	v_add_f32_e32 v11, v11, v27
	s_set_vgpr_msb 1                        ;  msbs: dst=0 src0=1 src1=0 src2=0
	v_mul_f32_e32 v27, v19 /*v275*/, v163
	s_set_vgpr_msb 0                        ;  msbs: dst=0 src0=0 src1=0 src2=0
	v_add_f32_e32 v9, v9, v43
	s_set_vgpr_msb 1                        ;  msbs: dst=0 src0=1 src1=0 src2=0
	v_dual_mul_f32 v17, v9 /*v265*/, v153 :: v_dual_mul_f32 v19, v11 /*v267*/, v155
	v_fmac_f32_e32 v47, v7 /*v263*/, v150
	v_dual_fma_f32 v15, v6 /*v262*/, v150, -v15 :: v_dual_fmac_f32 v49, v9 /*v265*/, v152
	s_set_vgpr_msb 0                        ;  msbs: dst=0 src0=0 src1=0 src2=0
	v_add_f32_e32 v11, v11, v13
	v_add_f32_e32 v9, v9, v45
	s_set_vgpr_msb 1                        ;  msbs: dst=0 src0=1 src1=0 src2=0
	v_dual_mul_f32 v13, v21 /*v277*/, v165 :: v_dual_fma_f32 v17, v8 /*v264*/, v152, -v17
	v_dual_mul_f32 v53, v12 /*v268*/, v157 :: v_dual_mul_f32 v55, v14 /*v270*/, v159
	s_set_vgpr_msb 0                        ;  msbs: dst=0 src0=0 src1=0 src2=0
	v_add_f32_e32 v11, v11, v15
	s_set_vgpr_msb 1                        ;  msbs: dst=0 src0=1 src1=0 src2=0
	v_mul_f32_e32 v15, v23 /*v279*/, v167
	s_set_vgpr_msb 0                        ;  msbs: dst=0 src0=0 src1=0 src2=0
	v_add_f32_e32 v9, v9, v47
	s_set_vgpr_msb 1                        ;  msbs: dst=0 src0=1 src1=0 src2=0
	v_fmac_f32_e32 v51, v11 /*v267*/, v154
	v_dual_fma_f32 v19, v10 /*v266*/, v154, -v19 :: v_dual_fmac_f32 v53, v13 /*v269*/, v156
	s_set_vgpr_msb 0                        ;  msbs: dst=0 src0=0 src1=0 src2=0
	v_add_f32_e32 v11, v11, v17
	v_add_f32_e32 v9, v9, v49
	s_set_vgpr_msb 1                        ;  msbs: dst=0 src0=1 src1=0 src2=0
	v_dual_mul_f32 v17, v25 /*v281*/, v169 :: v_dual_fma_f32 v21, v12 /*v268*/, v156, -v21
	v_dual_mul_f32 v57, v16 /*v272*/, v161 :: v_dual_mul_f32 v59, v18 /*v274*/, v163
	s_set_vgpr_msb 0                        ;  msbs: dst=0 src0=0 src1=0 src2=0
	v_add_f32_e32 v11, v11, v19
	s_set_vgpr_msb 1                        ;  msbs: dst=0 src0=1 src1=0 src2=0
	v_mul_f32_e32 v19, v27 /*v283*/, v171
	s_set_vgpr_msb 0                        ;  msbs: dst=0 src0=0 src1=0 src2=0
	v_add_f32_e32 v9, v9, v51
	s_set_vgpr_msb 1                        ;  msbs: dst=0 src0=1 src1=0 src2=0
	;; [unrolled: 15-line block ×7, first 2 shown]
	v_dual_fmac_f32 v75, v35 /*v291*/, v178 :: v_dual_fmac_f32 v77, v37 /*v293*/, v180
	v_dual_fma_f32 v27, v34 /*v290*/, v178, -v27 :: v_dual_fma_f32 v13, v36 /*v292*/, v180, -v13
	s_set_vgpr_msb 0                        ;  msbs: dst=0 src0=0 src1=0 src2=0
	v_add_f32_e32 v11, v11, v25
	v_add_f32_e32 v9, v9, v73
	s_set_vgpr_msb 1                        ;  msbs: dst=0 src0=1 src1=0 src2=0
	v_dual_mul_f32 v81, v40 /*v296*/, v185 :: v_dual_mul_f32 v83, v42 /*v298*/, v187
	s_wait_loadcnt 0x5
	s_set_vgpr_msb 0                        ;  msbs: dst=0 src0=0 src1=0 src2=0
	v_dual_mul_f32 v25, v225, v193 :: v_dual_add_f32 v11, v11, v27
	v_dual_add_f32 v9, v9, v75 :: v_dual_mov_b32 v112, v195
	s_set_vgpr_msb 1                        ;  msbs: dst=0 src0=1 src1=0 src2=0
	v_dual_fmac_f32 v79, v39 /*v295*/, v182 :: v_dual_fmac_f32 v81, v41 /*v297*/, v184
	v_fma_f32 v15, v38 /*v294*/, v182, -v15
	s_set_vgpr_msb 0                        ;  msbs: dst=0 src0=0 src1=0 src2=0
	v_add_f32_e32 v11, v11, v13
	s_set_vgpr_msb 1                        ;  msbs: dst=0 src0=1 src1=0 src2=0
	v_fma_f32 v13, v40 /*v296*/, v184, -v17
	s_set_vgpr_msb 0                        ;  msbs: dst=0 src0=0 src1=0 src2=0
	v_add_f32_e32 v9, v9, v77
	s_set_vgpr_msb 1                        ;  msbs: dst=0 src0=1 src1=0 src2=0
	v_dual_fmac_f32 v83, v43 /*v299*/, v186 :: v_dual_fmac_f32 v85, v45 /*v301*/, v188
	s_set_vgpr_msb 0                        ;  msbs: dst=0 src0=0 src1=0 src2=0
	v_add_f32_e32 v11, v11, v15
	s_set_vgpr_msb 1                        ;  msbs: dst=0 src0=1 src1=0 src2=0
	v_fma_f32 v15, v42 /*v298*/, v186, -v19
	s_wait_loadcnt 0x4
	s_set_vgpr_msb 0                        ;  msbs: dst=0 src0=0 src1=0 src2=0
	v_dual_add_f32 v9, v9, v79 :: v_dual_mov_b32 v116, v199
	s_set_vgpr_msb 0x41                     ;  msbs: dst=1 src0=1 src1=0 src2=0
	v_dual_mul_f32 v63 /*v319*/, v46 /*v302*/, v191 :: v_dual_fma_f32 v62 /*v318*/, v46 /*v302*/, v190, -v23
	s_set_vgpr_msb 1                        ;  msbs: dst=0 src0=1 src1=0 src2=0
	v_pk_mul_f32 v[112:113], v[54:55] /*v[310:311]*/, v[112:113] op_sel_hi:[1,0]
	s_set_vgpr_msb 0                        ;  msbs: dst=0 src0=0 src1=0 src2=0
	v_add_f32_e32 v9, v9, v81
	v_add_f32_e32 v11, v11, v13
	s_set_vgpr_msb 1                        ;  msbs: dst=0 src0=1 src1=0 src2=0
	v_fma_f32 v13, v44 /*v300*/, v188, -v21
	s_set_vgpr_msb 64                       ;  msbs: dst=1 src0=0 src1=0 src2=0
	v_dual_mul_f32 v65 /*v321*/, v224, v193 :: v_dual_fma_f32 v64 /*v320*/, v224, v192, -v25
	s_set_vgpr_msb 0                        ;  msbs: dst=0 src0=0 src1=0 src2=0
	v_add_f32_e32 v9, v9, v83
	v_add_f32_e32 v11, v11, v15
	s_set_vgpr_msb 0x41                     ;  msbs: dst=1 src0=1 src1=0 src2=0
	v_fmac_f32_e32 v63 /*v319*/, v47 /*v303*/, v190
	s_set_vgpr_msb 0                        ;  msbs: dst=0 src0=0 src1=0 src2=0
	v_pk_fma_f32 v[124:125], v[226:227], v[194:195], v[112:113] op_sel_hi:[1,0,1]
	v_pk_fma_f32 v[112:113], v[226:227], v[194:195], v[112:113] neg_lo:[0,0,1] neg_hi:[0,0,1]
	v_add_f32_e32 v121, v9, v85
	v_add_f32_e32 v120, v11, v13
	v_pk_mul_f32 v[114:115], v[236:237], v[196:197] op_sel:[1,1] op_sel_hi:[0,1]
	s_set_vgpr_msb 64                       ;  msbs: dst=1 src0=0 src1=0 src2=0
	v_fmac_f32_e32 v65 /*v321*/, v225, v192
	s_set_vgpr_msb 0                        ;  msbs: dst=0 src0=0 src1=0 src2=0
	v_mov_b32_e32 v113, v125
	s_set_vgpr_msb 1                        ;  msbs: dst=0 src0=1 src1=0 src2=0
	v_pk_mul_f32 v[116:117], v[56:57] /*v[312:313]*/, v[116:117] op_sel_hi:[1,0]
	s_set_vgpr_msb 4                        ;  msbs: dst=0 src0=0 src1=1 src2=0
	v_pk_add_f32 v[120:121], v[120:121], v[62:63] /*v[318:319]*/
	s_set_vgpr_msb 0                        ;  msbs: dst=0 src0=0 src1=0 src2=0
	v_pk_fma_f32 v[126:127], v[236:237], v[196:197], v[114:115] op_sel_hi:[1,0,1]
	v_pk_fma_f32 v[114:115], v[236:237], v[196:197], v[114:115] neg_lo:[0,0,1] neg_hi:[0,0,1]
	s_wait_loadcnt 0x3
	v_pk_mul_f32 v[118:119], v[240:241], v[200:201] op_sel:[1,1] op_sel_hi:[0,1]
	v_mov_b32_e32 v122, v203
	s_set_vgpr_msb 4                        ;  msbs: dst=0 src0=0 src1=1 src2=0
	v_pk_add_f32 v[120:121], v[120:121], v[64:65] /*v[320:321]*/
	v_mov_b32_e32 v115, v127
	s_set_vgpr_msb 0                        ;  msbs: dst=0 src0=0 src1=0 src2=0
	v_pk_fma_f32 v[126:127], v[238:239], v[198:199], v[116:117] op_sel_hi:[1,0,1]
	v_pk_fma_f32 v[116:117], v[238:239], v[198:199], v[116:117] neg_lo:[0,0,1] neg_hi:[0,0,1]
	s_set_vgpr_msb 1                        ;  msbs: dst=0 src0=1 src1=0 src2=0
	v_pk_mul_f32 v[122:123], v[58:59] /*v[314:315]*/, v[122:123] op_sel_hi:[1,0]
	s_set_vgpr_msb 0                        ;  msbs: dst=0 src0=0 src1=0 src2=0
	v_pk_add_f32 v[112:113], v[120:121], v[112:113]
	v_pk_fma_f32 v[120:121], v[240:241], v[200:201], v[118:119] op_sel_hi:[1,0,1]
	v_mov_b32_e32 v117, v127
	v_pk_fma_f32 v[118:119], v[240:241], v[200:201], v[118:119] neg_lo:[0,0,1] neg_hi:[0,0,1]
	s_wait_loadcnt 0x2
	v_pk_mul_f32 v[124:125], v[252:253], v[204:205] op_sel:[1,1] op_sel_hi:[0,1]
	v_pk_add_f32 v[112:113], v[112:113], v[114:115]
	v_dual_mov_b32 v114, v207 :: v_dual_mov_b32 v119, v121
	v_pk_fma_f32 v[120:121], v[242:243], v[202:203], v[122:123] op_sel_hi:[1,0,1]
	v_pk_fma_f32 v[122:123], v[242:243], v[202:203], v[122:123] neg_lo:[0,0,1] neg_hi:[0,0,1]
	s_delay_alu instid0(VALU_DEP_4)
	v_pk_add_f32 v[112:113], v[112:113], v[116:117]
	v_pk_fma_f32 v[116:117], v[252:253], v[204:205], v[124:125] op_sel_hi:[1,0,1]
	s_set_vgpr_msb 1                        ;  msbs: dst=0 src0=1 src1=0 src2=0
	v_pk_mul_f32 v[114:115], v[60:61] /*v[316:317]*/, v[114:115] op_sel_hi:[1,0]
	s_set_vgpr_msb 0                        ;  msbs: dst=0 src0=0 src1=0 src2=0
	v_mov_b32_e32 v123, v121
	s_wait_loadcnt_dscnt 0x100
	s_set_vgpr_msb 5                        ;  msbs: dst=0 src0=1 src1=1 src2=0
	v_pk_mul_f32 v[120:121], v[52:53] /*v[308:309]*/, v[48:49] /*v[304:305]*/ op_sel:[1,1] op_sel_hi:[0,1]
	s_set_vgpr_msb 0                        ;  msbs: dst=0 src0=0 src1=0 src2=0
	v_pk_add_f32 v[112:113], v[112:113], v[118:119]
	v_pk_fma_f32 v[118:119], v[252:253], v[204:205], v[124:125] neg_lo:[0,0,1] neg_hi:[0,0,1]
	v_mov_b32_e32 v119, v117
	v_pk_fma_f32 v[116:117], v[254:255], v[206:207], v[114:115] op_sel_hi:[1,0,1]
	v_pk_fma_f32 v[114:115], v[254:255], v[206:207], v[114:115] neg_lo:[0,0,1] neg_hi:[0,0,1]
	v_pk_add_f32 v[112:113], v[112:113], v[122:123]
	s_delay_alu instid0(VALU_DEP_3)
	v_mov_b32_e32 v115, v117
	s_set_vgpr_msb 5                        ;  msbs: dst=0 src0=1 src1=1 src2=0
	v_pk_fma_f32 v[116:117], v[52:53] /*v[308:309]*/, v[48:49] /*v[304:305]*/, v[120:121] op_sel_hi:[1,0,1]
	s_set_vgpr_msb 0                        ;  msbs: dst=0 src0=0 src1=0 src2=0
	v_pk_add_f32 v[112:113], v[112:113], v[118:119]
	s_set_vgpr_msb 5                        ;  msbs: dst=0 src0=1 src1=1 src2=0
	v_pk_fma_f32 v[118:119], v[52:53] /*v[308:309]*/, v[48:49] /*v[304:305]*/, v[120:121] neg_lo:[0,0,1] neg_hi:[0,0,1]
	s_set_vgpr_msb 0                        ;  msbs: dst=0 src0=0 src1=0 src2=0
	v_mov_b32_e32 v119, v117
	v_pk_add_f32 v[112:113], v[112:113], v[114:115]
	s_delay_alu instid0(VALU_DEP_1) | instskip(SKIP_2) | instid1(VALU_DEP_1)
	v_pk_add_f32 v[112:113], v[112:113], v[118:119]
	s_wait_loadcnt 0x0
	s_set_vgpr_msb 1                        ;  msbs: dst=0 src0=1 src1=0 src2=0
	v_pk_add_f32 v[112:113], v[50:51] /*v[306:307]*/, v[112:113] neg_lo:[0,1] neg_hi:[0,1]
	scratch_store_b64 off, v[112:113], off offset:40
	s_wait_xcnt 0x0
	v_cmpx_lt_u32_e32 4, v0
	s_set_vgpr_msb 0                        ;  msbs: dst=0 src0=0 src1=0 src2=0
	s_cbranch_execz .LBB118_335
; %bb.334:
	scratch_load_b64 v[112:113], off, off offset:32
	v_mov_b64_e32 v[114:115], 0
	scratch_store_b64 off, v[114:115], off offset:32
	s_wait_loadcnt 0x0
	ds_store_b64 v1, v[112:113]
.LBB118_335:
	s_wait_xcnt 0x0
	s_or_b32 exec_lo, exec_lo, s0
	s_wait_storecnt_dscnt 0x0
	s_barrier_signal -1
	s_barrier_wait -1
	s_clause 0x18
	scratch_load_b128 v[112:115], off, off offset:40
	scratch_load_b128 v[116:119], off, off offset:56
	;; [unrolled: 1-line block ×25, first 2 shown]
	ds_load_2addr_b64 v[212:215], v7 offset0:61 offset1:62
	ds_load_2addr_b64 v[216:219], v7 offset0:63 offset1:64
	;; [unrolled: 1-line block ×11, first 2 shown]
	s_set_vgpr_msb 64                       ;  msbs: dst=1 src0=0 src1=0 src2=0
	ds_load_2addr_b64 v[0:3] /*v[256:259]*/, v7 offset0:75 offset1:76
	ds_load_2addr_b64 v[4:7] /*v[260:263]*/, v7 offset0:109 offset1:110
	;; [unrolled: 1-line block ×8, first 2 shown]
	scratch_load_b64 v[56:57] /*v[312:313]*/, off, off offset:32
	ds_load_2addr_b64 v[32:35] /*v[288:291]*/, v7 offset0:89 offset1:90
	ds_load_2addr_b64 v[36:39] /*v[292:295]*/, v7 offset0:91 offset1:92
	;; [unrolled: 1-line block ×6, first 2 shown]
	s_mov_b32 s0, exec_lo
	s_wait_dscnt 0x13
	v_dual_mov_b32 v58 /*v314*/, v235 :: v_dual_mov_b32 v59 /*v315*/, v234
	s_wait_dscnt 0x10
	v_dual_mov_b32 v60 /*v316*/, v247 :: v_dual_mov_b32 v61 /*v317*/, v246
	;; [unrolled: 2-line block ×3, first 2 shown]
	s_wait_dscnt 0xc
	s_set_vgpr_msb 0x41                     ;  msbs: dst=1 src0=1 src1=0 src2=0
	v_dual_mov_b32 v64 /*v320*/, v7 /*v263*/ :: v_dual_mov_b32 v65 /*v321*/, v6 /*v262*/
	s_wait_loadcnt 0x19
	s_set_vgpr_msb 0                        ;  msbs: dst=0 src0=0 src1=0 src2=0
	v_dual_mul_f32 v7, v212, v113 :: v_dual_mul_f32 v9, v214, v115
	v_dual_mul_f32 v87, v213, v113 :: v_dual_mul_f32 v89, v215, v115
	s_wait_loadcnt 0x18
	v_dual_mul_f32 v11, v216, v117 :: v_dual_mul_f32 v13, v218, v119
	s_delay_alu instid0(VALU_DEP_3) | instskip(SKIP_3) | instid1(VALU_DEP_3)
	v_dual_fmac_f32 v7, v213, v112 :: v_dual_fmac_f32 v9, v215, v114
	s_wait_loadcnt 0x16
	v_dual_fma_f32 v87, v212, v112, -v87 :: v_dual_mul_f32 v99, v225, v125
	v_dual_mul_f32 v91, v217, v117 :: v_dual_mul_f32 v93, v219, v119
	v_dual_fma_f32 v89, v214, v114, -v89 :: v_dual_add_f32 v7, 0, v7
	s_delay_alu instid0(VALU_DEP_3) | instskip(SKIP_1) | instid1(VALU_DEP_4)
	v_dual_add_f32 v87, 0, v87 :: v_dual_fmac_f32 v11, v217, v116
	v_dual_mul_f32 v15, v220, v121 :: v_dual_mul_f32 v17, v222, v123
	v_dual_mul_f32 v101, v227, v127 :: v_dual_fma_f32 v91, v216, v116, -v91
	s_delay_alu instid0(VALU_DEP_4) | instskip(NEXT) | instid1(VALU_DEP_3)
	v_add_f32_e32 v7, v7, v9
	v_dual_add_f32 v9, v87, v89 :: v_dual_fmac_f32 v15, v221, v120
	v_dual_mul_f32 v95, v221, v121 :: v_dual_mul_f32 v97, v223, v123
	s_wait_loadcnt 0x15
	v_dual_mul_f32 v87, v237, v129 :: v_dual_fmac_f32 v13, v219, v118
	v_dual_fma_f32 v89, v218, v118, -v93 :: v_dual_add_f32 v7, v7, v11
	s_delay_alu instid0(VALU_DEP_3) | instskip(SKIP_1) | instid1(VALU_DEP_3)
	v_dual_add_f32 v9, v9, v91 :: v_dual_fma_f32 v91, v220, v120, -v95
	v_dual_mul_f32 v19, v224, v125 :: v_dual_mul_f32 v21, v226, v127
	v_add_f32_e32 v7, v7, v13
	s_delay_alu instid0(VALU_DEP_3) | instskip(SKIP_2) | instid1(VALU_DEP_3)
	v_dual_mul_f32 v11, v239, v131 :: v_dual_add_f32 v9, v9, v89
	s_wait_loadcnt 0x14
	v_dual_mul_f32 v13, v241, v133 :: v_dual_fmac_f32 v17, v223, v122
	v_dual_fma_f32 v89, v222, v122, -v97 :: v_dual_add_f32 v7, v7, v15
	s_delay_alu instid0(VALU_DEP_3) | instskip(SKIP_1) | instid1(VALU_DEP_3)
	v_dual_add_f32 v9, v9, v91 :: v_dual_fma_f32 v91, v224, v124, -v99
	v_dual_mul_f32 v15, v243, v135 :: v_dual_fmac_f32 v19, v225, v124
	v_add_f32_e32 v7, v7, v17
	s_delay_alu instid0(VALU_DEP_3)
	v_dual_add_f32 v9, v9, v89 :: v_dual_fmac_f32 v21, v227, v126
	v_dual_mul_f32 v23, v236, v129 :: v_dual_mul_f32 v25, v238, v131
	s_wait_loadcnt 0x13
	v_dual_fma_f32 v89, v226, v126, -v101 :: v_dual_mul_f32 v17, v253, v137
	v_add_f32_e32 v7, v7, v19
	v_dual_add_f32 v9, v9, v91 :: v_dual_fma_f32 v87, v236, v128, -v87
	v_dual_mul_f32 v19, v255, v139 :: v_dual_fmac_f32 v23, v237, v128
	s_delay_alu instid0(VALU_DEP_3) | instskip(NEXT) | instid1(VALU_DEP_3)
	v_dual_add_f32 v7, v7, v21 :: v_dual_fma_f32 v11, v238, v130, -v11
	v_dual_add_f32 v9, v9, v89 :: v_dual_fmac_f32 v25, v239, v130
	v_dual_mul_f32 v27, v240, v133 :: v_dual_mul_f32 v29, v242, v135
	s_delay_alu instid0(VALU_DEP_3) | instskip(NEXT) | instid1(VALU_DEP_3)
	v_add_f32_e32 v7, v7, v23
	v_dual_add_f32 v9, v9, v87 :: v_dual_fma_f32 v13, v240, v132, -v13
	s_delay_alu instid0(VALU_DEP_3) | instskip(NEXT) | instid1(VALU_DEP_3)
	v_dual_fmac_f32 v27, v241, v132 :: v_dual_mul_f32 v31, v252, v137
	v_dual_mul_f32 v33, v254, v139 :: v_dual_add_f32 v7, v7, v25
	s_delay_alu instid0(VALU_DEP_3) | instskip(SKIP_1) | instid1(VALU_DEP_4)
	v_dual_add_f32 v9, v9, v11 :: v_dual_fmac_f32 v29, v243, v134
	v_fma_f32 v15, v242, v134, -v15
	v_dual_fmac_f32 v31, v253, v136 :: v_dual_fma_f32 v17, v252, v136, -v17
	s_delay_alu instid0(VALU_DEP_3)
	v_dual_add_f32 v7, v7, v27 :: v_dual_add_f32 v9, v9, v13
	s_wait_loadcnt 0x12
	s_set_vgpr_msb 1                        ;  msbs: dst=0 src0=1 src1=0 src2=0
	v_dual_mul_f32 v35, v0 /*v256*/, v141 :: v_dual_mul_f32 v37, v2 /*v258*/, v143
	v_dual_mul_f32 v21, v1 /*v257*/, v141 :: v_dual_mul_f32 v23, v3 /*v259*/, v143
	s_set_vgpr_msb 0                        ;  msbs: dst=0 src0=0 src1=0 src2=0
	v_dual_add_f32 v7, v7, v29 :: v_dual_add_f32 v9, v9, v15
	v_dual_fmac_f32 v33, v255, v138 :: v_dual_fma_f32 v19, v254, v138, -v19
	s_set_vgpr_msb 1                        ;  msbs: dst=0 src0=1 src1=0 src2=0
	v_dual_fmac_f32 v35, v1 /*v257*/, v140 :: v_dual_fma_f32 v21, v0 /*v256*/, v140, -v21
	s_set_vgpr_msb 0                        ;  msbs: dst=0 src0=0 src1=0 src2=0
	v_dual_add_f32 v7, v7, v31 :: v_dual_add_f32 v9, v9, v17
	s_wait_loadcnt_dscnt 0x110b
	s_set_vgpr_msb 1                        ;  msbs: dst=0 src0=1 src1=0 src2=0
	v_dual_mul_f32 v11, v9 /*v265*/, v145 :: v_dual_mul_f32 v13, v11 /*v267*/, v147
	v_fmac_f32_e32 v37, v3 /*v259*/, v142
	s_set_vgpr_msb 0                        ;  msbs: dst=0 src0=0 src1=0 src2=0
	v_dual_add_f32 v7, v7, v33 :: v_dual_add_f32 v9, v9, v19
	s_wait_loadcnt_dscnt 0xf09
	s_set_vgpr_msb 1                        ;  msbs: dst=0 src0=1 src1=0 src2=0
	v_dual_mul_f32 v19, v17 /*v273*/, v153 :: v_dual_fma_f32 v23, v2 /*v258*/, v142, -v23
	v_dual_mul_f32 v39, v8 /*v264*/, v145 :: v_dual_mul_f32 v41, v10 /*v266*/, v147
	s_set_vgpr_msb 0                        ;  msbs: dst=0 src0=0 src1=0 src2=0
	v_dual_add_f32 v7, v7, v35 :: v_dual_add_f32 v9, v9, v21
	s_set_vgpr_msb 1                        ;  msbs: dst=0 src0=1 src1=0 src2=0
	v_dual_mul_f32 v21, v19 /*v275*/, v155 :: v_dual_fma_f32 v11, v8 /*v264*/, v144, -v11
	v_dual_mul_f32 v15, v13 /*v269*/, v149 :: v_dual_mul_f32 v17, v15 /*v271*/, v151
	s_set_vgpr_msb 0                        ;  msbs: dst=0 src0=0 src1=0 src2=0
	v_dual_add_f32 v7, v7, v37 :: v_dual_add_f32 v9, v9, v23
	s_set_vgpr_msb 1                        ;  msbs: dst=0 src0=1 src1=0 src2=0
	v_dual_fmac_f32 v39, v9 /*v265*/, v144 :: v_dual_fmac_f32 v41, v11 /*v267*/, v146
	s_wait_loadcnt_dscnt 0xe08
	v_dual_mul_f32 v23, v21 /*v277*/, v157 :: v_dual_fma_f32 v13, v10 /*v266*/, v146, -v13
	s_set_vgpr_msb 0                        ;  msbs: dst=0 src0=0 src1=0 src2=0
	v_add_f32_e32 v9, v9, v11
	s_set_vgpr_msb 1                        ;  msbs: dst=0 src0=1 src1=0 src2=0
	v_dual_mul_f32 v43, v12 /*v268*/, v149 :: v_dual_mul_f32 v45, v14 /*v270*/, v151
	v_mul_f32_e32 v11, v23 /*v279*/, v159
	s_set_vgpr_msb 0                        ;  msbs: dst=0 src0=0 src1=0 src2=0
	v_dual_add_f32 v7, v7, v39 :: v_dual_add_f32 v9, v9, v13
	s_wait_loadcnt_dscnt 0xd07
	s_set_vgpr_msb 1                        ;  msbs: dst=0 src0=1 src1=0 src2=0
	v_dual_fma_f32 v15, v12 /*v268*/, v148, -v15 :: v_dual_mul_f32 v13, v25 /*v281*/, v161
	v_dual_fmac_f32 v43, v13 /*v269*/, v148 :: v_dual_fmac_f32 v45, v15 /*v271*/, v150
	s_set_vgpr_msb 0                        ;  msbs: dst=0 src0=0 src1=0 src2=0
	v_add_f32_e32 v7, v7, v41
	s_set_vgpr_msb 1                        ;  msbs: dst=0 src0=1 src1=0 src2=0
	v_fma_f32 v17, v14 /*v270*/, v150, -v17
	s_set_vgpr_msb 0                        ;  msbs: dst=0 src0=0 src1=0 src2=0
	v_add_f32_e32 v9, v9, v15
	s_set_vgpr_msb 1                        ;  msbs: dst=0 src0=1 src1=0 src2=0
	v_dual_mul_f32 v47, v16 /*v272*/, v153 :: v_dual_mul_f32 v49, v18 /*v274*/, v155
	v_mul_f32_e32 v15, v27 /*v283*/, v163
	s_set_vgpr_msb 0                        ;  msbs: dst=0 src0=0 src1=0 src2=0
	v_dual_add_f32 v7, v7, v43 :: v_dual_add_f32 v9, v9, v17
	s_wait_loadcnt_dscnt 0xc06
	s_set_vgpr_msb 1                        ;  msbs: dst=0 src0=1 src1=0 src2=0
	v_dual_fma_f32 v19, v16 /*v272*/, v152, -v19 :: v_dual_mul_f32 v17, v29 /*v285*/, v165
	v_dual_fmac_f32 v47, v17 /*v273*/, v152 :: v_dual_fmac_f32 v49, v19 /*v275*/, v154
	s_set_vgpr_msb 0                        ;  msbs: dst=0 src0=0 src1=0 src2=0
	v_add_f32_e32 v7, v7, v45
	s_set_vgpr_msb 1                        ;  msbs: dst=0 src0=1 src1=0 src2=0
	v_fma_f32 v21, v18 /*v274*/, v154, -v21
	s_set_vgpr_msb 0                        ;  msbs: dst=0 src0=0 src1=0 src2=0
	v_add_f32_e32 v9, v9, v19
	s_set_vgpr_msb 1                        ;  msbs: dst=0 src0=1 src1=0 src2=0
	v_dual_mul_f32 v51, v20 /*v276*/, v157 :: v_dual_mul_f32 v53, v22 /*v278*/, v159
	v_mul_f32_e32 v19, v31 /*v287*/, v167
	s_set_vgpr_msb 0                        ;  msbs: dst=0 src0=0 src1=0 src2=0
	v_dual_add_f32 v7, v7, v47 :: v_dual_add_f32 v9, v9, v21
	s_wait_loadcnt_dscnt 0xb05
	s_set_vgpr_msb 1                        ;  msbs: dst=0 src0=1 src1=0 src2=0
	v_dual_fma_f32 v23, v20 /*v276*/, v156, -v23 :: v_dual_mul_f32 v21, v33 /*v289*/, v169
	v_dual_mul_f32 v55, v24 /*v280*/, v161 :: v_dual_mul_f32 v57, v26 /*v282*/, v163
	v_dual_mul_f32 v59, v28 /*v284*/, v165 :: v_dual_mul_f32 v61, v30 /*v286*/, v167
	v_dual_fmac_f32 v51, v21 /*v277*/, v156 :: v_dual_fmac_f32 v53, v23 /*v279*/, v158
	v_fma_f32 v11, v22 /*v278*/, v158, -v11
	s_set_vgpr_msb 0                        ;  msbs: dst=0 src0=0 src1=0 src2=0
	v_dual_add_f32 v9, v9, v23 :: v_dual_add_f32 v7, v7, v49
	s_set_vgpr_msb 1                        ;  msbs: dst=0 src0=1 src1=0 src2=0
	v_dual_mul_f32 v23, v35 /*v291*/, v171 :: v_dual_fmac_f32 v55, v25 /*v281*/, v160
	v_fma_f32 v13, v24 /*v280*/, v160, -v13
	v_dual_fmac_f32 v57, v27 /*v283*/, v162 :: v_dual_fmac_f32 v59, v29 /*v285*/, v164
	s_set_vgpr_msb 0                        ;  msbs: dst=0 src0=0 src1=0 src2=0
	v_add_f32_e32 v9, v9, v11
	s_set_vgpr_msb 1                        ;  msbs: dst=0 src0=1 src1=0 src2=0
	v_dual_mul_f32 v63, v32 /*v288*/, v169 :: v_dual_mul_f32 v65, v34 /*v290*/, v171
	s_set_vgpr_msb 0                        ;  msbs: dst=0 src0=0 src1=0 src2=0
	v_add_f32_e32 v7, v7, v51
	s_wait_loadcnt_dscnt 0xa04
	s_set_vgpr_msb 1                        ;  msbs: dst=0 src0=1 src1=0 src2=0
	v_dual_mul_f32 v11, v37 /*v293*/, v173 :: v_dual_fma_f32 v15, v26 /*v282*/, v162, -v15
	s_set_vgpr_msb 0                        ;  msbs: dst=0 src0=0 src1=0 src2=0
	v_add_f32_e32 v9, v9, v13
	s_set_vgpr_msb 1                        ;  msbs: dst=0 src0=1 src1=0 src2=0
	v_dual_mul_f32 v13, v39 /*v295*/, v175 :: v_dual_fma_f32 v17, v28 /*v284*/, v164, -v17
	s_set_vgpr_msb 0                        ;  msbs: dst=0 src0=0 src1=0 src2=0
	v_add_f32_e32 v7, v7, v53
	s_set_vgpr_msb 1                        ;  msbs: dst=0 src0=1 src1=0 src2=0
	v_dual_fmac_f32 v61, v31 /*v287*/, v166 :: v_dual_fmac_f32 v63, v33 /*v289*/, v168
	s_set_vgpr_msb 0                        ;  msbs: dst=0 src0=0 src1=0 src2=0
	v_add_f32_e32 v9, v9, v15
	s_set_vgpr_msb 1                        ;  msbs: dst=0 src0=1 src1=0 src2=0
	v_dual_mul_f32 v67, v36 /*v292*/, v173 :: v_dual_mul_f32 v69, v38 /*v294*/, v175
	s_set_vgpr_msb 0                        ;  msbs: dst=0 src0=0 src1=0 src2=0
	v_add_f32_e32 v7, v7, v55
	s_wait_loadcnt_dscnt 0x903
	s_set_vgpr_msb 1                        ;  msbs: dst=0 src0=1 src1=0 src2=0
	v_dual_mul_f32 v15, v41 /*v297*/, v177 :: v_dual_fma_f32 v19, v30 /*v286*/, v166, -v19
	s_set_vgpr_msb 0                        ;  msbs: dst=0 src0=0 src1=0 src2=0
	v_add_f32_e32 v9, v9, v17
	s_set_vgpr_msb 1                        ;  msbs: dst=0 src0=1 src1=0 src2=0
	v_dual_mul_f32 v17, v43 /*v299*/, v179 :: v_dual_fma_f32 v21, v32 /*v288*/, v168, -v21
	s_set_vgpr_msb 0                        ;  msbs: dst=0 src0=0 src1=0 src2=0
	v_add_f32_e32 v7, v7, v57
	s_set_vgpr_msb 1                        ;  msbs: dst=0 src0=1 src1=0 src2=0
	v_dual_fmac_f32 v65, v35 /*v291*/, v170 :: v_dual_fmac_f32 v67, v37 /*v293*/, v172
	s_set_vgpr_msb 0                        ;  msbs: dst=0 src0=0 src1=0 src2=0
	v_add_f32_e32 v9, v9, v19
	s_set_vgpr_msb 1                        ;  msbs: dst=0 src0=1 src1=0 src2=0
	v_dual_mul_f32 v71, v40 /*v296*/, v177 :: v_dual_mul_f32 v73, v42 /*v298*/, v179
	s_set_vgpr_msb 0                        ;  msbs: dst=0 src0=0 src1=0 src2=0
	v_add_f32_e32 v7, v7, v59
	s_wait_loadcnt_dscnt 0x802
	s_set_vgpr_msb 1                        ;  msbs: dst=0 src0=1 src1=0 src2=0
	v_dual_mul_f32 v19, v45 /*v301*/, v181 :: v_dual_fma_f32 v23, v34 /*v290*/, v170, -v23
	s_set_vgpr_msb 0                        ;  msbs: dst=0 src0=0 src1=0 src2=0
	v_add_f32_e32 v9, v9, v21
	s_set_vgpr_msb 1                        ;  msbs: dst=0 src0=1 src1=0 src2=0
	v_dual_mul_f32 v75, v44 /*v300*/, v181 :: v_dual_mul_f32 v77, v46 /*v302*/, v183
	s_set_vgpr_msb 0                        ;  msbs: dst=0 src0=0 src1=0 src2=0
	v_add_f32_e32 v7, v7, v61
	s_set_vgpr_msb 1                        ;  msbs: dst=0 src0=1 src1=0 src2=0
	v_dual_mul_f32 v21, v47 /*v303*/, v183 :: v_dual_fma_f32 v11, v36 /*v292*/, v172, -v11
	v_dual_fmac_f32 v69, v39 /*v295*/, v174 :: v_dual_fmac_f32 v71, v41 /*v297*/, v176
	s_set_vgpr_msb 0                        ;  msbs: dst=0 src0=0 src1=0 src2=0
	v_add_f32_e32 v9, v9, v23
	s_wait_loadcnt_dscnt 0x701
	s_set_vgpr_msb 1                        ;  msbs: dst=0 src0=1 src1=0 src2=0
	v_dual_mul_f32 v23, v49 /*v305*/, v185 :: v_dual_fma_f32 v13, v38 /*v294*/, v174, -v13
	v_dual_fmac_f32 v73, v43 /*v299*/, v178 :: v_dual_fmac_f32 v75, v45 /*v301*/, v180
	s_set_vgpr_msb 0                        ;  msbs: dst=0 src0=0 src1=0 src2=0
	v_add_f32_e32 v9, v9, v11
	v_add_f32_e32 v7, v7, v63
	s_set_vgpr_msb 1                        ;  msbs: dst=0 src0=1 src1=0 src2=0
	v_dual_mul_f32 v79, v48 /*v304*/, v185 :: v_dual_mul_f32 v81, v50 /*v306*/, v187
	v_dual_mul_f32 v11, v51 /*v307*/, v187 :: v_dual_fma_f32 v15, v40 /*v296*/, v176, -v15
	s_set_vgpr_msb 0                        ;  msbs: dst=0 src0=0 src1=0 src2=0
	v_add_f32_e32 v9, v9, v13
	v_add_f32_e32 v7, v7, v65
	s_wait_loadcnt_dscnt 0x600
	s_set_vgpr_msb 1                        ;  msbs: dst=0 src0=1 src1=0 src2=0
	v_dual_mul_f32 v13, v53 /*v309*/, v189 :: v_dual_fma_f32 v17, v42 /*v298*/, v178, -v17
	v_dual_fmac_f32 v77, v47 /*v303*/, v182 :: v_dual_fmac_f32 v79, v49 /*v305*/, v184
	s_set_vgpr_msb 0                        ;  msbs: dst=0 src0=0 src1=0 src2=0
	v_add_f32_e32 v9, v9, v15
	v_add_f32_e32 v7, v7, v67
	s_set_vgpr_msb 1                        ;  msbs: dst=0 src0=1 src1=0 src2=0
	v_dual_mul_f32 v15, v55 /*v311*/, v191 :: v_dual_fma_f32 v19, v44 /*v300*/, v180, -v19
	v_dual_fma_f32 v21, v46 /*v302*/, v182, -v21 :: v_dual_fma_f32 v23, v48 /*v304*/, v184, -v23
	s_set_vgpr_msb 0                        ;  msbs: dst=0 src0=0 src1=0 src2=0
	v_add_f32_e32 v9, v9, v17
	v_add_f32_e32 v7, v7, v69
	s_wait_loadcnt 0x4
	v_dual_mul_f32 v17, v229, v193 :: v_dual_mov_b32 v114, v199
	s_set_vgpr_msb 1                        ;  msbs: dst=0 src0=1 src1=0 src2=0
	v_dual_mul_f32 v83, v52 /*v308*/, v189 :: v_dual_mul_f32 v85, v54 /*v310*/, v191
	s_set_vgpr_msb 0                        ;  msbs: dst=0 src0=0 src1=0 src2=0
	v_add_f32_e32 v7, v7, v71
	v_add_f32_e32 v9, v9, v19
	s_set_vgpr_msb 1                        ;  msbs: dst=0 src0=1 src1=0 src2=0
	v_dual_fmac_f32 v81, v51 /*v307*/, v186 :: v_dual_fma_f32 v11, v50 /*v306*/, v186, -v11
	v_dual_fmac_f32 v83, v53 /*v309*/, v188 :: v_dual_fma_f32 v13, v52 /*v308*/, v188, -v13
	s_set_vgpr_msb 0                        ;  msbs: dst=0 src0=0 src1=0 src2=0
	v_add_f32_e32 v7, v7, v73
	v_add_f32_e32 v9, v9, v21
	s_set_vgpr_msb 64                       ;  msbs: dst=1 src0=0 src1=0 src2=0
	v_dual_mul_f32 v67 /*v323*/, v228, v193 :: v_dual_mul_f32 v69 /*v325*/, v230, v195
	s_set_vgpr_msb 1                        ;  msbs: dst=0 src0=1 src1=0 src2=0
	v_fmac_f32_e32 v85, v55 /*v311*/, v190
	s_set_vgpr_msb 0                        ;  msbs: dst=0 src0=0 src1=0 src2=0
	v_add_f32_e32 v7, v7, v75
	s_wait_loadcnt 0x3
	v_mov_b32_e32 v118, v203
	v_pk_mul_f32 v[112:113], v[232:233], v[196:197] op_sel:[1,1] op_sel_hi:[0,1]
	s_set_vgpr_msb 64                       ;  msbs: dst=1 src0=0 src1=0 src2=0
	v_dual_fmac_f32 v67 /*v323*/, v229, v192 :: v_dual_fmac_f32 v69 /*v325*/, v231, v194
	s_set_vgpr_msb 0                        ;  msbs: dst=0 src0=0 src1=0 src2=0
	v_add_f32_e32 v7, v7, v77
	s_set_vgpr_msb 1                        ;  msbs: dst=0 src0=1 src1=0 src2=0
	v_pk_mul_f32 v[114:115], v[58:59] /*v[314:315]*/, v[114:115] op_sel_hi:[1,0]
	s_set_vgpr_msb 0                        ;  msbs: dst=0 src0=0 src1=0 src2=0
	v_pk_fma_f32 v[122:123], v[232:233], v[196:197], v[112:113] op_sel_hi:[1,0,1]
	v_pk_fma_f32 v[112:113], v[232:233], v[196:197], v[112:113] neg_lo:[0,0,1] neg_hi:[0,0,1]
	v_pk_mul_f32 v[116:117], v[244:245], v[200:201] op_sel:[1,1] op_sel_hi:[0,1]
	v_add_f32_e32 v7, v7, v79
	s_delay_alu instid0(VALU_DEP_4) | instskip(SKIP_2) | instid1(VALU_DEP_3)
	v_dual_add_f32 v9, v9, v23 :: v_dual_mov_b32 v113, v123
	v_pk_fma_f32 v[122:123], v[234:235], v[198:199], v[114:115] op_sel_hi:[1,0,1]
	v_pk_fma_f32 v[114:115], v[234:235], v[198:199], v[114:115] neg_lo:[0,0,1] neg_hi:[0,0,1]
	v_dual_add_f32 v7, v7, v81 :: v_dual_add_f32 v9, v9, v11
	v_mul_f32_e32 v19, v231, v195
	s_set_vgpr_msb 1                        ;  msbs: dst=0 src0=1 src1=0 src2=0
	v_fma_f32 v11, v54 /*v310*/, v190, -v15
	s_set_vgpr_msb 0                        ;  msbs: dst=0 src0=0 src1=0 src2=0
	v_pk_fma_f32 v[126:127], v[244:245], v[200:201], v[116:117] op_sel_hi:[1,0,1]
	v_dual_add_f32 v7, v7, v83 :: v_dual_add_f32 v9, v9, v13
	s_set_vgpr_msb 64                       ;  msbs: dst=1 src0=0 src1=0 src2=0
	v_dual_fma_f32 v66 /*v322*/, v228, v192, -v17 :: v_dual_fma_f32 v68 /*v324*/, v230, v194, -v19
	s_set_vgpr_msb 1                        ;  msbs: dst=0 src0=1 src1=0 src2=0
	v_pk_mul_f32 v[118:119], v[60:61] /*v[316:317]*/, v[118:119] op_sel_hi:[1,0]
	s_set_vgpr_msb 0                        ;  msbs: dst=0 src0=0 src1=0 src2=0
	v_dual_add_f32 v121, v7, v85 :: v_dual_add_f32 v120, v9, v11
	v_mov_b32_e32 v115, v123
	s_wait_loadcnt 0x2
	v_pk_mul_f32 v[124:125], v[248:249], v[204:205] op_sel:[1,1] op_sel_hi:[0,1]
	v_pk_fma_f32 v[116:117], v[244:245], v[200:201], v[116:117] neg_lo:[0,0,1] neg_hi:[0,0,1]
	v_mov_b32_e32 v117, v127
	s_set_vgpr_msb 4                        ;  msbs: dst=0 src0=0 src1=1 src2=0
	v_pk_add_f32 v[120:121], v[120:121], v[66:67] /*v[322:323]*/
	s_set_vgpr_msb 0                        ;  msbs: dst=0 src0=0 src1=0 src2=0
	v_pk_fma_f32 v[122:123], v[246:247], v[202:203], v[118:119] op_sel_hi:[1,0,1]
	v_pk_fma_f32 v[118:119], v[246:247], v[202:203], v[118:119] neg_lo:[0,0,1] neg_hi:[0,0,1]
	s_set_vgpr_msb 4                        ;  msbs: dst=0 src0=0 src1=1 src2=0
	v_pk_add_f32 v[120:121], v[120:121], v[68:69] /*v[324:325]*/
	s_set_vgpr_msb 0                        ;  msbs: dst=0 src0=0 src1=0 src2=0
	s_delay_alu instid0(VALU_DEP_1) | instskip(SKIP_1) | instid1(VALU_DEP_2)
	v_pk_add_f32 v[112:113], v[120:121], v[112:113]
	v_mov_b32_e32 v120, v207
	v_pk_add_f32 v[112:113], v[112:113], v[114:115]
	v_pk_fma_f32 v[114:115], v[248:249], v[204:205], v[124:125] op_sel_hi:[1,0,1]
	s_set_vgpr_msb 1                        ;  msbs: dst=0 src0=1 src1=0 src2=0
	s_delay_alu instid0(VALU_DEP_3)
	v_pk_mul_f32 v[120:121], v[62:63] /*v[318:319]*/, v[120:121] op_sel_hi:[1,0]
	s_set_vgpr_msb 0                        ;  msbs: dst=0 src0=0 src1=0 src2=0
	v_mov_b32_e32 v119, v123
	v_pk_fma_f32 v[122:123], v[248:249], v[204:205], v[124:125] neg_lo:[0,0,1] neg_hi:[0,0,1]
	v_pk_add_f32 v[112:113], v[112:113], v[116:117]
	v_mov_b32_e32 v123, v115
	v_pk_fma_f32 v[114:115], v[250:251], v[206:207], v[120:121] op_sel_hi:[1,0,1]
	s_wait_loadcnt 0x1
	s_set_vgpr_msb 1                        ;  msbs: dst=0 src0=1 src1=0 src2=0
	v_pk_mul_f32 v[116:117], v[4:5] /*v[260:261]*/, v[208:209] op_sel:[1,1] op_sel_hi:[0,1]
	s_set_vgpr_msb 0                        ;  msbs: dst=0 src0=0 src1=0 src2=0
	v_mov_b32_e32 v114, v211
	v_pk_add_f32 v[112:113], v[112:113], v[118:119]
	v_pk_fma_f32 v[120:121], v[250:251], v[206:207], v[120:121] neg_lo:[0,0,1] neg_hi:[0,0,1]
	v_mov_b32_e32 v121, v115
	s_set_vgpr_msb 1                        ;  msbs: dst=0 src0=1 src1=0 src2=0
	v_pk_fma_f32 v[118:119], v[4:5] /*v[260:261]*/, v[208:209], v[116:117] op_sel_hi:[1,0,1]
	v_pk_mul_f32 v[114:115], v[64:65] /*v[320:321]*/, v[114:115] op_sel_hi:[1,0]
	s_set_vgpr_msb 0                        ;  msbs: dst=0 src0=0 src1=0 src2=0
	v_pk_add_f32 v[112:113], v[112:113], v[122:123]
	s_set_vgpr_msb 1                        ;  msbs: dst=0 src0=1 src1=0 src2=0
	v_pk_fma_f32 v[116:117], v[4:5] /*v[260:261]*/, v[208:209], v[116:117] neg_lo:[0,0,1] neg_hi:[0,0,1]
	s_set_vgpr_msb 0                        ;  msbs: dst=0 src0=0 src1=0 src2=0
	v_mov_b32_e32 v117, v119
	s_set_vgpr_msb 1                        ;  msbs: dst=0 src0=1 src1=0 src2=0
	v_pk_fma_f32 v[118:119], v[6:7] /*v[262:263]*/, v[210:211], v[114:115] op_sel_hi:[1,0,1]
	s_set_vgpr_msb 0                        ;  msbs: dst=0 src0=0 src1=0 src2=0
	v_pk_add_f32 v[112:113], v[112:113], v[120:121]
	s_set_vgpr_msb 1                        ;  msbs: dst=0 src0=1 src1=0 src2=0
	v_pk_fma_f32 v[114:115], v[6:7] /*v[262:263]*/, v[210:211], v[114:115] neg_lo:[0,0,1] neg_hi:[0,0,1]
	s_set_vgpr_msb 0                        ;  msbs: dst=0 src0=0 src1=0 src2=0
	v_mov_b32_e32 v115, v119
	v_pk_add_f32 v[112:113], v[112:113], v[116:117]
	s_delay_alu instid0(VALU_DEP_1) | instskip(SKIP_2) | instid1(VALU_DEP_1)
	v_pk_add_f32 v[112:113], v[112:113], v[114:115]
	s_wait_loadcnt 0x0
	s_set_vgpr_msb 1                        ;  msbs: dst=0 src0=1 src1=0 src2=0
	v_pk_add_f32 v[112:113], v[56:57] /*v[312:313]*/, v[112:113] neg_lo:[0,1] neg_hi:[0,1]
	scratch_store_b64 off, v[112:113], off offset:32
	s_wait_xcnt 0x0
	v_cmpx_lt_u32_e32 3, v0
	s_set_vgpr_msb 0                        ;  msbs: dst=0 src0=0 src1=0 src2=0
	s_cbranch_execz .LBB118_337
; %bb.336:
	scratch_load_b64 v[112:113], off, off offset:24
	v_mov_b64_e32 v[114:115], 0
	scratch_store_b64 off, v[114:115], off offset:24
	s_wait_loadcnt 0x0
	ds_store_b64 v1, v[112:113]
.LBB118_337:
	s_wait_xcnt 0x0
	s_or_b32 exec_lo, exec_lo, s0
	s_wait_storecnt_dscnt 0x0
	s_barrier_signal -1
	s_barrier_wait -1
	s_clause 0x1b
	scratch_load_b128 v[112:115], off, off offset:32
	scratch_load_b128 v[116:119], off, off offset:48
	;; [unrolled: 1-line block ×25, first 2 shown]
	s_set_vgpr_msb 64                       ;  msbs: dst=1 src0=0 src1=0 src2=0
	scratch_load_b64 v[56:57] /*v[312:313]*/, off, off offset:432
	scratch_load_b64 v[58:59] /*v[314:315]*/, off, off offset:24
	s_set_vgpr_msb 0                        ;  msbs: dst=0 src0=0 src1=0 src2=0
	v_mov_b32_e32 v7, 0
	ds_load_b128 v[212:215], v7 offset:480
	ds_load_b128 v[216:219], v7 offset:496
	;; [unrolled: 1-line block ×11, first 2 shown]
	s_set_vgpr_msb 64                       ;  msbs: dst=1 src0=0 src1=0 src2=0
	ds_load_b128 v[0:3] /*v[256:259]*/, v7 offset:592
	ds_load_b128 v[4:7] /*v[260:263]*/, v7 offset:864
	;; [unrolled: 1-line block ×14, first 2 shown]
	ds_load_b64 v[60:61] /*v[316:317]*/, v7 offset:880
	s_wait_dscnt 0x14
	v_dual_mov_b32 v62 /*v318*/, v235 :: v_dual_mov_b32 v63 /*v319*/, v234
	s_wait_dscnt 0x11
	v_dual_mov_b32 v64 /*v320*/, v247 :: v_dual_mov_b32 v65 /*v321*/, v246
	;; [unrolled: 2-line block ×3, first 2 shown]
	s_wait_dscnt 0xd
	s_set_vgpr_msb 0x41                     ;  msbs: dst=1 src0=1 src1=0 src2=0
	v_dual_mov_b32 v68 /*v324*/, v7 /*v263*/ :: v_dual_mov_b32 v69 /*v325*/, v6 /*v262*/
	s_mov_b32 s0, exec_lo
	s_wait_loadcnt 0x1a
	s_set_vgpr_msb 0                        ;  msbs: dst=0 src0=0 src1=0 src2=0
	v_dual_mul_f32 v9, v212, v113 :: v_dual_mul_f32 v91, v213, v113
	v_dual_mul_f32 v93, v215, v115 :: v_dual_mul_f32 v11, v214, v115
	s_wait_loadcnt 0x19
	v_mul_f32_e32 v13, v216, v117
	s_wait_loadcnt 0x17
	v_dual_mul_f32 v103, v225, v125 :: v_dual_fma_f32 v91, v212, v112, -v91
	v_dual_fmac_f32 v9, v213, v112 :: v_dual_mul_f32 v105, v227, v127
	v_dual_mul_f32 v95, v217, v117 :: v_dual_mul_f32 v97, v219, v119
	v_dual_fmac_f32 v11, v215, v114 :: v_dual_fma_f32 v93, v214, v114, -v93
	s_delay_alu instid0(VALU_DEP_3) | instskip(SKIP_4) | instid1(VALU_DEP_3)
	v_dual_add_f32 v9, 0, v9 :: v_dual_add_f32 v91, 0, v91
	v_dual_mul_f32 v15, v218, v119 :: v_dual_mul_f32 v17, v220, v121
	s_wait_loadcnt 0x16
	v_dual_mul_f32 v107, v237, v129 :: v_dual_fma_f32 v95, v216, v116, -v95
	v_fmac_f32_e32 v13, v217, v116
	v_dual_add_f32 v9, v9, v11 :: v_dual_fmac_f32 v15, v219, v118
	v_add_f32_e32 v11, v91, v93
	v_dual_mul_f32 v99, v221, v121 :: v_dual_mul_f32 v101, v223, v123
	v_dual_mul_f32 v91, v239, v131 :: v_dual_fma_f32 v93, v218, v118, -v97
	s_delay_alu instid0(VALU_DEP_3) | instskip(SKIP_3) | instid1(VALU_DEP_3)
	v_dual_add_f32 v9, v9, v13 :: v_dual_add_f32 v11, v11, v95
	v_dual_mul_f32 v19, v222, v123 :: v_dual_mul_f32 v21, v224, v125
	s_wait_loadcnt 0x15
	v_dual_mul_f32 v13, v241, v133 :: v_dual_fma_f32 v95, v220, v120, -v99
	v_dual_fmac_f32 v17, v221, v120 :: v_dual_add_f32 v11, v11, v93
	s_delay_alu instid0(VALU_DEP_3) | instskip(SKIP_1) | instid1(VALU_DEP_2)
	v_dual_add_f32 v9, v9, v15 :: v_dual_fmac_f32 v19, v223, v122
	v_dual_mul_f32 v15, v243, v135 :: v_dual_fma_f32 v93, v222, v122, -v101
	v_dual_add_f32 v11, v11, v95 :: v_dual_add_f32 v9, v9, v17
	v_dual_mul_f32 v23, v226, v127 :: v_dual_mul_f32 v25, v236, v129
	s_wait_loadcnt 0x14
	v_dual_mul_f32 v17, v253, v137 :: v_dual_fma_f32 v95, v224, v124, -v103
	s_delay_alu instid0(VALU_DEP_3) | instskip(NEXT) | instid1(VALU_DEP_3)
	v_dual_fmac_f32 v21, v225, v124 :: v_dual_add_f32 v11, v11, v93
	v_dual_add_f32 v9, v9, v19 :: v_dual_fmac_f32 v23, v227, v126
	v_dual_mul_f32 v19, v255, v139 :: v_dual_fma_f32 v93, v226, v126, -v105
	s_delay_alu instid0(VALU_DEP_2) | instskip(SKIP_2) | instid1(VALU_DEP_3)
	v_dual_add_f32 v11, v11, v95 :: v_dual_add_f32 v9, v9, v21
	v_dual_mul_f32 v27, v238, v131 :: v_dual_mul_f32 v29, v240, v133
	v_dual_fmac_f32 v25, v237, v128 :: v_dual_fma_f32 v95, v236, v128, -v107
	v_dual_add_f32 v9, v9, v23 :: v_dual_add_f32 v11, v11, v93
	s_delay_alu instid0(VALU_DEP_3) | instskip(SKIP_2) | instid1(VALU_DEP_4)
	v_fmac_f32_e32 v27, v239, v130
	v_fma_f32 v91, v238, v130, -v91
	v_dual_mul_f32 v31, v242, v135 :: v_dual_mul_f32 v33, v252, v137
	v_dual_add_f32 v9, v9, v25 :: v_dual_add_f32 v11, v11, v95
	v_fmac_f32_e32 v29, v241, v132
	v_dual_fma_f32 v13, v240, v132, -v13 :: v_dual_mul_f32 v35, v254, v139
	s_wait_loadcnt 0x6
	s_delay_alu instid0(VALU_DEP_3)
	v_dual_mul_f32 v89, v228, v193 :: v_dual_add_f32 v9, v9, v27
	v_add_f32_e32 v11, v11, v91
	v_fmac_f32_e32 v31, v243, v134
	v_fma_f32 v15, v242, v134, -v15
	s_set_vgpr_msb 1                        ;  msbs: dst=0 src0=1 src1=0 src2=0
	v_dual_mul_f32 v37, v0 /*v256*/, v141 :: v_dual_mul_f32 v39, v2 /*v258*/, v143
	s_set_vgpr_msb 0                        ;  msbs: dst=0 src0=0 src1=0 src2=0
	v_add_f32_e32 v9, v9, v29
	v_dual_add_f32 v11, v11, v13 :: v_dual_fmac_f32 v33, v253, v136
	v_fma_f32 v17, v252, v136, -v17
	s_set_vgpr_msb 1                        ;  msbs: dst=0 src0=1 src1=0 src2=0
	v_dual_mul_f32 v21, v1 /*v257*/, v141 :: v_dual_mul_f32 v23, v3 /*v259*/, v143
	s_set_vgpr_msb 0                        ;  msbs: dst=0 src0=0 src1=0 src2=0
	v_add_f32_e32 v9, v9, v31
	v_add_f32_e32 v11, v11, v15
	v_fmac_f32_e32 v35, v255, v138
	v_fma_f32 v19, v254, v138, -v19
	s_set_vgpr_msb 1                        ;  msbs: dst=0 src0=1 src1=0 src2=0
	v_fmac_f32_e32 v37, v1 /*v257*/, v140
	s_set_vgpr_msb 0                        ;  msbs: dst=0 src0=0 src1=0 src2=0
	v_add_f32_e32 v9, v9, v33
	v_add_f32_e32 v11, v11, v17
	s_wait_dscnt 0xa
	s_set_vgpr_msb 1                        ;  msbs: dst=0 src0=1 src1=0 src2=0
	v_dual_mul_f32 v17, v17 /*v273*/, v153 :: v_dual_fma_f32 v21, v0 /*v256*/, v140, -v21
	v_dual_mul_f32 v41, v8 /*v264*/, v145 :: v_dual_mul_f32 v43, v10 /*v266*/, v147
	s_set_vgpr_msb 0                        ;  msbs: dst=0 src0=0 src1=0 src2=0
	v_add_f32_e32 v11, v11, v19
	v_add_f32_e32 v9, v9, v35
	s_set_vgpr_msb 1                        ;  msbs: dst=0 src0=1 src1=0 src2=0
	v_dual_mul_f32 v25, v9 /*v265*/, v145 :: v_dual_mul_f32 v27, v11 /*v267*/, v147
	v_mul_f32_e32 v19, v19 /*v275*/, v155
	v_fmac_f32_e32 v39, v3 /*v259*/, v142
	v_dual_fma_f32 v23, v2 /*v258*/, v142, -v23 :: v_dual_fmac_f32 v41, v9 /*v265*/, v144
	s_set_vgpr_msb 0                        ;  msbs: dst=0 src0=0 src1=0 src2=0
	v_add_f32_e32 v11, v11, v21
	v_add_f32_e32 v9, v9, v37
	s_wait_dscnt 0x9
	s_set_vgpr_msb 1                        ;  msbs: dst=0 src0=1 src1=0 src2=0
	v_dual_mul_f32 v21, v21 /*v277*/, v157 :: v_dual_fma_f32 v25, v8 /*v264*/, v144, -v25
	v_dual_mul_f32 v45, v12 /*v268*/, v149 :: v_dual_mul_f32 v47, v14 /*v270*/, v151
	s_set_vgpr_msb 0                        ;  msbs: dst=0 src0=0 src1=0 src2=0
	v_add_f32_e32 v11, v11, v23
	s_set_vgpr_msb 1                        ;  msbs: dst=0 src0=1 src1=0 src2=0
	v_mul_f32_e32 v23, v23 /*v279*/, v159
	s_set_vgpr_msb 0                        ;  msbs: dst=0 src0=0 src1=0 src2=0
	v_add_f32_e32 v9, v9, v39
	s_set_vgpr_msb 1                        ;  msbs: dst=0 src0=1 src1=0 src2=0
	v_dual_mul_f32 v13, v13 /*v269*/, v149 :: v_dual_mul_f32 v15, v15 /*v271*/, v151
	v_fmac_f32_e32 v43, v11 /*v267*/, v146
	v_dual_fma_f32 v27, v10 /*v266*/, v146, -v27 :: v_dual_fmac_f32 v45, v13 /*v269*/, v148
	s_set_vgpr_msb 0                        ;  msbs: dst=0 src0=0 src1=0 src2=0
	v_add_f32_e32 v11, v11, v25
	v_add_f32_e32 v9, v9, v41
	s_wait_dscnt 0x8
	s_set_vgpr_msb 1                        ;  msbs: dst=0 src0=1 src1=0 src2=0
	v_dual_mul_f32 v25, v25 /*v281*/, v161 :: v_dual_fma_f32 v13, v12 /*v268*/, v148, -v13
	v_dual_mul_f32 v49, v16 /*v272*/, v153 :: v_dual_mul_f32 v51, v18 /*v274*/, v155
	s_set_vgpr_msb 0                        ;  msbs: dst=0 src0=0 src1=0 src2=0
	v_add_f32_e32 v11, v11, v27
	s_set_vgpr_msb 1                        ;  msbs: dst=0 src0=1 src1=0 src2=0
	v_mul_f32_e32 v27, v27 /*v283*/, v163
	s_set_vgpr_msb 0                        ;  msbs: dst=0 src0=0 src1=0 src2=0
	v_add_f32_e32 v9, v9, v43
	s_set_vgpr_msb 1                        ;  msbs: dst=0 src0=1 src1=0 src2=0
	v_fmac_f32_e32 v47, v15 /*v271*/, v150
	v_dual_fma_f32 v15, v14 /*v270*/, v150, -v15 :: v_dual_fmac_f32 v49, v17 /*v273*/, v152
	s_set_vgpr_msb 0                        ;  msbs: dst=0 src0=0 src1=0 src2=0
	v_add_f32_e32 v11, v11, v13
	v_add_f32_e32 v9, v9, v45
	s_wait_dscnt 0x7
	s_set_vgpr_msb 1                        ;  msbs: dst=0 src0=1 src1=0 src2=0
	v_dual_mul_f32 v13, v29 /*v285*/, v165 :: v_dual_fma_f32 v17, v16 /*v272*/, v152, -v17
	v_dual_mul_f32 v53, v20 /*v276*/, v157 :: v_dual_mul_f32 v55, v22 /*v278*/, v159
	s_set_vgpr_msb 0                        ;  msbs: dst=0 src0=0 src1=0 src2=0
	v_add_f32_e32 v11, v11, v15
	s_set_vgpr_msb 1                        ;  msbs: dst=0 src0=1 src1=0 src2=0
	v_mul_f32_e32 v15, v31 /*v287*/, v167
	s_set_vgpr_msb 0                        ;  msbs: dst=0 src0=0 src1=0 src2=0
	v_add_f32_e32 v9, v9, v47
	s_set_vgpr_msb 1                        ;  msbs: dst=0 src0=1 src1=0 src2=0
	;; [unrolled: 16-line block ×8, first 2 shown]
	v_dual_fmac_f32 v75, v43 /*v299*/, v178 :: v_dual_fmac_f32 v77, v45 /*v301*/, v180
	v_dual_fma_f32 v27, v42 /*v298*/, v178, -v27 :: v_dual_fma_f32 v13, v44 /*v300*/, v180, -v13
	s_set_vgpr_msb 0                        ;  msbs: dst=0 src0=0 src1=0 src2=0
	v_add_f32_e32 v11, v11, v25
	v_add_f32_e32 v9, v9, v73
	v_mul_f32_e32 v25, v229, v193
	s_set_vgpr_msb 1                        ;  msbs: dst=0 src0=1 src1=0 src2=0
	v_dual_mul_f32 v81, v48 /*v304*/, v185 :: v_dual_mul_f32 v83, v50 /*v306*/, v187
	s_set_vgpr_msb 0                        ;  msbs: dst=0 src0=0 src1=0 src2=0
	v_add_f32_e32 v11, v11, v27
	v_add_f32_e32 v9, v9, v75
	s_set_vgpr_msb 1                        ;  msbs: dst=0 src0=1 src1=0 src2=0
	v_dual_fmac_f32 v79, v47 /*v303*/, v182 :: v_dual_fmac_f32 v81, v49 /*v305*/, v184
	v_dual_fma_f32 v15, v46 /*v302*/, v182, -v15 :: v_dual_fma_f32 v17, v48 /*v304*/, v184, -v17
	s_set_vgpr_msb 0                        ;  msbs: dst=0 src0=0 src1=0 src2=0
	v_add_f32_e32 v11, v11, v13
	v_dual_mul_f32 v27, v231, v195 :: v_dual_add_f32 v9, v9, v77
	s_set_vgpr_msb 1                        ;  msbs: dst=0 src0=1 src1=0 src2=0
	v_dual_mul_f32 v85, v52 /*v308*/, v189 :: v_dual_mul_f32 v87, v54 /*v310*/, v191
	s_wait_loadcnt 0x5
	s_set_vgpr_msb 0                        ;  msbs: dst=0 src0=0 src1=0 src2=0
	v_dual_mul_f32 v13, v233, v197 :: v_dual_add_f32 v11, v11, v15
	v_dual_add_f32 v9, v9, v79 :: v_dual_mov_b32 v112, v199
	s_set_vgpr_msb 1                        ;  msbs: dst=0 src0=1 src1=0 src2=0
	v_dual_fmac_f32 v83, v51 /*v307*/, v186 :: v_dual_fmac_f32 v85, v53 /*v309*/, v188
	v_fma_f32 v15, v50 /*v306*/, v186, -v19
	s_set_vgpr_msb 0                        ;  msbs: dst=0 src0=0 src1=0 src2=0
	v_add_f32_e32 v11, v11, v17
	s_set_vgpr_msb 1                        ;  msbs: dst=0 src0=1 src1=0 src2=0
	v_fma_f32 v17, v52 /*v308*/, v188, -v21
	s_set_vgpr_msb 0                        ;  msbs: dst=0 src0=0 src1=0 src2=0
	v_add_f32_e32 v9, v9, v81
	s_set_vgpr_msb 1                        ;  msbs: dst=0 src0=1 src1=0 src2=0
	v_fmac_f32_e32 v87, v55 /*v311*/, v190
	s_set_vgpr_msb 64                       ;  msbs: dst=1 src0=0 src1=0 src2=0
	v_dual_mul_f32 v71 /*v327*/, v230, v195 :: v_dual_mul_f32 v73 /*v329*/, v232, v197
	s_set_vgpr_msb 0                        ;  msbs: dst=0 src0=0 src1=0 src2=0
	v_add_f32_e32 v11, v11, v15
	s_wait_loadcnt 0x4
	v_dual_add_f32 v9, v9, v83 :: v_dual_mov_b32 v116, v203
	s_set_vgpr_msb 1                        ;  msbs: dst=0 src0=1 src1=0 src2=0
	v_fma_f32 v15, v54 /*v310*/, v190, -v23
	s_set_vgpr_msb 0                        ;  msbs: dst=0 src0=0 src1=0 src2=0
	v_dual_fmac_f32 v89, v229, v192 :: v_dual_add_f32 v11, v11, v17
	v_dual_add_f32 v9, v9, v85 :: v_dual_fma_f32 v17, v228, v192, -v25
	s_set_vgpr_msb 1                        ;  msbs: dst=0 src0=1 src1=0 src2=0
	v_pk_mul_f32 v[112:113], v[62:63] /*v[318:319]*/, v[112:113] op_sel_hi:[1,0]
	s_set_vgpr_msb 64                       ;  msbs: dst=1 src0=0 src1=0 src2=0
	v_dual_fmac_f32 v71 /*v327*/, v231, v194 :: v_dual_fmac_f32 v73 /*v329*/, v233, v196
	s_set_vgpr_msb 0                        ;  msbs: dst=0 src0=0 src1=0 src2=0
	v_add_f32_e32 v9, v9, v87
	v_add_f32_e32 v11, v11, v15
	s_set_vgpr_msb 64                       ;  msbs: dst=1 src0=0 src1=0 src2=0
	v_dual_fma_f32 v70 /*v326*/, v230, v194, -v27 :: v_dual_fma_f32 v72 /*v328*/, v232, v196, -v13
	s_set_vgpr_msb 0                        ;  msbs: dst=0 src0=0 src1=0 src2=0
	v_pk_fma_f32 v[124:125], v[234:235], v[198:199], v[112:113] op_sel_hi:[1,0,1]
	v_add_f32_e32 v121, v9, v89
	v_add_f32_e32 v120, v11, v17
	v_pk_fma_f32 v[112:113], v[234:235], v[198:199], v[112:113] neg_lo:[0,0,1] neg_hi:[0,0,1]
	v_pk_mul_f32 v[114:115], v[244:245], v[200:201] op_sel:[1,1] op_sel_hi:[0,1]
	v_mov_b32_e32 v113, v125
	s_set_vgpr_msb 1                        ;  msbs: dst=0 src0=1 src1=0 src2=0
	v_pk_mul_f32 v[116:117], v[64:65] /*v[320:321]*/, v[116:117] op_sel_hi:[1,0]
	s_set_vgpr_msb 4                        ;  msbs: dst=0 src0=0 src1=1 src2=0
	v_pk_add_f32 v[120:121], v[120:121], v[70:71] /*v[326:327]*/
	s_wait_loadcnt 0x3
	s_set_vgpr_msb 0                        ;  msbs: dst=0 src0=0 src1=0 src2=0
	v_pk_mul_f32 v[118:119], v[248:249], v[204:205] op_sel:[1,1] op_sel_hi:[0,1]
	v_pk_fma_f32 v[126:127], v[244:245], v[200:201], v[114:115] op_sel_hi:[1,0,1]
	v_pk_fma_f32 v[114:115], v[244:245], v[200:201], v[114:115] neg_lo:[0,0,1] neg_hi:[0,0,1]
	v_mov_b32_e32 v122, v207
	s_set_vgpr_msb 4                        ;  msbs: dst=0 src0=0 src1=1 src2=0
	v_pk_add_f32 v[120:121], v[120:121], v[72:73] /*v[328:329]*/
	s_wait_loadcnt 0x2
	s_set_vgpr_msb 1                        ;  msbs: dst=0 src0=1 src1=0 src2=0
	v_pk_mul_f32 v[124:125], v[4:5] /*v[260:261]*/, v[208:209] op_sel:[1,1] op_sel_hi:[0,1]
	s_set_vgpr_msb 0                        ;  msbs: dst=0 src0=0 src1=0 src2=0
	v_mov_b32_e32 v115, v127
	v_pk_fma_f32 v[126:127], v[246:247], v[202:203], v[116:117] op_sel_hi:[1,0,1]
	v_pk_fma_f32 v[116:117], v[246:247], v[202:203], v[116:117] neg_lo:[0,0,1] neg_hi:[0,0,1]
	v_pk_add_f32 v[112:113], v[120:121], v[112:113]
	v_pk_fma_f32 v[120:121], v[248:249], v[204:205], v[118:119] op_sel_hi:[1,0,1]
	s_set_vgpr_msb 1                        ;  msbs: dst=0 src0=1 src1=0 src2=0
	v_pk_mul_f32 v[122:123], v[66:67] /*v[322:323]*/, v[122:123] op_sel_hi:[1,0]
	s_set_vgpr_msb 0                        ;  msbs: dst=0 src0=0 src1=0 src2=0
	v_mov_b32_e32 v117, v127
	v_pk_fma_f32 v[118:119], v[248:249], v[204:205], v[118:119] neg_lo:[0,0,1] neg_hi:[0,0,1]
	v_pk_add_f32 v[112:113], v[112:113], v[114:115]
	v_dual_mov_b32 v114, v211 :: v_dual_mov_b32 v119, v121
	v_pk_fma_f32 v[120:121], v[250:251], v[206:207], v[122:123] op_sel_hi:[1,0,1]
	v_pk_fma_f32 v[122:123], v[250:251], v[206:207], v[122:123] neg_lo:[0,0,1] neg_hi:[0,0,1]
	s_delay_alu instid0(VALU_DEP_4)
	v_pk_add_f32 v[112:113], v[112:113], v[116:117]
	s_set_vgpr_msb 1                        ;  msbs: dst=0 src0=1 src1=0 src2=0
	v_pk_fma_f32 v[116:117], v[4:5] /*v[260:261]*/, v[208:209], v[124:125] op_sel_hi:[1,0,1]
	v_pk_mul_f32 v[114:115], v[68:69] /*v[324:325]*/, v[114:115] op_sel_hi:[1,0]
	s_set_vgpr_msb 0                        ;  msbs: dst=0 src0=0 src1=0 src2=0
	v_mov_b32_e32 v123, v121
	s_wait_loadcnt_dscnt 0x100
	s_set_vgpr_msb 5                        ;  msbs: dst=0 src0=1 src1=1 src2=0
	v_pk_mul_f32 v[120:121], v[60:61] /*v[316:317]*/, v[56:57] /*v[312:313]*/ op_sel:[1,1] op_sel_hi:[0,1]
	s_set_vgpr_msb 0                        ;  msbs: dst=0 src0=0 src1=0 src2=0
	v_pk_add_f32 v[112:113], v[112:113], v[118:119]
	s_set_vgpr_msb 1                        ;  msbs: dst=0 src0=1 src1=0 src2=0
	v_pk_fma_f32 v[118:119], v[4:5] /*v[260:261]*/, v[208:209], v[124:125] neg_lo:[0,0,1] neg_hi:[0,0,1]
	s_set_vgpr_msb 0                        ;  msbs: dst=0 src0=0 src1=0 src2=0
	v_mov_b32_e32 v119, v117
	s_set_vgpr_msb 1                        ;  msbs: dst=0 src0=1 src1=0 src2=0
	v_pk_fma_f32 v[116:117], v[6:7] /*v[262:263]*/, v[210:211], v[114:115] op_sel_hi:[1,0,1]
	v_pk_fma_f32 v[114:115], v[6:7] /*v[262:263]*/, v[210:211], v[114:115] neg_lo:[0,0,1] neg_hi:[0,0,1]
	s_set_vgpr_msb 0                        ;  msbs: dst=0 src0=0 src1=0 src2=0
	v_pk_add_f32 v[112:113], v[112:113], v[122:123]
	s_delay_alu instid0(VALU_DEP_3)
	v_mov_b32_e32 v115, v117
	s_set_vgpr_msb 5                        ;  msbs: dst=0 src0=1 src1=1 src2=0
	v_pk_fma_f32 v[116:117], v[60:61] /*v[316:317]*/, v[56:57] /*v[312:313]*/, v[120:121] op_sel_hi:[1,0,1]
	s_set_vgpr_msb 0                        ;  msbs: dst=0 src0=0 src1=0 src2=0
	v_pk_add_f32 v[112:113], v[112:113], v[118:119]
	s_set_vgpr_msb 5                        ;  msbs: dst=0 src0=1 src1=1 src2=0
	v_pk_fma_f32 v[118:119], v[60:61] /*v[316:317]*/, v[56:57] /*v[312:313]*/, v[120:121] neg_lo:[0,0,1] neg_hi:[0,0,1]
	s_set_vgpr_msb 0                        ;  msbs: dst=0 src0=0 src1=0 src2=0
	v_mov_b32_e32 v119, v117
	v_pk_add_f32 v[112:113], v[112:113], v[114:115]
	s_delay_alu instid0(VALU_DEP_1) | instskip(SKIP_2) | instid1(VALU_DEP_1)
	v_pk_add_f32 v[112:113], v[112:113], v[118:119]
	s_wait_loadcnt 0x0
	s_set_vgpr_msb 1                        ;  msbs: dst=0 src0=1 src1=0 src2=0
	v_pk_add_f32 v[112:113], v[58:59] /*v[314:315]*/, v[112:113] neg_lo:[0,1] neg_hi:[0,1]
	scratch_store_b64 off, v[112:113], off offset:24
	s_wait_xcnt 0x0
	v_cmpx_lt_u32_e32 2, v0
	s_set_vgpr_msb 0                        ;  msbs: dst=0 src0=0 src1=0 src2=0
	s_cbranch_execz .LBB118_339
; %bb.338:
	scratch_load_b64 v[112:113], off, off offset:16
	v_mov_b64_e32 v[114:115], 0
	scratch_store_b64 off, v[114:115], off offset:16
	s_wait_loadcnt 0x0
	ds_store_b64 v1, v[112:113]
.LBB118_339:
	s_wait_xcnt 0x0
	s_or_b32 exec_lo, exec_lo, s0
	s_wait_storecnt_dscnt 0x0
	s_barrier_signal -1
	s_barrier_wait -1
	s_clause 0x18
	scratch_load_b128 v[112:115], off, off offset:24
	scratch_load_b128 v[116:119], off, off offset:40
	;; [unrolled: 1-line block ×25, first 2 shown]
	ds_load_2addr_b64 v[212:215], v7 offset0:59 offset1:60
	ds_load_2addr_b64 v[216:219], v7 offset0:61 offset1:62
	scratch_load_b128 v[220:223], off, off offset:424
	ds_load_2addr_b64 v[224:227], v7 offset0:63 offset1:64
	ds_load_2addr_b64 v[228:231], v7 offset0:65 offset1:66
	;; [unrolled: 1-line block ×8, first 2 shown]
	s_set_vgpr_msb 64                       ;  msbs: dst=1 src0=0 src1=0 src2=0
	ds_load_2addr_b64 v[0:3] /*v[256:259]*/, v7 offset0:107 offset1:108
	ds_load_2addr_b64 v[4:7] /*v[260:263]*/, v7 offset0:75 offset1:76
	;; [unrolled: 1-line block ×16, first 2 shown]
	scratch_load_b64 v[64:65] /*v[320:321]*/, off, off offset:16
	s_wait_dscnt 0x13
	v_dual_mov_b32 v66 /*v322*/, v243 :: v_dual_mov_b32 v67 /*v323*/, v242
	s_wait_dscnt 0x10
	v_dual_mov_b32 v68 /*v324*/, v255 :: v_dual_mov_b32 v69 /*v325*/, v254
	s_wait_dscnt 0xf
	s_set_vgpr_msb 0x41                     ;  msbs: dst=1 src0=1 src1=0 src2=0
	v_dual_mov_b32 v70 /*v326*/, v3 /*v259*/ :: v_dual_mov_b32 v71 /*v327*/, v2 /*v258*/
	s_wait_dscnt 0xc
	v_dual_mov_b32 v72 /*v328*/, v15 /*v271*/ :: v_dual_mov_b32 v73 /*v329*/, v14 /*v270*/
	s_mov_b32 s0, exec_lo
	s_wait_loadcnt 0x1a
	s_set_vgpr_msb 0                        ;  msbs: dst=0 src0=0 src1=0 src2=0
	v_dual_mul_f32 v7, v212, v113 :: v_dual_mul_f32 v9, v214, v115
	v_dual_mul_f32 v91, v213, v113 :: v_dual_mul_f32 v93, v215, v115
	s_wait_loadcnt 0x19
	v_dual_mul_f32 v11, v216, v117 :: v_dual_mul_f32 v13, v218, v119
	s_delay_alu instid0(VALU_DEP_3) | instskip(SKIP_3) | instid1(VALU_DEP_3)
	v_dual_fmac_f32 v7, v213, v112 :: v_dual_fmac_f32 v9, v215, v114
	s_wait_loadcnt 0x17
	v_dual_fma_f32 v91, v212, v112, -v91 :: v_dual_mul_f32 v103, v229, v125
	v_dual_mul_f32 v95, v217, v117 :: v_dual_mul_f32 v97, v219, v119
	v_dual_fma_f32 v93, v214, v114, -v93 :: v_dual_add_f32 v7, 0, v7
	s_delay_alu instid0(VALU_DEP_3) | instskip(SKIP_1) | instid1(VALU_DEP_4)
	v_dual_add_f32 v91, 0, v91 :: v_dual_fmac_f32 v11, v217, v116
	v_dual_mul_f32 v15, v224, v121 :: v_dual_mul_f32 v17, v226, v123
	v_dual_mul_f32 v105, v231, v127 :: v_dual_fma_f32 v95, v216, v116, -v95
	s_delay_alu instid0(VALU_DEP_4) | instskip(NEXT) | instid1(VALU_DEP_3)
	v_add_f32_e32 v7, v7, v9
	v_dual_add_f32 v9, v91, v93 :: v_dual_fmac_f32 v15, v225, v120
	v_dual_mul_f32 v99, v225, v121 :: v_dual_mul_f32 v101, v227, v123
	s_wait_loadcnt 0x16
	v_dual_mul_f32 v91, v233, v129 :: v_dual_fmac_f32 v13, v219, v118
	v_dual_fma_f32 v93, v218, v118, -v97 :: v_dual_add_f32 v7, v7, v11
	s_delay_alu instid0(VALU_DEP_3) | instskip(SKIP_1) | instid1(VALU_DEP_3)
	v_dual_add_f32 v9, v9, v95 :: v_dual_fma_f32 v95, v224, v120, -v99
	v_dual_mul_f32 v19, v228, v125 :: v_dual_mul_f32 v21, v230, v127
	v_add_f32_e32 v7, v7, v13
	s_delay_alu instid0(VALU_DEP_3) | instskip(SKIP_2) | instid1(VALU_DEP_3)
	v_dual_mul_f32 v11, v235, v131 :: v_dual_add_f32 v9, v9, v93
	s_wait_loadcnt 0x15
	v_dual_mul_f32 v13, v237, v133 :: v_dual_fmac_f32 v17, v227, v122
	v_dual_fma_f32 v93, v226, v122, -v101 :: v_dual_add_f32 v7, v7, v15
	s_delay_alu instid0(VALU_DEP_3) | instskip(SKIP_1) | instid1(VALU_DEP_3)
	v_dual_add_f32 v9, v9, v95 :: v_dual_fma_f32 v95, v228, v124, -v103
	v_dual_mul_f32 v15, v239, v135 :: v_dual_fmac_f32 v19, v229, v124
	v_add_f32_e32 v7, v7, v17
	s_delay_alu instid0(VALU_DEP_3)
	v_dual_add_f32 v9, v9, v93 :: v_dual_fmac_f32 v21, v231, v126
	v_dual_mul_f32 v23, v232, v129 :: v_dual_mul_f32 v25, v234, v131
	s_wait_loadcnt 0x14
	v_dual_fma_f32 v93, v230, v126, -v105 :: v_dual_mul_f32 v17, v245, v137
	v_add_f32_e32 v7, v7, v19
	v_dual_add_f32 v9, v9, v95 :: v_dual_fma_f32 v91, v232, v128, -v91
	v_dual_mul_f32 v19, v247, v139 :: v_dual_fmac_f32 v23, v233, v128
	s_delay_alu instid0(VALU_DEP_3) | instskip(NEXT) | instid1(VALU_DEP_3)
	v_dual_add_f32 v7, v7, v21 :: v_dual_fma_f32 v11, v234, v130, -v11
	v_dual_add_f32 v9, v9, v93 :: v_dual_fmac_f32 v25, v235, v130
	v_dual_mul_f32 v27, v236, v133 :: v_dual_mul_f32 v29, v238, v135
	s_wait_loadcnt 0x13
	s_delay_alu instid0(VALU_DEP_3) | instskip(NEXT) | instid1(VALU_DEP_3)
	v_dual_mul_f32 v21, v249, v141 :: v_dual_add_f32 v7, v7, v23
	v_dual_add_f32 v9, v9, v91 :: v_dual_fma_f32 v13, v236, v132, -v13
	s_delay_alu instid0(VALU_DEP_3) | instskip(NEXT) | instid1(VALU_DEP_2)
	v_dual_mul_f32 v23, v251, v143 :: v_dual_fmac_f32 v27, v237, v132
	v_dual_add_f32 v7, v7, v25 :: v_dual_add_f32 v9, v9, v11
	v_dual_mul_f32 v31, v244, v137 :: v_dual_mul_f32 v33, v246, v139
	v_dual_fmac_f32 v29, v239, v134 :: v_dual_fma_f32 v15, v238, v134, -v15
	s_delay_alu instid0(VALU_DEP_3) | instskip(NEXT) | instid1(VALU_DEP_3)
	v_dual_add_f32 v7, v7, v27 :: v_dual_add_f32 v9, v9, v13
	v_dual_fmac_f32 v31, v245, v136 :: v_dual_fma_f32 v17, v244, v136, -v17
	v_dual_mul_f32 v35, v248, v141 :: v_dual_mul_f32 v37, v250, v143
	s_delay_alu instid0(VALU_DEP_3) | instskip(SKIP_1) | instid1(VALU_DEP_3)
	v_dual_add_f32 v7, v7, v29 :: v_dual_add_f32 v9, v9, v15
	v_dual_fmac_f32 v33, v247, v138 :: v_dual_fma_f32 v19, v246, v138, -v19
	v_dual_fmac_f32 v35, v249, v140 :: v_dual_fma_f32 v21, v248, v140, -v21
	s_delay_alu instid0(VALU_DEP_3)
	v_dual_add_f32 v7, v7, v31 :: v_dual_add_f32 v9, v9, v17
	s_wait_loadcnt 0x12
	s_set_vgpr_msb 1                        ;  msbs: dst=0 src0=1 src1=0 src2=0
	v_dual_mul_f32 v11, v5 /*v261*/, v145 :: v_dual_mul_f32 v13, v7 /*v263*/, v147
	s_set_vgpr_msb 0                        ;  msbs: dst=0 src0=0 src1=0 src2=0
	v_dual_fmac_f32 v37, v251, v142 :: v_dual_fma_f32 v23, v250, v142, -v23
	v_dual_add_f32 v7, v7, v33 :: v_dual_add_f32 v9, v9, v19
	s_set_vgpr_msb 1                        ;  msbs: dst=0 src0=1 src1=0 src2=0
	v_dual_mul_f32 v39, v4 /*v260*/, v145 :: v_dual_mul_f32 v41, v6 /*v262*/, v147
	v_fma_f32 v11, v4 /*v260*/, v144, -v11
	s_set_vgpr_msb 0                        ;  msbs: dst=0 src0=0 src1=0 src2=0
	v_dual_add_f32 v7, v7, v35 :: v_dual_add_f32 v9, v9, v21
	s_wait_loadcnt 0x11
	s_set_vgpr_msb 1                        ;  msbs: dst=0 src0=1 src1=0 src2=0
	v_dual_mul_f32 v15, v9 /*v265*/, v149 :: v_dual_mul_f32 v17, v11 /*v267*/, v151
	v_dual_fmac_f32 v39, v5 /*v261*/, v144 :: v_dual_fmac_f32 v41, v7 /*v263*/, v146
	s_set_vgpr_msb 0                        ;  msbs: dst=0 src0=0 src1=0 src2=0
	v_dual_add_f32 v7, v7, v37 :: v_dual_add_f32 v9, v9, v23
	s_wait_loadcnt_dscnt 0xf0a
	s_set_vgpr_msb 1                        ;  msbs: dst=0 src0=1 src1=0 src2=0
	v_dual_mul_f32 v23, v21 /*v277*/, v157 :: v_dual_fma_f32 v13, v6 /*v262*/, v146, -v13
	v_dual_mul_f32 v43, v8 /*v264*/, v149 :: v_dual_mul_f32 v45, v10 /*v266*/, v151
	s_set_vgpr_msb 0                        ;  msbs: dst=0 src0=0 src1=0 src2=0
	v_add_f32_e32 v9, v9, v11
	s_set_vgpr_msb 1                        ;  msbs: dst=0 src0=1 src1=0 src2=0
	v_mul_f32_e32 v11, v23 /*v279*/, v159
	s_set_vgpr_msb 0                        ;  msbs: dst=0 src0=0 src1=0 src2=0
	v_add_f32_e32 v7, v7, v39
	s_set_vgpr_msb 1                        ;  msbs: dst=0 src0=1 src1=0 src2=0
	v_dual_fma_f32 v15, v8 /*v264*/, v148, -v15 :: v_dual_mul_f32 v19, v17 /*v273*/, v153
	v_mul_f32_e32 v21, v19 /*v275*/, v155
	s_set_vgpr_msb 0                        ;  msbs: dst=0 src0=0 src1=0 src2=0
	v_add_f32_e32 v9, v9, v13
	s_set_vgpr_msb 1                        ;  msbs: dst=0 src0=1 src1=0 src2=0
	v_dual_fmac_f32 v43, v9 /*v265*/, v148 :: v_dual_fmac_f32 v45, v11 /*v267*/, v150
	s_set_vgpr_msb 0                        ;  msbs: dst=0 src0=0 src1=0 src2=0
	v_add_f32_e32 v7, v7, v41
	s_wait_loadcnt_dscnt 0xe09
	s_set_vgpr_msb 1                        ;  msbs: dst=0 src0=1 src1=0 src2=0
	v_dual_mul_f32 v13, v25 /*v281*/, v161 :: v_dual_fma_f32 v17, v10 /*v266*/, v150, -v17
	s_set_vgpr_msb 0                        ;  msbs: dst=0 src0=0 src1=0 src2=0
	v_add_f32_e32 v9, v9, v15
	s_set_vgpr_msb 1                        ;  msbs: dst=0 src0=1 src1=0 src2=0
	v_dual_mul_f32 v47, v16 /*v272*/, v153 :: v_dual_mul_f32 v49, v18 /*v274*/, v155
	v_mul_f32_e32 v15, v27 /*v283*/, v163
	s_set_vgpr_msb 0                        ;  msbs: dst=0 src0=0 src1=0 src2=0
	v_dual_add_f32 v7, v7, v43 :: v_dual_add_f32 v9, v9, v17
	s_wait_loadcnt_dscnt 0xd08
	s_set_vgpr_msb 1                        ;  msbs: dst=0 src0=1 src1=0 src2=0
	v_dual_fma_f32 v19, v16 /*v272*/, v152, -v19 :: v_dual_mul_f32 v17, v29 /*v285*/, v165
	v_dual_fmac_f32 v47, v17 /*v273*/, v152 :: v_dual_fmac_f32 v49, v19 /*v275*/, v154
	s_set_vgpr_msb 0                        ;  msbs: dst=0 src0=0 src1=0 src2=0
	v_add_f32_e32 v7, v7, v45
	s_set_vgpr_msb 1                        ;  msbs: dst=0 src0=1 src1=0 src2=0
	v_fma_f32 v21, v18 /*v274*/, v154, -v21
	s_set_vgpr_msb 0                        ;  msbs: dst=0 src0=0 src1=0 src2=0
	v_add_f32_e32 v9, v9, v19
	s_set_vgpr_msb 1                        ;  msbs: dst=0 src0=1 src1=0 src2=0
	v_dual_mul_f32 v51, v20 /*v276*/, v157 :: v_dual_mul_f32 v53, v22 /*v278*/, v159
	v_mul_f32_e32 v19, v31 /*v287*/, v167
	s_set_vgpr_msb 0                        ;  msbs: dst=0 src0=0 src1=0 src2=0
	v_dual_add_f32 v7, v7, v47 :: v_dual_add_f32 v9, v9, v21
	s_wait_loadcnt_dscnt 0xc07
	s_set_vgpr_msb 1                        ;  msbs: dst=0 src0=1 src1=0 src2=0
	v_dual_fma_f32 v23, v20 /*v276*/, v156, -v23 :: v_dual_mul_f32 v21, v33 /*v289*/, v169
	v_dual_mul_f32 v55, v24 /*v280*/, v161 :: v_dual_mul_f32 v57, v26 /*v282*/, v163
	v_dual_mul_f32 v59, v28 /*v284*/, v165 :: v_dual_mul_f32 v61, v30 /*v286*/, v167
	v_dual_fmac_f32 v51, v21 /*v277*/, v156 :: v_dual_fmac_f32 v53, v23 /*v279*/, v158
	v_fma_f32 v11, v22 /*v278*/, v158, -v11
	s_set_vgpr_msb 0                        ;  msbs: dst=0 src0=0 src1=0 src2=0
	v_dual_add_f32 v9, v9, v23 :: v_dual_add_f32 v7, v7, v49
	s_set_vgpr_msb 1                        ;  msbs: dst=0 src0=1 src1=0 src2=0
	v_dual_mul_f32 v23, v35 /*v291*/, v171 :: v_dual_fmac_f32 v55, v25 /*v281*/, v160
	v_fma_f32 v13, v24 /*v280*/, v160, -v13
	v_dual_fmac_f32 v57, v27 /*v283*/, v162 :: v_dual_fmac_f32 v59, v29 /*v285*/, v164
	s_set_vgpr_msb 0                        ;  msbs: dst=0 src0=0 src1=0 src2=0
	v_add_f32_e32 v9, v9, v11
	s_set_vgpr_msb 1                        ;  msbs: dst=0 src0=1 src1=0 src2=0
	v_dual_mul_f32 v63, v32 /*v288*/, v169 :: v_dual_mul_f32 v65, v34 /*v290*/, v171
	s_set_vgpr_msb 0                        ;  msbs: dst=0 src0=0 src1=0 src2=0
	v_add_f32_e32 v7, v7, v51
	s_wait_loadcnt_dscnt 0xb06
	s_set_vgpr_msb 1                        ;  msbs: dst=0 src0=1 src1=0 src2=0
	v_dual_mul_f32 v11, v37 /*v293*/, v173 :: v_dual_fma_f32 v15, v26 /*v282*/, v162, -v15
	s_set_vgpr_msb 0                        ;  msbs: dst=0 src0=0 src1=0 src2=0
	v_add_f32_e32 v9, v9, v13
	s_set_vgpr_msb 1                        ;  msbs: dst=0 src0=1 src1=0 src2=0
	v_dual_mul_f32 v13, v39 /*v295*/, v175 :: v_dual_fma_f32 v17, v28 /*v284*/, v164, -v17
	s_set_vgpr_msb 0                        ;  msbs: dst=0 src0=0 src1=0 src2=0
	v_add_f32_e32 v7, v7, v53
	s_set_vgpr_msb 1                        ;  msbs: dst=0 src0=1 src1=0 src2=0
	v_dual_fmac_f32 v61, v31 /*v287*/, v166 :: v_dual_fmac_f32 v63, v33 /*v289*/, v168
	s_set_vgpr_msb 0                        ;  msbs: dst=0 src0=0 src1=0 src2=0
	v_add_f32_e32 v9, v9, v15
	s_set_vgpr_msb 1                        ;  msbs: dst=0 src0=1 src1=0 src2=0
	v_dual_mul_f32 v67, v36 /*v292*/, v173 :: v_dual_mul_f32 v69, v38 /*v294*/, v175
	s_set_vgpr_msb 0                        ;  msbs: dst=0 src0=0 src1=0 src2=0
	v_add_f32_e32 v7, v7, v55
	s_wait_loadcnt_dscnt 0xa05
	s_set_vgpr_msb 1                        ;  msbs: dst=0 src0=1 src1=0 src2=0
	v_dual_mul_f32 v15, v41 /*v297*/, v177 :: v_dual_fma_f32 v19, v30 /*v286*/, v166, -v19
	s_set_vgpr_msb 0                        ;  msbs: dst=0 src0=0 src1=0 src2=0
	v_add_f32_e32 v9, v9, v17
	s_set_vgpr_msb 1                        ;  msbs: dst=0 src0=1 src1=0 src2=0
	v_dual_mul_f32 v17, v43 /*v299*/, v179 :: v_dual_fma_f32 v21, v32 /*v288*/, v168, -v21
	s_set_vgpr_msb 0                        ;  msbs: dst=0 src0=0 src1=0 src2=0
	v_add_f32_e32 v7, v7, v57
	s_set_vgpr_msb 1                        ;  msbs: dst=0 src0=1 src1=0 src2=0
	v_dual_fmac_f32 v65, v35 /*v291*/, v170 :: v_dual_fmac_f32 v67, v37 /*v293*/, v172
	s_set_vgpr_msb 0                        ;  msbs: dst=0 src0=0 src1=0 src2=0
	v_add_f32_e32 v9, v9, v19
	s_set_vgpr_msb 1                        ;  msbs: dst=0 src0=1 src1=0 src2=0
	v_dual_mul_f32 v71, v40 /*v296*/, v177 :: v_dual_mul_f32 v73, v42 /*v298*/, v179
	s_set_vgpr_msb 0                        ;  msbs: dst=0 src0=0 src1=0 src2=0
	v_add_f32_e32 v7, v7, v59
	s_wait_loadcnt_dscnt 0x904
	s_set_vgpr_msb 1                        ;  msbs: dst=0 src0=1 src1=0 src2=0
	v_dual_mul_f32 v19, v45 /*v301*/, v181 :: v_dual_fma_f32 v23, v34 /*v290*/, v170, -v23
	s_set_vgpr_msb 0                        ;  msbs: dst=0 src0=0 src1=0 src2=0
	v_add_f32_e32 v9, v9, v21
	s_set_vgpr_msb 1                        ;  msbs: dst=0 src0=1 src1=0 src2=0
	v_dual_mul_f32 v75, v44 /*v300*/, v181 :: v_dual_mul_f32 v77, v46 /*v302*/, v183
	v_dual_mul_f32 v21, v47 /*v303*/, v183 :: v_dual_fma_f32 v11, v36 /*v292*/, v172, -v11
	v_dual_fmac_f32 v69, v39 /*v295*/, v174 :: v_dual_fmac_f32 v71, v41 /*v297*/, v176
	s_set_vgpr_msb 0                        ;  msbs: dst=0 src0=0 src1=0 src2=0
	v_dual_add_f32 v9, v9, v23 :: v_dual_add_f32 v7, v7, v61
	s_wait_loadcnt_dscnt 0x803
	s_set_vgpr_msb 1                        ;  msbs: dst=0 src0=1 src1=0 src2=0
	v_dual_mul_f32 v23, v49 /*v305*/, v185 :: v_dual_fma_f32 v13, v38 /*v294*/, v174, -v13
	v_dual_fmac_f32 v73, v43 /*v299*/, v178 :: v_dual_fmac_f32 v75, v45 /*v301*/, v180
	s_set_vgpr_msb 0                        ;  msbs: dst=0 src0=0 src1=0 src2=0
	v_add_f32_e32 v9, v9, v11
	s_set_vgpr_msb 1                        ;  msbs: dst=0 src0=1 src1=0 src2=0
	v_dual_mul_f32 v79, v48 /*v304*/, v185 :: v_dual_mul_f32 v81, v50 /*v306*/, v187
	s_set_vgpr_msb 0                        ;  msbs: dst=0 src0=0 src1=0 src2=0
	v_add_f32_e32 v7, v7, v63
	s_set_vgpr_msb 1                        ;  msbs: dst=0 src0=1 src1=0 src2=0
	v_dual_mul_f32 v11, v51 /*v307*/, v187 :: v_dual_fma_f32 v15, v40 /*v296*/, v176, -v15
	s_set_vgpr_msb 0                        ;  msbs: dst=0 src0=0 src1=0 src2=0
	v_add_f32_e32 v9, v9, v13
	s_wait_loadcnt_dscnt 0x702
	s_set_vgpr_msb 1                        ;  msbs: dst=0 src0=1 src1=0 src2=0
	v_dual_mul_f32 v13, v53 /*v309*/, v189 :: v_dual_fma_f32 v17, v42 /*v298*/, v178, -v17
	s_set_vgpr_msb 0                        ;  msbs: dst=0 src0=0 src1=0 src2=0
	v_add_f32_e32 v7, v7, v65
	s_set_vgpr_msb 1                        ;  msbs: dst=0 src0=1 src1=0 src2=0
	v_dual_fmac_f32 v77, v47 /*v303*/, v182 :: v_dual_fmac_f32 v79, v49 /*v305*/, v184
	s_set_vgpr_msb 0                        ;  msbs: dst=0 src0=0 src1=0 src2=0
	v_add_f32_e32 v9, v9, v15
	s_set_vgpr_msb 1                        ;  msbs: dst=0 src0=1 src1=0 src2=0
	v_dual_mul_f32 v83, v52 /*v308*/, v189 :: v_dual_mul_f32 v85, v54 /*v310*/, v191
	s_set_vgpr_msb 0                        ;  msbs: dst=0 src0=0 src1=0 src2=0
	v_add_f32_e32 v7, v7, v67
	s_set_vgpr_msb 1                        ;  msbs: dst=0 src0=1 src1=0 src2=0
	v_dual_mul_f32 v15, v55 /*v311*/, v191 :: v_dual_fma_f32 v19, v44 /*v300*/, v180, -v19
	s_set_vgpr_msb 0                        ;  msbs: dst=0 src0=0 src1=0 src2=0
	v_add_f32_e32 v9, v9, v17
	s_wait_loadcnt_dscnt 0x601
	s_set_vgpr_msb 1                        ;  msbs: dst=0 src0=1 src1=0 src2=0
	v_dual_mul_f32 v17, v57 /*v313*/, v193 :: v_dual_fma_f32 v21, v46 /*v302*/, v182, -v21
	s_set_vgpr_msb 0                        ;  msbs: dst=0 src0=0 src1=0 src2=0
	v_add_f32_e32 v7, v7, v69
	s_set_vgpr_msb 1                        ;  msbs: dst=0 src0=1 src1=0 src2=0
	v_dual_fmac_f32 v81, v51 /*v307*/, v186 :: v_dual_fmac_f32 v83, v53 /*v309*/, v188
	s_set_vgpr_msb 0                        ;  msbs: dst=0 src0=0 src1=0 src2=0
	v_add_f32_e32 v9, v9, v19
	s_set_vgpr_msb 1                        ;  msbs: dst=0 src0=1 src1=0 src2=0
	v_dual_mul_f32 v19, v59 /*v315*/, v195 :: v_dual_fma_f32 v23, v48 /*v304*/, v184, -v23
	s_set_vgpr_msb 0                        ;  msbs: dst=0 src0=0 src1=0 src2=0
	v_add_f32_e32 v7, v7, v71
	s_set_vgpr_msb 1                        ;  msbs: dst=0 src0=1 src1=0 src2=0
	v_fma_f32 v11, v50 /*v306*/, v186, -v11
	s_set_vgpr_msb 0                        ;  msbs: dst=0 src0=0 src1=0 src2=0
	v_add_f32_e32 v9, v9, v21
	s_wait_loadcnt_dscnt 0x500
	s_set_vgpr_msb 1                        ;  msbs: dst=0 src0=1 src1=0 src2=0
	v_dual_mul_f32 v21, v61 /*v317*/, v197 :: v_dual_fma_f32 v13, v52 /*v308*/, v188, -v13
	s_set_vgpr_msb 0                        ;  msbs: dst=0 src0=0 src1=0 src2=0
	v_add_f32_e32 v7, v7, v73
	s_set_vgpr_msb 1                        ;  msbs: dst=0 src0=1 src1=0 src2=0
	v_fmac_f32_e32 v85, v55 /*v311*/, v190
	s_wait_loadcnt 0x4
	s_set_vgpr_msb 0                        ;  msbs: dst=0 src0=0 src1=0 src2=0
	v_dual_add_f32 v9, v9, v23 :: v_dual_mov_b32 v114, v203
	s_set_vgpr_msb 1                        ;  msbs: dst=0 src0=1 src1=0 src2=0
	v_dual_mul_f32 v23, v63 /*v319*/, v199 :: v_dual_mul_f32 v87, v56 /*v312*/, v193
	v_mul_f32_e32 v89, v58 /*v314*/, v195
	s_set_vgpr_msb 0                        ;  msbs: dst=0 src0=0 src1=0 src2=0
	v_add_f32_e32 v9, v9, v11
	v_add_f32_e32 v7, v7, v75
	s_set_vgpr_msb 1                        ;  msbs: dst=0 src0=1 src1=0 src2=0
	v_fma_f32 v11, v54 /*v310*/, v190, -v15
	v_fmac_f32_e32 v87, v57 /*v313*/, v192
	s_wait_loadcnt 0x3
	s_set_vgpr_msb 0                        ;  msbs: dst=0 src0=0 src1=0 src2=0
	v_dual_mov_b32 v118, v207 :: v_dual_add_f32 v9, v9, v13
	v_add_f32_e32 v7, v7, v77
	s_set_vgpr_msb 1                        ;  msbs: dst=0 src0=1 src1=0 src2=0
	v_fma_f32 v13, v56 /*v312*/, v192, -v17
	s_set_vgpr_msb 0x41                     ;  msbs: dst=1 src0=1 src1=0 src2=0
	v_dual_mul_f32 v75 /*v331*/, v60 /*v316*/, v197 :: v_dual_mul_f32 v77 /*v333*/, v62 /*v318*/, v199
	s_set_vgpr_msb 0                        ;  msbs: dst=0 src0=0 src1=0 src2=0
	v_add_f32_e32 v9, v9, v11
	v_add_f32_e32 v7, v7, v79
	s_set_vgpr_msb 1                        ;  msbs: dst=0 src0=1 src1=0 src2=0
	v_dual_fmac_f32 v89, v59 /*v315*/, v194 :: v_dual_fma_f32 v11, v58 /*v314*/, v194, -v19
	s_set_vgpr_msb 0                        ;  msbs: dst=0 src0=0 src1=0 src2=0
	v_pk_mul_f32 v[112:113], v[240:241], v[200:201] op_sel:[1,1] op_sel_hi:[0,1]
	v_add_f32_e32 v9, v9, v13
	v_add_f32_e32 v7, v7, v81
	s_set_vgpr_msb 0x41                     ;  msbs: dst=1 src0=1 src1=0 src2=0
	v_dual_fmac_f32 v75 /*v331*/, v61 /*v317*/, v196 :: v_dual_fmac_f32 v77 /*v333*/, v63 /*v319*/, v198
	v_dual_fma_f32 v74 /*v330*/, v60 /*v316*/, v196, -v21 :: v_dual_fma_f32 v76 /*v332*/, v62 /*v318*/, v198, -v23
	s_set_vgpr_msb 0                        ;  msbs: dst=0 src0=0 src1=0 src2=0
	v_add_f32_e32 v7, v7, v83
	v_add_f32_e32 v120, v9, v11
	v_pk_fma_f32 v[122:123], v[240:241], v[200:201], v[112:113] op_sel_hi:[1,0,1]
	s_set_vgpr_msb 1                        ;  msbs: dst=0 src0=1 src1=0 src2=0
	v_pk_mul_f32 v[114:115], v[66:67] /*v[322:323]*/, v[114:115] op_sel_hi:[1,0]
	s_set_vgpr_msb 0                        ;  msbs: dst=0 src0=0 src1=0 src2=0
	v_pk_fma_f32 v[112:113], v[240:241], v[200:201], v[112:113] neg_lo:[0,0,1] neg_hi:[0,0,1]
	v_add_f32_e32 v7, v7, v85
	v_pk_mul_f32 v[116:117], v[252:253], v[204:205] op_sel:[1,1] op_sel_hi:[0,1]
	v_mov_b32_e32 v113, v123
	v_pk_fma_f32 v[122:123], v[242:243], v[202:203], v[114:115] op_sel_hi:[1,0,1]
	v_pk_fma_f32 v[114:115], v[242:243], v[202:203], v[114:115] neg_lo:[0,0,1] neg_hi:[0,0,1]
	v_add_f32_e32 v7, v7, v87
	v_pk_fma_f32 v[126:127], v[252:253], v[204:205], v[116:117] op_sel_hi:[1,0,1]
	s_set_vgpr_msb 1                        ;  msbs: dst=0 src0=1 src1=0 src2=0
	v_pk_mul_f32 v[118:119], v[68:69] /*v[324:325]*/, v[118:119] op_sel_hi:[1,0]
	s_set_vgpr_msb 0                        ;  msbs: dst=0 src0=0 src1=0 src2=0
	v_mov_b32_e32 v115, v123
	s_wait_loadcnt 0x2
	s_set_vgpr_msb 1                        ;  msbs: dst=0 src0=1 src1=0 src2=0
	v_pk_mul_f32 v[124:125], v[0:1] /*v[256:257]*/, v[208:209] op_sel:[1,1] op_sel_hi:[0,1]
	s_set_vgpr_msb 0                        ;  msbs: dst=0 src0=0 src1=0 src2=0
	v_add_f32_e32 v121, v7, v89
	v_pk_fma_f32 v[116:117], v[252:253], v[204:205], v[116:117] neg_lo:[0,0,1] neg_hi:[0,0,1]
	v_mov_b32_e32 v117, v127
	v_pk_fma_f32 v[122:123], v[254:255], v[206:207], v[118:119] op_sel_hi:[1,0,1]
	v_pk_fma_f32 v[118:119], v[254:255], v[206:207], v[118:119] neg_lo:[0,0,1] neg_hi:[0,0,1]
	s_set_vgpr_msb 4                        ;  msbs: dst=0 src0=0 src1=1 src2=0
	v_pk_add_f32 v[120:121], v[120:121], v[74:75] /*v[330:331]*/
	s_delay_alu instid0(VALU_DEP_1) | instskip(SKIP_1) | instid1(VALU_DEP_1)
	v_pk_add_f32 v[120:121], v[120:121], v[76:77] /*v[332:333]*/
	s_set_vgpr_msb 0                        ;  msbs: dst=0 src0=0 src1=0 src2=0
	v_pk_add_f32 v[112:113], v[120:121], v[112:113]
	v_mov_b32_e32 v120, v211
	s_delay_alu instid0(VALU_DEP_2) | instskip(SKIP_2) | instid1(VALU_DEP_3)
	v_pk_add_f32 v[112:113], v[112:113], v[114:115]
	s_set_vgpr_msb 1                        ;  msbs: dst=0 src0=1 src1=0 src2=0
	v_pk_fma_f32 v[114:115], v[0:1] /*v[256:257]*/, v[208:209], v[124:125] op_sel_hi:[1,0,1]
	v_pk_mul_f32 v[120:121], v[70:71] /*v[326:327]*/, v[120:121] op_sel_hi:[1,0]
	s_set_vgpr_msb 0                        ;  msbs: dst=0 src0=0 src1=0 src2=0
	v_mov_b32_e32 v119, v123
	s_set_vgpr_msb 1                        ;  msbs: dst=0 src0=1 src1=0 src2=0
	v_pk_fma_f32 v[122:123], v[0:1] /*v[256:257]*/, v[208:209], v[124:125] neg_lo:[0,0,1] neg_hi:[0,0,1]
	s_set_vgpr_msb 0                        ;  msbs: dst=0 src0=0 src1=0 src2=0
	v_pk_add_f32 v[112:113], v[112:113], v[116:117]
	v_mov_b32_e32 v123, v115
	s_set_vgpr_msb 1                        ;  msbs: dst=0 src0=1 src1=0 src2=0
	v_pk_fma_f32 v[114:115], v[2:3] /*v[258:259]*/, v[210:211], v[120:121] op_sel_hi:[1,0,1]
	s_wait_loadcnt 0x1
	v_pk_mul_f32 v[116:117], v[12:13] /*v[268:269]*/, v[220:221] op_sel:[1,1] op_sel_hi:[0,1]
	s_set_vgpr_msb 0                        ;  msbs: dst=0 src0=0 src1=0 src2=0
	v_mov_b32_e32 v114, v223
	v_pk_add_f32 v[112:113], v[112:113], v[118:119]
	s_set_vgpr_msb 1                        ;  msbs: dst=0 src0=1 src1=0 src2=0
	v_pk_fma_f32 v[120:121], v[2:3] /*v[258:259]*/, v[210:211], v[120:121] neg_lo:[0,0,1] neg_hi:[0,0,1]
	s_set_vgpr_msb 0                        ;  msbs: dst=0 src0=0 src1=0 src2=0
	v_mov_b32_e32 v121, v115
	s_set_vgpr_msb 1                        ;  msbs: dst=0 src0=1 src1=0 src2=0
	v_pk_fma_f32 v[118:119], v[12:13] /*v[268:269]*/, v[220:221], v[116:117] op_sel_hi:[1,0,1]
	v_pk_mul_f32 v[114:115], v[72:73] /*v[328:329]*/, v[114:115] op_sel_hi:[1,0]
	s_set_vgpr_msb 0                        ;  msbs: dst=0 src0=0 src1=0 src2=0
	v_pk_add_f32 v[112:113], v[112:113], v[122:123]
	s_set_vgpr_msb 1                        ;  msbs: dst=0 src0=1 src1=0 src2=0
	v_pk_fma_f32 v[116:117], v[12:13] /*v[268:269]*/, v[220:221], v[116:117] neg_lo:[0,0,1] neg_hi:[0,0,1]
	s_set_vgpr_msb 0                        ;  msbs: dst=0 src0=0 src1=0 src2=0
	v_mov_b32_e32 v117, v119
	s_set_vgpr_msb 1                        ;  msbs: dst=0 src0=1 src1=0 src2=0
	v_pk_fma_f32 v[118:119], v[14:15] /*v[270:271]*/, v[222:223], v[114:115] op_sel_hi:[1,0,1]
	s_set_vgpr_msb 0                        ;  msbs: dst=0 src0=0 src1=0 src2=0
	v_pk_add_f32 v[112:113], v[112:113], v[120:121]
	s_set_vgpr_msb 1                        ;  msbs: dst=0 src0=1 src1=0 src2=0
	v_pk_fma_f32 v[114:115], v[14:15] /*v[270:271]*/, v[222:223], v[114:115] neg_lo:[0,0,1] neg_hi:[0,0,1]
	s_set_vgpr_msb 0                        ;  msbs: dst=0 src0=0 src1=0 src2=0
	v_mov_b32_e32 v115, v119
	v_pk_add_f32 v[112:113], v[112:113], v[116:117]
	s_delay_alu instid0(VALU_DEP_1) | instskip(SKIP_2) | instid1(VALU_DEP_1)
	v_pk_add_f32 v[112:113], v[112:113], v[114:115]
	s_wait_loadcnt 0x0
	s_set_vgpr_msb 1                        ;  msbs: dst=0 src0=1 src1=0 src2=0
	v_pk_add_f32 v[112:113], v[64:65] /*v[320:321]*/, v[112:113] neg_lo:[0,1] neg_hi:[0,1]
	scratch_store_b64 off, v[112:113], off offset:16
	s_wait_xcnt 0x0
	v_cmpx_lt_u32_e32 1, v0
	s_set_vgpr_msb 0                        ;  msbs: dst=0 src0=0 src1=0 src2=0
	s_cbranch_execz .LBB118_341
; %bb.340:
	scratch_load_b64 v[112:113], off, off offset:8
	v_mov_b64_e32 v[114:115], 0
	scratch_store_b64 off, v[114:115], off offset:8
	s_wait_loadcnt 0x0
	ds_store_b64 v1, v[112:113]
.LBB118_341:
	s_wait_xcnt 0x0
	s_or_b32 exec_lo, exec_lo, s0
	s_wait_storecnt_dscnt 0x0
	s_barrier_signal -1
	s_barrier_wait -1
	s_clause 0x16
	scratch_load_b128 v[114:117], off, off offset:16
	scratch_load_b128 v[118:121], off, off offset:32
	;; [unrolled: 1-line block ×23, first 2 shown]
	v_dual_mov_b32 v112, 0 :: v_dual_ashrrev_i32 v59, 31, v58
	s_clause 0x5
	scratch_load_b128 v[206:209], off, off offset:384
	scratch_load_b128 v[210:213], off, off offset:400
	;; [unrolled: 1-line block ×3, first 2 shown]
	s_set_vgpr_msb 64                       ;  msbs: dst=1 src0=0 src1=0 src2=0
	scratch_load_b64 v[66:67] /*v[322:323]*/, off, off offset:432
	scratch_load_b64 v[68:69] /*v[324:325]*/, off, off offset:8
	s_set_vgpr_msb 0                        ;  msbs: dst=0 src0=0 src1=0 src2=0
	ds_load_b128 v[218:221], v112 offset:464
	ds_load_b128 v[222:225], v112 offset:480
	;; [unrolled: 1-line block ×10, first 2 shown]
	s_set_vgpr_msb 64                       ;  msbs: dst=1 src0=0 src1=0 src2=0
	ds_load_b128 v[2:5] /*v[258:261]*/, v112 offset:848
	ds_load_b128 v[6:9] /*v[262:265]*/, v112 offset:592
	;; [unrolled: 1-line block ×16, first 2 shown]
	ds_load_b64 v[70:71] /*v[326:327]*/, v112 offset:880
	s_wait_dscnt 0x14
	v_dual_mov_b32 v72 /*v328*/, v245 :: v_dual_mov_b32 v73 /*v329*/, v244
	s_wait_dscnt 0x11
	s_set_vgpr_msb 0x41                     ;  msbs: dst=1 src0=1 src1=0 src2=0
	v_dual_mov_b32 v74 /*v330*/, v1 /*v257*/ :: v_dual_mov_b32 v75 /*v331*/, v0 /*v256*/
	s_wait_dscnt 0x10
	v_dual_mov_b32 v76 /*v332*/, v5 /*v261*/ :: v_dual_mov_b32 v77 /*v333*/, v4 /*v260*/
	s_set_vgpr_msb 0                        ;  msbs: dst=0 src0=0 src1=0 src2=0
	v_dual_ashrrev_i32 v7, 31, v6 :: v_dual_ashrrev_i32 v9, 31, v8
	v_dual_ashrrev_i32 v11, 31, v10 :: v_dual_ashrrev_i32 v13, 31, v12
	;; [unrolled: 1-line block ×20, first 2 shown]
	s_mov_b32 s0, exec_lo
	s_wait_loadcnt 0x1b
	v_dual_mul_f32 v89, v218, v115 :: v_dual_mul_f32 v91, v220, v117
	s_wait_loadcnt 0x19
	v_dual_mul_f32 v101, v226, v123 :: v_dual_mul_f32 v105, v225, v121
	v_dual_mul_f32 v109, v227, v123 :: v_dual_mul_f32 v111, v229, v125
	s_delay_alu instid0(VALU_DEP_3)
	v_dual_fmac_f32 v89, v219, v114 :: v_dual_fmac_f32 v91, v221, v116
	v_dual_mul_f32 v97, v222, v119 :: v_dual_mul_f32 v99, v224, v121
	v_dual_mul_f32 v103, v223, v119 :: v_dual_mul_f32 v107, v228, v125
	v_fmac_f32_e32 v101, v227, v122
	v_dual_fma_f32 v109, v226, v122, -v109 :: v_dual_fma_f32 v111, v228, v124, -v111
	s_wait_loadcnt 0x17
	v_dual_mul_f32 v121, v235, v131 :: v_dual_mul_f32 v122, v237, v133
	v_dual_add_f32 v89, 0, v89 :: v_dual_mul_f32 v93, v219, v115
	v_dual_mul_f32 v95, v221, v117 :: v_dual_fmac_f32 v97, v223, v118
	v_fmac_f32_e32 v99, v225, v120
	s_wait_loadcnt 0x16
	v_dual_fmac_f32 v107, v229, v124 :: v_dual_mul_f32 v123, v238, v135
	v_dual_mul_f32 v124, v240, v137 :: v_dual_fma_f32 v121, v234, v130, -v121
	v_dual_add_f32 v89, v89, v91 :: v_dual_fma_f32 v93, v218, v114, -v93
	v_fma_f32 v95, v220, v116, -v95
	v_dual_fma_f32 v103, v222, v118, -v103 :: v_dual_fma_f32 v105, v224, v120, -v105
	v_dual_mul_f32 v113, v230, v127 :: v_dual_mul_f32 v116, v232, v129
	v_dual_mul_f32 v119, v231, v127 :: v_dual_mul_f32 v120, v233, v129
	;; [unrolled: 1-line block ×3, first 2 shown]
	v_dual_fmac_f32 v123, v239, v134 :: v_dual_add_f32 v89, v89, v97
	s_delay_alu instid0(VALU_DEP_4) | instskip(NEXT) | instid1(VALU_DEP_4)
	v_dual_fmac_f32 v113, v231, v126 :: v_dual_fmac_f32 v116, v233, v128
	v_dual_fma_f32 v119, v230, v126, -v119 :: v_dual_fma_f32 v120, v232, v128, -v120
	s_wait_loadcnt 0x15
	v_dual_mul_f32 v126, v247, v139 :: v_dual_mul_f32 v128, v249, v141
	v_add_f32_e32 v89, v89, v99
	v_dual_mul_f32 v117, v234, v131 :: v_dual_mul_f32 v118, v236, v133
	s_wait_loadcnt 0x14
	v_dual_mul_f32 v133, v250, v143 :: v_dual_mul_f32 v135, v252, v145
	s_delay_alu instid0(VALU_DEP_3) | instskip(SKIP_1) | instid1(VALU_DEP_3)
	v_dual_add_f32 v89, v89, v101 :: v_dual_mul_f32 v129, v246, v139
	v_dual_mul_f32 v131, v248, v141 :: v_dual_mul_f32 v139, v251, v143
	v_dual_mul_f32 v141, v253, v145 :: v_dual_fmac_f32 v133, v251, v142
	s_delay_alu instid0(VALU_DEP_3) | instskip(SKIP_1) | instid1(VALU_DEP_2)
	v_dual_add_f32 v89, v89, v107 :: v_dual_fmac_f32 v117, v235, v130
	v_dual_fmac_f32 v118, v237, v132 :: v_dual_add_f32 v93, 0, v93
	v_dual_fma_f32 v122, v236, v132, -v122 :: v_dual_add_f32 v89, v89, v113
	v_dual_fmac_f32 v124, v241, v136 :: v_dual_fmac_f32 v129, v247, v138
	s_delay_alu instid0(VALU_DEP_3) | instskip(SKIP_1) | instid1(VALU_DEP_4)
	v_add_f32_e32 v93, v93, v95
	v_fmac_f32_e32 v131, v249, v140
	v_add_f32_e32 v89, v89, v116
	s_wait_loadcnt_dscnt 0x130f
	s_set_vgpr_msb 1                        ;  msbs: dst=0 src0=1 src1=0 src2=0
	v_dual_mul_f32 v137, v6 /*v262*/, v147 :: v_dual_mul_f32 v143, v8 /*v264*/, v149
	s_set_vgpr_msb 0                        ;  msbs: dst=0 src0=0 src1=0 src2=0
	v_fmac_f32_e32 v135, v253, v144
	s_set_vgpr_msb 1                        ;  msbs: dst=0 src0=1 src1=0 src2=0
	v_dual_mul_f32 v130, v7 /*v263*/, v147 :: v_dual_mul_f32 v91, v9 /*v265*/, v149
	s_set_vgpr_msb 0                        ;  msbs: dst=0 src0=0 src1=0 src2=0
	v_dual_add_f32 v89, v89, v117 :: v_dual_fma_f32 v117, v238, v134, -v125
	v_add_f32_e32 v93, v93, v103
	s_wait_loadcnt_dscnt 0x120e
	s_set_vgpr_msb 1                        ;  msbs: dst=0 src0=1 src1=0 src2=0
	v_dual_fmac_f32 v137, v7 /*v263*/, v146 :: v_dual_mul_f32 v95, v10 /*v266*/, v151
	v_mul_f32_e32 v132, v12 /*v268*/, v153
	s_set_vgpr_msb 0                        ;  msbs: dst=0 src0=0 src1=0 src2=0
	v_add_f32_e32 v89, v89, v118
	s_set_vgpr_msb 1                        ;  msbs: dst=0 src0=1 src1=0 src2=0
	v_dual_fmac_f32 v143, v9 /*v265*/, v148 :: v_dual_mul_f32 v103, v11 /*v267*/, v151
	s_wait_loadcnt_dscnt 0x110d
	v_dual_mul_f32 v99, v16 /*v272*/, v157 :: v_dual_fmac_f32 v95, v11 /*v267*/, v150
	s_set_vgpr_msb 0                        ;  msbs: dst=0 src0=0 src1=0 src2=0
	v_add_f32_e32 v89, v89, v123
	s_set_vgpr_msb 1                        ;  msbs: dst=0 src0=1 src1=0 src2=0
	v_dual_mul_f32 v97, v14 /*v270*/, v155 :: v_dual_mul_f32 v145, v13 /*v269*/, v153
	s_set_vgpr_msb 0                        ;  msbs: dst=0 src0=0 src1=0 src2=0
	v_add_f32_e32 v93, v93, v105
	s_set_vgpr_msb 1                        ;  msbs: dst=0 src0=1 src1=0 src2=0
	v_dual_fma_f32 v103, v10 /*v266*/, v150, -v103 :: v_dual_fmac_f32 v132, v13 /*v269*/, v152
	s_set_vgpr_msb 0                        ;  msbs: dst=0 src0=0 src1=0 src2=0
	v_add_f32_e32 v89, v89, v124
	s_set_vgpr_msb 1                        ;  msbs: dst=0 src0=1 src1=0 src2=0
	v_dual_mul_f32 v105, v15 /*v271*/, v155 :: v_dual_mul_f32 v147, v17 /*v273*/, v157
	s_set_vgpr_msb 0                        ;  msbs: dst=0 src0=0 src1=0 src2=0
	v_add_f32_e32 v93, v93, v109
	s_wait_loadcnt_dscnt 0x100c
	s_set_vgpr_msb 1                        ;  msbs: dst=0 src0=1 src1=0 src2=0
	v_dual_mul_f32 v149, v19 /*v275*/, v159 :: v_dual_mul_f32 v107, v21 /*v277*/, v161
	s_set_vgpr_msb 0                        ;  msbs: dst=0 src0=0 src1=0 src2=0
	v_add_f32_e32 v89, v89, v129
	s_set_vgpr_msb 1                        ;  msbs: dst=0 src0=1 src1=0 src2=0
	v_dual_fmac_f32 v97, v15 /*v271*/, v154 :: v_dual_mul_f32 v101, v18 /*v274*/, v159
	s_wait_loadcnt_dscnt 0xf0b
	v_dual_mul_f32 v109, v20 /*v276*/, v161 :: v_dual_mul_f32 v113, v23 /*v279*/, v163
	v_mul_f32_e32 v153, v25 /*v281*/, v165
	s_set_vgpr_msb 0                        ;  msbs: dst=0 src0=0 src1=0 src2=0
	v_add_f32_e32 v89, v89, v131
	s_wait_loadcnt_dscnt 0xe0a
	s_set_vgpr_msb 1                        ;  msbs: dst=0 src0=1 src1=0 src2=0
	v_mul_f32_e32 v131, v27 /*v283*/, v167
	v_dual_fmac_f32 v101, v19 /*v275*/, v158 :: v_dual_mul_f32 v155, v26 /*v282*/, v167
	v_mul_f32_e32 v116, v28 /*v284*/, v169
	s_set_vgpr_msb 0                        ;  msbs: dst=0 src0=0 src1=0 src2=0
	v_add_f32_e32 v89, v89, v133
	s_set_vgpr_msb 1                        ;  msbs: dst=0 src0=1 src1=0 src2=0
	v_dual_mul_f32 v151, v24 /*v280*/, v165 :: v_dual_fmac_f32 v109, v21 /*v277*/, v160
	s_wait_loadcnt_dscnt 0xc08
	v_mul_f32_e32 v159, v34 /*v290*/, v175
	s_wait_loadcnt_dscnt 0xb07
	v_mul_f32_e32 v125, v38 /*v294*/, v179
	s_set_vgpr_msb 0                        ;  msbs: dst=0 src0=0 src1=0 src2=0
	v_add_f32_e32 v89, v89, v135
	s_set_vgpr_msb 1                        ;  msbs: dst=0 src0=1 src1=0 src2=0
	v_fmac_f32_e32 v151, v25 /*v281*/, v164
	s_wait_loadcnt_dscnt 0xa06
	v_dual_fmac_f32 v155, v27 /*v283*/, v166 :: v_dual_mul_f32 v118, v42 /*v298*/, v183
	s_wait_loadcnt_dscnt 0x803
	v_mul_f32_e32 v124, v54 /*v310*/, v191
	s_set_vgpr_msb 0                        ;  msbs: dst=0 src0=0 src1=0 src2=0
	v_add_f32_e32 v89, v89, v137
	s_set_vgpr_msb 1                        ;  msbs: dst=0 src0=1 src1=0 src2=0
	v_dual_mul_f32 v157, v32 /*v288*/, v173 :: v_dual_mul_f32 v134, v50 /*v306*/, v187
	v_dual_mul_f32 v123, v52 /*v308*/, v189 :: v_dual_mov_b32 v114, v49 /*v305*/
	v_mov_b32_e32 v115, v48 /*v304*/
	s_set_vgpr_msb 0                        ;  msbs: dst=0 src0=0 src1=0 src2=0
	v_add_f32_e32 v89, v89, v143
	s_wait_loadcnt_dscnt 0x702
	s_set_vgpr_msb 1                        ;  msbs: dst=0 src0=1 src1=0 src2=0
	v_dual_fmac_f32 v134, v51 /*v307*/, v186 :: v_dual_mul_f32 v129, v60 /*v316*/, v197
	v_fma_f32 v91, v8 /*v264*/, v148, -v91
	v_fmac_f32_e32 v99, v17 /*v273*/, v156
	s_set_vgpr_msb 0                        ;  msbs: dst=0 src0=0 src1=0 src2=0
	v_add_f32_e32 v89, v89, v95
	s_set_vgpr_msb 1                        ;  msbs: dst=0 src0=1 src1=0 src2=0
	v_fma_f32 v95, v14 /*v270*/, v154, -v105
	v_fma_f32 v105, v24 /*v280*/, v164, -v153
	s_set_vgpr_msb 0                        ;  msbs: dst=0 src0=0 src1=0 src2=0
	v_add_f32_e32 v89, v89, v132
	s_delay_alu instid0(VALU_DEP_1)
	v_add_f32_e32 v89, v89, v97
	s_set_vgpr_msb 1                        ;  msbs: dst=0 src0=1 src1=0 src2=0
	v_fma_f32 v97, v18 /*v274*/, v158, -v149
	s_set_vgpr_msb 0                        ;  msbs: dst=0 src0=0 src1=0 src2=0
	v_add_f32_e32 v93, v93, v111
	s_set_vgpr_msb 1                        ;  msbs: dst=0 src0=1 src1=0 src2=0
	v_mul_f32_e32 v111, v22 /*v278*/, v163
	s_set_vgpr_msb 0                        ;  msbs: dst=0 src0=0 src1=0 src2=0
	v_add_f32_e32 v89, v89, v99
	s_set_vgpr_msb 1                        ;  msbs: dst=0 src0=1 src1=0 src2=0
	v_mul_f32_e32 v99, v33 /*v289*/, v173
	s_set_vgpr_msb 0                        ;  msbs: dst=0 src0=0 src1=0 src2=0
	v_dual_add_f32 v93, v93, v119 :: v_dual_fma_f32 v119, v240, v136, -v127
	s_set_vgpr_msb 1                        ;  msbs: dst=0 src0=1 src1=0 src2=0
	v_dual_fmac_f32 v111, v23 /*v279*/, v162 :: v_dual_fmac_f32 v157, v33 /*v289*/, v172
	v_fma_f32 v99, v32 /*v288*/, v172, -v99
	s_set_vgpr_msb 0                        ;  msbs: dst=0 src0=0 src1=0 src2=0
	v_add_f32_e32 v93, v93, v120
	s_set_vgpr_msb 1                        ;  msbs: dst=0 src0=1 src1=0 src2=0
	v_dual_mul_f32 v120, v30 /*v286*/, v171 :: v_dual_mul_f32 v127, v40 /*v296*/, v181
	v_fmac_f32_e32 v125, v39 /*v295*/, v178
	s_set_vgpr_msb 0                        ;  msbs: dst=0 src0=0 src1=0 src2=0
	v_add_f32_e32 v93, v93, v121
	s_set_vgpr_msb 1                        ;  msbs: dst=0 src0=1 src1=0 src2=0
	v_dual_mul_f32 v121, v36 /*v292*/, v177 :: v_dual_fmac_f32 v120, v31 /*v287*/, v170
	v_fmac_f32_e32 v159, v35 /*v291*/, v174
	s_set_vgpr_msb 0                        ;  msbs: dst=0 src0=0 src1=0 src2=0
	v_add_f32_e32 v93, v93, v122
	s_set_vgpr_msb 1                        ;  msbs: dst=0 src0=1 src1=0 src2=0
	v_dual_mul_f32 v122, v44 /*v300*/, v185 :: v_dual_fmac_f32 v118, v43 /*v299*/, v182
	s_set_vgpr_msb 0                        ;  msbs: dst=0 src0=0 src1=0 src2=0
	s_delay_alu instid0(VALU_DEP_2)
	v_dual_add_f32 v93, v93, v117 :: v_dual_fma_f32 v117, v246, v138, -v126
	s_set_vgpr_msb 1                        ;  msbs: dst=0 src0=1 src1=0 src2=0
	v_dual_mul_f32 v126, v56 /*v312*/, v193 :: v_dual_fmac_f32 v123, v53 /*v309*/, v188
	v_fmac_f32_e32 v124, v55 /*v311*/, v190
	s_set_vgpr_msb 0                        ;  msbs: dst=0 src0=0 src1=0 src2=0
	v_dual_add_f32 v93, v93, v119 :: v_dual_fma_f32 v119, v248, v140, -v128
	s_set_vgpr_msb 1                        ;  msbs: dst=0 src0=1 src1=0 src2=0
	v_mul_f32_e32 v128, v58 /*v314*/, v195
	s_set_vgpr_msb 0                        ;  msbs: dst=0 src0=0 src1=0 src2=0
	s_delay_alu instid0(VALU_DEP_2) | instskip(NEXT) | instid1(VALU_DEP_1)
	v_dual_add_f32 v93, v93, v117 :: v_dual_fma_f32 v117, v250, v142, -v139
	v_dual_add_f32 v93, v93, v119 :: v_dual_fma_f32 v119, v252, v144, -v141
	s_delay_alu instid0(VALU_DEP_1)
	v_add_f32_e32 v93, v93, v117
	s_set_vgpr_msb 1                        ;  msbs: dst=0 src0=1 src1=0 src2=0
	v_fma_f32 v117, v6 /*v262*/, v146, -v130
	s_wait_loadcnt_dscnt 0x601
	v_dual_mul_f32 v130, v62 /*v318*/, v199 :: v_dual_fmac_f32 v129, v61 /*v317*/, v196
	s_set_vgpr_msb 0                        ;  msbs: dst=0 src0=0 src1=0 src2=0
	v_add_f32_e32 v93, v93, v119
	s_set_vgpr_msb 1                        ;  msbs: dst=0 src0=1 src1=0 src2=0
	s_delay_alu instid0(VALU_DEP_2) | instskip(SKIP_1) | instid1(VALU_DEP_2)
	v_dual_fma_f32 v119, v12 /*v268*/, v152, -v145 :: v_dual_fmac_f32 v130, v63 /*v319*/, v198
	s_set_vgpr_msb 0                        ;  msbs: dst=0 src0=0 src1=0 src2=0
	v_add_f32_e32 v93, v93, v117
	s_set_vgpr_msb 1                        ;  msbs: dst=0 src0=1 src1=0 src2=0
	v_mul_f32_e32 v117, v64 /*v320*/, v201
	s_set_vgpr_msb 0                        ;  msbs: dst=0 src0=0 src1=0 src2=0
	s_delay_alu instid0(VALU_DEP_2)
	v_add_f32_e32 v91, v93, v91
	s_set_vgpr_msb 1                        ;  msbs: dst=0 src0=1 src1=0 src2=0
	v_dual_mul_f32 v93, v29 /*v285*/, v169 :: v_dual_fmac_f32 v116, v29 /*v285*/, v168
	v_fmac_f32_e32 v117, v65 /*v321*/, v200
	s_set_vgpr_msb 0                        ;  msbs: dst=0 src0=0 src1=0 src2=0
	v_add_f32_e32 v91, v91, v103
	s_set_vgpr_msb 1                        ;  msbs: dst=0 src0=1 src1=0 src2=0
	v_fma_f32 v103, v16 /*v272*/, v156, -v147
	v_fma_f32 v93, v28 /*v284*/, v168, -v93
	s_set_vgpr_msb 0                        ;  msbs: dst=0 src0=0 src1=0 src2=0
	v_add_f32_e32 v91, v91, v119
	s_wait_loadcnt 0x5
	v_mul_f32_e32 v119, v242, v203
	s_delay_alu instid0(VALU_DEP_2) | instskip(SKIP_3) | instid1(VALU_DEP_2)
	v_add_f32_e32 v91, v91, v95
	s_set_vgpr_msb 1                        ;  msbs: dst=0 src0=1 src1=0 src2=0
	v_mul_f32_e32 v95, v31 /*v287*/, v171
	s_set_vgpr_msb 0                        ;  msbs: dst=0 src0=0 src1=0 src2=0
	v_add_f32_e32 v91, v91, v103
	s_set_vgpr_msb 1                        ;  msbs: dst=0 src0=1 src1=0 src2=0
	v_fma_f32 v103, v20 /*v276*/, v160, -v107
	s_set_vgpr_msb 0                        ;  msbs: dst=0 src0=0 src1=0 src2=0
	v_add_f32_e32 v89, v89, v101
	s_set_vgpr_msb 1                        ;  msbs: dst=0 src0=1 src1=0 src2=0
	v_fma_f32 v101, v22 /*v278*/, v162, -v113
	v_fma_f32 v107, v26 /*v282*/, v166, -v131
	s_set_vgpr_msb 0                        ;  msbs: dst=0 src0=0 src1=0 src2=0
	v_add_f32_e32 v91, v91, v97
	s_set_vgpr_msb 1                        ;  msbs: dst=0 src0=1 src1=0 src2=0
	v_dual_fma_f32 v95, v30 /*v286*/, v170, -v95 :: v_dual_mul_f32 v97, v35 /*v291*/, v175
	s_set_vgpr_msb 0                        ;  msbs: dst=0 src0=0 src1=0 src2=0
	v_dual_add_f32 v89, v89, v109 :: v_dual_ashrrev_i32 v109, 31, v108
	v_add_f32_e32 v91, v91, v103
	s_set_vgpr_msb 1                        ;  msbs: dst=0 src0=1 src1=0 src2=0
	v_dual_mul_f32 v103, v37 /*v293*/, v177 :: v_dual_fma_f32 v97, v34 /*v290*/, v174, -v97
	v_fmac_f32_e32 v121, v37 /*v293*/, v176
	s_set_vgpr_msb 0                        ;  msbs: dst=0 src0=0 src1=0 src2=0
	v_dual_add_f32 v89, v89, v111 :: v_dual_add_f32 v91, v91, v101
	s_set_vgpr_msb 1                        ;  msbs: dst=0 src0=1 src1=0 src2=0
	v_dual_mul_f32 v101, v39 /*v295*/, v179 :: v_dual_fma_f32 v103, v36 /*v292*/, v176, -v103
	s_set_vgpr_msb 0                        ;  msbs: dst=0 src0=0 src1=0 src2=0
	s_delay_alu instid0(VALU_DEP_2)
	v_dual_ashrrev_i32 v111, 31, v110 :: v_dual_add_f32 v89, v89, v151
	v_add_f32_e32 v91, v91, v105
	s_set_vgpr_msb 1                        ;  msbs: dst=0 src0=1 src1=0 src2=0
	v_dual_mul_f32 v105, v41 /*v297*/, v181 :: v_dual_fma_f32 v101, v38 /*v294*/, v178, -v101
	v_fmac_f32_e32 v127, v41 /*v297*/, v180
	s_set_vgpr_msb 0                        ;  msbs: dst=0 src0=0 src1=0 src2=0
	v_add_f32_e32 v89, v89, v155
	v_add_f32_e32 v91, v91, v107
	s_set_vgpr_msb 1                        ;  msbs: dst=0 src0=1 src1=0 src2=0
	v_dual_mul_f32 v107, v43 /*v299*/, v183 :: v_dual_fma_f32 v105, v40 /*v296*/, v180, -v105
	s_set_vgpr_msb 0                        ;  msbs: dst=0 src0=0 src1=0 src2=0
	s_delay_alu instid0(VALU_DEP_2) | instskip(SKIP_1) | instid1(VALU_DEP_2)
	v_dual_add_f32 v89, v89, v116 :: v_dual_add_f32 v91, v91, v93
	s_set_vgpr_msb 1                        ;  msbs: dst=0 src0=1 src1=0 src2=0
	v_dual_mul_f32 v93, v45 /*v301*/, v185 :: v_dual_fma_f32 v107, v42 /*v298*/, v182, -v107
	v_fmac_f32_e32 v122, v45 /*v301*/, v184
	s_set_vgpr_msb 0                        ;  msbs: dst=0 src0=0 src1=0 src2=0
	v_add_f32_e32 v91, v91, v95
	s_set_vgpr_msb 1                        ;  msbs: dst=0 src0=1 src1=0 src2=0
	v_dual_mul_f32 v95, v51 /*v307*/, v187 :: v_dual_fma_f32 v93, v44 /*v300*/, v184, -v93
	s_set_vgpr_msb 0                        ;  msbs: dst=0 src0=0 src1=0 src2=0
	s_delay_alu instid0(VALU_DEP_2) | instskip(SKIP_1) | instid1(VALU_DEP_2)
	v_add_f32_e32 v91, v91, v99
	s_set_vgpr_msb 1                        ;  msbs: dst=0 src0=1 src1=0 src2=0
	v_dual_mul_f32 v99, v53 /*v309*/, v189 :: v_dual_fma_f32 v95, v50 /*v306*/, v186, -v95
	s_set_vgpr_msb 0                        ;  msbs: dst=0 src0=0 src1=0 src2=0
	s_delay_alu instid0(VALU_DEP_2) | instskip(SKIP_1) | instid1(VALU_DEP_2)
	v_add_f32_e32 v91, v91, v97
	s_set_vgpr_msb 1                        ;  msbs: dst=0 src0=1 src1=0 src2=0
	v_dual_mul_f32 v97, v55 /*v311*/, v191 :: v_dual_fma_f32 v99, v52 /*v308*/, v188, -v99
	s_set_vgpr_msb 0                        ;  msbs: dst=0 src0=0 src1=0 src2=0
	s_delay_alu instid0(VALU_DEP_2) | instskip(SKIP_1) | instid1(VALU_DEP_2)
	v_add_f32_e32 v91, v91, v103
	s_set_vgpr_msb 1                        ;  msbs: dst=0 src0=1 src1=0 src2=0
	v_dual_mul_f32 v103, v57 /*v313*/, v193 :: v_dual_fma_f32 v97, v54 /*v310*/, v190, -v97
	v_fmac_f32_e32 v126, v57 /*v313*/, v192
	s_set_vgpr_msb 0                        ;  msbs: dst=0 src0=0 src1=0 src2=0
	v_add_f32_e32 v91, v91, v101
	s_set_vgpr_msb 1                        ;  msbs: dst=0 src0=1 src1=0 src2=0
	v_dual_mul_f32 v101, v59 /*v315*/, v195 :: v_dual_fmac_f32 v128, v59 /*v315*/, v194
	s_set_vgpr_msb 0                        ;  msbs: dst=0 src0=0 src1=0 src2=0
	s_delay_alu instid0(VALU_DEP_2) | instskip(SKIP_3) | instid1(VALU_DEP_2)
	v_add_f32_e32 v91, v91, v105
	s_set_vgpr_msb 1                        ;  msbs: dst=0 src0=1 src1=0 src2=0
	v_mul_f32_e32 v105, v61 /*v317*/, v197
	s_set_vgpr_msb 0                        ;  msbs: dst=0 src0=0 src1=0 src2=0
	v_add_f32_e32 v91, v91, v107
	s_set_vgpr_msb 1                        ;  msbs: dst=0 src0=1 src1=0 src2=0
	v_mul_f32_e32 v107, v63 /*v319*/, v199
	s_set_vgpr_msb 0                        ;  msbs: dst=0 src0=0 src1=0 src2=0
	s_delay_alu instid0(VALU_DEP_2) | instskip(SKIP_3) | instid1(VALU_DEP_2)
	v_add_f32_e32 v91, v91, v93
	s_set_vgpr_msb 1                        ;  msbs: dst=0 src0=1 src1=0 src2=0
	v_mul_f32_e32 v93, v65 /*v321*/, v201
	s_set_vgpr_msb 0                        ;  msbs: dst=0 src0=0 src1=0 src2=0
	v_add_f32_e32 v91, v91, v95
	v_mul_f32_e32 v95, v243, v203
	s_set_vgpr_msb 1                        ;  msbs: dst=0 src0=1 src1=0 src2=0
	v_fma_f32 v116, v64 /*v320*/, v200, -v93
	s_set_vgpr_msb 0                        ;  msbs: dst=0 src0=0 src1=0 src2=0
	v_dual_ashrrev_i32 v93, 31, v92 :: v_dual_add_f32 v91, v91, v99
	s_set_vgpr_msb 1                        ;  msbs: dst=0 src0=1 src1=0 src2=0
	v_dual_fma_f32 v99, v56 /*v312*/, v192, -v103 :: v_dual_ashrrev_i32 v103, 31, v102
	s_set_vgpr_msb 0                        ;  msbs: dst=0 src0=0 src1=0 src2=0
	s_delay_alu instid0(VALU_DEP_2) | instskip(SKIP_3) | instid1(VALU_DEP_2)
	v_add_f32_e32 v91, v91, v97
	s_set_vgpr_msb 1                        ;  msbs: dst=0 src0=1 src1=0 src2=0
	v_dual_fma_f32 v97, v58 /*v314*/, v194, -v101 :: v_dual_ashrrev_i32 v101, 31, v100
	s_set_vgpr_msb 0                        ;  msbs: dst=0 src0=0 src1=0 src2=0
	v_add_f32_e32 v91, v91, v99
	s_set_vgpr_msb 1                        ;  msbs: dst=0 src0=1 src1=0 src2=0
	v_fma_f32 v99, v60 /*v316*/, v196, -v105
	s_set_vgpr_msb 0                        ;  msbs: dst=0 src0=0 src1=0 src2=0
	s_delay_alu instid0(VALU_DEP_2) | instskip(SKIP_3) | instid1(VALU_DEP_2)
	v_dual_ashrrev_i32 v105, 31, v104 :: v_dual_add_f32 v91, v91, v97
	s_set_vgpr_msb 1                        ;  msbs: dst=0 src0=1 src1=0 src2=0
	v_fma_f32 v97, v62 /*v318*/, v198, -v107
	s_set_vgpr_msb 0                        ;  msbs: dst=0 src0=0 src1=0 src2=0
	v_dual_ashrrev_i32 v107, 31, v106 :: v_dual_add_f32 v91, v91, v99
	v_dual_ashrrev_i32 v99, 31, v98 :: v_dual_add_f32 v89, v89, v120
	s_delay_alu instid0(VALU_DEP_1) | instskip(NEXT) | instid1(VALU_DEP_1)
	v_add_f32_e32 v89, v89, v157
	v_add_f32_e32 v89, v89, v159
	s_delay_alu instid0(VALU_DEP_1) | instskip(SKIP_2) | instid1(VALU_DEP_2)
	v_add_f32_e32 v89, v89, v121
	s_wait_loadcnt 0x4
	v_pk_mul_f32 v[120:121], v[254:255], v[206:207] op_sel:[1,1] op_sel_hi:[0,1]
	v_add_f32_e32 v89, v89, v125
	s_delay_alu instid0(VALU_DEP_1) | instskip(NEXT) | instid1(VALU_DEP_1)
	v_add_f32_e32 v89, v89, v127
	v_add_f32_e32 v89, v89, v118
	v_mov_b32_e32 v118, v205
	s_delay_alu instid0(VALU_DEP_2) | instskip(SKIP_1) | instid1(VALU_DEP_2)
	v_add_f32_e32 v89, v89, v122
	v_mov_b32_e32 v122, v209
	v_add_f32_e32 v89, v89, v134
	s_delay_alu instid0(VALU_DEP_1) | instskip(SKIP_1) | instid1(VALU_DEP_3)
	v_add_f32_e32 v89, v89, v123
	s_set_vgpr_msb 1                        ;  msbs: dst=0 src0=1 src1=0 src2=0
	v_pk_mul_f32 v[122:123], v[74:75] /*v[330:331]*/, v[122:123] op_sel_hi:[1,0]
	s_set_vgpr_msb 0                        ;  msbs: dst=0 src0=0 src1=0 src2=0
	s_delay_alu instid0(VALU_DEP_2)
	v_add_f32_e32 v89, v89, v124
	s_wait_loadcnt 0x3
	s_set_vgpr_msb 1                        ;  msbs: dst=0 src0=1 src1=0 src2=0
	v_pk_mul_f32 v[124:125], v[2:3] /*v[258:259]*/, v[210:211] op_sel:[1,1] op_sel_hi:[0,1]
	s_set_vgpr_msb 0                        ;  msbs: dst=0 src0=0 src1=0 src2=0
	v_add_f32_e32 v89, v89, v126
	s_set_vgpr_msb 1                        ;  msbs: dst=0 src0=1 src1=0 src2=0
	v_pk_mul_f32 v[126:127], v[72:73] /*v[328:329]*/, v[118:119] op_sel_hi:[1,0]
	s_set_vgpr_msb 0                        ;  msbs: dst=0 src0=0 src1=0 src2=0
	v_fmac_f32_e32 v119, v243, v202
	v_fma_f32 v118, v242, v202, -v95
	v_dual_ashrrev_i32 v95, 31, v94 :: v_dual_add_f32 v89, v89, v128
	v_add_f32_e32 v128, v91, v97
	v_pk_fma_f32 v[132:133], v[244:245], v[204:205], v[126:127] op_sel_hi:[1,0,1]
	v_pk_fma_f32 v[126:127], v[244:245], v[204:205], v[126:127] neg_lo:[0,0,1] neg_hi:[0,0,1]
	s_delay_alu instid0(VALU_DEP_4) | instskip(NEXT) | instid1(VALU_DEP_3)
	v_dual_ashrrev_i32 v91, 31, v90 :: v_dual_add_f32 v89, v89, v129
	v_dual_ashrrev_i32 v97, 31, v96 :: v_dual_mov_b32 v127, v133
	s_delay_alu instid0(VALU_DEP_2) | instskip(SKIP_1) | instid1(VALU_DEP_2)
	v_dual_add_f32 v129, v89, v130 :: v_dual_ashrrev_i32 v89, 31, v88
	v_mov_b32_e32 v130, v213
	v_pk_add_f32 v[116:117], v[128:129], v[116:117]
	v_pk_fma_f32 v[128:129], v[254:255], v[206:207], v[120:121] op_sel_hi:[1,0,1]
	v_pk_fma_f32 v[120:121], v[254:255], v[206:207], v[120:121] neg_lo:[0,0,1] neg_hi:[0,0,1]
	s_set_vgpr_msb 1                        ;  msbs: dst=0 src0=1 src1=0 src2=0
	v_pk_mul_f32 v[130:131], v[76:77] /*v[332:333]*/, v[130:131] op_sel_hi:[1,0]
	s_set_vgpr_msb 0                        ;  msbs: dst=0 src0=0 src1=0 src2=0
	v_pk_add_f32 v[116:117], v[116:117], v[118:119]
	v_mov_b32_e32 v121, v129
	s_set_vgpr_msb 1                        ;  msbs: dst=0 src0=1 src1=0 src2=0
	v_pk_fma_f32 v[128:129], v[0:1] /*v[256:257]*/, v[208:209], v[122:123] op_sel_hi:[1,0,1]
	v_pk_fma_f32 v[122:123], v[0:1] /*v[256:257]*/, v[208:209], v[122:123] neg_lo:[0,0,1] neg_hi:[0,0,1]
	s_wait_loadcnt 0x2
	v_pk_mul_f32 v[118:119], v[46:47] /*v[302:303]*/, v[214:215] op_sel:[1,1] op_sel_hi:[0,1]
	s_set_vgpr_msb 0                        ;  msbs: dst=0 src0=0 src1=0 src2=0
	v_pk_add_f32 v[116:117], v[116:117], v[126:127]
	s_set_vgpr_msb 1                        ;  msbs: dst=0 src0=1 src1=0 src2=0
	v_pk_fma_f32 v[126:127], v[2:3] /*v[258:259]*/, v[210:211], v[124:125] op_sel_hi:[1,0,1]
	s_set_vgpr_msb 0                        ;  msbs: dst=0 src0=0 src1=0 src2=0
	v_mov_b32_e32 v123, v129
	s_set_vgpr_msb 1                        ;  msbs: dst=0 src0=1 src1=0 src2=0
	v_pk_fma_f32 v[124:125], v[2:3] /*v[258:259]*/, v[210:211], v[124:125] neg_lo:[0,0,1] neg_hi:[0,0,1]
	s_set_vgpr_msb 0                        ;  msbs: dst=0 src0=0 src1=0 src2=0
	v_pk_add_f32 v[116:117], v[116:117], v[120:121]
	v_dual_mov_b32 v120, v217 :: v_dual_mov_b32 v125, v127
	s_set_vgpr_msb 1                        ;  msbs: dst=0 src0=1 src1=0 src2=0
	v_pk_fma_f32 v[126:127], v[4:5] /*v[260:261]*/, v[212:213], v[130:131] op_sel_hi:[1,0,1]
	s_set_vgpr_msb 0                        ;  msbs: dst=0 src0=0 src1=0 src2=0
	v_pk_add_f32 v[116:117], v[116:117], v[122:123]
	v_pk_mul_f32 v[114:115], v[114:115], v[120:121] op_sel_hi:[1,0]
	s_set_vgpr_msb 1                        ;  msbs: dst=0 src0=1 src1=0 src2=0
	v_pk_fma_f32 v[120:121], v[4:5] /*v[260:261]*/, v[212:213], v[130:131] neg_lo:[0,0,1] neg_hi:[0,0,1]
	v_pk_fma_f32 v[122:123], v[46:47] /*v[302:303]*/, v[214:215], v[118:119] op_sel_hi:[1,0,1]
	s_set_vgpr_msb 0                        ;  msbs: dst=0 src0=0 src1=0 src2=0
	v_mov_b32_e32 v121, v127
	v_pk_add_f32 v[116:117], v[116:117], v[124:125]
	s_set_vgpr_msb 1                        ;  msbs: dst=0 src0=1 src1=0 src2=0
	v_pk_fma_f32 v[118:119], v[46:47] /*v[302:303]*/, v[214:215], v[118:119] neg_lo:[0,0,1] neg_hi:[0,0,1]
	s_set_vgpr_msb 0                        ;  msbs: dst=0 src0=0 src1=0 src2=0
	v_mov_b32_e32 v119, v123
	s_set_vgpr_msb 1                        ;  msbs: dst=0 src0=1 src1=0 src2=0
	v_pk_fma_f32 v[122:123], v[48:49] /*v[304:305]*/, v[216:217], v[114:115] op_sel_hi:[1,0,1]
	s_set_vgpr_msb 0                        ;  msbs: dst=0 src0=0 src1=0 src2=0
	v_pk_add_f32 v[116:117], v[116:117], v[120:121]
	s_wait_loadcnt_dscnt 0x100
	s_set_vgpr_msb 5                        ;  msbs: dst=0 src0=1 src1=1 src2=0
	v_pk_mul_f32 v[120:121], v[70:71] /*v[326:327]*/, v[66:67] /*v[322:323]*/ op_sel:[1,1] op_sel_hi:[0,1]
	s_set_vgpr_msb 1                        ;  msbs: dst=0 src0=1 src1=0 src2=0
	v_pk_fma_f32 v[114:115], v[48:49] /*v[304:305]*/, v[216:217], v[114:115] neg_lo:[0,0,1] neg_hi:[0,0,1]
	s_set_vgpr_msb 0                        ;  msbs: dst=0 src0=0 src1=0 src2=0
	v_mov_b32_e32 v115, v123
	v_pk_add_f32 v[116:117], v[116:117], v[118:119]
	s_set_vgpr_msb 5                        ;  msbs: dst=0 src0=1 src1=1 src2=0
	v_pk_fma_f32 v[118:119], v[70:71] /*v[326:327]*/, v[66:67] /*v[322:323]*/, v[120:121] op_sel_hi:[1,0,1]
	v_pk_fma_f32 v[120:121], v[70:71] /*v[326:327]*/, v[66:67] /*v[322:323]*/, v[120:121] neg_lo:[0,0,1] neg_hi:[0,0,1]
	s_set_vgpr_msb 0                        ;  msbs: dst=0 src0=0 src1=0 src2=0
	v_pk_add_f32 v[114:115], v[116:117], v[114:115]
	s_delay_alu instid0(VALU_DEP_3) | instskip(NEXT) | instid1(VALU_DEP_1)
	v_mov_b32_e32 v121, v119
	v_pk_add_f32 v[114:115], v[114:115], v[120:121]
	s_wait_loadcnt 0x0
	s_set_vgpr_msb 1                        ;  msbs: dst=0 src0=1 src1=0 src2=0
	s_delay_alu instid0(VALU_DEP_1)
	v_pk_add_f32 v[114:115], v[68:69] /*v[324:325]*/, v[114:115] neg_lo:[0,1] neg_hi:[0,1]
	scratch_store_b64 off, v[114:115], off offset:8
	s_wait_xcnt 0x0
	v_cmpx_ne_u32_e32 0, v0
	s_set_vgpr_msb 0                        ;  msbs: dst=0 src0=0 src1=0 src2=0
	s_cbranch_execz .LBB118_343
; %bb.342:
	scratch_load_b64 v[114:115], off, off
	v_mov_b64_e32 v[116:117], 0
	scratch_store_b64 off, v[116:117], off
	s_wait_loadcnt 0x0
	ds_store_b64 v1, v[114:115]
.LBB118_343:
	s_wait_xcnt 0x0
	s_or_b32 exec_lo, exec_lo, s0
	s_wait_storecnt_dscnt 0x0
	s_barrier_signal -1
	s_barrier_wait -1
	s_clause 0xf
	scratch_load_b128 v[118:121], off, off offset:8
	scratch_load_b128 v[126:129], off, off offset:24
	;; [unrolled: 1-line block ×16, first 2 shown]
	ds_load_2addr_b64 v[114:117], v112 offset0:57 offset1:58
	ds_load_2addr_b64 v[122:125], v112 offset0:59 offset1:60
	s_clause 0x1
	scratch_load_b128 v[246:249], off, off offset:264
	scratch_load_b128 v[254:257], off, off offset:280
	ds_load_2addr_b64 v[130:133], v112 offset0:61 offset1:62
	ds_load_2addr_b64 v[138:141], v112 offset0:63 offset1:64
	s_set_vgpr_msb 64                       ;  msbs: dst=1 src0=0 src1=0 src2=0
	s_clause 0x1
	scratch_load_b128 v[6:9] /*v[262:265]*/, off, off offset:296
	scratch_load_b128 v[14:17] /*v[270:273]*/, off, off offset:312
	s_set_vgpr_msb 0                        ;  msbs: dst=0 src0=0 src1=0 src2=0
	ds_load_2addr_b64 v[146:149], v112 offset0:65 offset1:66
	ds_load_2addr_b64 v[154:157], v112 offset0:67 offset1:68
	s_set_vgpr_msb 64                       ;  msbs: dst=1 src0=0 src1=0 src2=0
	s_clause 0x1
	scratch_load_b128 v[22:25] /*v[278:281]*/, off, off offset:328
	scratch_load_b128 v[30:33] /*v[286:289]*/, off, off offset:344
	s_set_vgpr_msb 0                        ;  msbs: dst=0 src0=0 src1=0 src2=0
	ds_load_2addr_b64 v[162:165], v112 offset0:69 offset1:70
	ds_load_2addr_b64 v[170:173], v112 offset0:71 offset1:72
	;; [unrolled: 1-line block ×12, first 2 shown]
	s_set_vgpr_msb 64                       ;  msbs: dst=1 src0=0 src1=0 src2=0
	ds_load_2addr_b64 v[2:5] /*v[258:261]*/, v112 offset0:93 offset1:94
	ds_load_2addr_b64 v[10:13] /*v[266:269]*/, v112 offset0:95 offset1:96
	;; [unrolled: 1-line block ×5, first 2 shown]
	s_clause 0x4
	scratch_load_b128 v[38:41] /*v[294:297]*/, off, off offset:360
	scratch_load_b128 v[42:45] /*v[298:301]*/, off, off offset:376
	;; [unrolled: 1-line block ×5, first 2 shown]
	s_and_b32 vcc_lo, exec_lo, s12
	s_wait_loadcnt_dscnt 0x1a16
	s_set_vgpr_msb 0                        ;  msbs: dst=0 src0=0 src1=0 src2=0
	v_dual_mul_f32 v0, v114, v119 :: v_dual_mul_f32 v1, v116, v121
	s_delay_alu instid0(VALU_DEP_1) | instskip(NEXT) | instid1(VALU_DEP_2)
	v_dual_mul_f32 v113, v117, v121 :: v_dual_fmac_f32 v0, v115, v118
	v_fmac_f32_e32 v1, v117, v120
	s_delay_alu instid0(VALU_DEP_2) | instskip(NEXT) | instid1(VALU_DEP_3)
	v_fma_f32 v113, v116, v120, -v113
	v_add_f32_e32 v0, 0, v0
	s_wait_loadcnt_dscnt 0x1915
	s_delay_alu instid0(VALU_DEP_1) | instskip(NEXT) | instid1(VALU_DEP_1)
	v_dual_add_f32 v0, v0, v1 :: v_dual_mul_f32 v1, v122, v127
	v_fmac_f32_e32 v1, v123, v126
	s_delay_alu instid0(VALU_DEP_1) | instskip(SKIP_1) | instid1(VALU_DEP_1)
	v_add_f32_e32 v0, v0, v1
	v_mul_f32_e32 v1, v124, v129
	v_fmac_f32_e32 v1, v125, v128
	s_wait_loadcnt_dscnt 0x1814
	s_delay_alu instid0(VALU_DEP_1) | instskip(NEXT) | instid1(VALU_DEP_1)
	v_dual_add_f32 v0, v0, v1 :: v_dual_mul_f32 v1, v130, v135
	v_fmac_f32_e32 v1, v131, v134
	s_wait_loadcnt_dscnt 0x400
	s_set_vgpr_msb 0x45                     ;  msbs: dst=1 src0=1 src1=1 src2=0
	v_dual_mul_f32 v59 /*v315*/, v34 /*v290*/, v39 /*v295*/ :: v_dual_mul_f32 v61 /*v317*/, v36 /*v292*/, v41 /*v297*/
	s_set_vgpr_msb 0                        ;  msbs: dst=0 src0=0 src1=0 src2=0
	v_add_f32_e32 v0, v0, v1
	v_mul_f32_e32 v1, v132, v137
	s_set_vgpr_msb 0x45                     ;  msbs: dst=1 src0=1 src1=1 src2=0
	v_dual_fmac_f32 v59 /*v315*/, v35 /*v291*/, v38 /*v294*/ :: v_dual_fmac_f32 v61 /*v317*/, v37 /*v293*/, v40 /*v296*/
	s_set_vgpr_msb 0                        ;  msbs: dst=0 src0=0 src1=0 src2=0
	s_delay_alu instid0(VALU_DEP_2) | instskip(NEXT) | instid1(VALU_DEP_1)
	v_fmac_f32_e32 v1, v133, v136
	v_dual_add_f32 v0, v0, v1 :: v_dual_mul_f32 v1, v138, v143
	s_delay_alu instid0(VALU_DEP_1) | instskip(NEXT) | instid1(VALU_DEP_1)
	v_fmac_f32_e32 v1, v139, v142
	v_add_f32_e32 v0, v0, v1
	v_mul_f32_e32 v1, v140, v145
	s_delay_alu instid0(VALU_DEP_1) | instskip(NEXT) | instid1(VALU_DEP_1)
	v_fmac_f32_e32 v1, v141, v144
	v_dual_add_f32 v0, v0, v1 :: v_dual_mul_f32 v1, v146, v151
	s_delay_alu instid0(VALU_DEP_1) | instskip(NEXT) | instid1(VALU_DEP_1)
	v_fmac_f32_e32 v1, v147, v150
	v_add_f32_e32 v0, v0, v1
	v_mul_f32_e32 v1, v148, v153
	s_delay_alu instid0(VALU_DEP_1) | instskip(NEXT) | instid1(VALU_DEP_1)
	;; [unrolled: 7-line block ×14, first 2 shown]
	v_fmac_f32_e32 v1, v245, v248
	v_dual_add_f32 v0, v0, v1 :: v_dual_mul_f32 v1, v250, v255
	s_delay_alu instid0(VALU_DEP_1) | instskip(NEXT) | instid1(VALU_DEP_1)
	v_fmac_f32_e32 v1, v251, v254
	v_add_f32_e32 v0, v0, v1
	s_set_vgpr_msb 4                        ;  msbs: dst=0 src0=0 src1=1 src2=0
	v_mul_f32_e32 v1, v252, v1 /*v257*/
	s_delay_alu instid0(VALU_DEP_1) | instskip(SKIP_1) | instid1(VALU_DEP_1)
	v_fmac_f32_e32 v1, v253, v0 /*v256*/
	s_set_vgpr_msb 0                        ;  msbs: dst=0 src0=0 src1=0 src2=0
	v_add_f32_e32 v0, v0, v1
	s_set_vgpr_msb 5                        ;  msbs: dst=0 src0=1 src1=1 src2=0
	v_mul_f32_e32 v1, v2 /*v258*/, v7 /*v263*/
	s_delay_alu instid0(VALU_DEP_1) | instskip(SKIP_1) | instid1(VALU_DEP_1)
	v_fmac_f32_e32 v1, v3 /*v259*/, v6 /*v262*/
	s_set_vgpr_msb 0                        ;  msbs: dst=0 src0=0 src1=0 src2=0
	v_add_f32_e32 v0, v0, v1
	s_set_vgpr_msb 5                        ;  msbs: dst=0 src0=1 src1=1 src2=0
	v_mul_f32_e32 v1, v4 /*v260*/, v9 /*v265*/
	s_delay_alu instid0(VALU_DEP_1) | instskip(SKIP_1) | instid1(VALU_DEP_1)
	v_fmac_f32_e32 v1, v5 /*v261*/, v8 /*v264*/
	s_set_vgpr_msb 0                        ;  msbs: dst=0 src0=0 src1=0 src2=0
	v_add_f32_e32 v0, v0, v1
	s_set_vgpr_msb 5                        ;  msbs: dst=0 src0=1 src1=1 src2=0
	v_mul_f32_e32 v1, v10 /*v266*/, v15 /*v271*/
	s_delay_alu instid0(VALU_DEP_1) | instskip(SKIP_1) | instid1(VALU_DEP_1)
	v_fmac_f32_e32 v1, v11 /*v267*/, v14 /*v270*/
	s_set_vgpr_msb 0                        ;  msbs: dst=0 src0=0 src1=0 src2=0
	v_add_f32_e32 v0, v0, v1
	s_set_vgpr_msb 5                        ;  msbs: dst=0 src0=1 src1=1 src2=0
	v_mul_f32_e32 v1, v12 /*v268*/, v17 /*v273*/
	s_delay_alu instid0(VALU_DEP_1) | instskip(SKIP_1) | instid1(VALU_DEP_1)
	v_fmac_f32_e32 v1, v13 /*v269*/, v16 /*v272*/
	s_set_vgpr_msb 0                        ;  msbs: dst=0 src0=0 src1=0 src2=0
	v_add_f32_e32 v0, v0, v1
	s_set_vgpr_msb 5                        ;  msbs: dst=0 src0=1 src1=1 src2=0
	v_mul_f32_e32 v1, v18 /*v274*/, v23 /*v279*/
	s_delay_alu instid0(VALU_DEP_1) | instskip(SKIP_1) | instid1(VALU_DEP_1)
	v_fmac_f32_e32 v1, v19 /*v275*/, v22 /*v278*/
	s_set_vgpr_msb 0                        ;  msbs: dst=0 src0=0 src1=0 src2=0
	v_add_f32_e32 v0, v0, v1
	s_set_vgpr_msb 5                        ;  msbs: dst=0 src0=1 src1=1 src2=0
	v_mul_f32_e32 v1, v20 /*v276*/, v25 /*v281*/
	s_delay_alu instid0(VALU_DEP_1) | instskip(SKIP_1) | instid1(VALU_DEP_1)
	v_fmac_f32_e32 v1, v21 /*v277*/, v24 /*v280*/
	s_set_vgpr_msb 0                        ;  msbs: dst=0 src0=0 src1=0 src2=0
	v_add_f32_e32 v0, v0, v1
	s_set_vgpr_msb 5                        ;  msbs: dst=0 src0=1 src1=1 src2=0
	v_mul_f32_e32 v1, v26 /*v282*/, v31 /*v287*/
	s_delay_alu instid0(VALU_DEP_1) | instskip(SKIP_1) | instid1(VALU_DEP_1)
	v_fmac_f32_e32 v1, v27 /*v283*/, v30 /*v286*/
	s_set_vgpr_msb 0                        ;  msbs: dst=0 src0=0 src1=0 src2=0
	v_add_f32_e32 v0, v0, v1
	s_set_vgpr_msb 5                        ;  msbs: dst=0 src0=1 src1=1 src2=0
	v_mul_f32_e32 v1, v28 /*v284*/, v33 /*v289*/
	s_delay_alu instid0(VALU_DEP_1) | instskip(SKIP_1) | instid1(VALU_DEP_1)
	v_fmac_f32_e32 v1, v29 /*v285*/, v32 /*v288*/
	s_set_vgpr_msb 0                        ;  msbs: dst=0 src0=0 src1=0 src2=0
	v_dual_add_f32 v1, v0, v1 :: v_dual_mul_f32 v0, v115, v119
	s_delay_alu instid0(VALU_DEP_1) | instskip(NEXT) | instid1(VALU_DEP_1)
	v_fma_f32 v0, v114, v118, -v0
	v_add_f32_e32 v0, 0, v0
	s_delay_alu instid0(VALU_DEP_1) | instskip(NEXT) | instid1(VALU_DEP_1)
	v_dual_add_f32 v0, v0, v113 :: v_dual_mul_f32 v113, v123, v127
	v_fma_f32 v113, v122, v126, -v113
	s_delay_alu instid0(VALU_DEP_1) | instskip(SKIP_1) | instid1(VALU_DEP_1)
	v_add_f32_e32 v0, v0, v113
	v_mul_f32_e32 v113, v125, v129
	v_fma_f32 v113, v124, v128, -v113
	ds_load_2addr_b64 v[114:117], v112 offset0:103 offset1:104
	ds_load_2addr_b64 v[118:121], v112 offset0:105 offset1:106
	ds_load_2addr_b64 v[122:125], v112 offset0:107 offset1:108
	ds_load_2addr_b64 v[126:129], v112 offset0:109 offset1:110
	v_dual_add_f32 v0, v0, v113 :: v_dual_mul_f32 v113, v131, v135
	s_delay_alu instid0(VALU_DEP_1) | instskip(NEXT) | instid1(VALU_DEP_1)
	v_fma_f32 v113, v130, v134, -v113
	v_add_f32_e32 v0, v0, v113
	v_mul_f32_e32 v113, v133, v137
	s_delay_alu instid0(VALU_DEP_1) | instskip(NEXT) | instid1(VALU_DEP_1)
	v_fma_f32 v113, v132, v136, -v113
	v_dual_add_f32 v0, v0, v113 :: v_dual_mul_f32 v113, v139, v143
	s_delay_alu instid0(VALU_DEP_1) | instskip(NEXT) | instid1(VALU_DEP_1)
	v_fma_f32 v113, v138, v142, -v113
	v_add_f32_e32 v0, v0, v113
	v_mul_f32_e32 v113, v141, v145
	s_delay_alu instid0(VALU_DEP_1) | instskip(NEXT) | instid1(VALU_DEP_1)
	v_fma_f32 v113, v140, v144, -v113
	;; [unrolled: 7-line block ×15, first 2 shown]
	v_dual_add_f32 v0, v0, v113 :: v_dual_mul_f32 v113, v251, v255
	s_delay_alu instid0(VALU_DEP_1) | instskip(NEXT) | instid1(VALU_DEP_1)
	v_fma_f32 v113, v250, v254, -v113
	v_add_f32_e32 v0, v0, v113
	s_set_vgpr_msb 4                        ;  msbs: dst=0 src0=0 src1=1 src2=0
	v_mul_f32_e32 v113, v253, v1 /*v257*/
	s_delay_alu instid0(VALU_DEP_1) | instskip(SKIP_1) | instid1(VALU_DEP_1)
	v_fma_f32 v113, v252, v0 /*v256*/, -v113
	s_set_vgpr_msb 0                        ;  msbs: dst=0 src0=0 src1=0 src2=0
	v_add_f32_e32 v0, v0, v113
	s_set_vgpr_msb 5                        ;  msbs: dst=0 src0=1 src1=1 src2=0
	v_mul_f32_e32 v113, v3 /*v259*/, v7 /*v263*/
	s_delay_alu instid0(VALU_DEP_1) | instskip(SKIP_1) | instid1(VALU_DEP_1)
	v_fma_f32 v113, v2 /*v258*/, v6 /*v262*/, -v113
	s_set_vgpr_msb 0                        ;  msbs: dst=0 src0=0 src1=0 src2=0
	v_add_f32_e32 v0, v0, v113
	s_set_vgpr_msb 5                        ;  msbs: dst=0 src0=1 src1=1 src2=0
	v_mul_f32_e32 v113, v5 /*v261*/, v9 /*v265*/
	s_delay_alu instid0(VALU_DEP_1) | instskip(SKIP_1) | instid1(VALU_DEP_1)
	v_fma_f32 v113, v4 /*v260*/, v8 /*v264*/, -v113
	;; [unrolled: 6-line block ×8, first 2 shown]
	s_set_vgpr_msb 0                        ;  msbs: dst=0 src0=0 src1=0 src2=0
	v_add_f32_e32 v0, v0, v113
	s_set_vgpr_msb 5                        ;  msbs: dst=0 src0=1 src1=1 src2=0
	v_mul_f32_e32 v113, v35 /*v291*/, v39 /*v295*/
	s_set_vgpr_msb 0x45                     ;  msbs: dst=1 src0=1 src1=1 src2=0
	s_delay_alu instid0(VALU_DEP_1) | instskip(SKIP_3) | instid1(VALU_DEP_1)
	v_fma_f32 v58 /*v314*/, v34 /*v290*/, v38 /*v294*/, -v113
	s_set_vgpr_msb 5                        ;  msbs: dst=0 src0=1 src1=1 src2=0
	v_mul_f32_e32 v113, v37 /*v293*/, v41 /*v297*/
	s_set_vgpr_msb 0x45                     ;  msbs: dst=1 src0=1 src1=1 src2=0
	v_fma_f32 v60 /*v316*/, v36 /*v292*/, v40 /*v296*/, -v113
	s_wait_loadcnt_dscnt 0x303
	s_set_vgpr_msb 4                        ;  msbs: dst=0 src0=0 src1=1 src2=0
	v_pk_mul_f32 v[112:113], v[114:115], v[42:43] /*v[298:299]*/ op_sel:[1,1] op_sel_hi:[0,1]
	v_pk_add_f32 v[0:1], v[0:1], v[58:59] /*v[314:315]*/
	s_delay_alu instid0(VALU_DEP_2)
	v_pk_fma_f32 v[130:131], v[114:115], v[42:43] /*v[298:299]*/, v[112:113] neg_lo:[0,0,1] neg_hi:[0,0,1]
	v_pk_fma_f32 v[112:113], v[114:115], v[42:43] /*v[298:299]*/, v[112:113] op_sel_hi:[1,0,1]
	v_mov_b32_e32 v112, v117
	s_set_vgpr_msb 1                        ;  msbs: dst=0 src0=1 src1=0 src2=0
	v_mov_b32_e32 v114, v45 /*v301*/
	s_set_vgpr_msb 4                        ;  msbs: dst=0 src0=0 src1=1 src2=0
	v_pk_add_f32 v[0:1], v[0:1], v[60:61] /*v[316:317]*/
	v_dual_mov_b32 v131, v113 :: v_dual_mov_b32 v113, v116
	s_set_vgpr_msb 0                        ;  msbs: dst=0 src0=0 src1=0 src2=0
	s_delay_alu instid0(VALU_DEP_1) | instskip(NEXT) | instid1(VALU_DEP_2)
	v_pk_add_f32 v[0:1], v[0:1], v[130:131]
	v_pk_mul_f32 v[112:113], v[112:113], v[114:115] op_sel_hi:[1,0]
	s_set_vgpr_msb 4                        ;  msbs: dst=0 src0=0 src1=1 src2=0
	s_delay_alu instid0(VALU_DEP_1) | instskip(SKIP_1) | instid1(VALU_DEP_1)
	v_pk_fma_f32 v[114:115], v[116:117], v[44:45] /*v[300:301]*/, v[112:113] neg_lo:[0,0,1] neg_hi:[0,0,1]
	v_pk_fma_f32 v[112:113], v[116:117], v[44:45] /*v[300:301]*/, v[112:113] op_sel_hi:[1,0,1]
	v_mov_b32_e32 v115, v113
	s_wait_loadcnt_dscnt 0x202
	v_pk_mul_f32 v[112:113], v[118:119], v[46:47] /*v[302:303]*/ op_sel:[1,1] op_sel_hi:[0,1]
	s_set_vgpr_msb 0                        ;  msbs: dst=0 src0=0 src1=0 src2=0
	s_delay_alu instid0(VALU_DEP_2) | instskip(SKIP_1) | instid1(VALU_DEP_2)
	v_pk_add_f32 v[0:1], v[0:1], v[114:115]
	s_set_vgpr_msb 4                        ;  msbs: dst=0 src0=0 src1=1 src2=0
	v_pk_fma_f32 v[114:115], v[118:119], v[46:47] /*v[302:303]*/, v[112:113] neg_lo:[0,0,1] neg_hi:[0,0,1]
	v_pk_fma_f32 v[112:113], v[118:119], v[46:47] /*v[302:303]*/, v[112:113] op_sel_hi:[1,0,1]
	s_delay_alu instid0(VALU_DEP_1) | instskip(SKIP_2) | instid1(VALU_DEP_2)
	v_dual_mov_b32 v112, v121 :: v_dual_mov_b32 v115, v113
	v_mov_b32_e32 v113, v120
	s_set_vgpr_msb 0                        ;  msbs: dst=0 src0=0 src1=0 src2=0
	v_pk_add_f32 v[0:1], v[0:1], v[114:115]
	s_set_vgpr_msb 1                        ;  msbs: dst=0 src0=1 src1=0 src2=0
	v_mov_b32_e32 v114, v49 /*v305*/
	s_set_vgpr_msb 0                        ;  msbs: dst=0 src0=0 src1=0 src2=0
	s_delay_alu instid0(VALU_DEP_1) | instskip(SKIP_1) | instid1(VALU_DEP_1)
	v_pk_mul_f32 v[112:113], v[112:113], v[114:115] op_sel_hi:[1,0]
	s_set_vgpr_msb 4                        ;  msbs: dst=0 src0=0 src1=1 src2=0
	v_pk_fma_f32 v[114:115], v[120:121], v[48:49] /*v[304:305]*/, v[112:113] neg_lo:[0,0,1] neg_hi:[0,0,1]
	v_pk_fma_f32 v[112:113], v[120:121], v[48:49] /*v[304:305]*/, v[112:113] op_sel_hi:[1,0,1]
	s_delay_alu instid0(VALU_DEP_1) | instskip(SKIP_3) | instid1(VALU_DEP_2)
	v_mov_b32_e32 v115, v113
	s_wait_loadcnt_dscnt 0x101
	v_pk_mul_f32 v[112:113], v[122:123], v[50:51] /*v[306:307]*/ op_sel:[1,1] op_sel_hi:[0,1]
	s_set_vgpr_msb 0                        ;  msbs: dst=0 src0=0 src1=0 src2=0
	v_pk_add_f32 v[0:1], v[0:1], v[114:115]
	s_set_vgpr_msb 4                        ;  msbs: dst=0 src0=0 src1=1 src2=0
	s_delay_alu instid0(VALU_DEP_2) | instskip(SKIP_1) | instid1(VALU_DEP_1)
	v_pk_fma_f32 v[114:115], v[122:123], v[50:51] /*v[306:307]*/, v[112:113] neg_lo:[0,0,1] neg_hi:[0,0,1]
	v_pk_fma_f32 v[112:113], v[122:123], v[50:51] /*v[306:307]*/, v[112:113] op_sel_hi:[1,0,1]
	v_dual_mov_b32 v112, v125 :: v_dual_mov_b32 v115, v113
	v_mov_b32_e32 v113, v124
	s_set_vgpr_msb 0                        ;  msbs: dst=0 src0=0 src1=0 src2=0
	s_delay_alu instid0(VALU_DEP_2) | instskip(SKIP_3) | instid1(VALU_DEP_1)
	v_pk_add_f32 v[0:1], v[0:1], v[114:115]
	s_set_vgpr_msb 1                        ;  msbs: dst=0 src0=1 src1=0 src2=0
	v_mov_b32_e32 v114, v53 /*v309*/
	s_set_vgpr_msb 0                        ;  msbs: dst=0 src0=0 src1=0 src2=0
	v_pk_mul_f32 v[112:113], v[112:113], v[114:115] op_sel_hi:[1,0]
	s_set_vgpr_msb 4                        ;  msbs: dst=0 src0=0 src1=1 src2=0
	s_delay_alu instid0(VALU_DEP_1) | instskip(SKIP_1) | instid1(VALU_DEP_1)
	v_pk_fma_f32 v[114:115], v[124:125], v[52:53] /*v[308:309]*/, v[112:113] neg_lo:[0,0,1] neg_hi:[0,0,1]
	v_pk_fma_f32 v[112:113], v[124:125], v[52:53] /*v[308:309]*/, v[112:113] op_sel_hi:[1,0,1]
	v_mov_b32_e32 v115, v113
	s_wait_loadcnt_dscnt 0x0
	v_pk_mul_f32 v[112:113], v[126:127], v[54:55] /*v[310:311]*/ op_sel:[1,1] op_sel_hi:[0,1]
	s_set_vgpr_msb 0                        ;  msbs: dst=0 src0=0 src1=0 src2=0
	s_delay_alu instid0(VALU_DEP_2) | instskip(SKIP_1) | instid1(VALU_DEP_2)
	v_pk_add_f32 v[0:1], v[0:1], v[114:115]
	s_set_vgpr_msb 4                        ;  msbs: dst=0 src0=0 src1=1 src2=0
	v_pk_fma_f32 v[114:115], v[126:127], v[54:55] /*v[310:311]*/, v[112:113] neg_lo:[0,0,1] neg_hi:[0,0,1]
	v_pk_fma_f32 v[112:113], v[126:127], v[54:55] /*v[310:311]*/, v[112:113] op_sel_hi:[1,0,1]
	s_delay_alu instid0(VALU_DEP_1) | instskip(SKIP_2) | instid1(VALU_DEP_2)
	v_dual_mov_b32 v112, v129 :: v_dual_mov_b32 v115, v113
	v_mov_b32_e32 v113, v128
	s_set_vgpr_msb 0                        ;  msbs: dst=0 src0=0 src1=0 src2=0
	v_pk_add_f32 v[0:1], v[0:1], v[114:115]
	s_set_vgpr_msb 1                        ;  msbs: dst=0 src0=1 src1=0 src2=0
	v_mov_b32_e32 v114, v57 /*v313*/
	s_set_vgpr_msb 0                        ;  msbs: dst=0 src0=0 src1=0 src2=0
	s_delay_alu instid0(VALU_DEP_1) | instskip(SKIP_1) | instid1(VALU_DEP_1)
	v_pk_mul_f32 v[112:113], v[112:113], v[114:115] op_sel_hi:[1,0]
	s_set_vgpr_msb 4                        ;  msbs: dst=0 src0=0 src1=1 src2=0
	v_pk_fma_f32 v[114:115], v[128:129], v[56:57] /*v[312:313]*/, v[112:113] neg_lo:[0,0,1] neg_hi:[0,0,1]
	v_pk_fma_f32 v[112:113], v[128:129], v[56:57] /*v[312:313]*/, v[112:113] op_sel_hi:[1,0,1]
	s_delay_alu instid0(VALU_DEP_1) | instskip(SKIP_4) | instid1(VALU_DEP_1)
	v_mov_b32_e32 v115, v113
	scratch_load_b64 v[112:113], off, off
	s_set_vgpr_msb 0                        ;  msbs: dst=0 src0=0 src1=0 src2=0
	v_pk_add_f32 v[0:1], v[0:1], v[114:115]
	s_wait_loadcnt 0x0
	v_pk_add_f32 v[112:113], v[112:113], v[0:1] neg_lo:[0,1] neg_hi:[0,1]
	scratch_store_b64 off, v[112:113], off
	s_cbranch_vccz .LBB118_452
; %bb.344:
	v_mov_b32_e32 v0, 0
	global_load_b32 v1, v0, s[8:9] offset:212
	s_wait_loadcnt 0x0
	v_cmp_ne_u32_e32 vcc_lo, 54, v1
	s_cbranch_vccz .LBB118_346
; %bb.345:
	v_lshlrev_b32_e32 v1, 3, v1
	scratch_load_b64 v[112:113], v1, off offset:-8
	scratch_load_b64 v[114:115], off, off offset:424
	s_wait_loadcnt 0x1
	scratch_store_b64 off, v[112:113], off offset:424
	s_wait_loadcnt 0x0
	scratch_store_b64 v1, v[114:115], off offset:-8
.LBB118_346:
	global_load_b32 v0, v0, s[8:9] offset:208
	s_wait_loadcnt 0x0
	v_cmp_eq_u32_e32 vcc_lo, 53, v0
	s_cbranch_vccnz .LBB118_348
; %bb.347:
	s_wait_xcnt 0x0
	v_lshlrev_b32_e32 v0, 3, v0
	s_delay_alu instid0(VALU_DEP_1)
	v_mov_b32_e32 v114, v0
	scratch_load_b64 v[0:1], v114, off offset:-8
	scratch_load_b64 v[112:113], off, off offset:416
	s_wait_loadcnt 0x1
	scratch_store_b64 off, v[0:1], off offset:416
	s_wait_loadcnt 0x0
	scratch_store_b64 v114, v[112:113], off offset:-8
.LBB118_348:
	s_wait_xcnt 0x0
	v_mov_b32_e32 v0, 0
	global_load_b32 v1, v0, s[8:9] offset:204
	s_wait_loadcnt 0x0
	v_cmp_eq_u32_e32 vcc_lo, 52, v1
	s_cbranch_vccnz .LBB118_350
; %bb.349:
	v_lshlrev_b32_e32 v1, 3, v1
	scratch_load_b64 v[112:113], v1, off offset:-8
	scratch_load_b64 v[114:115], off, off offset:408
	s_wait_loadcnt 0x1
	scratch_store_b64 off, v[112:113], off offset:408
	s_wait_loadcnt 0x0
	scratch_store_b64 v1, v[114:115], off offset:-8
.LBB118_350:
	global_load_b32 v0, v0, s[8:9] offset:200
	s_wait_loadcnt 0x0
	v_cmp_eq_u32_e32 vcc_lo, 51, v0
	s_cbranch_vccnz .LBB118_352
; %bb.351:
	s_wait_xcnt 0x0
	v_lshlrev_b32_e32 v0, 3, v0
	s_delay_alu instid0(VALU_DEP_1)
	v_mov_b32_e32 v114, v0
	scratch_load_b64 v[0:1], v114, off offset:-8
	scratch_load_b64 v[112:113], off, off offset:400
	s_wait_loadcnt 0x1
	scratch_store_b64 off, v[0:1], off offset:400
	s_wait_loadcnt 0x0
	scratch_store_b64 v114, v[112:113], off offset:-8
.LBB118_352:
	s_wait_xcnt 0x0
	v_mov_b32_e32 v0, 0
	global_load_b32 v1, v0, s[8:9] offset:196
	s_wait_loadcnt 0x0
	v_cmp_eq_u32_e32 vcc_lo, 50, v1
	s_cbranch_vccnz .LBB118_354
; %bb.353:
	v_lshlrev_b32_e32 v1, 3, v1
	scratch_load_b64 v[112:113], v1, off offset:-8
	scratch_load_b64 v[114:115], off, off offset:392
	s_wait_loadcnt 0x1
	scratch_store_b64 off, v[112:113], off offset:392
	s_wait_loadcnt 0x0
	scratch_store_b64 v1, v[114:115], off offset:-8
.LBB118_354:
	;; [unrolled: 31-line block ×26, first 2 shown]
	global_load_b32 v0, v0, s[8:9]
	scratch_load_b64 v[112:113], off, off
	s_wait_loadcnt 0x1
	v_cmp_eq_u32_e32 vcc_lo, 1, v0
	s_cbranch_vccnz .LBB118_452
; %bb.451:
	s_wait_xcnt 0x1
	v_lshlrev_b32_e32 v0, 3, v0
	s_delay_alu instid0(VALU_DEP_1)
	v_mov_b32_e32 v114, v0
	scratch_load_b64 v[0:1], v114, off offset:-8
	s_wait_loadcnt 0x0
	scratch_store_b64 off, v[0:1], off
	scratch_store_b64 v114, v[112:113], off offset:-8
	scratch_load_b64 v[112:113], off, off
.LBB118_452:
	s_wait_loadcnt 0x0
	flat_store_b64 v[2:3], v[112:113]
	scratch_load_b64 v[2:3], off, off offset:8
	v_lshl_add_u64 v[164:165], v[6:7], 3, s[2:3]
	v_lshl_add_u64 v[162:163], v[8:9], 3, s[2:3]
	;; [unrolled: 1-line block ×53, first 2 shown]
	s_wait_loadcnt 0x0
	flat_store_b64 v[4:5], v[2:3]
	scratch_load_b64 v[2:3], off, off offset:16
	s_wait_loadcnt 0x0
	flat_store_b64 v[164:165], v[2:3]
	scratch_load_b64 v[2:3], off, off offset:24
	;; [unrolled: 3-line block ×53, first 2 shown]
	s_wait_loadcnt 0x0
	flat_store_b64 v[0:1], v[2:3]
	s_sendmsg sendmsg(MSG_DEALLOC_VGPRS)
	s_endpgm
	.section	.rodata,"a",@progbits
	.p2align	6, 0x0
	.amdhsa_kernel _ZN9rocsolver6v33100L18getri_kernel_smallILi55E19rocblas_complex_numIfEPKPS3_EEvT1_iilPiilS8_bb
		.amdhsa_group_segment_fixed_size 888
		.amdhsa_private_segment_fixed_size 448
		.amdhsa_kernarg_size 60
		.amdhsa_user_sgpr_count 2
		.amdhsa_user_sgpr_dispatch_ptr 0
		.amdhsa_user_sgpr_queue_ptr 0
		.amdhsa_user_sgpr_kernarg_segment_ptr 1
		.amdhsa_user_sgpr_dispatch_id 0
		.amdhsa_user_sgpr_kernarg_preload_length 0
		.amdhsa_user_sgpr_kernarg_preload_offset 0
		.amdhsa_user_sgpr_private_segment_size 0
		.amdhsa_wavefront_size32 1
		.amdhsa_uses_dynamic_stack 0
		.amdhsa_enable_private_segment 1
		.amdhsa_system_sgpr_workgroup_id_x 1
		.amdhsa_system_sgpr_workgroup_id_y 0
		.amdhsa_system_sgpr_workgroup_id_z 0
		.amdhsa_system_sgpr_workgroup_info 0
		.amdhsa_system_vgpr_workitem_id 0
		.amdhsa_next_free_vgpr 334
		.amdhsa_next_free_sgpr 19
		.amdhsa_named_barrier_count 0
		.amdhsa_reserve_vcc 1
		.amdhsa_float_round_mode_32 0
		.amdhsa_float_round_mode_16_64 0
		.amdhsa_float_denorm_mode_32 3
		.amdhsa_float_denorm_mode_16_64 3
		.amdhsa_fp16_overflow 0
		.amdhsa_memory_ordered 1
		.amdhsa_forward_progress 1
		.amdhsa_inst_pref_size 255
		.amdhsa_round_robin_scheduling 0
		.amdhsa_exception_fp_ieee_invalid_op 0
		.amdhsa_exception_fp_denorm_src 0
		.amdhsa_exception_fp_ieee_div_zero 0
		.amdhsa_exception_fp_ieee_overflow 0
		.amdhsa_exception_fp_ieee_underflow 0
		.amdhsa_exception_fp_ieee_inexact 0
		.amdhsa_exception_int_div_zero 0
	.end_amdhsa_kernel
	.section	.text._ZN9rocsolver6v33100L18getri_kernel_smallILi55E19rocblas_complex_numIfEPKPS3_EEvT1_iilPiilS8_bb,"axG",@progbits,_ZN9rocsolver6v33100L18getri_kernel_smallILi55E19rocblas_complex_numIfEPKPS3_EEvT1_iilPiilS8_bb,comdat
.Lfunc_end118:
	.size	_ZN9rocsolver6v33100L18getri_kernel_smallILi55E19rocblas_complex_numIfEPKPS3_EEvT1_iilPiilS8_bb, .Lfunc_end118-_ZN9rocsolver6v33100L18getri_kernel_smallILi55E19rocblas_complex_numIfEPKPS3_EEvT1_iilPiilS8_bb
                                        ; -- End function
	.set _ZN9rocsolver6v33100L18getri_kernel_smallILi55E19rocblas_complex_numIfEPKPS3_EEvT1_iilPiilS8_bb.num_vgpr, 334
	.set _ZN9rocsolver6v33100L18getri_kernel_smallILi55E19rocblas_complex_numIfEPKPS3_EEvT1_iilPiilS8_bb.num_agpr, 0
	.set _ZN9rocsolver6v33100L18getri_kernel_smallILi55E19rocblas_complex_numIfEPKPS3_EEvT1_iilPiilS8_bb.numbered_sgpr, 19
	.set _ZN9rocsolver6v33100L18getri_kernel_smallILi55E19rocblas_complex_numIfEPKPS3_EEvT1_iilPiilS8_bb.num_named_barrier, 0
	.set _ZN9rocsolver6v33100L18getri_kernel_smallILi55E19rocblas_complex_numIfEPKPS3_EEvT1_iilPiilS8_bb.private_seg_size, 448
	.set _ZN9rocsolver6v33100L18getri_kernel_smallILi55E19rocblas_complex_numIfEPKPS3_EEvT1_iilPiilS8_bb.uses_vcc, 1
	.set _ZN9rocsolver6v33100L18getri_kernel_smallILi55E19rocblas_complex_numIfEPKPS3_EEvT1_iilPiilS8_bb.uses_flat_scratch, 1
	.set _ZN9rocsolver6v33100L18getri_kernel_smallILi55E19rocblas_complex_numIfEPKPS3_EEvT1_iilPiilS8_bb.has_dyn_sized_stack, 0
	.set _ZN9rocsolver6v33100L18getri_kernel_smallILi55E19rocblas_complex_numIfEPKPS3_EEvT1_iilPiilS8_bb.has_recursion, 0
	.set _ZN9rocsolver6v33100L18getri_kernel_smallILi55E19rocblas_complex_numIfEPKPS3_EEvT1_iilPiilS8_bb.has_indirect_call, 0
	.section	.AMDGPU.csdata,"",@progbits
; Kernel info:
; codeLenInByte = 112096
; TotalNumSgprs: 21
; NumVgprs: 334
; ScratchSize: 448
; MemoryBound: 0
; FloatMode: 240
; IeeeMode: 1
; LDSByteSize: 888 bytes/workgroup (compile time only)
; SGPRBlocks: 0
; VGPRBlocks: 20
; NumSGPRsForWavesPerEU: 21
; NumVGPRsForWavesPerEU: 334
; NamedBarCnt: 0
; Occupancy: 3
; WaveLimiterHint : 1
; COMPUTE_PGM_RSRC2:SCRATCH_EN: 1
; COMPUTE_PGM_RSRC2:USER_SGPR: 2
; COMPUTE_PGM_RSRC2:TRAP_HANDLER: 0
; COMPUTE_PGM_RSRC2:TGID_X_EN: 1
; COMPUTE_PGM_RSRC2:TGID_Y_EN: 0
; COMPUTE_PGM_RSRC2:TGID_Z_EN: 0
; COMPUTE_PGM_RSRC2:TIDIG_COMP_CNT: 0
	.section	.text._ZN9rocsolver6v33100L18getri_kernel_smallILi56E19rocblas_complex_numIfEPKPS3_EEvT1_iilPiilS8_bb,"axG",@progbits,_ZN9rocsolver6v33100L18getri_kernel_smallILi56E19rocblas_complex_numIfEPKPS3_EEvT1_iilPiilS8_bb,comdat
	.globl	_ZN9rocsolver6v33100L18getri_kernel_smallILi56E19rocblas_complex_numIfEPKPS3_EEvT1_iilPiilS8_bb ; -- Begin function _ZN9rocsolver6v33100L18getri_kernel_smallILi56E19rocblas_complex_numIfEPKPS3_EEvT1_iilPiilS8_bb
	.p2align	8
	.type	_ZN9rocsolver6v33100L18getri_kernel_smallILi56E19rocblas_complex_numIfEPKPS3_EEvT1_iilPiilS8_bb,@function
_ZN9rocsolver6v33100L18getri_kernel_smallILi56E19rocblas_complex_numIfEPKPS3_EEvT1_iilPiilS8_bb: ; @_ZN9rocsolver6v33100L18getri_kernel_smallILi56E19rocblas_complex_numIfEPKPS3_EEvT1_iilPiilS8_bb
; %bb.0:
	s_mov_b32 s2, exec_lo
	v_cmpx_gt_u32_e32 56, v0
	s_cbranch_execz .LBB119_238
; %bb.1:
	s_clause 0x1
	s_load_b32 s13, s[0:1], 0x38
	s_load_b64 s[2:3], s[0:1], 0x0
	s_getreg_b32 s6, hwreg(HW_REG_IB_STS2, 6, 4)
	s_wait_kmcnt 0x0
	s_bitcmp1_b32 s13, 8
	s_cselect_b32 s12, -1, 0
	s_bfe_u32 s4, ttmp6, 0x4000c
	s_and_b32 s5, ttmp6, 15
	s_add_co_i32 s4, s4, 1
	s_delay_alu instid0(SALU_CYCLE_1) | instskip(NEXT) | instid1(SALU_CYCLE_1)
	s_mul_i32 s4, ttmp9, s4
	s_add_co_i32 s5, s5, s4
	s_cmp_eq_u32 s6, 0
	s_cselect_b32 s10, ttmp9, s5
	s_load_b128 s[4:7], s[0:1], 0x28
	s_ashr_i32 s11, s10, 31
	s_delay_alu instid0(SALU_CYCLE_1) | instskip(NEXT) | instid1(SALU_CYCLE_1)
	s_lshl_b64 s[8:9], s[10:11], 3
	s_add_nc_u64 s[2:3], s[2:3], s[8:9]
	s_bfe_u32 s8, s13, 0x10008
	s_load_b64 s[2:3], s[2:3], 0x0
	s_cmp_eq_u32 s8, 0
                                        ; implicit-def: $sgpr8_sgpr9
	s_cbranch_scc1 .LBB119_3
; %bb.2:
	s_load_b96 s[16:18], s[0:1], 0x18
	s_wait_kmcnt 0x0
	s_mul_u64 s[4:5], s[4:5], s[10:11]
	s_delay_alu instid0(SALU_CYCLE_1) | instskip(SKIP_4) | instid1(SALU_CYCLE_1)
	s_lshl_b64 s[4:5], s[4:5], 2
	s_ashr_i32 s9, s18, 31
	s_mov_b32 s8, s18
	s_add_nc_u64 s[4:5], s[16:17], s[4:5]
	s_lshl_b64 s[8:9], s[8:9], 2
	s_add_nc_u64 s[8:9], s[4:5], s[8:9]
.LBB119_3:
	s_wait_kmcnt 0x0
	s_clause 0x1
	s_load_b64 s[4:5], s[0:1], 0x8
	s_load_b32 s13, s[0:1], 0x38
	v_dual_mov_b32 v115, 0 :: v_dual_lshlrev_b32 v114, 3, v0
	s_wait_kmcnt 0x0
	s_ashr_i32 s1, s4, 31
	s_mov_b32 s0, s4
	s_delay_alu instid0(SALU_CYCLE_1) | instskip(NEXT) | instid1(SALU_CYCLE_1)
	s_lshl_b64 s[0:1], s[0:1], 3
	s_add_nc_u64 s[2:3], s[2:3], s[0:1]
	s_ashr_i32 s1, s5, 31
	flat_load_b64 v[6:7], v0, s[2:3] scale_offset
	v_add_nc_u64_e32 v[2:3], s[2:3], v[114:115]
	s_mov_b32 s0, s5
	s_bitcmp0_b32 s13, 0
	s_delay_alu instid0(VALU_DEP_1)
	v_lshl_add_u64 v[4:5], s[0:1], 3, v[2:3]
	s_mov_b32 s1, -1
	s_wait_loadcnt_dscnt 0x0
	scratch_store_b64 off, v[6:7], off
	flat_load_b64 v[8:9], v[4:5]
	s_wait_xcnt 0x1
	v_add3_u32 v6, s5, s5, v0
	s_wait_loadcnt_dscnt 0x0
	scratch_store_b64 off, v[8:9], off offset:8
	flat_load_b64 v[10:11], v6, s[2:3] scale_offset
	s_wait_xcnt 0x1
	v_add_nc_u32_e32 v8, s5, v6
	s_wait_loadcnt_dscnt 0x0
	scratch_store_b64 off, v[10:11], off offset:16
	flat_load_b64 v[12:13], v8, s[2:3] scale_offset
	s_wait_xcnt 0x1
	v_add_nc_u32_e32 v10, s5, v8
	;; [unrolled: 5-line block ×53, first 2 shown]
	s_wait_loadcnt_dscnt 0x0
	scratch_store_b64 off, v[116:117], off offset:432
	flat_load_b64 v[116:117], v112, s[2:3] scale_offset
	s_wait_loadcnt_dscnt 0x0
	scratch_store_b64 off, v[116:117], off offset:440
	s_cbranch_scc1 .LBB119_236
; %bb.4:
	v_cmp_eq_u32_e64 s0, 0, v0
	s_wait_xcnt 0x0
	s_and_saveexec_b32 s1, s0
; %bb.5:
	v_mov_b32_e32 v1, 0
	ds_store_b32 v1, v1 offset:896
; %bb.6:
	s_or_b32 exec_lo, exec_lo, s1
	s_wait_storecnt_dscnt 0x0
	s_barrier_signal -1
	s_barrier_wait -1
	scratch_load_b64 v[116:117], v0, off scale_offset
	s_wait_loadcnt 0x0
	v_cmp_eq_f32_e32 vcc_lo, 0, v116
	v_cmp_eq_f32_e64 s1, 0, v117
	s_and_b32 s1, vcc_lo, s1
	s_delay_alu instid0(SALU_CYCLE_1)
	s_and_saveexec_b32 s4, s1
	s_cbranch_execz .LBB119_10
; %bb.7:
	v_mov_b32_e32 v1, 0
	s_mov_b32 s5, 0
	ds_load_b32 v7, v1 offset:896
	s_wait_dscnt 0x0
	v_readfirstlane_b32 s1, v7
	v_add_nc_u32_e32 v7, 1, v0
	s_cmp_eq_u32 s1, 0
	s_delay_alu instid0(VALU_DEP_1) | instskip(SKIP_1) | instid1(SALU_CYCLE_1)
	v_cmp_gt_i32_e32 vcc_lo, s1, v7
	s_cselect_b32 s13, -1, 0
	s_or_b32 s13, s13, vcc_lo
	s_delay_alu instid0(SALU_CYCLE_1)
	s_and_b32 exec_lo, exec_lo, s13
	s_cbranch_execz .LBB119_10
; %bb.8:
	v_mov_b32_e32 v9, s1
.LBB119_9:                              ; =>This Inner Loop Header: Depth=1
	ds_cmpstore_rtn_b32 v9, v1, v7, v9 offset:896
	s_wait_dscnt 0x0
	v_cmp_ne_u32_e32 vcc_lo, 0, v9
	v_cmp_le_i32_e64 s1, v9, v7
	s_and_b32 s1, vcc_lo, s1
	s_delay_alu instid0(SALU_CYCLE_1) | instskip(NEXT) | instid1(SALU_CYCLE_1)
	s_and_b32 s1, exec_lo, s1
	s_or_b32 s5, s1, s5
	s_delay_alu instid0(SALU_CYCLE_1)
	s_and_not1_b32 exec_lo, exec_lo, s5
	s_cbranch_execnz .LBB119_9
.LBB119_10:
	s_or_b32 exec_lo, exec_lo, s4
	v_mov_b32_e32 v1, 0
	s_barrier_signal -1
	s_barrier_wait -1
	ds_load_b32 v7, v1 offset:896
	s_and_saveexec_b32 s1, s0
	s_cbranch_execz .LBB119_12
; %bb.11:
	s_lshl_b64 s[4:5], s[10:11], 2
	s_delay_alu instid0(SALU_CYCLE_1)
	s_add_nc_u64 s[4:5], s[6:7], s[4:5]
	s_wait_dscnt 0x0
	global_store_b32 v1, v7, s[4:5]
.LBB119_12:
	s_wait_xcnt 0x0
	s_or_b32 exec_lo, exec_lo, s1
	s_wait_dscnt 0x0
	v_cmp_ne_u32_e32 vcc_lo, 0, v7
	s_mov_b32 s1, 0
	s_cbranch_vccnz .LBB119_236
; %bb.13:
	v_lshl_add_u32 v7, v0, 3, 0
                                        ; implicit-def: $vgpr119
                                        ; implicit-def: $vgpr120
	scratch_load_b64 v[116:117], v7, off
	s_wait_loadcnt 0x0
	v_cmp_ngt_f32_e64 s1, |v116|, |v117|
	s_wait_xcnt 0x0
	s_and_saveexec_b32 s4, s1
	s_delay_alu instid0(SALU_CYCLE_1)
	s_xor_b32 s1, exec_lo, s4
	s_cbranch_execz .LBB119_15
; %bb.14:
	v_div_scale_f32 v1, null, v117, v117, v116
	v_div_scale_f32 v13, vcc_lo, v116, v117, v116
	s_delay_alu instid0(VALU_DEP_2) | instskip(SKIP_1) | instid1(TRANS32_DEP_1)
	v_rcp_f32_e32 v9, v1
	v_nop
	v_fma_f32 v11, -v1, v9, 1.0
	s_delay_alu instid0(VALU_DEP_1) | instskip(NEXT) | instid1(VALU_DEP_1)
	v_fmac_f32_e32 v9, v11, v9
	v_mul_f32_e32 v11, v13, v9
	s_delay_alu instid0(VALU_DEP_1) | instskip(NEXT) | instid1(VALU_DEP_1)
	v_fma_f32 v15, -v1, v11, v13
	v_fmac_f32_e32 v11, v15, v9
	s_delay_alu instid0(VALU_DEP_1) | instskip(NEXT) | instid1(VALU_DEP_1)
	v_fma_f32 v1, -v1, v11, v13
	v_div_fmas_f32 v1, v1, v9, v11
	s_delay_alu instid0(VALU_DEP_1) | instskip(NEXT) | instid1(VALU_DEP_1)
	v_div_fixup_f32 v1, v1, v117, v116
	v_fmac_f32_e32 v117, v116, v1
	s_delay_alu instid0(VALU_DEP_1) | instskip(NEXT) | instid1(VALU_DEP_1)
	v_div_scale_f32 v9, null, v117, v117, -1.0
	v_rcp_f32_e32 v11, v9
	v_nop
	s_delay_alu instid0(TRANS32_DEP_1) | instskip(NEXT) | instid1(VALU_DEP_1)
	v_fma_f32 v13, -v9, v11, 1.0
	v_fmac_f32_e32 v11, v13, v11
	v_div_scale_f32 v13, vcc_lo, -1.0, v117, -1.0
	s_delay_alu instid0(VALU_DEP_1) | instskip(NEXT) | instid1(VALU_DEP_1)
	v_mul_f32_e32 v15, v13, v11
	v_fma_f32 v17, -v9, v15, v13
	s_delay_alu instid0(VALU_DEP_1) | instskip(NEXT) | instid1(VALU_DEP_1)
	v_fmac_f32_e32 v15, v17, v11
	v_fma_f32 v9, -v9, v15, v13
	s_delay_alu instid0(VALU_DEP_1) | instskip(NEXT) | instid1(VALU_DEP_1)
	v_div_fmas_f32 v9, v9, v11, v15
	v_div_fixup_f32 v119, v9, v117, -1.0
                                        ; implicit-def: $vgpr116_vgpr117
	s_delay_alu instid0(VALU_DEP_1) | instskip(NEXT) | instid1(VALU_DEP_1)
	v_mul_f32_e32 v120, v1, v119
	v_xor_b32_e32 v118, 0x80000000, v120
.LBB119_15:
	s_and_not1_saveexec_b32 s1, s1
	s_cbranch_execz .LBB119_17
; %bb.16:
	v_div_scale_f32 v1, null, v116, v116, v117
	v_div_scale_f32 v13, vcc_lo, v117, v116, v117
	s_delay_alu instid0(VALU_DEP_2) | instskip(SKIP_1) | instid1(TRANS32_DEP_1)
	v_rcp_f32_e32 v9, v1
	v_nop
	v_fma_f32 v11, -v1, v9, 1.0
	s_delay_alu instid0(VALU_DEP_1) | instskip(NEXT) | instid1(VALU_DEP_1)
	v_fmac_f32_e32 v9, v11, v9
	v_mul_f32_e32 v11, v13, v9
	s_delay_alu instid0(VALU_DEP_1) | instskip(NEXT) | instid1(VALU_DEP_1)
	v_fma_f32 v15, -v1, v11, v13
	v_fmac_f32_e32 v11, v15, v9
	s_delay_alu instid0(VALU_DEP_1) | instskip(NEXT) | instid1(VALU_DEP_1)
	v_fma_f32 v1, -v1, v11, v13
	v_div_fmas_f32 v1, v1, v9, v11
	s_delay_alu instid0(VALU_DEP_1) | instskip(NEXT) | instid1(VALU_DEP_1)
	v_div_fixup_f32 v1, v1, v116, v117
	v_fmac_f32_e32 v116, v117, v1
	s_delay_alu instid0(VALU_DEP_1) | instskip(SKIP_1) | instid1(VALU_DEP_2)
	v_div_scale_f32 v9, null, v116, v116, 1.0
	v_div_scale_f32 v15, vcc_lo, 1.0, v116, 1.0
	v_rcp_f32_e32 v11, v9
	v_nop
	s_delay_alu instid0(TRANS32_DEP_1) | instskip(NEXT) | instid1(VALU_DEP_1)
	v_fma_f32 v13, -v9, v11, 1.0
	v_fmac_f32_e32 v11, v13, v11
	s_delay_alu instid0(VALU_DEP_1) | instskip(NEXT) | instid1(VALU_DEP_1)
	v_mul_f32_e32 v13, v15, v11
	v_fma_f32 v17, -v9, v13, v15
	s_delay_alu instid0(VALU_DEP_1) | instskip(NEXT) | instid1(VALU_DEP_1)
	v_fmac_f32_e32 v13, v17, v11
	v_fma_f32 v9, -v9, v13, v15
	s_delay_alu instid0(VALU_DEP_1) | instskip(NEXT) | instid1(VALU_DEP_1)
	v_div_fmas_f32 v9, v9, v11, v13
	v_div_fixup_f32 v118, v9, v116, 1.0
	s_delay_alu instid0(VALU_DEP_1)
	v_xor_b32_e32 v120, 0x80000000, v118
	v_mul_f32_e64 v119, v1, -v118
.LBB119_17:
	s_or_b32 exec_lo, exec_lo, s1
	scratch_store_b64 v7, v[118:119], off
	scratch_load_b64 v[116:117], off, off offset:8
	v_xor_b32_e32 v121, 0x80000000, v119
	v_add_nc_u32_e32 v1, 0x1c0, v114
	s_wait_loadcnt 0x0
	ds_store_2addr_b64 v114, v[120:121], v[116:117] offset1:56
	s_wait_storecnt_dscnt 0x0
	s_barrier_signal -1
	s_barrier_wait -1
	s_wait_xcnt 0x0
	s_and_saveexec_b32 s1, s0
	s_cbranch_execz .LBB119_19
; %bb.18:
	scratch_load_b64 v[116:117], v7, off
	ds_load_b64 v[118:119], v1
	s_wait_loadcnt_dscnt 0x0
	v_pk_mul_f32 v[122:123], v[118:119], v[116:117] op_sel:[1,1] op_sel_hi:[0,1]
	s_delay_alu instid0(VALU_DEP_1) | instskip(SKIP_2) | instid1(VALU_DEP_3)
	v_pk_fma_f32 v[124:125], v[118:119], v[116:117], v[122:123] op_sel_hi:[1,0,1]
	v_mov_b32_e32 v9, 0
	v_pk_fma_f32 v[116:117], v[118:119], v[116:117], v[122:123] neg_lo:[0,0,1] neg_hi:[0,0,1]
	v_mov_b32_e32 v117, v125
	ds_load_b64 v[120:121], v9 offset:8
	v_pk_add_f32 v[116:117], v[116:117], 0 op_sel_hi:[1,0]
	s_wait_dscnt 0x0
	s_delay_alu instid0(VALU_DEP_1) | instskip(NEXT) | instid1(VALU_DEP_1)
	v_pk_mul_f32 v[118:119], v[116:117], v[120:121] op_sel:[1,1] op_sel_hi:[0,1]
	v_pk_fma_f32 v[122:123], v[116:117], v[120:121], v[118:119] op_sel_hi:[1,0,1]
	v_pk_fma_f32 v[116:117], v[116:117], v[120:121], v[118:119] neg_lo:[0,0,1] neg_hi:[0,0,1]
	s_delay_alu instid0(VALU_DEP_2)
	v_mov_b32_e32 v117, v123
	scratch_store_b64 off, v[116:117], off offset:8
.LBB119_19:
	s_wait_xcnt 0x0
	s_or_b32 exec_lo, exec_lo, s1
	s_wait_storecnt 0x0
	s_barrier_signal -1
	s_barrier_wait -1
	scratch_load_b64 v[116:117], off, off offset:16
	s_mov_b32 s1, exec_lo
	s_wait_loadcnt 0x0
	ds_store_b64 v1, v[116:117]
	s_wait_dscnt 0x0
	s_barrier_signal -1
	s_barrier_wait -1
	v_cmpx_gt_u32_e32 2, v0
	s_cbranch_execz .LBB119_23
; %bb.20:
	scratch_load_b64 v[116:117], v7, off
	ds_load_b64 v[118:119], v1
	s_wait_loadcnt_dscnt 0x0
	v_pk_mul_f32 v[120:121], v[118:119], v[116:117] op_sel:[1,1] op_sel_hi:[0,1]
	s_delay_alu instid0(VALU_DEP_1) | instskip(SKIP_1) | instid1(VALU_DEP_2)
	v_pk_fma_f32 v[122:123], v[118:119], v[116:117], v[120:121] op_sel_hi:[1,0,1]
	v_pk_fma_f32 v[116:117], v[118:119], v[116:117], v[120:121] neg_lo:[0,0,1] neg_hi:[0,0,1]
	v_mov_b32_e32 v117, v123
	s_delay_alu instid0(VALU_DEP_1)
	v_pk_add_f32 v[116:117], v[116:117], 0 op_sel_hi:[1,0]
	s_and_saveexec_b32 s4, s0
	s_cbranch_execz .LBB119_22
; %bb.21:
	scratch_load_b64 v[118:119], off, off offset:8
	v_mov_b32_e32 v7, 0
	ds_load_b64 v[120:121], v7 offset:456
	s_wait_loadcnt_dscnt 0x0
	v_pk_mul_f32 v[122:123], v[120:121], v[118:119] op_sel:[1,1] op_sel_hi:[0,1]
	s_delay_alu instid0(VALU_DEP_1) | instskip(SKIP_1) | instid1(VALU_DEP_2)
	v_pk_fma_f32 v[124:125], v[120:121], v[118:119], v[122:123] op_sel_hi:[1,0,1]
	v_pk_fma_f32 v[118:119], v[120:121], v[118:119], v[122:123] neg_lo:[0,0,1] neg_hi:[0,0,1]
	v_mov_b32_e32 v119, v125
	s_delay_alu instid0(VALU_DEP_1)
	v_pk_add_f32 v[116:117], v[116:117], v[118:119]
.LBB119_22:
	s_or_b32 exec_lo, exec_lo, s4
	v_mov_b32_e32 v7, 0
	ds_load_b64 v[118:119], v7 offset:16
	s_wait_dscnt 0x0
	v_pk_mul_f32 v[120:121], v[116:117], v[118:119] op_sel:[1,1] op_sel_hi:[0,1]
	s_delay_alu instid0(VALU_DEP_1) | instskip(SKIP_1) | instid1(VALU_DEP_2)
	v_pk_fma_f32 v[122:123], v[116:117], v[118:119], v[120:121] op_sel_hi:[1,0,1]
	v_pk_fma_f32 v[116:117], v[116:117], v[118:119], v[120:121] neg_lo:[0,0,1] neg_hi:[0,0,1]
	v_mov_b32_e32 v117, v123
	scratch_store_b64 off, v[116:117], off offset:16
.LBB119_23:
	s_wait_xcnt 0x0
	s_or_b32 exec_lo, exec_lo, s1
	s_wait_storecnt 0x0
	s_barrier_signal -1
	s_barrier_wait -1
	scratch_load_b64 v[116:117], off, off offset:24
	v_add_nc_u32_e32 v7, -1, v0
	s_mov_b32 s0, exec_lo
	s_wait_loadcnt 0x0
	ds_store_b64 v1, v[116:117]
	s_wait_dscnt 0x0
	s_barrier_signal -1
	s_barrier_wait -1
	v_cmpx_gt_u32_e32 3, v0
	s_cbranch_execz .LBB119_27
; %bb.24:
	v_dual_mov_b32 v116, 0 :: v_dual_add_nc_u32 v9, -1, v0
	v_add_nc_u32_e32 v11, 0x1c0, v114
	v_mov_b32_e32 v13, v114
	s_mov_b32 s1, 0
	s_delay_alu instid0(VALU_DEP_3)
	v_mov_b32_e32 v117, v116
.LBB119_25:                             ; =>This Inner Loop Header: Depth=1
	scratch_load_b64 v[118:119], v13, off
	ds_load_b64 v[120:121], v11
	s_wait_xcnt 0x0
	v_dual_add_nc_u32 v11, 8, v11 :: v_dual_add_nc_u32 v13, 8, v13
	s_wait_loadcnt_dscnt 0x0
	v_pk_mul_f32 v[122:123], v[120:121], v[118:119] op_sel:[1,1] op_sel_hi:[0,1]
	s_delay_alu instid0(VALU_DEP_1) | instskip(SKIP_2) | instid1(VALU_DEP_3)
	v_pk_fma_f32 v[124:125], v[120:121], v[118:119], v[122:123] op_sel_hi:[1,0,1]
	v_add_nc_u32_e32 v9, 1, v9
	v_pk_fma_f32 v[118:119], v[120:121], v[118:119], v[122:123] neg_lo:[0,0,1] neg_hi:[0,0,1]
	v_mov_b32_e32 v119, v125
	s_delay_alu instid0(VALU_DEP_3) | instskip(NEXT) | instid1(VALU_DEP_2)
	v_cmp_lt_u32_e32 vcc_lo, 1, v9
	v_pk_add_f32 v[116:117], v[116:117], v[118:119]
	s_or_b32 s1, vcc_lo, s1
	s_delay_alu instid0(SALU_CYCLE_1)
	s_and_not1_b32 exec_lo, exec_lo, s1
	s_cbranch_execnz .LBB119_25
; %bb.26:
	s_or_b32 exec_lo, exec_lo, s1
	v_mov_b32_e32 v9, 0
	ds_load_b64 v[118:119], v9 offset:24
	s_wait_dscnt 0x0
	v_pk_mul_f32 v[120:121], v[116:117], v[118:119] op_sel:[1,1] op_sel_hi:[0,1]
	s_delay_alu instid0(VALU_DEP_1) | instskip(SKIP_1) | instid1(VALU_DEP_2)
	v_pk_fma_f32 v[122:123], v[116:117], v[118:119], v[120:121] op_sel_hi:[1,0,1]
	v_pk_fma_f32 v[116:117], v[116:117], v[118:119], v[120:121] neg_lo:[0,0,1] neg_hi:[0,0,1]
	v_mov_b32_e32 v117, v123
	scratch_store_b64 off, v[116:117], off offset:24
.LBB119_27:
	s_wait_xcnt 0x0
	s_or_b32 exec_lo, exec_lo, s0
	s_wait_storecnt 0x0
	s_barrier_signal -1
	s_barrier_wait -1
	scratch_load_b64 v[116:117], off, off offset:32
	s_mov_b32 s0, exec_lo
	s_wait_loadcnt 0x0
	ds_store_b64 v1, v[116:117]
	s_wait_dscnt 0x0
	s_barrier_signal -1
	s_barrier_wait -1
	v_cmpx_gt_u32_e32 4, v0
	s_cbranch_execz .LBB119_31
; %bb.28:
	v_dual_mov_b32 v116, 0 :: v_dual_add_nc_u32 v9, -1, v0
	v_add_nc_u32_e32 v11, 0x1c0, v114
	v_mov_b32_e32 v13, v114
	s_mov_b32 s1, 0
	s_delay_alu instid0(VALU_DEP_3)
	v_mov_b32_e32 v117, v116
.LBB119_29:                             ; =>This Inner Loop Header: Depth=1
	scratch_load_b64 v[118:119], v13, off
	ds_load_b64 v[120:121], v11
	s_wait_xcnt 0x0
	v_dual_add_nc_u32 v11, 8, v11 :: v_dual_add_nc_u32 v13, 8, v13
	s_wait_loadcnt_dscnt 0x0
	v_pk_mul_f32 v[122:123], v[120:121], v[118:119] op_sel:[1,1] op_sel_hi:[0,1]
	s_delay_alu instid0(VALU_DEP_1) | instskip(SKIP_2) | instid1(VALU_DEP_3)
	v_pk_fma_f32 v[124:125], v[120:121], v[118:119], v[122:123] op_sel_hi:[1,0,1]
	v_add_nc_u32_e32 v9, 1, v9
	v_pk_fma_f32 v[118:119], v[120:121], v[118:119], v[122:123] neg_lo:[0,0,1] neg_hi:[0,0,1]
	v_mov_b32_e32 v119, v125
	s_delay_alu instid0(VALU_DEP_3) | instskip(NEXT) | instid1(VALU_DEP_2)
	v_cmp_lt_u32_e32 vcc_lo, 2, v9
	v_pk_add_f32 v[116:117], v[116:117], v[118:119]
	s_or_b32 s1, vcc_lo, s1
	s_delay_alu instid0(SALU_CYCLE_1)
	s_and_not1_b32 exec_lo, exec_lo, s1
	s_cbranch_execnz .LBB119_29
; %bb.30:
	s_or_b32 exec_lo, exec_lo, s1
	v_mov_b32_e32 v9, 0
	ds_load_b64 v[118:119], v9 offset:32
	s_wait_dscnt 0x0
	v_pk_mul_f32 v[120:121], v[116:117], v[118:119] op_sel:[1,1] op_sel_hi:[0,1]
	s_delay_alu instid0(VALU_DEP_1) | instskip(SKIP_1) | instid1(VALU_DEP_2)
	v_pk_fma_f32 v[122:123], v[116:117], v[118:119], v[120:121] op_sel_hi:[1,0,1]
	v_pk_fma_f32 v[116:117], v[116:117], v[118:119], v[120:121] neg_lo:[0,0,1] neg_hi:[0,0,1]
	v_mov_b32_e32 v117, v123
	scratch_store_b64 off, v[116:117], off offset:32
.LBB119_31:
	s_wait_xcnt 0x0
	s_or_b32 exec_lo, exec_lo, s0
	s_wait_storecnt 0x0
	s_barrier_signal -1
	s_barrier_wait -1
	scratch_load_b64 v[116:117], off, off offset:40
	;; [unrolled: 52-line block ×19, first 2 shown]
	s_mov_b32 s0, exec_lo
	s_wait_loadcnt 0x0
	ds_store_b64 v1, v[116:117]
	s_wait_dscnt 0x0
	s_barrier_signal -1
	s_barrier_wait -1
	v_cmpx_gt_u32_e32 22, v0
	s_cbranch_execz .LBB119_103
; %bb.100:
	v_dual_mov_b32 v116, 0 :: v_dual_add_nc_u32 v9, -1, v0
	v_add_nc_u32_e32 v11, 0x1c0, v114
	v_mov_b32_e32 v13, v114
	s_mov_b32 s1, 0
	s_delay_alu instid0(VALU_DEP_3)
	v_mov_b32_e32 v117, v116
.LBB119_101:                            ; =>This Inner Loop Header: Depth=1
	scratch_load_b64 v[118:119], v13, off
	ds_load_b64 v[120:121], v11
	s_wait_xcnt 0x0
	v_dual_add_nc_u32 v11, 8, v11 :: v_dual_add_nc_u32 v13, 8, v13
	s_wait_loadcnt_dscnt 0x0
	v_pk_mul_f32 v[122:123], v[120:121], v[118:119] op_sel:[1,1] op_sel_hi:[0,1]
	s_delay_alu instid0(VALU_DEP_1) | instskip(SKIP_2) | instid1(VALU_DEP_3)
	v_pk_fma_f32 v[124:125], v[120:121], v[118:119], v[122:123] op_sel_hi:[1,0,1]
	v_add_nc_u32_e32 v9, 1, v9
	v_pk_fma_f32 v[118:119], v[120:121], v[118:119], v[122:123] neg_lo:[0,0,1] neg_hi:[0,0,1]
	v_mov_b32_e32 v119, v125
	s_delay_alu instid0(VALU_DEP_3) | instskip(NEXT) | instid1(VALU_DEP_2)
	v_cmp_lt_u32_e32 vcc_lo, 20, v9
	v_pk_add_f32 v[116:117], v[116:117], v[118:119]
	s_or_b32 s1, vcc_lo, s1
	s_delay_alu instid0(SALU_CYCLE_1)
	s_and_not1_b32 exec_lo, exec_lo, s1
	s_cbranch_execnz .LBB119_101
; %bb.102:
	s_or_b32 exec_lo, exec_lo, s1
	v_mov_b32_e32 v9, 0
	ds_load_b64 v[118:119], v9 offset:176
	s_wait_dscnt 0x0
	v_pk_mul_f32 v[120:121], v[116:117], v[118:119] op_sel:[1,1] op_sel_hi:[0,1]
	s_delay_alu instid0(VALU_DEP_1) | instskip(SKIP_1) | instid1(VALU_DEP_2)
	v_pk_fma_f32 v[122:123], v[116:117], v[118:119], v[120:121] op_sel_hi:[1,0,1]
	v_pk_fma_f32 v[116:117], v[116:117], v[118:119], v[120:121] neg_lo:[0,0,1] neg_hi:[0,0,1]
	v_mov_b32_e32 v117, v123
	scratch_store_b64 off, v[116:117], off offset:176
.LBB119_103:
	s_wait_xcnt 0x0
	s_or_b32 exec_lo, exec_lo, s0
	s_wait_storecnt 0x0
	s_barrier_signal -1
	s_barrier_wait -1
	scratch_load_b64 v[116:117], off, off offset:184
	s_mov_b32 s0, exec_lo
	s_wait_loadcnt 0x0
	ds_store_b64 v1, v[116:117]
	s_wait_dscnt 0x0
	s_barrier_signal -1
	s_barrier_wait -1
	v_cmpx_gt_u32_e32 23, v0
	s_cbranch_execz .LBB119_107
; %bb.104:
	v_dual_mov_b32 v116, 0 :: v_dual_add_nc_u32 v9, -1, v0
	v_add_nc_u32_e32 v11, 0x1c0, v114
	v_mov_b32_e32 v13, v114
	s_mov_b32 s1, 0
	s_delay_alu instid0(VALU_DEP_3)
	v_mov_b32_e32 v117, v116
.LBB119_105:                            ; =>This Inner Loop Header: Depth=1
	scratch_load_b64 v[118:119], v13, off
	ds_load_b64 v[120:121], v11
	s_wait_xcnt 0x0
	v_dual_add_nc_u32 v11, 8, v11 :: v_dual_add_nc_u32 v13, 8, v13
	s_wait_loadcnt_dscnt 0x0
	v_pk_mul_f32 v[122:123], v[120:121], v[118:119] op_sel:[1,1] op_sel_hi:[0,1]
	s_delay_alu instid0(VALU_DEP_1) | instskip(SKIP_2) | instid1(VALU_DEP_3)
	v_pk_fma_f32 v[124:125], v[120:121], v[118:119], v[122:123] op_sel_hi:[1,0,1]
	v_add_nc_u32_e32 v9, 1, v9
	v_pk_fma_f32 v[118:119], v[120:121], v[118:119], v[122:123] neg_lo:[0,0,1] neg_hi:[0,0,1]
	v_mov_b32_e32 v119, v125
	s_delay_alu instid0(VALU_DEP_3) | instskip(NEXT) | instid1(VALU_DEP_2)
	v_cmp_lt_u32_e32 vcc_lo, 21, v9
	v_pk_add_f32 v[116:117], v[116:117], v[118:119]
	s_or_b32 s1, vcc_lo, s1
	s_delay_alu instid0(SALU_CYCLE_1)
	s_and_not1_b32 exec_lo, exec_lo, s1
	s_cbranch_execnz .LBB119_105
; %bb.106:
	s_or_b32 exec_lo, exec_lo, s1
	v_mov_b32_e32 v9, 0
	ds_load_b64 v[118:119], v9 offset:184
	s_wait_dscnt 0x0
	v_pk_mul_f32 v[120:121], v[116:117], v[118:119] op_sel:[1,1] op_sel_hi:[0,1]
	s_delay_alu instid0(VALU_DEP_1) | instskip(SKIP_1) | instid1(VALU_DEP_2)
	v_pk_fma_f32 v[122:123], v[116:117], v[118:119], v[120:121] op_sel_hi:[1,0,1]
	v_pk_fma_f32 v[116:117], v[116:117], v[118:119], v[120:121] neg_lo:[0,0,1] neg_hi:[0,0,1]
	v_mov_b32_e32 v117, v123
	scratch_store_b64 off, v[116:117], off offset:184
.LBB119_107:
	s_wait_xcnt 0x0
	s_or_b32 exec_lo, exec_lo, s0
	s_wait_storecnt 0x0
	s_barrier_signal -1
	s_barrier_wait -1
	scratch_load_b64 v[116:117], off, off offset:192
	;; [unrolled: 52-line block ×33, first 2 shown]
	s_mov_b32 s0, exec_lo
	s_wait_loadcnt 0x0
	ds_store_b64 v1, v[116:117]
	s_wait_dscnt 0x0
	s_barrier_signal -1
	s_barrier_wait -1
	v_cmpx_ne_u32_e32 55, v0
	s_cbranch_execz .LBB119_235
; %bb.232:
	v_dual_mov_b32 v116, 0 :: v_dual_mov_b32 v9, v114
	s_mov_b32 s1, 0
	s_delay_alu instid0(VALU_DEP_1)
	v_mov_b32_e32 v117, v116
.LBB119_233:                            ; =>This Inner Loop Header: Depth=1
	scratch_load_b64 v[114:115], v9, off
	ds_load_b64 v[118:119], v1
	v_add_nc_u32_e32 v1, 8, v1
	s_wait_xcnt 0x0
	v_add_nc_u32_e32 v9, 8, v9
	s_wait_loadcnt_dscnt 0x0
	v_pk_mul_f32 v[120:121], v[118:119], v[114:115] op_sel:[1,1] op_sel_hi:[0,1]
	s_delay_alu instid0(VALU_DEP_1) | instskip(SKIP_2) | instid1(VALU_DEP_3)
	v_pk_fma_f32 v[122:123], v[118:119], v[114:115], v[120:121] op_sel_hi:[1,0,1]
	v_add_nc_u32_e32 v7, 1, v7
	v_pk_fma_f32 v[114:115], v[118:119], v[114:115], v[120:121] neg_lo:[0,0,1] neg_hi:[0,0,1]
	v_mov_b32_e32 v115, v123
	s_delay_alu instid0(VALU_DEP_3) | instskip(NEXT) | instid1(VALU_DEP_2)
	v_cmp_lt_u32_e32 vcc_lo, 53, v7
	v_pk_add_f32 v[116:117], v[116:117], v[114:115]
	s_or_b32 s1, vcc_lo, s1
	s_delay_alu instid0(SALU_CYCLE_1)
	s_and_not1_b32 exec_lo, exec_lo, s1
	s_cbranch_execnz .LBB119_233
; %bb.234:
	s_or_b32 exec_lo, exec_lo, s1
	v_mov_b32_e32 v1, 0
	ds_load_b64 v[114:115], v1 offset:440
	s_wait_dscnt 0x0
	v_pk_mul_f32 v[118:119], v[116:117], v[114:115] op_sel:[1,1] op_sel_hi:[0,1]
	s_delay_alu instid0(VALU_DEP_1) | instskip(SKIP_1) | instid1(VALU_DEP_2)
	v_pk_fma_f32 v[120:121], v[116:117], v[114:115], v[118:119] op_sel_hi:[1,0,1]
	v_pk_fma_f32 v[114:115], v[116:117], v[114:115], v[118:119] neg_lo:[0,0,1] neg_hi:[0,0,1]
	v_mov_b32_e32 v115, v121
	scratch_store_b64 off, v[114:115], off offset:440
.LBB119_235:
	s_wait_xcnt 0x0
	s_or_b32 exec_lo, exec_lo, s0
	s_mov_b32 s1, -1
	s_wait_storecnt 0x0
	s_barrier_signal -1
	s_barrier_wait -1
.LBB119_236:
	s_and_b32 vcc_lo, exec_lo, s1
	s_cbranch_vccz .LBB119_238
; %bb.237:
	v_mov_b32_e32 v1, 0
	s_lshl_b64 s[0:1], s[10:11], 2
	s_delay_alu instid0(SALU_CYCLE_1)
	s_add_nc_u64 s[0:1], s[6:7], s[0:1]
	global_load_b32 v1, v1, s[0:1]
	s_wait_loadcnt 0x0
	v_cmp_ne_u32_e32 vcc_lo, 0, v1
	s_cbranch_vccz .LBB119_239
.LBB119_238:
	s_sendmsg sendmsg(MSG_DEALLOC_VGPRS)
	s_endpgm
.LBB119_239:
	s_wait_xcnt 0x0
	v_lshl_add_u32 v1, v0, 3, 0x1c0
	s_mov_b32 s0, exec_lo
	v_cmpx_eq_u32_e32 55, v0
	s_cbranch_execz .LBB119_241
; %bb.240:
	scratch_load_b64 v[114:115], off, off offset:432
	v_mov_b64_e32 v[116:117], 0
	scratch_store_b64 off, v[116:117], off offset:432
	s_wait_loadcnt 0x0
	ds_store_b64 v1, v[114:115]
.LBB119_241:
	s_wait_xcnt 0x0
	s_or_b32 exec_lo, exec_lo, s0
	s_wait_storecnt_dscnt 0x0
	s_barrier_signal -1
	s_barrier_wait -1
	s_clause 0x1
	scratch_load_b64 v[114:115], off, off offset:440
	scratch_load_b64 v[116:117], off, off offset:432
	v_mov_b32_e32 v7, 0
	s_mov_b32 s0, exec_lo
	ds_load_b64 v[118:119], v7 offset:888
	s_wait_loadcnt_dscnt 0x100
	v_pk_mul_f32 v[120:121], v[118:119], v[114:115] op_sel:[1,1] op_sel_hi:[0,1]
	s_delay_alu instid0(VALU_DEP_1) | instskip(SKIP_1) | instid1(VALU_DEP_2)
	v_pk_fma_f32 v[122:123], v[118:119], v[114:115], v[120:121] op_sel_hi:[1,0,1]
	v_pk_fma_f32 v[114:115], v[118:119], v[114:115], v[120:121] neg_lo:[0,0,1] neg_hi:[0,0,1]
	v_mov_b32_e32 v115, v123
	s_delay_alu instid0(VALU_DEP_1) | instskip(SKIP_1) | instid1(VALU_DEP_1)
	v_pk_add_f32 v[114:115], v[114:115], 0 op_sel_hi:[1,0]
	s_wait_loadcnt 0x0
	v_pk_add_f32 v[114:115], v[116:117], v[114:115] neg_lo:[0,1] neg_hi:[0,1]
	scratch_store_b64 off, v[114:115], off offset:432
	s_wait_xcnt 0x0
	v_cmpx_lt_u32_e32 53, v0
	s_cbranch_execz .LBB119_243
; %bb.242:
	scratch_load_b64 v[114:115], off, off offset:424
	v_mov_b64_e32 v[116:117], 0
	scratch_store_b64 off, v[116:117], off offset:424
	s_wait_loadcnt 0x0
	ds_store_b64 v1, v[114:115]
.LBB119_243:
	s_wait_xcnt 0x0
	s_or_b32 exec_lo, exec_lo, s0
	s_wait_storecnt_dscnt 0x0
	s_barrier_signal -1
	s_barrier_wait -1
	s_clause 0x1
	scratch_load_b128 v[114:117], off, off offset:432
	scratch_load_b64 v[122:123], off, off offset:424
	ds_load_b128 v[118:121], v7 offset:880
	s_mov_b32 s0, exec_lo
	s_wait_dscnt 0x0
	v_dual_mov_b32 v124, v121 :: v_dual_mov_b32 v125, v120
	s_wait_loadcnt 0x1
	v_pk_mul_f32 v[126:127], v[118:119], v[114:115] op_sel:[1,1] op_sel_hi:[0,1]
	s_delay_alu instid0(VALU_DEP_1) | instskip(SKIP_2) | instid1(VALU_DEP_3)
	v_pk_fma_f32 v[130:131], v[118:119], v[114:115], v[126:127] op_sel_hi:[1,0,1]
	v_mov_b32_e32 v128, v117
	v_pk_fma_f32 v[114:115], v[118:119], v[114:115], v[126:127] neg_lo:[0,0,1] neg_hi:[0,0,1]
	v_mov_b32_e32 v115, v131
	s_delay_alu instid0(VALU_DEP_3) | instskip(NEXT) | instid1(VALU_DEP_2)
	v_pk_mul_f32 v[124:125], v[124:125], v[128:129] op_sel_hi:[1,0]
	v_pk_add_f32 v[114:115], v[114:115], 0 op_sel_hi:[1,0]
	s_delay_alu instid0(VALU_DEP_2) | instskip(SKIP_1) | instid1(VALU_DEP_2)
	v_pk_fma_f32 v[118:119], v[120:121], v[116:117], v[124:125] op_sel_hi:[1,0,1]
	v_pk_fma_f32 v[116:117], v[120:121], v[116:117], v[124:125] neg_lo:[0,0,1] neg_hi:[0,0,1]
	v_mov_b32_e32 v117, v119
	s_delay_alu instid0(VALU_DEP_1) | instskip(SKIP_1) | instid1(VALU_DEP_1)
	v_pk_add_f32 v[114:115], v[114:115], v[116:117]
	s_wait_loadcnt 0x0
	v_pk_add_f32 v[114:115], v[122:123], v[114:115] neg_lo:[0,1] neg_hi:[0,1]
	scratch_store_b64 off, v[114:115], off offset:424
	s_wait_xcnt 0x0
	v_cmpx_lt_u32_e32 52, v0
	s_cbranch_execz .LBB119_245
; %bb.244:
	scratch_load_b64 v[114:115], off, off offset:416
	v_mov_b64_e32 v[116:117], 0
	scratch_store_b64 off, v[116:117], off offset:416
	s_wait_loadcnt 0x0
	ds_store_b64 v1, v[114:115]
.LBB119_245:
	s_wait_xcnt 0x0
	s_or_b32 exec_lo, exec_lo, s0
	s_wait_storecnt_dscnt 0x0
	s_barrier_signal -1
	s_barrier_wait -1
	s_clause 0x2
	scratch_load_b128 v[114:117], off, off offset:424
	scratch_load_b64 v[122:123], off, off offset:440
	scratch_load_b64 v[124:125], off, off offset:416
	v_mov_b32_e32 v7, 0
	ds_load_2addr_b64 v[118:121], v7 offset0:109 offset1:110
	ds_load_b64 v[126:127], v7 offset:888
	s_mov_b32 s0, exec_lo
	s_wait_dscnt 0x1
	v_dual_mov_b32 v128, v121 :: v_dual_mov_b32 v129, v120
	s_wait_loadcnt 0x2
	v_mov_b32_e32 v132, v117
	v_pk_mul_f32 v[130:131], v[118:119], v[114:115] op_sel:[1,1] op_sel_hi:[0,1]
	s_delay_alu instid0(VALU_DEP_2) | instskip(NEXT) | instid1(VALU_DEP_2)
	v_pk_mul_f32 v[128:129], v[128:129], v[132:133] op_sel_hi:[1,0]
	v_pk_fma_f32 v[134:135], v[118:119], v[114:115], v[130:131] op_sel_hi:[1,0,1]
	v_pk_fma_f32 v[114:115], v[118:119], v[114:115], v[130:131] neg_lo:[0,0,1] neg_hi:[0,0,1]
	s_wait_loadcnt_dscnt 0x100
	v_pk_mul_f32 v[130:131], v[126:127], v[122:123] op_sel:[1,1] op_sel_hi:[0,1]
	v_pk_fma_f32 v[118:119], v[120:121], v[116:117], v[128:129] op_sel_hi:[1,0,1]
	v_mov_b32_e32 v115, v135
	v_pk_fma_f32 v[116:117], v[120:121], v[116:117], v[128:129] neg_lo:[0,0,1] neg_hi:[0,0,1]
	s_delay_alu instid0(VALU_DEP_4) | instskip(NEXT) | instid1(VALU_DEP_4)
	v_pk_fma_f32 v[120:121], v[126:127], v[122:123], v[130:131] neg_lo:[0,0,1] neg_hi:[0,0,1]
	v_mov_b32_e32 v117, v119
	s_delay_alu instid0(VALU_DEP_4) | instskip(SKIP_1) | instid1(VALU_DEP_2)
	v_pk_add_f32 v[114:115], v[114:115], 0 op_sel_hi:[1,0]
	v_pk_fma_f32 v[118:119], v[126:127], v[122:123], v[130:131] op_sel_hi:[1,0,1]
	v_pk_add_f32 v[114:115], v[114:115], v[116:117]
	s_delay_alu instid0(VALU_DEP_2) | instskip(NEXT) | instid1(VALU_DEP_1)
	v_mov_b32_e32 v121, v119
	v_pk_add_f32 v[114:115], v[114:115], v[120:121]
	s_wait_loadcnt 0x0
	s_delay_alu instid0(VALU_DEP_1)
	v_pk_add_f32 v[114:115], v[124:125], v[114:115] neg_lo:[0,1] neg_hi:[0,1]
	scratch_store_b64 off, v[114:115], off offset:416
	s_wait_xcnt 0x0
	v_cmpx_lt_u32_e32 51, v0
	s_cbranch_execz .LBB119_247
; %bb.246:
	scratch_load_b64 v[114:115], off, off offset:408
	v_mov_b64_e32 v[116:117], 0
	scratch_store_b64 off, v[116:117], off offset:408
	s_wait_loadcnt 0x0
	ds_store_b64 v1, v[114:115]
.LBB119_247:
	s_wait_xcnt 0x0
	s_or_b32 exec_lo, exec_lo, s0
	s_wait_storecnt_dscnt 0x0
	s_barrier_signal -1
	s_barrier_wait -1
	s_clause 0x2
	scratch_load_b128 v[114:117], off, off offset:416
	scratch_load_b128 v[118:121], off, off offset:432
	scratch_load_b64 v[130:131], off, off offset:408
	ds_load_b128 v[122:125], v7 offset:864
	ds_load_b128 v[126:129], v7 offset:880
	s_mov_b32 s0, exec_lo
	s_wait_dscnt 0x1
	v_dual_mov_b32 v132, v125 :: v_dual_mov_b32 v133, v124
	s_wait_loadcnt_dscnt 0x200
	v_dual_mov_b32 v138, v129 :: v_dual_mov_b32 v136, v117
	v_pk_mul_f32 v[134:135], v[122:123], v[114:115] op_sel:[1,1] op_sel_hi:[0,1]
	s_delay_alu instid0(VALU_DEP_2) | instskip(NEXT) | instid1(VALU_DEP_2)
	v_pk_mul_f32 v[132:133], v[132:133], v[136:137] op_sel_hi:[1,0]
	v_pk_fma_f32 v[140:141], v[122:123], v[114:115], v[134:135] op_sel_hi:[1,0,1]
	v_pk_fma_f32 v[114:115], v[122:123], v[114:115], v[134:135] neg_lo:[0,0,1] neg_hi:[0,0,1]
	v_mov_b32_e32 v139, v128
	s_wait_loadcnt 0x1
	v_pk_mul_f32 v[136:137], v[126:127], v[118:119] op_sel:[1,1] op_sel_hi:[0,1]
	v_pk_fma_f32 v[122:123], v[124:125], v[116:117], v[132:133] op_sel_hi:[1,0,1]
	v_dual_mov_b32 v115, v141 :: v_dual_mov_b32 v122, v121
	v_pk_fma_f32 v[116:117], v[124:125], v[116:117], v[132:133] neg_lo:[0,0,1] neg_hi:[0,0,1]
	s_delay_alu instid0(VALU_DEP_4) | instskip(NEXT) | instid1(VALU_DEP_4)
	v_pk_fma_f32 v[134:135], v[126:127], v[118:119], v[136:137] op_sel_hi:[1,0,1]
	v_mov_b32_e32 v117, v123
	s_delay_alu instid0(VALU_DEP_4) | instskip(SKIP_2) | instid1(VALU_DEP_3)
	v_pk_add_f32 v[114:115], v[114:115], 0 op_sel_hi:[1,0]
	v_pk_mul_f32 v[122:123], v[138:139], v[122:123] op_sel_hi:[1,0]
	v_pk_fma_f32 v[118:119], v[126:127], v[118:119], v[136:137] neg_lo:[0,0,1] neg_hi:[0,0,1]
	v_pk_add_f32 v[114:115], v[114:115], v[116:117]
	s_delay_alu instid0(VALU_DEP_3) | instskip(SKIP_2) | instid1(VALU_DEP_3)
	v_pk_fma_f32 v[116:117], v[128:129], v[120:121], v[122:123] op_sel_hi:[1,0,1]
	v_mov_b32_e32 v119, v135
	v_pk_fma_f32 v[120:121], v[128:129], v[120:121], v[122:123] neg_lo:[0,0,1] neg_hi:[0,0,1]
	v_mov_b32_e32 v121, v117
	s_delay_alu instid0(VALU_DEP_3) | instskip(NEXT) | instid1(VALU_DEP_1)
	v_pk_add_f32 v[114:115], v[114:115], v[118:119]
	v_pk_add_f32 v[114:115], v[114:115], v[120:121]
	s_wait_loadcnt 0x0
	s_delay_alu instid0(VALU_DEP_1)
	v_pk_add_f32 v[114:115], v[130:131], v[114:115] neg_lo:[0,1] neg_hi:[0,1]
	scratch_store_b64 off, v[114:115], off offset:408
	s_wait_xcnt 0x0
	v_cmpx_lt_u32_e32 50, v0
	s_cbranch_execz .LBB119_249
; %bb.248:
	scratch_load_b64 v[114:115], off, off offset:400
	v_mov_b64_e32 v[116:117], 0
	scratch_store_b64 off, v[116:117], off offset:400
	s_wait_loadcnt 0x0
	ds_store_b64 v1, v[114:115]
.LBB119_249:
	s_wait_xcnt 0x0
	s_or_b32 exec_lo, exec_lo, s0
	s_wait_storecnt_dscnt 0x0
	s_barrier_signal -1
	s_barrier_wait -1
	s_clause 0x3
	scratch_load_b128 v[114:117], off, off offset:408
	scratch_load_b128 v[118:121], off, off offset:424
	scratch_load_b64 v[130:131], off, off offset:440
	scratch_load_b64 v[132:133], off, off offset:400
	v_mov_b32_e32 v7, 0
	ds_load_2addr_b64 v[122:125], v7 offset0:107 offset1:108
	ds_load_2addr_b64 v[126:129], v7 offset0:109 offset1:110
	s_mov_b32 s0, exec_lo
	s_wait_dscnt 0x1
	v_dual_mov_b32 v134, v125 :: v_dual_mov_b32 v135, v124
	ds_load_b64 v[140:141], v7 offset:888
	s_wait_dscnt 0x1
	v_dual_mov_b32 v142, v129 :: v_dual_mov_b32 v143, v128
	s_wait_loadcnt 0x3
	v_pk_mul_f32 v[136:137], v[122:123], v[114:115] op_sel:[1,1] op_sel_hi:[0,1]
	v_mov_b32_e32 v138, v117
	s_delay_alu instid0(VALU_DEP_2) | instskip(NEXT) | instid1(VALU_DEP_2)
	v_pk_fma_f32 v[144:145], v[122:123], v[114:115], v[136:137] op_sel_hi:[1,0,1]
	v_pk_mul_f32 v[134:135], v[134:135], v[138:139] op_sel_hi:[1,0]
	v_pk_fma_f32 v[114:115], v[122:123], v[114:115], v[136:137] neg_lo:[0,0,1] neg_hi:[0,0,1]
	s_wait_loadcnt 0x2
	v_pk_mul_f32 v[138:139], v[126:127], v[118:119] op_sel:[1,1] op_sel_hi:[0,1]
	v_dual_mov_b32 v144, v121 :: v_dual_mov_b32 v115, v145
	v_pk_fma_f32 v[122:123], v[124:125], v[116:117], v[134:135] op_sel_hi:[1,0,1]
	v_pk_fma_f32 v[116:117], v[124:125], v[116:117], v[134:135] neg_lo:[0,0,1] neg_hi:[0,0,1]
	s_delay_alu instid0(VALU_DEP_4) | instskip(NEXT) | instid1(VALU_DEP_4)
	v_pk_fma_f32 v[136:137], v[126:127], v[118:119], v[138:139] op_sel_hi:[1,0,1]
	v_pk_mul_f32 v[142:143], v[142:143], v[144:145] op_sel_hi:[1,0]
	v_pk_add_f32 v[114:115], v[114:115], 0 op_sel_hi:[1,0]
	v_mov_b32_e32 v117, v123
	v_pk_fma_f32 v[118:119], v[126:127], v[118:119], v[138:139] neg_lo:[0,0,1] neg_hi:[0,0,1]
	v_mov_b32_e32 v119, v137
	v_pk_fma_f32 v[122:123], v[128:129], v[120:121], v[142:143] op_sel_hi:[1,0,1]
	v_pk_fma_f32 v[120:121], v[128:129], v[120:121], v[142:143] neg_lo:[0,0,1] neg_hi:[0,0,1]
	v_pk_add_f32 v[114:115], v[114:115], v[116:117]
	s_wait_loadcnt_dscnt 0x100
	v_pk_mul_f32 v[116:117], v[140:141], v[130:131] op_sel:[1,1] op_sel_hi:[0,1]
	s_delay_alu instid0(VALU_DEP_2) | instskip(NEXT) | instid1(VALU_DEP_2)
	v_pk_add_f32 v[114:115], v[114:115], v[118:119]
	v_pk_fma_f32 v[118:119], v[140:141], v[130:131], v[116:117] op_sel_hi:[1,0,1]
	v_mov_b32_e32 v121, v123
	v_pk_fma_f32 v[116:117], v[140:141], v[130:131], v[116:117] neg_lo:[0,0,1] neg_hi:[0,0,1]
	s_delay_alu instid0(VALU_DEP_3) | instskip(NEXT) | instid1(VALU_DEP_3)
	v_mov_b32_e32 v117, v119
	v_pk_add_f32 v[114:115], v[114:115], v[120:121]
	s_delay_alu instid0(VALU_DEP_1) | instskip(SKIP_1) | instid1(VALU_DEP_1)
	v_pk_add_f32 v[114:115], v[114:115], v[116:117]
	s_wait_loadcnt 0x0
	v_pk_add_f32 v[114:115], v[132:133], v[114:115] neg_lo:[0,1] neg_hi:[0,1]
	scratch_store_b64 off, v[114:115], off offset:400
	s_wait_xcnt 0x0
	v_cmpx_lt_u32_e32 49, v0
	s_cbranch_execz .LBB119_251
; %bb.250:
	scratch_load_b64 v[114:115], off, off offset:392
	v_mov_b64_e32 v[116:117], 0
	scratch_store_b64 off, v[116:117], off offset:392
	s_wait_loadcnt 0x0
	ds_store_b64 v1, v[114:115]
.LBB119_251:
	s_wait_xcnt 0x0
	s_or_b32 exec_lo, exec_lo, s0
	s_wait_storecnt_dscnt 0x0
	s_barrier_signal -1
	s_barrier_wait -1
	s_clause 0x3
	scratch_load_b128 v[114:117], off, off offset:400
	scratch_load_b128 v[118:121], off, off offset:416
	;; [unrolled: 1-line block ×3, first 2 shown]
	scratch_load_b64 v[138:139], off, off offset:392
	ds_load_b128 v[126:129], v7 offset:848
	ds_load_b128 v[130:133], v7 offset:864
	ds_load_b128 v[134:137], v7 offset:880
	s_mov_b32 s0, exec_lo
	s_wait_dscnt 0x2
	v_dual_mov_b32 v140, v129 :: v_dual_mov_b32 v141, v128
	s_wait_dscnt 0x1
	v_dual_mov_b32 v142, v133 :: v_dual_mov_b32 v143, v132
	;; [unrolled: 2-line block ×3, first 2 shown]
	s_wait_loadcnt 0x3
	v_pk_mul_f32 v[144:145], v[126:127], v[114:115] op_sel:[1,1] op_sel_hi:[0,1]
	v_mov_b32_e32 v146, v117
	s_delay_alu instid0(VALU_DEP_2) | instskip(NEXT) | instid1(VALU_DEP_2)
	v_pk_fma_f32 v[150:151], v[126:127], v[114:115], v[144:145] op_sel_hi:[1,0,1]
	v_pk_mul_f32 v[140:141], v[140:141], v[146:147] op_sel_hi:[1,0]
	v_pk_fma_f32 v[114:115], v[126:127], v[114:115], v[144:145] neg_lo:[0,0,1] neg_hi:[0,0,1]
	s_wait_loadcnt 0x2
	v_pk_mul_f32 v[146:147], v[130:131], v[118:119] op_sel:[1,1] op_sel_hi:[0,1]
	v_mov_b32_e32 v150, v121
	v_pk_fma_f32 v[126:127], v[128:129], v[116:117], v[140:141] op_sel_hi:[1,0,1]
	v_mov_b32_e32 v115, v151
	v_pk_fma_f32 v[116:117], v[128:129], v[116:117], v[140:141] neg_lo:[0,0,1] neg_hi:[0,0,1]
	v_pk_fma_f32 v[144:145], v[130:131], v[118:119], v[146:147] op_sel_hi:[1,0,1]
	v_pk_mul_f32 v[142:143], v[142:143], v[150:151] op_sel_hi:[1,0]
	v_mov_b32_e32 v117, v127
	v_pk_add_f32 v[114:115], v[114:115], 0 op_sel_hi:[1,0]
	v_pk_fma_f32 v[118:119], v[130:131], v[118:119], v[146:147] neg_lo:[0,0,1] neg_hi:[0,0,1]
	s_wait_loadcnt 0x1
	v_pk_mul_f32 v[126:127], v[134:135], v[122:123] op_sel:[1,1] op_sel_hi:[0,1]
	v_mov_b32_e32 v119, v145
	v_pk_fma_f32 v[128:129], v[132:133], v[120:121], v[142:143] op_sel_hi:[1,0,1]
	v_pk_add_f32 v[114:115], v[114:115], v[116:117]
	v_mov_b32_e32 v116, v125
	v_pk_fma_f32 v[120:121], v[132:133], v[120:121], v[142:143] neg_lo:[0,0,1] neg_hi:[0,0,1]
	v_pk_fma_f32 v[130:131], v[134:135], v[122:123], v[126:127] op_sel_hi:[1,0,1]
	v_mov_b32_e32 v121, v129
	v_pk_add_f32 v[114:115], v[114:115], v[118:119]
	v_pk_mul_f32 v[116:117], v[148:149], v[116:117] op_sel_hi:[1,0]
	v_pk_fma_f32 v[118:119], v[134:135], v[122:123], v[126:127] neg_lo:[0,0,1] neg_hi:[0,0,1]
	v_mov_b32_e32 v119, v131
	s_delay_alu instid0(VALU_DEP_4) | instskip(NEXT) | instid1(VALU_DEP_4)
	v_pk_add_f32 v[114:115], v[114:115], v[120:121]
	v_pk_fma_f32 v[120:121], v[136:137], v[124:125], v[116:117] op_sel_hi:[1,0,1]
	v_pk_fma_f32 v[116:117], v[136:137], v[124:125], v[116:117] neg_lo:[0,0,1] neg_hi:[0,0,1]
	s_delay_alu instid0(VALU_DEP_3) | instskip(NEXT) | instid1(VALU_DEP_3)
	v_pk_add_f32 v[114:115], v[114:115], v[118:119]
	v_mov_b32_e32 v117, v121
	s_delay_alu instid0(VALU_DEP_1) | instskip(SKIP_1) | instid1(VALU_DEP_1)
	v_pk_add_f32 v[114:115], v[114:115], v[116:117]
	s_wait_loadcnt 0x0
	v_pk_add_f32 v[114:115], v[138:139], v[114:115] neg_lo:[0,1] neg_hi:[0,1]
	scratch_store_b64 off, v[114:115], off offset:392
	s_wait_xcnt 0x0
	v_cmpx_lt_u32_e32 48, v0
	s_cbranch_execz .LBB119_253
; %bb.252:
	scratch_load_b64 v[114:115], off, off offset:384
	v_mov_b64_e32 v[116:117], 0
	scratch_store_b64 off, v[116:117], off offset:384
	s_wait_loadcnt 0x0
	ds_store_b64 v1, v[114:115]
.LBB119_253:
	s_wait_xcnt 0x0
	s_or_b32 exec_lo, exec_lo, s0
	s_wait_storecnt_dscnt 0x0
	s_barrier_signal -1
	s_barrier_wait -1
	s_clause 0x4
	scratch_load_b128 v[114:117], off, off offset:392
	scratch_load_b128 v[118:121], off, off offset:408
	;; [unrolled: 1-line block ×3, first 2 shown]
	scratch_load_b64 v[138:139], off, off offset:440
	scratch_load_b64 v[140:141], off, off offset:384
	v_mov_b32_e32 v7, 0
	ds_load_2addr_b64 v[126:129], v7 offset0:105 offset1:106
	ds_load_2addr_b64 v[130:133], v7 offset0:107 offset1:108
	;; [unrolled: 1-line block ×3, first 2 shown]
	ds_load_b64 v[142:143], v7 offset:888
	s_mov_b32 s0, exec_lo
	s_wait_dscnt 0x3
	v_dual_mov_b32 v144, v129 :: v_dual_mov_b32 v145, v128
	s_wait_dscnt 0x2
	v_dual_mov_b32 v146, v133 :: v_dual_mov_b32 v147, v132
	s_wait_dscnt 0x1
	v_dual_mov_b32 v152, v137 :: v_dual_mov_b32 v153, v136
	s_wait_loadcnt 0x4
	v_pk_mul_f32 v[148:149], v[126:127], v[114:115] op_sel:[1,1] op_sel_hi:[0,1]
	v_mov_b32_e32 v150, v117
	s_wait_loadcnt 0x3
	v_pk_mul_f32 v[154:155], v[130:131], v[118:119] op_sel:[1,1] op_sel_hi:[0,1]
	s_wait_loadcnt 0x2
	v_pk_mul_f32 v[158:159], v[134:135], v[122:123] op_sel:[1,1] op_sel_hi:[0,1]
	v_pk_fma_f32 v[156:157], v[126:127], v[114:115], v[148:149] op_sel_hi:[1,0,1]
	v_pk_mul_f32 v[144:145], v[144:145], v[150:151] op_sel_hi:[1,0]
	v_pk_fma_f32 v[114:115], v[126:127], v[114:115], v[148:149] neg_lo:[0,0,1] neg_hi:[0,0,1]
	v_mov_b32_e32 v150, v121
	v_pk_fma_f32 v[148:149], v[130:131], v[118:119], v[154:155] op_sel_hi:[1,0,1]
	v_mov_b32_e32 v115, v157
	v_pk_fma_f32 v[126:127], v[128:129], v[116:117], v[144:145] op_sel_hi:[1,0,1]
	v_pk_fma_f32 v[116:117], v[128:129], v[116:117], v[144:145] neg_lo:[0,0,1] neg_hi:[0,0,1]
	v_pk_mul_f32 v[146:147], v[146:147], v[150:151] op_sel_hi:[1,0]
	v_pk_fma_f32 v[118:119], v[130:131], v[118:119], v[154:155] neg_lo:[0,0,1] neg_hi:[0,0,1]
	v_pk_add_f32 v[114:115], v[114:115], 0 op_sel_hi:[1,0]
	v_dual_mov_b32 v117, v127 :: v_dual_mov_b32 v126, v125
	s_delay_alu instid0(VALU_DEP_4) | instskip(SKIP_2) | instid1(VALU_DEP_4)
	v_pk_fma_f32 v[128:129], v[132:133], v[120:121], v[146:147] op_sel_hi:[1,0,1]
	v_mov_b32_e32 v119, v149
	v_pk_fma_f32 v[120:121], v[132:133], v[120:121], v[146:147] neg_lo:[0,0,1] neg_hi:[0,0,1]
	v_pk_add_f32 v[114:115], v[114:115], v[116:117]
	v_pk_fma_f32 v[116:117], v[134:135], v[122:123], v[158:159] op_sel_hi:[1,0,1]
	v_pk_mul_f32 v[126:127], v[152:153], v[126:127] op_sel_hi:[1,0]
	v_mov_b32_e32 v121, v129
	s_delay_alu instid0(VALU_DEP_4)
	v_pk_add_f32 v[114:115], v[114:115], v[118:119]
	v_pk_fma_f32 v[118:119], v[134:135], v[122:123], v[158:159] neg_lo:[0,0,1] neg_hi:[0,0,1]
	v_mov_b32_e32 v119, v117
	v_pk_fma_f32 v[116:117], v[136:137], v[124:125], v[126:127] op_sel_hi:[1,0,1]
	v_pk_fma_f32 v[122:123], v[136:137], v[124:125], v[126:127] neg_lo:[0,0,1] neg_hi:[0,0,1]
	v_pk_add_f32 v[114:115], v[114:115], v[120:121]
	s_wait_loadcnt_dscnt 0x100
	v_pk_mul_f32 v[120:121], v[142:143], v[138:139] op_sel:[1,1] op_sel_hi:[0,1]
	v_mov_b32_e32 v123, v117
	s_delay_alu instid0(VALU_DEP_3) | instskip(NEXT) | instid1(VALU_DEP_3)
	v_pk_add_f32 v[114:115], v[114:115], v[118:119]
	v_pk_fma_f32 v[116:117], v[142:143], v[138:139], v[120:121] op_sel_hi:[1,0,1]
	v_pk_fma_f32 v[118:119], v[142:143], v[138:139], v[120:121] neg_lo:[0,0,1] neg_hi:[0,0,1]
	s_delay_alu instid0(VALU_DEP_3) | instskip(NEXT) | instid1(VALU_DEP_3)
	v_pk_add_f32 v[114:115], v[114:115], v[122:123]
	v_mov_b32_e32 v119, v117
	s_delay_alu instid0(VALU_DEP_1) | instskip(SKIP_1) | instid1(VALU_DEP_1)
	v_pk_add_f32 v[114:115], v[114:115], v[118:119]
	s_wait_loadcnt 0x0
	v_pk_add_f32 v[114:115], v[140:141], v[114:115] neg_lo:[0,1] neg_hi:[0,1]
	scratch_store_b64 off, v[114:115], off offset:384
	s_wait_xcnt 0x0
	v_cmpx_lt_u32_e32 47, v0
	s_cbranch_execz .LBB119_255
; %bb.254:
	scratch_load_b64 v[114:115], off, off offset:376
	v_mov_b64_e32 v[116:117], 0
	scratch_store_b64 off, v[116:117], off offset:376
	s_wait_loadcnt 0x0
	ds_store_b64 v1, v[114:115]
.LBB119_255:
	s_wait_xcnt 0x0
	s_or_b32 exec_lo, exec_lo, s0
	s_wait_storecnt_dscnt 0x0
	s_barrier_signal -1
	s_barrier_wait -1
	s_clause 0x4
	scratch_load_b128 v[114:117], off, off offset:384
	scratch_load_b128 v[118:121], off, off offset:400
	;; [unrolled: 1-line block ×4, first 2 shown]
	scratch_load_b64 v[146:147], off, off offset:376
	ds_load_b128 v[130:133], v7 offset:832
	ds_load_b128 v[134:137], v7 offset:848
	;; [unrolled: 1-line block ×4, first 2 shown]
	s_mov_b32 s0, exec_lo
	s_wait_dscnt 0x3
	v_dual_mov_b32 v148, v133 :: v_dual_mov_b32 v149, v132
	s_wait_dscnt 0x2
	v_dual_mov_b32 v150, v137 :: v_dual_mov_b32 v151, v136
	;; [unrolled: 2-line block ×3, first 2 shown]
	v_dual_mov_b32 v153, v140 :: v_dual_mov_b32 v158, v145
	s_wait_loadcnt 0x4
	v_mov_b32_e32 v156, v117
	v_pk_mul_f32 v[154:155], v[130:131], v[114:115] op_sel:[1,1] op_sel_hi:[0,1]
	s_wait_loadcnt 0x3
	v_pk_mul_f32 v[160:161], v[134:135], v[118:119] op_sel:[1,1] op_sel_hi:[0,1]
	s_wait_loadcnt 0x2
	v_pk_mul_f32 v[164:165], v[138:139], v[122:123] op_sel:[1,1] op_sel_hi:[0,1]
	v_pk_mul_f32 v[148:149], v[148:149], v[156:157] op_sel_hi:[1,0]
	v_pk_fma_f32 v[162:163], v[130:131], v[114:115], v[154:155] op_sel_hi:[1,0,1]
	v_pk_fma_f32 v[114:115], v[130:131], v[114:115], v[154:155] neg_lo:[0,0,1] neg_hi:[0,0,1]
	v_mov_b32_e32 v156, v121
	v_pk_fma_f32 v[154:155], v[134:135], v[118:119], v[160:161] op_sel_hi:[1,0,1]
	v_pk_fma_f32 v[130:131], v[132:133], v[116:117], v[148:149] op_sel_hi:[1,0,1]
	v_mov_b32_e32 v115, v163
	v_pk_fma_f32 v[116:117], v[132:133], v[116:117], v[148:149] neg_lo:[0,0,1] neg_hi:[0,0,1]
	v_pk_mul_f32 v[150:151], v[150:151], v[156:157] op_sel_hi:[1,0]
	s_delay_alu instid0(VALU_DEP_4) | instskip(NEXT) | instid1(VALU_DEP_4)
	v_dual_mov_b32 v130, v125 :: v_dual_mov_b32 v117, v131
	v_pk_add_f32 v[114:115], v[114:115], 0 op_sel_hi:[1,0]
	v_pk_fma_f32 v[118:119], v[134:135], v[118:119], v[160:161] neg_lo:[0,0,1] neg_hi:[0,0,1]
	v_mov_b32_e32 v119, v155
	v_pk_fma_f32 v[132:133], v[136:137], v[120:121], v[150:151] op_sel_hi:[1,0,1]
	v_pk_mul_f32 v[130:131], v[152:153], v[130:131] op_sel_hi:[1,0]
	v_pk_add_f32 v[114:115], v[114:115], v[116:117]
	v_pk_fma_f32 v[116:117], v[138:139], v[122:123], v[164:165] op_sel_hi:[1,0,1]
	v_pk_fma_f32 v[120:121], v[136:137], v[120:121], v[150:151] neg_lo:[0,0,1] neg_hi:[0,0,1]
	v_mov_b32_e32 v121, v133
	v_pk_fma_f32 v[122:123], v[138:139], v[122:123], v[164:165] neg_lo:[0,0,1] neg_hi:[0,0,1]
	v_pk_add_f32 v[114:115], v[114:115], v[118:119]
	v_mov_b32_e32 v123, v117
	v_pk_fma_f32 v[116:117], v[140:141], v[124:125], v[130:131] op_sel_hi:[1,0,1]
	s_wait_loadcnt 0x1
	v_pk_mul_f32 v[118:119], v[142:143], v[126:127] op_sel:[1,1] op_sel_hi:[0,1]
	v_mov_b32_e32 v116, v129
	v_pk_add_f32 v[114:115], v[114:115], v[120:121]
	v_pk_fma_f32 v[124:125], v[140:141], v[124:125], v[130:131] neg_lo:[0,0,1] neg_hi:[0,0,1]
	v_mov_b32_e32 v125, v117
	v_pk_fma_f32 v[120:121], v[142:143], v[126:127], v[118:119] op_sel_hi:[1,0,1]
	v_pk_mul_f32 v[116:117], v[158:159], v[116:117] op_sel_hi:[1,0]
	v_pk_add_f32 v[114:115], v[114:115], v[122:123]
	v_pk_fma_f32 v[118:119], v[142:143], v[126:127], v[118:119] neg_lo:[0,0,1] neg_hi:[0,0,1]
	s_delay_alu instid0(VALU_DEP_4) | instskip(NEXT) | instid1(VALU_DEP_4)
	v_mov_b32_e32 v119, v121
	v_pk_fma_f32 v[120:121], v[144:145], v[128:129], v[116:117] op_sel_hi:[1,0,1]
	s_delay_alu instid0(VALU_DEP_4) | instskip(SKIP_1) | instid1(VALU_DEP_3)
	v_pk_add_f32 v[114:115], v[114:115], v[124:125]
	v_pk_fma_f32 v[116:117], v[144:145], v[128:129], v[116:117] neg_lo:[0,0,1] neg_hi:[0,0,1]
	v_mov_b32_e32 v117, v121
	s_delay_alu instid0(VALU_DEP_3) | instskip(NEXT) | instid1(VALU_DEP_1)
	v_pk_add_f32 v[114:115], v[114:115], v[118:119]
	v_pk_add_f32 v[114:115], v[114:115], v[116:117]
	s_wait_loadcnt 0x0
	s_delay_alu instid0(VALU_DEP_1)
	v_pk_add_f32 v[114:115], v[146:147], v[114:115] neg_lo:[0,1] neg_hi:[0,1]
	scratch_store_b64 off, v[114:115], off offset:376
	s_wait_xcnt 0x0
	v_cmpx_lt_u32_e32 46, v0
	s_cbranch_execz .LBB119_257
; %bb.256:
	scratch_load_b64 v[114:115], off, off offset:368
	v_mov_b64_e32 v[116:117], 0
	scratch_store_b64 off, v[116:117], off offset:368
	s_wait_loadcnt 0x0
	ds_store_b64 v1, v[114:115]
.LBB119_257:
	s_wait_xcnt 0x0
	s_or_b32 exec_lo, exec_lo, s0
	s_wait_storecnt_dscnt 0x0
	s_barrier_signal -1
	s_barrier_wait -1
	s_clause 0x5
	scratch_load_b128 v[114:117], off, off offset:376
	scratch_load_b128 v[118:121], off, off offset:392
	;; [unrolled: 1-line block ×4, first 2 shown]
	scratch_load_b64 v[146:147], off, off offset:440
	scratch_load_b64 v[148:149], off, off offset:368
	v_mov_b32_e32 v7, 0
	ds_load_2addr_b64 v[130:133], v7 offset0:103 offset1:104
	ds_load_2addr_b64 v[134:137], v7 offset0:105 offset1:106
	ds_load_2addr_b64 v[138:141], v7 offset0:107 offset1:108
	ds_load_2addr_b64 v[142:145], v7 offset0:109 offset1:110
	ds_load_b64 v[150:151], v7 offset:888
	s_mov_b32 s0, exec_lo
	s_wait_dscnt 0x4
	v_dual_mov_b32 v152, v133 :: v_dual_mov_b32 v153, v132
	s_wait_dscnt 0x1
	v_dual_mov_b32 v154, v137 :: v_dual_mov_b32 v159, v144
	v_dual_mov_b32 v155, v136 :: v_dual_mov_b32 v156, v141
	;; [unrolled: 1-line block ×3, first 2 shown]
	s_wait_loadcnt 0x5
	v_dual_mov_b32 v160, v117 :: v_dual_mul_f32 v161, v130, v115
	v_mul_f32_e32 v9, v131, v115
	s_wait_loadcnt 0x4
	v_pk_mul_f32 v[162:163], v[134:135], v[118:119] op_sel:[1,1] op_sel_hi:[0,1]
	v_mov_b32_e32 v164, v121
	s_wait_loadcnt 0x3
	v_pk_mul_f32 v[166:167], v[138:139], v[122:123] op_sel:[1,1] op_sel_hi:[0,1]
	v_pk_mul_f32 v[152:153], v[152:153], v[160:161] op_sel_hi:[1,0]
	v_fmac_f32_e32 v161, v131, v114
	v_dual_fma_f32 v160, v130, v114, -v9 :: v_dual_mov_b32 v114, v125
	v_pk_fma_f32 v[168:169], v[134:135], v[118:119], v[162:163] op_sel_hi:[1,0,1]
	s_delay_alu instid0(VALU_DEP_4)
	v_pk_fma_f32 v[130:131], v[132:133], v[116:117], v[152:153] op_sel_hi:[1,0,1]
	v_pk_fma_f32 v[116:117], v[132:133], v[116:117], v[152:153] neg_lo:[0,0,1] neg_hi:[0,0,1]
	v_pk_mul_f32 v[154:155], v[154:155], v[164:165] op_sel_hi:[1,0]
	v_pk_add_f32 v[160:161], v[160:161], 0 op_sel_hi:[1,0]
	v_pk_fma_f32 v[118:119], v[134:135], v[118:119], v[162:163] neg_lo:[0,0,1] neg_hi:[0,0,1]
	v_dual_mov_b32 v117, v131 :: v_dual_mov_b32 v119, v169
	s_delay_alu instid0(VALU_DEP_4) | instskip(SKIP_2) | instid1(VALU_DEP_4)
	v_pk_fma_f32 v[132:133], v[136:137], v[120:121], v[154:155] op_sel_hi:[1,0,1]
	v_pk_fma_f32 v[120:121], v[136:137], v[120:121], v[154:155] neg_lo:[0,0,1] neg_hi:[0,0,1]
	v_pk_fma_f32 v[134:135], v[138:139], v[122:123], v[166:167] op_sel_hi:[1,0,1]
	v_pk_add_f32 v[116:117], v[160:161], v[116:117]
	v_pk_mul_f32 v[114:115], v[156:157], v[114:115] op_sel_hi:[1,0]
	v_mov_b32_e32 v121, v133
	v_pk_fma_f32 v[122:123], v[138:139], v[122:123], v[166:167] neg_lo:[0,0,1] neg_hi:[0,0,1]
	s_wait_loadcnt 0x2
	v_pk_mul_f32 v[130:131], v[142:143], v[126:127] op_sel:[1,1] op_sel_hi:[0,1]
	v_pk_add_f32 v[116:117], v[116:117], v[118:119]
	v_mov_b32_e32 v118, v129
	v_pk_fma_f32 v[132:133], v[140:141], v[124:125], v[114:115] op_sel_hi:[1,0,1]
	v_mov_b32_e32 v123, v135
	v_pk_fma_f32 v[114:115], v[140:141], v[124:125], v[114:115] neg_lo:[0,0,1] neg_hi:[0,0,1]
	v_pk_add_f32 v[116:117], v[116:117], v[120:121]
	v_pk_fma_f32 v[120:121], v[142:143], v[126:127], v[130:131] op_sel_hi:[1,0,1]
	v_pk_mul_f32 v[118:119], v[158:159], v[118:119] op_sel_hi:[1,0]
	v_mov_b32_e32 v115, v133
	s_delay_alu instid0(VALU_DEP_4)
	v_pk_add_f32 v[116:117], v[116:117], v[122:123]
	v_pk_fma_f32 v[122:123], v[142:143], v[126:127], v[130:131] neg_lo:[0,0,1] neg_hi:[0,0,1]
	v_mov_b32_e32 v123, v121
	v_pk_fma_f32 v[120:121], v[144:145], v[128:129], v[118:119] op_sel_hi:[1,0,1]
	v_pk_fma_f32 v[118:119], v[144:145], v[128:129], v[118:119] neg_lo:[0,0,1] neg_hi:[0,0,1]
	v_pk_add_f32 v[114:115], v[116:117], v[114:115]
	s_wait_loadcnt_dscnt 0x100
	v_pk_mul_f32 v[116:117], v[150:151], v[146:147] op_sel:[1,1] op_sel_hi:[0,1]
	v_mov_b32_e32 v119, v121
	s_delay_alu instid0(VALU_DEP_3) | instskip(NEXT) | instid1(VALU_DEP_3)
	v_pk_add_f32 v[114:115], v[114:115], v[122:123]
	v_pk_fma_f32 v[120:121], v[150:151], v[146:147], v[116:117] op_sel_hi:[1,0,1]
	v_pk_fma_f32 v[116:117], v[150:151], v[146:147], v[116:117] neg_lo:[0,0,1] neg_hi:[0,0,1]
	s_delay_alu instid0(VALU_DEP_3) | instskip(NEXT) | instid1(VALU_DEP_3)
	v_pk_add_f32 v[114:115], v[114:115], v[118:119]
	v_mov_b32_e32 v117, v121
	s_delay_alu instid0(VALU_DEP_1) | instskip(SKIP_1) | instid1(VALU_DEP_1)
	v_pk_add_f32 v[114:115], v[114:115], v[116:117]
	s_wait_loadcnt 0x0
	v_pk_add_f32 v[114:115], v[148:149], v[114:115] neg_lo:[0,1] neg_hi:[0,1]
	scratch_store_b64 off, v[114:115], off offset:368
	s_wait_xcnt 0x0
	v_cmpx_lt_u32_e32 45, v0
	s_cbranch_execz .LBB119_259
; %bb.258:
	scratch_load_b64 v[114:115], off, off offset:360
	v_mov_b64_e32 v[116:117], 0
	scratch_store_b64 off, v[116:117], off offset:360
	s_wait_loadcnt 0x0
	ds_store_b64 v1, v[114:115]
.LBB119_259:
	s_wait_xcnt 0x0
	s_or_b32 exec_lo, exec_lo, s0
	s_wait_storecnt_dscnt 0x0
	s_barrier_signal -1
	s_barrier_wait -1
	s_clause 0x5
	scratch_load_b128 v[114:117], off, off offset:368
	scratch_load_b128 v[118:121], off, off offset:384
	;; [unrolled: 1-line block ×5, first 2 shown]
	scratch_load_b64 v[154:155], off, off offset:360
	ds_load_b128 v[134:137], v7 offset:832
	ds_load_b128 v[138:141], v7 offset:848
	;; [unrolled: 1-line block ×5, first 2 shown]
	s_mov_b32 s0, exec_lo
	s_wait_dscnt 0x4
	v_dual_mov_b32 v156, v137 :: v_dual_mov_b32 v157, v136
	s_wait_dscnt 0x3
	v_dual_mov_b32 v158, v141 :: v_dual_mov_b32 v159, v140
	;; [unrolled: 2-line block ×4, first 2 shown]
	s_wait_loadcnt_dscnt 0x500
	v_dual_mul_f32 v165, v150, v115 :: v_dual_mul_f32 v167, v152, v117
	v_dual_mul_f32 v7, v151, v115 :: v_dual_mul_f32 v9, v153, v117
	s_wait_loadcnt 0x4
	v_pk_mul_f32 v[168:169], v[134:135], v[118:119] op_sel:[1,1] op_sel_hi:[0,1]
	s_wait_loadcnt 0x3
	v_dual_mov_b32 v170, v121 :: v_dual_mov_b32 v174, v125
	v_dual_fmac_f32 v165, v151, v114 :: v_dual_fma_f32 v164, v150, v114, -v7
	v_dual_fmac_f32 v167, v153, v116 :: v_dual_fma_f32 v166, v152, v116, -v9
	v_pk_fma_f32 v[114:115], v[134:135], v[118:119], v[168:169] op_sel_hi:[1,0,1]
	s_delay_alu instid0(VALU_DEP_4) | instskip(NEXT) | instid1(VALU_DEP_4)
	v_pk_mul_f32 v[116:117], v[156:157], v[170:171] op_sel_hi:[1,0]
	v_pk_add_f32 v[150:151], v[164:165], 0 op_sel_hi:[1,0]
	v_pk_fma_f32 v[118:119], v[134:135], v[118:119], v[168:169] neg_lo:[0,0,1] neg_hi:[0,0,1]
	v_pk_mul_f32 v[172:173], v[138:139], v[122:123] op_sel:[1,1] op_sel_hi:[0,1]
	v_mov_b32_e32 v119, v115
	v_pk_fma_f32 v[114:115], v[136:137], v[120:121], v[116:117] op_sel_hi:[1,0,1]
	v_pk_add_f32 v[134:135], v[150:151], v[166:167]
	v_pk_fma_f32 v[116:117], v[136:137], v[120:121], v[116:117] neg_lo:[0,0,1] neg_hi:[0,0,1]
	v_pk_fma_f32 v[150:151], v[138:139], v[122:123], v[172:173] op_sel_hi:[1,0,1]
	v_pk_mul_f32 v[156:157], v[158:159], v[174:175] op_sel_hi:[1,0]
	v_mov_b32_e32 v117, v115
	v_pk_add_f32 v[114:115], v[134:135], v[118:119]
	s_wait_loadcnt 0x2
	v_pk_mul_f32 v[152:153], v[142:143], v[126:127] op_sel:[1,1] op_sel_hi:[0,1]
	v_mov_b32_e32 v118, v129
	v_pk_fma_f32 v[120:121], v[138:139], v[122:123], v[172:173] neg_lo:[0,0,1] neg_hi:[0,0,1]
	v_mov_b32_e32 v121, v151
	v_pk_fma_f32 v[122:123], v[140:141], v[124:125], v[156:157] op_sel_hi:[1,0,1]
	v_pk_add_f32 v[114:115], v[114:115], v[116:117]
	v_pk_fma_f32 v[116:117], v[142:143], v[126:127], v[152:153] op_sel_hi:[1,0,1]
	v_pk_mul_f32 v[118:119], v[160:161], v[118:119] op_sel_hi:[1,0]
	v_pk_fma_f32 v[124:125], v[140:141], v[124:125], v[156:157] neg_lo:[0,0,1] neg_hi:[0,0,1]
	v_mov_b32_e32 v125, v123
	v_pk_add_f32 v[114:115], v[114:115], v[120:121]
	v_pk_fma_f32 v[122:123], v[142:143], v[126:127], v[152:153] neg_lo:[0,0,1] neg_hi:[0,0,1]
	v_mov_b32_e32 v123, v117
	v_pk_fma_f32 v[116:117], v[144:145], v[128:129], v[118:119] op_sel_hi:[1,0,1]
	s_wait_loadcnt 0x1
	v_pk_mul_f32 v[120:121], v[146:147], v[130:131] op_sel:[1,1] op_sel_hi:[0,1]
	v_pk_add_f32 v[114:115], v[114:115], v[124:125]
	v_mov_b32_e32 v116, v133
	v_pk_fma_f32 v[118:119], v[144:145], v[128:129], v[118:119] neg_lo:[0,0,1] neg_hi:[0,0,1]
	v_mov_b32_e32 v119, v117
	v_pk_fma_f32 v[124:125], v[146:147], v[130:131], v[120:121] op_sel_hi:[1,0,1]
	v_pk_add_f32 v[114:115], v[114:115], v[122:123]
	v_pk_mul_f32 v[116:117], v[162:163], v[116:117] op_sel_hi:[1,0]
	v_pk_fma_f32 v[120:121], v[146:147], v[130:131], v[120:121] neg_lo:[0,0,1] neg_hi:[0,0,1]
	s_delay_alu instid0(VALU_DEP_3) | instskip(NEXT) | instid1(VALU_DEP_3)
	v_pk_add_f32 v[114:115], v[114:115], v[118:119]
	v_pk_fma_f32 v[118:119], v[148:149], v[132:133], v[116:117] op_sel_hi:[1,0,1]
	v_mov_b32_e32 v121, v125
	v_pk_fma_f32 v[116:117], v[148:149], v[132:133], v[116:117] neg_lo:[0,0,1] neg_hi:[0,0,1]
	s_delay_alu instid0(VALU_DEP_3) | instskip(NEXT) | instid1(VALU_DEP_3)
	v_mov_b32_e32 v117, v119
	v_pk_add_f32 v[114:115], v[114:115], v[120:121]
	s_delay_alu instid0(VALU_DEP_1) | instskip(SKIP_1) | instid1(VALU_DEP_1)
	v_pk_add_f32 v[114:115], v[114:115], v[116:117]
	s_wait_loadcnt 0x0
	v_pk_add_f32 v[114:115], v[154:155], v[114:115] neg_lo:[0,1] neg_hi:[0,1]
	scratch_store_b64 off, v[114:115], off offset:360
	s_wait_xcnt 0x0
	v_cmpx_lt_u32_e32 44, v0
	s_cbranch_execz .LBB119_261
; %bb.260:
	scratch_load_b64 v[114:115], off, off offset:352
	v_mov_b64_e32 v[116:117], 0
	scratch_store_b64 off, v[116:117], off offset:352
	s_wait_loadcnt 0x0
	ds_store_b64 v1, v[114:115]
.LBB119_261:
	s_wait_xcnt 0x0
	s_or_b32 exec_lo, exec_lo, s0
	s_wait_storecnt_dscnt 0x0
	s_barrier_signal -1
	s_barrier_wait -1
	s_clause 0x6
	scratch_load_b128 v[114:117], off, off offset:360
	scratch_load_b128 v[118:121], off, off offset:376
	;; [unrolled: 1-line block ×5, first 2 shown]
	scratch_load_b64 v[154:155], off, off offset:440
	scratch_load_b64 v[156:157], off, off offset:352
	v_mov_b32_e32 v7, 0
	ds_load_2addr_b64 v[134:137], v7 offset0:103 offset1:104
	ds_load_2addr_b64 v[138:141], v7 offset0:105 offset1:106
	;; [unrolled: 1-line block ×5, first 2 shown]
	ds_load_b64 v[158:159], v7 offset:888
	s_mov_b32 s0, exec_lo
	s_wait_dscnt 0x5
	v_dual_mov_b32 v160, v137 :: v_dual_mov_b32 v161, v136
	s_wait_dscnt 0x2
	v_dual_mov_b32 v162, v141 :: v_dual_mov_b32 v167, v148
	v_dual_mov_b32 v163, v140 :: v_dual_mov_b32 v164, v145
	;; [unrolled: 1-line block ×3, first 2 shown]
	s_wait_loadcnt_dscnt 0x601
	v_dual_mul_f32 v9, v150, v115 :: v_dual_mul_f32 v11, v151, v115
	v_dual_mul_f32 v13, v153, v117 :: v_dual_mul_f32 v169, v152, v117
	s_wait_loadcnt 0x5
	v_dual_mul_f32 v171, v134, v119 :: v_dual_mul_f32 v15, v135, v119
	s_wait_loadcnt 0x4
	v_dual_mov_b32 v170, v121 :: v_dual_mov_b32 v174, v125
	v_dual_fmac_f32 v9, v151, v114 :: v_dual_fma_f32 v11, v150, v114, -v11
	v_fmac_f32_e32 v169, v153, v116
	v_pk_mul_f32 v[172:173], v[138:139], v[122:123] op_sel:[1,1] op_sel_hi:[0,1]
	s_delay_alu instid0(VALU_DEP_3)
	v_dual_fma_f32 v168, v152, v116, -v13 :: v_dual_add_f32 v117, 0, v9
	v_pk_mul_f32 v[114:115], v[160:161], v[170:171] op_sel_hi:[1,0]
	s_wait_loadcnt 0x3
	v_dual_add_f32 v116, 0, v11 :: v_dual_mov_b32 v150, v129
	v_fmac_f32_e32 v171, v135, v118
	v_fma_f32 v170, v134, v118, -v15
	v_pk_fma_f32 v[118:119], v[136:137], v[120:121], v[114:115] op_sel_hi:[1,0,1]
	s_delay_alu instid0(VALU_DEP_4) | instskip(SKIP_4) | instid1(VALU_DEP_4)
	v_pk_add_f32 v[116:117], v[116:117], v[168:169]
	v_pk_fma_f32 v[134:135], v[138:139], v[122:123], v[172:173] op_sel_hi:[1,0,1]
	v_pk_fma_f32 v[114:115], v[136:137], v[120:121], v[114:115] neg_lo:[0,0,1] neg_hi:[0,0,1]
	v_pk_fma_f32 v[120:121], v[138:139], v[122:123], v[172:173] neg_lo:[0,0,1] neg_hi:[0,0,1]
	v_pk_mul_f32 v[152:153], v[162:163], v[174:175] op_sel_hi:[1,0]
	v_dual_mov_b32 v115, v119 :: v_dual_mov_b32 v121, v135
	v_pk_add_f32 v[116:117], v[116:117], v[170:171]
	v_pk_mul_f32 v[176:177], v[142:143], v[126:127] op_sel:[1,1] op_sel_hi:[0,1]
	s_delay_alu instid0(VALU_DEP_4)
	v_pk_fma_f32 v[122:123], v[140:141], v[124:125], v[152:153] op_sel_hi:[1,0,1]
	v_pk_fma_f32 v[124:125], v[140:141], v[124:125], v[152:153] neg_lo:[0,0,1] neg_hi:[0,0,1]
	v_pk_mul_f32 v[134:135], v[164:165], v[150:151] op_sel_hi:[1,0]
	v_pk_add_f32 v[114:115], v[116:117], v[114:115]
	v_pk_fma_f32 v[116:117], v[142:143], v[126:127], v[176:177] op_sel_hi:[1,0,1]
	s_wait_loadcnt 0x2
	v_dual_mov_b32 v125, v123 :: v_dual_mov_b32 v116, v133
	v_pk_mul_f32 v[118:119], v[146:147], v[130:131] op_sel:[1,1] op_sel_hi:[0,1]
	v_pk_add_f32 v[114:115], v[114:115], v[120:121]
	v_pk_fma_f32 v[120:121], v[142:143], v[126:127], v[176:177] neg_lo:[0,0,1] neg_hi:[0,0,1]
	v_pk_fma_f32 v[122:123], v[144:145], v[128:129], v[134:135] op_sel_hi:[1,0,1]
	v_mov_b32_e32 v121, v117
	v_pk_fma_f32 v[126:127], v[144:145], v[128:129], v[134:135] neg_lo:[0,0,1] neg_hi:[0,0,1]
	v_pk_add_f32 v[114:115], v[114:115], v[124:125]
	v_pk_fma_f32 v[124:125], v[146:147], v[130:131], v[118:119] op_sel_hi:[1,0,1]
	v_pk_mul_f32 v[116:117], v[166:167], v[116:117] op_sel_hi:[1,0]
	v_mov_b32_e32 v127, v123
	v_pk_fma_f32 v[118:119], v[146:147], v[130:131], v[118:119] neg_lo:[0,0,1] neg_hi:[0,0,1]
	v_pk_add_f32 v[114:115], v[114:115], v[120:121]
	s_wait_loadcnt_dscnt 0x100
	v_pk_mul_f32 v[122:123], v[158:159], v[154:155] op_sel:[1,1] op_sel_hi:[0,1]
	v_pk_fma_f32 v[120:121], v[148:149], v[132:133], v[116:117] op_sel_hi:[1,0,1]
	v_mov_b32_e32 v119, v125
	v_pk_fma_f32 v[116:117], v[148:149], v[132:133], v[116:117] neg_lo:[0,0,1] neg_hi:[0,0,1]
	v_pk_add_f32 v[114:115], v[114:115], v[126:127]
	s_delay_alu instid0(VALU_DEP_4) | instskip(SKIP_1) | instid1(VALU_DEP_3)
	v_mov_b32_e32 v117, v121
	v_pk_fma_f32 v[120:121], v[158:159], v[154:155], v[122:123] neg_lo:[0,0,1] neg_hi:[0,0,1]
	v_pk_add_f32 v[114:115], v[114:115], v[118:119]
	v_pk_fma_f32 v[118:119], v[158:159], v[154:155], v[122:123] op_sel_hi:[1,0,1]
	s_delay_alu instid0(VALU_DEP_2) | instskip(NEXT) | instid1(VALU_DEP_2)
	v_pk_add_f32 v[114:115], v[114:115], v[116:117]
	v_mov_b32_e32 v121, v119
	s_delay_alu instid0(VALU_DEP_1) | instskip(SKIP_1) | instid1(VALU_DEP_1)
	v_pk_add_f32 v[114:115], v[114:115], v[120:121]
	s_wait_loadcnt 0x0
	v_pk_add_f32 v[114:115], v[156:157], v[114:115] neg_lo:[0,1] neg_hi:[0,1]
	scratch_store_b64 off, v[114:115], off offset:352
	s_wait_xcnt 0x0
	v_cmpx_lt_u32_e32 43, v0
	s_cbranch_execz .LBB119_263
; %bb.262:
	scratch_load_b64 v[114:115], off, off offset:344
	v_mov_b64_e32 v[116:117], 0
	scratch_store_b64 off, v[116:117], off offset:344
	s_wait_loadcnt 0x0
	ds_store_b64 v1, v[114:115]
.LBB119_263:
	s_wait_xcnt 0x0
	s_or_b32 exec_lo, exec_lo, s0
	s_wait_storecnt_dscnt 0x0
	s_barrier_signal -1
	s_barrier_wait -1
	s_clause 0x6
	scratch_load_b128 v[114:117], off, off offset:352
	scratch_load_b128 v[118:121], off, off offset:368
	scratch_load_b128 v[122:125], off, off offset:384
	scratch_load_b128 v[126:129], off, off offset:400
	scratch_load_b128 v[130:133], off, off offset:416
	scratch_load_b128 v[134:137], off, off offset:432
	scratch_load_b64 v[162:163], off, off offset:344
	ds_load_b128 v[138:141], v7 offset:832
	ds_load_b128 v[142:145], v7 offset:848
	;; [unrolled: 1-line block ×6, first 2 shown]
	s_mov_b32 s0, exec_lo
	s_wait_dscnt 0x5
	v_dual_mov_b32 v164, v141 :: v_dual_mov_b32 v165, v140
	s_wait_dscnt 0x4
	v_dual_mov_b32 v166, v145 :: v_dual_mov_b32 v167, v144
	;; [unrolled: 2-line block ×4, first 2 shown]
	s_wait_loadcnt_dscnt 0x601
	v_dual_mul_f32 v7, v154, v115 :: v_dual_mul_f32 v9, v156, v117
	v_dual_mul_f32 v11, v155, v115 :: v_dual_mul_f32 v13, v157, v117
	s_wait_loadcnt 0x4
	s_delay_alu instid0(VALU_DEP_2)
	v_dual_mov_b32 v178, v125 :: v_dual_fmac_f32 v7, v155, v114
	s_wait_dscnt 0x0
	v_dual_mul_f32 v173, v158, v119 :: v_dual_mul_f32 v175, v160, v121
	v_dual_fma_f32 v11, v154, v114, -v11 :: v_dual_fmac_f32 v9, v157, v116
	v_dual_mul_f32 v15, v159, v119 :: v_dual_mul_f32 v17, v161, v121
	v_dual_fma_f32 v13, v156, v116, -v13 :: v_dual_add_f32 v7, 0, v7
	s_wait_loadcnt 0x3
	s_delay_alu instid0(VALU_DEP_3) | instskip(SKIP_3) | instid1(VALU_DEP_4)
	v_dual_add_f32 v11, 0, v11 :: v_dual_mov_b32 v116, v129
	v_pk_mul_f32 v[176:177], v[138:139], v[122:123] op_sel:[1,1] op_sel_hi:[0,1]
	v_dual_fmac_f32 v173, v159, v118 :: v_dual_fma_f32 v172, v158, v118, -v15
	v_dual_add_f32 v119, v7, v9 :: v_dual_fmac_f32 v175, v161, v120
	v_dual_add_f32 v118, v11, v13 :: v_dual_fma_f32 v174, v160, v120, -v17
	s_delay_alu instid0(VALU_DEP_4) | instskip(SKIP_2) | instid1(VALU_DEP_4)
	v_pk_fma_f32 v[120:121], v[138:139], v[122:123], v[176:177] op_sel_hi:[1,0,1]
	v_pk_mul_f32 v[154:155], v[164:165], v[178:179] op_sel_hi:[1,0]
	v_pk_fma_f32 v[122:123], v[138:139], v[122:123], v[176:177] neg_lo:[0,0,1] neg_hi:[0,0,1]
	v_pk_add_f32 v[118:119], v[118:119], v[172:173]
	v_pk_mul_f32 v[114:115], v[142:143], v[126:127] op_sel:[1,1] op_sel_hi:[0,1]
	v_mov_b32_e32 v123, v121
	v_pk_fma_f32 v[120:121], v[140:141], v[124:125], v[154:155] op_sel_hi:[1,0,1]
	v_pk_fma_f32 v[124:125], v[140:141], v[124:125], v[154:155] neg_lo:[0,0,1] neg_hi:[0,0,1]
	v_pk_add_f32 v[118:119], v[118:119], v[174:175]
	v_pk_fma_f32 v[138:139], v[142:143], v[126:127], v[114:115] op_sel_hi:[1,0,1]
	v_pk_mul_f32 v[116:117], v[166:167], v[116:117] op_sel_hi:[1,0]
	v_mov_b32_e32 v125, v121
	v_pk_fma_f32 v[114:115], v[142:143], v[126:127], v[114:115] neg_lo:[0,0,1] neg_hi:[0,0,1]
	v_pk_add_f32 v[118:119], v[118:119], v[122:123]
	s_wait_loadcnt 0x2
	v_pk_mul_f32 v[156:157], v[146:147], v[130:131] op_sel:[1,1] op_sel_hi:[0,1]
	v_dual_mov_b32 v120, v133 :: v_dual_mov_b32 v115, v139
	v_pk_fma_f32 v[122:123], v[144:145], v[128:129], v[116:117] op_sel_hi:[1,0,1]
	v_pk_add_f32 v[118:119], v[118:119], v[124:125]
	v_pk_fma_f32 v[116:117], v[144:145], v[128:129], v[116:117] neg_lo:[0,0,1] neg_hi:[0,0,1]
	v_pk_fma_f32 v[124:125], v[146:147], v[130:131], v[156:157] op_sel_hi:[1,0,1]
	v_pk_mul_f32 v[120:121], v[168:169], v[120:121] op_sel_hi:[1,0]
	v_mov_b32_e32 v117, v123
	v_pk_add_f32 v[114:115], v[118:119], v[114:115]
	v_pk_fma_f32 v[122:123], v[146:147], v[130:131], v[156:157] neg_lo:[0,0,1] neg_hi:[0,0,1]
	s_wait_loadcnt 0x1
	v_pk_mul_f32 v[118:119], v[150:151], v[134:135] op_sel:[1,1] op_sel_hi:[0,1]
	v_mov_b32_e32 v123, v125
	v_pk_fma_f32 v[124:125], v[148:149], v[132:133], v[120:121] op_sel_hi:[1,0,1]
	v_pk_add_f32 v[114:115], v[114:115], v[116:117]
	v_mov_b32_e32 v116, v137
	v_pk_fma_f32 v[120:121], v[148:149], v[132:133], v[120:121] neg_lo:[0,0,1] neg_hi:[0,0,1]
	v_pk_fma_f32 v[126:127], v[150:151], v[134:135], v[118:119] op_sel_hi:[1,0,1]
	v_mov_b32_e32 v121, v125
	v_pk_add_f32 v[114:115], v[114:115], v[122:123]
	v_pk_mul_f32 v[116:117], v[170:171], v[116:117] op_sel_hi:[1,0]
	v_pk_fma_f32 v[118:119], v[150:151], v[134:135], v[118:119] neg_lo:[0,0,1] neg_hi:[0,0,1]
	s_delay_alu instid0(VALU_DEP_3) | instskip(NEXT) | instid1(VALU_DEP_3)
	v_pk_add_f32 v[114:115], v[114:115], v[120:121]
	v_pk_fma_f32 v[120:121], v[152:153], v[136:137], v[116:117] op_sel_hi:[1,0,1]
	v_mov_b32_e32 v119, v127
	v_pk_fma_f32 v[116:117], v[152:153], v[136:137], v[116:117] neg_lo:[0,0,1] neg_hi:[0,0,1]
	s_delay_alu instid0(VALU_DEP_3) | instskip(NEXT) | instid1(VALU_DEP_3)
	v_mov_b32_e32 v117, v121
	v_pk_add_f32 v[114:115], v[114:115], v[118:119]
	s_delay_alu instid0(VALU_DEP_1) | instskip(SKIP_1) | instid1(VALU_DEP_1)
	v_pk_add_f32 v[114:115], v[114:115], v[116:117]
	s_wait_loadcnt 0x0
	v_pk_add_f32 v[114:115], v[162:163], v[114:115] neg_lo:[0,1] neg_hi:[0,1]
	scratch_store_b64 off, v[114:115], off offset:344
	s_wait_xcnt 0x0
	v_cmpx_lt_u32_e32 42, v0
	s_cbranch_execz .LBB119_265
; %bb.264:
	scratch_load_b64 v[114:115], off, off offset:336
	v_mov_b64_e32 v[116:117], 0
	scratch_store_b64 off, v[116:117], off offset:336
	s_wait_loadcnt 0x0
	ds_store_b64 v1, v[114:115]
.LBB119_265:
	s_wait_xcnt 0x0
	s_or_b32 exec_lo, exec_lo, s0
	s_wait_storecnt_dscnt 0x0
	s_barrier_signal -1
	s_barrier_wait -1
	s_clause 0x7
	scratch_load_b128 v[114:117], off, off offset:344
	scratch_load_b128 v[118:121], off, off offset:360
	;; [unrolled: 1-line block ×6, first 2 shown]
	scratch_load_b64 v[162:163], off, off offset:440
	scratch_load_b64 v[164:165], off, off offset:336
	v_mov_b32_e32 v7, 0
	ds_load_2addr_b64 v[138:141], v7 offset0:103 offset1:104
	ds_load_2addr_b64 v[142:145], v7 offset0:105 offset1:106
	ds_load_2addr_b64 v[146:149], v7 offset0:107 offset1:108
	ds_load_2addr_b64 v[150:153], v7 offset0:109 offset1:110
	ds_load_2addr_b64 v[154:157], v7 offset0:99 offset1:100
	ds_load_2addr_b64 v[158:161], v7 offset0:101 offset1:102
	ds_load_b64 v[166:167], v7 offset:888
	s_mov_b32 s0, exec_lo
	s_wait_dscnt 0x6
	v_dual_mov_b32 v168, v141 :: v_dual_mov_b32 v169, v140
	s_wait_dscnt 0x3
	v_dual_mov_b32 v170, v145 :: v_dual_mov_b32 v175, v152
	v_dual_mov_b32 v171, v144 :: v_dual_mov_b32 v172, v149
	;; [unrolled: 1-line block ×3, first 2 shown]
	s_wait_loadcnt_dscnt 0x702
	v_dual_mul_f32 v9, v154, v115 :: v_dual_mul_f32 v15, v155, v115
	v_dual_mul_f32 v17, v157, v117 :: v_dual_mul_f32 v11, v156, v117
	s_wait_loadcnt_dscnt 0x601
	s_delay_alu instid0(VALU_DEP_2) | instskip(NEXT) | instid1(VALU_DEP_3)
	v_dual_mul_f32 v13, v158, v119 :: v_dual_fmac_f32 v9, v155, v114
	v_dual_fma_f32 v15, v154, v114, -v15 :: v_dual_mul_f32 v19, v159, v119
	v_mul_f32_e32 v21, v161, v121
	s_wait_loadcnt 0x4
	v_dual_mov_b32 v114, v129 :: v_dual_fma_f32 v17, v156, v116, -v17
	v_dual_fmac_f32 v11, v157, v116 :: v_dual_add_f32 v9, 0, v9
	v_dual_add_f32 v15, 0, v15 :: v_dual_fmac_f32 v13, v159, v118
	v_dual_mul_f32 v177, v160, v121 :: v_dual_mul_f32 v179, v138, v123
	v_dual_mul_f32 v23, v139, v123 :: v_dual_mov_b32 v178, v125
	s_delay_alu instid0(VALU_DEP_4) | instskip(NEXT) | instid1(VALU_DEP_3)
	v_dual_fma_f32 v19, v158, v118, -v19 :: v_dual_add_f32 v9, v9, v11
	v_dual_add_f32 v11, v15, v17 :: v_dual_fmac_f32 v177, v161, v120
	v_pk_mul_f32 v[180:181], v[142:143], v[126:127] op_sel:[1,1] op_sel_hi:[0,1]
	s_delay_alu instid0(VALU_DEP_3)
	v_dual_fma_f32 v176, v160, v120, -v21 :: v_dual_add_f32 v121, v9, v13
	v_pk_mul_f32 v[118:119], v[168:169], v[178:179] op_sel_hi:[1,0]
	s_wait_loadcnt 0x3
	v_dual_add_f32 v120, v11, v19 :: v_dual_mov_b32 v154, v133
	v_fmac_f32_e32 v179, v139, v122
	v_fma_f32 v178, v138, v122, -v23
	v_pk_fma_f32 v[122:123], v[140:141], v[124:125], v[118:119] op_sel_hi:[1,0,1]
	s_delay_alu instid0(VALU_DEP_4) | instskip(SKIP_4) | instid1(VALU_DEP_4)
	v_pk_add_f32 v[120:121], v[120:121], v[176:177]
	v_pk_fma_f32 v[138:139], v[142:143], v[126:127], v[180:181] op_sel_hi:[1,0,1]
	v_pk_fma_f32 v[118:119], v[140:141], v[124:125], v[118:119] neg_lo:[0,0,1] neg_hi:[0,0,1]
	v_pk_fma_f32 v[124:125], v[142:143], v[126:127], v[180:181] neg_lo:[0,0,1] neg_hi:[0,0,1]
	v_pk_mul_f32 v[114:115], v[170:171], v[114:115] op_sel_hi:[1,0]
	v_dual_mov_b32 v119, v123 :: v_dual_mov_b32 v125, v139
	v_pk_add_f32 v[120:121], v[120:121], v[178:179]
	v_pk_mul_f32 v[116:117], v[146:147], v[130:131] op_sel:[1,1] op_sel_hi:[0,1]
	s_delay_alu instid0(VALU_DEP_4)
	v_pk_fma_f32 v[126:127], v[144:145], v[128:129], v[114:115] op_sel_hi:[1,0,1]
	v_pk_fma_f32 v[114:115], v[144:145], v[128:129], v[114:115] neg_lo:[0,0,1] neg_hi:[0,0,1]
	v_pk_mul_f32 v[138:139], v[172:173], v[154:155] op_sel_hi:[1,0]
	v_pk_add_f32 v[118:119], v[120:121], v[118:119]
	v_pk_fma_f32 v[120:121], v[146:147], v[130:131], v[116:117] op_sel_hi:[1,0,1]
	s_wait_loadcnt 0x2
	v_dual_mov_b32 v115, v127 :: v_dual_mov_b32 v120, v137
	v_pk_fma_f32 v[116:117], v[146:147], v[130:131], v[116:117] neg_lo:[0,0,1] neg_hi:[0,0,1]
	v_pk_add_f32 v[118:119], v[118:119], v[124:125]
	v_pk_mul_f32 v[122:123], v[150:151], v[134:135] op_sel:[1,1] op_sel_hi:[0,1]
	v_pk_fma_f32 v[124:125], v[148:149], v[132:133], v[138:139] op_sel_hi:[1,0,1]
	v_mov_b32_e32 v117, v121
	v_pk_fma_f32 v[126:127], v[148:149], v[132:133], v[138:139] neg_lo:[0,0,1] neg_hi:[0,0,1]
	v_pk_add_f32 v[114:115], v[118:119], v[114:115]
	v_pk_fma_f32 v[118:119], v[150:151], v[134:135], v[122:123] op_sel_hi:[1,0,1]
	v_pk_mul_f32 v[120:121], v[174:175], v[120:121] op_sel_hi:[1,0]
	v_mov_b32_e32 v127, v125
	s_delay_alu instid0(VALU_DEP_4)
	v_pk_add_f32 v[114:115], v[114:115], v[116:117]
	v_pk_fma_f32 v[116:117], v[150:151], v[134:135], v[122:123] neg_lo:[0,0,1] neg_hi:[0,0,1]
	v_mov_b32_e32 v117, v119
	v_pk_fma_f32 v[118:119], v[152:153], v[136:137], v[120:121] op_sel_hi:[1,0,1]
	s_wait_loadcnt_dscnt 0x100
	v_pk_mul_f32 v[122:123], v[166:167], v[162:163] op_sel:[1,1] op_sel_hi:[0,1]
	v_pk_add_f32 v[114:115], v[114:115], v[126:127]
	v_pk_fma_f32 v[120:121], v[152:153], v[136:137], v[120:121] neg_lo:[0,0,1] neg_hi:[0,0,1]
	v_mov_b32_e32 v121, v119
	s_delay_alu instid0(VALU_DEP_4) | instskip(NEXT) | instid1(VALU_DEP_4)
	v_pk_fma_f32 v[118:119], v[166:167], v[162:163], v[122:123] neg_lo:[0,0,1] neg_hi:[0,0,1]
	v_pk_add_f32 v[114:115], v[114:115], v[116:117]
	v_pk_fma_f32 v[116:117], v[166:167], v[162:163], v[122:123] op_sel_hi:[1,0,1]
	s_delay_alu instid0(VALU_DEP_2) | instskip(NEXT) | instid1(VALU_DEP_2)
	v_pk_add_f32 v[114:115], v[114:115], v[120:121]
	v_mov_b32_e32 v119, v117
	s_delay_alu instid0(VALU_DEP_1) | instskip(SKIP_1) | instid1(VALU_DEP_1)
	v_pk_add_f32 v[114:115], v[114:115], v[118:119]
	s_wait_loadcnt 0x0
	v_pk_add_f32 v[114:115], v[164:165], v[114:115] neg_lo:[0,1] neg_hi:[0,1]
	scratch_store_b64 off, v[114:115], off offset:336
	s_wait_xcnt 0x0
	v_cmpx_lt_u32_e32 41, v0
	s_cbranch_execz .LBB119_267
; %bb.266:
	scratch_load_b64 v[114:115], off, off offset:328
	v_mov_b64_e32 v[116:117], 0
	scratch_store_b64 off, v[116:117], off offset:328
	s_wait_loadcnt 0x0
	ds_store_b64 v1, v[114:115]
.LBB119_267:
	s_wait_xcnt 0x0
	s_or_b32 exec_lo, exec_lo, s0
	s_wait_storecnt_dscnt 0x0
	s_barrier_signal -1
	s_barrier_wait -1
	s_clause 0x7
	scratch_load_b128 v[114:117], off, off offset:336
	scratch_load_b128 v[118:121], off, off offset:352
	;; [unrolled: 1-line block ×7, first 2 shown]
	scratch_load_b64 v[170:171], off, off offset:328
	ds_load_b128 v[142:145], v7 offset:832
	ds_load_b128 v[146:149], v7 offset:848
	;; [unrolled: 1-line block ×7, first 2 shown]
	s_mov_b32 s0, exec_lo
	s_wait_dscnt 0x6
	v_dual_mov_b32 v172, v145 :: v_dual_mov_b32 v173, v144
	s_wait_dscnt 0x5
	v_dual_mov_b32 v174, v149 :: v_dual_mov_b32 v175, v148
	;; [unrolled: 2-line block ×4, first 2 shown]
	s_wait_loadcnt_dscnt 0x702
	v_dual_mul_f32 v7, v158, v115 :: v_dual_mul_f32 v9, v160, v117
	v_dual_mul_f32 v15, v159, v115 :: v_dual_mul_f32 v17, v161, v117
	s_wait_loadcnt_dscnt 0x601
	v_dual_mul_f32 v11, v162, v119 :: v_dual_mul_f32 v13, v164, v121
	s_delay_alu instid0(VALU_DEP_3) | instskip(NEXT) | instid1(VALU_DEP_3)
	v_dual_fmac_f32 v7, v159, v114 :: v_dual_fmac_f32 v9, v161, v116
	v_dual_fma_f32 v15, v158, v114, -v15 :: v_dual_fma_f32 v17, v160, v116, -v17
	v_dual_mul_f32 v19, v163, v119 :: v_dual_mul_f32 v21, v165, v121
	s_wait_loadcnt 0x4
	s_delay_alu instid0(VALU_DEP_3) | instskip(NEXT) | instid1(VALU_DEP_3)
	v_dual_add_f32 v7, 0, v7 :: v_dual_mov_b32 v116, v129
	v_dual_add_f32 v15, 0, v15 :: v_dual_fmac_f32 v11, v163, v118
	s_delay_alu instid0(VALU_DEP_2) | instskip(SKIP_2) | instid1(VALU_DEP_3)
	v_dual_fma_f32 v19, v162, v118, -v19 :: v_dual_add_f32 v7, v7, v9
	s_wait_dscnt 0x0
	v_dual_mul_f32 v181, v166, v123 :: v_dual_mul_f32 v183, v168, v125
	v_dual_add_f32 v9, v15, v17 :: v_dual_fmac_f32 v13, v165, v120
	v_dual_mul_f32 v23, v167, v123 :: v_dual_mul_f32 v25, v169, v125
	v_dual_fma_f32 v15, v164, v120, -v21 :: v_dual_add_f32 v7, v7, v11
	s_delay_alu instid0(VALU_DEP_3) | instskip(SKIP_3) | instid1(VALU_DEP_3)
	v_dual_add_f32 v9, v9, v19 :: v_dual_fmac_f32 v181, v167, v122
	v_pk_mul_f32 v[114:115], v[142:143], v[126:127] op_sel:[1,1] op_sel_hi:[0,1]
	s_wait_loadcnt 0x3
	v_dual_mov_b32 v120, v133 :: v_dual_fma_f32 v180, v166, v122, -v23
	v_dual_add_f32 v123, v7, v13 :: v_dual_add_f32 v122, v9, v15
	v_dual_fmac_f32 v183, v169, v124 :: v_dual_fma_f32 v182, v168, v124, -v25
	v_pk_fma_f32 v[124:125], v[142:143], v[126:127], v[114:115] op_sel_hi:[1,0,1]
	v_pk_mul_f32 v[116:117], v[172:173], v[116:117] op_sel_hi:[1,0]
	s_delay_alu instid0(VALU_DEP_4)
	v_pk_add_f32 v[122:123], v[122:123], v[180:181]
	v_pk_fma_f32 v[114:115], v[142:143], v[126:127], v[114:115] neg_lo:[0,0,1] neg_hi:[0,0,1]
	v_pk_mul_f32 v[118:119], v[146:147], v[130:131] op_sel:[1,1] op_sel_hi:[0,1]
	v_mov_b32_e32 v115, v125
	v_pk_fma_f32 v[124:125], v[144:145], v[128:129], v[116:117] op_sel_hi:[1,0,1]
	v_pk_add_f32 v[122:123], v[122:123], v[182:183]
	v_pk_fma_f32 v[116:117], v[144:145], v[128:129], v[116:117] neg_lo:[0,0,1] neg_hi:[0,0,1]
	v_pk_fma_f32 v[126:127], v[146:147], v[130:131], v[118:119] op_sel_hi:[1,0,1]
	v_pk_mul_f32 v[120:121], v[174:175], v[120:121] op_sel_hi:[1,0]
	v_mov_b32_e32 v117, v125
	v_pk_add_f32 v[114:115], v[122:123], v[114:115]
	s_wait_loadcnt 0x2
	v_pk_mul_f32 v[158:159], v[150:151], v[134:135] op_sel:[1,1] op_sel_hi:[0,1]
	v_mov_b32_e32 v122, v137
	v_pk_fma_f32 v[118:119], v[146:147], v[130:131], v[118:119] neg_lo:[0,0,1] neg_hi:[0,0,1]
	v_mov_b32_e32 v119, v127
	v_pk_fma_f32 v[124:125], v[148:149], v[132:133], v[120:121] op_sel_hi:[1,0,1]
	v_pk_add_f32 v[114:115], v[114:115], v[116:117]
	v_pk_fma_f32 v[116:117], v[150:151], v[134:135], v[158:159] op_sel_hi:[1,0,1]
	v_pk_mul_f32 v[122:123], v[176:177], v[122:123] op_sel_hi:[1,0]
	v_pk_fma_f32 v[120:121], v[148:149], v[132:133], v[120:121] neg_lo:[0,0,1] neg_hi:[0,0,1]
	v_mov_b32_e32 v121, v125
	v_pk_add_f32 v[114:115], v[114:115], v[118:119]
	v_pk_fma_f32 v[124:125], v[150:151], v[134:135], v[158:159] neg_lo:[0,0,1] neg_hi:[0,0,1]
	v_mov_b32_e32 v125, v117
	v_pk_fma_f32 v[116:117], v[152:153], v[136:137], v[122:123] op_sel_hi:[1,0,1]
	s_wait_loadcnt 0x1
	v_pk_mul_f32 v[118:119], v[154:155], v[138:139] op_sel:[1,1] op_sel_hi:[0,1]
	v_pk_add_f32 v[114:115], v[114:115], v[120:121]
	v_mov_b32_e32 v116, v141
	v_pk_fma_f32 v[122:123], v[152:153], v[136:137], v[122:123] neg_lo:[0,0,1] neg_hi:[0,0,1]
	v_mov_b32_e32 v123, v117
	v_pk_fma_f32 v[120:121], v[154:155], v[138:139], v[118:119] op_sel_hi:[1,0,1]
	v_pk_add_f32 v[114:115], v[114:115], v[124:125]
	v_pk_mul_f32 v[116:117], v[178:179], v[116:117] op_sel_hi:[1,0]
	v_pk_fma_f32 v[118:119], v[154:155], v[138:139], v[118:119] neg_lo:[0,0,1] neg_hi:[0,0,1]
	s_delay_alu instid0(VALU_DEP_4) | instskip(NEXT) | instid1(VALU_DEP_4)
	v_mov_b32_e32 v119, v121
	v_pk_add_f32 v[114:115], v[114:115], v[122:123]
	s_delay_alu instid0(VALU_DEP_4) | instskip(SKIP_1) | instid1(VALU_DEP_2)
	v_pk_fma_f32 v[120:121], v[156:157], v[140:141], v[116:117] op_sel_hi:[1,0,1]
	v_pk_fma_f32 v[116:117], v[156:157], v[140:141], v[116:117] neg_lo:[0,0,1] neg_hi:[0,0,1]
	v_mov_b32_e32 v117, v121
	s_delay_alu instid0(VALU_DEP_4) | instskip(NEXT) | instid1(VALU_DEP_1)
	v_pk_add_f32 v[114:115], v[114:115], v[118:119]
	v_pk_add_f32 v[114:115], v[114:115], v[116:117]
	s_wait_loadcnt 0x0
	s_delay_alu instid0(VALU_DEP_1)
	v_pk_add_f32 v[114:115], v[170:171], v[114:115] neg_lo:[0,1] neg_hi:[0,1]
	scratch_store_b64 off, v[114:115], off offset:328
	s_wait_xcnt 0x0
	v_cmpx_lt_u32_e32 40, v0
	s_cbranch_execz .LBB119_269
; %bb.268:
	scratch_load_b64 v[114:115], off, off offset:320
	v_mov_b64_e32 v[116:117], 0
	scratch_store_b64 off, v[116:117], off offset:320
	s_wait_loadcnt 0x0
	ds_store_b64 v1, v[114:115]
.LBB119_269:
	s_wait_xcnt 0x0
	s_or_b32 exec_lo, exec_lo, s0
	s_wait_storecnt_dscnt 0x0
	s_barrier_signal -1
	s_barrier_wait -1
	s_clause 0x8
	scratch_load_b128 v[114:117], off, off offset:328
	scratch_load_b128 v[118:121], off, off offset:344
	;; [unrolled: 1-line block ×7, first 2 shown]
	scratch_load_b64 v[170:171], off, off offset:440
	scratch_load_b64 v[172:173], off, off offset:320
	v_mov_b32_e32 v7, 0
	ds_load_2addr_b64 v[142:145], v7 offset0:103 offset1:104
	ds_load_2addr_b64 v[146:149], v7 offset0:105 offset1:106
	;; [unrolled: 1-line block ×7, first 2 shown]
	ds_load_b64 v[174:175], v7 offset:888
	s_mov_b32 s0, exec_lo
	s_wait_dscnt 0x7
	v_dual_mov_b32 v176, v145 :: v_dual_mov_b32 v177, v144
	s_wait_dscnt 0x4
	v_dual_mov_b32 v178, v149 :: v_dual_mov_b32 v183, v156
	v_dual_mov_b32 v179, v148 :: v_dual_mov_b32 v180, v153
	;; [unrolled: 1-line block ×3, first 2 shown]
	s_wait_loadcnt_dscnt 0x803
	v_dual_mul_f32 v9, v158, v115 :: v_dual_mul_f32 v19, v159, v115
	v_dual_mul_f32 v21, v161, v117 :: v_dual_mul_f32 v11, v160, v117
	s_wait_loadcnt_dscnt 0x702
	v_mul_f32_e32 v13, v162, v119
	s_wait_loadcnt 0x5
	v_dual_mul_f32 v31, v143, v127 :: v_dual_fma_f32 v19, v158, v114, -v19
	v_dual_fmac_f32 v9, v159, v114 :: v_dual_mov_b32 v114, v129
	v_dual_mul_f32 v23, v163, v119 :: v_dual_mul_f32 v25, v165, v121
	v_dual_fmac_f32 v11, v161, v116 :: v_dual_fma_f32 v21, v160, v116, -v21
	s_delay_alu instid0(VALU_DEP_3) | instskip(SKIP_3) | instid1(VALU_DEP_3)
	v_dual_add_f32 v9, 0, v9 :: v_dual_add_f32 v19, 0, v19
	s_wait_dscnt 0x1
	v_dual_mul_f32 v15, v164, v121 :: v_dual_mul_f32 v17, v166, v123
	v_dual_fmac_f32 v13, v163, v118 :: v_dual_fma_f32 v23, v162, v118, -v23
	v_dual_add_f32 v9, v9, v11 :: v_dual_add_f32 v11, v19, v21
	v_dual_mul_f32 v27, v167, v123 :: v_dual_mul_f32 v29, v169, v125
	s_wait_loadcnt 0x4
	v_dual_mov_b32 v118, v133 :: v_dual_fma_f32 v19, v164, v120, -v25
	s_delay_alu instid0(VALU_DEP_3) | instskip(SKIP_2) | instid1(VALU_DEP_2)
	v_dual_fmac_f32 v15, v165, v120 :: v_dual_add_f32 v11, v11, v23
	v_dual_add_f32 v9, v9, v13 :: v_dual_fmac_f32 v17, v167, v122
	v_dual_mul_f32 v185, v168, v125 :: v_dual_mul_f32 v187, v142, v127
	v_dual_fma_f32 v13, v166, v122, -v27 :: v_dual_add_f32 v9, v9, v15
	s_delay_alu instid0(VALU_DEP_2) | instskip(SKIP_1) | instid1(VALU_DEP_3)
	v_dual_add_f32 v11, v11, v19 :: v_dual_fmac_f32 v185, v169, v124
	v_pk_mul_f32 v[116:117], v[146:147], v[130:131] op_sel:[1,1] op_sel_hi:[0,1]
	v_dual_fma_f32 v184, v168, v124, -v29 :: v_dual_add_f32 v123, v9, v17
	v_pk_mul_f32 v[114:115], v[176:177], v[114:115] op_sel_hi:[1,0]
	s_wait_loadcnt 0x3
	v_dual_add_f32 v122, v11, v13 :: v_dual_mov_b32 v124, v137
	v_fmac_f32_e32 v187, v143, v126
	v_fma_f32 v186, v142, v126, -v31
	v_pk_fma_f32 v[126:127], v[144:145], v[128:129], v[114:115] op_sel_hi:[1,0,1]
	s_delay_alu instid0(VALU_DEP_4) | instskip(SKIP_4) | instid1(VALU_DEP_4)
	v_pk_add_f32 v[122:123], v[122:123], v[184:185]
	v_pk_fma_f32 v[142:143], v[146:147], v[130:131], v[116:117] op_sel_hi:[1,0,1]
	v_pk_fma_f32 v[114:115], v[144:145], v[128:129], v[114:115] neg_lo:[0,0,1] neg_hi:[0,0,1]
	v_pk_fma_f32 v[116:117], v[146:147], v[130:131], v[116:117] neg_lo:[0,0,1] neg_hi:[0,0,1]
	v_pk_mul_f32 v[118:119], v[178:179], v[118:119] op_sel_hi:[1,0]
	v_dual_mov_b32 v115, v127 :: v_dual_mov_b32 v117, v143
	v_pk_add_f32 v[122:123], v[122:123], v[186:187]
	v_pk_mul_f32 v[120:121], v[150:151], v[134:135] op_sel:[1,1] op_sel_hi:[0,1]
	s_delay_alu instid0(VALU_DEP_4)
	v_pk_fma_f32 v[128:129], v[148:149], v[132:133], v[118:119] op_sel_hi:[1,0,1]
	v_pk_fma_f32 v[118:119], v[148:149], v[132:133], v[118:119] neg_lo:[0,0,1] neg_hi:[0,0,1]
	v_pk_mul_f32 v[124:125], v[180:181], v[124:125] op_sel_hi:[1,0]
	v_pk_add_f32 v[114:115], v[122:123], v[114:115]
	v_pk_fma_f32 v[122:123], v[150:151], v[134:135], v[120:121] op_sel_hi:[1,0,1]
	v_mov_b32_e32 v119, v129
	v_pk_fma_f32 v[120:121], v[150:151], v[134:135], v[120:121] neg_lo:[0,0,1] neg_hi:[0,0,1]
	s_wait_loadcnt 0x2
	v_pk_mul_f32 v[126:127], v[154:155], v[138:139] op_sel:[1,1] op_sel_hi:[0,1]
	v_pk_add_f32 v[114:115], v[114:115], v[116:117]
	v_dual_mov_b32 v116, v141 :: v_dual_mov_b32 v121, v123
	v_pk_fma_f32 v[122:123], v[152:153], v[136:137], v[124:125] op_sel_hi:[1,0,1]
	v_pk_fma_f32 v[124:125], v[152:153], v[136:137], v[124:125] neg_lo:[0,0,1] neg_hi:[0,0,1]
	s_delay_alu instid0(VALU_DEP_4)
	v_pk_add_f32 v[114:115], v[114:115], v[118:119]
	v_pk_fma_f32 v[118:119], v[154:155], v[138:139], v[126:127] op_sel_hi:[1,0,1]
	v_pk_mul_f32 v[116:117], v[182:183], v[116:117] op_sel_hi:[1,0]
	v_mov_b32_e32 v125, v123
	s_wait_loadcnt_dscnt 0x100
	v_pk_mul_f32 v[122:123], v[174:175], v[170:171] op_sel:[1,1] op_sel_hi:[0,1]
	v_pk_add_f32 v[114:115], v[114:115], v[120:121]
	v_pk_fma_f32 v[120:121], v[154:155], v[138:139], v[126:127] neg_lo:[0,0,1] neg_hi:[0,0,1]
	v_mov_b32_e32 v121, v119
	v_pk_fma_f32 v[118:119], v[156:157], v[140:141], v[116:117] op_sel_hi:[1,0,1]
	v_pk_fma_f32 v[116:117], v[156:157], v[140:141], v[116:117] neg_lo:[0,0,1] neg_hi:[0,0,1]
	v_pk_add_f32 v[114:115], v[114:115], v[124:125]
	s_delay_alu instid0(VALU_DEP_3) | instskip(SKIP_1) | instid1(VALU_DEP_3)
	v_mov_b32_e32 v117, v119
	v_pk_fma_f32 v[118:119], v[174:175], v[170:171], v[122:123] op_sel_hi:[1,0,1]
	v_pk_add_f32 v[114:115], v[114:115], v[120:121]
	v_pk_fma_f32 v[120:121], v[174:175], v[170:171], v[122:123] neg_lo:[0,0,1] neg_hi:[0,0,1]
	s_delay_alu instid0(VALU_DEP_3) | instskip(NEXT) | instid1(VALU_DEP_3)
	v_mov_b32_e32 v121, v119
	v_pk_add_f32 v[114:115], v[114:115], v[116:117]
	s_delay_alu instid0(VALU_DEP_1) | instskip(SKIP_1) | instid1(VALU_DEP_1)
	v_pk_add_f32 v[114:115], v[114:115], v[120:121]
	s_wait_loadcnt 0x0
	v_pk_add_f32 v[114:115], v[172:173], v[114:115] neg_lo:[0,1] neg_hi:[0,1]
	scratch_store_b64 off, v[114:115], off offset:320
	s_wait_xcnt 0x0
	v_cmpx_lt_u32_e32 39, v0
	s_cbranch_execz .LBB119_271
; %bb.270:
	scratch_load_b64 v[114:115], off, off offset:312
	v_mov_b64_e32 v[116:117], 0
	scratch_store_b64 off, v[116:117], off offset:312
	s_wait_loadcnt 0x0
	ds_store_b64 v1, v[114:115]
.LBB119_271:
	s_wait_xcnt 0x0
	s_or_b32 exec_lo, exec_lo, s0
	s_wait_storecnt_dscnt 0x0
	s_barrier_signal -1
	s_barrier_wait -1
	s_clause 0x8
	scratch_load_b128 v[114:117], off, off offset:320
	scratch_load_b128 v[118:121], off, off offset:336
	;; [unrolled: 1-line block ×8, first 2 shown]
	scratch_load_b64 v[178:179], off, off offset:312
	ds_load_b128 v[146:149], v7 offset:832
	ds_load_b128 v[150:153], v7 offset:848
	;; [unrolled: 1-line block ×8, first 2 shown]
	s_mov_b32 s0, exec_lo
	s_wait_dscnt 0x7
	v_dual_mov_b32 v180, v149 :: v_dual_mov_b32 v181, v148
	s_wait_dscnt 0x6
	v_dual_mov_b32 v182, v153 :: v_dual_mov_b32 v183, v152
	;; [unrolled: 2-line block ×4, first 2 shown]
	s_wait_loadcnt_dscnt 0x803
	v_dual_mul_f32 v7, v162, v115 :: v_dual_mul_f32 v9, v164, v117
	v_dual_mul_f32 v19, v163, v115 :: v_dual_mul_f32 v21, v165, v117
	s_wait_loadcnt_dscnt 0x702
	v_dual_mul_f32 v11, v166, v119 :: v_dual_mul_f32 v13, v168, v121
	s_delay_alu instid0(VALU_DEP_3) | instskip(SKIP_3) | instid1(VALU_DEP_3)
	v_dual_fmac_f32 v7, v163, v114 :: v_dual_fmac_f32 v9, v165, v116
	s_wait_loadcnt_dscnt 0x500
	v_dual_fma_f32 v19, v162, v114, -v19 :: v_dual_mul_f32 v31, v175, v127
	v_dual_mul_f32 v23, v167, v119 :: v_dual_mul_f32 v25, v169, v121
	v_dual_fma_f32 v21, v164, v116, -v21 :: v_dual_add_f32 v7, 0, v7
	s_delay_alu instid0(VALU_DEP_3) | instskip(SKIP_1) | instid1(VALU_DEP_3)
	v_dual_add_f32 v19, 0, v19 :: v_dual_mul_f32 v33, v177, v129
	v_dual_fmac_f32 v11, v167, v118 :: v_dual_fmac_f32 v13, v169, v120
	v_dual_fma_f32 v23, v166, v118, -v23 :: v_dual_add_f32 v7, v7, v9
	s_delay_alu instid0(VALU_DEP_3) | instskip(SKIP_4) | instid1(VALU_DEP_3)
	v_dual_add_f32 v9, v19, v21 :: v_dual_fma_f32 v19, v168, v120, -v25
	v_dual_mul_f32 v15, v170, v123 :: v_dual_mul_f32 v17, v172, v125
	v_dual_mul_f32 v27, v171, v123 :: v_dual_mul_f32 v29, v173, v125
	s_wait_loadcnt 0x4
	v_dual_add_f32 v7, v7, v11 :: v_dual_mov_b32 v116, v133
	v_dual_add_f32 v9, v9, v23 :: v_dual_fmac_f32 v15, v171, v122
	s_delay_alu instid0(VALU_DEP_2) | instskip(SKIP_1) | instid1(VALU_DEP_3)
	v_dual_fma_f32 v11, v170, v122, -v27 :: v_dual_add_f32 v7, v7, v13
	v_dual_mul_f32 v189, v174, v127 :: v_dual_mul_f32 v191, v176, v129
	v_dual_add_f32 v9, v9, v19 :: v_dual_fma_f32 v13, v172, v124, -v29
	s_delay_alu instid0(VALU_DEP_3) | instskip(SKIP_1) | instid1(VALU_DEP_3)
	v_dual_fmac_f32 v17, v173, v124 :: v_dual_add_f32 v7, v7, v15
	v_pk_mul_f32 v[114:115], v[146:147], v[130:131] op_sel:[1,1] op_sel_hi:[0,1]
	v_dual_add_f32 v9, v9, v11 :: v_dual_fmac_f32 v189, v175, v126
	s_wait_loadcnt 0x3
	v_dual_mov_b32 v120, v137 :: v_dual_fma_f32 v188, v174, v126, -v31
	v_dual_add_f32 v123, v7, v17 :: v_dual_fmac_f32 v191, v177, v128
	s_delay_alu instid0(VALU_DEP_3) | instskip(SKIP_3) | instid1(VALU_DEP_4)
	v_dual_add_f32 v122, v9, v13 :: v_dual_fma_f32 v190, v176, v128, -v33
	v_pk_fma_f32 v[124:125], v[146:147], v[130:131], v[114:115] op_sel_hi:[1,0,1]
	v_pk_mul_f32 v[116:117], v[180:181], v[116:117] op_sel_hi:[1,0]
	v_pk_fma_f32 v[114:115], v[146:147], v[130:131], v[114:115] neg_lo:[0,0,1] neg_hi:[0,0,1]
	v_pk_add_f32 v[122:123], v[122:123], v[188:189]
	v_pk_mul_f32 v[118:119], v[150:151], v[134:135] op_sel:[1,1] op_sel_hi:[0,1]
	v_mov_b32_e32 v115, v125
	v_pk_fma_f32 v[124:125], v[148:149], v[132:133], v[116:117] op_sel_hi:[1,0,1]
	v_pk_fma_f32 v[116:117], v[148:149], v[132:133], v[116:117] neg_lo:[0,0,1] neg_hi:[0,0,1]
	v_pk_add_f32 v[122:123], v[122:123], v[190:191]
	v_pk_fma_f32 v[128:129], v[150:151], v[134:135], v[118:119] op_sel_hi:[1,0,1]
	v_pk_mul_f32 v[120:121], v[182:183], v[120:121] op_sel_hi:[1,0]
	v_mov_b32_e32 v117, v125
	s_wait_loadcnt 0x2
	v_pk_mul_f32 v[126:127], v[154:155], v[138:139] op_sel:[1,1] op_sel_hi:[0,1]
	v_pk_add_f32 v[114:115], v[122:123], v[114:115]
	v_mov_b32_e32 v122, v141
	v_pk_fma_f32 v[118:119], v[150:151], v[134:135], v[118:119] neg_lo:[0,0,1] neg_hi:[0,0,1]
	v_mov_b32_e32 v119, v129
	v_pk_fma_f32 v[124:125], v[152:153], v[136:137], v[120:121] op_sel_hi:[1,0,1]
	v_pk_add_f32 v[114:115], v[114:115], v[116:117]
	v_pk_fma_f32 v[116:117], v[154:155], v[138:139], v[126:127] op_sel_hi:[1,0,1]
	v_pk_mul_f32 v[122:123], v[184:185], v[122:123] op_sel_hi:[1,0]
	v_pk_fma_f32 v[120:121], v[152:153], v[136:137], v[120:121] neg_lo:[0,0,1] neg_hi:[0,0,1]
	v_mov_b32_e32 v121, v125
	v_pk_add_f32 v[114:115], v[114:115], v[118:119]
	v_pk_fma_f32 v[124:125], v[154:155], v[138:139], v[126:127] neg_lo:[0,0,1] neg_hi:[0,0,1]
	v_mov_b32_e32 v125, v117
	v_pk_fma_f32 v[116:117], v[156:157], v[140:141], v[122:123] op_sel_hi:[1,0,1]
	s_wait_loadcnt 0x1
	v_pk_mul_f32 v[118:119], v[158:159], v[142:143] op_sel:[1,1] op_sel_hi:[0,1]
	v_pk_add_f32 v[114:115], v[114:115], v[120:121]
	v_mov_b32_e32 v116, v145
	v_pk_fma_f32 v[122:123], v[156:157], v[140:141], v[122:123] neg_lo:[0,0,1] neg_hi:[0,0,1]
	v_mov_b32_e32 v123, v117
	v_pk_fma_f32 v[120:121], v[158:159], v[142:143], v[118:119] op_sel_hi:[1,0,1]
	v_pk_add_f32 v[114:115], v[114:115], v[124:125]
	v_pk_mul_f32 v[116:117], v[186:187], v[116:117] op_sel_hi:[1,0]
	v_pk_fma_f32 v[118:119], v[158:159], v[142:143], v[118:119] neg_lo:[0,0,1] neg_hi:[0,0,1]
	s_delay_alu instid0(VALU_DEP_4) | instskip(NEXT) | instid1(VALU_DEP_4)
	v_mov_b32_e32 v119, v121
	v_pk_add_f32 v[114:115], v[114:115], v[122:123]
	s_delay_alu instid0(VALU_DEP_4) | instskip(SKIP_1) | instid1(VALU_DEP_2)
	v_pk_fma_f32 v[120:121], v[160:161], v[144:145], v[116:117] op_sel_hi:[1,0,1]
	v_pk_fma_f32 v[116:117], v[160:161], v[144:145], v[116:117] neg_lo:[0,0,1] neg_hi:[0,0,1]
	v_mov_b32_e32 v117, v121
	s_delay_alu instid0(VALU_DEP_4) | instskip(NEXT) | instid1(VALU_DEP_1)
	v_pk_add_f32 v[114:115], v[114:115], v[118:119]
	v_pk_add_f32 v[114:115], v[114:115], v[116:117]
	s_wait_loadcnt 0x0
	s_delay_alu instid0(VALU_DEP_1)
	v_pk_add_f32 v[114:115], v[178:179], v[114:115] neg_lo:[0,1] neg_hi:[0,1]
	scratch_store_b64 off, v[114:115], off offset:312
	s_wait_xcnt 0x0
	v_cmpx_lt_u32_e32 38, v0
	s_cbranch_execz .LBB119_273
; %bb.272:
	scratch_load_b64 v[114:115], off, off offset:304
	v_mov_b64_e32 v[116:117], 0
	scratch_store_b64 off, v[116:117], off offset:304
	s_wait_loadcnt 0x0
	ds_store_b64 v1, v[114:115]
.LBB119_273:
	s_wait_xcnt 0x0
	s_or_b32 exec_lo, exec_lo, s0
	s_wait_storecnt_dscnt 0x0
	s_barrier_signal -1
	s_barrier_wait -1
	s_clause 0x9
	scratch_load_b128 v[114:117], off, off offset:312
	scratch_load_b128 v[118:121], off, off offset:328
	scratch_load_b128 v[122:125], off, off offset:344
	scratch_load_b128 v[126:129], off, off offset:360
	scratch_load_b128 v[130:133], off, off offset:376
	scratch_load_b128 v[134:137], off, off offset:392
	scratch_load_b128 v[138:141], off, off offset:408
	scratch_load_b128 v[142:145], off, off offset:424
	scratch_load_b64 v[178:179], off, off offset:440
	scratch_load_b64 v[180:181], off, off offset:304
	v_mov_b32_e32 v7, 0
	ds_load_2addr_b64 v[146:149], v7 offset0:103 offset1:104
	ds_load_2addr_b64 v[150:153], v7 offset0:105 offset1:106
	;; [unrolled: 1-line block ×8, first 2 shown]
	ds_load_b64 v[182:183], v7 offset:888
	s_mov_b32 s0, exec_lo
	s_wait_dscnt 0x8
	v_dual_mov_b32 v184, v149 :: v_dual_mov_b32 v185, v148
	s_wait_dscnt 0x5
	v_dual_mov_b32 v186, v153 :: v_dual_mov_b32 v191, v160
	v_dual_mov_b32 v187, v152 :: v_dual_mov_b32 v188, v157
	;; [unrolled: 1-line block ×3, first 2 shown]
	s_wait_loadcnt_dscnt 0x904
	v_dual_mul_f32 v9, v162, v115 :: v_dual_mul_f32 v23, v163, v115
	v_dual_mul_f32 v25, v165, v117 :: v_dual_mul_f32 v11, v164, v117
	s_wait_loadcnt_dscnt 0x803
	v_mul_f32_e32 v13, v166, v119
	s_wait_loadcnt_dscnt 0x601
	v_dual_mul_f32 v35, v175, v127 :: v_dual_fma_f32 v23, v162, v114, -v23
	v_dual_fmac_f32 v9, v163, v114 :: v_dual_mul_f32 v37, v177, v129
	v_dual_mul_f32 v27, v167, v119 :: v_dual_mul_f32 v29, v169, v121
	v_dual_fmac_f32 v11, v165, v116 :: v_dual_fma_f32 v25, v164, v116, -v25
	s_delay_alu instid0(VALU_DEP_3) | instskip(SKIP_3) | instid1(VALU_DEP_3)
	v_dual_add_f32 v9, 0, v9 :: v_dual_add_f32 v23, 0, v23
	v_dual_mul_f32 v15, v168, v121 :: v_dual_mul_f32 v17, v170, v123
	s_wait_loadcnt 0x5
	v_dual_mul_f32 v39, v147, v131 :: v_dual_fma_f32 v27, v166, v118, -v27
	v_dual_fmac_f32 v13, v167, v118 :: v_dual_add_f32 v9, v9, v11
	v_dual_add_f32 v11, v23, v25 :: v_dual_mov_b32 v114, v133
	v_dual_mul_f32 v31, v171, v123 :: v_dual_mul_f32 v33, v173, v125
	v_dual_fmac_f32 v15, v169, v120 :: v_dual_fma_f32 v23, v168, v120, -v29
	s_delay_alu instid0(VALU_DEP_3) | instskip(SKIP_1) | instid1(VALU_DEP_4)
	v_dual_add_f32 v9, v9, v13 :: v_dual_add_f32 v11, v11, v27
	v_dual_mul_f32 v19, v172, v125 :: v_dual_mul_f32 v21, v174, v127
	v_dual_fmac_f32 v17, v171, v122 :: v_dual_fma_f32 v13, v170, v122, -v31
	s_delay_alu instid0(VALU_DEP_3) | instskip(SKIP_3) | instid1(VALU_DEP_3)
	v_dual_add_f32 v9, v9, v15 :: v_dual_fma_f32 v15, v172, v124, -v33
	s_wait_loadcnt 0x4
	v_dual_add_f32 v11, v11, v23 :: v_dual_mov_b32 v118, v137
	v_fmac_f32_e32 v19, v173, v124
	v_dual_add_f32 v9, v9, v17 :: v_dual_fmac_f32 v21, v175, v126
	s_delay_alu instid0(VALU_DEP_3) | instskip(SKIP_1) | instid1(VALU_DEP_3)
	v_add_f32_e32 v11, v11, v13
	v_dual_mul_f32 v193, v176, v129 :: v_dual_mul_f32 v195, v146, v131
	v_dual_fma_f32 v13, v174, v126, -v35 :: v_dual_add_f32 v9, v9, v19
	s_delay_alu instid0(VALU_DEP_2) | instskip(SKIP_1) | instid1(VALU_DEP_3)
	v_dual_add_f32 v11, v11, v15 :: v_dual_fmac_f32 v193, v177, v128
	v_pk_mul_f32 v[116:117], v[150:151], v[134:135] op_sel:[1,1] op_sel_hi:[0,1]
	v_dual_fma_f32 v192, v176, v128, -v37 :: v_dual_add_f32 v123, v9, v21
	v_pk_mul_f32 v[114:115], v[184:185], v[114:115] op_sel_hi:[1,0]
	s_wait_loadcnt 0x3
	v_dual_add_f32 v122, v11, v13 :: v_dual_mov_b32 v124, v141
	v_pk_fma_f32 v[128:129], v[150:151], v[134:135], v[116:117] op_sel_hi:[1,0,1]
	v_fmac_f32_e32 v195, v147, v130
	v_pk_fma_f32 v[126:127], v[148:149], v[132:133], v[114:115] op_sel_hi:[1,0,1]
	v_fma_f32 v194, v146, v130, -v39
	v_pk_add_f32 v[122:123], v[122:123], v[192:193]
	v_pk_fma_f32 v[114:115], v[148:149], v[132:133], v[114:115] neg_lo:[0,0,1] neg_hi:[0,0,1]
	v_pk_fma_f32 v[116:117], v[150:151], v[134:135], v[116:117] neg_lo:[0,0,1] neg_hi:[0,0,1]
	v_pk_mul_f32 v[118:119], v[186:187], v[118:119] op_sel_hi:[1,0]
	v_dual_mov_b32 v115, v127 :: v_dual_mov_b32 v117, v129
	v_pk_add_f32 v[122:123], v[122:123], v[194:195]
	v_pk_mul_f32 v[120:121], v[154:155], v[138:139] op_sel:[1,1] op_sel_hi:[0,1]
	s_delay_alu instid0(VALU_DEP_4)
	v_pk_fma_f32 v[128:129], v[152:153], v[136:137], v[118:119] op_sel_hi:[1,0,1]
	v_pk_fma_f32 v[118:119], v[152:153], v[136:137], v[118:119] neg_lo:[0,0,1] neg_hi:[0,0,1]
	v_pk_mul_f32 v[124:125], v[188:189], v[124:125] op_sel_hi:[1,0]
	v_pk_add_f32 v[114:115], v[122:123], v[114:115]
	v_pk_fma_f32 v[122:123], v[154:155], v[138:139], v[120:121] op_sel_hi:[1,0,1]
	v_mov_b32_e32 v119, v129
	v_pk_fma_f32 v[120:121], v[154:155], v[138:139], v[120:121] neg_lo:[0,0,1] neg_hi:[0,0,1]
	s_wait_loadcnt 0x2
	v_pk_mul_f32 v[126:127], v[158:159], v[142:143] op_sel:[1,1] op_sel_hi:[0,1]
	v_pk_add_f32 v[114:115], v[114:115], v[116:117]
	v_dual_mov_b32 v116, v145 :: v_dual_mov_b32 v121, v123
	v_pk_fma_f32 v[122:123], v[156:157], v[140:141], v[124:125] op_sel_hi:[1,0,1]
	v_pk_fma_f32 v[124:125], v[156:157], v[140:141], v[124:125] neg_lo:[0,0,1] neg_hi:[0,0,1]
	s_delay_alu instid0(VALU_DEP_4)
	v_pk_add_f32 v[114:115], v[114:115], v[118:119]
	v_pk_fma_f32 v[118:119], v[158:159], v[142:143], v[126:127] op_sel_hi:[1,0,1]
	v_pk_mul_f32 v[116:117], v[190:191], v[116:117] op_sel_hi:[1,0]
	v_mov_b32_e32 v125, v123
	s_wait_loadcnt_dscnt 0x100
	v_pk_mul_f32 v[122:123], v[182:183], v[178:179] op_sel:[1,1] op_sel_hi:[0,1]
	v_pk_add_f32 v[114:115], v[114:115], v[120:121]
	v_pk_fma_f32 v[120:121], v[158:159], v[142:143], v[126:127] neg_lo:[0,0,1] neg_hi:[0,0,1]
	v_mov_b32_e32 v121, v119
	v_pk_fma_f32 v[118:119], v[160:161], v[144:145], v[116:117] op_sel_hi:[1,0,1]
	v_pk_fma_f32 v[116:117], v[160:161], v[144:145], v[116:117] neg_lo:[0,0,1] neg_hi:[0,0,1]
	v_pk_add_f32 v[114:115], v[114:115], v[124:125]
	s_delay_alu instid0(VALU_DEP_3) | instskip(SKIP_1) | instid1(VALU_DEP_3)
	v_mov_b32_e32 v117, v119
	v_pk_fma_f32 v[118:119], v[182:183], v[178:179], v[122:123] op_sel_hi:[1,0,1]
	v_pk_add_f32 v[114:115], v[114:115], v[120:121]
	v_pk_fma_f32 v[120:121], v[182:183], v[178:179], v[122:123] neg_lo:[0,0,1] neg_hi:[0,0,1]
	s_delay_alu instid0(VALU_DEP_3) | instskip(NEXT) | instid1(VALU_DEP_3)
	v_mov_b32_e32 v121, v119
	v_pk_add_f32 v[114:115], v[114:115], v[116:117]
	s_delay_alu instid0(VALU_DEP_1) | instskip(SKIP_1) | instid1(VALU_DEP_1)
	v_pk_add_f32 v[114:115], v[114:115], v[120:121]
	s_wait_loadcnt 0x0
	v_pk_add_f32 v[114:115], v[180:181], v[114:115] neg_lo:[0,1] neg_hi:[0,1]
	scratch_store_b64 off, v[114:115], off offset:304
	s_wait_xcnt 0x0
	v_cmpx_lt_u32_e32 37, v0
	s_cbranch_execz .LBB119_275
; %bb.274:
	scratch_load_b64 v[114:115], off, off offset:296
	v_mov_b64_e32 v[116:117], 0
	scratch_store_b64 off, v[116:117], off offset:296
	s_wait_loadcnt 0x0
	ds_store_b64 v1, v[114:115]
.LBB119_275:
	s_wait_xcnt 0x0
	s_or_b32 exec_lo, exec_lo, s0
	s_wait_storecnt_dscnt 0x0
	s_barrier_signal -1
	s_barrier_wait -1
	s_clause 0x9
	scratch_load_b128 v[114:117], off, off offset:304
	scratch_load_b128 v[118:121], off, off offset:320
	;; [unrolled: 1-line block ×9, first 2 shown]
	scratch_load_b64 v[186:187], off, off offset:296
	ds_load_b128 v[150:153], v7 offset:832
	ds_load_b128 v[154:157], v7 offset:848
	;; [unrolled: 1-line block ×9, first 2 shown]
	s_mov_b32 s0, exec_lo
	s_wait_dscnt 0x8
	v_dual_mov_b32 v188, v153 :: v_dual_mov_b32 v189, v152
	s_wait_dscnt 0x7
	v_dual_mov_b32 v190, v157 :: v_dual_mov_b32 v191, v156
	;; [unrolled: 2-line block ×4, first 2 shown]
	s_wait_loadcnt_dscnt 0x904
	v_dual_mul_f32 v7, v166, v115 :: v_dual_mul_f32 v9, v168, v117
	v_dual_mul_f32 v23, v167, v115 :: v_dual_mul_f32 v25, v169, v117
	s_wait_loadcnt_dscnt 0x803
	v_dual_mul_f32 v11, v170, v119 :: v_dual_mul_f32 v13, v172, v121
	s_delay_alu instid0(VALU_DEP_3) | instskip(SKIP_3) | instid1(VALU_DEP_3)
	v_dual_fmac_f32 v7, v167, v114 :: v_dual_fmac_f32 v9, v169, v116
	s_wait_loadcnt_dscnt 0x601
	v_dual_fma_f32 v23, v166, v114, -v23 :: v_dual_mul_f32 v35, v179, v127
	v_dual_mul_f32 v27, v171, v119 :: v_dual_mul_f32 v29, v173, v121
	v_dual_fma_f32 v25, v168, v116, -v25 :: v_dual_add_f32 v7, 0, v7
	s_delay_alu instid0(VALU_DEP_3) | instskip(SKIP_1) | instid1(VALU_DEP_3)
	v_dual_add_f32 v23, 0, v23 :: v_dual_mul_f32 v37, v181, v129
	v_dual_fmac_f32 v11, v171, v118 :: v_dual_fmac_f32 v13, v173, v120
	v_dual_fma_f32 v27, v170, v118, -v27 :: v_dual_add_f32 v7, v7, v9
	s_delay_alu instid0(VALU_DEP_3) | instskip(SKIP_2) | instid1(VALU_DEP_4)
	v_dual_add_f32 v9, v23, v25 :: v_dual_fma_f32 v25, v172, v120, -v29
	v_dual_mul_f32 v15, v174, v123 :: v_dual_mul_f32 v17, v176, v125
	v_dual_mul_f32 v31, v175, v123 :: v_dual_mul_f32 v33, v177, v125
	v_add_f32_e32 v7, v7, v11
	s_delay_alu instid0(VALU_DEP_3) | instskip(NEXT) | instid1(VALU_DEP_3)
	v_dual_add_f32 v9, v9, v27 :: v_dual_fmac_f32 v15, v175, v122
	v_fma_f32 v27, v174, v122, -v31
	v_dual_mul_f32 v19, v178, v127 :: v_dual_mul_f32 v21, v180, v129
	s_delay_alu instid0(VALU_DEP_4) | instskip(NEXT) | instid1(VALU_DEP_4)
	v_dual_add_f32 v7, v7, v13 :: v_dual_fmac_f32 v17, v177, v124
	v_dual_add_f32 v9, v9, v25 :: v_dual_fma_f32 v13, v176, v124, -v33
	s_wait_loadcnt 0x4
	s_delay_alu instid0(VALU_DEP_2) | instskip(NEXT) | instid1(VALU_DEP_2)
	v_dual_mov_b32 v116, v137 :: v_dual_add_f32 v7, v7, v15
	v_dual_fmac_f32 v19, v179, v126 :: v_dual_add_f32 v9, v9, v27
	v_fma_f32 v15, v178, v126, -v35
	s_wait_dscnt 0x0
	v_dual_mul_f32 v197, v182, v131 :: v_dual_mul_f32 v199, v184, v133
	v_add_f32_e32 v7, v7, v17
	v_dual_add_f32 v9, v9, v13 :: v_dual_fma_f32 v13, v180, v128, -v37
	v_dual_mul_f32 v23, v183, v131 :: v_dual_mul_f32 v11, v185, v133
	s_delay_alu instid0(VALU_DEP_3) | instskip(NEXT) | instid1(VALU_DEP_3)
	v_dual_fmac_f32 v21, v181, v128 :: v_dual_add_f32 v7, v7, v19
	v_dual_add_f32 v9, v9, v15 :: v_dual_fmac_f32 v197, v183, v130
	v_pk_mul_f32 v[114:115], v[150:151], v[134:135] op_sel:[1,1] op_sel_hi:[0,1]
	s_wait_loadcnt 0x3
	v_dual_mov_b32 v120, v141 :: v_dual_fma_f32 v196, v182, v130, -v23
	v_dual_add_f32 v123, v7, v21 :: v_dual_fmac_f32 v199, v185, v132
	v_dual_add_f32 v122, v9, v13 :: v_dual_fma_f32 v198, v184, v132, -v11
	v_pk_fma_f32 v[124:125], v[150:151], v[134:135], v[114:115] op_sel_hi:[1,0,1]
	v_pk_mul_f32 v[116:117], v[188:189], v[116:117] op_sel_hi:[1,0]
	v_pk_fma_f32 v[114:115], v[150:151], v[134:135], v[114:115] neg_lo:[0,0,1] neg_hi:[0,0,1]
	s_delay_alu instid0(VALU_DEP_4)
	v_pk_add_f32 v[122:123], v[122:123], v[196:197]
	v_pk_mul_f32 v[118:119], v[154:155], v[138:139] op_sel:[1,1] op_sel_hi:[0,1]
	v_mov_b32_e32 v115, v125
	v_pk_fma_f32 v[124:125], v[152:153], v[136:137], v[116:117] op_sel_hi:[1,0,1]
	v_pk_fma_f32 v[116:117], v[152:153], v[136:137], v[116:117] neg_lo:[0,0,1] neg_hi:[0,0,1]
	v_pk_add_f32 v[122:123], v[122:123], v[198:199]
	v_pk_fma_f32 v[128:129], v[154:155], v[138:139], v[118:119] op_sel_hi:[1,0,1]
	v_pk_mul_f32 v[120:121], v[190:191], v[120:121] op_sel_hi:[1,0]
	v_mov_b32_e32 v117, v125
	s_wait_loadcnt 0x2
	v_pk_mul_f32 v[126:127], v[158:159], v[142:143] op_sel:[1,1] op_sel_hi:[0,1]
	v_pk_add_f32 v[114:115], v[122:123], v[114:115]
	v_mov_b32_e32 v122, v145
	v_pk_fma_f32 v[118:119], v[154:155], v[138:139], v[118:119] neg_lo:[0,0,1] neg_hi:[0,0,1]
	v_mov_b32_e32 v119, v129
	v_pk_fma_f32 v[124:125], v[156:157], v[140:141], v[120:121] op_sel_hi:[1,0,1]
	v_pk_add_f32 v[114:115], v[114:115], v[116:117]
	v_pk_fma_f32 v[116:117], v[158:159], v[142:143], v[126:127] op_sel_hi:[1,0,1]
	v_pk_mul_f32 v[122:123], v[192:193], v[122:123] op_sel_hi:[1,0]
	v_pk_fma_f32 v[120:121], v[156:157], v[140:141], v[120:121] neg_lo:[0,0,1] neg_hi:[0,0,1]
	v_mov_b32_e32 v121, v125
	v_pk_add_f32 v[114:115], v[114:115], v[118:119]
	v_pk_fma_f32 v[124:125], v[158:159], v[142:143], v[126:127] neg_lo:[0,0,1] neg_hi:[0,0,1]
	v_mov_b32_e32 v125, v117
	v_pk_fma_f32 v[116:117], v[160:161], v[144:145], v[122:123] op_sel_hi:[1,0,1]
	s_wait_loadcnt 0x1
	v_pk_mul_f32 v[118:119], v[162:163], v[146:147] op_sel:[1,1] op_sel_hi:[0,1]
	v_pk_add_f32 v[114:115], v[114:115], v[120:121]
	v_mov_b32_e32 v116, v149
	v_pk_fma_f32 v[122:123], v[160:161], v[144:145], v[122:123] neg_lo:[0,0,1] neg_hi:[0,0,1]
	v_mov_b32_e32 v123, v117
	v_pk_fma_f32 v[120:121], v[162:163], v[146:147], v[118:119] op_sel_hi:[1,0,1]
	v_pk_add_f32 v[114:115], v[114:115], v[124:125]
	v_pk_mul_f32 v[116:117], v[194:195], v[116:117] op_sel_hi:[1,0]
	v_pk_fma_f32 v[118:119], v[162:163], v[146:147], v[118:119] neg_lo:[0,0,1] neg_hi:[0,0,1]
	s_delay_alu instid0(VALU_DEP_4) | instskip(NEXT) | instid1(VALU_DEP_4)
	v_mov_b32_e32 v119, v121
	v_pk_add_f32 v[114:115], v[114:115], v[122:123]
	s_delay_alu instid0(VALU_DEP_4) | instskip(SKIP_1) | instid1(VALU_DEP_2)
	v_pk_fma_f32 v[120:121], v[164:165], v[148:149], v[116:117] op_sel_hi:[1,0,1]
	v_pk_fma_f32 v[116:117], v[164:165], v[148:149], v[116:117] neg_lo:[0,0,1] neg_hi:[0,0,1]
	v_mov_b32_e32 v117, v121
	s_delay_alu instid0(VALU_DEP_4) | instskip(NEXT) | instid1(VALU_DEP_1)
	v_pk_add_f32 v[114:115], v[114:115], v[118:119]
	v_pk_add_f32 v[114:115], v[114:115], v[116:117]
	s_wait_loadcnt 0x0
	s_delay_alu instid0(VALU_DEP_1)
	v_pk_add_f32 v[114:115], v[186:187], v[114:115] neg_lo:[0,1] neg_hi:[0,1]
	scratch_store_b64 off, v[114:115], off offset:296
	s_wait_xcnt 0x0
	v_cmpx_lt_u32_e32 36, v0
	s_cbranch_execz .LBB119_277
; %bb.276:
	scratch_load_b64 v[114:115], off, off offset:288
	v_mov_b64_e32 v[116:117], 0
	scratch_store_b64 off, v[116:117], off offset:288
	s_wait_loadcnt 0x0
	ds_store_b64 v1, v[114:115]
.LBB119_277:
	s_wait_xcnt 0x0
	s_or_b32 exec_lo, exec_lo, s0
	s_wait_storecnt_dscnt 0x0
	s_barrier_signal -1
	s_barrier_wait -1
	s_clause 0xa
	scratch_load_b128 v[114:117], off, off offset:296
	scratch_load_b128 v[118:121], off, off offset:312
	scratch_load_b128 v[122:125], off, off offset:328
	scratch_load_b128 v[126:129], off, off offset:344
	scratch_load_b128 v[130:133], off, off offset:360
	scratch_load_b128 v[134:137], off, off offset:376
	scratch_load_b128 v[138:141], off, off offset:392
	scratch_load_b128 v[142:145], off, off offset:408
	scratch_load_b128 v[146:149], off, off offset:424
	scratch_load_b64 v[186:187], off, off offset:440
	scratch_load_b64 v[188:189], off, off offset:288
	v_mov_b32_e32 v7, 0
	ds_load_2addr_b64 v[150:153], v7 offset0:103 offset1:104
	ds_load_2addr_b64 v[154:157], v7 offset0:105 offset1:106
	;; [unrolled: 1-line block ×9, first 2 shown]
	ds_load_b64 v[190:191], v7 offset:888
	s_mov_b32 s0, exec_lo
	s_wait_dscnt 0x9
	v_dual_mov_b32 v192, v153 :: v_dual_mov_b32 v193, v152
	s_wait_dscnt 0x6
	v_dual_mov_b32 v194, v157 :: v_dual_mov_b32 v199, v164
	v_dual_mov_b32 v195, v156 :: v_dual_mov_b32 v196, v161
	v_dual_mov_b32 v197, v160 :: v_dual_mov_b32 v198, v165
	s_wait_loadcnt_dscnt 0xa05
	v_dual_mul_f32 v9, v166, v115 :: v_dual_mul_f32 v27, v167, v115
	v_dual_mul_f32 v29, v169, v117 :: v_dual_mul_f32 v11, v168, v117
	s_wait_loadcnt_dscnt 0x904
	v_mul_f32_e32 v13, v170, v119
	s_wait_loadcnt_dscnt 0x702
	v_dual_mul_f32 v39, v179, v127 :: v_dual_fma_f32 v27, v166, v114, -v27
	v_dual_fmac_f32 v9, v167, v114 :: v_dual_mul_f32 v41, v181, v129
	v_dual_mul_f32 v31, v171, v119 :: v_dual_mul_f32 v33, v173, v121
	v_dual_fmac_f32 v11, v169, v116 :: v_dual_fma_f32 v29, v168, v116, -v29
	s_delay_alu instid0(VALU_DEP_3) | instskip(SKIP_3) | instid1(VALU_DEP_3)
	v_dual_add_f32 v9, 0, v9 :: v_dual_add_f32 v27, 0, v27
	v_dual_mul_f32 v15, v172, v121 :: v_dual_mul_f32 v17, v174, v123
	s_wait_loadcnt_dscnt 0x601
	v_dual_mul_f32 v43, v183, v131 :: v_dual_fma_f32 v31, v170, v118, -v31
	v_dual_fmac_f32 v13, v171, v118 :: v_dual_add_f32 v9, v9, v11
	s_delay_alu instid0(VALU_DEP_3) | instskip(SKIP_2) | instid1(VALU_DEP_3)
	v_dual_add_f32 v11, v27, v29 :: v_dual_fmac_f32 v15, v173, v120
	v_dual_mul_f32 v35, v175, v123 :: v_dual_mul_f32 v37, v177, v125
	v_dual_mul_f32 v27, v185, v133 :: v_dual_fma_f32 v29, v172, v120, -v33
	v_dual_add_f32 v9, v9, v13 :: v_dual_add_f32 v11, v11, v31
	v_dual_mul_f32 v19, v176, v125 :: v_dual_mul_f32 v21, v178, v127
	s_wait_loadcnt 0x5
	v_dual_mul_f32 v13, v151, v135 :: v_dual_fma_f32 v31, v174, v122, -v35
	s_delay_alu instid0(VALU_DEP_3) | instskip(SKIP_2) | instid1(VALU_DEP_2)
	v_dual_fmac_f32 v17, v175, v122 :: v_dual_add_f32 v9, v9, v15
	v_dual_add_f32 v11, v11, v29 :: v_dual_mov_b32 v114, v137
	v_dual_fmac_f32 v19, v177, v124 :: v_dual_fma_f32 v15, v176, v124, -v37
	v_dual_add_f32 v9, v9, v17 :: v_dual_add_f32 v11, v11, v31
	v_dual_mul_f32 v23, v180, v129 :: v_dual_mul_f32 v25, v182, v131
	v_dual_fmac_f32 v21, v179, v126 :: v_dual_fma_f32 v17, v178, v126, -v39
	s_delay_alu instid0(VALU_DEP_3) | instskip(SKIP_3) | instid1(VALU_DEP_3)
	v_add_f32_e32 v9, v9, v19
	s_wait_loadcnt 0x4
	v_dual_add_f32 v11, v11, v15 :: v_dual_mov_b32 v118, v141
	v_dual_fmac_f32 v23, v181, v128 :: v_dual_fma_f32 v15, v180, v128, -v41
	v_dual_add_f32 v9, v9, v21 :: v_dual_fmac_f32 v25, v183, v130
	s_delay_alu instid0(VALU_DEP_3) | instskip(SKIP_1) | instid1(VALU_DEP_3)
	v_add_f32_e32 v11, v11, v17
	v_dual_mul_f32 v201, v184, v133 :: v_dual_mul_f32 v203, v150, v135
	v_dual_fma_f32 v17, v182, v130, -v43 :: v_dual_add_f32 v9, v9, v23
	s_delay_alu instid0(VALU_DEP_2) | instskip(SKIP_2) | instid1(VALU_DEP_4)
	v_dual_add_f32 v11, v11, v15 :: v_dual_fmac_f32 v201, v185, v132
	v_fma_f32 v200, v184, v132, -v27
	v_pk_mul_f32 v[114:115], v[192:193], v[114:115] op_sel_hi:[1,0]
	v_add_f32_e32 v123, v9, v25
	s_wait_loadcnt 0x3
	v_dual_add_f32 v122, v11, v17 :: v_dual_mov_b32 v124, v145
	v_pk_mul_f32 v[116:117], v[154:155], v[138:139] op_sel:[1,1] op_sel_hi:[0,1]
	v_dual_fmac_f32 v203, v151, v134 :: v_dual_fma_f32 v202, v150, v134, -v13
	v_pk_fma_f32 v[126:127], v[152:153], v[136:137], v[114:115] op_sel_hi:[1,0,1]
	s_delay_alu instid0(VALU_DEP_4)
	v_pk_add_f32 v[122:123], v[122:123], v[200:201]
	v_pk_fma_f32 v[114:115], v[152:153], v[136:137], v[114:115] neg_lo:[0,0,1] neg_hi:[0,0,1]
	v_pk_fma_f32 v[128:129], v[154:155], v[138:139], v[116:117] op_sel_hi:[1,0,1]
	v_pk_mul_f32 v[118:119], v[194:195], v[118:119] op_sel_hi:[1,0]
	v_mov_b32_e32 v115, v127
	v_pk_add_f32 v[122:123], v[122:123], v[202:203]
	v_pk_fma_f32 v[116:117], v[154:155], v[138:139], v[116:117] neg_lo:[0,0,1] neg_hi:[0,0,1]
	v_pk_mul_f32 v[120:121], v[158:159], v[142:143] op_sel:[1,1] op_sel_hi:[0,1]
	v_mov_b32_e32 v117, v129
	v_pk_fma_f32 v[128:129], v[156:157], v[140:141], v[118:119] op_sel_hi:[1,0,1]
	v_pk_add_f32 v[114:115], v[122:123], v[114:115]
	v_pk_fma_f32 v[118:119], v[156:157], v[140:141], v[118:119] neg_lo:[0,0,1] neg_hi:[0,0,1]
	v_pk_fma_f32 v[122:123], v[158:159], v[142:143], v[120:121] op_sel_hi:[1,0,1]
	v_pk_mul_f32 v[124:125], v[196:197], v[124:125] op_sel_hi:[1,0]
	v_mov_b32_e32 v119, v129
	v_pk_add_f32 v[114:115], v[114:115], v[116:117]
	v_pk_fma_f32 v[120:121], v[158:159], v[142:143], v[120:121] neg_lo:[0,0,1] neg_hi:[0,0,1]
	s_wait_loadcnt 0x2
	v_pk_mul_f32 v[126:127], v[162:163], v[146:147] op_sel:[1,1] op_sel_hi:[0,1]
	v_dual_mov_b32 v116, v149 :: v_dual_mov_b32 v121, v123
	v_pk_fma_f32 v[122:123], v[160:161], v[144:145], v[124:125] op_sel_hi:[1,0,1]
	v_pk_add_f32 v[114:115], v[114:115], v[118:119]
	v_pk_fma_f32 v[124:125], v[160:161], v[144:145], v[124:125] neg_lo:[0,0,1] neg_hi:[0,0,1]
	v_pk_fma_f32 v[118:119], v[162:163], v[146:147], v[126:127] op_sel_hi:[1,0,1]
	v_pk_mul_f32 v[116:117], v[198:199], v[116:117] op_sel_hi:[1,0]
	v_mov_b32_e32 v125, v123
	v_pk_add_f32 v[114:115], v[114:115], v[120:121]
	v_pk_fma_f32 v[120:121], v[162:163], v[146:147], v[126:127] neg_lo:[0,0,1] neg_hi:[0,0,1]
	v_mov_b32_e32 v121, v119
	v_pk_fma_f32 v[118:119], v[164:165], v[148:149], v[116:117] op_sel_hi:[1,0,1]
	s_wait_loadcnt_dscnt 0x100
	v_pk_mul_f32 v[122:123], v[190:191], v[186:187] op_sel:[1,1] op_sel_hi:[0,1]
	v_pk_add_f32 v[114:115], v[114:115], v[124:125]
	v_pk_fma_f32 v[116:117], v[164:165], v[148:149], v[116:117] neg_lo:[0,0,1] neg_hi:[0,0,1]
	v_mov_b32_e32 v117, v119
	s_delay_alu instid0(VALU_DEP_4) | instskip(NEXT) | instid1(VALU_DEP_4)
	v_pk_fma_f32 v[118:119], v[190:191], v[186:187], v[122:123] op_sel_hi:[1,0,1]
	v_pk_add_f32 v[114:115], v[114:115], v[120:121]
	v_pk_fma_f32 v[120:121], v[190:191], v[186:187], v[122:123] neg_lo:[0,0,1] neg_hi:[0,0,1]
	s_delay_alu instid0(VALU_DEP_3) | instskip(NEXT) | instid1(VALU_DEP_3)
	v_mov_b32_e32 v121, v119
	v_pk_add_f32 v[114:115], v[114:115], v[116:117]
	s_delay_alu instid0(VALU_DEP_1) | instskip(SKIP_1) | instid1(VALU_DEP_1)
	v_pk_add_f32 v[114:115], v[114:115], v[120:121]
	s_wait_loadcnt 0x0
	v_pk_add_f32 v[114:115], v[188:189], v[114:115] neg_lo:[0,1] neg_hi:[0,1]
	scratch_store_b64 off, v[114:115], off offset:288
	s_wait_xcnt 0x0
	v_cmpx_lt_u32_e32 35, v0
	s_cbranch_execz .LBB119_279
; %bb.278:
	scratch_load_b64 v[114:115], off, off offset:280
	v_mov_b64_e32 v[116:117], 0
	scratch_store_b64 off, v[116:117], off offset:280
	s_wait_loadcnt 0x0
	ds_store_b64 v1, v[114:115]
.LBB119_279:
	s_wait_xcnt 0x0
	s_or_b32 exec_lo, exec_lo, s0
	s_wait_storecnt_dscnt 0x0
	s_barrier_signal -1
	s_barrier_wait -1
	s_clause 0xa
	scratch_load_b128 v[114:117], off, off offset:288
	scratch_load_b128 v[118:121], off, off offset:304
	;; [unrolled: 1-line block ×10, first 2 shown]
	scratch_load_b64 v[194:195], off, off offset:280
	ds_load_b128 v[154:157], v7 offset:832
	ds_load_b128 v[158:161], v7 offset:848
	;; [unrolled: 1-line block ×10, first 2 shown]
	s_mov_b32 s0, exec_lo
	s_wait_dscnt 0x9
	v_dual_mov_b32 v196, v157 :: v_dual_mov_b32 v197, v156
	s_wait_dscnt 0x8
	v_dual_mov_b32 v198, v161 :: v_dual_mov_b32 v199, v160
	;; [unrolled: 2-line block ×4, first 2 shown]
	s_wait_loadcnt_dscnt 0xa05
	v_dual_mul_f32 v7, v170, v115 :: v_dual_mul_f32 v9, v172, v117
	v_dual_mul_f32 v27, v171, v115 :: v_dual_mul_f32 v29, v173, v117
	s_wait_loadcnt_dscnt 0x904
	v_dual_mul_f32 v11, v174, v119 :: v_dual_mul_f32 v13, v176, v121
	s_delay_alu instid0(VALU_DEP_3) | instskip(SKIP_3) | instid1(VALU_DEP_3)
	v_dual_fmac_f32 v7, v171, v114 :: v_dual_fmac_f32 v9, v173, v116
	s_wait_loadcnt_dscnt 0x702
	v_dual_fma_f32 v27, v170, v114, -v27 :: v_dual_mul_f32 v39, v183, v127
	v_dual_mul_f32 v31, v175, v119 :: v_dual_mul_f32 v33, v177, v121
	v_dual_fma_f32 v29, v172, v116, -v29 :: v_dual_add_f32 v7, 0, v7
	s_delay_alu instid0(VALU_DEP_3) | instskip(SKIP_1) | instid1(VALU_DEP_3)
	v_dual_add_f32 v27, 0, v27 :: v_dual_mul_f32 v41, v185, v129
	v_dual_fmac_f32 v11, v175, v118 :: v_dual_fmac_f32 v13, v177, v120
	v_dual_fma_f32 v31, v174, v118, -v31 :: v_dual_add_f32 v7, v7, v9
	s_delay_alu instid0(VALU_DEP_3) | instskip(SKIP_2) | instid1(VALU_DEP_4)
	v_dual_add_f32 v9, v27, v29 :: v_dual_fma_f32 v29, v176, v120, -v33
	v_dual_mul_f32 v15, v178, v123 :: v_dual_mul_f32 v17, v180, v125
	v_dual_mul_f32 v35, v179, v123 :: v_dual_mul_f32 v37, v181, v125
	v_add_f32_e32 v7, v7, v11
	s_delay_alu instid0(VALU_DEP_3) | instskip(NEXT) | instid1(VALU_DEP_3)
	v_dual_add_f32 v9, v9, v31 :: v_dual_fmac_f32 v15, v179, v122
	v_fma_f32 v31, v178, v122, -v35
	v_dual_mul_f32 v19, v182, v127 :: v_dual_mul_f32 v21, v184, v129
	s_delay_alu instid0(VALU_DEP_4) | instskip(SKIP_2) | instid1(VALU_DEP_2)
	v_dual_add_f32 v7, v7, v13 :: v_dual_fmac_f32 v17, v181, v124
	s_wait_loadcnt_dscnt 0x500
	v_dual_add_f32 v9, v9, v29 :: v_dual_mul_f32 v13, v191, v135
	v_dual_fma_f32 v29, v180, v124, -v37 :: v_dual_add_f32 v7, v7, v15
	v_mul_f32_e32 v15, v193, v137
	s_delay_alu instid0(VALU_DEP_3) | instskip(NEXT) | instid1(VALU_DEP_3)
	v_dual_add_f32 v9, v9, v31 :: v_dual_fmac_f32 v19, v183, v126
	v_dual_fma_f32 v31, v182, v126, -v39 :: v_dual_add_f32 v7, v7, v17
	v_fmac_f32_e32 v21, v185, v128
	s_delay_alu instid0(VALU_DEP_3) | instskip(SKIP_4) | instid1(VALU_DEP_3)
	v_dual_add_f32 v9, v9, v29 :: v_dual_fma_f32 v17, v184, v128, -v41
	v_dual_mul_f32 v23, v186, v131 :: v_dual_mul_f32 v25, v188, v133
	v_dual_mul_f32 v27, v187, v131 :: v_dual_mul_f32 v11, v189, v133
	s_wait_loadcnt 0x4
	v_dual_add_f32 v7, v7, v19 :: v_dual_mov_b32 v116, v141
	v_dual_add_f32 v9, v9, v31 :: v_dual_fmac_f32 v23, v187, v130
	s_delay_alu instid0(VALU_DEP_2) | instskip(SKIP_1) | instid1(VALU_DEP_3)
	v_dual_fma_f32 v19, v186, v130, -v27 :: v_dual_add_f32 v7, v7, v21
	v_dual_mul_f32 v205, v190, v135 :: v_dual_mul_f32 v207, v192, v137
	v_dual_add_f32 v9, v9, v17 :: v_dual_fma_f32 v11, v188, v132, -v11
	s_delay_alu instid0(VALU_DEP_3) | instskip(SKIP_1) | instid1(VALU_DEP_3)
	v_dual_fmac_f32 v25, v189, v132 :: v_dual_add_f32 v7, v7, v23
	v_pk_mul_f32 v[114:115], v[154:155], v[138:139] op_sel:[1,1] op_sel_hi:[0,1]
	v_dual_add_f32 v9, v9, v19 :: v_dual_fmac_f32 v205, v191, v134
	s_wait_loadcnt 0x3
	v_dual_mov_b32 v120, v145 :: v_dual_fma_f32 v204, v190, v134, -v13
	s_delay_alu instid0(VALU_DEP_2)
	v_dual_add_f32 v123, v7, v25 :: v_dual_add_f32 v122, v9, v11
	v_fmac_f32_e32 v207, v193, v136
	v_pk_fma_f32 v[124:125], v[154:155], v[138:139], v[114:115] op_sel_hi:[1,0,1]
	v_fma_f32 v206, v192, v136, -v15
	v_pk_mul_f32 v[116:117], v[196:197], v[116:117] op_sel_hi:[1,0]
	v_pk_add_f32 v[122:123], v[122:123], v[204:205]
	v_pk_fma_f32 v[114:115], v[154:155], v[138:139], v[114:115] neg_lo:[0,0,1] neg_hi:[0,0,1]
	v_pk_mul_f32 v[118:119], v[158:159], v[142:143] op_sel:[1,1] op_sel_hi:[0,1]
	v_mov_b32_e32 v115, v125
	v_pk_fma_f32 v[124:125], v[156:157], v[140:141], v[116:117] op_sel_hi:[1,0,1]
	v_pk_add_f32 v[122:123], v[122:123], v[206:207]
	v_pk_fma_f32 v[116:117], v[156:157], v[140:141], v[116:117] neg_lo:[0,0,1] neg_hi:[0,0,1]
	v_pk_fma_f32 v[128:129], v[158:159], v[142:143], v[118:119] op_sel_hi:[1,0,1]
	v_pk_mul_f32 v[120:121], v[198:199], v[120:121] op_sel_hi:[1,0]
	v_mov_b32_e32 v117, v125
	v_pk_add_f32 v[114:115], v[122:123], v[114:115]
	s_wait_loadcnt 0x2
	v_pk_mul_f32 v[126:127], v[162:163], v[146:147] op_sel:[1,1] op_sel_hi:[0,1]
	v_mov_b32_e32 v122, v149
	v_pk_fma_f32 v[118:119], v[158:159], v[142:143], v[118:119] neg_lo:[0,0,1] neg_hi:[0,0,1]
	v_pk_fma_f32 v[124:125], v[160:161], v[144:145], v[120:121] op_sel_hi:[1,0,1]
	v_mov_b32_e32 v119, v129
	v_pk_add_f32 v[114:115], v[114:115], v[116:117]
	v_pk_fma_f32 v[116:117], v[162:163], v[146:147], v[126:127] op_sel_hi:[1,0,1]
	v_pk_mul_f32 v[122:123], v[200:201], v[122:123] op_sel_hi:[1,0]
	v_pk_fma_f32 v[120:121], v[160:161], v[144:145], v[120:121] neg_lo:[0,0,1] neg_hi:[0,0,1]
	v_mov_b32_e32 v121, v125
	v_pk_add_f32 v[114:115], v[114:115], v[118:119]
	v_pk_fma_f32 v[124:125], v[162:163], v[146:147], v[126:127] neg_lo:[0,0,1] neg_hi:[0,0,1]
	v_mov_b32_e32 v125, v117
	v_pk_fma_f32 v[116:117], v[164:165], v[148:149], v[122:123] op_sel_hi:[1,0,1]
	s_wait_loadcnt 0x1
	v_pk_mul_f32 v[118:119], v[166:167], v[150:151] op_sel:[1,1] op_sel_hi:[0,1]
	v_pk_add_f32 v[114:115], v[114:115], v[120:121]
	v_mov_b32_e32 v116, v153
	v_pk_fma_f32 v[122:123], v[164:165], v[148:149], v[122:123] neg_lo:[0,0,1] neg_hi:[0,0,1]
	s_delay_alu instid0(VALU_DEP_4)
	v_pk_fma_f32 v[120:121], v[166:167], v[150:151], v[118:119] op_sel_hi:[1,0,1]
	v_mov_b32_e32 v123, v117
	v_pk_add_f32 v[114:115], v[114:115], v[124:125]
	v_pk_mul_f32 v[116:117], v[202:203], v[116:117] op_sel_hi:[1,0]
	v_pk_fma_f32 v[118:119], v[166:167], v[150:151], v[118:119] neg_lo:[0,0,1] neg_hi:[0,0,1]
	v_mov_b32_e32 v119, v121
	s_delay_alu instid0(VALU_DEP_4) | instskip(NEXT) | instid1(VALU_DEP_4)
	v_pk_add_f32 v[114:115], v[114:115], v[122:123]
	v_pk_fma_f32 v[120:121], v[168:169], v[152:153], v[116:117] op_sel_hi:[1,0,1]
	v_pk_fma_f32 v[116:117], v[168:169], v[152:153], v[116:117] neg_lo:[0,0,1] neg_hi:[0,0,1]
	s_delay_alu instid0(VALU_DEP_3) | instskip(NEXT) | instid1(VALU_DEP_3)
	v_pk_add_f32 v[114:115], v[114:115], v[118:119]
	v_mov_b32_e32 v117, v121
	s_delay_alu instid0(VALU_DEP_1) | instskip(SKIP_1) | instid1(VALU_DEP_1)
	v_pk_add_f32 v[114:115], v[114:115], v[116:117]
	s_wait_loadcnt 0x0
	v_pk_add_f32 v[114:115], v[194:195], v[114:115] neg_lo:[0,1] neg_hi:[0,1]
	scratch_store_b64 off, v[114:115], off offset:280
	s_wait_xcnt 0x0
	v_cmpx_lt_u32_e32 34, v0
	s_cbranch_execz .LBB119_281
; %bb.280:
	scratch_load_b64 v[114:115], off, off offset:272
	v_mov_b64_e32 v[116:117], 0
	scratch_store_b64 off, v[116:117], off offset:272
	s_wait_loadcnt 0x0
	ds_store_b64 v1, v[114:115]
.LBB119_281:
	s_wait_xcnt 0x0
	s_or_b32 exec_lo, exec_lo, s0
	s_wait_storecnt_dscnt 0x0
	s_barrier_signal -1
	s_barrier_wait -1
	s_clause 0xb
	scratch_load_b128 v[114:117], off, off offset:280
	scratch_load_b128 v[118:121], off, off offset:296
	scratch_load_b128 v[122:125], off, off offset:312
	scratch_load_b128 v[126:129], off, off offset:328
	scratch_load_b128 v[130:133], off, off offset:344
	scratch_load_b128 v[134:137], off, off offset:360
	scratch_load_b128 v[138:141], off, off offset:376
	scratch_load_b128 v[142:145], off, off offset:392
	scratch_load_b128 v[146:149], off, off offset:408
	scratch_load_b128 v[150:153], off, off offset:424
	scratch_load_b64 v[194:195], off, off offset:440
	scratch_load_b64 v[196:197], off, off offset:272
	v_mov_b32_e32 v7, 0
	ds_load_2addr_b64 v[154:157], v7 offset0:103 offset1:104
	ds_load_2addr_b64 v[158:161], v7 offset0:105 offset1:106
	ds_load_2addr_b64 v[162:165], v7 offset0:107 offset1:108
	ds_load_2addr_b64 v[166:169], v7 offset0:109 offset1:110
	ds_load_2addr_b64 v[170:173], v7 offset0:91 offset1:92
	ds_load_2addr_b64 v[174:177], v7 offset0:93 offset1:94
	ds_load_2addr_b64 v[178:181], v7 offset0:95 offset1:96
	ds_load_2addr_b64 v[182:185], v7 offset0:97 offset1:98
	ds_load_2addr_b64 v[186:189], v7 offset0:99 offset1:100
	ds_load_2addr_b64 v[190:193], v7 offset0:101 offset1:102
	ds_load_b64 v[198:199], v7 offset:888
	s_mov_b32 s0, exec_lo
	s_wait_dscnt 0xa
	v_dual_mov_b32 v200, v157 :: v_dual_mov_b32 v201, v156
	s_wait_dscnt 0x7
	v_dual_mov_b32 v202, v161 :: v_dual_mov_b32 v207, v168
	v_dual_mov_b32 v203, v160 :: v_dual_mov_b32 v204, v165
	;; [unrolled: 1-line block ×3, first 2 shown]
	s_wait_loadcnt_dscnt 0xb06
	v_dual_mul_f32 v9, v170, v115 :: v_dual_mul_f32 v31, v171, v115
	v_dual_mul_f32 v33, v173, v117 :: v_dual_mul_f32 v11, v172, v117
	s_wait_loadcnt_dscnt 0xa05
	v_mul_f32_e32 v13, v174, v119
	s_wait_loadcnt_dscnt 0x803
	v_dual_mul_f32 v43, v183, v127 :: v_dual_fma_f32 v31, v170, v114, -v31
	v_dual_fmac_f32 v9, v171, v114 :: v_dual_mul_f32 v45, v185, v129
	v_dual_mul_f32 v35, v175, v119 :: v_dual_mul_f32 v37, v177, v121
	v_dual_fmac_f32 v11, v173, v116 :: v_dual_fma_f32 v33, v172, v116, -v33
	s_delay_alu instid0(VALU_DEP_3) | instskip(SKIP_3) | instid1(VALU_DEP_3)
	v_dual_add_f32 v9, 0, v9 :: v_dual_add_f32 v31, 0, v31
	v_dual_mul_f32 v15, v176, v121 :: v_dual_mul_f32 v17, v178, v123
	s_wait_loadcnt_dscnt 0x702
	v_dual_mul_f32 v47, v187, v131 :: v_dual_fma_f32 v35, v174, v118, -v35
	v_dual_fmac_f32 v13, v175, v118 :: v_dual_add_f32 v9, v9, v11
	s_delay_alu instid0(VALU_DEP_3) | instskip(SKIP_2) | instid1(VALU_DEP_3)
	v_dual_add_f32 v11, v31, v33 :: v_dual_fmac_f32 v15, v177, v120
	v_dual_mul_f32 v39, v179, v123 :: v_dual_mul_f32 v41, v181, v125
	v_dual_mul_f32 v31, v189, v133 :: v_dual_fma_f32 v33, v176, v120, -v37
	v_dual_add_f32 v9, v9, v13 :: v_dual_add_f32 v11, v11, v35
	v_dual_mul_f32 v19, v180, v125 :: v_dual_mul_f32 v21, v182, v127
	s_wait_loadcnt_dscnt 0x601
	v_dual_mul_f32 v13, v191, v135 :: v_dual_fma_f32 v35, v178, v122, -v39
	s_delay_alu instid0(VALU_DEP_3) | instskip(NEXT) | instid1(VALU_DEP_3)
	v_dual_fmac_f32 v17, v179, v122 :: v_dual_add_f32 v9, v9, v15
	v_dual_add_f32 v11, v11, v33 :: v_dual_fmac_f32 v19, v181, v124
	v_dual_mul_f32 v15, v193, v137 :: v_dual_fma_f32 v33, v180, v124, -v41
	s_delay_alu instid0(VALU_DEP_2) | instskip(SKIP_3) | instid1(VALU_DEP_3)
	v_dual_add_f32 v9, v9, v17 :: v_dual_add_f32 v11, v11, v35
	v_dual_mul_f32 v23, v184, v129 :: v_dual_mul_f32 v25, v186, v131
	s_wait_loadcnt 0x5
	v_dual_mul_f32 v17, v155, v139 :: v_dual_fma_f32 v35, v182, v126, -v43
	v_dual_fmac_f32 v21, v183, v126 :: v_dual_add_f32 v9, v9, v19
	v_dual_add_f32 v11, v11, v33 :: v_dual_mov_b32 v114, v141
	v_dual_fmac_f32 v23, v185, v128 :: v_dual_fma_f32 v19, v184, v128, -v45
	s_delay_alu instid0(VALU_DEP_2) | instskip(SKIP_2) | instid1(VALU_DEP_3)
	v_dual_add_f32 v9, v9, v21 :: v_dual_add_f32 v11, v11, v35
	v_dual_mul_f32 v27, v188, v133 :: v_dual_mul_f32 v29, v190, v135
	v_dual_fmac_f32 v25, v187, v130 :: v_dual_fma_f32 v21, v186, v130, -v47
	v_add_f32_e32 v9, v9, v23
	s_wait_loadcnt 0x4
	v_dual_add_f32 v11, v11, v19 :: v_dual_mov_b32 v118, v145
	v_fmac_f32_e32 v27, v189, v132
	s_delay_alu instid0(VALU_DEP_3) | instskip(SKIP_1) | instid1(VALU_DEP_4)
	v_dual_fma_f32 v19, v188, v132, -v31 :: v_dual_add_f32 v9, v9, v25
	v_fmac_f32_e32 v29, v191, v134
	v_add_f32_e32 v11, v11, v21
	v_dual_mul_f32 v209, v192, v137 :: v_dual_mul_f32 v211, v154, v139
	s_delay_alu instid0(VALU_DEP_4) | instskip(NEXT) | instid1(VALU_DEP_2)
	v_dual_fma_f32 v13, v190, v134, -v13 :: v_dual_add_f32 v9, v9, v27
	v_dual_add_f32 v11, v11, v19 :: v_dual_fmac_f32 v209, v193, v136
	v_fma_f32 v208, v192, v136, -v15
	v_pk_mul_f32 v[114:115], v[200:201], v[114:115] op_sel_hi:[1,0]
	s_delay_alu instid0(VALU_DEP_4)
	v_add_f32_e32 v123, v9, v29
	s_wait_loadcnt 0x3
	v_dual_add_f32 v122, v11, v13 :: v_dual_mov_b32 v124, v149
	v_pk_mul_f32 v[116:117], v[158:159], v[142:143] op_sel:[1,1] op_sel_hi:[0,1]
	v_dual_fmac_f32 v211, v155, v138 :: v_dual_fma_f32 v210, v154, v138, -v17
	v_pk_fma_f32 v[126:127], v[156:157], v[140:141], v[114:115] op_sel_hi:[1,0,1]
	s_delay_alu instid0(VALU_DEP_4)
	v_pk_add_f32 v[122:123], v[122:123], v[208:209]
	v_pk_fma_f32 v[114:115], v[156:157], v[140:141], v[114:115] neg_lo:[0,0,1] neg_hi:[0,0,1]
	v_pk_fma_f32 v[128:129], v[158:159], v[142:143], v[116:117] op_sel_hi:[1,0,1]
	v_pk_mul_f32 v[118:119], v[202:203], v[118:119] op_sel_hi:[1,0]
	v_mov_b32_e32 v115, v127
	v_pk_add_f32 v[122:123], v[122:123], v[210:211]
	v_pk_fma_f32 v[116:117], v[158:159], v[142:143], v[116:117] neg_lo:[0,0,1] neg_hi:[0,0,1]
	v_pk_mul_f32 v[120:121], v[162:163], v[146:147] op_sel:[1,1] op_sel_hi:[0,1]
	v_mov_b32_e32 v117, v129
	v_pk_fma_f32 v[128:129], v[160:161], v[144:145], v[118:119] op_sel_hi:[1,0,1]
	v_pk_add_f32 v[114:115], v[122:123], v[114:115]
	v_pk_fma_f32 v[118:119], v[160:161], v[144:145], v[118:119] neg_lo:[0,0,1] neg_hi:[0,0,1]
	v_pk_fma_f32 v[122:123], v[162:163], v[146:147], v[120:121] op_sel_hi:[1,0,1]
	v_pk_mul_f32 v[124:125], v[204:205], v[124:125] op_sel_hi:[1,0]
	v_mov_b32_e32 v119, v129
	v_pk_add_f32 v[114:115], v[114:115], v[116:117]
	v_pk_fma_f32 v[120:121], v[162:163], v[146:147], v[120:121] neg_lo:[0,0,1] neg_hi:[0,0,1]
	s_wait_loadcnt 0x2
	v_pk_mul_f32 v[126:127], v[166:167], v[150:151] op_sel:[1,1] op_sel_hi:[0,1]
	v_dual_mov_b32 v116, v153 :: v_dual_mov_b32 v121, v123
	v_pk_fma_f32 v[122:123], v[164:165], v[148:149], v[124:125] op_sel_hi:[1,0,1]
	v_pk_add_f32 v[114:115], v[114:115], v[118:119]
	v_pk_fma_f32 v[124:125], v[164:165], v[148:149], v[124:125] neg_lo:[0,0,1] neg_hi:[0,0,1]
	v_pk_fma_f32 v[118:119], v[166:167], v[150:151], v[126:127] op_sel_hi:[1,0,1]
	v_pk_mul_f32 v[116:117], v[206:207], v[116:117] op_sel_hi:[1,0]
	v_mov_b32_e32 v125, v123
	v_pk_add_f32 v[114:115], v[114:115], v[120:121]
	v_pk_fma_f32 v[120:121], v[166:167], v[150:151], v[126:127] neg_lo:[0,0,1] neg_hi:[0,0,1]
	v_mov_b32_e32 v121, v119
	v_pk_fma_f32 v[118:119], v[168:169], v[152:153], v[116:117] op_sel_hi:[1,0,1]
	s_wait_loadcnt_dscnt 0x100
	v_pk_mul_f32 v[122:123], v[198:199], v[194:195] op_sel:[1,1] op_sel_hi:[0,1]
	v_pk_add_f32 v[114:115], v[114:115], v[124:125]
	v_pk_fma_f32 v[116:117], v[168:169], v[152:153], v[116:117] neg_lo:[0,0,1] neg_hi:[0,0,1]
	v_mov_b32_e32 v117, v119
	s_delay_alu instid0(VALU_DEP_4) | instskip(NEXT) | instid1(VALU_DEP_4)
	v_pk_fma_f32 v[118:119], v[198:199], v[194:195], v[122:123] op_sel_hi:[1,0,1]
	v_pk_add_f32 v[114:115], v[114:115], v[120:121]
	v_pk_fma_f32 v[120:121], v[198:199], v[194:195], v[122:123] neg_lo:[0,0,1] neg_hi:[0,0,1]
	s_delay_alu instid0(VALU_DEP_3) | instskip(NEXT) | instid1(VALU_DEP_3)
	v_mov_b32_e32 v121, v119
	v_pk_add_f32 v[114:115], v[114:115], v[116:117]
	s_delay_alu instid0(VALU_DEP_1) | instskip(SKIP_1) | instid1(VALU_DEP_1)
	v_pk_add_f32 v[114:115], v[114:115], v[120:121]
	s_wait_loadcnt 0x0
	v_pk_add_f32 v[114:115], v[196:197], v[114:115] neg_lo:[0,1] neg_hi:[0,1]
	scratch_store_b64 off, v[114:115], off offset:272
	s_wait_xcnt 0x0
	v_cmpx_lt_u32_e32 33, v0
	s_cbranch_execz .LBB119_283
; %bb.282:
	scratch_load_b64 v[114:115], off, off offset:264
	v_mov_b64_e32 v[116:117], 0
	scratch_store_b64 off, v[116:117], off offset:264
	s_wait_loadcnt 0x0
	ds_store_b64 v1, v[114:115]
.LBB119_283:
	s_wait_xcnt 0x0
	s_or_b32 exec_lo, exec_lo, s0
	s_wait_storecnt_dscnt 0x0
	s_barrier_signal -1
	s_barrier_wait -1
	s_clause 0xb
	scratch_load_b128 v[114:117], off, off offset:272
	scratch_load_b128 v[118:121], off, off offset:288
	;; [unrolled: 1-line block ×11, first 2 shown]
	scratch_load_b64 v[202:203], off, off offset:264
	ds_load_b128 v[158:161], v7 offset:832
	ds_load_b128 v[162:165], v7 offset:848
	ds_load_b128 v[166:169], v7 offset:864
	ds_load_b128 v[170:173], v7 offset:880
	ds_load_b128 v[174:177], v7 offset:720
	ds_load_b128 v[178:181], v7 offset:736
	ds_load_b128 v[182:185], v7 offset:752
	ds_load_b128 v[186:189], v7 offset:768
	ds_load_b128 v[190:193], v7 offset:784
	ds_load_b128 v[194:197], v7 offset:800
	ds_load_b128 v[198:201], v7 offset:816
	s_mov_b32 s0, exec_lo
	s_wait_dscnt 0xa
	v_dual_mov_b32 v204, v161 :: v_dual_mov_b32 v205, v160
	s_wait_dscnt 0x9
	v_dual_mov_b32 v206, v165 :: v_dual_mov_b32 v207, v164
	;; [unrolled: 2-line block ×4, first 2 shown]
	s_wait_loadcnt_dscnt 0xb06
	v_dual_mul_f32 v7, v174, v115 :: v_dual_mul_f32 v9, v176, v117
	v_dual_mul_f32 v31, v175, v115 :: v_dual_mul_f32 v33, v177, v117
	s_wait_loadcnt_dscnt 0xa05
	v_dual_mul_f32 v11, v178, v119 :: v_dual_mul_f32 v13, v180, v121
	s_delay_alu instid0(VALU_DEP_3) | instskip(SKIP_3) | instid1(VALU_DEP_3)
	v_dual_fmac_f32 v7, v175, v114 :: v_dual_fmac_f32 v9, v177, v116
	s_wait_loadcnt_dscnt 0x803
	v_dual_fma_f32 v31, v174, v114, -v31 :: v_dual_mul_f32 v43, v187, v127
	v_dual_mul_f32 v35, v179, v119 :: v_dual_mul_f32 v37, v181, v121
	v_dual_fma_f32 v33, v176, v116, -v33 :: v_dual_add_f32 v7, 0, v7
	s_delay_alu instid0(VALU_DEP_3) | instskip(SKIP_1) | instid1(VALU_DEP_3)
	v_dual_add_f32 v31, 0, v31 :: v_dual_mul_f32 v45, v189, v129
	v_dual_fmac_f32 v11, v179, v118 :: v_dual_fmac_f32 v13, v181, v120
	v_dual_fma_f32 v35, v178, v118, -v35 :: v_dual_add_f32 v7, v7, v9
	s_delay_alu instid0(VALU_DEP_3) | instskip(SKIP_2) | instid1(VALU_DEP_4)
	v_dual_add_f32 v9, v31, v33 :: v_dual_fma_f32 v33, v180, v120, -v37
	v_dual_mul_f32 v15, v182, v123 :: v_dual_mul_f32 v17, v184, v125
	v_dual_mul_f32 v39, v183, v123 :: v_dual_mul_f32 v41, v185, v125
	v_add_f32_e32 v7, v7, v11
	s_delay_alu instid0(VALU_DEP_3) | instskip(NEXT) | instid1(VALU_DEP_3)
	v_dual_add_f32 v9, v9, v35 :: v_dual_fmac_f32 v15, v183, v122
	v_fma_f32 v35, v182, v122, -v39
	v_dual_mul_f32 v19, v186, v127 :: v_dual_mul_f32 v21, v188, v129
	s_delay_alu instid0(VALU_DEP_4) | instskip(SKIP_2) | instid1(VALU_DEP_2)
	v_dual_add_f32 v7, v7, v13 :: v_dual_fmac_f32 v17, v185, v124
	s_wait_loadcnt_dscnt 0x601
	v_dual_add_f32 v9, v9, v33 :: v_dual_mul_f32 v13, v195, v135
	v_dual_fma_f32 v33, v184, v124, -v41 :: v_dual_add_f32 v7, v7, v15
	v_mul_f32_e32 v15, v197, v137
	s_delay_alu instid0(VALU_DEP_3) | instskip(NEXT) | instid1(VALU_DEP_3)
	v_dual_add_f32 v9, v9, v35 :: v_dual_fmac_f32 v19, v187, v126
	v_dual_fma_f32 v35, v186, v126, -v43 :: v_dual_add_f32 v7, v7, v17
	v_fmac_f32_e32 v21, v189, v128
	s_wait_loadcnt_dscnt 0x500
	s_delay_alu instid0(VALU_DEP_3) | instskip(SKIP_3) | instid1(VALU_DEP_3)
	v_dual_add_f32 v9, v9, v33 :: v_dual_mul_f32 v17, v199, v139
	v_dual_mul_f32 v23, v190, v131 :: v_dual_mul_f32 v25, v192, v133
	v_dual_mul_f32 v31, v191, v131 :: v_dual_mul_f32 v11, v193, v133
	v_dual_fma_f32 v33, v188, v128, -v45 :: v_dual_add_f32 v7, v7, v19
	v_dual_add_f32 v9, v9, v35 :: v_dual_fmac_f32 v23, v191, v130
	s_delay_alu instid0(VALU_DEP_3) | instskip(NEXT) | instid1(VALU_DEP_3)
	v_dual_mul_f32 v19, v201, v141 :: v_dual_fma_f32 v31, v190, v130, -v31
	v_dual_add_f32 v7, v7, v21 :: v_dual_fmac_f32 v25, v193, v132
	s_delay_alu instid0(VALU_DEP_3) | instskip(SKIP_2) | instid1(VALU_DEP_3)
	v_dual_add_f32 v9, v9, v33 :: v_dual_fma_f32 v11, v192, v132, -v11
	v_dual_mul_f32 v27, v194, v135 :: v_dual_mul_f32 v29, v196, v137
	s_wait_loadcnt 0x4
	v_dual_add_f32 v7, v7, v23 :: v_dual_mov_b32 v116, v145
	s_delay_alu instid0(VALU_DEP_2) | instskip(NEXT) | instid1(VALU_DEP_2)
	v_dual_add_f32 v9, v9, v31 :: v_dual_fmac_f32 v27, v195, v134
	v_dual_fma_f32 v13, v194, v134, -v13 :: v_dual_add_f32 v7, v7, v25
	v_dual_mul_f32 v213, v198, v139 :: v_dual_mul_f32 v215, v200, v141
	s_delay_alu instid0(VALU_DEP_3) | instskip(NEXT) | instid1(VALU_DEP_3)
	v_dual_add_f32 v9, v9, v11 :: v_dual_fma_f32 v11, v196, v136, -v15
	v_dual_fmac_f32 v29, v197, v136 :: v_dual_add_f32 v7, v7, v27
	v_pk_mul_f32 v[114:115], v[158:159], v[142:143] op_sel:[1,1] op_sel_hi:[0,1]
	s_delay_alu instid0(VALU_DEP_3) | instskip(SKIP_2) | instid1(VALU_DEP_2)
	v_dual_add_f32 v9, v9, v13 :: v_dual_fmac_f32 v213, v199, v138
	s_wait_loadcnt 0x3
	v_dual_mov_b32 v120, v149 :: v_dual_fma_f32 v212, v198, v138, -v17
	v_dual_add_f32 v123, v7, v29 :: v_dual_add_f32 v122, v9, v11
	v_fmac_f32_e32 v215, v201, v140
	v_pk_fma_f32 v[124:125], v[158:159], v[142:143], v[114:115] op_sel_hi:[1,0,1]
	v_fma_f32 v214, v200, v140, -v19
	v_pk_mul_f32 v[116:117], v[204:205], v[116:117] op_sel_hi:[1,0]
	v_pk_add_f32 v[122:123], v[122:123], v[212:213]
	v_pk_fma_f32 v[114:115], v[158:159], v[142:143], v[114:115] neg_lo:[0,0,1] neg_hi:[0,0,1]
	v_pk_mul_f32 v[118:119], v[162:163], v[146:147] op_sel:[1,1] op_sel_hi:[0,1]
	v_mov_b32_e32 v115, v125
	v_pk_fma_f32 v[124:125], v[160:161], v[144:145], v[116:117] op_sel_hi:[1,0,1]
	v_pk_add_f32 v[122:123], v[122:123], v[214:215]
	v_pk_fma_f32 v[116:117], v[160:161], v[144:145], v[116:117] neg_lo:[0,0,1] neg_hi:[0,0,1]
	v_pk_fma_f32 v[128:129], v[162:163], v[146:147], v[118:119] op_sel_hi:[1,0,1]
	v_pk_mul_f32 v[120:121], v[206:207], v[120:121] op_sel_hi:[1,0]
	v_mov_b32_e32 v117, v125
	v_pk_add_f32 v[114:115], v[122:123], v[114:115]
	s_wait_loadcnt 0x2
	v_pk_mul_f32 v[126:127], v[166:167], v[150:151] op_sel:[1,1] op_sel_hi:[0,1]
	v_mov_b32_e32 v122, v153
	v_pk_fma_f32 v[118:119], v[162:163], v[146:147], v[118:119] neg_lo:[0,0,1] neg_hi:[0,0,1]
	v_pk_fma_f32 v[124:125], v[164:165], v[148:149], v[120:121] op_sel_hi:[1,0,1]
	v_mov_b32_e32 v119, v129
	v_pk_add_f32 v[114:115], v[114:115], v[116:117]
	v_pk_fma_f32 v[116:117], v[166:167], v[150:151], v[126:127] op_sel_hi:[1,0,1]
	v_pk_mul_f32 v[122:123], v[208:209], v[122:123] op_sel_hi:[1,0]
	v_pk_fma_f32 v[120:121], v[164:165], v[148:149], v[120:121] neg_lo:[0,0,1] neg_hi:[0,0,1]
	v_mov_b32_e32 v121, v125
	v_pk_add_f32 v[114:115], v[114:115], v[118:119]
	v_pk_fma_f32 v[124:125], v[166:167], v[150:151], v[126:127] neg_lo:[0,0,1] neg_hi:[0,0,1]
	v_mov_b32_e32 v125, v117
	v_pk_fma_f32 v[116:117], v[168:169], v[152:153], v[122:123] op_sel_hi:[1,0,1]
	s_wait_loadcnt 0x1
	v_pk_mul_f32 v[118:119], v[170:171], v[154:155] op_sel:[1,1] op_sel_hi:[0,1]
	v_pk_add_f32 v[114:115], v[114:115], v[120:121]
	v_mov_b32_e32 v116, v157
	v_pk_fma_f32 v[122:123], v[168:169], v[152:153], v[122:123] neg_lo:[0,0,1] neg_hi:[0,0,1]
	s_delay_alu instid0(VALU_DEP_4)
	v_pk_fma_f32 v[120:121], v[170:171], v[154:155], v[118:119] op_sel_hi:[1,0,1]
	v_mov_b32_e32 v123, v117
	v_pk_add_f32 v[114:115], v[114:115], v[124:125]
	v_pk_mul_f32 v[116:117], v[210:211], v[116:117] op_sel_hi:[1,0]
	v_pk_fma_f32 v[118:119], v[170:171], v[154:155], v[118:119] neg_lo:[0,0,1] neg_hi:[0,0,1]
	v_mov_b32_e32 v119, v121
	s_delay_alu instid0(VALU_DEP_4) | instskip(NEXT) | instid1(VALU_DEP_4)
	v_pk_add_f32 v[114:115], v[114:115], v[122:123]
	v_pk_fma_f32 v[120:121], v[172:173], v[156:157], v[116:117] op_sel_hi:[1,0,1]
	v_pk_fma_f32 v[116:117], v[172:173], v[156:157], v[116:117] neg_lo:[0,0,1] neg_hi:[0,0,1]
	s_delay_alu instid0(VALU_DEP_3) | instskip(NEXT) | instid1(VALU_DEP_3)
	v_pk_add_f32 v[114:115], v[114:115], v[118:119]
	v_mov_b32_e32 v117, v121
	s_delay_alu instid0(VALU_DEP_1) | instskip(SKIP_1) | instid1(VALU_DEP_1)
	v_pk_add_f32 v[114:115], v[114:115], v[116:117]
	s_wait_loadcnt 0x0
	v_pk_add_f32 v[114:115], v[202:203], v[114:115] neg_lo:[0,1] neg_hi:[0,1]
	scratch_store_b64 off, v[114:115], off offset:264
	s_wait_xcnt 0x0
	v_cmpx_lt_u32_e32 32, v0
	s_cbranch_execz .LBB119_285
; %bb.284:
	scratch_load_b64 v[114:115], off, off offset:256
	v_mov_b64_e32 v[116:117], 0
	scratch_store_b64 off, v[116:117], off offset:256
	s_wait_loadcnt 0x0
	ds_store_b64 v1, v[114:115]
.LBB119_285:
	s_wait_xcnt 0x0
	s_or_b32 exec_lo, exec_lo, s0
	s_wait_storecnt_dscnt 0x0
	s_barrier_signal -1
	s_barrier_wait -1
	s_clause 0xc
	scratch_load_b128 v[114:117], off, off offset:264
	scratch_load_b128 v[118:121], off, off offset:280
	;; [unrolled: 1-line block ×11, first 2 shown]
	scratch_load_b64 v[202:203], off, off offset:440
	scratch_load_b64 v[204:205], off, off offset:256
	v_mov_b32_e32 v7, 0
	ds_load_2addr_b64 v[158:161], v7 offset0:103 offset1:104
	ds_load_2addr_b64 v[162:165], v7 offset0:105 offset1:106
	;; [unrolled: 1-line block ×11, first 2 shown]
	ds_load_b64 v[206:207], v7 offset:888
	s_mov_b32 s0, exec_lo
	s_wait_dscnt 0xb
	v_dual_mov_b32 v208, v161 :: v_dual_mov_b32 v209, v160
	s_wait_dscnt 0x8
	v_dual_mov_b32 v210, v165 :: v_dual_mov_b32 v215, v172
	v_dual_mov_b32 v211, v164 :: v_dual_mov_b32 v212, v169
	;; [unrolled: 1-line block ×3, first 2 shown]
	s_wait_loadcnt_dscnt 0xc07
	v_dual_mul_f32 v9, v174, v115 :: v_dual_mul_f32 v35, v175, v115
	v_dual_mul_f32 v37, v177, v117 :: v_dual_mul_f32 v11, v176, v117
	s_wait_loadcnt_dscnt 0xb06
	v_mul_f32_e32 v13, v178, v119
	s_wait_loadcnt_dscnt 0x904
	v_dual_mul_f32 v47, v187, v127 :: v_dual_fma_f32 v35, v174, v114, -v35
	v_dual_fmac_f32 v9, v175, v114 :: v_dual_mul_f32 v49, v189, v129
	v_dual_mul_f32 v39, v179, v119 :: v_dual_mul_f32 v41, v181, v121
	v_dual_fmac_f32 v11, v177, v116 :: v_dual_fma_f32 v37, v176, v116, -v37
	s_delay_alu instid0(VALU_DEP_3) | instskip(SKIP_3) | instid1(VALU_DEP_3)
	v_dual_add_f32 v9, 0, v9 :: v_dual_add_f32 v35, 0, v35
	v_dual_mul_f32 v15, v180, v121 :: v_dual_mul_f32 v17, v182, v123
	s_wait_loadcnt_dscnt 0x803
	v_dual_mul_f32 v51, v191, v131 :: v_dual_fma_f32 v39, v178, v118, -v39
	v_dual_fmac_f32 v13, v179, v118 :: v_dual_add_f32 v9, v9, v11
	s_delay_alu instid0(VALU_DEP_3) | instskip(SKIP_2) | instid1(VALU_DEP_3)
	v_dual_add_f32 v11, v35, v37 :: v_dual_fmac_f32 v15, v181, v120
	v_dual_mul_f32 v43, v183, v123 :: v_dual_mul_f32 v45, v185, v125
	v_dual_mul_f32 v35, v193, v133 :: v_dual_fma_f32 v37, v180, v120, -v41
	v_dual_add_f32 v9, v9, v13 :: v_dual_add_f32 v11, v11, v39
	v_dual_mul_f32 v19, v184, v125 :: v_dual_mul_f32 v21, v186, v127
	s_wait_loadcnt_dscnt 0x701
	v_dual_mul_f32 v13, v199, v135 :: v_dual_fma_f32 v39, v182, v122, -v43
	s_delay_alu instid0(VALU_DEP_3) | instskip(NEXT) | instid1(VALU_DEP_3)
	v_dual_fmac_f32 v17, v183, v122 :: v_dual_add_f32 v9, v9, v15
	v_dual_add_f32 v11, v11, v37 :: v_dual_fmac_f32 v19, v185, v124
	v_dual_mul_f32 v15, v201, v137 :: v_dual_fma_f32 v37, v184, v124, -v45
	s_delay_alu instid0(VALU_DEP_2) | instskip(SKIP_3) | instid1(VALU_DEP_3)
	v_dual_add_f32 v9, v9, v17 :: v_dual_add_f32 v11, v11, v39
	v_dual_mul_f32 v23, v188, v129 :: v_dual_mul_f32 v25, v190, v131
	s_wait_loadcnt 0x6
	v_dual_mul_f32 v17, v195, v139 :: v_dual_fma_f32 v39, v186, v126, -v47
	v_dual_fmac_f32 v21, v187, v126 :: v_dual_add_f32 v9, v9, v19
	s_delay_alu instid0(VALU_DEP_3) | instskip(SKIP_1) | instid1(VALU_DEP_2)
	v_dual_add_f32 v11, v11, v37 :: v_dual_fmac_f32 v23, v189, v128
	v_dual_mul_f32 v19, v197, v141 :: v_dual_fma_f32 v37, v188, v128, -v49
	v_dual_add_f32 v9, v9, v21 :: v_dual_add_f32 v11, v11, v39
	v_dual_mul_f32 v27, v192, v133 :: v_dual_mul_f32 v29, v198, v135
	s_wait_loadcnt 0x5
	v_dual_mul_f32 v21, v159, v143 :: v_dual_fma_f32 v39, v190, v130, -v51
	s_delay_alu instid0(VALU_DEP_3) | instskip(SKIP_2) | instid1(VALU_DEP_3)
	v_dual_fmac_f32 v25, v191, v130 :: v_dual_add_f32 v9, v9, v23
	v_dual_add_f32 v11, v11, v37 :: v_dual_mov_b32 v114, v145
	v_fmac_f32_e32 v27, v193, v132
	v_dual_fma_f32 v23, v192, v132, -v35 :: v_dual_add_f32 v9, v9, v25
	s_delay_alu instid0(VALU_DEP_3) | instskip(SKIP_1) | instid1(VALU_DEP_3)
	v_dual_add_f32 v11, v11, v39 :: v_dual_mul_f32 v31, v200, v137
	v_dual_mul_f32 v33, v194, v139 :: v_dual_fmac_f32 v29, v199, v134
	v_dual_add_f32 v9, v9, v27 :: v_dual_fma_f32 v13, v198, v134, -v13
	s_wait_loadcnt 0x4
	s_delay_alu instid0(VALU_DEP_3) | instskip(SKIP_3) | instid1(VALU_DEP_4)
	v_dual_add_f32 v11, v11, v23 :: v_dual_mov_b32 v118, v149
	v_fma_f32 v15, v200, v136, -v15
	v_fmac_f32_e32 v31, v201, v136
	v_dual_add_f32 v9, v9, v29 :: v_dual_fmac_f32 v33, v195, v138
	v_add_f32_e32 v11, v11, v13
	v_dual_mul_f32 v217, v196, v141 :: v_dual_mul_f32 v219, v158, v143
	s_delay_alu instid0(VALU_DEP_3) | instskip(NEXT) | instid1(VALU_DEP_2)
	v_dual_fma_f32 v13, v194, v138, -v17 :: v_dual_add_f32 v9, v9, v31
	v_dual_add_f32 v11, v11, v15 :: v_dual_fmac_f32 v217, v197, v140
	v_fma_f32 v216, v196, v140, -v19
	v_pk_mul_f32 v[114:115], v[208:209], v[114:115] op_sel_hi:[1,0]
	s_delay_alu instid0(VALU_DEP_4)
	v_add_f32_e32 v123, v9, v33
	s_wait_loadcnt 0x3
	v_dual_add_f32 v122, v11, v13 :: v_dual_mov_b32 v124, v153
	v_pk_mul_f32 v[116:117], v[162:163], v[146:147] op_sel:[1,1] op_sel_hi:[0,1]
	v_dual_fmac_f32 v219, v159, v142 :: v_dual_fma_f32 v218, v158, v142, -v21
	v_pk_fma_f32 v[126:127], v[160:161], v[144:145], v[114:115] op_sel_hi:[1,0,1]
	s_delay_alu instid0(VALU_DEP_4)
	v_pk_add_f32 v[122:123], v[122:123], v[216:217]
	v_pk_fma_f32 v[114:115], v[160:161], v[144:145], v[114:115] neg_lo:[0,0,1] neg_hi:[0,0,1]
	v_pk_fma_f32 v[128:129], v[162:163], v[146:147], v[116:117] op_sel_hi:[1,0,1]
	v_pk_mul_f32 v[118:119], v[210:211], v[118:119] op_sel_hi:[1,0]
	v_mov_b32_e32 v115, v127
	v_pk_add_f32 v[122:123], v[122:123], v[218:219]
	v_pk_fma_f32 v[116:117], v[162:163], v[146:147], v[116:117] neg_lo:[0,0,1] neg_hi:[0,0,1]
	v_pk_mul_f32 v[120:121], v[166:167], v[150:151] op_sel:[1,1] op_sel_hi:[0,1]
	v_mov_b32_e32 v117, v129
	v_pk_fma_f32 v[128:129], v[164:165], v[148:149], v[118:119] op_sel_hi:[1,0,1]
	v_pk_add_f32 v[114:115], v[122:123], v[114:115]
	v_pk_fma_f32 v[118:119], v[164:165], v[148:149], v[118:119] neg_lo:[0,0,1] neg_hi:[0,0,1]
	v_pk_fma_f32 v[122:123], v[166:167], v[150:151], v[120:121] op_sel_hi:[1,0,1]
	v_pk_mul_f32 v[124:125], v[212:213], v[124:125] op_sel_hi:[1,0]
	v_mov_b32_e32 v119, v129
	v_pk_add_f32 v[114:115], v[114:115], v[116:117]
	v_pk_fma_f32 v[120:121], v[166:167], v[150:151], v[120:121] neg_lo:[0,0,1] neg_hi:[0,0,1]
	s_wait_loadcnt 0x2
	v_pk_mul_f32 v[126:127], v[170:171], v[154:155] op_sel:[1,1] op_sel_hi:[0,1]
	v_dual_mov_b32 v116, v157 :: v_dual_mov_b32 v121, v123
	v_pk_fma_f32 v[122:123], v[168:169], v[152:153], v[124:125] op_sel_hi:[1,0,1]
	v_pk_add_f32 v[114:115], v[114:115], v[118:119]
	v_pk_fma_f32 v[124:125], v[168:169], v[152:153], v[124:125] neg_lo:[0,0,1] neg_hi:[0,0,1]
	v_pk_fma_f32 v[118:119], v[170:171], v[154:155], v[126:127] op_sel_hi:[1,0,1]
	v_pk_mul_f32 v[116:117], v[214:215], v[116:117] op_sel_hi:[1,0]
	v_mov_b32_e32 v125, v123
	v_pk_add_f32 v[114:115], v[114:115], v[120:121]
	v_pk_fma_f32 v[120:121], v[170:171], v[154:155], v[126:127] neg_lo:[0,0,1] neg_hi:[0,0,1]
	v_mov_b32_e32 v121, v119
	v_pk_fma_f32 v[118:119], v[172:173], v[156:157], v[116:117] op_sel_hi:[1,0,1]
	s_wait_loadcnt_dscnt 0x100
	v_pk_mul_f32 v[122:123], v[206:207], v[202:203] op_sel:[1,1] op_sel_hi:[0,1]
	v_pk_add_f32 v[114:115], v[114:115], v[124:125]
	v_pk_fma_f32 v[116:117], v[172:173], v[156:157], v[116:117] neg_lo:[0,0,1] neg_hi:[0,0,1]
	v_mov_b32_e32 v117, v119
	s_delay_alu instid0(VALU_DEP_4) | instskip(NEXT) | instid1(VALU_DEP_4)
	v_pk_fma_f32 v[118:119], v[206:207], v[202:203], v[122:123] op_sel_hi:[1,0,1]
	v_pk_add_f32 v[114:115], v[114:115], v[120:121]
	v_pk_fma_f32 v[120:121], v[206:207], v[202:203], v[122:123] neg_lo:[0,0,1] neg_hi:[0,0,1]
	s_delay_alu instid0(VALU_DEP_3) | instskip(NEXT) | instid1(VALU_DEP_3)
	v_mov_b32_e32 v121, v119
	v_pk_add_f32 v[114:115], v[114:115], v[116:117]
	s_delay_alu instid0(VALU_DEP_1) | instskip(SKIP_1) | instid1(VALU_DEP_1)
	v_pk_add_f32 v[114:115], v[114:115], v[120:121]
	s_wait_loadcnt 0x0
	v_pk_add_f32 v[114:115], v[204:205], v[114:115] neg_lo:[0,1] neg_hi:[0,1]
	scratch_store_b64 off, v[114:115], off offset:256
	s_wait_xcnt 0x0
	v_cmpx_lt_u32_e32 31, v0
	s_cbranch_execz .LBB119_287
; %bb.286:
	scratch_load_b64 v[114:115], off, off offset:248
	v_mov_b64_e32 v[116:117], 0
	scratch_store_b64 off, v[116:117], off offset:248
	s_wait_loadcnt 0x0
	ds_store_b64 v1, v[114:115]
.LBB119_287:
	s_wait_xcnt 0x0
	s_or_b32 exec_lo, exec_lo, s0
	s_wait_storecnt_dscnt 0x0
	s_barrier_signal -1
	s_barrier_wait -1
	s_clause 0xc
	scratch_load_b128 v[114:117], off, off offset:256
	scratch_load_b128 v[118:121], off, off offset:272
	scratch_load_b128 v[122:125], off, off offset:288
	scratch_load_b128 v[126:129], off, off offset:304
	scratch_load_b128 v[130:133], off, off offset:320
	scratch_load_b128 v[134:137], off, off offset:336
	scratch_load_b128 v[138:141], off, off offset:352
	scratch_load_b128 v[142:145], off, off offset:368
	scratch_load_b128 v[146:149], off, off offset:384
	scratch_load_b128 v[150:153], off, off offset:400
	scratch_load_b128 v[154:157], off, off offset:416
	scratch_load_b128 v[158:161], off, off offset:432
	scratch_load_b64 v[210:211], off, off offset:248
	ds_load_b128 v[162:165], v7 offset:832
	ds_load_b128 v[166:169], v7 offset:848
	;; [unrolled: 1-line block ×12, first 2 shown]
	s_mov_b32 s0, exec_lo
	s_wait_dscnt 0xb
	v_dual_mov_b32 v212, v165 :: v_dual_mov_b32 v213, v164
	s_wait_dscnt 0xa
	v_dual_mov_b32 v214, v169 :: v_dual_mov_b32 v215, v168
	s_wait_dscnt 0x9
	v_dual_mov_b32 v216, v173 :: v_dual_mov_b32 v217, v172
	s_wait_dscnt 0x8
	v_dual_mov_b32 v218, v177 :: v_dual_mov_b32 v219, v176
	s_wait_loadcnt_dscnt 0xc07
	v_dual_mul_f32 v7, v178, v115 :: v_dual_mul_f32 v9, v180, v117
	v_dual_mul_f32 v35, v179, v115 :: v_dual_mul_f32 v37, v181, v117
	s_wait_loadcnt_dscnt 0xb06
	v_dual_mul_f32 v11, v182, v119 :: v_dual_mul_f32 v13, v184, v121
	s_delay_alu instid0(VALU_DEP_3) | instskip(SKIP_3) | instid1(VALU_DEP_3)
	v_dual_fmac_f32 v7, v179, v114 :: v_dual_fmac_f32 v9, v181, v116
	s_wait_loadcnt_dscnt 0x904
	v_dual_fma_f32 v35, v178, v114, -v35 :: v_dual_mul_f32 v47, v191, v127
	v_dual_mul_f32 v39, v183, v119 :: v_dual_mul_f32 v41, v185, v121
	v_dual_fma_f32 v37, v180, v116, -v37 :: v_dual_add_f32 v7, 0, v7
	s_delay_alu instid0(VALU_DEP_3) | instskip(SKIP_1) | instid1(VALU_DEP_3)
	v_dual_add_f32 v35, 0, v35 :: v_dual_mul_f32 v49, v193, v129
	v_dual_fmac_f32 v11, v183, v118 :: v_dual_fmac_f32 v13, v185, v120
	v_dual_fma_f32 v39, v182, v118, -v39 :: v_dual_add_f32 v7, v7, v9
	s_delay_alu instid0(VALU_DEP_3) | instskip(SKIP_2) | instid1(VALU_DEP_4)
	v_dual_add_f32 v9, v35, v37 :: v_dual_fma_f32 v37, v184, v120, -v41
	v_dual_mul_f32 v15, v186, v123 :: v_dual_mul_f32 v17, v188, v125
	v_dual_mul_f32 v43, v187, v123 :: v_dual_mul_f32 v45, v189, v125
	v_add_f32_e32 v7, v7, v11
	s_delay_alu instid0(VALU_DEP_3) | instskip(NEXT) | instid1(VALU_DEP_3)
	v_dual_add_f32 v9, v9, v39 :: v_dual_fmac_f32 v15, v187, v122
	v_fma_f32 v39, v186, v122, -v43
	v_dual_mul_f32 v19, v190, v127 :: v_dual_mul_f32 v21, v192, v129
	s_delay_alu instid0(VALU_DEP_4) | instskip(SKIP_2) | instid1(VALU_DEP_2)
	v_dual_add_f32 v7, v7, v13 :: v_dual_fmac_f32 v17, v189, v124
	s_wait_loadcnt_dscnt 0x702
	v_dual_add_f32 v9, v9, v37 :: v_dual_mul_f32 v13, v199, v135
	v_dual_fma_f32 v37, v188, v124, -v45 :: v_dual_add_f32 v7, v7, v15
	v_mul_f32_e32 v15, v201, v137
	s_delay_alu instid0(VALU_DEP_3) | instskip(NEXT) | instid1(VALU_DEP_3)
	v_dual_add_f32 v9, v9, v39 :: v_dual_fmac_f32 v19, v191, v126
	v_dual_fma_f32 v39, v190, v126, -v47 :: v_dual_add_f32 v7, v7, v17
	v_fmac_f32_e32 v21, v193, v128
	s_wait_loadcnt_dscnt 0x601
	s_delay_alu instid0(VALU_DEP_3) | instskip(SKIP_3) | instid1(VALU_DEP_3)
	v_dual_add_f32 v9, v9, v37 :: v_dual_mul_f32 v17, v203, v139
	v_dual_mul_f32 v23, v194, v131 :: v_dual_mul_f32 v25, v196, v133
	v_dual_mul_f32 v35, v195, v131 :: v_dual_mul_f32 v11, v197, v133
	v_dual_fma_f32 v37, v192, v128, -v49 :: v_dual_add_f32 v7, v7, v19
	v_dual_add_f32 v9, v9, v39 :: v_dual_fmac_f32 v23, v195, v130
	s_delay_alu instid0(VALU_DEP_3) | instskip(NEXT) | instid1(VALU_DEP_3)
	v_dual_mul_f32 v19, v205, v141 :: v_dual_fma_f32 v35, v194, v130, -v35
	v_dual_add_f32 v7, v7, v21 :: v_dual_fmac_f32 v25, v197, v132
	s_wait_loadcnt_dscnt 0x500
	s_delay_alu instid0(VALU_DEP_3) | instskip(SKIP_1) | instid1(VALU_DEP_3)
	v_dual_add_f32 v9, v9, v37 :: v_dual_mul_f32 v21, v207, v143
	v_dual_mul_f32 v27, v198, v135 :: v_dual_mul_f32 v29, v200, v137
	v_dual_fma_f32 v11, v196, v132, -v11 :: v_dual_add_f32 v7, v7, v23
	s_delay_alu instid0(VALU_DEP_2) | instskip(SKIP_1) | instid1(VALU_DEP_2)
	v_dual_add_f32 v9, v9, v35 :: v_dual_fmac_f32 v27, v199, v134
	v_dual_mul_f32 v23, v209, v145 :: v_dual_fma_f32 v13, v198, v134, -v13
	v_dual_add_f32 v7, v7, v25 :: v_dual_add_f32 v9, v9, v11
	v_dual_mul_f32 v31, v202, v139 :: v_dual_mul_f32 v33, v204, v141
	v_dual_fmac_f32 v29, v201, v136 :: v_dual_fma_f32 v11, v200, v136, -v15
	s_delay_alu instid0(VALU_DEP_3) | instskip(SKIP_1) | instid1(VALU_DEP_3)
	v_dual_add_f32 v7, v7, v27 :: v_dual_add_f32 v9, v9, v13
	s_wait_loadcnt 0x4
	v_dual_mov_b32 v116, v149 :: v_dual_fmac_f32 v31, v203, v138
	s_delay_alu instid0(VALU_DEP_2) | instskip(NEXT) | instid1(VALU_DEP_3)
	v_dual_fma_f32 v13, v202, v138, -v17 :: v_dual_add_f32 v7, v7, v29
	v_dual_add_f32 v9, v9, v11 :: v_dual_fma_f32 v11, v204, v140, -v19
	v_dual_mul_f32 v221, v206, v143 :: v_dual_mul_f32 v223, v208, v145
	s_delay_alu instid0(VALU_DEP_3) | instskip(NEXT) | instid1(VALU_DEP_2)
	v_dual_fmac_f32 v33, v205, v140 :: v_dual_add_f32 v7, v7, v31
	v_dual_add_f32 v9, v9, v13 :: v_dual_fmac_f32 v221, v207, v142
	v_pk_mul_f32 v[114:115], v[162:163], v[146:147] op_sel:[1,1] op_sel_hi:[0,1]
	s_wait_loadcnt 0x3
	v_dual_mov_b32 v120, v153 :: v_dual_fma_f32 v220, v206, v142, -v21
	s_delay_alu instid0(VALU_DEP_3)
	v_dual_add_f32 v123, v7, v33 :: v_dual_add_f32 v122, v9, v11
	v_fmac_f32_e32 v223, v209, v144
	v_pk_fma_f32 v[124:125], v[162:163], v[146:147], v[114:115] op_sel_hi:[1,0,1]
	v_fma_f32 v222, v208, v144, -v23
	v_pk_mul_f32 v[116:117], v[212:213], v[116:117] op_sel_hi:[1,0]
	v_pk_add_f32 v[122:123], v[122:123], v[220:221]
	v_pk_fma_f32 v[114:115], v[162:163], v[146:147], v[114:115] neg_lo:[0,0,1] neg_hi:[0,0,1]
	v_pk_mul_f32 v[118:119], v[166:167], v[150:151] op_sel:[1,1] op_sel_hi:[0,1]
	v_mov_b32_e32 v115, v125
	v_pk_fma_f32 v[124:125], v[164:165], v[148:149], v[116:117] op_sel_hi:[1,0,1]
	v_pk_add_f32 v[122:123], v[122:123], v[222:223]
	v_pk_fma_f32 v[116:117], v[164:165], v[148:149], v[116:117] neg_lo:[0,0,1] neg_hi:[0,0,1]
	v_pk_fma_f32 v[128:129], v[166:167], v[150:151], v[118:119] op_sel_hi:[1,0,1]
	v_pk_mul_f32 v[120:121], v[214:215], v[120:121] op_sel_hi:[1,0]
	v_mov_b32_e32 v117, v125
	v_pk_add_f32 v[114:115], v[122:123], v[114:115]
	s_wait_loadcnt 0x2
	v_pk_mul_f32 v[126:127], v[170:171], v[154:155] op_sel:[1,1] op_sel_hi:[0,1]
	v_mov_b32_e32 v122, v157
	v_pk_fma_f32 v[118:119], v[166:167], v[150:151], v[118:119] neg_lo:[0,0,1] neg_hi:[0,0,1]
	v_pk_fma_f32 v[124:125], v[168:169], v[152:153], v[120:121] op_sel_hi:[1,0,1]
	v_mov_b32_e32 v119, v129
	v_pk_add_f32 v[114:115], v[114:115], v[116:117]
	v_pk_fma_f32 v[116:117], v[170:171], v[154:155], v[126:127] op_sel_hi:[1,0,1]
	v_pk_mul_f32 v[122:123], v[216:217], v[122:123] op_sel_hi:[1,0]
	v_pk_fma_f32 v[120:121], v[168:169], v[152:153], v[120:121] neg_lo:[0,0,1] neg_hi:[0,0,1]
	v_mov_b32_e32 v121, v125
	v_pk_add_f32 v[114:115], v[114:115], v[118:119]
	v_pk_fma_f32 v[124:125], v[170:171], v[154:155], v[126:127] neg_lo:[0,0,1] neg_hi:[0,0,1]
	v_mov_b32_e32 v125, v117
	v_pk_fma_f32 v[116:117], v[172:173], v[156:157], v[122:123] op_sel_hi:[1,0,1]
	s_wait_loadcnt 0x1
	v_pk_mul_f32 v[118:119], v[174:175], v[158:159] op_sel:[1,1] op_sel_hi:[0,1]
	v_pk_add_f32 v[114:115], v[114:115], v[120:121]
	v_mov_b32_e32 v116, v161
	v_pk_fma_f32 v[122:123], v[172:173], v[156:157], v[122:123] neg_lo:[0,0,1] neg_hi:[0,0,1]
	s_delay_alu instid0(VALU_DEP_4)
	v_pk_fma_f32 v[120:121], v[174:175], v[158:159], v[118:119] op_sel_hi:[1,0,1]
	v_mov_b32_e32 v123, v117
	v_pk_add_f32 v[114:115], v[114:115], v[124:125]
	v_pk_mul_f32 v[116:117], v[218:219], v[116:117] op_sel_hi:[1,0]
	v_pk_fma_f32 v[118:119], v[174:175], v[158:159], v[118:119] neg_lo:[0,0,1] neg_hi:[0,0,1]
	v_mov_b32_e32 v119, v121
	s_delay_alu instid0(VALU_DEP_4) | instskip(NEXT) | instid1(VALU_DEP_4)
	v_pk_add_f32 v[114:115], v[114:115], v[122:123]
	v_pk_fma_f32 v[120:121], v[176:177], v[160:161], v[116:117] op_sel_hi:[1,0,1]
	v_pk_fma_f32 v[116:117], v[176:177], v[160:161], v[116:117] neg_lo:[0,0,1] neg_hi:[0,0,1]
	s_delay_alu instid0(VALU_DEP_3) | instskip(NEXT) | instid1(VALU_DEP_3)
	v_pk_add_f32 v[114:115], v[114:115], v[118:119]
	v_mov_b32_e32 v117, v121
	s_delay_alu instid0(VALU_DEP_1) | instskip(SKIP_1) | instid1(VALU_DEP_1)
	v_pk_add_f32 v[114:115], v[114:115], v[116:117]
	s_wait_loadcnt 0x0
	v_pk_add_f32 v[114:115], v[210:211], v[114:115] neg_lo:[0,1] neg_hi:[0,1]
	scratch_store_b64 off, v[114:115], off offset:248
	s_wait_xcnt 0x0
	v_cmpx_lt_u32_e32 30, v0
	s_cbranch_execz .LBB119_289
; %bb.288:
	scratch_load_b64 v[114:115], off, off offset:240
	v_mov_b64_e32 v[116:117], 0
	scratch_store_b64 off, v[116:117], off offset:240
	s_wait_loadcnt 0x0
	ds_store_b64 v1, v[114:115]
.LBB119_289:
	s_wait_xcnt 0x0
	s_or_b32 exec_lo, exec_lo, s0
	s_wait_storecnt_dscnt 0x0
	s_barrier_signal -1
	s_barrier_wait -1
	s_clause 0xd
	scratch_load_b128 v[114:117], off, off offset:248
	scratch_load_b128 v[118:121], off, off offset:264
	;; [unrolled: 1-line block ×12, first 2 shown]
	scratch_load_b64 v[210:211], off, off offset:440
	scratch_load_b64 v[212:213], off, off offset:240
	v_mov_b32_e32 v7, 0
	ds_load_2addr_b64 v[162:165], v7 offset0:103 offset1:104
	ds_load_2addr_b64 v[166:169], v7 offset0:105 offset1:106
	;; [unrolled: 1-line block ×12, first 2 shown]
	ds_load_b64 v[214:215], v7 offset:888
	s_mov_b32 s0, exec_lo
	s_wait_dscnt 0xc
	v_dual_mov_b32 v216, v165 :: v_dual_mov_b32 v217, v164
	s_wait_dscnt 0x9
	v_dual_mov_b32 v218, v169 :: v_dual_mov_b32 v223, v176
	v_dual_mov_b32 v219, v168 :: v_dual_mov_b32 v220, v173
	;; [unrolled: 1-line block ×3, first 2 shown]
	s_wait_loadcnt_dscnt 0xd08
	v_dual_mul_f32 v9, v178, v115 :: v_dual_mul_f32 v39, v179, v115
	v_dual_mul_f32 v41, v181, v117 :: v_dual_mul_f32 v11, v180, v117
	s_wait_loadcnt_dscnt 0xc07
	v_mul_f32_e32 v13, v182, v119
	s_wait_loadcnt_dscnt 0xa05
	v_dual_mul_f32 v51, v191, v127 :: v_dual_fma_f32 v39, v178, v114, -v39
	v_dual_fmac_f32 v9, v179, v114 :: v_dual_mul_f32 v53, v193, v129
	v_dual_mul_f32 v43, v183, v119 :: v_dual_mul_f32 v45, v185, v121
	v_dual_fmac_f32 v11, v181, v116 :: v_dual_fma_f32 v41, v180, v116, -v41
	s_delay_alu instid0(VALU_DEP_3) | instskip(SKIP_3) | instid1(VALU_DEP_3)
	v_dual_add_f32 v9, 0, v9 :: v_dual_add_f32 v39, 0, v39
	v_dual_mul_f32 v15, v184, v121 :: v_dual_mul_f32 v17, v186, v123
	s_wait_loadcnt_dscnt 0x904
	v_dual_mul_f32 v55, v195, v131 :: v_dual_fma_f32 v43, v182, v118, -v43
	v_dual_fmac_f32 v13, v183, v118 :: v_dual_add_f32 v9, v9, v11
	s_delay_alu instid0(VALU_DEP_3) | instskip(SKIP_2) | instid1(VALU_DEP_3)
	v_dual_add_f32 v11, v39, v41 :: v_dual_fmac_f32 v15, v185, v120
	v_dual_mul_f32 v47, v187, v123 :: v_dual_mul_f32 v49, v189, v125
	v_dual_mul_f32 v39, v197, v133 :: v_dual_fma_f32 v41, v184, v120, -v45
	v_dual_add_f32 v9, v9, v13 :: v_dual_add_f32 v11, v11, v43
	v_dual_mul_f32 v19, v188, v125 :: v_dual_mul_f32 v21, v190, v127
	s_wait_loadcnt_dscnt 0x803
	v_dual_mul_f32 v13, v199, v135 :: v_dual_fma_f32 v43, v186, v122, -v47
	s_delay_alu instid0(VALU_DEP_3) | instskip(NEXT) | instid1(VALU_DEP_3)
	v_dual_fmac_f32 v17, v187, v122 :: v_dual_add_f32 v9, v9, v15
	v_dual_add_f32 v11, v11, v41 :: v_dual_fmac_f32 v19, v189, v124
	v_dual_mul_f32 v15, v201, v137 :: v_dual_fma_f32 v41, v188, v124, -v49
	s_delay_alu instid0(VALU_DEP_2) | instskip(SKIP_3) | instid1(VALU_DEP_3)
	v_dual_add_f32 v9, v9, v17 :: v_dual_add_f32 v11, v11, v43
	v_dual_mul_f32 v23, v192, v129 :: v_dual_mul_f32 v25, v194, v131
	s_wait_loadcnt_dscnt 0x702
	v_dual_mul_f32 v17, v203, v139 :: v_dual_fma_f32 v43, v190, v126, -v51
	v_dual_fmac_f32 v21, v191, v126 :: v_dual_add_f32 v9, v9, v19
	s_delay_alu instid0(VALU_DEP_3) | instskip(SKIP_1) | instid1(VALU_DEP_2)
	v_dual_add_f32 v11, v11, v41 :: v_dual_fmac_f32 v23, v193, v128
	v_dual_mul_f32 v19, v205, v141 :: v_dual_fma_f32 v41, v192, v128, -v53
	v_dual_add_f32 v9, v9, v21 :: v_dual_add_f32 v11, v11, v43
	v_dual_mul_f32 v27, v196, v133 :: v_dual_mul_f32 v29, v198, v135
	s_wait_loadcnt_dscnt 0x601
	v_dual_mul_f32 v21, v207, v143 :: v_dual_fma_f32 v43, v194, v130, -v55
	s_delay_alu instid0(VALU_DEP_3) | instskip(NEXT) | instid1(VALU_DEP_3)
	v_dual_fmac_f32 v25, v195, v130 :: v_dual_add_f32 v9, v9, v23
	v_dual_add_f32 v11, v11, v41 :: v_dual_fmac_f32 v27, v197, v132
	v_dual_mul_f32 v23, v209, v145 :: v_dual_fma_f32 v39, v196, v132, -v39
	s_delay_alu instid0(VALU_DEP_2) | instskip(SKIP_3) | instid1(VALU_DEP_3)
	v_dual_add_f32 v9, v9, v25 :: v_dual_add_f32 v11, v11, v43
	v_dual_mul_f32 v31, v200, v137 :: v_dual_mul_f32 v33, v202, v139
	s_wait_loadcnt 0x5
	v_dual_mul_f32 v25, v163, v147 :: v_dual_fma_f32 v13, v198, v134, -v13
	v_dual_fmac_f32 v29, v199, v134 :: v_dual_add_f32 v9, v9, v27
	v_dual_add_f32 v11, v11, v39 :: v_dual_mov_b32 v114, v149
	v_fmac_f32_e32 v31, v201, v136
	s_delay_alu instid0(VALU_DEP_3) | instskip(NEXT) | instid1(VALU_DEP_3)
	v_dual_fma_f32 v15, v200, v136, -v15 :: v_dual_add_f32 v9, v9, v29
	v_add_f32_e32 v11, v11, v13
	v_dual_mul_f32 v35, v204, v141 :: v_dual_mul_f32 v37, v206, v143
	s_delay_alu instid0(VALU_DEP_3) | instskip(NEXT) | instid1(VALU_DEP_3)
	v_dual_fmac_f32 v33, v203, v138 :: v_dual_add_f32 v9, v9, v31
	v_dual_fma_f32 v13, v202, v138, -v17 :: v_dual_add_f32 v11, v11, v15
	s_wait_loadcnt 0x4
	v_dual_mov_b32 v118, v153 :: v_dual_fma_f32 v15, v204, v140, -v19
	v_fmac_f32_e32 v35, v205, v140
	v_dual_add_f32 v9, v9, v33 :: v_dual_fmac_f32 v37, v207, v142
	v_add_f32_e32 v11, v11, v13
	v_dual_mul_f32 v225, v208, v145 :: v_dual_mul_f32 v227, v162, v147
	s_delay_alu instid0(VALU_DEP_3) | instskip(NEXT) | instid1(VALU_DEP_2)
	v_dual_fma_f32 v13, v206, v142, -v21 :: v_dual_add_f32 v9, v9, v35
	v_dual_add_f32 v11, v11, v15 :: v_dual_fmac_f32 v225, v209, v144
	v_fma_f32 v224, v208, v144, -v23
	v_pk_mul_f32 v[114:115], v[216:217], v[114:115] op_sel_hi:[1,0]
	s_delay_alu instid0(VALU_DEP_4)
	v_add_f32_e32 v123, v9, v37
	s_wait_loadcnt 0x3
	v_dual_add_f32 v122, v11, v13 :: v_dual_mov_b32 v124, v157
	v_pk_mul_f32 v[116:117], v[166:167], v[150:151] op_sel:[1,1] op_sel_hi:[0,1]
	v_dual_fmac_f32 v227, v163, v146 :: v_dual_fma_f32 v226, v162, v146, -v25
	v_pk_fma_f32 v[126:127], v[164:165], v[148:149], v[114:115] op_sel_hi:[1,0,1]
	s_delay_alu instid0(VALU_DEP_4)
	v_pk_add_f32 v[122:123], v[122:123], v[224:225]
	v_pk_fma_f32 v[114:115], v[164:165], v[148:149], v[114:115] neg_lo:[0,0,1] neg_hi:[0,0,1]
	v_pk_fma_f32 v[128:129], v[166:167], v[150:151], v[116:117] op_sel_hi:[1,0,1]
	v_pk_mul_f32 v[118:119], v[218:219], v[118:119] op_sel_hi:[1,0]
	v_mov_b32_e32 v115, v127
	v_pk_add_f32 v[122:123], v[122:123], v[226:227]
	v_pk_fma_f32 v[116:117], v[166:167], v[150:151], v[116:117] neg_lo:[0,0,1] neg_hi:[0,0,1]
	v_pk_mul_f32 v[120:121], v[170:171], v[154:155] op_sel:[1,1] op_sel_hi:[0,1]
	v_mov_b32_e32 v117, v129
	v_pk_fma_f32 v[128:129], v[168:169], v[152:153], v[118:119] op_sel_hi:[1,0,1]
	v_pk_add_f32 v[114:115], v[122:123], v[114:115]
	v_pk_fma_f32 v[118:119], v[168:169], v[152:153], v[118:119] neg_lo:[0,0,1] neg_hi:[0,0,1]
	v_pk_fma_f32 v[122:123], v[170:171], v[154:155], v[120:121] op_sel_hi:[1,0,1]
	v_pk_mul_f32 v[124:125], v[220:221], v[124:125] op_sel_hi:[1,0]
	v_mov_b32_e32 v119, v129
	v_pk_add_f32 v[114:115], v[114:115], v[116:117]
	v_pk_fma_f32 v[120:121], v[170:171], v[154:155], v[120:121] neg_lo:[0,0,1] neg_hi:[0,0,1]
	s_wait_loadcnt 0x2
	v_pk_mul_f32 v[126:127], v[174:175], v[158:159] op_sel:[1,1] op_sel_hi:[0,1]
	v_dual_mov_b32 v116, v161 :: v_dual_mov_b32 v121, v123
	v_pk_fma_f32 v[122:123], v[172:173], v[156:157], v[124:125] op_sel_hi:[1,0,1]
	v_pk_add_f32 v[114:115], v[114:115], v[118:119]
	v_pk_fma_f32 v[124:125], v[172:173], v[156:157], v[124:125] neg_lo:[0,0,1] neg_hi:[0,0,1]
	v_pk_fma_f32 v[118:119], v[174:175], v[158:159], v[126:127] op_sel_hi:[1,0,1]
	v_pk_mul_f32 v[116:117], v[222:223], v[116:117] op_sel_hi:[1,0]
	v_mov_b32_e32 v125, v123
	v_pk_add_f32 v[114:115], v[114:115], v[120:121]
	v_pk_fma_f32 v[120:121], v[174:175], v[158:159], v[126:127] neg_lo:[0,0,1] neg_hi:[0,0,1]
	v_mov_b32_e32 v121, v119
	v_pk_fma_f32 v[118:119], v[176:177], v[160:161], v[116:117] op_sel_hi:[1,0,1]
	s_wait_loadcnt_dscnt 0x100
	v_pk_mul_f32 v[122:123], v[214:215], v[210:211] op_sel:[1,1] op_sel_hi:[0,1]
	v_pk_add_f32 v[114:115], v[114:115], v[124:125]
	v_pk_fma_f32 v[116:117], v[176:177], v[160:161], v[116:117] neg_lo:[0,0,1] neg_hi:[0,0,1]
	v_mov_b32_e32 v117, v119
	s_delay_alu instid0(VALU_DEP_4) | instskip(NEXT) | instid1(VALU_DEP_4)
	v_pk_fma_f32 v[118:119], v[214:215], v[210:211], v[122:123] op_sel_hi:[1,0,1]
	v_pk_add_f32 v[114:115], v[114:115], v[120:121]
	v_pk_fma_f32 v[120:121], v[214:215], v[210:211], v[122:123] neg_lo:[0,0,1] neg_hi:[0,0,1]
	s_delay_alu instid0(VALU_DEP_3) | instskip(NEXT) | instid1(VALU_DEP_3)
	v_mov_b32_e32 v121, v119
	v_pk_add_f32 v[114:115], v[114:115], v[116:117]
	s_delay_alu instid0(VALU_DEP_1) | instskip(SKIP_1) | instid1(VALU_DEP_1)
	v_pk_add_f32 v[114:115], v[114:115], v[120:121]
	s_wait_loadcnt 0x0
	v_pk_add_f32 v[114:115], v[212:213], v[114:115] neg_lo:[0,1] neg_hi:[0,1]
	scratch_store_b64 off, v[114:115], off offset:240
	s_wait_xcnt 0x0
	v_cmpx_lt_u32_e32 29, v0
	s_cbranch_execz .LBB119_291
; %bb.290:
	scratch_load_b64 v[114:115], off, off offset:232
	v_mov_b64_e32 v[116:117], 0
	scratch_store_b64 off, v[116:117], off offset:232
	s_wait_loadcnt 0x0
	ds_store_b64 v1, v[114:115]
.LBB119_291:
	s_wait_xcnt 0x0
	s_or_b32 exec_lo, exec_lo, s0
	s_wait_storecnt_dscnt 0x0
	s_barrier_signal -1
	s_barrier_wait -1
	s_clause 0xd
	scratch_load_b128 v[114:117], off, off offset:240
	scratch_load_b128 v[118:121], off, off offset:256
	;; [unrolled: 1-line block ×13, first 2 shown]
	scratch_load_b64 v[218:219], off, off offset:232
	ds_load_b128 v[166:169], v7 offset:832
	ds_load_b128 v[170:173], v7 offset:848
	;; [unrolled: 1-line block ×13, first 2 shown]
	s_mov_b32 s0, exec_lo
	s_wait_dscnt 0xc
	v_dual_mov_b32 v220, v169 :: v_dual_mov_b32 v221, v168
	s_wait_dscnt 0xb
	v_dual_mov_b32 v222, v173 :: v_dual_mov_b32 v223, v172
	;; [unrolled: 2-line block ×4, first 2 shown]
	s_wait_loadcnt_dscnt 0xd08
	v_dual_mul_f32 v7, v182, v115 :: v_dual_mul_f32 v9, v184, v117
	v_dual_mul_f32 v39, v183, v115 :: v_dual_mul_f32 v41, v185, v117
	s_wait_loadcnt_dscnt 0xc07
	v_dual_mul_f32 v11, v186, v119 :: v_dual_mul_f32 v13, v188, v121
	s_delay_alu instid0(VALU_DEP_3) | instskip(SKIP_3) | instid1(VALU_DEP_3)
	v_dual_fmac_f32 v7, v183, v114 :: v_dual_fmac_f32 v9, v185, v116
	s_wait_loadcnt_dscnt 0xa05
	v_dual_fma_f32 v39, v182, v114, -v39 :: v_dual_mul_f32 v51, v195, v127
	v_dual_mul_f32 v43, v187, v119 :: v_dual_mul_f32 v45, v189, v121
	v_dual_fma_f32 v41, v184, v116, -v41 :: v_dual_add_f32 v7, 0, v7
	s_delay_alu instid0(VALU_DEP_3) | instskip(SKIP_1) | instid1(VALU_DEP_3)
	v_dual_add_f32 v39, 0, v39 :: v_dual_mul_f32 v53, v197, v129
	v_dual_fmac_f32 v11, v187, v118 :: v_dual_fmac_f32 v13, v189, v120
	v_dual_fma_f32 v43, v186, v118, -v43 :: v_dual_add_f32 v7, v7, v9
	s_delay_alu instid0(VALU_DEP_3) | instskip(SKIP_2) | instid1(VALU_DEP_4)
	v_dual_add_f32 v9, v39, v41 :: v_dual_fma_f32 v41, v188, v120, -v45
	v_dual_mul_f32 v15, v190, v123 :: v_dual_mul_f32 v17, v192, v125
	v_dual_mul_f32 v47, v191, v123 :: v_dual_mul_f32 v49, v193, v125
	v_add_f32_e32 v7, v7, v11
	s_delay_alu instid0(VALU_DEP_3) | instskip(NEXT) | instid1(VALU_DEP_3)
	v_dual_add_f32 v9, v9, v43 :: v_dual_fmac_f32 v15, v191, v122
	v_fma_f32 v43, v190, v122, -v47
	v_dual_mul_f32 v19, v194, v127 :: v_dual_mul_f32 v21, v196, v129
	s_delay_alu instid0(VALU_DEP_4) | instskip(SKIP_2) | instid1(VALU_DEP_2)
	v_dual_add_f32 v7, v7, v13 :: v_dual_fmac_f32 v17, v193, v124
	s_wait_loadcnt_dscnt 0x802
	v_dual_add_f32 v9, v9, v41 :: v_dual_mul_f32 v13, v207, v135
	v_dual_fma_f32 v41, v192, v124, -v49 :: v_dual_add_f32 v7, v7, v15
	v_mul_f32_e32 v15, v209, v137
	s_delay_alu instid0(VALU_DEP_3) | instskip(NEXT) | instid1(VALU_DEP_3)
	v_dual_add_f32 v9, v9, v43 :: v_dual_fmac_f32 v19, v195, v126
	v_dual_fma_f32 v43, v194, v126, -v51 :: v_dual_add_f32 v7, v7, v17
	v_fmac_f32_e32 v21, v197, v128
	s_wait_loadcnt_dscnt 0x701
	s_delay_alu instid0(VALU_DEP_3) | instskip(SKIP_3) | instid1(VALU_DEP_3)
	v_dual_add_f32 v9, v9, v41 :: v_dual_mul_f32 v17, v211, v139
	v_dual_mul_f32 v23, v202, v131 :: v_dual_mul_f32 v25, v204, v133
	v_dual_mul_f32 v39, v203, v131 :: v_dual_mul_f32 v11, v205, v133
	v_dual_fma_f32 v41, v196, v128, -v53 :: v_dual_add_f32 v7, v7, v19
	v_dual_add_f32 v9, v9, v43 :: v_dual_fmac_f32 v23, v203, v130
	s_delay_alu instid0(VALU_DEP_3) | instskip(NEXT) | instid1(VALU_DEP_3)
	v_dual_mul_f32 v19, v213, v141 :: v_dual_fma_f32 v39, v202, v130, -v39
	v_dual_add_f32 v7, v7, v21 :: v_dual_fmac_f32 v25, v205, v132
	s_wait_loadcnt_dscnt 0x600
	s_delay_alu instid0(VALU_DEP_3) | instskip(SKIP_1) | instid1(VALU_DEP_3)
	v_dual_add_f32 v9, v9, v41 :: v_dual_mul_f32 v21, v215, v143
	v_dual_mul_f32 v27, v206, v135 :: v_dual_mul_f32 v29, v208, v137
	v_dual_fma_f32 v11, v204, v132, -v11 :: v_dual_add_f32 v7, v7, v23
	s_delay_alu instid0(VALU_DEP_2) | instskip(SKIP_1) | instid1(VALU_DEP_2)
	v_dual_add_f32 v9, v9, v39 :: v_dual_fmac_f32 v27, v207, v134
	v_dual_mul_f32 v23, v217, v145 :: v_dual_fma_f32 v13, v206, v134, -v13
	v_dual_add_f32 v7, v7, v25 :: v_dual_add_f32 v9, v9, v11
	v_dual_mul_f32 v31, v210, v139 :: v_dual_mul_f32 v33, v212, v141
	s_wait_loadcnt 0x5
	v_dual_mul_f32 v11, v199, v147 :: v_dual_fmac_f32 v29, v209, v136
	s_delay_alu instid0(VALU_DEP_3) | instskip(NEXT) | instid1(VALU_DEP_3)
	v_dual_fma_f32 v15, v208, v136, -v15 :: v_dual_add_f32 v7, v7, v27
	v_dual_add_f32 v9, v9, v13 :: v_dual_fmac_f32 v31, v211, v138
	v_dual_mul_f32 v13, v201, v149 :: v_dual_fma_f32 v17, v210, v138, -v17
	s_delay_alu instid0(VALU_DEP_2) | instskip(SKIP_2) | instid1(VALU_DEP_3)
	v_dual_add_f32 v7, v7, v29 :: v_dual_add_f32 v9, v9, v15
	v_dual_mul_f32 v35, v214, v143 :: v_dual_mul_f32 v37, v216, v145
	v_dual_fmac_f32 v33, v213, v140 :: v_dual_fma_f32 v15, v212, v140, -v19
	v_dual_add_f32 v7, v7, v31 :: v_dual_add_f32 v9, v9, v17
	s_wait_loadcnt 0x4
	s_delay_alu instid0(VALU_DEP_3) | instskip(NEXT) | instid1(VALU_DEP_2)
	v_dual_mov_b32 v116, v153 :: v_dual_fmac_f32 v35, v215, v142
	v_dual_fma_f32 v17, v214, v142, -v21 :: v_dual_add_f32 v7, v7, v33
	s_delay_alu instid0(VALU_DEP_3) | instskip(SKIP_1) | instid1(VALU_DEP_3)
	v_dual_add_f32 v9, v9, v15 :: v_dual_fma_f32 v15, v216, v144, -v23
	v_dual_mul_f32 v229, v198, v147 :: v_dual_mul_f32 v231, v200, v149
	v_dual_fmac_f32 v37, v217, v144 :: v_dual_add_f32 v7, v7, v35
	s_delay_alu instid0(VALU_DEP_2) | instskip(SKIP_3) | instid1(VALU_DEP_3)
	v_dual_add_f32 v9, v9, v17 :: v_dual_fmac_f32 v229, v199, v146
	v_pk_mul_f32 v[114:115], v[166:167], v[150:151] op_sel:[1,1] op_sel_hi:[0,1]
	s_wait_loadcnt 0x3
	v_dual_mov_b32 v120, v157 :: v_dual_fma_f32 v228, v198, v146, -v11
	v_dual_add_f32 v123, v7, v37 :: v_dual_add_f32 v122, v9, v15
	v_dual_fmac_f32 v231, v201, v148 :: v_dual_fma_f32 v230, v200, v148, -v13
	v_pk_fma_f32 v[124:125], v[166:167], v[150:151], v[114:115] op_sel_hi:[1,0,1]
	v_pk_mul_f32 v[116:117], v[220:221], v[116:117] op_sel_hi:[1,0]
	s_delay_alu instid0(VALU_DEP_4)
	v_pk_add_f32 v[122:123], v[122:123], v[228:229]
	v_pk_fma_f32 v[114:115], v[166:167], v[150:151], v[114:115] neg_lo:[0,0,1] neg_hi:[0,0,1]
	v_pk_mul_f32 v[118:119], v[170:171], v[154:155] op_sel:[1,1] op_sel_hi:[0,1]
	v_mov_b32_e32 v115, v125
	v_pk_fma_f32 v[124:125], v[168:169], v[152:153], v[116:117] op_sel_hi:[1,0,1]
	v_pk_add_f32 v[122:123], v[122:123], v[230:231]
	v_pk_fma_f32 v[116:117], v[168:169], v[152:153], v[116:117] neg_lo:[0,0,1] neg_hi:[0,0,1]
	v_pk_fma_f32 v[128:129], v[170:171], v[154:155], v[118:119] op_sel_hi:[1,0,1]
	v_pk_mul_f32 v[120:121], v[222:223], v[120:121] op_sel_hi:[1,0]
	v_mov_b32_e32 v117, v125
	v_pk_add_f32 v[114:115], v[122:123], v[114:115]
	s_wait_loadcnt 0x2
	v_pk_mul_f32 v[126:127], v[174:175], v[158:159] op_sel:[1,1] op_sel_hi:[0,1]
	v_mov_b32_e32 v122, v161
	v_pk_fma_f32 v[118:119], v[170:171], v[154:155], v[118:119] neg_lo:[0,0,1] neg_hi:[0,0,1]
	v_mov_b32_e32 v119, v129
	v_pk_fma_f32 v[124:125], v[172:173], v[156:157], v[120:121] op_sel_hi:[1,0,1]
	v_pk_add_f32 v[114:115], v[114:115], v[116:117]
	v_pk_fma_f32 v[116:117], v[174:175], v[158:159], v[126:127] op_sel_hi:[1,0,1]
	v_pk_mul_f32 v[122:123], v[224:225], v[122:123] op_sel_hi:[1,0]
	v_pk_fma_f32 v[120:121], v[172:173], v[156:157], v[120:121] neg_lo:[0,0,1] neg_hi:[0,0,1]
	v_mov_b32_e32 v121, v125
	v_pk_add_f32 v[114:115], v[114:115], v[118:119]
	v_pk_fma_f32 v[124:125], v[174:175], v[158:159], v[126:127] neg_lo:[0,0,1] neg_hi:[0,0,1]
	v_mov_b32_e32 v125, v117
	v_pk_fma_f32 v[116:117], v[176:177], v[160:161], v[122:123] op_sel_hi:[1,0,1]
	s_wait_loadcnt 0x1
	v_pk_mul_f32 v[118:119], v[178:179], v[162:163] op_sel:[1,1] op_sel_hi:[0,1]
	v_pk_add_f32 v[114:115], v[114:115], v[120:121]
	v_mov_b32_e32 v116, v165
	v_pk_fma_f32 v[122:123], v[176:177], v[160:161], v[122:123] neg_lo:[0,0,1] neg_hi:[0,0,1]
	v_mov_b32_e32 v123, v117
	v_pk_fma_f32 v[120:121], v[178:179], v[162:163], v[118:119] op_sel_hi:[1,0,1]
	v_pk_add_f32 v[114:115], v[114:115], v[124:125]
	v_pk_mul_f32 v[116:117], v[226:227], v[116:117] op_sel_hi:[1,0]
	v_pk_fma_f32 v[118:119], v[178:179], v[162:163], v[118:119] neg_lo:[0,0,1] neg_hi:[0,0,1]
	s_delay_alu instid0(VALU_DEP_4) | instskip(NEXT) | instid1(VALU_DEP_4)
	v_mov_b32_e32 v119, v121
	v_pk_add_f32 v[114:115], v[114:115], v[122:123]
	s_delay_alu instid0(VALU_DEP_4) | instskip(SKIP_1) | instid1(VALU_DEP_2)
	v_pk_fma_f32 v[120:121], v[180:181], v[164:165], v[116:117] op_sel_hi:[1,0,1]
	v_pk_fma_f32 v[116:117], v[180:181], v[164:165], v[116:117] neg_lo:[0,0,1] neg_hi:[0,0,1]
	v_mov_b32_e32 v117, v121
	s_delay_alu instid0(VALU_DEP_4) | instskip(NEXT) | instid1(VALU_DEP_1)
	v_pk_add_f32 v[114:115], v[114:115], v[118:119]
	v_pk_add_f32 v[114:115], v[114:115], v[116:117]
	s_wait_loadcnt 0x0
	s_delay_alu instid0(VALU_DEP_1)
	v_pk_add_f32 v[114:115], v[218:219], v[114:115] neg_lo:[0,1] neg_hi:[0,1]
	scratch_store_b64 off, v[114:115], off offset:232
	s_wait_xcnt 0x0
	v_cmpx_lt_u32_e32 28, v0
	s_cbranch_execz .LBB119_293
; %bb.292:
	scratch_load_b64 v[114:115], off, off offset:224
	v_mov_b64_e32 v[116:117], 0
	scratch_store_b64 off, v[116:117], off offset:224
	s_wait_loadcnt 0x0
	ds_store_b64 v1, v[114:115]
.LBB119_293:
	s_wait_xcnt 0x0
	s_or_b32 exec_lo, exec_lo, s0
	s_wait_storecnt_dscnt 0x0
	s_barrier_signal -1
	s_barrier_wait -1
	s_clause 0xe
	scratch_load_b128 v[114:117], off, off offset:232
	scratch_load_b128 v[118:121], off, off offset:248
	scratch_load_b128 v[122:125], off, off offset:264
	scratch_load_b128 v[126:129], off, off offset:280
	scratch_load_b128 v[130:133], off, off offset:296
	scratch_load_b128 v[134:137], off, off offset:312
	scratch_load_b128 v[138:141], off, off offset:328
	scratch_load_b128 v[142:145], off, off offset:344
	scratch_load_b128 v[146:149], off, off offset:360
	scratch_load_b128 v[150:153], off, off offset:376
	scratch_load_b128 v[154:157], off, off offset:392
	scratch_load_b128 v[158:161], off, off offset:408
	scratch_load_b128 v[162:165], off, off offset:424
	scratch_load_b64 v[218:219], off, off offset:440
	scratch_load_b64 v[220:221], off, off offset:224
	v_mov_b32_e32 v7, 0
	ds_load_2addr_b64 v[166:169], v7 offset0:103 offset1:104
	ds_load_2addr_b64 v[170:173], v7 offset0:105 offset1:106
	;; [unrolled: 1-line block ×13, first 2 shown]
	ds_load_b64 v[222:223], v7 offset:888
	s_mov_b32 s0, exec_lo
	s_wait_dscnt 0xd
	v_dual_mov_b32 v224, v169 :: v_dual_mov_b32 v225, v168
	s_wait_dscnt 0xa
	v_dual_mov_b32 v226, v173 :: v_dual_mov_b32 v231, v180
	v_dual_mov_b32 v227, v172 :: v_dual_mov_b32 v228, v177
	;; [unrolled: 1-line block ×3, first 2 shown]
	s_wait_loadcnt_dscnt 0xe09
	v_dual_mul_f32 v9, v182, v115 :: v_dual_mul_f32 v43, v183, v115
	v_dual_mul_f32 v45, v185, v117 :: v_dual_mul_f32 v11, v184, v117
	s_wait_loadcnt_dscnt 0xd08
	v_mul_f32_e32 v13, v186, v119
	s_wait_loadcnt_dscnt 0xb05
	v_dual_mul_f32 v55, v199, v127 :: v_dual_fma_f32 v43, v182, v114, -v43
	v_dual_fmac_f32 v9, v183, v114 :: v_dual_mul_f32 v57, v201, v129
	v_dual_mul_f32 v47, v187, v119 :: v_dual_mul_f32 v49, v189, v121
	v_dual_fmac_f32 v11, v185, v116 :: v_dual_fma_f32 v45, v184, v116, -v45
	s_delay_alu instid0(VALU_DEP_3) | instskip(SKIP_3) | instid1(VALU_DEP_3)
	v_dual_add_f32 v9, 0, v9 :: v_dual_add_f32 v43, 0, v43
	v_dual_mul_f32 v15, v188, v121 :: v_dual_mul_f32 v17, v190, v123
	s_wait_loadcnt_dscnt 0xa04
	v_dual_mul_f32 v59, v203, v131 :: v_dual_fma_f32 v47, v186, v118, -v47
	v_dual_fmac_f32 v13, v187, v118 :: v_dual_add_f32 v9, v9, v11
	s_delay_alu instid0(VALU_DEP_3) | instskip(SKIP_2) | instid1(VALU_DEP_3)
	v_dual_add_f32 v11, v43, v45 :: v_dual_fmac_f32 v15, v189, v120
	v_dual_mul_f32 v51, v191, v123 :: v_dual_mul_f32 v53, v193, v125
	v_dual_mul_f32 v43, v205, v133 :: v_dual_fma_f32 v45, v188, v120, -v49
	v_dual_add_f32 v9, v9, v13 :: v_dual_add_f32 v11, v11, v47
	v_dual_mul_f32 v19, v192, v125 :: v_dual_mul_f32 v21, v198, v127
	s_wait_loadcnt_dscnt 0x903
	v_dual_mul_f32 v13, v207, v135 :: v_dual_fma_f32 v47, v190, v122, -v51
	s_delay_alu instid0(VALU_DEP_3) | instskip(NEXT) | instid1(VALU_DEP_3)
	v_dual_fmac_f32 v17, v191, v122 :: v_dual_add_f32 v9, v9, v15
	v_dual_add_f32 v11, v11, v45 :: v_dual_fmac_f32 v19, v193, v124
	v_dual_mul_f32 v15, v209, v137 :: v_dual_fma_f32 v45, v192, v124, -v53
	s_delay_alu instid0(VALU_DEP_2) | instskip(SKIP_3) | instid1(VALU_DEP_3)
	v_dual_add_f32 v9, v9, v17 :: v_dual_add_f32 v11, v11, v47
	v_dual_mul_f32 v23, v200, v129 :: v_dual_mul_f32 v25, v202, v131
	s_wait_loadcnt_dscnt 0x802
	v_dual_mul_f32 v17, v211, v139 :: v_dual_fma_f32 v47, v198, v126, -v55
	v_dual_fmac_f32 v21, v199, v126 :: v_dual_add_f32 v9, v9, v19
	s_delay_alu instid0(VALU_DEP_3) | instskip(SKIP_1) | instid1(VALU_DEP_2)
	v_dual_add_f32 v11, v11, v45 :: v_dual_fmac_f32 v23, v201, v128
	v_dual_mul_f32 v19, v213, v141 :: v_dual_fma_f32 v45, v200, v128, -v57
	v_dual_add_f32 v9, v9, v21 :: v_dual_add_f32 v11, v11, v47
	v_dual_mul_f32 v27, v204, v133 :: v_dual_mul_f32 v29, v206, v135
	s_wait_loadcnt_dscnt 0x701
	v_dual_mul_f32 v21, v215, v143 :: v_dual_fma_f32 v47, v202, v130, -v59
	s_delay_alu instid0(VALU_DEP_3) | instskip(NEXT) | instid1(VALU_DEP_3)
	v_dual_fmac_f32 v25, v203, v130 :: v_dual_add_f32 v9, v9, v23
	v_dual_add_f32 v11, v11, v45 :: v_dual_fmac_f32 v27, v205, v132
	v_dual_mul_f32 v23, v217, v145 :: v_dual_fma_f32 v43, v204, v132, -v43
	s_delay_alu instid0(VALU_DEP_2) | instskip(SKIP_3) | instid1(VALU_DEP_3)
	v_dual_add_f32 v9, v9, v25 :: v_dual_add_f32 v11, v11, v47
	v_dual_mul_f32 v31, v208, v137 :: v_dual_mul_f32 v33, v210, v139
	s_wait_loadcnt 0x6
	v_dual_mul_f32 v25, v195, v147 :: v_dual_fma_f32 v13, v206, v134, -v13
	v_dual_fmac_f32 v29, v207, v134 :: v_dual_add_f32 v9, v9, v27
	v_dual_add_f32 v11, v11, v43 :: v_dual_mul_f32 v27, v197, v149
	v_fmac_f32_e32 v31, v209, v136
	s_delay_alu instid0(VALU_DEP_3) | instskip(NEXT) | instid1(VALU_DEP_3)
	v_dual_fma_f32 v15, v208, v136, -v15 :: v_dual_add_f32 v9, v9, v29
	v_add_f32_e32 v11, v11, v13
	v_dual_mul_f32 v35, v212, v141 :: v_dual_mul_f32 v37, v214, v143
	s_wait_loadcnt 0x5
	v_dual_mul_f32 v13, v167, v151 :: v_dual_fma_f32 v17, v210, v138, -v17
	v_dual_fmac_f32 v33, v211, v138 :: v_dual_add_f32 v9, v9, v31
	v_dual_add_f32 v11, v11, v15 :: v_dual_mov_b32 v114, v153
	v_fmac_f32_e32 v35, v213, v140
	s_delay_alu instid0(VALU_DEP_3) | instskip(NEXT) | instid1(VALU_DEP_3)
	v_dual_fma_f32 v15, v212, v140, -v19 :: v_dual_add_f32 v9, v9, v33
	v_add_f32_e32 v11, v11, v17
	v_dual_mul_f32 v39, v216, v145 :: v_dual_mul_f32 v41, v194, v147
	s_delay_alu instid0(VALU_DEP_3) | instskip(NEXT) | instid1(VALU_DEP_3)
	v_dual_fmac_f32 v37, v215, v142 :: v_dual_add_f32 v9, v9, v35
	v_dual_fma_f32 v17, v214, v142, -v21 :: v_dual_add_f32 v11, v11, v15
	s_wait_loadcnt 0x4
	v_dual_mov_b32 v118, v157 :: v_dual_fma_f32 v15, v216, v144, -v23
	v_fmac_f32_e32 v39, v217, v144
	v_dual_add_f32 v9, v9, v37 :: v_dual_fmac_f32 v41, v195, v146
	v_add_f32_e32 v11, v11, v17
	v_dual_mul_f32 v233, v196, v149 :: v_dual_mul_f32 v235, v166, v151
	s_delay_alu instid0(VALU_DEP_3) | instskip(NEXT) | instid1(VALU_DEP_2)
	v_dual_fma_f32 v17, v194, v146, -v25 :: v_dual_add_f32 v9, v9, v39
	v_dual_add_f32 v11, v11, v15 :: v_dual_fmac_f32 v233, v197, v148
	v_fma_f32 v232, v196, v148, -v27
	v_pk_mul_f32 v[114:115], v[224:225], v[114:115] op_sel_hi:[1,0]
	s_delay_alu instid0(VALU_DEP_4)
	v_add_f32_e32 v123, v9, v41
	s_wait_loadcnt 0x3
	v_dual_add_f32 v122, v11, v17 :: v_dual_mov_b32 v124, v161
	v_pk_mul_f32 v[116:117], v[170:171], v[154:155] op_sel:[1,1] op_sel_hi:[0,1]
	v_dual_fmac_f32 v235, v167, v150 :: v_dual_fma_f32 v234, v166, v150, -v13
	v_pk_fma_f32 v[126:127], v[168:169], v[152:153], v[114:115] op_sel_hi:[1,0,1]
	s_delay_alu instid0(VALU_DEP_4)
	v_pk_add_f32 v[122:123], v[122:123], v[232:233]
	v_pk_fma_f32 v[114:115], v[168:169], v[152:153], v[114:115] neg_lo:[0,0,1] neg_hi:[0,0,1]
	v_pk_fma_f32 v[128:129], v[170:171], v[154:155], v[116:117] op_sel_hi:[1,0,1]
	v_pk_mul_f32 v[118:119], v[226:227], v[118:119] op_sel_hi:[1,0]
	v_mov_b32_e32 v115, v127
	v_pk_add_f32 v[122:123], v[122:123], v[234:235]
	v_pk_fma_f32 v[116:117], v[170:171], v[154:155], v[116:117] neg_lo:[0,0,1] neg_hi:[0,0,1]
	v_pk_mul_f32 v[120:121], v[174:175], v[158:159] op_sel:[1,1] op_sel_hi:[0,1]
	v_mov_b32_e32 v117, v129
	v_pk_fma_f32 v[128:129], v[172:173], v[156:157], v[118:119] op_sel_hi:[1,0,1]
	v_pk_add_f32 v[114:115], v[122:123], v[114:115]
	v_pk_fma_f32 v[118:119], v[172:173], v[156:157], v[118:119] neg_lo:[0,0,1] neg_hi:[0,0,1]
	v_pk_fma_f32 v[122:123], v[174:175], v[158:159], v[120:121] op_sel_hi:[1,0,1]
	v_pk_mul_f32 v[124:125], v[228:229], v[124:125] op_sel_hi:[1,0]
	v_mov_b32_e32 v119, v129
	v_pk_add_f32 v[114:115], v[114:115], v[116:117]
	v_pk_fma_f32 v[120:121], v[174:175], v[158:159], v[120:121] neg_lo:[0,0,1] neg_hi:[0,0,1]
	s_wait_loadcnt 0x2
	v_pk_mul_f32 v[126:127], v[178:179], v[162:163] op_sel:[1,1] op_sel_hi:[0,1]
	v_dual_mov_b32 v116, v165 :: v_dual_mov_b32 v121, v123
	v_pk_fma_f32 v[122:123], v[176:177], v[160:161], v[124:125] op_sel_hi:[1,0,1]
	v_pk_add_f32 v[114:115], v[114:115], v[118:119]
	v_pk_fma_f32 v[124:125], v[176:177], v[160:161], v[124:125] neg_lo:[0,0,1] neg_hi:[0,0,1]
	v_pk_fma_f32 v[118:119], v[178:179], v[162:163], v[126:127] op_sel_hi:[1,0,1]
	v_pk_mul_f32 v[116:117], v[230:231], v[116:117] op_sel_hi:[1,0]
	v_mov_b32_e32 v125, v123
	v_pk_add_f32 v[114:115], v[114:115], v[120:121]
	v_pk_fma_f32 v[120:121], v[178:179], v[162:163], v[126:127] neg_lo:[0,0,1] neg_hi:[0,0,1]
	v_mov_b32_e32 v121, v119
	v_pk_fma_f32 v[118:119], v[180:181], v[164:165], v[116:117] op_sel_hi:[1,0,1]
	s_wait_loadcnt_dscnt 0x100
	v_pk_mul_f32 v[122:123], v[222:223], v[218:219] op_sel:[1,1] op_sel_hi:[0,1]
	v_pk_add_f32 v[114:115], v[114:115], v[124:125]
	v_pk_fma_f32 v[116:117], v[180:181], v[164:165], v[116:117] neg_lo:[0,0,1] neg_hi:[0,0,1]
	v_mov_b32_e32 v117, v119
	s_delay_alu instid0(VALU_DEP_4) | instskip(NEXT) | instid1(VALU_DEP_4)
	v_pk_fma_f32 v[118:119], v[222:223], v[218:219], v[122:123] op_sel_hi:[1,0,1]
	v_pk_add_f32 v[114:115], v[114:115], v[120:121]
	v_pk_fma_f32 v[120:121], v[222:223], v[218:219], v[122:123] neg_lo:[0,0,1] neg_hi:[0,0,1]
	s_delay_alu instid0(VALU_DEP_3) | instskip(NEXT) | instid1(VALU_DEP_3)
	v_mov_b32_e32 v121, v119
	v_pk_add_f32 v[114:115], v[114:115], v[116:117]
	s_delay_alu instid0(VALU_DEP_1) | instskip(SKIP_1) | instid1(VALU_DEP_1)
	v_pk_add_f32 v[114:115], v[114:115], v[120:121]
	s_wait_loadcnt 0x0
	v_pk_add_f32 v[114:115], v[220:221], v[114:115] neg_lo:[0,1] neg_hi:[0,1]
	scratch_store_b64 off, v[114:115], off offset:224
	s_wait_xcnt 0x0
	v_cmpx_lt_u32_e32 27, v0
	s_cbranch_execz .LBB119_295
; %bb.294:
	scratch_load_b64 v[114:115], off, off offset:216
	v_mov_b64_e32 v[116:117], 0
	scratch_store_b64 off, v[116:117], off offset:216
	s_wait_loadcnt 0x0
	ds_store_b64 v1, v[114:115]
.LBB119_295:
	s_wait_xcnt 0x0
	s_or_b32 exec_lo, exec_lo, s0
	s_wait_storecnt_dscnt 0x0
	s_barrier_signal -1
	s_barrier_wait -1
	s_clause 0xe
	scratch_load_b128 v[114:117], off, off offset:224
	scratch_load_b128 v[118:121], off, off offset:240
	;; [unrolled: 1-line block ×14, first 2 shown]
	scratch_load_b64 v[226:227], off, off offset:216
	ds_load_b128 v[170:173], v7 offset:832
	ds_load_b128 v[174:177], v7 offset:848
	;; [unrolled: 1-line block ×14, first 2 shown]
	s_mov_b32 s0, exec_lo
	s_wait_dscnt 0xd
	v_dual_mov_b32 v228, v173 :: v_dual_mov_b32 v229, v172
	s_wait_dscnt 0xc
	v_dual_mov_b32 v230, v177 :: v_dual_mov_b32 v231, v176
	;; [unrolled: 2-line block ×4, first 2 shown]
	s_wait_loadcnt_dscnt 0xe09
	v_dual_mul_f32 v7, v186, v115 :: v_dual_mul_f32 v9, v188, v117
	v_dual_mul_f32 v43, v187, v115 :: v_dual_mul_f32 v45, v189, v117
	s_wait_loadcnt_dscnt 0xd08
	v_dual_mul_f32 v11, v190, v119 :: v_dual_mul_f32 v13, v192, v121
	s_delay_alu instid0(VALU_DEP_3) | instskip(SKIP_3) | instid1(VALU_DEP_3)
	v_dual_fmac_f32 v7, v187, v114 :: v_dual_fmac_f32 v9, v189, v116
	s_wait_loadcnt_dscnt 0xb06
	v_dual_fma_f32 v43, v186, v114, -v43 :: v_dual_mul_f32 v55, v199, v127
	v_dual_mul_f32 v47, v191, v119 :: v_dual_mul_f32 v49, v193, v121
	v_dual_fma_f32 v45, v188, v116, -v45 :: v_dual_add_f32 v7, 0, v7
	s_delay_alu instid0(VALU_DEP_3) | instskip(SKIP_1) | instid1(VALU_DEP_3)
	v_dual_add_f32 v43, 0, v43 :: v_dual_mul_f32 v57, v201, v129
	v_dual_fmac_f32 v11, v191, v118 :: v_dual_fmac_f32 v13, v193, v120
	v_dual_fma_f32 v47, v190, v118, -v47 :: v_dual_add_f32 v7, v7, v9
	s_delay_alu instid0(VALU_DEP_3) | instskip(SKIP_2) | instid1(VALU_DEP_4)
	v_dual_add_f32 v9, v43, v45 :: v_dual_fma_f32 v45, v192, v120, -v49
	v_dual_mul_f32 v15, v194, v123 :: v_dual_mul_f32 v17, v196, v125
	v_dual_mul_f32 v51, v195, v123 :: v_dual_mul_f32 v53, v197, v125
	v_add_f32_e32 v7, v7, v11
	s_delay_alu instid0(VALU_DEP_3) | instskip(NEXT) | instid1(VALU_DEP_3)
	v_dual_add_f32 v9, v9, v47 :: v_dual_fmac_f32 v15, v195, v122
	v_fma_f32 v47, v194, v122, -v51
	v_dual_mul_f32 v19, v198, v127 :: v_dual_mul_f32 v21, v200, v129
	s_delay_alu instid0(VALU_DEP_4) | instskip(SKIP_2) | instid1(VALU_DEP_2)
	v_dual_add_f32 v7, v7, v13 :: v_dual_fmac_f32 v17, v197, v124
	s_wait_loadcnt_dscnt 0x904
	v_dual_add_f32 v9, v9, v45 :: v_dual_mul_f32 v13, v207, v135
	v_dual_fma_f32 v45, v196, v124, -v53 :: v_dual_add_f32 v7, v7, v15
	v_mul_f32_e32 v15, v209, v137
	s_delay_alu instid0(VALU_DEP_3) | instskip(NEXT) | instid1(VALU_DEP_3)
	v_dual_add_f32 v9, v9, v47 :: v_dual_fmac_f32 v19, v199, v126
	v_dual_fma_f32 v47, v198, v126, -v55 :: v_dual_add_f32 v7, v7, v17
	v_fmac_f32_e32 v21, v201, v128
	s_wait_loadcnt_dscnt 0x803
	s_delay_alu instid0(VALU_DEP_3) | instskip(SKIP_3) | instid1(VALU_DEP_3)
	v_dual_add_f32 v9, v9, v45 :: v_dual_mul_f32 v17, v211, v139
	v_dual_mul_f32 v23, v202, v131 :: v_dual_mul_f32 v25, v204, v133
	v_dual_mul_f32 v43, v203, v131 :: v_dual_mul_f32 v11, v205, v133
	v_dual_fma_f32 v45, v200, v128, -v57 :: v_dual_add_f32 v7, v7, v19
	v_dual_add_f32 v9, v9, v47 :: v_dual_fmac_f32 v23, v203, v130
	s_delay_alu instid0(VALU_DEP_3) | instskip(NEXT) | instid1(VALU_DEP_3)
	v_dual_mul_f32 v19, v213, v141 :: v_dual_fma_f32 v43, v202, v130, -v43
	v_dual_add_f32 v7, v7, v21 :: v_dual_fmac_f32 v25, v205, v132
	s_wait_loadcnt_dscnt 0x702
	s_delay_alu instid0(VALU_DEP_3) | instskip(SKIP_1) | instid1(VALU_DEP_3)
	v_dual_add_f32 v9, v9, v45 :: v_dual_mul_f32 v21, v215, v143
	v_dual_mul_f32 v27, v206, v135 :: v_dual_mul_f32 v29, v208, v137
	v_dual_fma_f32 v11, v204, v132, -v11 :: v_dual_add_f32 v7, v7, v23
	s_delay_alu instid0(VALU_DEP_2) | instskip(SKIP_1) | instid1(VALU_DEP_2)
	v_dual_add_f32 v9, v9, v43 :: v_dual_fmac_f32 v27, v207, v134
	v_dual_mul_f32 v23, v217, v145 :: v_dual_fma_f32 v13, v206, v134, -v13
	v_dual_add_f32 v7, v7, v25 :: v_dual_add_f32 v9, v9, v11
	v_dual_mul_f32 v31, v210, v139 :: v_dual_mul_f32 v33, v212, v141
	s_wait_loadcnt_dscnt 0x601
	v_dual_mul_f32 v11, v219, v147 :: v_dual_fmac_f32 v29, v209, v136
	s_delay_alu instid0(VALU_DEP_3) | instskip(NEXT) | instid1(VALU_DEP_3)
	v_dual_fma_f32 v15, v208, v136, -v15 :: v_dual_add_f32 v7, v7, v27
	v_dual_add_f32 v9, v9, v13 :: v_dual_fmac_f32 v31, v211, v138
	v_dual_mul_f32 v13, v221, v149 :: v_dual_fma_f32 v17, v210, v138, -v17
	s_delay_alu instid0(VALU_DEP_2) | instskip(SKIP_3) | instid1(VALU_DEP_3)
	v_dual_add_f32 v7, v7, v29 :: v_dual_add_f32 v9, v9, v15
	v_dual_mul_f32 v35, v214, v143 :: v_dual_mul_f32 v37, v216, v145
	s_wait_loadcnt_dscnt 0x500
	v_dual_mul_f32 v15, v223, v151 :: v_dual_fmac_f32 v33, v213, v140
	v_dual_fma_f32 v19, v212, v140, -v19 :: v_dual_add_f32 v7, v7, v31
	s_delay_alu instid0(VALU_DEP_3) | instskip(SKIP_1) | instid1(VALU_DEP_2)
	v_dual_add_f32 v9, v9, v17 :: v_dual_fmac_f32 v35, v215, v142
	v_dual_mul_f32 v17, v225, v153 :: v_dual_fma_f32 v21, v214, v142, -v21
	v_dual_add_f32 v7, v7, v33 :: v_dual_add_f32 v9, v9, v19
	v_dual_mul_f32 v39, v218, v147 :: v_dual_mul_f32 v41, v220, v149
	v_dual_fmac_f32 v37, v217, v144 :: v_dual_fma_f32 v19, v216, v144, -v23
	s_delay_alu instid0(VALU_DEP_3) | instskip(SKIP_1) | instid1(VALU_DEP_3)
	v_dual_add_f32 v7, v7, v35 :: v_dual_add_f32 v9, v9, v21
	s_wait_loadcnt 0x4
	v_dual_mov_b32 v116, v157 :: v_dual_fmac_f32 v39, v219, v146
	s_delay_alu instid0(VALU_DEP_2) | instskip(NEXT) | instid1(VALU_DEP_3)
	v_dual_fma_f32 v11, v218, v146, -v11 :: v_dual_add_f32 v7, v7, v37
	v_dual_add_f32 v9, v9, v19 :: v_dual_fma_f32 v13, v220, v148, -v13
	v_dual_mul_f32 v237, v222, v151 :: v_dual_mul_f32 v239, v224, v153
	s_delay_alu instid0(VALU_DEP_3) | instskip(NEXT) | instid1(VALU_DEP_2)
	v_dual_fmac_f32 v41, v221, v148 :: v_dual_add_f32 v7, v7, v39
	v_dual_add_f32 v9, v9, v11 :: v_dual_fmac_f32 v237, v223, v150
	v_pk_mul_f32 v[114:115], v[170:171], v[154:155] op_sel:[1,1] op_sel_hi:[0,1]
	s_wait_loadcnt 0x3
	v_dual_mov_b32 v120, v161 :: v_dual_fma_f32 v236, v222, v150, -v15
	v_dual_add_f32 v123, v7, v41 :: v_dual_fmac_f32 v239, v225, v152
	v_dual_add_f32 v122, v9, v13 :: v_dual_fma_f32 v238, v224, v152, -v17
	v_pk_fma_f32 v[124:125], v[170:171], v[154:155], v[114:115] op_sel_hi:[1,0,1]
	v_pk_mul_f32 v[116:117], v[228:229], v[116:117] op_sel_hi:[1,0]
	v_pk_fma_f32 v[114:115], v[170:171], v[154:155], v[114:115] neg_lo:[0,0,1] neg_hi:[0,0,1]
	s_delay_alu instid0(VALU_DEP_4)
	v_pk_add_f32 v[122:123], v[122:123], v[236:237]
	v_pk_mul_f32 v[118:119], v[174:175], v[158:159] op_sel:[1,1] op_sel_hi:[0,1]
	v_mov_b32_e32 v115, v125
	v_pk_fma_f32 v[124:125], v[172:173], v[156:157], v[116:117] op_sel_hi:[1,0,1]
	v_pk_fma_f32 v[116:117], v[172:173], v[156:157], v[116:117] neg_lo:[0,0,1] neg_hi:[0,0,1]
	v_pk_add_f32 v[122:123], v[122:123], v[238:239]
	v_pk_fma_f32 v[128:129], v[174:175], v[158:159], v[118:119] op_sel_hi:[1,0,1]
	v_pk_mul_f32 v[120:121], v[230:231], v[120:121] op_sel_hi:[1,0]
	v_mov_b32_e32 v117, v125
	s_wait_loadcnt 0x2
	v_pk_mul_f32 v[126:127], v[178:179], v[162:163] op_sel:[1,1] op_sel_hi:[0,1]
	v_pk_add_f32 v[114:115], v[122:123], v[114:115]
	v_mov_b32_e32 v122, v165
	v_pk_fma_f32 v[118:119], v[174:175], v[158:159], v[118:119] neg_lo:[0,0,1] neg_hi:[0,0,1]
	v_mov_b32_e32 v119, v129
	v_pk_fma_f32 v[124:125], v[176:177], v[160:161], v[120:121] op_sel_hi:[1,0,1]
	v_pk_add_f32 v[114:115], v[114:115], v[116:117]
	v_pk_fma_f32 v[116:117], v[178:179], v[162:163], v[126:127] op_sel_hi:[1,0,1]
	v_pk_mul_f32 v[122:123], v[232:233], v[122:123] op_sel_hi:[1,0]
	v_pk_fma_f32 v[120:121], v[176:177], v[160:161], v[120:121] neg_lo:[0,0,1] neg_hi:[0,0,1]
	v_mov_b32_e32 v121, v125
	v_pk_add_f32 v[114:115], v[114:115], v[118:119]
	v_pk_fma_f32 v[124:125], v[178:179], v[162:163], v[126:127] neg_lo:[0,0,1] neg_hi:[0,0,1]
	v_mov_b32_e32 v125, v117
	v_pk_fma_f32 v[116:117], v[180:181], v[164:165], v[122:123] op_sel_hi:[1,0,1]
	s_wait_loadcnt 0x1
	v_pk_mul_f32 v[118:119], v[182:183], v[166:167] op_sel:[1,1] op_sel_hi:[0,1]
	v_pk_add_f32 v[114:115], v[114:115], v[120:121]
	v_mov_b32_e32 v116, v169
	v_pk_fma_f32 v[122:123], v[180:181], v[164:165], v[122:123] neg_lo:[0,0,1] neg_hi:[0,0,1]
	v_mov_b32_e32 v123, v117
	v_pk_fma_f32 v[120:121], v[182:183], v[166:167], v[118:119] op_sel_hi:[1,0,1]
	v_pk_add_f32 v[114:115], v[114:115], v[124:125]
	v_pk_mul_f32 v[116:117], v[234:235], v[116:117] op_sel_hi:[1,0]
	v_pk_fma_f32 v[118:119], v[182:183], v[166:167], v[118:119] neg_lo:[0,0,1] neg_hi:[0,0,1]
	s_delay_alu instid0(VALU_DEP_4) | instskip(NEXT) | instid1(VALU_DEP_4)
	v_mov_b32_e32 v119, v121
	v_pk_add_f32 v[114:115], v[114:115], v[122:123]
	s_delay_alu instid0(VALU_DEP_4) | instskip(SKIP_1) | instid1(VALU_DEP_2)
	v_pk_fma_f32 v[120:121], v[184:185], v[168:169], v[116:117] op_sel_hi:[1,0,1]
	v_pk_fma_f32 v[116:117], v[184:185], v[168:169], v[116:117] neg_lo:[0,0,1] neg_hi:[0,0,1]
	v_mov_b32_e32 v117, v121
	s_delay_alu instid0(VALU_DEP_4) | instskip(NEXT) | instid1(VALU_DEP_1)
	v_pk_add_f32 v[114:115], v[114:115], v[118:119]
	v_pk_add_f32 v[114:115], v[114:115], v[116:117]
	s_wait_loadcnt 0x0
	s_delay_alu instid0(VALU_DEP_1)
	v_pk_add_f32 v[114:115], v[226:227], v[114:115] neg_lo:[0,1] neg_hi:[0,1]
	scratch_store_b64 off, v[114:115], off offset:216
	s_wait_xcnt 0x0
	v_cmpx_lt_u32_e32 26, v0
	s_cbranch_execz .LBB119_297
; %bb.296:
	scratch_load_b64 v[114:115], off, off offset:208
	v_mov_b64_e32 v[116:117], 0
	scratch_store_b64 off, v[116:117], off offset:208
	s_wait_loadcnt 0x0
	ds_store_b64 v1, v[114:115]
.LBB119_297:
	s_wait_xcnt 0x0
	s_or_b32 exec_lo, exec_lo, s0
	s_wait_storecnt_dscnt 0x0
	s_barrier_signal -1
	s_barrier_wait -1
	s_clause 0xf
	scratch_load_b128 v[114:117], off, off offset:216
	scratch_load_b128 v[118:121], off, off offset:232
	;; [unrolled: 1-line block ×14, first 2 shown]
	scratch_load_b64 v[226:227], off, off offset:440
	scratch_load_b64 v[228:229], off, off offset:208
	v_mov_b32_e32 v7, 0
	ds_load_2addr_b64 v[170:173], v7 offset0:103 offset1:104
	ds_load_2addr_b64 v[174:177], v7 offset0:105 offset1:106
	ds_load_2addr_b64 v[178:181], v7 offset0:107 offset1:108
	ds_load_2addr_b64 v[182:185], v7 offset0:109 offset1:110
	ds_load_2addr_b64 v[186:189], v7 offset0:83 offset1:84
	ds_load_2addr_b64 v[190:193], v7 offset0:85 offset1:86
	ds_load_2addr_b64 v[194:197], v7 offset0:87 offset1:88
	ds_load_2addr_b64 v[198:201], v7 offset0:89 offset1:90
	ds_load_2addr_b64 v[202:205], v7 offset0:91 offset1:92
	ds_load_2addr_b64 v[206:209], v7 offset0:93 offset1:94
	ds_load_2addr_b64 v[210:213], v7 offset0:95 offset1:96
	ds_load_2addr_b64 v[214:217], v7 offset0:97 offset1:98
	ds_load_2addr_b64 v[218:221], v7 offset0:99 offset1:100
	ds_load_2addr_b64 v[222:225], v7 offset0:101 offset1:102
	ds_load_b64 v[230:231], v7 offset:888
	s_mov_b32 s0, exec_lo
	s_wait_dscnt 0xe
	v_dual_mov_b32 v232, v173 :: v_dual_mov_b32 v233, v172
	s_wait_dscnt 0xb
	v_dual_mov_b32 v234, v177 :: v_dual_mov_b32 v239, v184
	v_dual_mov_b32 v235, v176 :: v_dual_mov_b32 v236, v181
	;; [unrolled: 1-line block ×3, first 2 shown]
	s_wait_loadcnt_dscnt 0xf0a
	v_dual_mul_f32 v9, v186, v115 :: v_dual_mul_f32 v47, v187, v115
	v_dual_mul_f32 v49, v189, v117 :: v_dual_mul_f32 v11, v188, v117
	s_wait_loadcnt_dscnt 0xe09
	v_mul_f32_e32 v13, v190, v119
	s_wait_loadcnt_dscnt 0xc07
	v_dual_mul_f32 v59, v199, v127 :: v_dual_fma_f32 v47, v186, v114, -v47
	v_dual_fmac_f32 v9, v187, v114 :: v_dual_mul_f32 v61, v201, v129
	v_dual_mul_f32 v51, v191, v119 :: v_dual_mul_f32 v53, v193, v121
	v_dual_fmac_f32 v11, v189, v116 :: v_dual_fma_f32 v49, v188, v116, -v49
	s_delay_alu instid0(VALU_DEP_3) | instskip(SKIP_3) | instid1(VALU_DEP_3)
	v_dual_add_f32 v9, 0, v9 :: v_dual_add_f32 v47, 0, v47
	v_dual_mul_f32 v15, v192, v121 :: v_dual_mul_f32 v17, v194, v123
	s_wait_loadcnt_dscnt 0xb06
	v_dual_mul_f32 v63, v203, v131 :: v_dual_fma_f32 v51, v190, v118, -v51
	v_dual_fmac_f32 v13, v191, v118 :: v_dual_add_f32 v9, v9, v11
	s_delay_alu instid0(VALU_DEP_3) | instskip(SKIP_2) | instid1(VALU_DEP_3)
	v_dual_add_f32 v11, v47, v49 :: v_dual_fmac_f32 v15, v193, v120
	v_dual_mul_f32 v55, v195, v123 :: v_dual_mul_f32 v57, v197, v125
	v_dual_mul_f32 v47, v205, v133 :: v_dual_fma_f32 v49, v192, v120, -v53
	v_dual_add_f32 v9, v9, v13 :: v_dual_add_f32 v11, v11, v51
	v_dual_mul_f32 v19, v196, v125 :: v_dual_mul_f32 v21, v198, v127
	s_wait_loadcnt_dscnt 0xa05
	v_dual_mul_f32 v13, v207, v135 :: v_dual_fma_f32 v51, v194, v122, -v55
	s_delay_alu instid0(VALU_DEP_3) | instskip(NEXT) | instid1(VALU_DEP_3)
	v_dual_fmac_f32 v17, v195, v122 :: v_dual_add_f32 v9, v9, v15
	v_dual_add_f32 v11, v11, v49 :: v_dual_fmac_f32 v19, v197, v124
	v_dual_mul_f32 v15, v209, v137 :: v_dual_fma_f32 v49, v196, v124, -v57
	s_delay_alu instid0(VALU_DEP_2) | instskip(SKIP_3) | instid1(VALU_DEP_3)
	v_dual_add_f32 v9, v9, v17 :: v_dual_add_f32 v11, v11, v51
	v_dual_mul_f32 v23, v200, v129 :: v_dual_mul_f32 v25, v202, v131
	s_wait_loadcnt_dscnt 0x904
	v_dual_mul_f32 v17, v211, v139 :: v_dual_fma_f32 v51, v198, v126, -v59
	v_dual_fmac_f32 v21, v199, v126 :: v_dual_add_f32 v9, v9, v19
	s_delay_alu instid0(VALU_DEP_3) | instskip(SKIP_1) | instid1(VALU_DEP_2)
	v_dual_add_f32 v11, v11, v49 :: v_dual_fmac_f32 v23, v201, v128
	v_dual_mul_f32 v19, v213, v141 :: v_dual_fma_f32 v49, v200, v128, -v61
	v_dual_add_f32 v9, v9, v21 :: v_dual_add_f32 v11, v11, v51
	v_dual_mul_f32 v27, v204, v133 :: v_dual_mul_f32 v29, v206, v135
	s_wait_loadcnt_dscnt 0x803
	v_dual_mul_f32 v21, v215, v143 :: v_dual_fma_f32 v51, v202, v130, -v63
	s_delay_alu instid0(VALU_DEP_3) | instskip(NEXT) | instid1(VALU_DEP_3)
	v_dual_fmac_f32 v25, v203, v130 :: v_dual_add_f32 v9, v9, v23
	v_dual_add_f32 v11, v11, v49 :: v_dual_fmac_f32 v27, v205, v132
	v_dual_mul_f32 v23, v217, v145 :: v_dual_fma_f32 v47, v204, v132, -v47
	s_delay_alu instid0(VALU_DEP_2) | instskip(SKIP_3) | instid1(VALU_DEP_3)
	v_dual_add_f32 v9, v9, v25 :: v_dual_add_f32 v11, v11, v51
	v_dual_mul_f32 v31, v208, v137 :: v_dual_mul_f32 v33, v210, v139
	s_wait_loadcnt_dscnt 0x702
	v_dual_mul_f32 v25, v219, v147 :: v_dual_fma_f32 v13, v206, v134, -v13
	v_dual_fmac_f32 v29, v207, v134 :: v_dual_add_f32 v9, v9, v27
	v_dual_add_f32 v11, v11, v47 :: v_dual_mul_f32 v27, v221, v149
	v_fmac_f32_e32 v31, v209, v136
	s_delay_alu instid0(VALU_DEP_3) | instskip(NEXT) | instid1(VALU_DEP_3)
	v_dual_fma_f32 v15, v208, v136, -v15 :: v_dual_add_f32 v9, v9, v29
	v_add_f32_e32 v11, v11, v13
	v_dual_mul_f32 v35, v212, v141 :: v_dual_mul_f32 v37, v214, v143
	s_wait_loadcnt_dscnt 0x601
	v_dual_mul_f32 v13, v223, v151 :: v_dual_fma_f32 v17, v210, v138, -v17
	v_dual_fmac_f32 v33, v211, v138 :: v_dual_add_f32 v9, v9, v31
	v_dual_add_f32 v11, v11, v15 :: v_dual_mul_f32 v15, v225, v153
	v_fmac_f32_e32 v35, v213, v140
	s_delay_alu instid0(VALU_DEP_3) | instskip(NEXT) | instid1(VALU_DEP_3)
	v_dual_fma_f32 v19, v212, v140, -v19 :: v_dual_add_f32 v9, v9, v33
	v_add_f32_e32 v11, v11, v17
	v_dual_mul_f32 v39, v216, v145 :: v_dual_mul_f32 v41, v218, v147
	s_wait_loadcnt 0x5
	v_dual_mul_f32 v17, v171, v155 :: v_dual_fma_f32 v21, v214, v142, -v21
	v_dual_fmac_f32 v37, v215, v142 :: v_dual_add_f32 v9, v9, v35
	v_dual_add_f32 v11, v11, v19 :: v_dual_mov_b32 v114, v157
	v_fmac_f32_e32 v39, v217, v144
	s_delay_alu instid0(VALU_DEP_3) | instskip(NEXT) | instid1(VALU_DEP_3)
	v_dual_fma_f32 v19, v216, v144, -v23 :: v_dual_add_f32 v9, v9, v37
	v_add_f32_e32 v11, v11, v21
	v_dual_mul_f32 v43, v220, v149 :: v_dual_mul_f32 v45, v222, v151
	s_delay_alu instid0(VALU_DEP_3) | instskip(NEXT) | instid1(VALU_DEP_3)
	v_dual_fmac_f32 v41, v219, v146 :: v_dual_add_f32 v9, v9, v39
	v_dual_fma_f32 v21, v218, v146, -v25 :: v_dual_add_f32 v11, v11, v19
	s_wait_loadcnt 0x4
	v_dual_mov_b32 v118, v161 :: v_dual_fma_f32 v19, v220, v148, -v27
	v_fmac_f32_e32 v43, v221, v148
	v_dual_add_f32 v9, v9, v41 :: v_dual_fmac_f32 v45, v223, v150
	v_add_f32_e32 v11, v11, v21
	v_dual_mul_f32 v241, v224, v153 :: v_dual_mul_f32 v243, v170, v155
	s_delay_alu instid0(VALU_DEP_3) | instskip(NEXT) | instid1(VALU_DEP_2)
	v_dual_fma_f32 v13, v222, v150, -v13 :: v_dual_add_f32 v9, v9, v43
	v_dual_add_f32 v11, v11, v19 :: v_dual_fmac_f32 v241, v225, v152
	v_fma_f32 v240, v224, v152, -v15
	v_pk_mul_f32 v[114:115], v[232:233], v[114:115] op_sel_hi:[1,0]
	s_delay_alu instid0(VALU_DEP_4)
	v_add_f32_e32 v123, v9, v45
	s_wait_loadcnt 0x3
	v_dual_add_f32 v122, v11, v13 :: v_dual_mov_b32 v124, v165
	v_pk_mul_f32 v[116:117], v[174:175], v[158:159] op_sel:[1,1] op_sel_hi:[0,1]
	v_dual_fmac_f32 v243, v171, v154 :: v_dual_fma_f32 v242, v170, v154, -v17
	v_pk_fma_f32 v[126:127], v[172:173], v[156:157], v[114:115] op_sel_hi:[1,0,1]
	s_delay_alu instid0(VALU_DEP_4)
	v_pk_add_f32 v[122:123], v[122:123], v[240:241]
	v_pk_fma_f32 v[114:115], v[172:173], v[156:157], v[114:115] neg_lo:[0,0,1] neg_hi:[0,0,1]
	v_pk_fma_f32 v[128:129], v[174:175], v[158:159], v[116:117] op_sel_hi:[1,0,1]
	v_pk_mul_f32 v[118:119], v[234:235], v[118:119] op_sel_hi:[1,0]
	v_mov_b32_e32 v115, v127
	v_pk_add_f32 v[122:123], v[122:123], v[242:243]
	v_pk_fma_f32 v[116:117], v[174:175], v[158:159], v[116:117] neg_lo:[0,0,1] neg_hi:[0,0,1]
	v_pk_mul_f32 v[120:121], v[178:179], v[162:163] op_sel:[1,1] op_sel_hi:[0,1]
	v_mov_b32_e32 v117, v129
	v_pk_fma_f32 v[128:129], v[176:177], v[160:161], v[118:119] op_sel_hi:[1,0,1]
	v_pk_add_f32 v[114:115], v[122:123], v[114:115]
	v_pk_fma_f32 v[118:119], v[176:177], v[160:161], v[118:119] neg_lo:[0,0,1] neg_hi:[0,0,1]
	v_pk_fma_f32 v[122:123], v[178:179], v[162:163], v[120:121] op_sel_hi:[1,0,1]
	v_pk_mul_f32 v[124:125], v[236:237], v[124:125] op_sel_hi:[1,0]
	v_mov_b32_e32 v119, v129
	v_pk_add_f32 v[114:115], v[114:115], v[116:117]
	v_pk_fma_f32 v[120:121], v[178:179], v[162:163], v[120:121] neg_lo:[0,0,1] neg_hi:[0,0,1]
	s_wait_loadcnt 0x2
	v_pk_mul_f32 v[126:127], v[182:183], v[166:167] op_sel:[1,1] op_sel_hi:[0,1]
	v_dual_mov_b32 v116, v169 :: v_dual_mov_b32 v121, v123
	v_pk_fma_f32 v[122:123], v[180:181], v[164:165], v[124:125] op_sel_hi:[1,0,1]
	v_pk_add_f32 v[114:115], v[114:115], v[118:119]
	v_pk_fma_f32 v[124:125], v[180:181], v[164:165], v[124:125] neg_lo:[0,0,1] neg_hi:[0,0,1]
	v_pk_fma_f32 v[118:119], v[182:183], v[166:167], v[126:127] op_sel_hi:[1,0,1]
	v_pk_mul_f32 v[116:117], v[238:239], v[116:117] op_sel_hi:[1,0]
	v_mov_b32_e32 v125, v123
	v_pk_add_f32 v[114:115], v[114:115], v[120:121]
	v_pk_fma_f32 v[120:121], v[182:183], v[166:167], v[126:127] neg_lo:[0,0,1] neg_hi:[0,0,1]
	v_mov_b32_e32 v121, v119
	v_pk_fma_f32 v[118:119], v[184:185], v[168:169], v[116:117] op_sel_hi:[1,0,1]
	s_wait_loadcnt_dscnt 0x100
	v_pk_mul_f32 v[122:123], v[230:231], v[226:227] op_sel:[1,1] op_sel_hi:[0,1]
	v_pk_add_f32 v[114:115], v[114:115], v[124:125]
	v_pk_fma_f32 v[116:117], v[184:185], v[168:169], v[116:117] neg_lo:[0,0,1] neg_hi:[0,0,1]
	v_mov_b32_e32 v117, v119
	s_delay_alu instid0(VALU_DEP_4) | instskip(NEXT) | instid1(VALU_DEP_4)
	v_pk_fma_f32 v[118:119], v[230:231], v[226:227], v[122:123] op_sel_hi:[1,0,1]
	v_pk_add_f32 v[114:115], v[114:115], v[120:121]
	v_pk_fma_f32 v[120:121], v[230:231], v[226:227], v[122:123] neg_lo:[0,0,1] neg_hi:[0,0,1]
	s_delay_alu instid0(VALU_DEP_3) | instskip(NEXT) | instid1(VALU_DEP_3)
	v_mov_b32_e32 v121, v119
	v_pk_add_f32 v[114:115], v[114:115], v[116:117]
	s_delay_alu instid0(VALU_DEP_1) | instskip(SKIP_1) | instid1(VALU_DEP_1)
	v_pk_add_f32 v[114:115], v[114:115], v[120:121]
	s_wait_loadcnt 0x0
	v_pk_add_f32 v[114:115], v[228:229], v[114:115] neg_lo:[0,1] neg_hi:[0,1]
	scratch_store_b64 off, v[114:115], off offset:208
	s_wait_xcnt 0x0
	v_cmpx_lt_u32_e32 25, v0
	s_cbranch_execz .LBB119_299
; %bb.298:
	scratch_load_b64 v[114:115], off, off offset:200
	v_mov_b64_e32 v[116:117], 0
	scratch_store_b64 off, v[116:117], off offset:200
	s_wait_loadcnt 0x0
	ds_store_b64 v1, v[114:115]
.LBB119_299:
	s_wait_xcnt 0x0
	s_or_b32 exec_lo, exec_lo, s0
	s_wait_storecnt_dscnt 0x0
	s_barrier_signal -1
	s_barrier_wait -1
	s_clause 0xf
	scratch_load_b128 v[114:117], off, off offset:208
	scratch_load_b128 v[118:121], off, off offset:224
	;; [unrolled: 1-line block ×15, first 2 shown]
	scratch_load_b64 v[234:235], off, off offset:200
	ds_load_b128 v[174:177], v7 offset:832
	ds_load_b128 v[178:181], v7 offset:848
	ds_load_b128 v[182:185], v7 offset:864
	ds_load_b128 v[186:189], v7 offset:880
	ds_load_b128 v[190:193], v7 offset:656
	ds_load_b128 v[194:197], v7 offset:672
	ds_load_b128 v[198:201], v7 offset:816
	ds_load_b128 v[202:205], v7 offset:688
	ds_load_b128 v[206:209], v7 offset:704
	ds_load_b128 v[210:213], v7 offset:720
	ds_load_b128 v[214:217], v7 offset:736
	ds_load_b128 v[218:221], v7 offset:752
	ds_load_b128 v[222:225], v7 offset:768
	ds_load_b128 v[226:229], v7 offset:784
	ds_load_b128 v[230:233], v7 offset:800
	s_mov_b32 s0, exec_lo
	s_wait_dscnt 0xe
	v_dual_mov_b32 v236, v177 :: v_dual_mov_b32 v237, v176
	s_wait_dscnt 0xd
	v_dual_mov_b32 v238, v181 :: v_dual_mov_b32 v239, v180
	;; [unrolled: 2-line block ×4, first 2 shown]
	s_wait_loadcnt_dscnt 0xf0a
	v_dual_mul_f32 v7, v190, v115 :: v_dual_mul_f32 v9, v192, v117
	v_dual_mul_f32 v47, v191, v115 :: v_dual_mul_f32 v49, v193, v117
	s_wait_loadcnt_dscnt 0xe09
	v_dual_mul_f32 v11, v194, v119 :: v_dual_mul_f32 v13, v196, v121
	s_delay_alu instid0(VALU_DEP_3) | instskip(SKIP_3) | instid1(VALU_DEP_3)
	v_dual_fmac_f32 v7, v191, v114 :: v_dual_fmac_f32 v9, v193, v116
	s_wait_loadcnt_dscnt 0xc06
	v_dual_fma_f32 v47, v190, v114, -v47 :: v_dual_mul_f32 v59, v207, v127
	v_dual_mul_f32 v51, v195, v119 :: v_dual_mul_f32 v53, v197, v121
	v_dual_fma_f32 v49, v192, v116, -v49 :: v_dual_add_f32 v7, 0, v7
	s_delay_alu instid0(VALU_DEP_3) | instskip(SKIP_1) | instid1(VALU_DEP_3)
	v_dual_add_f32 v47, 0, v47 :: v_dual_mul_f32 v61, v209, v129
	v_dual_fmac_f32 v11, v195, v118 :: v_dual_fmac_f32 v13, v197, v120
	v_dual_fma_f32 v51, v194, v118, -v51 :: v_dual_add_f32 v7, v7, v9
	s_delay_alu instid0(VALU_DEP_3) | instskip(SKIP_2) | instid1(VALU_DEP_4)
	v_dual_add_f32 v9, v47, v49 :: v_dual_fma_f32 v49, v196, v120, -v53
	v_dual_mul_f32 v15, v202, v123 :: v_dual_mul_f32 v17, v204, v125
	v_dual_mul_f32 v55, v203, v123 :: v_dual_mul_f32 v57, v205, v125
	v_add_f32_e32 v7, v7, v11
	s_delay_alu instid0(VALU_DEP_3) | instskip(NEXT) | instid1(VALU_DEP_3)
	v_dual_add_f32 v9, v9, v51 :: v_dual_fmac_f32 v15, v203, v122
	v_fma_f32 v51, v202, v122, -v55
	v_dual_mul_f32 v19, v206, v127 :: v_dual_mul_f32 v21, v208, v129
	s_delay_alu instid0(VALU_DEP_4) | instskip(SKIP_2) | instid1(VALU_DEP_2)
	v_dual_add_f32 v7, v7, v13 :: v_dual_fmac_f32 v17, v205, v124
	s_wait_loadcnt_dscnt 0xa04
	v_dual_add_f32 v9, v9, v49 :: v_dual_mul_f32 v13, v215, v135
	v_dual_fma_f32 v49, v204, v124, -v57 :: v_dual_add_f32 v7, v7, v15
	v_mul_f32_e32 v15, v217, v137
	s_delay_alu instid0(VALU_DEP_3) | instskip(NEXT) | instid1(VALU_DEP_3)
	v_dual_add_f32 v9, v9, v51 :: v_dual_fmac_f32 v19, v207, v126
	v_dual_fma_f32 v51, v206, v126, -v59 :: v_dual_add_f32 v7, v7, v17
	v_fmac_f32_e32 v21, v209, v128
	s_wait_loadcnt_dscnt 0x903
	s_delay_alu instid0(VALU_DEP_3) | instskip(SKIP_3) | instid1(VALU_DEP_3)
	v_dual_add_f32 v9, v9, v49 :: v_dual_mul_f32 v17, v219, v139
	v_dual_mul_f32 v23, v210, v131 :: v_dual_mul_f32 v25, v212, v133
	v_dual_mul_f32 v47, v211, v131 :: v_dual_mul_f32 v11, v213, v133
	v_dual_fma_f32 v49, v208, v128, -v61 :: v_dual_add_f32 v7, v7, v19
	v_dual_add_f32 v9, v9, v51 :: v_dual_fmac_f32 v23, v211, v130
	s_delay_alu instid0(VALU_DEP_3) | instskip(NEXT) | instid1(VALU_DEP_3)
	v_dual_mul_f32 v19, v221, v141 :: v_dual_fma_f32 v47, v210, v130, -v47
	v_dual_add_f32 v7, v7, v21 :: v_dual_fmac_f32 v25, v213, v132
	s_wait_loadcnt_dscnt 0x802
	s_delay_alu instid0(VALU_DEP_3) | instskip(SKIP_1) | instid1(VALU_DEP_3)
	v_dual_add_f32 v9, v9, v49 :: v_dual_mul_f32 v21, v223, v143
	v_dual_mul_f32 v27, v214, v135 :: v_dual_mul_f32 v29, v216, v137
	v_dual_fma_f32 v11, v212, v132, -v11 :: v_dual_add_f32 v7, v7, v23
	s_delay_alu instid0(VALU_DEP_2) | instskip(SKIP_1) | instid1(VALU_DEP_2)
	v_dual_add_f32 v9, v9, v47 :: v_dual_fmac_f32 v27, v215, v134
	v_dual_mul_f32 v23, v225, v145 :: v_dual_fma_f32 v13, v214, v134, -v13
	v_dual_add_f32 v7, v7, v25 :: v_dual_add_f32 v9, v9, v11
	v_dual_mul_f32 v31, v218, v139 :: v_dual_mul_f32 v33, v220, v141
	s_wait_loadcnt_dscnt 0x701
	v_dual_mul_f32 v11, v227, v147 :: v_dual_fmac_f32 v29, v217, v136
	s_delay_alu instid0(VALU_DEP_3) | instskip(NEXT) | instid1(VALU_DEP_3)
	v_dual_fma_f32 v15, v216, v136, -v15 :: v_dual_add_f32 v7, v7, v27
	v_dual_add_f32 v9, v9, v13 :: v_dual_fmac_f32 v31, v219, v138
	v_dual_mul_f32 v13, v229, v149 :: v_dual_fma_f32 v17, v218, v138, -v17
	s_delay_alu instid0(VALU_DEP_2) | instskip(SKIP_3) | instid1(VALU_DEP_3)
	v_dual_add_f32 v7, v7, v29 :: v_dual_add_f32 v9, v9, v15
	v_dual_mul_f32 v35, v222, v143 :: v_dual_mul_f32 v37, v224, v145
	s_wait_loadcnt_dscnt 0x600
	v_dual_mul_f32 v15, v231, v151 :: v_dual_fmac_f32 v33, v221, v140
	v_dual_fma_f32 v19, v220, v140, -v19 :: v_dual_add_f32 v7, v7, v31
	s_delay_alu instid0(VALU_DEP_3) | instskip(SKIP_1) | instid1(VALU_DEP_2)
	v_dual_add_f32 v9, v9, v17 :: v_dual_fmac_f32 v35, v223, v142
	v_dual_mul_f32 v17, v233, v153 :: v_dual_fma_f32 v21, v222, v142, -v21
	v_dual_add_f32 v7, v7, v33 :: v_dual_add_f32 v9, v9, v19
	v_dual_mul_f32 v39, v226, v147 :: v_dual_mul_f32 v41, v228, v149
	s_wait_loadcnt 0x5
	v_dual_mul_f32 v19, v199, v155 :: v_dual_fmac_f32 v37, v225, v144
	s_delay_alu instid0(VALU_DEP_3) | instskip(NEXT) | instid1(VALU_DEP_3)
	v_dual_fma_f32 v23, v224, v144, -v23 :: v_dual_add_f32 v7, v7, v35
	v_dual_add_f32 v9, v9, v21 :: v_dual_fmac_f32 v39, v227, v146
	v_dual_mul_f32 v21, v201, v157 :: v_dual_fma_f32 v11, v226, v146, -v11
	s_delay_alu instid0(VALU_DEP_2) | instskip(SKIP_1) | instid1(VALU_DEP_2)
	v_dual_add_f32 v7, v7, v37 :: v_dual_add_f32 v9, v9, v23
	v_dual_mul_f32 v43, v230, v151 :: v_dual_mul_f32 v45, v232, v153
	v_dual_fmac_f32 v41, v229, v148 :: v_dual_add_f32 v7, v7, v39
	s_delay_alu instid0(VALU_DEP_3) | instskip(SKIP_1) | instid1(VALU_DEP_3)
	v_dual_fma_f32 v13, v228, v148, -v13 :: v_dual_add_f32 v9, v9, v11
	s_wait_loadcnt 0x4
	v_dual_mov_b32 v116, v161 :: v_dual_fmac_f32 v43, v231, v150
	s_delay_alu instid0(VALU_DEP_3) | instskip(NEXT) | instid1(VALU_DEP_3)
	v_dual_fma_f32 v11, v230, v150, -v15 :: v_dual_add_f32 v7, v7, v41
	v_dual_add_f32 v9, v9, v13 :: v_dual_fma_f32 v13, v232, v152, -v17
	v_dual_mul_f32 v245, v198, v155 :: v_dual_mul_f32 v247, v200, v157
	s_delay_alu instid0(VALU_DEP_3) | instskip(NEXT) | instid1(VALU_DEP_2)
	v_dual_fmac_f32 v45, v233, v152 :: v_dual_add_f32 v7, v7, v43
	v_dual_add_f32 v9, v9, v11 :: v_dual_fmac_f32 v245, v199, v154
	v_pk_mul_f32 v[114:115], v[174:175], v[158:159] op_sel:[1,1] op_sel_hi:[0,1]
	s_wait_loadcnt 0x3
	v_dual_mov_b32 v120, v165 :: v_dual_fma_f32 v244, v198, v154, -v19
	v_dual_add_f32 v123, v7, v45 :: v_dual_fmac_f32 v247, v201, v156
	v_dual_add_f32 v122, v9, v13 :: v_dual_fma_f32 v246, v200, v156, -v21
	v_pk_fma_f32 v[124:125], v[174:175], v[158:159], v[114:115] op_sel_hi:[1,0,1]
	v_pk_mul_f32 v[116:117], v[236:237], v[116:117] op_sel_hi:[1,0]
	v_pk_fma_f32 v[114:115], v[174:175], v[158:159], v[114:115] neg_lo:[0,0,1] neg_hi:[0,0,1]
	s_delay_alu instid0(VALU_DEP_4)
	v_pk_add_f32 v[122:123], v[122:123], v[244:245]
	v_pk_mul_f32 v[118:119], v[178:179], v[162:163] op_sel:[1,1] op_sel_hi:[0,1]
	v_mov_b32_e32 v115, v125
	v_pk_fma_f32 v[124:125], v[176:177], v[160:161], v[116:117] op_sel_hi:[1,0,1]
	v_pk_fma_f32 v[116:117], v[176:177], v[160:161], v[116:117] neg_lo:[0,0,1] neg_hi:[0,0,1]
	v_pk_add_f32 v[122:123], v[122:123], v[246:247]
	v_pk_fma_f32 v[128:129], v[178:179], v[162:163], v[118:119] op_sel_hi:[1,0,1]
	v_pk_mul_f32 v[120:121], v[238:239], v[120:121] op_sel_hi:[1,0]
	v_mov_b32_e32 v117, v125
	s_wait_loadcnt 0x2
	v_pk_mul_f32 v[126:127], v[182:183], v[166:167] op_sel:[1,1] op_sel_hi:[0,1]
	v_pk_add_f32 v[114:115], v[122:123], v[114:115]
	v_mov_b32_e32 v122, v169
	v_pk_fma_f32 v[118:119], v[178:179], v[162:163], v[118:119] neg_lo:[0,0,1] neg_hi:[0,0,1]
	v_mov_b32_e32 v119, v129
	v_pk_fma_f32 v[124:125], v[180:181], v[164:165], v[120:121] op_sel_hi:[1,0,1]
	v_pk_add_f32 v[114:115], v[114:115], v[116:117]
	v_pk_fma_f32 v[116:117], v[182:183], v[166:167], v[126:127] op_sel_hi:[1,0,1]
	v_pk_mul_f32 v[122:123], v[240:241], v[122:123] op_sel_hi:[1,0]
	v_pk_fma_f32 v[120:121], v[180:181], v[164:165], v[120:121] neg_lo:[0,0,1] neg_hi:[0,0,1]
	v_mov_b32_e32 v121, v125
	v_pk_add_f32 v[114:115], v[114:115], v[118:119]
	v_pk_fma_f32 v[124:125], v[182:183], v[166:167], v[126:127] neg_lo:[0,0,1] neg_hi:[0,0,1]
	v_mov_b32_e32 v125, v117
	v_pk_fma_f32 v[116:117], v[184:185], v[168:169], v[122:123] op_sel_hi:[1,0,1]
	s_wait_loadcnt 0x1
	v_pk_mul_f32 v[118:119], v[186:187], v[170:171] op_sel:[1,1] op_sel_hi:[0,1]
	v_pk_add_f32 v[114:115], v[114:115], v[120:121]
	v_mov_b32_e32 v116, v173
	v_pk_fma_f32 v[122:123], v[184:185], v[168:169], v[122:123] neg_lo:[0,0,1] neg_hi:[0,0,1]
	v_mov_b32_e32 v123, v117
	v_pk_fma_f32 v[120:121], v[186:187], v[170:171], v[118:119] op_sel_hi:[1,0,1]
	v_pk_add_f32 v[114:115], v[114:115], v[124:125]
	v_pk_mul_f32 v[116:117], v[242:243], v[116:117] op_sel_hi:[1,0]
	v_pk_fma_f32 v[118:119], v[186:187], v[170:171], v[118:119] neg_lo:[0,0,1] neg_hi:[0,0,1]
	s_delay_alu instid0(VALU_DEP_4) | instskip(NEXT) | instid1(VALU_DEP_4)
	v_mov_b32_e32 v119, v121
	v_pk_add_f32 v[114:115], v[114:115], v[122:123]
	s_delay_alu instid0(VALU_DEP_4) | instskip(SKIP_1) | instid1(VALU_DEP_2)
	v_pk_fma_f32 v[120:121], v[188:189], v[172:173], v[116:117] op_sel_hi:[1,0,1]
	v_pk_fma_f32 v[116:117], v[188:189], v[172:173], v[116:117] neg_lo:[0,0,1] neg_hi:[0,0,1]
	v_mov_b32_e32 v117, v121
	s_delay_alu instid0(VALU_DEP_4) | instskip(NEXT) | instid1(VALU_DEP_1)
	v_pk_add_f32 v[114:115], v[114:115], v[118:119]
	v_pk_add_f32 v[114:115], v[114:115], v[116:117]
	s_wait_loadcnt 0x0
	s_delay_alu instid0(VALU_DEP_1)
	v_pk_add_f32 v[114:115], v[234:235], v[114:115] neg_lo:[0,1] neg_hi:[0,1]
	scratch_store_b64 off, v[114:115], off offset:200
	s_wait_xcnt 0x0
	v_cmpx_lt_u32_e32 24, v0
	s_cbranch_execz .LBB119_301
; %bb.300:
	scratch_load_b64 v[114:115], off, off offset:192
	v_mov_b64_e32 v[116:117], 0
	scratch_store_b64 off, v[116:117], off offset:192
	s_wait_loadcnt 0x0
	ds_store_b64 v1, v[114:115]
.LBB119_301:
	s_wait_xcnt 0x0
	s_or_b32 exec_lo, exec_lo, s0
	s_wait_storecnt_dscnt 0x0
	s_barrier_signal -1
	s_barrier_wait -1
	s_clause 0x10
	scratch_load_b128 v[114:117], off, off offset:200
	scratch_load_b128 v[118:121], off, off offset:216
	;; [unrolled: 1-line block ×15, first 2 shown]
	scratch_load_b64 v[234:235], off, off offset:440
	scratch_load_b64 v[236:237], off, off offset:192
	v_mov_b32_e32 v7, 0
	ds_load_2addr_b64 v[174:177], v7 offset0:103 offset1:104
	ds_load_2addr_b64 v[178:181], v7 offset0:105 offset1:106
	ds_load_2addr_b64 v[182:185], v7 offset0:107 offset1:108
	ds_load_2addr_b64 v[186:189], v7 offset0:109 offset1:110
	ds_load_2addr_b64 v[190:193], v7 offset0:81 offset1:82
	ds_load_2addr_b64 v[194:197], v7 offset0:101 offset1:102
	ds_load_2addr_b64 v[198:201], v7 offset0:83 offset1:84
	ds_load_2addr_b64 v[202:205], v7 offset0:85 offset1:86
	ds_load_2addr_b64 v[206:209], v7 offset0:87 offset1:88
	ds_load_2addr_b64 v[210:213], v7 offset0:89 offset1:90
	ds_load_2addr_b64 v[214:217], v7 offset0:91 offset1:92
	ds_load_2addr_b64 v[218:221], v7 offset0:93 offset1:94
	ds_load_2addr_b64 v[222:225], v7 offset0:95 offset1:96
	ds_load_2addr_b64 v[226:229], v7 offset0:97 offset1:98
	ds_load_2addr_b64 v[230:233], v7 offset0:99 offset1:100
	ds_load_b64 v[238:239], v7 offset:888
	s_mov_b32 s0, exec_lo
	s_wait_dscnt 0xf
	v_dual_mov_b32 v240, v177 :: v_dual_mov_b32 v241, v176
	s_wait_dscnt 0xc
	v_dual_mov_b32 v242, v181 :: v_dual_mov_b32 v247, v188
	v_dual_mov_b32 v243, v180 :: v_dual_mov_b32 v244, v185
	v_dual_mov_b32 v245, v184 :: v_dual_mov_b32 v246, v189
	s_wait_loadcnt_dscnt 0x100b
	v_dual_mul_f32 v9, v190, v115 :: v_dual_mul_f32 v51, v191, v115
	v_dual_mul_f32 v53, v193, v117 :: v_dual_mul_f32 v11, v192, v117
	s_wait_loadcnt_dscnt 0xf09
	v_mul_f32_e32 v13, v198, v119
	s_wait_loadcnt_dscnt 0xd07
	v_dual_mul_f32 v63, v207, v127 :: v_dual_fma_f32 v51, v190, v114, -v51
	v_dual_fmac_f32 v9, v191, v114 :: v_dual_mul_f32 v65, v209, v129
	v_dual_mul_f32 v55, v199, v119 :: v_dual_mul_f32 v57, v201, v121
	v_dual_fmac_f32 v11, v193, v116 :: v_dual_fma_f32 v53, v192, v116, -v53
	s_delay_alu instid0(VALU_DEP_3) | instskip(SKIP_3) | instid1(VALU_DEP_3)
	v_dual_add_f32 v9, 0, v9 :: v_dual_add_f32 v51, 0, v51
	v_dual_mul_f32 v15, v200, v121 :: v_dual_mul_f32 v17, v202, v123
	s_wait_loadcnt_dscnt 0xc06
	v_dual_mul_f32 v67, v211, v131 :: v_dual_fma_f32 v55, v198, v118, -v55
	v_dual_fmac_f32 v13, v199, v118 :: v_dual_add_f32 v9, v9, v11
	s_delay_alu instid0(VALU_DEP_3) | instskip(SKIP_2) | instid1(VALU_DEP_3)
	v_dual_add_f32 v11, v51, v53 :: v_dual_fmac_f32 v15, v201, v120
	v_dual_mul_f32 v59, v203, v123 :: v_dual_mul_f32 v61, v205, v125
	v_dual_mul_f32 v51, v213, v133 :: v_dual_fma_f32 v53, v200, v120, -v57
	v_dual_add_f32 v9, v9, v13 :: v_dual_add_f32 v11, v11, v55
	v_dual_mul_f32 v19, v204, v125 :: v_dual_mul_f32 v21, v206, v127
	s_wait_loadcnt_dscnt 0xb05
	v_dual_mul_f32 v13, v215, v135 :: v_dual_fma_f32 v55, v202, v122, -v59
	s_delay_alu instid0(VALU_DEP_3) | instskip(NEXT) | instid1(VALU_DEP_3)
	v_dual_fmac_f32 v17, v203, v122 :: v_dual_add_f32 v9, v9, v15
	v_dual_add_f32 v11, v11, v53 :: v_dual_fmac_f32 v19, v205, v124
	v_dual_mul_f32 v15, v217, v137 :: v_dual_fma_f32 v53, v204, v124, -v61
	s_delay_alu instid0(VALU_DEP_2) | instskip(SKIP_3) | instid1(VALU_DEP_3)
	v_dual_add_f32 v9, v9, v17 :: v_dual_add_f32 v11, v11, v55
	v_dual_mul_f32 v23, v208, v129 :: v_dual_mul_f32 v25, v210, v131
	s_wait_loadcnt_dscnt 0xa04
	v_dual_mul_f32 v17, v219, v139 :: v_dual_fma_f32 v55, v206, v126, -v63
	v_dual_fmac_f32 v21, v207, v126 :: v_dual_add_f32 v9, v9, v19
	s_delay_alu instid0(VALU_DEP_3) | instskip(SKIP_1) | instid1(VALU_DEP_2)
	v_dual_add_f32 v11, v11, v53 :: v_dual_fmac_f32 v23, v209, v128
	v_dual_mul_f32 v19, v221, v141 :: v_dual_fma_f32 v53, v208, v128, -v65
	v_dual_add_f32 v9, v9, v21 :: v_dual_add_f32 v11, v11, v55
	v_dual_mul_f32 v27, v212, v133 :: v_dual_mul_f32 v29, v214, v135
	s_wait_loadcnt_dscnt 0x903
	v_dual_mul_f32 v21, v223, v143 :: v_dual_fma_f32 v55, v210, v130, -v67
	s_delay_alu instid0(VALU_DEP_3) | instskip(NEXT) | instid1(VALU_DEP_3)
	v_dual_fmac_f32 v25, v211, v130 :: v_dual_add_f32 v9, v9, v23
	v_dual_add_f32 v11, v11, v53 :: v_dual_fmac_f32 v27, v213, v132
	v_dual_mul_f32 v23, v225, v145 :: v_dual_fma_f32 v51, v212, v132, -v51
	s_delay_alu instid0(VALU_DEP_2) | instskip(SKIP_3) | instid1(VALU_DEP_3)
	v_dual_add_f32 v9, v9, v25 :: v_dual_add_f32 v11, v11, v55
	v_dual_mul_f32 v31, v216, v137 :: v_dual_mul_f32 v33, v218, v139
	s_wait_loadcnt_dscnt 0x802
	v_dual_mul_f32 v25, v227, v147 :: v_dual_fma_f32 v13, v214, v134, -v13
	v_dual_fmac_f32 v29, v215, v134 :: v_dual_add_f32 v9, v9, v27
	v_dual_add_f32 v11, v11, v51 :: v_dual_mul_f32 v27, v229, v149
	v_fmac_f32_e32 v31, v217, v136
	s_delay_alu instid0(VALU_DEP_3) | instskip(NEXT) | instid1(VALU_DEP_3)
	v_dual_fma_f32 v15, v216, v136, -v15 :: v_dual_add_f32 v9, v9, v29
	v_add_f32_e32 v11, v11, v13
	v_dual_mul_f32 v35, v220, v141 :: v_dual_mul_f32 v37, v222, v143
	s_wait_loadcnt_dscnt 0x701
	v_dual_mul_f32 v13, v231, v151 :: v_dual_fma_f32 v17, v218, v138, -v17
	v_dual_fmac_f32 v33, v219, v138 :: v_dual_add_f32 v9, v9, v31
	v_dual_add_f32 v11, v11, v15 :: v_dual_mul_f32 v15, v233, v153
	v_fmac_f32_e32 v35, v221, v140
	s_delay_alu instid0(VALU_DEP_3) | instskip(NEXT) | instid1(VALU_DEP_3)
	v_dual_fma_f32 v19, v220, v140, -v19 :: v_dual_add_f32 v9, v9, v33
	v_add_f32_e32 v11, v11, v17
	v_dual_mul_f32 v39, v224, v145 :: v_dual_mul_f32 v41, v226, v147
	s_wait_loadcnt 0x6
	v_dual_mul_f32 v17, v195, v155 :: v_dual_fma_f32 v21, v222, v142, -v21
	v_dual_fmac_f32 v37, v223, v142 :: v_dual_add_f32 v9, v9, v35
	v_dual_add_f32 v11, v11, v19 :: v_dual_mul_f32 v19, v197, v157
	v_fmac_f32_e32 v39, v225, v144
	s_delay_alu instid0(VALU_DEP_3) | instskip(NEXT) | instid1(VALU_DEP_3)
	v_dual_fma_f32 v23, v224, v144, -v23 :: v_dual_add_f32 v9, v9, v37
	v_add_f32_e32 v11, v11, v21
	v_dual_mul_f32 v43, v228, v149 :: v_dual_mul_f32 v45, v230, v151
	s_wait_loadcnt 0x5
	v_dual_mul_f32 v21, v175, v159 :: v_dual_fma_f32 v25, v226, v146, -v25
	v_dual_fmac_f32 v41, v227, v146 :: v_dual_add_f32 v9, v9, v39
	v_dual_add_f32 v11, v11, v23 :: v_dual_mov_b32 v114, v161
	v_fmac_f32_e32 v43, v229, v148
	s_delay_alu instid0(VALU_DEP_3) | instskip(NEXT) | instid1(VALU_DEP_3)
	v_dual_fma_f32 v23, v228, v148, -v27 :: v_dual_add_f32 v9, v9, v41
	v_add_f32_e32 v11, v11, v25
	v_dual_mul_f32 v47, v232, v153 :: v_dual_mul_f32 v49, v194, v155
	s_delay_alu instid0(VALU_DEP_3) | instskip(NEXT) | instid1(VALU_DEP_3)
	v_dual_fmac_f32 v45, v231, v150 :: v_dual_add_f32 v9, v9, v43
	v_dual_fma_f32 v13, v230, v150, -v13 :: v_dual_add_f32 v11, v11, v23
	s_wait_loadcnt 0x4
	v_dual_mov_b32 v118, v165 :: v_dual_fma_f32 v15, v232, v152, -v15
	v_fmac_f32_e32 v47, v233, v152
	v_dual_add_f32 v9, v9, v45 :: v_dual_fmac_f32 v49, v195, v154
	v_add_f32_e32 v11, v11, v13
	v_dual_mul_f32 v249, v196, v157 :: v_dual_mul_f32 v251, v174, v159
	s_delay_alu instid0(VALU_DEP_3) | instskip(NEXT) | instid1(VALU_DEP_2)
	v_dual_fma_f32 v13, v194, v154, -v17 :: v_dual_add_f32 v9, v9, v47
	v_dual_add_f32 v11, v11, v15 :: v_dual_fmac_f32 v249, v197, v156
	v_fma_f32 v248, v196, v156, -v19
	v_pk_mul_f32 v[114:115], v[240:241], v[114:115] op_sel_hi:[1,0]
	s_delay_alu instid0(VALU_DEP_4)
	v_add_f32_e32 v123, v9, v49
	s_wait_loadcnt 0x3
	v_dual_add_f32 v122, v11, v13 :: v_dual_mov_b32 v124, v169
	v_pk_mul_f32 v[116:117], v[178:179], v[162:163] op_sel:[1,1] op_sel_hi:[0,1]
	v_dual_fmac_f32 v251, v175, v158 :: v_dual_fma_f32 v250, v174, v158, -v21
	v_pk_fma_f32 v[126:127], v[176:177], v[160:161], v[114:115] op_sel_hi:[1,0,1]
	s_delay_alu instid0(VALU_DEP_4)
	v_pk_add_f32 v[122:123], v[122:123], v[248:249]
	v_pk_fma_f32 v[114:115], v[176:177], v[160:161], v[114:115] neg_lo:[0,0,1] neg_hi:[0,0,1]
	v_pk_fma_f32 v[128:129], v[178:179], v[162:163], v[116:117] op_sel_hi:[1,0,1]
	v_pk_mul_f32 v[118:119], v[242:243], v[118:119] op_sel_hi:[1,0]
	v_mov_b32_e32 v115, v127
	v_pk_add_f32 v[122:123], v[122:123], v[250:251]
	v_pk_fma_f32 v[116:117], v[178:179], v[162:163], v[116:117] neg_lo:[0,0,1] neg_hi:[0,0,1]
	v_pk_mul_f32 v[120:121], v[182:183], v[166:167] op_sel:[1,1] op_sel_hi:[0,1]
	v_mov_b32_e32 v117, v129
	v_pk_fma_f32 v[128:129], v[180:181], v[164:165], v[118:119] op_sel_hi:[1,0,1]
	v_pk_add_f32 v[114:115], v[122:123], v[114:115]
	v_pk_fma_f32 v[118:119], v[180:181], v[164:165], v[118:119] neg_lo:[0,0,1] neg_hi:[0,0,1]
	v_pk_fma_f32 v[122:123], v[182:183], v[166:167], v[120:121] op_sel_hi:[1,0,1]
	v_pk_mul_f32 v[124:125], v[244:245], v[124:125] op_sel_hi:[1,0]
	v_mov_b32_e32 v119, v129
	v_pk_add_f32 v[114:115], v[114:115], v[116:117]
	v_pk_fma_f32 v[120:121], v[182:183], v[166:167], v[120:121] neg_lo:[0,0,1] neg_hi:[0,0,1]
	s_wait_loadcnt 0x2
	v_pk_mul_f32 v[126:127], v[186:187], v[170:171] op_sel:[1,1] op_sel_hi:[0,1]
	v_dual_mov_b32 v116, v173 :: v_dual_mov_b32 v121, v123
	v_pk_fma_f32 v[122:123], v[184:185], v[168:169], v[124:125] op_sel_hi:[1,0,1]
	v_pk_add_f32 v[114:115], v[114:115], v[118:119]
	v_pk_fma_f32 v[124:125], v[184:185], v[168:169], v[124:125] neg_lo:[0,0,1] neg_hi:[0,0,1]
	v_pk_fma_f32 v[118:119], v[186:187], v[170:171], v[126:127] op_sel_hi:[1,0,1]
	v_pk_mul_f32 v[116:117], v[246:247], v[116:117] op_sel_hi:[1,0]
	v_mov_b32_e32 v125, v123
	v_pk_add_f32 v[114:115], v[114:115], v[120:121]
	v_pk_fma_f32 v[120:121], v[186:187], v[170:171], v[126:127] neg_lo:[0,0,1] neg_hi:[0,0,1]
	v_mov_b32_e32 v121, v119
	v_pk_fma_f32 v[118:119], v[188:189], v[172:173], v[116:117] op_sel_hi:[1,0,1]
	s_wait_loadcnt_dscnt 0x100
	v_pk_mul_f32 v[122:123], v[238:239], v[234:235] op_sel:[1,1] op_sel_hi:[0,1]
	v_pk_add_f32 v[114:115], v[114:115], v[124:125]
	v_pk_fma_f32 v[116:117], v[188:189], v[172:173], v[116:117] neg_lo:[0,0,1] neg_hi:[0,0,1]
	v_mov_b32_e32 v117, v119
	s_delay_alu instid0(VALU_DEP_4) | instskip(NEXT) | instid1(VALU_DEP_4)
	v_pk_fma_f32 v[118:119], v[238:239], v[234:235], v[122:123] op_sel_hi:[1,0,1]
	v_pk_add_f32 v[114:115], v[114:115], v[120:121]
	v_pk_fma_f32 v[120:121], v[238:239], v[234:235], v[122:123] neg_lo:[0,0,1] neg_hi:[0,0,1]
	s_delay_alu instid0(VALU_DEP_3) | instskip(NEXT) | instid1(VALU_DEP_3)
	v_mov_b32_e32 v121, v119
	v_pk_add_f32 v[114:115], v[114:115], v[116:117]
	s_delay_alu instid0(VALU_DEP_1) | instskip(SKIP_1) | instid1(VALU_DEP_1)
	v_pk_add_f32 v[114:115], v[114:115], v[120:121]
	s_wait_loadcnt 0x0
	v_pk_add_f32 v[114:115], v[236:237], v[114:115] neg_lo:[0,1] neg_hi:[0,1]
	scratch_store_b64 off, v[114:115], off offset:192
	s_wait_xcnt 0x0
	v_cmpx_lt_u32_e32 23, v0
	s_cbranch_execz .LBB119_303
; %bb.302:
	scratch_load_b64 v[114:115], off, off offset:184
	v_mov_b64_e32 v[116:117], 0
	scratch_store_b64 off, v[116:117], off offset:184
	s_wait_loadcnt 0x0
	ds_store_b64 v1, v[114:115]
.LBB119_303:
	s_wait_xcnt 0x0
	s_or_b32 exec_lo, exec_lo, s0
	s_wait_storecnt_dscnt 0x0
	s_barrier_signal -1
	s_barrier_wait -1
	s_clause 0x10
	scratch_load_b128 v[114:117], off, off offset:192
	scratch_load_b128 v[118:121], off, off offset:208
	;; [unrolled: 1-line block ×16, first 2 shown]
	scratch_load_b64 v[242:243], off, off offset:184
	ds_load_b128 v[178:181], v7 offset:832
	ds_load_b128 v[182:185], v7 offset:848
	ds_load_b128 v[186:189], v7 offset:864
	ds_load_b128 v[190:193], v7 offset:880
	ds_load_b128 v[194:197], v7 offset:640
	ds_load_b128 v[198:201], v7 offset:656
	ds_load_b128 v[202:205], v7 offset:672
	ds_load_b128 v[206:209], v7 offset:688
	ds_load_b128 v[210:213], v7 offset:704
	ds_load_b128 v[214:217], v7 offset:720
	ds_load_b128 v[218:221], v7 offset:736
	ds_load_b128 v[222:225], v7 offset:752
	ds_load_b128 v[226:229], v7 offset:768
	ds_load_b128 v[230:233], v7 offset:784
	ds_load_b128 v[234:237], v7 offset:800
	ds_load_b128 v[238:241], v7 offset:816
	s_mov_b32 s0, exec_lo
	s_wait_dscnt 0xf
	v_dual_mov_b32 v244, v181 :: v_dual_mov_b32 v245, v180
	s_wait_dscnt 0xe
	v_dual_mov_b32 v246, v185 :: v_dual_mov_b32 v247, v184
	;; [unrolled: 2-line block ×4, first 2 shown]
	s_wait_loadcnt_dscnt 0x100b
	v_dual_mul_f32 v7, v194, v115 :: v_dual_mul_f32 v9, v196, v117
	v_dual_mul_f32 v51, v195, v115 :: v_dual_mul_f32 v53, v197, v117
	s_wait_loadcnt_dscnt 0xf0a
	v_dual_mul_f32 v11, v198, v119 :: v_dual_mul_f32 v13, v200, v121
	s_delay_alu instid0(VALU_DEP_3) | instskip(SKIP_3) | instid1(VALU_DEP_3)
	v_dual_fmac_f32 v7, v195, v114 :: v_dual_fmac_f32 v9, v197, v116
	s_wait_loadcnt_dscnt 0xd08
	v_dual_fma_f32 v51, v194, v114, -v51 :: v_dual_mul_f32 v63, v207, v127
	v_dual_mul_f32 v55, v199, v119 :: v_dual_mul_f32 v57, v201, v121
	v_dual_fma_f32 v53, v196, v116, -v53 :: v_dual_add_f32 v7, 0, v7
	s_delay_alu instid0(VALU_DEP_3) | instskip(SKIP_1) | instid1(VALU_DEP_3)
	v_dual_add_f32 v51, 0, v51 :: v_dual_mul_f32 v65, v209, v129
	v_dual_fmac_f32 v11, v199, v118 :: v_dual_fmac_f32 v13, v201, v120
	v_dual_fma_f32 v55, v198, v118, -v55 :: v_dual_add_f32 v7, v7, v9
	s_delay_alu instid0(VALU_DEP_3) | instskip(SKIP_2) | instid1(VALU_DEP_4)
	v_dual_add_f32 v9, v51, v53 :: v_dual_fma_f32 v53, v200, v120, -v57
	v_dual_mul_f32 v15, v202, v123 :: v_dual_mul_f32 v17, v204, v125
	v_dual_mul_f32 v59, v203, v123 :: v_dual_mul_f32 v61, v205, v125
	v_add_f32_e32 v7, v7, v11
	s_delay_alu instid0(VALU_DEP_3) | instskip(NEXT) | instid1(VALU_DEP_3)
	v_dual_add_f32 v9, v9, v55 :: v_dual_fmac_f32 v15, v203, v122
	v_fma_f32 v55, v202, v122, -v59
	v_dual_mul_f32 v19, v206, v127 :: v_dual_mul_f32 v21, v208, v129
	s_delay_alu instid0(VALU_DEP_4) | instskip(SKIP_2) | instid1(VALU_DEP_2)
	v_dual_add_f32 v7, v7, v13 :: v_dual_fmac_f32 v17, v205, v124
	s_wait_loadcnt_dscnt 0xb06
	v_dual_add_f32 v9, v9, v53 :: v_dual_mul_f32 v13, v215, v135
	v_dual_fma_f32 v53, v204, v124, -v61 :: v_dual_add_f32 v7, v7, v15
	v_mul_f32_e32 v15, v217, v137
	s_delay_alu instid0(VALU_DEP_3) | instskip(NEXT) | instid1(VALU_DEP_3)
	v_dual_add_f32 v9, v9, v55 :: v_dual_fmac_f32 v19, v207, v126
	v_dual_fma_f32 v55, v206, v126, -v63 :: v_dual_add_f32 v7, v7, v17
	v_fmac_f32_e32 v21, v209, v128
	s_wait_loadcnt_dscnt 0xa05
	s_delay_alu instid0(VALU_DEP_3) | instskip(SKIP_3) | instid1(VALU_DEP_3)
	v_dual_add_f32 v9, v9, v53 :: v_dual_mul_f32 v17, v219, v139
	v_dual_mul_f32 v23, v210, v131 :: v_dual_mul_f32 v25, v212, v133
	v_dual_mul_f32 v51, v211, v131 :: v_dual_mul_f32 v11, v213, v133
	v_dual_fma_f32 v53, v208, v128, -v65 :: v_dual_add_f32 v7, v7, v19
	v_dual_add_f32 v9, v9, v55 :: v_dual_fmac_f32 v23, v211, v130
	s_delay_alu instid0(VALU_DEP_3) | instskip(NEXT) | instid1(VALU_DEP_3)
	v_dual_mul_f32 v19, v221, v141 :: v_dual_fma_f32 v51, v210, v130, -v51
	v_dual_add_f32 v7, v7, v21 :: v_dual_fmac_f32 v25, v213, v132
	s_wait_loadcnt_dscnt 0x904
	s_delay_alu instid0(VALU_DEP_3) | instskip(SKIP_1) | instid1(VALU_DEP_3)
	v_dual_add_f32 v9, v9, v53 :: v_dual_mul_f32 v21, v223, v143
	v_dual_mul_f32 v27, v214, v135 :: v_dual_mul_f32 v29, v216, v137
	v_dual_fma_f32 v11, v212, v132, -v11 :: v_dual_add_f32 v7, v7, v23
	s_delay_alu instid0(VALU_DEP_2) | instskip(SKIP_1) | instid1(VALU_DEP_2)
	v_dual_add_f32 v9, v9, v51 :: v_dual_fmac_f32 v27, v215, v134
	v_dual_mul_f32 v23, v225, v145 :: v_dual_fma_f32 v13, v214, v134, -v13
	v_dual_add_f32 v7, v7, v25 :: v_dual_add_f32 v9, v9, v11
	v_dual_mul_f32 v31, v218, v139 :: v_dual_mul_f32 v33, v220, v141
	s_wait_loadcnt_dscnt 0x803
	v_dual_mul_f32 v11, v227, v147 :: v_dual_fmac_f32 v29, v217, v136
	s_delay_alu instid0(VALU_DEP_3) | instskip(NEXT) | instid1(VALU_DEP_3)
	v_dual_fma_f32 v15, v216, v136, -v15 :: v_dual_add_f32 v7, v7, v27
	v_dual_add_f32 v9, v9, v13 :: v_dual_fmac_f32 v31, v219, v138
	v_dual_mul_f32 v13, v229, v149 :: v_dual_fma_f32 v17, v218, v138, -v17
	s_delay_alu instid0(VALU_DEP_2) | instskip(SKIP_3) | instid1(VALU_DEP_3)
	v_dual_add_f32 v7, v7, v29 :: v_dual_add_f32 v9, v9, v15
	v_dual_mul_f32 v35, v222, v143 :: v_dual_mul_f32 v37, v224, v145
	s_wait_loadcnt_dscnt 0x702
	v_dual_mul_f32 v15, v231, v151 :: v_dual_fmac_f32 v33, v221, v140
	v_dual_fma_f32 v19, v220, v140, -v19 :: v_dual_add_f32 v7, v7, v31
	s_delay_alu instid0(VALU_DEP_3) | instskip(SKIP_1) | instid1(VALU_DEP_2)
	v_dual_add_f32 v9, v9, v17 :: v_dual_fmac_f32 v35, v223, v142
	v_dual_mul_f32 v17, v233, v153 :: v_dual_fma_f32 v21, v222, v142, -v21
	v_dual_add_f32 v7, v7, v33 :: v_dual_add_f32 v9, v9, v19
	v_dual_mul_f32 v39, v226, v147 :: v_dual_mul_f32 v41, v228, v149
	s_wait_loadcnt_dscnt 0x601
	v_dual_mul_f32 v19, v235, v155 :: v_dual_fmac_f32 v37, v225, v144
	s_delay_alu instid0(VALU_DEP_3) | instskip(NEXT) | instid1(VALU_DEP_3)
	v_dual_fma_f32 v23, v224, v144, -v23 :: v_dual_add_f32 v7, v7, v35
	v_dual_add_f32 v9, v9, v21 :: v_dual_fmac_f32 v39, v227, v146
	v_dual_mul_f32 v21, v237, v157 :: v_dual_fma_f32 v11, v226, v146, -v11
	s_delay_alu instid0(VALU_DEP_2) | instskip(SKIP_3) | instid1(VALU_DEP_3)
	v_dual_add_f32 v7, v7, v37 :: v_dual_add_f32 v9, v9, v23
	v_dual_mul_f32 v43, v230, v151 :: v_dual_mul_f32 v45, v232, v153
	s_wait_loadcnt_dscnt 0x500
	v_dual_mul_f32 v23, v239, v159 :: v_dual_fmac_f32 v41, v229, v148
	v_dual_fma_f32 v13, v228, v148, -v13 :: v_dual_add_f32 v7, v7, v39
	s_delay_alu instid0(VALU_DEP_3) | instskip(SKIP_1) | instid1(VALU_DEP_3)
	v_dual_add_f32 v9, v9, v11 :: v_dual_fmac_f32 v43, v231, v150
	v_dual_mul_f32 v11, v241, v161 :: v_dual_fma_f32 v15, v230, v150, -v15
	v_dual_add_f32 v7, v7, v41 :: v_dual_fmac_f32 v45, v233, v152
	s_delay_alu instid0(VALU_DEP_3) | instskip(SKIP_2) | instid1(VALU_DEP_3)
	v_dual_add_f32 v9, v9, v13 :: v_dual_fma_f32 v13, v232, v152, -v17
	v_dual_mul_f32 v47, v234, v155 :: v_dual_mul_f32 v49, v236, v157
	s_wait_loadcnt 0x4
	v_dual_add_f32 v7, v7, v43 :: v_dual_mov_b32 v116, v165
	s_delay_alu instid0(VALU_DEP_2) | instskip(NEXT) | instid1(VALU_DEP_2)
	v_dual_add_f32 v9, v9, v15 :: v_dual_fmac_f32 v47, v235, v154
	v_dual_fma_f32 v15, v234, v154, -v19 :: v_dual_add_f32 v7, v7, v45
	v_dual_mul_f32 v253, v238, v159 :: v_dual_mul_f32 v255, v240, v161
	s_delay_alu instid0(VALU_DEP_3) | instskip(NEXT) | instid1(VALU_DEP_3)
	v_dual_add_f32 v9, v9, v13 :: v_dual_fma_f32 v13, v236, v156, -v21
	v_dual_fmac_f32 v49, v237, v156 :: v_dual_add_f32 v7, v7, v47
	v_pk_mul_f32 v[114:115], v[178:179], v[162:163] op_sel:[1,1] op_sel_hi:[0,1]
	s_delay_alu instid0(VALU_DEP_3) | instskip(SKIP_3) | instid1(VALU_DEP_3)
	v_dual_add_f32 v9, v9, v15 :: v_dual_fmac_f32 v253, v239, v158
	s_wait_loadcnt 0x3
	v_dual_mov_b32 v120, v169 :: v_dual_fma_f32 v252, v238, v158, -v23
	v_dual_add_f32 v123, v7, v49 :: v_dual_fmac_f32 v255, v241, v160
	v_dual_add_f32 v122, v9, v13 :: v_dual_fma_f32 v254, v240, v160, -v11
	v_pk_fma_f32 v[124:125], v[178:179], v[162:163], v[114:115] op_sel_hi:[1,0,1]
	v_pk_mul_f32 v[116:117], v[244:245], v[116:117] op_sel_hi:[1,0]
	v_pk_fma_f32 v[114:115], v[178:179], v[162:163], v[114:115] neg_lo:[0,0,1] neg_hi:[0,0,1]
	s_delay_alu instid0(VALU_DEP_4)
	v_pk_add_f32 v[122:123], v[122:123], v[252:253]
	v_pk_mul_f32 v[118:119], v[182:183], v[166:167] op_sel:[1,1] op_sel_hi:[0,1]
	v_mov_b32_e32 v115, v125
	v_pk_fma_f32 v[124:125], v[180:181], v[164:165], v[116:117] op_sel_hi:[1,0,1]
	v_pk_fma_f32 v[116:117], v[180:181], v[164:165], v[116:117] neg_lo:[0,0,1] neg_hi:[0,0,1]
	v_pk_add_f32 v[122:123], v[122:123], v[254:255]
	v_pk_fma_f32 v[128:129], v[182:183], v[166:167], v[118:119] op_sel_hi:[1,0,1]
	v_pk_mul_f32 v[120:121], v[246:247], v[120:121] op_sel_hi:[1,0]
	v_mov_b32_e32 v117, v125
	s_wait_loadcnt 0x2
	v_pk_mul_f32 v[126:127], v[186:187], v[170:171] op_sel:[1,1] op_sel_hi:[0,1]
	v_pk_add_f32 v[114:115], v[122:123], v[114:115]
	v_mov_b32_e32 v122, v173
	v_pk_fma_f32 v[118:119], v[182:183], v[166:167], v[118:119] neg_lo:[0,0,1] neg_hi:[0,0,1]
	v_mov_b32_e32 v119, v129
	v_pk_fma_f32 v[124:125], v[184:185], v[168:169], v[120:121] op_sel_hi:[1,0,1]
	v_pk_add_f32 v[114:115], v[114:115], v[116:117]
	v_pk_fma_f32 v[116:117], v[186:187], v[170:171], v[126:127] op_sel_hi:[1,0,1]
	v_pk_mul_f32 v[122:123], v[248:249], v[122:123] op_sel_hi:[1,0]
	v_pk_fma_f32 v[120:121], v[184:185], v[168:169], v[120:121] neg_lo:[0,0,1] neg_hi:[0,0,1]
	v_mov_b32_e32 v121, v125
	v_pk_add_f32 v[114:115], v[114:115], v[118:119]
	v_pk_fma_f32 v[124:125], v[186:187], v[170:171], v[126:127] neg_lo:[0,0,1] neg_hi:[0,0,1]
	v_mov_b32_e32 v125, v117
	v_pk_fma_f32 v[116:117], v[188:189], v[172:173], v[122:123] op_sel_hi:[1,0,1]
	s_wait_loadcnt 0x1
	v_pk_mul_f32 v[118:119], v[190:191], v[174:175] op_sel:[1,1] op_sel_hi:[0,1]
	v_pk_add_f32 v[114:115], v[114:115], v[120:121]
	v_mov_b32_e32 v116, v177
	v_pk_fma_f32 v[122:123], v[188:189], v[172:173], v[122:123] neg_lo:[0,0,1] neg_hi:[0,0,1]
	v_mov_b32_e32 v123, v117
	v_pk_fma_f32 v[120:121], v[190:191], v[174:175], v[118:119] op_sel_hi:[1,0,1]
	v_pk_add_f32 v[114:115], v[114:115], v[124:125]
	v_pk_mul_f32 v[116:117], v[250:251], v[116:117] op_sel_hi:[1,0]
	v_pk_fma_f32 v[118:119], v[190:191], v[174:175], v[118:119] neg_lo:[0,0,1] neg_hi:[0,0,1]
	s_delay_alu instid0(VALU_DEP_4) | instskip(NEXT) | instid1(VALU_DEP_4)
	v_mov_b32_e32 v119, v121
	v_pk_add_f32 v[114:115], v[114:115], v[122:123]
	s_delay_alu instid0(VALU_DEP_4) | instskip(SKIP_1) | instid1(VALU_DEP_2)
	v_pk_fma_f32 v[120:121], v[192:193], v[176:177], v[116:117] op_sel_hi:[1,0,1]
	v_pk_fma_f32 v[116:117], v[192:193], v[176:177], v[116:117] neg_lo:[0,0,1] neg_hi:[0,0,1]
	v_mov_b32_e32 v117, v121
	s_delay_alu instid0(VALU_DEP_4) | instskip(NEXT) | instid1(VALU_DEP_1)
	v_pk_add_f32 v[114:115], v[114:115], v[118:119]
	v_pk_add_f32 v[114:115], v[114:115], v[116:117]
	s_wait_loadcnt 0x0
	s_delay_alu instid0(VALU_DEP_1)
	v_pk_add_f32 v[114:115], v[242:243], v[114:115] neg_lo:[0,1] neg_hi:[0,1]
	scratch_store_b64 off, v[114:115], off offset:184
	s_wait_xcnt 0x0
	v_cmpx_lt_u32_e32 22, v0
	s_cbranch_execz .LBB119_305
; %bb.304:
	scratch_load_b64 v[114:115], off, off offset:176
	v_mov_b64_e32 v[116:117], 0
	scratch_store_b64 off, v[116:117], off offset:176
	s_wait_loadcnt 0x0
	ds_store_b64 v1, v[114:115]
.LBB119_305:
	s_wait_xcnt 0x0
	s_or_b32 exec_lo, exec_lo, s0
	s_wait_storecnt_dscnt 0x0
	s_barrier_signal -1
	s_barrier_wait -1
	s_clause 0x11
	scratch_load_b128 v[114:117], off, off offset:184
	scratch_load_b128 v[118:121], off, off offset:200
	;; [unrolled: 1-line block ×16, first 2 shown]
	scratch_load_b64 v[242:243], off, off offset:440
	scratch_load_b64 v[244:245], off, off offset:176
	v_mov_b32_e32 v7, 0
	ds_load_2addr_b64 v[178:181], v7 offset0:103 offset1:104
	ds_load_2addr_b64 v[182:185], v7 offset0:105 offset1:106
	;; [unrolled: 1-line block ×16, first 2 shown]
	ds_load_b64 v[246:247], v7 offset:888
	s_mov_b32 s0, exec_lo
	s_wait_dscnt 0x10
	v_dual_mov_b32 v248, v181 :: v_dual_mov_b32 v249, v180
	s_wait_dscnt 0xd
	v_dual_mov_b32 v250, v185 :: v_dual_mov_b32 v255, v192
	v_dual_mov_b32 v251, v184 :: v_dual_mov_b32 v252, v189
	;; [unrolled: 1-line block ×3, first 2 shown]
	s_wait_loadcnt_dscnt 0x110c
	v_dual_mul_f32 v9, v194, v115 :: v_dual_mul_f32 v55, v195, v115
	v_dual_mul_f32 v57, v197, v117 :: v_dual_mul_f32 v11, v196, v117
	s_wait_loadcnt_dscnt 0x100b
	v_mul_f32_e32 v13, v198, v119
	s_wait_loadcnt_dscnt 0xe09
	v_dual_mul_f32 v67, v207, v127 :: v_dual_fma_f32 v55, v194, v114, -v55
	v_dual_fmac_f32 v9, v195, v114 :: v_dual_mul_f32 v69, v209, v129
	v_dual_mul_f32 v59, v199, v119 :: v_dual_mul_f32 v61, v201, v121
	v_dual_fmac_f32 v11, v197, v116 :: v_dual_fma_f32 v57, v196, v116, -v57
	s_delay_alu instid0(VALU_DEP_3) | instskip(SKIP_3) | instid1(VALU_DEP_3)
	v_dual_add_f32 v9, 0, v9 :: v_dual_add_f32 v55, 0, v55
	v_dual_mul_f32 v15, v200, v121 :: v_dual_mul_f32 v17, v202, v123
	s_wait_loadcnt_dscnt 0xd08
	v_dual_mul_f32 v71, v211, v131 :: v_dual_fma_f32 v59, v198, v118, -v59
	v_dual_fmac_f32 v13, v199, v118 :: v_dual_add_f32 v9, v9, v11
	s_delay_alu instid0(VALU_DEP_3) | instskip(SKIP_2) | instid1(VALU_DEP_3)
	v_dual_add_f32 v11, v55, v57 :: v_dual_fmac_f32 v15, v201, v120
	v_dual_mul_f32 v63, v203, v123 :: v_dual_mul_f32 v65, v205, v125
	v_dual_mul_f32 v55, v213, v133 :: v_dual_fma_f32 v57, v200, v120, -v61
	v_dual_add_f32 v9, v9, v13 :: v_dual_add_f32 v11, v11, v59
	v_dual_mul_f32 v19, v204, v125 :: v_dual_mul_f32 v21, v206, v127
	s_wait_loadcnt_dscnt 0xc07
	v_dual_mul_f32 v13, v215, v135 :: v_dual_fma_f32 v59, v202, v122, -v63
	s_delay_alu instid0(VALU_DEP_3) | instskip(NEXT) | instid1(VALU_DEP_3)
	v_dual_fmac_f32 v17, v203, v122 :: v_dual_add_f32 v9, v9, v15
	v_dual_add_f32 v11, v11, v57 :: v_dual_fmac_f32 v19, v205, v124
	v_dual_mul_f32 v15, v217, v137 :: v_dual_fma_f32 v57, v204, v124, -v65
	s_delay_alu instid0(VALU_DEP_2) | instskip(SKIP_3) | instid1(VALU_DEP_3)
	v_dual_add_f32 v9, v9, v17 :: v_dual_add_f32 v11, v11, v59
	v_dual_mul_f32 v23, v208, v129 :: v_dual_mul_f32 v25, v210, v131
	s_wait_loadcnt_dscnt 0xb06
	v_dual_mul_f32 v17, v219, v139 :: v_dual_fma_f32 v59, v206, v126, -v67
	v_dual_fmac_f32 v21, v207, v126 :: v_dual_add_f32 v9, v9, v19
	s_delay_alu instid0(VALU_DEP_3) | instskip(SKIP_1) | instid1(VALU_DEP_2)
	v_dual_add_f32 v11, v11, v57 :: v_dual_fmac_f32 v23, v209, v128
	v_dual_mul_f32 v19, v221, v141 :: v_dual_fma_f32 v57, v208, v128, -v69
	v_dual_add_f32 v9, v9, v21 :: v_dual_add_f32 v11, v11, v59
	v_dual_mul_f32 v27, v212, v133 :: v_dual_mul_f32 v29, v214, v135
	s_wait_loadcnt_dscnt 0xa05
	v_dual_mul_f32 v21, v223, v143 :: v_dual_fma_f32 v59, v210, v130, -v71
	s_delay_alu instid0(VALU_DEP_3) | instskip(NEXT) | instid1(VALU_DEP_3)
	v_dual_fmac_f32 v25, v211, v130 :: v_dual_add_f32 v9, v9, v23
	v_dual_add_f32 v11, v11, v57 :: v_dual_fmac_f32 v27, v213, v132
	v_dual_mul_f32 v23, v225, v145 :: v_dual_fma_f32 v55, v212, v132, -v55
	s_delay_alu instid0(VALU_DEP_2) | instskip(SKIP_3) | instid1(VALU_DEP_3)
	v_dual_add_f32 v9, v9, v25 :: v_dual_add_f32 v11, v11, v59
	v_dual_mul_f32 v31, v216, v137 :: v_dual_mul_f32 v33, v218, v139
	s_wait_loadcnt_dscnt 0x904
	v_dual_mul_f32 v25, v227, v147 :: v_dual_fma_f32 v13, v214, v134, -v13
	v_dual_fmac_f32 v29, v215, v134 :: v_dual_add_f32 v9, v9, v27
	v_dual_add_f32 v11, v11, v55 :: v_dual_mul_f32 v27, v229, v149
	v_fmac_f32_e32 v31, v217, v136
	s_delay_alu instid0(VALU_DEP_3) | instskip(NEXT) | instid1(VALU_DEP_3)
	v_dual_fma_f32 v15, v216, v136, -v15 :: v_dual_add_f32 v9, v9, v29
	v_add_f32_e32 v11, v11, v13
	v_dual_mul_f32 v35, v220, v141 :: v_dual_mul_f32 v37, v222, v143
	s_wait_loadcnt_dscnt 0x803
	v_dual_mul_f32 v13, v231, v151 :: v_dual_fma_f32 v17, v218, v138, -v17
	v_dual_fmac_f32 v33, v219, v138 :: v_dual_add_f32 v9, v9, v31
	v_dual_add_f32 v11, v11, v15 :: v_dual_mul_f32 v15, v233, v153
	v_fmac_f32_e32 v35, v221, v140
	s_delay_alu instid0(VALU_DEP_3) | instskip(NEXT) | instid1(VALU_DEP_3)
	v_dual_fma_f32 v19, v220, v140, -v19 :: v_dual_add_f32 v9, v9, v33
	v_add_f32_e32 v11, v11, v17
	;; [unrolled: 9-line block ×4, first 2 shown]
	v_dual_mul_f32 v47, v232, v153 :: v_dual_mul_f32 v49, v234, v155
	s_wait_loadcnt 0x5
	v_dual_mul_f32 v25, v179, v163 :: v_dual_fma_f32 v13, v230, v150, -v13
	v_dual_fmac_f32 v45, v231, v150 :: v_dual_add_f32 v9, v9, v43
	v_dual_add_f32 v11, v11, v27 :: v_dual_mov_b32 v114, v165
	v_fmac_f32_e32 v47, v233, v152
	s_delay_alu instid0(VALU_DEP_3) | instskip(NEXT) | instid1(VALU_DEP_3)
	v_dual_fma_f32 v15, v232, v152, -v15 :: v_dual_add_f32 v9, v9, v45
	v_add_f32_e32 v11, v11, v13
	v_dual_mul_f32 v51, v236, v157 :: v_dual_mul_f32 v53, v238, v159
	s_delay_alu instid0(VALU_DEP_3) | instskip(NEXT) | instid1(VALU_DEP_3)
	v_dual_fmac_f32 v49, v235, v154 :: v_dual_add_f32 v9, v9, v47
	v_dual_fma_f32 v13, v234, v154, -v17 :: v_dual_add_f32 v11, v11, v15
	s_wait_loadcnt 0x4
	v_dual_mov_b32 v118, v169 :: v_dual_fma_f32 v15, v236, v156, -v19
	v_fmac_f32_e32 v51, v237, v156
	v_dual_add_f32 v9, v9, v49 :: v_dual_fmac_f32 v53, v239, v158
	v_add_f32_e32 v11, v11, v13
	s_set_vgpr_msb 64                       ;  msbs: dst=1 src0=0 src1=0 src2=0
	v_dual_mul_f32 v1 /*v257*/, v240, v161 :: v_dual_mul_f32 v3 /*v259*/, v178, v163
	s_set_vgpr_msb 0                        ;  msbs: dst=0 src0=0 src1=0 src2=0
	v_dual_fma_f32 v13, v238, v158, -v21 :: v_dual_add_f32 v9, v9, v51
	v_add_f32_e32 v11, v11, v15
	s_set_vgpr_msb 64                       ;  msbs: dst=1 src0=0 src1=0 src2=0
	v_dual_fmac_f32 v1 /*v257*/, v241, v160 :: v_dual_fmac_f32 v3 /*v259*/, v179, v162
	v_dual_fma_f32 v0 /*v256*/, v240, v160, -v23 :: v_dual_fma_f32 v2 /*v258*/, v178, v162, -v25
	s_set_vgpr_msb 0                        ;  msbs: dst=0 src0=0 src1=0 src2=0
	v_pk_mul_f32 v[114:115], v[248:249], v[114:115] op_sel_hi:[1,0]
	v_add_f32_e32 v123, v9, v53
	s_wait_loadcnt 0x3
	v_dual_add_f32 v122, v11, v13 :: v_dual_mov_b32 v124, v173
	v_pk_mul_f32 v[116:117], v[182:183], v[166:167] op_sel:[1,1] op_sel_hi:[0,1]
	v_pk_fma_f32 v[126:127], v[180:181], v[164:165], v[114:115] op_sel_hi:[1,0,1]
	v_pk_fma_f32 v[114:115], v[180:181], v[164:165], v[114:115] neg_lo:[0,0,1] neg_hi:[0,0,1]
	s_set_vgpr_msb 4                        ;  msbs: dst=0 src0=0 src1=1 src2=0
	v_pk_add_f32 v[122:123], v[122:123], v[0:1] /*v[256:257]*/
	s_set_vgpr_msb 0                        ;  msbs: dst=0 src0=0 src1=0 src2=0
	v_pk_mul_f32 v[118:119], v[250:251], v[118:119] op_sel_hi:[1,0]
	v_pk_fma_f32 v[128:129], v[182:183], v[166:167], v[116:117] op_sel_hi:[1,0,1]
	v_mov_b32_e32 v115, v127
	v_pk_fma_f32 v[116:117], v[182:183], v[166:167], v[116:117] neg_lo:[0,0,1] neg_hi:[0,0,1]
	s_set_vgpr_msb 4                        ;  msbs: dst=0 src0=0 src1=1 src2=0
	v_pk_add_f32 v[122:123], v[122:123], v[2:3] /*v[258:259]*/
	s_set_vgpr_msb 0                        ;  msbs: dst=0 src0=0 src1=0 src2=0
	v_pk_mul_f32 v[120:121], v[186:187], v[170:171] op_sel:[1,1] op_sel_hi:[0,1]
	v_mov_b32_e32 v117, v129
	v_pk_fma_f32 v[128:129], v[184:185], v[168:169], v[118:119] op_sel_hi:[1,0,1]
	v_pk_fma_f32 v[118:119], v[184:185], v[168:169], v[118:119] neg_lo:[0,0,1] neg_hi:[0,0,1]
	v_pk_add_f32 v[114:115], v[122:123], v[114:115]
	v_pk_fma_f32 v[122:123], v[186:187], v[170:171], v[120:121] op_sel_hi:[1,0,1]
	v_pk_mul_f32 v[124:125], v[252:253], v[124:125] op_sel_hi:[1,0]
	v_mov_b32_e32 v119, v129
	v_pk_fma_f32 v[120:121], v[186:187], v[170:171], v[120:121] neg_lo:[0,0,1] neg_hi:[0,0,1]
	v_pk_add_f32 v[114:115], v[114:115], v[116:117]
	s_wait_loadcnt 0x2
	v_pk_mul_f32 v[126:127], v[190:191], v[174:175] op_sel:[1,1] op_sel_hi:[0,1]
	v_dual_mov_b32 v116, v177 :: v_dual_mov_b32 v121, v123
	v_pk_fma_f32 v[122:123], v[188:189], v[172:173], v[124:125] op_sel_hi:[1,0,1]
	v_pk_add_f32 v[114:115], v[114:115], v[118:119]
	v_pk_fma_f32 v[124:125], v[188:189], v[172:173], v[124:125] neg_lo:[0,0,1] neg_hi:[0,0,1]
	v_pk_fma_f32 v[118:119], v[190:191], v[174:175], v[126:127] op_sel_hi:[1,0,1]
	v_pk_mul_f32 v[116:117], v[254:255], v[116:117] op_sel_hi:[1,0]
	v_mov_b32_e32 v125, v123
	v_pk_add_f32 v[114:115], v[114:115], v[120:121]
	v_pk_fma_f32 v[120:121], v[190:191], v[174:175], v[126:127] neg_lo:[0,0,1] neg_hi:[0,0,1]
	v_mov_b32_e32 v121, v119
	v_pk_fma_f32 v[118:119], v[192:193], v[176:177], v[116:117] op_sel_hi:[1,0,1]
	s_wait_loadcnt_dscnt 0x100
	v_pk_mul_f32 v[122:123], v[246:247], v[242:243] op_sel:[1,1] op_sel_hi:[0,1]
	v_pk_add_f32 v[114:115], v[114:115], v[124:125]
	v_pk_fma_f32 v[116:117], v[192:193], v[176:177], v[116:117] neg_lo:[0,0,1] neg_hi:[0,0,1]
	v_mov_b32_e32 v117, v119
	s_delay_alu instid0(VALU_DEP_4) | instskip(NEXT) | instid1(VALU_DEP_4)
	v_pk_fma_f32 v[118:119], v[246:247], v[242:243], v[122:123] op_sel_hi:[1,0,1]
	v_pk_add_f32 v[114:115], v[114:115], v[120:121]
	v_pk_fma_f32 v[120:121], v[246:247], v[242:243], v[122:123] neg_lo:[0,0,1] neg_hi:[0,0,1]
	s_delay_alu instid0(VALU_DEP_3) | instskip(NEXT) | instid1(VALU_DEP_3)
	v_mov_b32_e32 v121, v119
	v_pk_add_f32 v[114:115], v[114:115], v[116:117]
	s_delay_alu instid0(VALU_DEP_1) | instskip(SKIP_1) | instid1(VALU_DEP_1)
	v_pk_add_f32 v[114:115], v[114:115], v[120:121]
	s_wait_loadcnt 0x0
	v_pk_add_f32 v[114:115], v[244:245], v[114:115] neg_lo:[0,1] neg_hi:[0,1]
	scratch_store_b64 off, v[114:115], off offset:176
	s_wait_xcnt 0x0
	v_cmpx_lt_u32_e32 21, v0
	s_cbranch_execz .LBB119_307
; %bb.306:
	scratch_load_b64 v[114:115], off, off offset:168
	v_mov_b64_e32 v[116:117], 0
	scratch_store_b64 off, v[116:117], off offset:168
	s_wait_loadcnt 0x0
	ds_store_b64 v1, v[114:115]
.LBB119_307:
	s_wait_xcnt 0x0
	s_or_b32 exec_lo, exec_lo, s0
	s_wait_storecnt_dscnt 0x0
	s_barrier_signal -1
	s_barrier_wait -1
	s_clause 0x11
	scratch_load_b128 v[114:117], off, off offset:176
	scratch_load_b128 v[118:121], off, off offset:192
	;; [unrolled: 1-line block ×17, first 2 shown]
	scratch_load_b64 v[250:251], off, off offset:168
	ds_load_b128 v[182:185], v7 offset:832
	ds_load_b128 v[186:189], v7 offset:848
	;; [unrolled: 1-line block ×17, first 2 shown]
	s_mov_b32 s0, exec_lo
	s_wait_dscnt 0x10
	v_dual_mov_b32 v252, v185 :: v_dual_mov_b32 v253, v184
	s_wait_dscnt 0xf
	v_dual_mov_b32 v254, v189 :: v_dual_mov_b32 v255, v188
	s_wait_dscnt 0xe
	s_set_vgpr_msb 64                       ;  msbs: dst=1 src0=0 src1=0 src2=0
	v_dual_mov_b32 v0 /*v256*/, v193 :: v_dual_mov_b32 v1 /*v257*/, v192
	s_wait_dscnt 0xd
	v_dual_mov_b32 v2 /*v258*/, v197 :: v_dual_mov_b32 v3 /*v259*/, v196
	s_wait_loadcnt_dscnt 0x110b
	s_set_vgpr_msb 0                        ;  msbs: dst=0 src0=0 src1=0 src2=0
	v_dual_mul_f32 v7, v202, v115 :: v_dual_mul_f32 v9, v204, v117
	v_dual_mul_f32 v55, v203, v115 :: v_dual_mul_f32 v57, v205, v117
	s_wait_loadcnt_dscnt 0x100a
	v_dual_mul_f32 v11, v206, v119 :: v_dual_mul_f32 v13, v208, v121
	s_delay_alu instid0(VALU_DEP_3) | instskip(SKIP_3) | instid1(VALU_DEP_3)
	v_dual_fmac_f32 v7, v203, v114 :: v_dual_fmac_f32 v9, v205, v116
	s_wait_loadcnt_dscnt 0xe08
	v_dual_fma_f32 v55, v202, v114, -v55 :: v_dual_mul_f32 v67, v215, v127
	v_dual_mul_f32 v59, v207, v119 :: v_dual_mul_f32 v61, v209, v121
	v_dual_fma_f32 v57, v204, v116, -v57 :: v_dual_add_f32 v7, 0, v7
	s_delay_alu instid0(VALU_DEP_3) | instskip(SKIP_1) | instid1(VALU_DEP_3)
	v_dual_add_f32 v55, 0, v55 :: v_dual_mul_f32 v69, v217, v129
	v_dual_fmac_f32 v11, v207, v118 :: v_dual_fmac_f32 v13, v209, v120
	v_dual_fma_f32 v59, v206, v118, -v59 :: v_dual_add_f32 v7, v7, v9
	s_delay_alu instid0(VALU_DEP_3) | instskip(SKIP_2) | instid1(VALU_DEP_4)
	v_dual_add_f32 v9, v55, v57 :: v_dual_fma_f32 v57, v208, v120, -v61
	v_dual_mul_f32 v15, v210, v123 :: v_dual_mul_f32 v17, v212, v125
	v_dual_mul_f32 v63, v211, v123 :: v_dual_mul_f32 v65, v213, v125
	v_add_f32_e32 v7, v7, v11
	s_delay_alu instid0(VALU_DEP_3) | instskip(NEXT) | instid1(VALU_DEP_3)
	v_dual_add_f32 v9, v9, v59 :: v_dual_fmac_f32 v15, v211, v122
	v_fma_f32 v59, v210, v122, -v63
	v_dual_mul_f32 v19, v214, v127 :: v_dual_mul_f32 v21, v216, v129
	s_delay_alu instid0(VALU_DEP_4) | instskip(SKIP_2) | instid1(VALU_DEP_2)
	v_dual_add_f32 v7, v7, v13 :: v_dual_fmac_f32 v17, v213, v124
	s_wait_loadcnt_dscnt 0xc06
	v_dual_add_f32 v9, v9, v57 :: v_dual_mul_f32 v13, v223, v135
	v_dual_fma_f32 v57, v212, v124, -v65 :: v_dual_add_f32 v7, v7, v15
	v_mul_f32_e32 v15, v225, v137
	s_delay_alu instid0(VALU_DEP_3) | instskip(NEXT) | instid1(VALU_DEP_3)
	v_dual_add_f32 v9, v9, v59 :: v_dual_fmac_f32 v19, v215, v126
	v_dual_fma_f32 v59, v214, v126, -v67 :: v_dual_add_f32 v7, v7, v17
	v_fmac_f32_e32 v21, v217, v128
	s_wait_loadcnt_dscnt 0xb05
	s_delay_alu instid0(VALU_DEP_3) | instskip(SKIP_3) | instid1(VALU_DEP_3)
	v_dual_add_f32 v9, v9, v57 :: v_dual_mul_f32 v17, v227, v139
	v_dual_mul_f32 v23, v218, v131 :: v_dual_mul_f32 v25, v220, v133
	v_dual_mul_f32 v55, v219, v131 :: v_dual_mul_f32 v11, v221, v133
	v_dual_fma_f32 v57, v216, v128, -v69 :: v_dual_add_f32 v7, v7, v19
	v_dual_add_f32 v9, v9, v59 :: v_dual_fmac_f32 v23, v219, v130
	s_delay_alu instid0(VALU_DEP_3) | instskip(NEXT) | instid1(VALU_DEP_3)
	v_dual_mul_f32 v19, v229, v141 :: v_dual_fma_f32 v55, v218, v130, -v55
	v_dual_add_f32 v7, v7, v21 :: v_dual_fmac_f32 v25, v221, v132
	s_wait_loadcnt_dscnt 0xa04
	s_delay_alu instid0(VALU_DEP_3) | instskip(SKIP_1) | instid1(VALU_DEP_3)
	v_dual_add_f32 v9, v9, v57 :: v_dual_mul_f32 v21, v231, v143
	v_dual_mul_f32 v27, v222, v135 :: v_dual_mul_f32 v29, v224, v137
	v_dual_fma_f32 v11, v220, v132, -v11 :: v_dual_add_f32 v7, v7, v23
	s_delay_alu instid0(VALU_DEP_2) | instskip(SKIP_1) | instid1(VALU_DEP_2)
	v_dual_add_f32 v9, v9, v55 :: v_dual_fmac_f32 v27, v223, v134
	v_dual_mul_f32 v23, v233, v145 :: v_dual_fma_f32 v13, v222, v134, -v13
	v_dual_add_f32 v7, v7, v25 :: v_dual_add_f32 v9, v9, v11
	v_dual_mul_f32 v31, v226, v139 :: v_dual_mul_f32 v33, v228, v141
	s_wait_loadcnt_dscnt 0x903
	v_dual_mul_f32 v11, v235, v147 :: v_dual_fmac_f32 v29, v225, v136
	s_delay_alu instid0(VALU_DEP_3) | instskip(NEXT) | instid1(VALU_DEP_3)
	v_dual_fma_f32 v15, v224, v136, -v15 :: v_dual_add_f32 v7, v7, v27
	v_dual_add_f32 v9, v9, v13 :: v_dual_fmac_f32 v31, v227, v138
	v_dual_mul_f32 v13, v237, v149 :: v_dual_fma_f32 v17, v226, v138, -v17
	s_delay_alu instid0(VALU_DEP_2) | instskip(SKIP_3) | instid1(VALU_DEP_3)
	v_dual_add_f32 v7, v7, v29 :: v_dual_add_f32 v9, v9, v15
	v_dual_mul_f32 v35, v230, v143 :: v_dual_mul_f32 v37, v232, v145
	s_wait_loadcnt_dscnt 0x802
	v_dual_mul_f32 v15, v239, v151 :: v_dual_fmac_f32 v33, v229, v140
	v_dual_fma_f32 v19, v228, v140, -v19 :: v_dual_add_f32 v7, v7, v31
	s_delay_alu instid0(VALU_DEP_3) | instskip(SKIP_1) | instid1(VALU_DEP_2)
	v_dual_add_f32 v9, v9, v17 :: v_dual_fmac_f32 v35, v231, v142
	v_dual_mul_f32 v17, v241, v153 :: v_dual_fma_f32 v21, v230, v142, -v21
	v_dual_add_f32 v7, v7, v33 :: v_dual_add_f32 v9, v9, v19
	v_dual_mul_f32 v39, v234, v147 :: v_dual_mul_f32 v41, v236, v149
	s_wait_loadcnt_dscnt 0x701
	v_dual_mul_f32 v19, v243, v155 :: v_dual_fmac_f32 v37, v233, v144
	s_delay_alu instid0(VALU_DEP_3) | instskip(NEXT) | instid1(VALU_DEP_3)
	v_dual_fma_f32 v23, v232, v144, -v23 :: v_dual_add_f32 v7, v7, v35
	v_dual_add_f32 v9, v9, v21 :: v_dual_fmac_f32 v39, v235, v146
	v_dual_mul_f32 v21, v245, v157 :: v_dual_fma_f32 v11, v234, v146, -v11
	s_delay_alu instid0(VALU_DEP_2) | instskip(SKIP_3) | instid1(VALU_DEP_3)
	v_dual_add_f32 v7, v7, v37 :: v_dual_add_f32 v9, v9, v23
	v_dual_mul_f32 v43, v238, v151 :: v_dual_mul_f32 v45, v240, v153
	s_wait_loadcnt_dscnt 0x600
	v_dual_mul_f32 v23, v247, v159 :: v_dual_fmac_f32 v41, v237, v148
	v_dual_fma_f32 v13, v236, v148, -v13 :: v_dual_add_f32 v7, v7, v39
	s_delay_alu instid0(VALU_DEP_3) | instskip(SKIP_1) | instid1(VALU_DEP_3)
	v_dual_add_f32 v9, v9, v11 :: v_dual_fmac_f32 v43, v239, v150
	v_dual_mul_f32 v11, v249, v161 :: v_dual_fma_f32 v15, v238, v150, -v15
	v_dual_add_f32 v7, v7, v41 :: v_dual_fmac_f32 v45, v241, v152
	s_wait_loadcnt 0x5
	s_delay_alu instid0(VALU_DEP_3) | instskip(SKIP_1) | instid1(VALU_DEP_3)
	v_dual_add_f32 v9, v9, v13 :: v_dual_mul_f32 v13, v199, v163
	v_dual_mul_f32 v47, v242, v155 :: v_dual_mul_f32 v49, v244, v157
	v_dual_fma_f32 v17, v240, v152, -v17 :: v_dual_add_f32 v7, v7, v43
	s_delay_alu instid0(VALU_DEP_2) | instskip(SKIP_1) | instid1(VALU_DEP_3)
	v_dual_add_f32 v9, v9, v15 :: v_dual_fmac_f32 v47, v243, v154
	v_dual_mul_f32 v15, v201, v165 :: v_dual_fma_f32 v19, v242, v154, -v19
	v_dual_add_f32 v7, v7, v45 :: v_dual_fmac_f32 v49, v245, v156
	s_delay_alu instid0(VALU_DEP_3) | instskip(SKIP_2) | instid1(VALU_DEP_3)
	v_dual_add_f32 v9, v9, v17 :: v_dual_fma_f32 v17, v244, v156, -v21
	v_dual_mul_f32 v51, v246, v159 :: v_dual_mul_f32 v53, v248, v161
	s_wait_loadcnt 0x4
	v_dual_add_f32 v7, v7, v47 :: v_dual_mov_b32 v116, v169
	s_delay_alu instid0(VALU_DEP_2) | instskip(NEXT) | instid1(VALU_DEP_2)
	v_dual_add_f32 v9, v9, v19 :: v_dual_fmac_f32 v51, v247, v158
	v_dual_fma_f32 v19, v246, v158, -v23 :: v_dual_add_f32 v7, v7, v49
	s_set_vgpr_msb 64                       ;  msbs: dst=1 src0=0 src1=0 src2=0
	v_dual_mul_f32 v5 /*v261*/, v198, v163 :: v_dual_mul_f32 v7 /*v263*/, v200, v165
	s_set_vgpr_msb 0                        ;  msbs: dst=0 src0=0 src1=0 src2=0
	v_dual_add_f32 v9, v9, v17 :: v_dual_fma_f32 v11, v248, v160, -v11
	v_dual_fmac_f32 v53, v249, v160 :: v_dual_add_f32 v7, v7, v51
	v_pk_mul_f32 v[114:115], v[182:183], v[166:167] op_sel:[1,1] op_sel_hi:[0,1]
	s_delay_alu instid0(VALU_DEP_3)
	v_add_f32_e32 v9, v9, v19
	s_set_vgpr_msb 64                       ;  msbs: dst=1 src0=0 src1=0 src2=0
	v_dual_fmac_f32 v5 /*v261*/, v199, v162 :: v_dual_fmac_f32 v7 /*v263*/, v201, v164
	v_dual_fma_f32 v4 /*v260*/, v198, v162, -v13 :: v_dual_fma_f32 v6 /*v262*/, v200, v164, -v15
	s_set_vgpr_msb 0                        ;  msbs: dst=0 src0=0 src1=0 src2=0
	v_dual_add_f32 v123, v7, v53 :: v_dual_add_f32 v122, v9, v11
	v_pk_fma_f32 v[124:125], v[182:183], v[166:167], v[114:115] op_sel_hi:[1,0,1]
	v_pk_mul_f32 v[116:117], v[252:253], v[116:117] op_sel_hi:[1,0]
	v_pk_fma_f32 v[114:115], v[182:183], v[166:167], v[114:115] neg_lo:[0,0,1] neg_hi:[0,0,1]
	s_wait_loadcnt 0x3
	v_pk_mul_f32 v[118:119], v[186:187], v[170:171] op_sel:[1,1] op_sel_hi:[0,1]
	s_set_vgpr_msb 4                        ;  msbs: dst=0 src0=0 src1=1 src2=0
	v_pk_add_f32 v[122:123], v[122:123], v[4:5] /*v[260:261]*/
	v_dual_mov_b32 v120, v173 :: v_dual_mov_b32 v115, v125
	s_set_vgpr_msb 0                        ;  msbs: dst=0 src0=0 src1=0 src2=0
	v_pk_fma_f32 v[124:125], v[184:185], v[168:169], v[116:117] op_sel_hi:[1,0,1]
	v_pk_fma_f32 v[116:117], v[184:185], v[168:169], v[116:117] neg_lo:[0,0,1] neg_hi:[0,0,1]
	s_set_vgpr_msb 4                        ;  msbs: dst=0 src0=0 src1=1 src2=0
	v_pk_add_f32 v[122:123], v[122:123], v[6:7] /*v[262:263]*/
	s_set_vgpr_msb 0                        ;  msbs: dst=0 src0=0 src1=0 src2=0
	v_pk_fma_f32 v[128:129], v[186:187], v[170:171], v[118:119] op_sel_hi:[1,0,1]
	v_pk_mul_f32 v[120:121], v[254:255], v[120:121] op_sel_hi:[1,0]
	v_mov_b32_e32 v117, v125
	s_wait_loadcnt 0x2
	v_pk_mul_f32 v[126:127], v[190:191], v[174:175] op_sel:[1,1] op_sel_hi:[0,1]
	v_pk_add_f32 v[114:115], v[122:123], v[114:115]
	v_mov_b32_e32 v122, v177
	v_pk_fma_f32 v[118:119], v[186:187], v[170:171], v[118:119] neg_lo:[0,0,1] neg_hi:[0,0,1]
	v_pk_fma_f32 v[124:125], v[188:189], v[172:173], v[120:121] op_sel_hi:[1,0,1]
	v_mov_b32_e32 v119, v129
	v_pk_add_f32 v[114:115], v[114:115], v[116:117]
	v_pk_fma_f32 v[116:117], v[190:191], v[174:175], v[126:127] op_sel_hi:[1,0,1]
	s_set_vgpr_msb 1                        ;  msbs: dst=0 src0=1 src1=0 src2=0
	v_pk_mul_f32 v[122:123], v[0:1] /*v[256:257]*/, v[122:123] op_sel_hi:[1,0]
	s_set_vgpr_msb 0                        ;  msbs: dst=0 src0=0 src1=0 src2=0
	v_pk_fma_f32 v[120:121], v[188:189], v[172:173], v[120:121] neg_lo:[0,0,1] neg_hi:[0,0,1]
	v_mov_b32_e32 v121, v125
	v_pk_add_f32 v[114:115], v[114:115], v[118:119]
	v_pk_fma_f32 v[124:125], v[190:191], v[174:175], v[126:127] neg_lo:[0,0,1] neg_hi:[0,0,1]
	v_mov_b32_e32 v125, v117
	v_pk_fma_f32 v[116:117], v[192:193], v[176:177], v[122:123] op_sel_hi:[1,0,1]
	s_wait_loadcnt 0x1
	v_pk_mul_f32 v[118:119], v[194:195], v[178:179] op_sel:[1,1] op_sel_hi:[0,1]
	v_pk_add_f32 v[114:115], v[114:115], v[120:121]
	v_mov_b32_e32 v116, v181
	v_pk_fma_f32 v[122:123], v[192:193], v[176:177], v[122:123] neg_lo:[0,0,1] neg_hi:[0,0,1]
	s_delay_alu instid0(VALU_DEP_4)
	v_pk_fma_f32 v[120:121], v[194:195], v[178:179], v[118:119] op_sel_hi:[1,0,1]
	v_mov_b32_e32 v123, v117
	v_pk_add_f32 v[114:115], v[114:115], v[124:125]
	s_set_vgpr_msb 1                        ;  msbs: dst=0 src0=1 src1=0 src2=0
	v_pk_mul_f32 v[116:117], v[2:3] /*v[258:259]*/, v[116:117] op_sel_hi:[1,0]
	s_set_vgpr_msb 0                        ;  msbs: dst=0 src0=0 src1=0 src2=0
	v_pk_fma_f32 v[118:119], v[194:195], v[178:179], v[118:119] neg_lo:[0,0,1] neg_hi:[0,0,1]
	v_mov_b32_e32 v119, v121
	v_pk_add_f32 v[114:115], v[114:115], v[122:123]
	v_pk_fma_f32 v[120:121], v[196:197], v[180:181], v[116:117] op_sel_hi:[1,0,1]
	v_pk_fma_f32 v[116:117], v[196:197], v[180:181], v[116:117] neg_lo:[0,0,1] neg_hi:[0,0,1]
	s_delay_alu instid0(VALU_DEP_3) | instskip(NEXT) | instid1(VALU_DEP_3)
	v_pk_add_f32 v[114:115], v[114:115], v[118:119]
	v_mov_b32_e32 v117, v121
	s_delay_alu instid0(VALU_DEP_1) | instskip(SKIP_1) | instid1(VALU_DEP_1)
	v_pk_add_f32 v[114:115], v[114:115], v[116:117]
	s_wait_loadcnt 0x0
	v_pk_add_f32 v[114:115], v[250:251], v[114:115] neg_lo:[0,1] neg_hi:[0,1]
	scratch_store_b64 off, v[114:115], off offset:168
	s_wait_xcnt 0x0
	v_cmpx_lt_u32_e32 20, v0
	s_cbranch_execz .LBB119_309
; %bb.308:
	scratch_load_b64 v[114:115], off, off offset:160
	v_mov_b64_e32 v[116:117], 0
	scratch_store_b64 off, v[116:117], off offset:160
	s_wait_loadcnt 0x0
	ds_store_b64 v1, v[114:115]
.LBB119_309:
	s_wait_xcnt 0x0
	s_or_b32 exec_lo, exec_lo, s0
	s_wait_storecnt_dscnt 0x0
	s_barrier_signal -1
	s_barrier_wait -1
	s_clause 0x12
	scratch_load_b128 v[114:117], off, off offset:168
	scratch_load_b128 v[118:121], off, off offset:184
	;; [unrolled: 1-line block ×17, first 2 shown]
	scratch_load_b64 v[250:251], off, off offset:440
	scratch_load_b64 v[252:253], off, off offset:160
	v_mov_b32_e32 v7, 0
	ds_load_2addr_b64 v[182:185], v7 offset0:103 offset1:104
	ds_load_2addr_b64 v[186:189], v7 offset0:105 offset1:106
	;; [unrolled: 1-line block ×17, first 2 shown]
	ds_load_b64 v[254:255], v7 offset:888
	s_mov_b32 s0, exec_lo
	s_wait_dscnt 0x11
	s_set_vgpr_msb 64                       ;  msbs: dst=1 src0=0 src1=0 src2=0
	v_dual_mov_b32 v0 /*v256*/, v185 :: v_dual_mov_b32 v1 /*v257*/, v184
	s_wait_dscnt 0x10
	v_dual_mov_b32 v2 /*v258*/, v189 :: v_dual_mov_b32 v3 /*v259*/, v188
	s_wait_dscnt 0xf
	;; [unrolled: 2-line block ×3, first 2 shown]
	v_dual_mov_b32 v6 /*v262*/, v201 :: v_dual_mov_b32 v7 /*v263*/, v200
	s_wait_loadcnt_dscnt 0x120c
	s_set_vgpr_msb 0                        ;  msbs: dst=0 src0=0 src1=0 src2=0
	v_dual_mul_f32 v9, v202, v115 :: v_dual_mul_f32 v59, v203, v115
	v_dual_mul_f32 v61, v205, v117 :: v_dual_mul_f32 v11, v204, v117
	s_wait_loadcnt_dscnt 0x110b
	v_mul_f32_e32 v13, v206, v119
	s_wait_loadcnt_dscnt 0xf09
	v_dual_mul_f32 v71, v215, v127 :: v_dual_fma_f32 v59, v202, v114, -v59
	v_dual_fmac_f32 v9, v203, v114 :: v_dual_mul_f32 v73, v217, v129
	v_dual_mul_f32 v63, v207, v119 :: v_dual_mul_f32 v65, v209, v121
	v_dual_fmac_f32 v11, v205, v116 :: v_dual_fma_f32 v61, v204, v116, -v61
	s_delay_alu instid0(VALU_DEP_3) | instskip(SKIP_3) | instid1(VALU_DEP_3)
	v_dual_add_f32 v9, 0, v9 :: v_dual_add_f32 v59, 0, v59
	v_dual_mul_f32 v15, v208, v121 :: v_dual_mul_f32 v17, v210, v123
	s_wait_loadcnt_dscnt 0xe08
	v_dual_mul_f32 v75, v219, v131 :: v_dual_fma_f32 v63, v206, v118, -v63
	v_dual_fmac_f32 v13, v207, v118 :: v_dual_add_f32 v9, v9, v11
	s_delay_alu instid0(VALU_DEP_3) | instskip(SKIP_2) | instid1(VALU_DEP_3)
	v_dual_add_f32 v11, v59, v61 :: v_dual_fmac_f32 v15, v209, v120
	v_dual_mul_f32 v67, v211, v123 :: v_dual_mul_f32 v69, v213, v125
	v_dual_mul_f32 v59, v221, v133 :: v_dual_fma_f32 v61, v208, v120, -v65
	v_dual_add_f32 v9, v9, v13 :: v_dual_add_f32 v11, v11, v63
	v_dual_mul_f32 v19, v212, v125 :: v_dual_mul_f32 v21, v214, v127
	s_wait_loadcnt_dscnt 0xd07
	v_dual_mul_f32 v13, v223, v135 :: v_dual_fma_f32 v63, v210, v122, -v67
	s_delay_alu instid0(VALU_DEP_3) | instskip(NEXT) | instid1(VALU_DEP_3)
	v_dual_fmac_f32 v17, v211, v122 :: v_dual_add_f32 v9, v9, v15
	v_dual_add_f32 v11, v11, v61 :: v_dual_fmac_f32 v19, v213, v124
	v_dual_mul_f32 v15, v225, v137 :: v_dual_fma_f32 v61, v212, v124, -v69
	s_delay_alu instid0(VALU_DEP_2) | instskip(SKIP_3) | instid1(VALU_DEP_3)
	v_dual_add_f32 v9, v9, v17 :: v_dual_add_f32 v11, v11, v63
	v_dual_mul_f32 v23, v216, v129 :: v_dual_mul_f32 v25, v218, v131
	s_wait_loadcnt_dscnt 0xc06
	v_dual_mul_f32 v17, v227, v139 :: v_dual_fma_f32 v63, v214, v126, -v71
	v_dual_fmac_f32 v21, v215, v126 :: v_dual_add_f32 v9, v9, v19
	s_delay_alu instid0(VALU_DEP_3) | instskip(SKIP_1) | instid1(VALU_DEP_2)
	v_dual_add_f32 v11, v11, v61 :: v_dual_fmac_f32 v23, v217, v128
	v_dual_mul_f32 v19, v229, v141 :: v_dual_fma_f32 v61, v216, v128, -v73
	v_dual_add_f32 v9, v9, v21 :: v_dual_add_f32 v11, v11, v63
	v_dual_mul_f32 v27, v220, v133 :: v_dual_mul_f32 v29, v222, v135
	s_wait_loadcnt_dscnt 0xb05
	v_dual_mul_f32 v21, v231, v143 :: v_dual_fma_f32 v63, v218, v130, -v75
	s_delay_alu instid0(VALU_DEP_3) | instskip(NEXT) | instid1(VALU_DEP_3)
	v_dual_fmac_f32 v25, v219, v130 :: v_dual_add_f32 v9, v9, v23
	v_dual_add_f32 v11, v11, v61 :: v_dual_fmac_f32 v27, v221, v132
	v_dual_mul_f32 v23, v233, v145 :: v_dual_fma_f32 v59, v220, v132, -v59
	s_delay_alu instid0(VALU_DEP_2) | instskip(SKIP_3) | instid1(VALU_DEP_3)
	v_dual_add_f32 v9, v9, v25 :: v_dual_add_f32 v11, v11, v63
	v_dual_mul_f32 v31, v224, v137 :: v_dual_mul_f32 v33, v226, v139
	s_wait_loadcnt_dscnt 0xa04
	v_dual_mul_f32 v25, v235, v147 :: v_dual_fma_f32 v13, v222, v134, -v13
	v_dual_fmac_f32 v29, v223, v134 :: v_dual_add_f32 v9, v9, v27
	v_dual_add_f32 v11, v11, v59 :: v_dual_mul_f32 v27, v237, v149
	v_fmac_f32_e32 v31, v225, v136
	s_delay_alu instid0(VALU_DEP_3) | instskip(NEXT) | instid1(VALU_DEP_3)
	v_dual_fma_f32 v15, v224, v136, -v15 :: v_dual_add_f32 v9, v9, v29
	v_add_f32_e32 v11, v11, v13
	v_dual_mul_f32 v35, v228, v141 :: v_dual_mul_f32 v37, v230, v143
	s_wait_loadcnt_dscnt 0x903
	v_dual_mul_f32 v13, v239, v151 :: v_dual_fma_f32 v17, v226, v138, -v17
	v_dual_fmac_f32 v33, v227, v138 :: v_dual_add_f32 v9, v9, v31
	v_dual_add_f32 v11, v11, v15 :: v_dual_mul_f32 v15, v241, v153
	v_fmac_f32_e32 v35, v229, v140
	s_delay_alu instid0(VALU_DEP_3) | instskip(NEXT) | instid1(VALU_DEP_3)
	v_dual_fma_f32 v19, v228, v140, -v19 :: v_dual_add_f32 v9, v9, v33
	v_add_f32_e32 v11, v11, v17
	;; [unrolled: 9-line block ×4, first 2 shown]
	v_dual_mul_f32 v47, v240, v153 :: v_dual_mul_f32 v49, v242, v155
	s_wait_loadcnt 0x6
	v_dual_mul_f32 v25, v195, v163 :: v_dual_fma_f32 v13, v238, v150, -v13
	v_dual_fmac_f32 v45, v239, v150 :: v_dual_add_f32 v9, v9, v43
	v_dual_add_f32 v11, v11, v27 :: v_dual_mul_f32 v27, v197, v165
	v_fmac_f32_e32 v47, v241, v152
	s_delay_alu instid0(VALU_DEP_3) | instskip(NEXT) | instid1(VALU_DEP_3)
	v_dual_fma_f32 v15, v240, v152, -v15 :: v_dual_add_f32 v9, v9, v45
	v_add_f32_e32 v11, v11, v13
	v_dual_mul_f32 v51, v244, v157 :: v_dual_mul_f32 v53, v246, v159
	s_wait_loadcnt 0x5
	v_dual_mul_f32 v13, v183, v167 :: v_dual_fma_f32 v17, v242, v154, -v17
	v_dual_fmac_f32 v49, v243, v154 :: v_dual_add_f32 v9, v9, v47
	v_dual_add_f32 v11, v11, v15 :: v_dual_mov_b32 v114, v169
	v_fmac_f32_e32 v51, v245, v156
	s_delay_alu instid0(VALU_DEP_3) | instskip(NEXT) | instid1(VALU_DEP_3)
	v_dual_fma_f32 v15, v244, v156, -v19 :: v_dual_add_f32 v9, v9, v49
	v_add_f32_e32 v11, v11, v17
	v_dual_mul_f32 v55, v248, v161 :: v_dual_mul_f32 v57, v194, v163
	s_delay_alu instid0(VALU_DEP_3) | instskip(NEXT) | instid1(VALU_DEP_3)
	v_dual_fmac_f32 v53, v247, v158 :: v_dual_add_f32 v9, v9, v51
	v_dual_fma_f32 v17, v246, v158, -v21 :: v_dual_add_f32 v11, v11, v15
	s_wait_loadcnt 0x4
	v_dual_mov_b32 v118, v173 :: v_dual_fma_f32 v15, v248, v160, -v23
	v_fmac_f32_e32 v55, v249, v160
	v_dual_add_f32 v9, v9, v53 :: v_dual_fmac_f32 v57, v195, v162
	v_add_f32_e32 v11, v11, v17
	s_set_vgpr_msb 64                       ;  msbs: dst=1 src0=0 src1=0 src2=0
	v_dual_mul_f32 v9 /*v265*/, v196, v165 :: v_dual_mul_f32 v11 /*v267*/, v182, v167
	s_set_vgpr_msb 0                        ;  msbs: dst=0 src0=0 src1=0 src2=0
	v_dual_fma_f32 v17, v194, v162, -v25 :: v_dual_add_f32 v9, v9, v55
	v_add_f32_e32 v11, v11, v15
	s_set_vgpr_msb 64                       ;  msbs: dst=1 src0=0 src1=0 src2=0
	v_dual_fmac_f32 v9 /*v265*/, v197, v164 :: v_dual_fmac_f32 v11 /*v267*/, v183, v166
	v_dual_fma_f32 v8 /*v264*/, v196, v164, -v27 :: v_dual_fma_f32 v10 /*v266*/, v182, v166, -v13
	s_set_vgpr_msb 1                        ;  msbs: dst=0 src0=1 src1=0 src2=0
	v_pk_mul_f32 v[114:115], v[0:1] /*v[256:257]*/, v[114:115] op_sel_hi:[1,0]
	s_set_vgpr_msb 0                        ;  msbs: dst=0 src0=0 src1=0 src2=0
	v_add_f32_e32 v123, v9, v57
	s_wait_loadcnt 0x3
	v_dual_add_f32 v122, v11, v17 :: v_dual_mov_b32 v124, v177
	v_pk_mul_f32 v[116:117], v[186:187], v[170:171] op_sel:[1,1] op_sel_hi:[0,1]
	v_pk_fma_f32 v[126:127], v[184:185], v[168:169], v[114:115] op_sel_hi:[1,0,1]
	v_pk_fma_f32 v[114:115], v[184:185], v[168:169], v[114:115] neg_lo:[0,0,1] neg_hi:[0,0,1]
	s_set_vgpr_msb 4                        ;  msbs: dst=0 src0=0 src1=1 src2=0
	v_pk_add_f32 v[122:123], v[122:123], v[8:9] /*v[264:265]*/
	s_set_vgpr_msb 1                        ;  msbs: dst=0 src0=1 src1=0 src2=0
	v_pk_mul_f32 v[118:119], v[2:3] /*v[258:259]*/, v[118:119] op_sel_hi:[1,0]
	s_set_vgpr_msb 0                        ;  msbs: dst=0 src0=0 src1=0 src2=0
	v_pk_fma_f32 v[128:129], v[186:187], v[170:171], v[116:117] op_sel_hi:[1,0,1]
	v_mov_b32_e32 v115, v127
	v_pk_fma_f32 v[116:117], v[186:187], v[170:171], v[116:117] neg_lo:[0,0,1] neg_hi:[0,0,1]
	s_set_vgpr_msb 4                        ;  msbs: dst=0 src0=0 src1=1 src2=0
	v_pk_add_f32 v[122:123], v[122:123], v[10:11] /*v[266:267]*/
	s_set_vgpr_msb 0                        ;  msbs: dst=0 src0=0 src1=0 src2=0
	v_pk_mul_f32 v[120:121], v[190:191], v[174:175] op_sel:[1,1] op_sel_hi:[0,1]
	v_mov_b32_e32 v117, v129
	v_pk_fma_f32 v[128:129], v[188:189], v[172:173], v[118:119] op_sel_hi:[1,0,1]
	v_pk_fma_f32 v[118:119], v[188:189], v[172:173], v[118:119] neg_lo:[0,0,1] neg_hi:[0,0,1]
	v_pk_add_f32 v[114:115], v[122:123], v[114:115]
	v_pk_fma_f32 v[122:123], v[190:191], v[174:175], v[120:121] op_sel_hi:[1,0,1]
	s_set_vgpr_msb 1                        ;  msbs: dst=0 src0=1 src1=0 src2=0
	v_pk_mul_f32 v[124:125], v[4:5] /*v[260:261]*/, v[124:125] op_sel_hi:[1,0]
	s_set_vgpr_msb 0                        ;  msbs: dst=0 src0=0 src1=0 src2=0
	v_mov_b32_e32 v119, v129
	v_pk_fma_f32 v[120:121], v[190:191], v[174:175], v[120:121] neg_lo:[0,0,1] neg_hi:[0,0,1]
	v_pk_add_f32 v[114:115], v[114:115], v[116:117]
	s_wait_loadcnt 0x2
	v_pk_mul_f32 v[126:127], v[198:199], v[178:179] op_sel:[1,1] op_sel_hi:[0,1]
	v_dual_mov_b32 v116, v181 :: v_dual_mov_b32 v121, v123
	v_pk_fma_f32 v[122:123], v[192:193], v[176:177], v[124:125] op_sel_hi:[1,0,1]
	v_pk_add_f32 v[114:115], v[114:115], v[118:119]
	v_pk_fma_f32 v[124:125], v[192:193], v[176:177], v[124:125] neg_lo:[0,0,1] neg_hi:[0,0,1]
	v_pk_fma_f32 v[118:119], v[198:199], v[178:179], v[126:127] op_sel_hi:[1,0,1]
	s_set_vgpr_msb 1                        ;  msbs: dst=0 src0=1 src1=0 src2=0
	v_pk_mul_f32 v[116:117], v[6:7] /*v[262:263]*/, v[116:117] op_sel_hi:[1,0]
	s_set_vgpr_msb 0                        ;  msbs: dst=0 src0=0 src1=0 src2=0
	v_mov_b32_e32 v125, v123
	v_pk_add_f32 v[114:115], v[114:115], v[120:121]
	v_pk_fma_f32 v[120:121], v[198:199], v[178:179], v[126:127] neg_lo:[0,0,1] neg_hi:[0,0,1]
	v_mov_b32_e32 v121, v119
	v_pk_fma_f32 v[118:119], v[200:201], v[180:181], v[116:117] op_sel_hi:[1,0,1]
	s_wait_loadcnt_dscnt 0x100
	v_pk_mul_f32 v[122:123], v[254:255], v[250:251] op_sel:[1,1] op_sel_hi:[0,1]
	v_pk_add_f32 v[114:115], v[114:115], v[124:125]
	v_pk_fma_f32 v[116:117], v[200:201], v[180:181], v[116:117] neg_lo:[0,0,1] neg_hi:[0,0,1]
	v_mov_b32_e32 v117, v119
	s_delay_alu instid0(VALU_DEP_4) | instskip(NEXT) | instid1(VALU_DEP_4)
	v_pk_fma_f32 v[118:119], v[254:255], v[250:251], v[122:123] op_sel_hi:[1,0,1]
	v_pk_add_f32 v[114:115], v[114:115], v[120:121]
	v_pk_fma_f32 v[120:121], v[254:255], v[250:251], v[122:123] neg_lo:[0,0,1] neg_hi:[0,0,1]
	s_delay_alu instid0(VALU_DEP_3) | instskip(NEXT) | instid1(VALU_DEP_3)
	v_mov_b32_e32 v121, v119
	v_pk_add_f32 v[114:115], v[114:115], v[116:117]
	s_delay_alu instid0(VALU_DEP_1) | instskip(SKIP_1) | instid1(VALU_DEP_1)
	v_pk_add_f32 v[114:115], v[114:115], v[120:121]
	s_wait_loadcnt 0x0
	v_pk_add_f32 v[114:115], v[252:253], v[114:115] neg_lo:[0,1] neg_hi:[0,1]
	scratch_store_b64 off, v[114:115], off offset:160
	s_wait_xcnt 0x0
	v_cmpx_lt_u32_e32 19, v0
	s_cbranch_execz .LBB119_311
; %bb.310:
	scratch_load_b64 v[114:115], off, off offset:152
	v_mov_b64_e32 v[116:117], 0
	scratch_store_b64 off, v[116:117], off offset:152
	s_wait_loadcnt 0x0
	ds_store_b64 v1, v[114:115]
.LBB119_311:
	s_wait_xcnt 0x0
	s_or_b32 exec_lo, exec_lo, s0
	s_wait_storecnt_dscnt 0x0
	s_barrier_signal -1
	s_barrier_wait -1
	s_clause 0x13
	scratch_load_b128 v[114:117], off, off offset:160
	scratch_load_b128 v[118:121], off, off offset:176
	;; [unrolled: 1-line block ×18, first 2 shown]
	s_set_vgpr_msb 64                       ;  msbs: dst=1 src0=0 src1=0 src2=0
	scratch_load_b64 v[2:3] /*v[258:259]*/, off, off offset:152
	s_set_vgpr_msb 0                        ;  msbs: dst=0 src0=0 src1=0 src2=0
	ds_load_b128 v[186:189], v7 offset:832
	ds_load_b128 v[190:193], v7 offset:848
	;; [unrolled: 1-line block ×18, first 2 shown]
	s_mov_b32 s0, exec_lo
	s_wait_dscnt 0x11
	s_set_vgpr_msb 64                       ;  msbs: dst=1 src0=0 src1=0 src2=0
	v_dual_mov_b32 v4 /*v260*/, v189 :: v_dual_mov_b32 v5 /*v261*/, v188
	s_wait_dscnt 0x10
	v_dual_mov_b32 v6 /*v262*/, v193 :: v_dual_mov_b32 v7 /*v263*/, v192
	s_wait_dscnt 0xf
	;; [unrolled: 2-line block ×3, first 2 shown]
	v_dual_mov_b32 v10 /*v266*/, v201 :: v_dual_mov_b32 v11 /*v267*/, v200
	s_wait_loadcnt_dscnt 0x120d
	s_set_vgpr_msb 0                        ;  msbs: dst=0 src0=0 src1=0 src2=0
	v_dual_mul_f32 v7, v202, v115 :: v_dual_mul_f32 v9, v204, v117
	v_dual_mul_f32 v59, v203, v115 :: v_dual_mul_f32 v61, v205, v117
	s_wait_loadcnt_dscnt 0x110c
	v_dual_mul_f32 v11, v206, v119 :: v_dual_mul_f32 v13, v208, v121
	s_delay_alu instid0(VALU_DEP_3) | instskip(SKIP_3) | instid1(VALU_DEP_3)
	v_dual_fmac_f32 v7, v203, v114 :: v_dual_fmac_f32 v9, v205, v116
	s_wait_loadcnt_dscnt 0xf0a
	v_dual_fma_f32 v59, v202, v114, -v59 :: v_dual_mul_f32 v71, v215, v127
	v_dual_mul_f32 v63, v207, v119 :: v_dual_mul_f32 v65, v209, v121
	v_dual_fma_f32 v61, v204, v116, -v61 :: v_dual_add_f32 v7, 0, v7
	s_delay_alu instid0(VALU_DEP_3) | instskip(SKIP_1) | instid1(VALU_DEP_3)
	v_dual_add_f32 v59, 0, v59 :: v_dual_mul_f32 v73, v217, v129
	v_dual_fmac_f32 v11, v207, v118 :: v_dual_fmac_f32 v13, v209, v120
	v_dual_fma_f32 v63, v206, v118, -v63 :: v_dual_add_f32 v7, v7, v9
	s_delay_alu instid0(VALU_DEP_3) | instskip(SKIP_2) | instid1(VALU_DEP_4)
	v_dual_add_f32 v9, v59, v61 :: v_dual_fma_f32 v61, v208, v120, -v65
	v_dual_mul_f32 v15, v210, v123 :: v_dual_mul_f32 v17, v212, v125
	v_dual_mul_f32 v67, v211, v123 :: v_dual_mul_f32 v69, v213, v125
	v_add_f32_e32 v7, v7, v11
	s_delay_alu instid0(VALU_DEP_3) | instskip(NEXT) | instid1(VALU_DEP_3)
	v_dual_add_f32 v9, v9, v63 :: v_dual_fmac_f32 v15, v211, v122
	v_fma_f32 v63, v210, v122, -v67
	v_dual_mul_f32 v19, v214, v127 :: v_dual_mul_f32 v21, v216, v129
	s_delay_alu instid0(VALU_DEP_4) | instskip(SKIP_2) | instid1(VALU_DEP_2)
	v_dual_add_f32 v7, v7, v13 :: v_dual_fmac_f32 v17, v213, v124
	s_wait_loadcnt_dscnt 0xd08
	v_dual_add_f32 v9, v9, v61 :: v_dual_mul_f32 v13, v223, v135
	v_dual_fma_f32 v61, v212, v124, -v69 :: v_dual_add_f32 v7, v7, v15
	v_mul_f32_e32 v15, v225, v137
	s_delay_alu instid0(VALU_DEP_3) | instskip(NEXT) | instid1(VALU_DEP_3)
	v_dual_add_f32 v9, v9, v63 :: v_dual_fmac_f32 v19, v215, v126
	v_dual_fma_f32 v63, v214, v126, -v71 :: v_dual_add_f32 v7, v7, v17
	v_fmac_f32_e32 v21, v217, v128
	s_wait_loadcnt_dscnt 0xc07
	s_delay_alu instid0(VALU_DEP_3) | instskip(SKIP_3) | instid1(VALU_DEP_3)
	v_dual_add_f32 v9, v9, v61 :: v_dual_mul_f32 v17, v227, v139
	v_dual_mul_f32 v23, v218, v131 :: v_dual_mul_f32 v25, v220, v133
	v_dual_mul_f32 v59, v219, v131 :: v_dual_mul_f32 v11, v221, v133
	v_dual_fma_f32 v61, v216, v128, -v73 :: v_dual_add_f32 v7, v7, v19
	v_dual_add_f32 v9, v9, v63 :: v_dual_fmac_f32 v23, v219, v130
	s_delay_alu instid0(VALU_DEP_3) | instskip(NEXT) | instid1(VALU_DEP_3)
	v_dual_mul_f32 v19, v229, v141 :: v_dual_fma_f32 v59, v218, v130, -v59
	v_dual_add_f32 v7, v7, v21 :: v_dual_fmac_f32 v25, v221, v132
	s_wait_loadcnt_dscnt 0xb06
	s_delay_alu instid0(VALU_DEP_3) | instskip(SKIP_1) | instid1(VALU_DEP_3)
	v_dual_add_f32 v9, v9, v61 :: v_dual_mul_f32 v21, v231, v143
	v_dual_mul_f32 v27, v222, v135 :: v_dual_mul_f32 v29, v224, v137
	v_dual_fma_f32 v11, v220, v132, -v11 :: v_dual_add_f32 v7, v7, v23
	s_delay_alu instid0(VALU_DEP_2) | instskip(SKIP_1) | instid1(VALU_DEP_2)
	v_dual_add_f32 v9, v9, v59 :: v_dual_fmac_f32 v27, v223, v134
	v_dual_mul_f32 v23, v233, v145 :: v_dual_fma_f32 v13, v222, v134, -v13
	v_dual_add_f32 v7, v7, v25 :: v_dual_add_f32 v9, v9, v11
	v_dual_mul_f32 v31, v226, v139 :: v_dual_mul_f32 v33, v228, v141
	s_wait_loadcnt_dscnt 0xa05
	v_dual_mul_f32 v11, v235, v147 :: v_dual_fmac_f32 v29, v225, v136
	s_delay_alu instid0(VALU_DEP_3) | instskip(NEXT) | instid1(VALU_DEP_3)
	v_dual_fma_f32 v15, v224, v136, -v15 :: v_dual_add_f32 v7, v7, v27
	v_dual_add_f32 v9, v9, v13 :: v_dual_fmac_f32 v31, v227, v138
	v_dual_mul_f32 v13, v237, v149 :: v_dual_fma_f32 v17, v226, v138, -v17
	s_delay_alu instid0(VALU_DEP_2) | instskip(SKIP_3) | instid1(VALU_DEP_3)
	v_dual_add_f32 v7, v7, v29 :: v_dual_add_f32 v9, v9, v15
	v_dual_mul_f32 v35, v230, v143 :: v_dual_mul_f32 v37, v232, v145
	s_wait_loadcnt_dscnt 0x904
	v_dual_mul_f32 v15, v239, v151 :: v_dual_fmac_f32 v33, v229, v140
	v_dual_fma_f32 v19, v228, v140, -v19 :: v_dual_add_f32 v7, v7, v31
	s_delay_alu instid0(VALU_DEP_3) | instskip(SKIP_1) | instid1(VALU_DEP_2)
	v_dual_add_f32 v9, v9, v17 :: v_dual_fmac_f32 v35, v231, v142
	v_dual_mul_f32 v17, v241, v153 :: v_dual_fma_f32 v21, v230, v142, -v21
	v_dual_add_f32 v7, v7, v33 :: v_dual_add_f32 v9, v9, v19
	v_dual_mul_f32 v39, v234, v147 :: v_dual_mul_f32 v41, v236, v149
	s_wait_loadcnt_dscnt 0x803
	v_dual_mul_f32 v19, v243, v155 :: v_dual_fmac_f32 v37, v233, v144
	s_delay_alu instid0(VALU_DEP_3) | instskip(NEXT) | instid1(VALU_DEP_3)
	v_dual_fma_f32 v23, v232, v144, -v23 :: v_dual_add_f32 v7, v7, v35
	v_dual_add_f32 v9, v9, v21 :: v_dual_fmac_f32 v39, v235, v146
	v_dual_mul_f32 v21, v245, v157 :: v_dual_fma_f32 v11, v234, v146, -v11
	s_delay_alu instid0(VALU_DEP_2) | instskip(SKIP_3) | instid1(VALU_DEP_3)
	v_dual_add_f32 v7, v7, v37 :: v_dual_add_f32 v9, v9, v23
	v_dual_mul_f32 v43, v238, v151 :: v_dual_mul_f32 v45, v240, v153
	s_wait_loadcnt_dscnt 0x702
	v_dual_mul_f32 v23, v247, v159 :: v_dual_fmac_f32 v41, v237, v148
	v_dual_fma_f32 v13, v236, v148, -v13 :: v_dual_add_f32 v7, v7, v39
	s_delay_alu instid0(VALU_DEP_3) | instskip(SKIP_1) | instid1(VALU_DEP_3)
	v_dual_add_f32 v9, v9, v11 :: v_dual_fmac_f32 v43, v239, v150
	v_dual_mul_f32 v11, v249, v161 :: v_dual_fma_f32 v15, v238, v150, -v15
	v_dual_add_f32 v7, v7, v41 :: v_dual_fmac_f32 v45, v241, v152
	s_wait_loadcnt_dscnt 0x601
	s_delay_alu instid0(VALU_DEP_3) | instskip(SKIP_1) | instid1(VALU_DEP_3)
	v_dual_add_f32 v9, v9, v13 :: v_dual_mul_f32 v13, v251, v163
	v_dual_mul_f32 v47, v242, v155 :: v_dual_mul_f32 v49, v244, v157
	v_dual_fma_f32 v17, v240, v152, -v17 :: v_dual_add_f32 v7, v7, v43
	s_delay_alu instid0(VALU_DEP_2) | instskip(SKIP_1) | instid1(VALU_DEP_3)
	v_dual_add_f32 v9, v9, v15 :: v_dual_fmac_f32 v47, v243, v154
	v_dual_mul_f32 v15, v253, v165 :: v_dual_fma_f32 v19, v242, v154, -v19
	v_dual_add_f32 v7, v7, v45 :: v_dual_fmac_f32 v49, v245, v156
	s_wait_loadcnt_dscnt 0x500
	s_delay_alu instid0(VALU_DEP_3) | instskip(SKIP_1) | instid1(VALU_DEP_3)
	v_dual_add_f32 v9, v9, v17 :: v_dual_mul_f32 v17, v255, v167
	v_dual_mul_f32 v51, v246, v159 :: v_dual_mul_f32 v53, v248, v161
	v_dual_fma_f32 v21, v244, v156, -v21 :: v_dual_add_f32 v7, v7, v47
	s_delay_alu instid0(VALU_DEP_2) | instskip(SKIP_2) | instid1(VALU_DEP_4)
	v_dual_add_f32 v9, v9, v19 :: v_dual_fmac_f32 v51, v247, v158
	v_fma_f32 v23, v246, v158, -v23
	v_dual_mul_f32 v55, v250, v163 :: v_dual_mul_f32 v57, v252, v165
	v_add_f32_e32 v7, v7, v49
	s_delay_alu instid0(VALU_DEP_4)
	v_dual_add_f32 v9, v9, v21 :: v_dual_fma_f32 v11, v248, v160, -v11
	v_fmac_f32_e32 v53, v249, v160
	s_wait_loadcnt 0x4
	v_dual_mov_b32 v116, v173 :: v_dual_fma_f32 v13, v250, v162, -v13
	v_add_f32_e32 v7, v7, v51
	v_dual_add_f32 v9, v9, v23 :: v_dual_fmac_f32 v55, v251, v162
	s_set_vgpr_msb 64                       ;  msbs: dst=1 src0=0 src1=0 src2=0
	v_dual_mul_f32 v13 /*v269*/, v254, v167 :: v_dual_fma_f32 v12 /*v268*/, v254, v166, -v17
	s_set_vgpr_msb 0                        ;  msbs: dst=0 src0=0 src1=0 src2=0
	s_delay_alu instid0(VALU_DEP_2)
	v_dual_add_f32 v7, v7, v53 :: v_dual_add_f32 v9, v9, v11
	v_dual_fmac_f32 v57, v253, v164 :: v_dual_fma_f32 v11, v252, v164, -v15
	s_set_vgpr_msb 1                        ;  msbs: dst=0 src0=1 src1=0 src2=0
	v_mul_f32_e32 v19, v1 /*v257*/, v169
	s_set_vgpr_msb 0                        ;  msbs: dst=0 src0=0 src1=0 src2=0
	v_dual_add_f32 v7, v7, v55 :: v_dual_add_f32 v9, v9, v13
	s_set_vgpr_msb 0x41                     ;  msbs: dst=1 src0=1 src1=0 src2=0
	v_mul_f32_e32 v15 /*v271*/, v0 /*v256*/, v169
	s_set_vgpr_msb 0                        ;  msbs: dst=0 src0=0 src1=0 src2=0
	v_pk_mul_f32 v[114:115], v[186:187], v[170:171] op_sel:[1,1] op_sel_hi:[0,1]
	s_wait_loadcnt 0x3
	v_dual_mov_b32 v120, v177 :: v_dual_add_f32 v123, v7, v57
	s_set_vgpr_msb 64                       ;  msbs: dst=1 src0=0 src1=0 src2=0
	v_fmac_f32_e32 v13 /*v269*/, v255, v166
	s_set_vgpr_msb 0                        ;  msbs: dst=0 src0=0 src1=0 src2=0
	v_add_f32_e32 v122, v9, v11
	s_set_vgpr_msb 0x41                     ;  msbs: dst=1 src0=1 src1=0 src2=0
	v_fma_f32 v14 /*v270*/, v0 /*v256*/, v168, -v19
	v_fmac_f32_e32 v15 /*v271*/, v1 /*v257*/, v168
	s_set_vgpr_msb 0                        ;  msbs: dst=0 src0=0 src1=0 src2=0
	v_pk_fma_f32 v[124:125], v[186:187], v[170:171], v[114:115] op_sel_hi:[1,0,1]
	s_set_vgpr_msb 1                        ;  msbs: dst=0 src0=1 src1=0 src2=0
	v_pk_mul_f32 v[116:117], v[4:5] /*v[260:261]*/, v[116:117] op_sel_hi:[1,0]
	s_set_vgpr_msb 4                        ;  msbs: dst=0 src0=0 src1=1 src2=0
	v_pk_add_f32 v[122:123], v[122:123], v[12:13] /*v[268:269]*/
	s_set_vgpr_msb 0                        ;  msbs: dst=0 src0=0 src1=0 src2=0
	v_pk_fma_f32 v[114:115], v[186:187], v[170:171], v[114:115] neg_lo:[0,0,1] neg_hi:[0,0,1]
	v_pk_mul_f32 v[118:119], v[190:191], v[174:175] op_sel:[1,1] op_sel_hi:[0,1]
	v_mov_b32_e32 v115, v125
	v_pk_fma_f32 v[124:125], v[188:189], v[172:173], v[116:117] op_sel_hi:[1,0,1]
	s_set_vgpr_msb 4                        ;  msbs: dst=0 src0=0 src1=1 src2=0
	v_pk_add_f32 v[122:123], v[122:123], v[14:15] /*v[270:271]*/
	s_set_vgpr_msb 0                        ;  msbs: dst=0 src0=0 src1=0 src2=0
	v_pk_fma_f32 v[116:117], v[188:189], v[172:173], v[116:117] neg_lo:[0,0,1] neg_hi:[0,0,1]
	v_pk_fma_f32 v[128:129], v[190:191], v[174:175], v[118:119] op_sel_hi:[1,0,1]
	s_set_vgpr_msb 1                        ;  msbs: dst=0 src0=1 src1=0 src2=0
	v_pk_mul_f32 v[120:121], v[6:7] /*v[262:263]*/, v[120:121] op_sel_hi:[1,0]
	s_set_vgpr_msb 0                        ;  msbs: dst=0 src0=0 src1=0 src2=0
	v_mov_b32_e32 v117, v125
	v_pk_add_f32 v[114:115], v[122:123], v[114:115]
	s_wait_loadcnt 0x2
	v_pk_mul_f32 v[126:127], v[194:195], v[178:179] op_sel:[1,1] op_sel_hi:[0,1]
	v_mov_b32_e32 v122, v181
	v_pk_fma_f32 v[118:119], v[190:191], v[174:175], v[118:119] neg_lo:[0,0,1] neg_hi:[0,0,1]
	v_mov_b32_e32 v119, v129
	v_pk_fma_f32 v[124:125], v[192:193], v[176:177], v[120:121] op_sel_hi:[1,0,1]
	v_pk_add_f32 v[114:115], v[114:115], v[116:117]
	v_pk_fma_f32 v[116:117], v[194:195], v[178:179], v[126:127] op_sel_hi:[1,0,1]
	s_set_vgpr_msb 1                        ;  msbs: dst=0 src0=1 src1=0 src2=0
	v_pk_mul_f32 v[122:123], v[8:9] /*v[264:265]*/, v[122:123] op_sel_hi:[1,0]
	s_set_vgpr_msb 0                        ;  msbs: dst=0 src0=0 src1=0 src2=0
	v_pk_fma_f32 v[120:121], v[192:193], v[176:177], v[120:121] neg_lo:[0,0,1] neg_hi:[0,0,1]
	v_mov_b32_e32 v121, v125
	v_pk_add_f32 v[114:115], v[114:115], v[118:119]
	v_pk_fma_f32 v[124:125], v[194:195], v[178:179], v[126:127] neg_lo:[0,0,1] neg_hi:[0,0,1]
	v_mov_b32_e32 v125, v117
	v_pk_fma_f32 v[116:117], v[196:197], v[180:181], v[122:123] op_sel_hi:[1,0,1]
	s_wait_loadcnt 0x1
	v_pk_mul_f32 v[118:119], v[198:199], v[182:183] op_sel:[1,1] op_sel_hi:[0,1]
	v_pk_add_f32 v[114:115], v[114:115], v[120:121]
	v_mov_b32_e32 v116, v185
	v_pk_fma_f32 v[122:123], v[196:197], v[180:181], v[122:123] neg_lo:[0,0,1] neg_hi:[0,0,1]
	v_mov_b32_e32 v123, v117
	v_pk_fma_f32 v[120:121], v[198:199], v[182:183], v[118:119] op_sel_hi:[1,0,1]
	v_pk_add_f32 v[114:115], v[114:115], v[124:125]
	s_set_vgpr_msb 1                        ;  msbs: dst=0 src0=1 src1=0 src2=0
	v_pk_mul_f32 v[116:117], v[10:11] /*v[266:267]*/, v[116:117] op_sel_hi:[1,0]
	s_set_vgpr_msb 0                        ;  msbs: dst=0 src0=0 src1=0 src2=0
	v_pk_fma_f32 v[118:119], v[198:199], v[182:183], v[118:119] neg_lo:[0,0,1] neg_hi:[0,0,1]
	v_mov_b32_e32 v119, v121
	v_pk_add_f32 v[114:115], v[114:115], v[122:123]
	v_pk_fma_f32 v[120:121], v[200:201], v[184:185], v[116:117] op_sel_hi:[1,0,1]
	v_pk_fma_f32 v[116:117], v[200:201], v[184:185], v[116:117] neg_lo:[0,0,1] neg_hi:[0,0,1]
	s_delay_alu instid0(VALU_DEP_2) | instskip(NEXT) | instid1(VALU_DEP_4)
	v_mov_b32_e32 v117, v121
	v_pk_add_f32 v[114:115], v[114:115], v[118:119]
	s_delay_alu instid0(VALU_DEP_1) | instskip(SKIP_2) | instid1(VALU_DEP_1)
	v_pk_add_f32 v[114:115], v[114:115], v[116:117]
	s_wait_loadcnt 0x0
	s_set_vgpr_msb 1                        ;  msbs: dst=0 src0=1 src1=0 src2=0
	v_pk_add_f32 v[114:115], v[2:3] /*v[258:259]*/, v[114:115] neg_lo:[0,1] neg_hi:[0,1]
	scratch_store_b64 off, v[114:115], off offset:152
	s_wait_xcnt 0x0
	v_cmpx_lt_u32_e32 18, v0
	s_set_vgpr_msb 0                        ;  msbs: dst=0 src0=0 src1=0 src2=0
	s_cbranch_execz .LBB119_313
; %bb.312:
	scratch_load_b64 v[114:115], off, off offset:144
	v_mov_b64_e32 v[116:117], 0
	scratch_store_b64 off, v[116:117], off offset:144
	s_wait_loadcnt 0x0
	ds_store_b64 v1, v[114:115]
.LBB119_313:
	s_wait_xcnt 0x0
	s_or_b32 exec_lo, exec_lo, s0
	s_wait_storecnt_dscnt 0x0
	s_barrier_signal -1
	s_barrier_wait -1
	s_clause 0x14
	scratch_load_b128 v[114:117], off, off offset:152
	scratch_load_b128 v[118:121], off, off offset:168
	;; [unrolled: 1-line block ×18, first 2 shown]
	s_set_vgpr_msb 64                       ;  msbs: dst=1 src0=0 src1=0 src2=0
	scratch_load_b64 v[2:3] /*v[258:259]*/, off, off offset:440
	scratch_load_b64 v[4:5] /*v[260:261]*/, off, off offset:144
	s_set_vgpr_msb 0                        ;  msbs: dst=0 src0=0 src1=0 src2=0
	v_mov_b32_e32 v7, 0
	ds_load_2addr_b64 v[186:189], v7 offset0:103 offset1:104
	ds_load_2addr_b64 v[190:193], v7 offset0:105 offset1:106
	;; [unrolled: 1-line block ×18, first 2 shown]
	s_set_vgpr_msb 64                       ;  msbs: dst=1 src0=0 src1=0 src2=0
	ds_load_b64 v[6:7] /*v[262:263]*/, v7 offset:888
	s_mov_b32 s0, exec_lo
	s_wait_dscnt 0x12
	v_dual_mov_b32 v8 /*v264*/, v189 :: v_dual_mov_b32 v9 /*v265*/, v188
	s_wait_dscnt 0x11
	v_dual_mov_b32 v10 /*v266*/, v193 :: v_dual_mov_b32 v11 /*v267*/, v192
	;; [unrolled: 2-line block ×4, first 2 shown]
	s_wait_loadcnt 0x13
	s_set_vgpr_msb 0                        ;  msbs: dst=0 src0=0 src1=0 src2=0
	v_dual_mul_f32 v9, v198, v115 :: v_dual_mul_f32 v63, v199, v115
	v_dual_mul_f32 v65, v201, v117 :: v_dual_mul_f32 v11, v200, v117
	s_wait_loadcnt 0x12
	v_mul_f32_e32 v13, v202, v119
	s_wait_loadcnt_dscnt 0x100b
	v_dual_mul_f32 v75, v215, v127 :: v_dual_fma_f32 v63, v198, v114, -v63
	v_dual_fmac_f32 v9, v199, v114 :: v_dual_mul_f32 v77, v217, v129
	v_dual_mul_f32 v67, v203, v119 :: v_dual_mul_f32 v69, v205, v121
	v_dual_fmac_f32 v11, v201, v116 :: v_dual_fma_f32 v65, v200, v116, -v65
	s_delay_alu instid0(VALU_DEP_3) | instskip(SKIP_3) | instid1(VALU_DEP_3)
	v_dual_add_f32 v9, 0, v9 :: v_dual_add_f32 v63, 0, v63
	v_dual_mul_f32 v15, v204, v121 :: v_dual_mul_f32 v17, v210, v123
	s_wait_loadcnt_dscnt 0xf0a
	v_dual_mul_f32 v79, v219, v131 :: v_dual_fma_f32 v67, v202, v118, -v67
	v_dual_fmac_f32 v13, v203, v118 :: v_dual_add_f32 v9, v9, v11
	s_delay_alu instid0(VALU_DEP_3) | instskip(SKIP_2) | instid1(VALU_DEP_3)
	v_dual_add_f32 v11, v63, v65 :: v_dual_fmac_f32 v15, v205, v120
	v_dual_mul_f32 v71, v211, v123 :: v_dual_mul_f32 v73, v213, v125
	v_dual_mul_f32 v63, v221, v133 :: v_dual_fma_f32 v65, v204, v120, -v69
	v_dual_add_f32 v9, v9, v13 :: v_dual_add_f32 v11, v11, v67
	v_dual_mul_f32 v19, v212, v125 :: v_dual_mul_f32 v21, v214, v127
	s_wait_loadcnt_dscnt 0xe09
	v_dual_mul_f32 v13, v223, v135 :: v_dual_fma_f32 v67, v210, v122, -v71
	s_delay_alu instid0(VALU_DEP_3) | instskip(NEXT) | instid1(VALU_DEP_3)
	v_dual_fmac_f32 v17, v211, v122 :: v_dual_add_f32 v9, v9, v15
	v_dual_add_f32 v11, v11, v65 :: v_dual_fmac_f32 v19, v213, v124
	v_dual_mul_f32 v15, v225, v137 :: v_dual_fma_f32 v65, v212, v124, -v73
	s_delay_alu instid0(VALU_DEP_2) | instskip(SKIP_3) | instid1(VALU_DEP_3)
	v_dual_add_f32 v9, v9, v17 :: v_dual_add_f32 v11, v11, v67
	v_dual_mul_f32 v23, v216, v129 :: v_dual_mul_f32 v25, v218, v131
	s_wait_loadcnt_dscnt 0xd08
	v_dual_mul_f32 v17, v227, v139 :: v_dual_fma_f32 v67, v214, v126, -v75
	v_dual_fmac_f32 v21, v215, v126 :: v_dual_add_f32 v9, v9, v19
	s_delay_alu instid0(VALU_DEP_3) | instskip(SKIP_1) | instid1(VALU_DEP_2)
	v_dual_add_f32 v11, v11, v65 :: v_dual_fmac_f32 v23, v217, v128
	v_dual_mul_f32 v19, v229, v141 :: v_dual_fma_f32 v65, v216, v128, -v77
	v_dual_add_f32 v9, v9, v21 :: v_dual_add_f32 v11, v11, v67
	v_dual_mul_f32 v27, v220, v133 :: v_dual_mul_f32 v29, v222, v135
	s_wait_loadcnt_dscnt 0xc07
	v_dual_mul_f32 v21, v231, v143 :: v_dual_fma_f32 v67, v218, v130, -v79
	s_delay_alu instid0(VALU_DEP_3) | instskip(NEXT) | instid1(VALU_DEP_3)
	v_dual_fmac_f32 v25, v219, v130 :: v_dual_add_f32 v9, v9, v23
	v_dual_add_f32 v11, v11, v65 :: v_dual_fmac_f32 v27, v221, v132
	v_dual_mul_f32 v23, v233, v145 :: v_dual_fma_f32 v63, v220, v132, -v63
	s_delay_alu instid0(VALU_DEP_2) | instskip(SKIP_3) | instid1(VALU_DEP_3)
	v_dual_add_f32 v9, v9, v25 :: v_dual_add_f32 v11, v11, v67
	v_dual_mul_f32 v31, v224, v137 :: v_dual_mul_f32 v33, v226, v139
	s_wait_loadcnt_dscnt 0xb06
	v_dual_mul_f32 v25, v235, v147 :: v_dual_fma_f32 v13, v222, v134, -v13
	v_dual_fmac_f32 v29, v223, v134 :: v_dual_add_f32 v9, v9, v27
	v_dual_add_f32 v11, v11, v63 :: v_dual_mul_f32 v27, v237, v149
	v_fmac_f32_e32 v31, v225, v136
	s_delay_alu instid0(VALU_DEP_3) | instskip(NEXT) | instid1(VALU_DEP_3)
	v_dual_fma_f32 v15, v224, v136, -v15 :: v_dual_add_f32 v9, v9, v29
	v_add_f32_e32 v11, v11, v13
	v_dual_mul_f32 v35, v228, v141 :: v_dual_mul_f32 v37, v230, v143
	s_wait_loadcnt_dscnt 0xa05
	v_dual_mul_f32 v13, v239, v151 :: v_dual_fma_f32 v17, v226, v138, -v17
	v_dual_fmac_f32 v33, v227, v138 :: v_dual_add_f32 v9, v9, v31
	v_dual_add_f32 v11, v11, v15 :: v_dual_mul_f32 v15, v241, v153
	v_fmac_f32_e32 v35, v229, v140
	s_delay_alu instid0(VALU_DEP_3) | instskip(NEXT) | instid1(VALU_DEP_3)
	v_dual_fma_f32 v19, v228, v140, -v19 :: v_dual_add_f32 v9, v9, v33
	v_add_f32_e32 v11, v11, v17
	;; [unrolled: 9-line block ×5, first 2 shown]
	v_dual_mul_f32 v51, v244, v157 :: v_dual_mul_f32 v53, v246, v159
	s_wait_loadcnt_dscnt 0x601
	v_dual_mul_f32 v13, v255, v167 :: v_dual_fma_f32 v17, v242, v154, -v17
	v_dual_fmac_f32 v49, v243, v154 :: v_dual_add_f32 v9, v9, v47
	s_delay_alu instid0(VALU_DEP_3) | instskip(SKIP_2) | instid1(VALU_DEP_4)
	v_dual_add_f32 v11, v11, v15 :: v_dual_fmac_f32 v51, v245, v156
	v_fma_f32 v19, v244, v156, -v19
	v_dual_mul_f32 v55, v248, v161 :: v_dual_mul_f32 v57, v250, v163
	v_add_f32_e32 v9, v9, v49
	s_delay_alu instid0(VALU_DEP_4) | instskip(NEXT) | instid1(VALU_DEP_3)
	v_dual_add_f32 v11, v11, v17 :: v_dual_fma_f32 v21, v246, v158, -v21
	v_dual_fmac_f32 v53, v247, v158 :: v_dual_fmac_f32 v55, v249, v160
	s_delay_alu instid0(VALU_DEP_3) | instskip(NEXT) | instid1(VALU_DEP_3)
	v_add_f32_e32 v9, v9, v51
	v_dual_add_f32 v11, v11, v19 :: v_dual_fma_f32 v19, v248, v160, -v23
	v_dual_mul_f32 v59, v252, v165 :: v_dual_mul_f32 v61, v254, v167
	s_delay_alu instid0(VALU_DEP_3) | instskip(NEXT) | instid1(VALU_DEP_3)
	v_add_f32_e32 v9, v9, v53
	v_dual_add_f32 v11, v11, v21 :: v_dual_fma_f32 v21, v250, v162, -v25
	v_fmac_f32_e32 v57, v251, v162
	s_wait_loadcnt 0x5
	v_dual_mul_f32 v17, v187, v171 :: v_dual_mov_b32 v114, v173
	v_add_f32_e32 v9, v9, v55
	s_wait_loadcnt 0x4
	v_dual_add_f32 v11, v11, v19 :: v_dual_mov_b32 v118, v177
	v_fmac_f32_e32 v59, v253, v164
	s_delay_alu instid0(VALU_DEP_3) | instskip(NEXT) | instid1(VALU_DEP_3)
	v_dual_fma_f32 v19, v252, v164, -v27 :: v_dual_add_f32 v9, v9, v57
	v_add_f32_e32 v11, v11, v21
	s_set_vgpr_msb 1                        ;  msbs: dst=0 src0=1 src1=0 src2=0
	v_mul_f32_e32 v15, v1 /*v257*/, v169
	s_set_vgpr_msb 0x41                     ;  msbs: dst=1 src0=1 src1=0 src2=0
	v_mul_f32_e32 v17 /*v273*/, v0 /*v256*/, v169
	s_set_vgpr_msb 0                        ;  msbs: dst=0 src0=0 src1=0 src2=0
	v_dual_fmac_f32 v61, v255, v166 :: v_dual_add_f32 v9, v9, v59
	v_dual_fma_f32 v13, v254, v166, -v13 :: v_dual_add_f32 v11, v11, v19
	s_set_vgpr_msb 1                        ;  msbs: dst=0 src0=1 src1=0 src2=0
	v_pk_mul_f32 v[114:115], v[8:9] /*v[264:265]*/, v[114:115] op_sel_hi:[1,0]
	s_set_vgpr_msb 64                       ;  msbs: dst=1 src0=0 src1=0 src2=0
	v_dual_mul_f32 v19 /*v275*/, v186, v171 :: v_dual_fma_f32 v18 /*v274*/, v186, v170, -v17
	s_set_vgpr_msb 0x41                     ;  msbs: dst=1 src0=1 src1=0 src2=0
	v_fma_f32 v16 /*v272*/, v0 /*v256*/, v168, -v15
	v_fmac_f32_e32 v17 /*v273*/, v1 /*v257*/, v168
	s_wait_loadcnt 0x3
	s_set_vgpr_msb 0                        ;  msbs: dst=0 src0=0 src1=0 src2=0
	v_dual_add_f32 v122, v11, v13 :: v_dual_mov_b32 v124, v181
	v_pk_fma_f32 v[126:127], v[188:189], v[172:173], v[114:115] op_sel_hi:[1,0,1]
	v_add_f32_e32 v123, v9, v61
	v_pk_fma_f32 v[114:115], v[188:189], v[172:173], v[114:115] neg_lo:[0,0,1] neg_hi:[0,0,1]
	v_pk_mul_f32 v[116:117], v[190:191], v[174:175] op_sel:[1,1] op_sel_hi:[0,1]
	s_set_vgpr_msb 64                       ;  msbs: dst=1 src0=0 src1=0 src2=0
	v_fmac_f32_e32 v19 /*v275*/, v187, v170
	s_set_vgpr_msb 4                        ;  msbs: dst=0 src0=0 src1=1 src2=0
	v_mov_b32_e32 v115, v127
	v_pk_add_f32 v[122:123], v[122:123], v[16:17] /*v[272:273]*/
	s_set_vgpr_msb 1                        ;  msbs: dst=0 src0=1 src1=0 src2=0
	v_pk_mul_f32 v[118:119], v[10:11] /*v[266:267]*/, v[118:119] op_sel_hi:[1,0]
	s_set_vgpr_msb 0                        ;  msbs: dst=0 src0=0 src1=0 src2=0
	v_pk_fma_f32 v[128:129], v[190:191], v[174:175], v[116:117] op_sel_hi:[1,0,1]
	v_pk_fma_f32 v[116:117], v[190:191], v[174:175], v[116:117] neg_lo:[0,0,1] neg_hi:[0,0,1]
	v_pk_mul_f32 v[120:121], v[194:195], v[178:179] op_sel:[1,1] op_sel_hi:[0,1]
	s_set_vgpr_msb 4                        ;  msbs: dst=0 src0=0 src1=1 src2=0
	v_pk_add_f32 v[122:123], v[122:123], v[18:19] /*v[274:275]*/
	s_set_vgpr_msb 1                        ;  msbs: dst=0 src0=1 src1=0 src2=0
	v_pk_mul_f32 v[124:125], v[12:13] /*v[268:269]*/, v[124:125] op_sel_hi:[1,0]
	s_set_vgpr_msb 0                        ;  msbs: dst=0 src0=0 src1=0 src2=0
	v_mov_b32_e32 v117, v129
	v_pk_fma_f32 v[128:129], v[192:193], v[176:177], v[118:119] op_sel_hi:[1,0,1]
	v_pk_fma_f32 v[118:119], v[192:193], v[176:177], v[118:119] neg_lo:[0,0,1] neg_hi:[0,0,1]
	v_pk_add_f32 v[114:115], v[122:123], v[114:115]
	v_pk_fma_f32 v[122:123], v[194:195], v[178:179], v[120:121] op_sel_hi:[1,0,1]
	v_pk_fma_f32 v[120:121], v[194:195], v[178:179], v[120:121] neg_lo:[0,0,1] neg_hi:[0,0,1]
	v_mov_b32_e32 v119, v129
	s_wait_loadcnt 0x2
	v_pk_mul_f32 v[126:127], v[206:207], v[182:183] op_sel:[1,1] op_sel_hi:[0,1]
	v_pk_add_f32 v[114:115], v[114:115], v[116:117]
	v_dual_mov_b32 v116, v185 :: v_dual_mov_b32 v121, v123
	v_pk_fma_f32 v[122:123], v[196:197], v[180:181], v[124:125] op_sel_hi:[1,0,1]
	v_pk_fma_f32 v[124:125], v[196:197], v[180:181], v[124:125] neg_lo:[0,0,1] neg_hi:[0,0,1]
	s_delay_alu instid0(VALU_DEP_4)
	v_pk_add_f32 v[114:115], v[114:115], v[118:119]
	v_pk_fma_f32 v[118:119], v[206:207], v[182:183], v[126:127] op_sel_hi:[1,0,1]
	s_set_vgpr_msb 1                        ;  msbs: dst=0 src0=1 src1=0 src2=0
	v_pk_mul_f32 v[116:117], v[14:15] /*v[270:271]*/, v[116:117] op_sel_hi:[1,0]
	s_set_vgpr_msb 0                        ;  msbs: dst=0 src0=0 src1=0 src2=0
	v_mov_b32_e32 v125, v123
	s_wait_loadcnt_dscnt 0x100
	s_set_vgpr_msb 5                        ;  msbs: dst=0 src0=1 src1=1 src2=0
	v_pk_mul_f32 v[122:123], v[6:7] /*v[262:263]*/, v[2:3] /*v[258:259]*/ op_sel:[1,1] op_sel_hi:[0,1]
	s_set_vgpr_msb 0                        ;  msbs: dst=0 src0=0 src1=0 src2=0
	v_pk_add_f32 v[114:115], v[114:115], v[120:121]
	v_pk_fma_f32 v[120:121], v[206:207], v[182:183], v[126:127] neg_lo:[0,0,1] neg_hi:[0,0,1]
	v_mov_b32_e32 v121, v119
	v_pk_fma_f32 v[118:119], v[208:209], v[184:185], v[116:117] op_sel_hi:[1,0,1]
	v_pk_fma_f32 v[116:117], v[208:209], v[184:185], v[116:117] neg_lo:[0,0,1] neg_hi:[0,0,1]
	v_pk_add_f32 v[114:115], v[114:115], v[124:125]
	s_delay_alu instid0(VALU_DEP_3)
	v_mov_b32_e32 v117, v119
	s_set_vgpr_msb 5                        ;  msbs: dst=0 src0=1 src1=1 src2=0
	v_pk_fma_f32 v[118:119], v[6:7] /*v[262:263]*/, v[2:3] /*v[258:259]*/, v[122:123] op_sel_hi:[1,0,1]
	s_set_vgpr_msb 0                        ;  msbs: dst=0 src0=0 src1=0 src2=0
	v_pk_add_f32 v[114:115], v[114:115], v[120:121]
	s_set_vgpr_msb 5                        ;  msbs: dst=0 src0=1 src1=1 src2=0
	v_pk_fma_f32 v[120:121], v[6:7] /*v[262:263]*/, v[2:3] /*v[258:259]*/, v[122:123] neg_lo:[0,0,1] neg_hi:[0,0,1]
	s_set_vgpr_msb 0                        ;  msbs: dst=0 src0=0 src1=0 src2=0
	v_mov_b32_e32 v121, v119
	v_pk_add_f32 v[114:115], v[114:115], v[116:117]
	s_delay_alu instid0(VALU_DEP_1) | instskip(SKIP_2) | instid1(VALU_DEP_1)
	v_pk_add_f32 v[114:115], v[114:115], v[120:121]
	s_wait_loadcnt 0x0
	s_set_vgpr_msb 1                        ;  msbs: dst=0 src0=1 src1=0 src2=0
	v_pk_add_f32 v[114:115], v[4:5] /*v[260:261]*/, v[114:115] neg_lo:[0,1] neg_hi:[0,1]
	scratch_store_b64 off, v[114:115], off offset:144
	s_wait_xcnt 0x0
	v_cmpx_lt_u32_e32 17, v0
	s_set_vgpr_msb 0                        ;  msbs: dst=0 src0=0 src1=0 src2=0
	s_cbranch_execz .LBB119_315
; %bb.314:
	scratch_load_b64 v[114:115], off, off offset:136
	v_mov_b64_e32 v[116:117], 0
	scratch_store_b64 off, v[116:117], off offset:136
	s_wait_loadcnt 0x0
	ds_store_b64 v1, v[114:115]
.LBB119_315:
	s_wait_xcnt 0x0
	s_or_b32 exec_lo, exec_lo, s0
	s_wait_storecnt_dscnt 0x0
	s_barrier_signal -1
	s_barrier_wait -1
	s_clause 0x14
	scratch_load_b128 v[114:117], off, off offset:144
	scratch_load_b128 v[118:121], off, off offset:160
	;; [unrolled: 1-line block ×19, first 2 shown]
	s_set_vgpr_msb 64                       ;  msbs: dst=1 src0=0 src1=0 src2=0
	scratch_load_b64 v[10:11] /*v[266:267]*/, off, off offset:136
	s_set_vgpr_msb 0                        ;  msbs: dst=0 src0=0 src1=0 src2=0
	ds_load_b128 v[190:193], v7 offset:832
	ds_load_b128 v[194:197], v7 offset:848
	;; [unrolled: 1-line block ×17, first 2 shown]
	s_set_vgpr_msb 64                       ;  msbs: dst=1 src0=0 src1=0 src2=0
	ds_load_b128 v[2:5] /*v[258:261]*/, v7 offset:784
	ds_load_b128 v[6:9] /*v[262:265]*/, v7 offset:800
	s_mov_b32 s0, exec_lo
	s_wait_dscnt 0x12
	v_dual_mov_b32 v12 /*v268*/, v193 :: v_dual_mov_b32 v13 /*v269*/, v192
	s_wait_dscnt 0x11
	v_dual_mov_b32 v14 /*v270*/, v197 :: v_dual_mov_b32 v15 /*v271*/, v196
	;; [unrolled: 2-line block ×4, first 2 shown]
	s_wait_loadcnt_dscnt 0x130d
	s_set_vgpr_msb 0                        ;  msbs: dst=0 src0=0 src1=0 src2=0
	v_dual_mul_f32 v7, v210, v115 :: v_dual_mul_f32 v9, v212, v117
	s_wait_loadcnt_dscnt 0x120c
	v_dual_mul_f32 v63, v211, v115 :: v_dual_mul_f32 v69, v217, v121
	v_dual_mul_f32 v11, v214, v119 :: v_dual_mul_f32 v13, v216, v121
	s_delay_alu instid0(VALU_DEP_3)
	v_dual_fmac_f32 v7, v211, v114 :: v_dual_fmac_f32 v9, v213, v116
	v_dual_mul_f32 v65, v213, v117 :: v_dual_mul_f32 v67, v215, v119
	s_wait_loadcnt_dscnt 0x802
	v_dual_mul_f32 v73, v221, v125 :: v_dual_mul_f32 v51, v254, v159
	v_dual_mul_f32 v71, v219, v123 :: v_dual_fma_f32 v63, v210, v114, -v63
	s_wait_loadcnt_dscnt 0x600
	s_set_vgpr_msb 1                        ;  msbs: dst=0 src0=1 src1=0 src2=0
	v_dual_mul_f32 v61, v8 /*v264*/, v169 :: v_dual_add_f32 v7, 0, v7
	s_set_vgpr_msb 0                        ;  msbs: dst=0 src0=0 src1=0 src2=0
	v_dual_mul_f32 v75, v223, v127 :: v_dual_fma_f32 v65, v212, v116, -v65
	v_dual_add_f32 v63, 0, v63 :: v_dual_mul_f32 v77, v225, v129
	v_dual_fmac_f32 v11, v215, v118 :: v_dual_fmac_f32 v13, v217, v120
	v_dual_fma_f32 v67, v214, v118, -v67 :: v_dual_add_f32 v7, v7, v9
	v_dual_mul_f32 v15, v218, v123 :: v_dual_mul_f32 v17, v220, v125
	s_delay_alu instid0(VALU_DEP_4) | instskip(NEXT) | instid1(VALU_DEP_3)
	v_dual_add_f32 v9, v63, v65 :: v_dual_fma_f32 v65, v216, v120, -v69
	v_add_f32_e32 v7, v7, v11
	s_delay_alu instid0(VALU_DEP_3) | instskip(NEXT) | instid1(VALU_DEP_3)
	v_dual_fmac_f32 v15, v219, v122 :: v_dual_mul_f32 v19, v222, v127
	v_dual_mul_f32 v21, v224, v129 :: v_dual_add_f32 v9, v9, v67
	s_delay_alu instid0(VALU_DEP_3) | instskip(SKIP_1) | instid1(VALU_DEP_3)
	v_dual_fma_f32 v67, v218, v122, -v71 :: v_dual_add_f32 v7, v7, v13
	v_dual_fmac_f32 v17, v221, v124 :: v_dual_mul_f32 v13, v231, v135
	v_dual_add_f32 v9, v9, v65 :: v_dual_fma_f32 v65, v220, v124, -v73
	s_delay_alu instid0(VALU_DEP_3) | instskip(SKIP_1) | instid1(VALU_DEP_3)
	v_add_f32_e32 v7, v7, v15
	v_dual_fmac_f32 v19, v223, v126 :: v_dual_mul_f32 v23, v226, v131
	v_dual_mul_f32 v25, v228, v133 :: v_dual_add_f32 v9, v9, v67
	s_delay_alu instid0(VALU_DEP_3) | instskip(SKIP_1) | instid1(VALU_DEP_3)
	v_dual_add_f32 v7, v7, v17 :: v_dual_fmac_f32 v21, v225, v128
	v_dual_mul_f32 v15, v233, v137 :: v_dual_fma_f32 v67, v222, v126, -v75
	v_dual_add_f32 v9, v9, v65 :: v_dual_mul_f32 v17, v235, v139
	s_delay_alu instid0(VALU_DEP_3) | instskip(SKIP_1) | instid1(VALU_DEP_3)
	v_dual_fma_f32 v65, v224, v128, -v77 :: v_dual_add_f32 v7, v7, v19
	v_dual_mul_f32 v63, v227, v131 :: v_dual_mul_f32 v11, v229, v133
	v_dual_add_f32 v9, v9, v67 :: v_dual_fmac_f32 v23, v227, v130
	s_delay_alu instid0(VALU_DEP_3) | instskip(SKIP_1) | instid1(VALU_DEP_4)
	v_dual_add_f32 v7, v7, v21 :: v_dual_fmac_f32 v25, v229, v132
	v_dual_mul_f32 v27, v230, v135 :: v_dual_mul_f32 v29, v232, v137
	v_dual_mul_f32 v19, v237, v141 :: v_dual_fma_f32 v63, v226, v130, -v63
	s_delay_alu instid0(VALU_DEP_4) | instskip(NEXT) | instid1(VALU_DEP_4)
	v_dual_add_f32 v9, v9, v65 :: v_dual_mul_f32 v21, v239, v143
	v_dual_fma_f32 v11, v228, v132, -v11 :: v_dual_add_f32 v7, v7, v23
	s_delay_alu instid0(VALU_DEP_2) | instskip(SKIP_1) | instid1(VALU_DEP_3)
	v_dual_fmac_f32 v27, v231, v134 :: v_dual_add_f32 v9, v9, v63
	v_dual_mul_f32 v31, v234, v139 :: v_dual_mul_f32 v33, v236, v141
	v_add_f32_e32 v7, v7, v25
	v_dual_mul_f32 v23, v241, v145 :: v_dual_fma_f32 v13, v230, v134, -v13
	s_delay_alu instid0(VALU_DEP_4) | instskip(SKIP_1) | instid1(VALU_DEP_4)
	v_add_f32_e32 v9, v9, v11
	v_dual_mul_f32 v11, v243, v147 :: v_dual_fmac_f32 v29, v233, v136
	v_dual_fma_f32 v15, v232, v136, -v15 :: v_dual_add_f32 v7, v7, v27
	s_delay_alu instid0(VALU_DEP_3) | instskip(SKIP_1) | instid1(VALU_DEP_2)
	v_dual_add_f32 v9, v9, v13 :: v_dual_fmac_f32 v31, v235, v138
	v_dual_mul_f32 v35, v238, v143 :: v_dual_mul_f32 v37, v240, v145
	v_dual_add_f32 v7, v7, v29 :: v_dual_add_f32 v9, v9, v15
	v_dual_mul_f32 v13, v245, v149 :: v_dual_fma_f32 v17, v234, v138, -v17
	v_dual_mul_f32 v15, v247, v151 :: v_dual_fmac_f32 v33, v237, v140
	s_delay_alu instid0(VALU_DEP_3) | instskip(NEXT) | instid1(VALU_DEP_3)
	v_dual_fma_f32 v19, v236, v140, -v19 :: v_dual_add_f32 v7, v7, v31
	v_dual_add_f32 v9, v9, v17 :: v_dual_fmac_f32 v35, v239, v142
	v_dual_mul_f32 v39, v242, v147 :: v_dual_mul_f32 v41, v244, v149
	s_delay_alu instid0(VALU_DEP_2) | instskip(SKIP_2) | instid1(VALU_DEP_3)
	v_dual_add_f32 v7, v7, v33 :: v_dual_add_f32 v9, v9, v19
	v_dual_mul_f32 v17, v249, v153 :: v_dual_fma_f32 v21, v238, v142, -v21
	v_dual_mul_f32 v19, v251, v155 :: v_dual_fmac_f32 v37, v241, v144
	v_dual_fma_f32 v23, v240, v144, -v23 :: v_dual_add_f32 v7, v7, v35
	s_delay_alu instid0(VALU_DEP_3) | instskip(SKIP_1) | instid1(VALU_DEP_2)
	v_dual_add_f32 v9, v9, v21 :: v_dual_fmac_f32 v39, v243, v146
	v_dual_mul_f32 v43, v246, v151 :: v_dual_mul_f32 v45, v248, v153
	v_dual_add_f32 v7, v7, v37 :: v_dual_add_f32 v9, v9, v23
	v_dual_mul_f32 v21, v253, v157 :: v_dual_fma_f32 v11, v242, v146, -v11
	v_dual_mul_f32 v23, v255, v159 :: v_dual_fmac_f32 v41, v245, v148
	s_delay_alu instid0(VALU_DEP_3) | instskip(NEXT) | instid1(VALU_DEP_3)
	v_dual_fma_f32 v13, v244, v148, -v13 :: v_dual_add_f32 v7, v7, v39
	v_dual_add_f32 v9, v9, v11 :: v_dual_fmac_f32 v43, v247, v150
	v_fma_f32 v15, v246, v150, -v15
	v_dual_mul_f32 v47, v250, v155 :: v_dual_mul_f32 v49, v252, v157
	s_delay_alu instid0(VALU_DEP_4) | instskip(NEXT) | instid1(VALU_DEP_4)
	v_add_f32_e32 v7, v7, v41
	v_dual_add_f32 v9, v9, v13 :: v_dual_fma_f32 v17, v248, v152, -v17
	s_delay_alu instid0(VALU_DEP_3) | instskip(NEXT) | instid1(VALU_DEP_3)
	v_dual_fmac_f32 v45, v249, v152 :: v_dual_fmac_f32 v47, v251, v154
	v_add_f32_e32 v7, v7, v43
	s_delay_alu instid0(VALU_DEP_3)
	v_dual_add_f32 v9, v9, v15 :: v_dual_fma_f32 v19, v250, v154, -v19
	s_set_vgpr_msb 1                        ;  msbs: dst=0 src0=1 src1=0 src2=0
	v_dual_mul_f32 v53, v0 /*v256*/, v161 :: v_dual_mul_f32 v55, v2 /*v258*/, v163
	s_set_vgpr_msb 0                        ;  msbs: dst=0 src0=0 src1=0 src2=0
	v_add_f32_e32 v7, v7, v45
	v_dual_add_f32 v9, v9, v17 :: v_dual_fma_f32 v21, v252, v156, -v21
	v_dual_fmac_f32 v49, v253, v156 :: v_dual_fmac_f32 v51, v255, v158
	s_delay_alu instid0(VALU_DEP_3) | instskip(NEXT) | instid1(VALU_DEP_3)
	v_add_f32_e32 v7, v7, v47
	v_dual_add_f32 v9, v9, v19 :: v_dual_fma_f32 v23, v254, v158, -v23
	s_set_vgpr_msb 1                        ;  msbs: dst=0 src0=1 src1=0 src2=0
	v_dual_mul_f32 v11, v1 /*v257*/, v161 :: v_dual_mul_f32 v13, v3 /*v259*/, v163
	s_set_vgpr_msb 0                        ;  msbs: dst=0 src0=0 src1=0 src2=0
	v_add_f32_e32 v7, v7, v49
	s_wait_loadcnt 0x5
	v_dual_add_f32 v9, v9, v21 :: v_dual_mul_f32 v21, v199, v171
	s_set_vgpr_msb 1                        ;  msbs: dst=0 src0=1 src1=0 src2=0
	v_dual_fmac_f32 v53, v1 /*v257*/, v160 :: v_dual_fmac_f32 v55, v3 /*v259*/, v162
	s_set_vgpr_msb 0                        ;  msbs: dst=0 src0=0 src1=0 src2=0
	v_add_f32_e32 v7, v7, v51
	s_set_vgpr_msb 1                        ;  msbs: dst=0 src0=1 src1=0 src2=0
	v_dual_mul_f32 v57, v4 /*v260*/, v165 :: v_dual_mul_f32 v59, v6 /*v262*/, v167
	v_dual_mul_f32 v19, v9 /*v265*/, v169 :: v_dual_fma_f32 v11, v0 /*v256*/, v160, -v11
	s_set_vgpr_msb 0                        ;  msbs: dst=0 src0=0 src1=0 src2=0
	v_add_f32_e32 v9, v9, v23
	v_mul_f32_e32 v23, v201, v173
	v_add_f32_e32 v7, v7, v53
	s_set_vgpr_msb 1                        ;  msbs: dst=0 src0=1 src1=0 src2=0
	v_dual_mul_f32 v15, v5 /*v261*/, v165 :: v_dual_mul_f32 v17, v7 /*v263*/, v167
	v_fma_f32 v13, v2 /*v258*/, v162, -v13
	v_dual_fmac_f32 v57, v5 /*v261*/, v164 :: v_dual_fmac_f32 v59, v7 /*v263*/, v166
	s_set_vgpr_msb 0                        ;  msbs: dst=0 src0=0 src1=0 src2=0
	v_add_f32_e32 v7, v7, v55
	v_add_f32_e32 v9, v9, v11
	s_set_vgpr_msb 1                        ;  msbs: dst=0 src0=1 src1=0 src2=0
	v_fma_f32 v11, v4 /*v260*/, v164, -v15
	v_fmac_f32_e32 v61, v9 /*v265*/, v168
	s_set_vgpr_msb 64                       ;  msbs: dst=1 src0=0 src1=0 src2=0
	v_dual_mul_f32 v21 /*v277*/, v198, v171 :: v_dual_mul_f32 v23 /*v279*/, v200, v173
	s_set_vgpr_msb 0                        ;  msbs: dst=0 src0=0 src1=0 src2=0
	v_add_f32_e32 v7, v7, v57
	v_add_f32_e32 v9, v9, v13
	s_wait_loadcnt 0x4
	v_mov_b32_e32 v116, v177
	s_set_vgpr_msb 1                        ;  msbs: dst=0 src0=1 src1=0 src2=0
	v_fma_f32 v13, v6 /*v262*/, v166, -v17
	s_set_vgpr_msb 0                        ;  msbs: dst=0 src0=0 src1=0 src2=0
	v_pk_mul_f32 v[114:115], v[190:191], v[174:175] op_sel:[1,1] op_sel_hi:[0,1]
	v_add_f32_e32 v7, v7, v59
	v_add_f32_e32 v9, v9, v11
	s_set_vgpr_msb 1                        ;  msbs: dst=0 src0=1 src1=0 src2=0
	v_fma_f32 v11, v8 /*v264*/, v168, -v19
	s_set_vgpr_msb 64                       ;  msbs: dst=1 src0=0 src1=0 src2=0
	v_dual_fmac_f32 v21 /*v277*/, v199, v170 :: v_dual_fmac_f32 v23 /*v279*/, v201, v172
	s_set_vgpr_msb 0                        ;  msbs: dst=0 src0=0 src1=0 src2=0
	v_add_f32_e32 v123, v7, v61
	v_add_f32_e32 v9, v9, v13
	s_set_vgpr_msb 64                       ;  msbs: dst=1 src0=0 src1=0 src2=0
	v_dual_fma_f32 v20 /*v276*/, v198, v170, -v21 :: v_dual_fma_f32 v22 /*v278*/, v200, v172, -v23
	s_set_vgpr_msb 0                        ;  msbs: dst=0 src0=0 src1=0 src2=0
	v_pk_fma_f32 v[124:125], v[190:191], v[174:175], v[114:115] op_sel_hi:[1,0,1]
	s_set_vgpr_msb 1                        ;  msbs: dst=0 src0=1 src1=0 src2=0
	v_pk_mul_f32 v[116:117], v[12:13] /*v[268:269]*/, v[116:117] op_sel_hi:[1,0]
	s_set_vgpr_msb 0                        ;  msbs: dst=0 src0=0 src1=0 src2=0
	v_add_f32_e32 v122, v9, v11
	v_pk_fma_f32 v[114:115], v[190:191], v[174:175], v[114:115] neg_lo:[0,0,1] neg_hi:[0,0,1]
	s_wait_loadcnt 0x3
	v_pk_mul_f32 v[118:119], v[194:195], v[178:179] op_sel:[1,1] op_sel_hi:[0,1]
	v_dual_mov_b32 v120, v181 :: v_dual_mov_b32 v115, v125
	s_set_vgpr_msb 4                        ;  msbs: dst=0 src0=0 src1=1 src2=0
	v_pk_add_f32 v[122:123], v[122:123], v[20:21] /*v[276:277]*/
	s_set_vgpr_msb 0                        ;  msbs: dst=0 src0=0 src1=0 src2=0
	v_pk_fma_f32 v[124:125], v[192:193], v[176:177], v[116:117] op_sel_hi:[1,0,1]
	v_pk_fma_f32 v[116:117], v[192:193], v[176:177], v[116:117] neg_lo:[0,0,1] neg_hi:[0,0,1]
	v_pk_fma_f32 v[128:129], v[194:195], v[178:179], v[118:119] op_sel_hi:[1,0,1]
	s_set_vgpr_msb 1                        ;  msbs: dst=0 src0=1 src1=0 src2=0
	v_pk_mul_f32 v[120:121], v[14:15] /*v[270:271]*/, v[120:121] op_sel_hi:[1,0]
	s_set_vgpr_msb 4                        ;  msbs: dst=0 src0=0 src1=1 src2=0
	v_pk_add_f32 v[122:123], v[122:123], v[22:23] /*v[278:279]*/
	v_mov_b32_e32 v117, v125
	s_wait_loadcnt 0x2
	s_set_vgpr_msb 0                        ;  msbs: dst=0 src0=0 src1=0 src2=0
	v_pk_mul_f32 v[126:127], v[202:203], v[182:183] op_sel:[1,1] op_sel_hi:[0,1]
	v_pk_fma_f32 v[118:119], v[194:195], v[178:179], v[118:119] neg_lo:[0,0,1] neg_hi:[0,0,1]
	v_pk_fma_f32 v[124:125], v[196:197], v[180:181], v[120:121] op_sel_hi:[1,0,1]
	v_pk_add_f32 v[114:115], v[122:123], v[114:115]
	v_dual_mov_b32 v122, v185 :: v_dual_mov_b32 v119, v129
	v_pk_fma_f32 v[120:121], v[196:197], v[180:181], v[120:121] neg_lo:[0,0,1] neg_hi:[0,0,1]
	s_delay_alu instid0(VALU_DEP_4) | instskip(NEXT) | instid1(VALU_DEP_4)
	v_mov_b32_e32 v121, v125
	v_pk_add_f32 v[114:115], v[114:115], v[116:117]
	v_pk_fma_f32 v[116:117], v[202:203], v[182:183], v[126:127] op_sel_hi:[1,0,1]
	s_set_vgpr_msb 1                        ;  msbs: dst=0 src0=1 src1=0 src2=0
	v_pk_mul_f32 v[122:123], v[16:17] /*v[272:273]*/, v[122:123] op_sel_hi:[1,0]
	s_set_vgpr_msb 0                        ;  msbs: dst=0 src0=0 src1=0 src2=0
	v_pk_fma_f32 v[124:125], v[202:203], v[182:183], v[126:127] neg_lo:[0,0,1] neg_hi:[0,0,1]
	v_pk_add_f32 v[114:115], v[114:115], v[118:119]
	v_mov_b32_e32 v125, v117
	v_pk_fma_f32 v[116:117], v[204:205], v[184:185], v[122:123] op_sel_hi:[1,0,1]
	s_wait_loadcnt 0x1
	v_pk_mul_f32 v[118:119], v[206:207], v[186:187] op_sel:[1,1] op_sel_hi:[0,1]
	v_mov_b32_e32 v116, v189
	v_pk_add_f32 v[114:115], v[114:115], v[120:121]
	v_pk_fma_f32 v[122:123], v[204:205], v[184:185], v[122:123] neg_lo:[0,0,1] neg_hi:[0,0,1]
	s_delay_alu instid0(VALU_DEP_4) | instskip(SKIP_1) | instid1(VALU_DEP_4)
	v_pk_fma_f32 v[120:121], v[206:207], v[186:187], v[118:119] op_sel_hi:[1,0,1]
	v_mov_b32_e32 v123, v117
	v_pk_add_f32 v[114:115], v[114:115], v[124:125]
	s_set_vgpr_msb 1                        ;  msbs: dst=0 src0=1 src1=0 src2=0
	v_pk_mul_f32 v[116:117], v[18:19] /*v[274:275]*/, v[116:117] op_sel_hi:[1,0]
	s_set_vgpr_msb 0                        ;  msbs: dst=0 src0=0 src1=0 src2=0
	v_pk_fma_f32 v[118:119], v[206:207], v[186:187], v[118:119] neg_lo:[0,0,1] neg_hi:[0,0,1]
	v_mov_b32_e32 v119, v121
	v_pk_add_f32 v[114:115], v[114:115], v[122:123]
	v_pk_fma_f32 v[120:121], v[208:209], v[188:189], v[116:117] op_sel_hi:[1,0,1]
	v_pk_fma_f32 v[116:117], v[208:209], v[188:189], v[116:117] neg_lo:[0,0,1] neg_hi:[0,0,1]
	s_delay_alu instid0(VALU_DEP_3) | instskip(NEXT) | instid1(VALU_DEP_3)
	v_pk_add_f32 v[114:115], v[114:115], v[118:119]
	v_mov_b32_e32 v117, v121
	s_delay_alu instid0(VALU_DEP_1) | instskip(SKIP_2) | instid1(VALU_DEP_1)
	v_pk_add_f32 v[114:115], v[114:115], v[116:117]
	s_wait_loadcnt 0x0
	s_set_vgpr_msb 1                        ;  msbs: dst=0 src0=1 src1=0 src2=0
	v_pk_add_f32 v[114:115], v[10:11] /*v[266:267]*/, v[114:115] neg_lo:[0,1] neg_hi:[0,1]
	scratch_store_b64 off, v[114:115], off offset:136
	s_wait_xcnt 0x0
	v_cmpx_lt_u32_e32 16, v0
	s_set_vgpr_msb 0                        ;  msbs: dst=0 src0=0 src1=0 src2=0
	s_cbranch_execz .LBB119_317
; %bb.316:
	scratch_load_b64 v[114:115], off, off offset:128
	v_mov_b64_e32 v[116:117], 0
	scratch_store_b64 off, v[116:117], off offset:128
	s_wait_loadcnt 0x0
	ds_store_b64 v1, v[114:115]
.LBB119_317:
	s_wait_xcnt 0x0
	s_or_b32 exec_lo, exec_lo, s0
	s_wait_storecnt_dscnt 0x0
	s_barrier_signal -1
	s_barrier_wait -1
	s_clause 0xf
	scratch_load_b128 v[118:121], off, off offset:136
	scratch_load_b128 v[126:129], off, off offset:152
	;; [unrolled: 1-line block ×16, first 2 shown]
	v_mov_b32_e32 v7, 0
	s_mov_b32 s0, exec_lo
	ds_load_2addr_b64 v[114:117], v7 offset0:73 offset1:74
	ds_load_2addr_b64 v[122:125], v7 offset0:75 offset1:76
	s_wait_loadcnt_dscnt 0xf01
	v_dual_mul_f32 v9, v114, v119 :: v_dual_mul_f32 v11, v116, v121
	ds_load_2addr_b64 v[130:133], v7 offset0:77 offset1:78
	ds_load_2addr_b64 v[138:141], v7 offset0:79 offset1:80
	;; [unrolled: 1-line block ×4, first 2 shown]
	v_dual_fmac_f32 v9, v115, v118 :: v_dual_fmac_f32 v11, v117, v120
	ds_load_2addr_b64 v[146:149], v7 offset0:81 offset1:82
	ds_load_2addr_b64 v[154:157], v7 offset0:83 offset1:84
	ds_load_2addr_b64 v[162:165], v7 offset0:85 offset1:86
	ds_load_2addr_b64 v[170:173], v7 offset0:87 offset1:88
	v_add_f32_e32 v9, 0, v9
	ds_load_2addr_b64 v[178:181], v7 offset0:89 offset1:90
	ds_load_2addr_b64 v[186:189], v7 offset0:91 offset1:92
	ds_load_2addr_b64 v[194:197], v7 offset0:93 offset1:94
	ds_load_2addr_b64 v[202:205], v7 offset0:95 offset1:96
	v_add_f32_e32 v9, v9, v11
	s_wait_loadcnt_dscnt 0xe0c
	v_mul_f32_e32 v11, v122, v127
	ds_load_2addr_b64 v[210:213], v7 offset0:97 offset1:98
	ds_load_2addr_b64 v[218:221], v7 offset0:99 offset1:100
	s_clause 0x4
	scratch_load_b128 v[242:245], off, off offset:392
	scratch_load_b128 v[246:249], off, off offset:408
	;; [unrolled: 1-line block ×3, first 2 shown]
	s_set_vgpr_msb 64                       ;  msbs: dst=1 src0=0 src1=0 src2=0
	scratch_load_b64 v[4:5] /*v[260:261]*/, off, off offset:440
	s_set_vgpr_msb 0                        ;  msbs: dst=0 src0=0 src1=0 src2=0
	v_fmac_f32_e32 v11, v123, v126
	s_wait_loadcnt_dscnt 0x40a
	s_set_vgpr_msb 64                       ;  msbs: dst=1 src0=0 src1=0 src2=0
	v_dual_mul_f32 v1 /*v257*/, v228, v233 :: v_dual_mul_f32 v3 /*v259*/, v234, v239
	s_set_vgpr_msb 0                        ;  msbs: dst=0 src0=0 src1=0 src2=0
	v_dual_add_f32 v9, v9, v11 :: v_dual_mul_f32 v11, v124, v129
	s_set_vgpr_msb 64                       ;  msbs: dst=1 src0=0 src1=0 src2=0
	s_delay_alu instid0(VALU_DEP_2) | instskip(SKIP_1) | instid1(VALU_DEP_2)
	v_dual_fmac_f32 v1 /*v257*/, v229, v232 :: v_dual_fmac_f32 v3 /*v259*/, v235, v238
	s_set_vgpr_msb 0                        ;  msbs: dst=0 src0=0 src1=0 src2=0
	v_fmac_f32_e32 v11, v125, v128
	s_delay_alu instid0(VALU_DEP_1) | instskip(SKIP_1) | instid1(VALU_DEP_1)
	v_add_f32_e32 v9, v9, v11
	v_mul_f32_e32 v11, v130, v135
	v_fmac_f32_e32 v11, v131, v134
	s_delay_alu instid0(VALU_DEP_1) | instskip(NEXT) | instid1(VALU_DEP_1)
	v_dual_add_f32 v9, v9, v11 :: v_dual_mul_f32 v11, v132, v137
	v_fmac_f32_e32 v11, v133, v136
	s_delay_alu instid0(VALU_DEP_1) | instskip(SKIP_1) | instid1(VALU_DEP_1)
	v_add_f32_e32 v9, v9, v11
	v_mul_f32_e32 v11, v138, v143
	v_fmac_f32_e32 v11, v139, v142
	s_delay_alu instid0(VALU_DEP_1) | instskip(NEXT) | instid1(VALU_DEP_1)
	v_dual_add_f32 v9, v9, v11 :: v_dual_mul_f32 v11, v140, v145
	v_fmac_f32_e32 v11, v141, v144
	s_delay_alu instid0(VALU_DEP_1) | instskip(SKIP_2) | instid1(VALU_DEP_1)
	v_add_f32_e32 v9, v9, v11
	s_wait_dscnt 0x9
	v_mul_f32_e32 v11, v146, v151
	v_fmac_f32_e32 v11, v147, v150
	s_delay_alu instid0(VALU_DEP_1) | instskip(NEXT) | instid1(VALU_DEP_1)
	v_dual_add_f32 v9, v9, v11 :: v_dual_mul_f32 v11, v148, v153
	v_fmac_f32_e32 v11, v149, v152
	s_delay_alu instid0(VALU_DEP_1) | instskip(SKIP_2) | instid1(VALU_DEP_1)
	v_add_f32_e32 v9, v9, v11
	s_wait_dscnt 0x8
	;; [unrolled: 8-line block ×10, first 2 shown]
	v_mul_f32_e32 v11, v218, v223
	v_fmac_f32_e32 v11, v219, v222
	s_delay_alu instid0(VALU_DEP_1) | instskip(NEXT) | instid1(VALU_DEP_1)
	v_dual_add_f32 v9, v9, v11 :: v_dual_mul_f32 v11, v220, v225
	v_fmac_f32_e32 v11, v221, v224
	s_delay_alu instid0(VALU_DEP_1) | instskip(SKIP_1) | instid1(VALU_DEP_1)
	v_add_f32_e32 v9, v9, v11
	v_mul_f32_e32 v11, v226, v231
	v_fmac_f32_e32 v11, v227, v230
	s_delay_alu instid0(VALU_DEP_1) | instskip(SKIP_1) | instid1(VALU_DEP_1)
	v_add_f32_e32 v255, v9, v11
	v_dual_mul_f32 v9, v115, v119 :: v_dual_mul_f32 v11, v117, v121
	v_dual_fma_f32 v9, v114, v118, -v9 :: v_dual_fma_f32 v11, v116, v120, -v11
	s_delay_alu instid0(VALU_DEP_1) | instskip(NEXT) | instid1(VALU_DEP_1)
	v_add_f32_e32 v9, 0, v9
	v_add_f32_e32 v9, v9, v11
	v_mul_f32_e32 v11, v123, v127
	s_delay_alu instid0(VALU_DEP_1) | instskip(NEXT) | instid1(VALU_DEP_1)
	v_fma_f32 v11, v122, v126, -v11
	v_add_f32_e32 v9, v9, v11
	v_mul_f32_e32 v11, v125, v129
	s_delay_alu instid0(VALU_DEP_1)
	v_fma_f32 v11, v124, v128, -v11
	ds_load_2addr_b64 v[114:117], v7 offset0:105 offset1:106
	ds_load_2addr_b64 v[118:121], v7 offset0:107 offset1:108
	;; [unrolled: 1-line block ×3, first 2 shown]
	ds_load_b64 v[126:127], v7 offset:888
	v_add_f32_e32 v9, v9, v11
	v_dual_mul_f32 v11, v131, v135 :: v_dual_mov_b32 v131, v236
	s_delay_alu instid0(VALU_DEP_1) | instskip(NEXT) | instid1(VALU_DEP_1)
	v_dual_fma_f32 v11, v130, v134, -v11 :: v_dual_mov_b32 v130, v237
	v_add_f32_e32 v9, v9, v11
	v_mul_f32_e32 v11, v133, v137
	s_delay_alu instid0(VALU_DEP_1) | instskip(NEXT) | instid1(VALU_DEP_1)
	v_dual_fma_f32 v11, v132, v136, -v11 :: v_dual_mov_b32 v132, v241
	v_add_f32_e32 v9, v9, v11
	v_mul_f32_e32 v11, v139, v143
	s_delay_alu instid0(VALU_DEP_3) | instskip(NEXT) | instid1(VALU_DEP_2)
	v_pk_mul_f32 v[130:131], v[130:131], v[132:133] op_sel_hi:[1,0]
	v_fma_f32 v11, v138, v142, -v11
	s_delay_alu instid0(VALU_DEP_2) | instskip(SKIP_1) | instid1(VALU_DEP_3)
	v_pk_fma_f32 v[132:133], v[236:237], v[240:241], v[130:131] neg_lo:[0,0,1] neg_hi:[0,0,1]
	v_pk_fma_f32 v[130:131], v[236:237], v[240:241], v[130:131] op_sel_hi:[1,0,1]
	v_add_f32_e32 v9, v9, v11
	s_delay_alu instid0(VALU_DEP_2) | instskip(SKIP_2) | instid1(VALU_DEP_2)
	v_dual_mul_f32 v11, v141, v145 :: v_dual_mov_b32 v133, v131
	s_wait_loadcnt_dscnt 0x303
	v_pk_mul_f32 v[130:131], v[114:115], v[242:243] op_sel:[1,1] op_sel_hi:[0,1]
	v_fma_f32 v11, v140, v144, -v11
	s_delay_alu instid0(VALU_DEP_1) | instskip(SKIP_1) | instid1(VALU_DEP_1)
	v_add_f32_e32 v9, v9, v11
	v_mul_f32_e32 v11, v147, v151
	v_fma_f32 v11, v146, v150, -v11
	s_delay_alu instid0(VALU_DEP_1) | instskip(SKIP_1) | instid1(VALU_DEP_1)
	v_add_f32_e32 v9, v9, v11
	v_mul_f32_e32 v11, v149, v153
	;; [unrolled: 4-line block ×21, first 2 shown]
	v_fma_f32 v11, v226, v230, -v11
	s_delay_alu instid0(VALU_DEP_1) | instskip(SKIP_2) | instid1(VALU_DEP_1)
	v_add_f32_e32 v254, v9, v11
	v_mul_f32_e32 v9, v229, v233
	s_set_vgpr_msb 64                       ;  msbs: dst=1 src0=0 src1=0 src2=0
	v_fma_f32 v0 /*v256*/, v228, v232, -v9
	s_set_vgpr_msb 0                        ;  msbs: dst=0 src0=0 src1=0 src2=0
	v_mul_f32_e32 v9, v235, v239
	s_set_vgpr_msb 64                       ;  msbs: dst=1 src0=0 src1=0 src2=0
	s_delay_alu instid0(VALU_DEP_1) | instskip(SKIP_2) | instid1(VALU_DEP_1)
	v_fma_f32 v2 /*v258*/, v234, v238, -v9
	s_set_vgpr_msb 4                        ;  msbs: dst=0 src0=0 src1=1 src2=0
	v_pk_add_f32 v[128:129], v[254:255], v[0:1] /*v[256:257]*/
	v_pk_add_f32 v[128:129], v[128:129], v[2:3] /*v[258:259]*/
	s_set_vgpr_msb 0                        ;  msbs: dst=0 src0=0 src1=0 src2=0
	s_delay_alu instid0(VALU_DEP_1) | instskip(SKIP_2) | instid1(VALU_DEP_1)
	v_pk_add_f32 v[128:129], v[128:129], v[132:133]
	v_pk_fma_f32 v[132:133], v[114:115], v[242:243], v[130:131] neg_lo:[0,0,1] neg_hi:[0,0,1]
	v_pk_fma_f32 v[114:115], v[114:115], v[242:243], v[130:131] op_sel_hi:[1,0,1]
	v_dual_mov_b32 v130, v245 :: v_dual_mov_b32 v133, v115
	s_delay_alu instid0(VALU_DEP_1) | instskip(SKIP_1) | instid1(VALU_DEP_1)
	v_pk_add_f32 v[114:115], v[128:129], v[132:133]
	v_dual_mov_b32 v128, v117 :: v_dual_mov_b32 v129, v116
	v_pk_mul_f32 v[128:129], v[128:129], v[130:131] op_sel_hi:[1,0]
	s_delay_alu instid0(VALU_DEP_1) | instskip(SKIP_1) | instid1(VALU_DEP_1)
	v_pk_fma_f32 v[130:131], v[116:117], v[244:245], v[128:129] neg_lo:[0,0,1] neg_hi:[0,0,1]
	v_pk_fma_f32 v[116:117], v[116:117], v[244:245], v[128:129] op_sel_hi:[1,0,1]
	v_mov_b32_e32 v131, v117
	s_wait_loadcnt_dscnt 0x202
	v_pk_mul_f32 v[116:117], v[118:119], v[246:247] op_sel:[1,1] op_sel_hi:[0,1]
	s_delay_alu instid0(VALU_DEP_2) | instskip(NEXT) | instid1(VALU_DEP_2)
	v_pk_add_f32 v[114:115], v[114:115], v[130:131]
	v_pk_fma_f32 v[128:129], v[118:119], v[246:247], v[116:117] neg_lo:[0,0,1] neg_hi:[0,0,1]
	v_pk_fma_f32 v[116:117], v[118:119], v[246:247], v[116:117] op_sel_hi:[1,0,1]
	v_dual_mov_b32 v116, v121 :: v_dual_mov_b32 v118, v249
	s_delay_alu instid0(VALU_DEP_2) | instskip(NEXT) | instid1(VALU_DEP_1)
	v_dual_mov_b32 v129, v117 :: v_dual_mov_b32 v117, v120
	v_pk_add_f32 v[114:115], v[114:115], v[128:129]
	s_delay_alu instid0(VALU_DEP_2) | instskip(NEXT) | instid1(VALU_DEP_1)
	v_pk_mul_f32 v[116:117], v[116:117], v[118:119] op_sel_hi:[1,0]
	v_pk_fma_f32 v[118:119], v[120:121], v[248:249], v[116:117] neg_lo:[0,0,1] neg_hi:[0,0,1]
	v_pk_fma_f32 v[116:117], v[120:121], v[248:249], v[116:117] op_sel_hi:[1,0,1]
	s_delay_alu instid0(VALU_DEP_1) | instskip(SKIP_2) | instid1(VALU_DEP_2)
	v_mov_b32_e32 v119, v117
	s_wait_loadcnt_dscnt 0x101
	v_pk_mul_f32 v[116:117], v[122:123], v[250:251] op_sel:[1,1] op_sel_hi:[0,1]
	v_pk_add_f32 v[114:115], v[114:115], v[118:119]
	s_delay_alu instid0(VALU_DEP_2) | instskip(SKIP_1) | instid1(VALU_DEP_1)
	v_pk_fma_f32 v[118:119], v[122:123], v[250:251], v[116:117] neg_lo:[0,0,1] neg_hi:[0,0,1]
	v_pk_fma_f32 v[116:117], v[122:123], v[250:251], v[116:117] op_sel_hi:[1,0,1]
	v_dual_mov_b32 v116, v125 :: v_dual_mov_b32 v119, v117
	v_mov_b32_e32 v117, v124
	s_delay_alu instid0(VALU_DEP_2) | instskip(SKIP_1) | instid1(VALU_DEP_1)
	v_pk_add_f32 v[114:115], v[114:115], v[118:119]
	v_mov_b32_e32 v118, v253
	v_pk_mul_f32 v[116:117], v[116:117], v[118:119] op_sel_hi:[1,0]
	s_delay_alu instid0(VALU_DEP_1) | instskip(SKIP_1) | instid1(VALU_DEP_1)
	v_pk_fma_f32 v[118:119], v[124:125], v[252:253], v[116:117] neg_lo:[0,0,1] neg_hi:[0,0,1]
	v_pk_fma_f32 v[116:117], v[124:125], v[252:253], v[116:117] op_sel_hi:[1,0,1]
	v_mov_b32_e32 v119, v117
	s_wait_loadcnt_dscnt 0x0
	s_set_vgpr_msb 4                        ;  msbs: dst=0 src0=0 src1=1 src2=0
	v_pk_mul_f32 v[116:117], v[126:127], v[4:5] /*v[260:261]*/ op_sel:[1,1] op_sel_hi:[0,1]
	s_set_vgpr_msb 0                        ;  msbs: dst=0 src0=0 src1=0 src2=0
	v_pk_add_f32 v[114:115], v[114:115], v[118:119]
	s_set_vgpr_msb 4                        ;  msbs: dst=0 src0=0 src1=1 src2=0
	s_delay_alu instid0(VALU_DEP_2) | instskip(SKIP_1) | instid1(VALU_DEP_1)
	v_pk_fma_f32 v[118:119], v[126:127], v[4:5] /*v[260:261]*/, v[116:117] neg_lo:[0,0,1] neg_hi:[0,0,1]
	v_pk_fma_f32 v[116:117], v[126:127], v[4:5] /*v[260:261]*/, v[116:117] op_sel_hi:[1,0,1]
	v_mov_b32_e32 v119, v117
	scratch_load_b64 v[116:117], off, off offset:128
	s_set_vgpr_msb 0                        ;  msbs: dst=0 src0=0 src1=0 src2=0
	v_pk_add_f32 v[114:115], v[114:115], v[118:119]
	s_wait_loadcnt 0x0
	s_delay_alu instid0(VALU_DEP_1)
	v_pk_add_f32 v[114:115], v[116:117], v[114:115] neg_lo:[0,1] neg_hi:[0,1]
	scratch_store_b64 off, v[114:115], off offset:128
	s_wait_xcnt 0x0
	v_cmpx_lt_u32_e32 15, v0
	s_cbranch_execz .LBB119_319
; %bb.318:
	scratch_load_b64 v[114:115], off, off offset:120
	v_mov_b64_e32 v[116:117], 0
	scratch_store_b64 off, v[116:117], off offset:120
	s_wait_loadcnt 0x0
	ds_store_b64 v1, v[114:115]
.LBB119_319:
	s_wait_xcnt 0x0
	s_or_b32 exec_lo, exec_lo, s0
	s_wait_storecnt_dscnt 0x0
	s_barrier_signal -1
	s_barrier_wait -1
	ds_load_b128 v[114:117], v7 offset:576
	ds_load_b128 v[118:121], v7 offset:592
	;; [unrolled: 1-line block ×4, first 2 shown]
	s_clause 0xf
	scratch_load_b128 v[130:133], off, off offset:128
	scratch_load_b128 v[134:137], off, off offset:144
	;; [unrolled: 1-line block ×16, first 2 shown]
	ds_load_b128 v[146:149], v7 offset:640
	ds_load_b128 v[154:157], v7 offset:656
	;; [unrolled: 1-line block ×12, first 2 shown]
	s_clause 0x3
	scratch_load_b128 v[242:245], off, off offset:384
	scratch_load_b128 v[246:249], off, off offset:400
	;; [unrolled: 1-line block ×4, first 2 shown]
	s_mov_b32 s0, exec_lo
	s_wait_loadcnt_dscnt 0x130f
	v_dual_mul_f32 v9, v114, v131 :: v_dual_mul_f32 v11, v116, v133
	s_delay_alu instid0(VALU_DEP_1) | instskip(NEXT) | instid1(VALU_DEP_1)
	v_dual_fmac_f32 v9, v115, v130 :: v_dual_fmac_f32 v11, v117, v132
	v_add_f32_e32 v9, 0, v9
	s_delay_alu instid0(VALU_DEP_1)
	v_add_f32_e32 v9, v9, v11
	s_wait_loadcnt_dscnt 0x120e
	v_mul_f32_e32 v11, v118, v135
	s_wait_loadcnt_dscnt 0x408
	s_set_vgpr_msb 64                       ;  msbs: dst=1 src0=0 src1=0 src2=0
	v_dual_mul_f32 v5 /*v261*/, v234, v239 :: v_dual_mul_f32 v7 /*v263*/, v236, v241
	s_set_vgpr_msb 0                        ;  msbs: dst=0 src0=0 src1=0 src2=0
	v_fmac_f32_e32 v11, v119, v134
	s_set_vgpr_msb 64                       ;  msbs: dst=1 src0=0 src1=0 src2=0
	s_delay_alu instid0(VALU_DEP_2) | instskip(SKIP_1) | instid1(VALU_DEP_2)
	v_dual_fmac_f32 v5 /*v261*/, v235, v238 :: v_dual_fmac_f32 v7 /*v263*/, v237, v240
	s_set_vgpr_msb 0                        ;  msbs: dst=0 src0=0 src1=0 src2=0
	v_dual_add_f32 v9, v9, v11 :: v_dual_mul_f32 v11, v120, v137
	s_delay_alu instid0(VALU_DEP_1) | instskip(NEXT) | instid1(VALU_DEP_1)
	v_fmac_f32_e32 v11, v121, v136
	v_add_f32_e32 v9, v9, v11
	v_mul_f32_e32 v11, v122, v139
	s_delay_alu instid0(VALU_DEP_1) | instskip(NEXT) | instid1(VALU_DEP_1)
	v_fmac_f32_e32 v11, v123, v138
	v_dual_add_f32 v9, v9, v11 :: v_dual_mul_f32 v11, v124, v141
	s_delay_alu instid0(VALU_DEP_1) | instskip(NEXT) | instid1(VALU_DEP_1)
	v_fmac_f32_e32 v11, v125, v140
	v_add_f32_e32 v9, v9, v11
	v_mul_f32_e32 v11, v126, v143
	s_delay_alu instid0(VALU_DEP_1) | instskip(NEXT) | instid1(VALU_DEP_1)
	v_fmac_f32_e32 v11, v127, v142
	;; [unrolled: 7-line block ×4, first 2 shown]
	v_dual_add_f32 v9, v9, v11 :: v_dual_mul_f32 v11, v156, v161
	s_delay_alu instid0(VALU_DEP_1) | instskip(NEXT) | instid1(VALU_DEP_1)
	v_fmac_f32_e32 v11, v157, v160
	v_add_f32_e32 v9, v9, v11
	s_wait_dscnt 0x7
	v_mul_f32_e32 v11, v162, v167
	s_delay_alu instid0(VALU_DEP_1) | instskip(NEXT) | instid1(VALU_DEP_1)
	v_fmac_f32_e32 v11, v163, v166
	v_dual_add_f32 v9, v9, v11 :: v_dual_mul_f32 v11, v164, v169
	s_delay_alu instid0(VALU_DEP_1) | instskip(NEXT) | instid1(VALU_DEP_1)
	v_fmac_f32_e32 v11, v165, v168
	v_add_f32_e32 v9, v9, v11
	s_wait_dscnt 0x6
	v_mul_f32_e32 v11, v170, v175
	s_delay_alu instid0(VALU_DEP_1) | instskip(NEXT) | instid1(VALU_DEP_1)
	v_fmac_f32_e32 v11, v171, v174
	;; [unrolled: 8-line block ×8, first 2 shown]
	v_dual_add_f32 v9, v9, v11 :: v_dual_mul_f32 v11, v220, v225
	s_delay_alu instid0(VALU_DEP_1) | instskip(NEXT) | instid1(VALU_DEP_1)
	v_fmac_f32_e32 v11, v221, v224
	v_add_f32_e32 v9, v9, v11
	v_mul_f32_e32 v11, v226, v231
	s_delay_alu instid0(VALU_DEP_1) | instskip(NEXT) | instid1(VALU_DEP_1)
	v_fmac_f32_e32 v11, v227, v230
	v_dual_add_f32 v9, v9, v11 :: v_dual_mul_f32 v11, v228, v233
	s_delay_alu instid0(VALU_DEP_1) | instskip(SKIP_1) | instid1(VALU_DEP_1)
	v_fmac_f32_e32 v11, v229, v232
	s_set_vgpr_msb 64                       ;  msbs: dst=1 src0=0 src1=0 src2=0
	v_add_f32_e32 v3 /*v259*/, v9, v11
	s_set_vgpr_msb 0                        ;  msbs: dst=0 src0=0 src1=0 src2=0
	v_dual_mul_f32 v9, v115, v131 :: v_dual_mul_f32 v11, v117, v133
	s_delay_alu instid0(VALU_DEP_1) | instskip(NEXT) | instid1(VALU_DEP_1)
	v_dual_fma_f32 v9, v114, v130, -v9 :: v_dual_fma_f32 v11, v116, v132, -v11
	v_add_f32_e32 v9, 0, v9
	s_delay_alu instid0(VALU_DEP_1) | instskip(SKIP_1) | instid1(VALU_DEP_1)
	v_add_f32_e32 v9, v9, v11
	v_mul_f32_e32 v11, v119, v135
	v_fma_f32 v11, v118, v134, -v11
	s_delay_alu instid0(VALU_DEP_1) | instskip(SKIP_1) | instid1(VALU_DEP_1)
	v_add_f32_e32 v9, v9, v11
	v_mul_f32_e32 v11, v121, v137
	v_fma_f32 v11, v120, v136, -v11
	s_delay_alu instid0(VALU_DEP_1) | instskip(SKIP_1) | instid1(VALU_DEP_1)
	v_add_f32_e32 v9, v9, v11
	v_mul_f32_e32 v11, v123, v139
	v_fma_f32 v11, v122, v138, -v11
	s_delay_alu instid0(VALU_DEP_1) | instskip(SKIP_1) | instid1(VALU_DEP_1)
	v_add_f32_e32 v9, v9, v11
	v_mul_f32_e32 v11, v125, v141
	v_fma_f32 v11, v124, v140, -v11
	s_delay_alu instid0(VALU_DEP_1) | instskip(SKIP_1) | instid1(VALU_DEP_1)
	v_add_f32_e32 v9, v9, v11
	v_mul_f32_e32 v11, v127, v143
	v_fma_f32 v11, v126, v142, -v11
	s_delay_alu instid0(VALU_DEP_1) | instskip(SKIP_1) | instid1(VALU_DEP_1)
	v_add_f32_e32 v9, v9, v11
	v_mul_f32_e32 v11, v129, v145
	v_fma_f32 v11, v128, v144, -v11
	ds_load_b128 v[114:117], v7 offset:832
	ds_load_b128 v[118:121], v7 offset:848
	;; [unrolled: 1-line block ×4, first 2 shown]
	v_add_f32_e32 v9, v9, v11
	v_mul_f32_e32 v11, v147, v151
	s_delay_alu instid0(VALU_DEP_1) | instskip(NEXT) | instid1(VALU_DEP_1)
	v_fma_f32 v11, v146, v150, -v11
	v_add_f32_e32 v9, v9, v11
	v_mul_f32_e32 v11, v149, v153
	s_wait_loadcnt_dscnt 0x303
	v_pk_mul_f32 v[132:133], v[114:115], v[242:243] op_sel:[1,1] op_sel_hi:[0,1]
	s_delay_alu instid0(VALU_DEP_2) | instskip(NEXT) | instid1(VALU_DEP_2)
	v_fma_f32 v11, v148, v152, -v11
	v_pk_fma_f32 v[134:135], v[114:115], v[242:243], v[132:133] neg_lo:[0,0,1] neg_hi:[0,0,1]
	v_pk_fma_f32 v[114:115], v[114:115], v[242:243], v[132:133] op_sel_hi:[1,0,1]
	v_mov_b32_e32 v132, v245
	s_delay_alu instid0(VALU_DEP_4) | instskip(SKIP_1) | instid1(VALU_DEP_1)
	v_add_f32_e32 v9, v9, v11
	v_mul_f32_e32 v11, v155, v159
	v_dual_mov_b32 v135, v115 :: v_dual_fma_f32 v11, v154, v158, -v11
	s_delay_alu instid0(VALU_DEP_1) | instskip(SKIP_1) | instid1(VALU_DEP_1)
	v_add_f32_e32 v9, v9, v11
	v_mul_f32_e32 v11, v157, v161
	v_fma_f32 v11, v156, v160, -v11
	s_delay_alu instid0(VALU_DEP_1) | instskip(SKIP_1) | instid1(VALU_DEP_1)
	v_add_f32_e32 v9, v9, v11
	v_mul_f32_e32 v11, v163, v167
	v_fma_f32 v11, v162, v166, -v11
	;; [unrolled: 4-line block ×19, first 2 shown]
	s_set_vgpr_msb 64                       ;  msbs: dst=1 src0=0 src1=0 src2=0
	s_delay_alu instid0(VALU_DEP_1) | instskip(SKIP_3) | instid1(VALU_DEP_1)
	v_add_f32_e32 v2 /*v258*/, v9, v11
	s_set_vgpr_msb 0                        ;  msbs: dst=0 src0=0 src1=0 src2=0
	v_mul_f32_e32 v9, v235, v239
	s_set_vgpr_msb 64                       ;  msbs: dst=1 src0=0 src1=0 src2=0
	v_fma_f32 v4 /*v260*/, v234, v238, -v9
	s_set_vgpr_msb 0                        ;  msbs: dst=0 src0=0 src1=0 src2=0
	v_mul_f32_e32 v9, v237, v241
	s_set_vgpr_msb 5                        ;  msbs: dst=0 src0=1 src1=1 src2=0
	s_delay_alu instid0(VALU_DEP_2) | instskip(SKIP_1) | instid1(VALU_DEP_2)
	v_pk_add_f32 v[130:131], v[2:3] /*v[258:259]*/, v[4:5] /*v[260:261]*/
	s_set_vgpr_msb 64                       ;  msbs: dst=1 src0=0 src1=0 src2=0
	v_fma_f32 v6 /*v262*/, v236, v240, -v9
	s_set_vgpr_msb 4                        ;  msbs: dst=0 src0=0 src1=1 src2=0
	s_delay_alu instid0(VALU_DEP_1) | instskip(SKIP_1) | instid1(VALU_DEP_1)
	v_pk_add_f32 v[130:131], v[130:131], v[6:7] /*v[262:263]*/
	s_set_vgpr_msb 0                        ;  msbs: dst=0 src0=0 src1=0 src2=0
	v_pk_add_f32 v[114:115], v[130:131], v[134:135]
	v_dual_mov_b32 v130, v117 :: v_dual_mov_b32 v131, v116
	s_delay_alu instid0(VALU_DEP_1) | instskip(NEXT) | instid1(VALU_DEP_1)
	v_pk_mul_f32 v[130:131], v[130:131], v[132:133] op_sel_hi:[1,0]
	v_pk_fma_f32 v[132:133], v[116:117], v[244:245], v[130:131] neg_lo:[0,0,1] neg_hi:[0,0,1]
	v_pk_fma_f32 v[116:117], v[116:117], v[244:245], v[130:131] op_sel_hi:[1,0,1]
	s_delay_alu instid0(VALU_DEP_1) | instskip(SKIP_2) | instid1(VALU_DEP_2)
	v_mov_b32_e32 v133, v117
	s_wait_loadcnt_dscnt 0x202
	v_pk_mul_f32 v[116:117], v[118:119], v[246:247] op_sel:[1,1] op_sel_hi:[0,1]
	v_pk_add_f32 v[114:115], v[114:115], v[132:133]
	s_delay_alu instid0(VALU_DEP_2) | instskip(SKIP_2) | instid1(VALU_DEP_2)
	v_pk_fma_f32 v[130:131], v[118:119], v[246:247], v[116:117] neg_lo:[0,0,1] neg_hi:[0,0,1]
	v_pk_fma_f32 v[116:117], v[118:119], v[246:247], v[116:117] op_sel_hi:[1,0,1]
	v_dual_mov_b32 v116, v121 :: v_dual_mov_b32 v118, v249
	v_dual_mov_b32 v131, v117 :: v_dual_mov_b32 v117, v120
	s_delay_alu instid0(VALU_DEP_1) | instskip(NEXT) | instid1(VALU_DEP_2)
	v_pk_add_f32 v[114:115], v[114:115], v[130:131]
	v_pk_mul_f32 v[116:117], v[116:117], v[118:119] op_sel_hi:[1,0]
	s_delay_alu instid0(VALU_DEP_1) | instskip(SKIP_1) | instid1(VALU_DEP_1)
	v_pk_fma_f32 v[118:119], v[120:121], v[248:249], v[116:117] neg_lo:[0,0,1] neg_hi:[0,0,1]
	v_pk_fma_f32 v[116:117], v[120:121], v[248:249], v[116:117] op_sel_hi:[1,0,1]
	v_mov_b32_e32 v119, v117
	s_wait_loadcnt_dscnt 0x101
	v_pk_mul_f32 v[116:117], v[122:123], v[250:251] op_sel:[1,1] op_sel_hi:[0,1]
	s_delay_alu instid0(VALU_DEP_2) | instskip(NEXT) | instid1(VALU_DEP_2)
	v_pk_add_f32 v[114:115], v[114:115], v[118:119]
	v_pk_fma_f32 v[118:119], v[122:123], v[250:251], v[116:117] neg_lo:[0,0,1] neg_hi:[0,0,1]
	v_pk_fma_f32 v[116:117], v[122:123], v[250:251], v[116:117] op_sel_hi:[1,0,1]
	s_delay_alu instid0(VALU_DEP_1) | instskip(SKIP_1) | instid1(VALU_DEP_2)
	v_dual_mov_b32 v116, v125 :: v_dual_mov_b32 v119, v117
	v_mov_b32_e32 v117, v124
	v_pk_add_f32 v[114:115], v[114:115], v[118:119]
	v_mov_b32_e32 v118, v253
	s_delay_alu instid0(VALU_DEP_1) | instskip(NEXT) | instid1(VALU_DEP_1)
	v_pk_mul_f32 v[116:117], v[116:117], v[118:119] op_sel_hi:[1,0]
	v_pk_fma_f32 v[118:119], v[124:125], v[252:253], v[116:117] neg_lo:[0,0,1] neg_hi:[0,0,1]
	v_pk_fma_f32 v[116:117], v[124:125], v[252:253], v[116:117] op_sel_hi:[1,0,1]
	s_delay_alu instid0(VALU_DEP_1) | instskip(SKIP_2) | instid1(VALU_DEP_2)
	v_mov_b32_e32 v119, v117
	s_wait_loadcnt_dscnt 0x0
	v_pk_mul_f32 v[116:117], v[126:127], v[254:255] op_sel:[1,1] op_sel_hi:[0,1]
	v_pk_add_f32 v[114:115], v[114:115], v[118:119]
	s_delay_alu instid0(VALU_DEP_2) | instskip(SKIP_1) | instid1(VALU_DEP_1)
	v_pk_fma_f32 v[118:119], v[126:127], v[254:255], v[116:117] neg_lo:[0,0,1] neg_hi:[0,0,1]
	v_pk_fma_f32 v[116:117], v[126:127], v[254:255], v[116:117] op_sel_hi:[1,0,1]
	v_dual_mov_b32 v116, v129 :: v_dual_mov_b32 v119, v117
	v_mov_b32_e32 v117, v128
	s_delay_alu instid0(VALU_DEP_2) | instskip(SKIP_3) | instid1(VALU_DEP_1)
	v_pk_add_f32 v[114:115], v[114:115], v[118:119]
	s_set_vgpr_msb 1                        ;  msbs: dst=0 src0=1 src1=0 src2=0
	v_mov_b32_e32 v118, v1 /*v257*/
	s_set_vgpr_msb 0                        ;  msbs: dst=0 src0=0 src1=0 src2=0
	v_pk_mul_f32 v[116:117], v[116:117], v[118:119] op_sel_hi:[1,0]
	s_set_vgpr_msb 4                        ;  msbs: dst=0 src0=0 src1=1 src2=0
	s_delay_alu instid0(VALU_DEP_1) | instskip(SKIP_1) | instid1(VALU_DEP_1)
	v_pk_fma_f32 v[118:119], v[128:129], v[0:1] /*v[256:257]*/, v[116:117] neg_lo:[0,0,1] neg_hi:[0,0,1]
	v_pk_fma_f32 v[116:117], v[128:129], v[0:1] /*v[256:257]*/, v[116:117] op_sel_hi:[1,0,1]
	v_mov_b32_e32 v119, v117
	scratch_load_b64 v[116:117], off, off offset:120
	s_set_vgpr_msb 0                        ;  msbs: dst=0 src0=0 src1=0 src2=0
	v_pk_add_f32 v[114:115], v[114:115], v[118:119]
	s_wait_loadcnt 0x0
	s_delay_alu instid0(VALU_DEP_1)
	v_pk_add_f32 v[114:115], v[116:117], v[114:115] neg_lo:[0,1] neg_hi:[0,1]
	scratch_store_b64 off, v[114:115], off offset:120
	s_wait_xcnt 0x0
	v_cmpx_lt_u32_e32 14, v0
	s_cbranch_execz .LBB119_321
; %bb.320:
	scratch_load_b64 v[114:115], off, off offset:112
	v_mov_b64_e32 v[116:117], 0
	scratch_store_b64 off, v[116:117], off offset:112
	s_wait_loadcnt 0x0
	ds_store_b64 v1, v[114:115]
.LBB119_321:
	s_wait_xcnt 0x0
	s_or_b32 exec_lo, exec_lo, s0
	s_wait_storecnt_dscnt 0x0
	s_barrier_signal -1
	s_barrier_wait -1
	s_clause 0xf
	scratch_load_b128 v[118:121], off, off offset:120
	scratch_load_b128 v[126:129], off, off offset:136
	;; [unrolled: 1-line block ×16, first 2 shown]
	v_mov_b32_e32 v7, 0
	scratch_load_b128 v[246:249], off, off offset:376
	s_mov_b32 s0, exec_lo
	ds_load_2addr_b64 v[114:117], v7 offset0:71 offset1:72
	ds_load_2addr_b64 v[122:125], v7 offset0:73 offset1:74
	s_wait_loadcnt_dscnt 0x1001
	v_dual_mul_f32 v9, v114, v119 :: v_dual_mul_f32 v11, v116, v121
	ds_load_2addr_b64 v[130:133], v7 offset0:75 offset1:76
	ds_load_2addr_b64 v[138:141], v7 offset0:77 offset1:78
	;; [unrolled: 1-line block ×4, first 2 shown]
	v_dual_fmac_f32 v9, v115, v118 :: v_dual_fmac_f32 v11, v117, v120
	ds_load_2addr_b64 v[146:149], v7 offset0:79 offset1:80
	ds_load_2addr_b64 v[154:157], v7 offset0:81 offset1:82
	;; [unrolled: 1-line block ×3, first 2 shown]
	v_add_f32_e32 v9, 0, v9
	ds_load_2addr_b64 v[162:165], v7 offset0:83 offset1:84
	ds_load_2addr_b64 v[170:173], v7 offset0:85 offset1:86
	;; [unrolled: 1-line block ×4, first 2 shown]
	v_add_f32_e32 v9, v9, v11
	s_wait_loadcnt_dscnt 0xf0b
	v_mul_f32_e32 v11, v122, v127
	ds_load_2addr_b64 v[194:197], v7 offset0:91 offset1:92
	ds_load_2addr_b64 v[202:205], v7 offset0:93 offset1:94
	ds_load_2addr_b64 v[210:213], v7 offset0:95 offset1:96
	ds_load_2addr_b64 v[218:221], v7 offset0:97 offset1:98
	v_fmac_f32_e32 v11, v123, v126
	s_clause 0x4
	scratch_load_b128 v[250:253], off, off offset:392
	scratch_load_b128 v[254:257], off, off offset:408
	s_set_vgpr_msb 64                       ;  msbs: dst=1 src0=0 src1=0 src2=0
	scratch_load_b128 v[2:5] /*v[258:261]*/, off, off offset:424
	scratch_load_b64 v[12:13] /*v[268:269]*/, off, off offset:440
	s_wait_loadcnt_dscnt 0x50b
	v_mul_f32_e32 v9 /*v265*/, v236, v241
	s_set_vgpr_msb 0                        ;  msbs: dst=0 src0=0 src1=0 src2=0
	v_dual_add_f32 v9, v9, v11 :: v_dual_mul_f32 v11, v124, v129
	s_wait_loadcnt_dscnt 0x408
	s_set_vgpr_msb 64                       ;  msbs: dst=1 src0=0 src1=0 src2=0
	v_dual_fmac_f32 v9 /*v265*/, v237, v240 :: v_dual_mul_f32 v11 /*v267*/, v242, v247
	s_set_vgpr_msb 0                        ;  msbs: dst=0 src0=0 src1=0 src2=0
	v_fmac_f32_e32 v11, v125, v128
	s_delay_alu instid0(VALU_DEP_1) | instskip(SKIP_1) | instid1(VALU_DEP_1)
	v_add_f32_e32 v9, v9, v11
	v_mul_f32_e32 v11, v130, v135
	v_fmac_f32_e32 v11, v131, v134
	s_delay_alu instid0(VALU_DEP_1) | instskip(NEXT) | instid1(VALU_DEP_1)
	v_dual_add_f32 v9, v9, v11 :: v_dual_mul_f32 v11, v132, v137
	v_fmac_f32_e32 v11, v133, v136
	s_delay_alu instid0(VALU_DEP_1) | instskip(SKIP_1) | instid1(VALU_DEP_1)
	v_add_f32_e32 v9, v9, v11
	v_mul_f32_e32 v11, v138, v143
	v_fmac_f32_e32 v11, v139, v142
	s_delay_alu instid0(VALU_DEP_1) | instskip(NEXT) | instid1(VALU_DEP_1)
	v_dual_add_f32 v9, v9, v11 :: v_dual_mul_f32 v11, v140, v145
	;; [unrolled: 7-line block ×4, first 2 shown]
	v_fmac_f32_e32 v11, v157, v160
	s_delay_alu instid0(VALU_DEP_1) | instskip(SKIP_2) | instid1(VALU_DEP_1)
	v_add_f32_e32 v9, v9, v11
	s_wait_dscnt 0x7
	v_mul_f32_e32 v11, v162, v167
	v_fmac_f32_e32 v11, v163, v166
	s_delay_alu instid0(VALU_DEP_1) | instskip(NEXT) | instid1(VALU_DEP_1)
	v_dual_add_f32 v9, v9, v11 :: v_dual_mul_f32 v11, v164, v169
	v_fmac_f32_e32 v11, v165, v168
	s_delay_alu instid0(VALU_DEP_1) | instskip(SKIP_2) | instid1(VALU_DEP_1)
	v_add_f32_e32 v9, v9, v11
	s_wait_dscnt 0x6
	v_mul_f32_e32 v11, v170, v175
	v_fmac_f32_e32 v11, v171, v174
	s_delay_alu instid0(VALU_DEP_1) | instskip(NEXT) | instid1(VALU_DEP_1)
	v_dual_add_f32 v9, v9, v11 :: v_dual_mul_f32 v11, v172, v177
	;; [unrolled: 8-line block ×8, first 2 shown]
	v_fmac_f32_e32 v11, v221, v224
	s_delay_alu instid0(VALU_DEP_1) | instskip(SKIP_1) | instid1(VALU_DEP_1)
	v_add_f32_e32 v9, v9, v11
	v_mul_f32_e32 v11, v226, v231
	v_fmac_f32_e32 v11, v227, v230
	s_delay_alu instid0(VALU_DEP_1) | instskip(NEXT) | instid1(VALU_DEP_1)
	v_dual_add_f32 v9, v9, v11 :: v_dual_mul_f32 v11, v228, v233
	v_fmac_f32_e32 v11, v229, v232
	s_delay_alu instid0(VALU_DEP_1) | instskip(SKIP_1) | instid1(VALU_DEP_1)
	v_add_f32_e32 v9, v9, v11
	v_mul_f32_e32 v11, v234, v239
	v_fmac_f32_e32 v11, v235, v238
	s_set_vgpr_msb 64                       ;  msbs: dst=1 src0=0 src1=0 src2=0
	s_delay_alu instid0(VALU_DEP_1) | instskip(SKIP_2) | instid1(VALU_DEP_1)
	v_add_f32_e32 v7 /*v263*/, v9, v11
	s_set_vgpr_msb 0                        ;  msbs: dst=0 src0=0 src1=0 src2=0
	v_dual_mul_f32 v9, v115, v119 :: v_dual_mul_f32 v11, v117, v121
	v_dual_fma_f32 v9, v114, v118, -v9 :: v_dual_fma_f32 v11, v116, v120, -v11
	s_delay_alu instid0(VALU_DEP_1) | instskip(NEXT) | instid1(VALU_DEP_1)
	v_add_f32_e32 v9, 0, v9
	v_add_f32_e32 v9, v9, v11
	v_mul_f32_e32 v11, v123, v127
	s_delay_alu instid0(VALU_DEP_1) | instskip(NEXT) | instid1(VALU_DEP_1)
	v_fma_f32 v11, v122, v126, -v11
	v_add_f32_e32 v9, v9, v11
	v_mul_f32_e32 v11, v125, v129
	s_delay_alu instid0(VALU_DEP_1)
	v_fma_f32 v11, v124, v128, -v11
	ds_load_2addr_b64 v[114:117], v7 offset0:105 offset1:106
	ds_load_2addr_b64 v[118:121], v7 offset0:107 offset1:108
	ds_load_2addr_b64 v[122:125], v7 offset0:109 offset1:110
	ds_load_b64 v[126:127], v7 offset:888
	v_add_f32_e32 v9, v9, v11
	v_dual_mul_f32 v11, v131, v135 :: v_dual_mov_b32 v131, v244
	s_delay_alu instid0(VALU_DEP_1) | instskip(NEXT) | instid1(VALU_DEP_1)
	v_dual_fma_f32 v11, v130, v134, -v11 :: v_dual_mov_b32 v130, v245
	v_add_f32_e32 v9, v9, v11
	v_mul_f32_e32 v11, v133, v137
	s_delay_alu instid0(VALU_DEP_1) | instskip(NEXT) | instid1(VALU_DEP_1)
	v_dual_fma_f32 v11, v132, v136, -v11 :: v_dual_mov_b32 v132, v249
	v_add_f32_e32 v9, v9, v11
	v_mul_f32_e32 v11, v139, v143
	s_delay_alu instid0(VALU_DEP_3) | instskip(NEXT) | instid1(VALU_DEP_2)
	v_pk_mul_f32 v[130:131], v[130:131], v[132:133] op_sel_hi:[1,0]
	v_fma_f32 v11, v138, v142, -v11
	s_delay_alu instid0(VALU_DEP_2) | instskip(SKIP_1) | instid1(VALU_DEP_3)
	v_pk_fma_f32 v[132:133], v[244:245], v[248:249], v[130:131] neg_lo:[0,0,1] neg_hi:[0,0,1]
	v_pk_fma_f32 v[130:131], v[244:245], v[248:249], v[130:131] op_sel_hi:[1,0,1]
	v_add_f32_e32 v9, v9, v11
	s_delay_alu instid0(VALU_DEP_2) | instskip(SKIP_2) | instid1(VALU_DEP_2)
	v_dual_mul_f32 v11, v141, v145 :: v_dual_mov_b32 v133, v131
	s_wait_loadcnt_dscnt 0x303
	v_pk_mul_f32 v[130:131], v[114:115], v[250:251] op_sel:[1,1] op_sel_hi:[0,1]
	v_fma_f32 v11, v140, v144, -v11
	s_delay_alu instid0(VALU_DEP_1) | instskip(SKIP_1) | instid1(VALU_DEP_1)
	v_add_f32_e32 v9, v9, v11
	v_mul_f32_e32 v11, v147, v151
	v_fma_f32 v11, v146, v150, -v11
	s_delay_alu instid0(VALU_DEP_1) | instskip(SKIP_1) | instid1(VALU_DEP_1)
	v_add_f32_e32 v9, v9, v11
	v_mul_f32_e32 v11, v149, v153
	v_fma_f32 v11, v148, v152, -v11
	s_delay_alu instid0(VALU_DEP_1) | instskip(SKIP_1) | instid1(VALU_DEP_1)
	v_add_f32_e32 v9, v9, v11
	v_mul_f32_e32 v11, v155, v159
	v_fma_f32 v11, v154, v158, -v11
	s_delay_alu instid0(VALU_DEP_1) | instskip(SKIP_1) | instid1(VALU_DEP_1)
	v_add_f32_e32 v9, v9, v11
	v_mul_f32_e32 v11, v157, v161
	v_fma_f32 v11, v156, v160, -v11
	s_delay_alu instid0(VALU_DEP_1) | instskip(SKIP_1) | instid1(VALU_DEP_1)
	v_add_f32_e32 v9, v9, v11
	v_mul_f32_e32 v11, v163, v167
	v_fma_f32 v11, v162, v166, -v11
	s_delay_alu instid0(VALU_DEP_1) | instskip(SKIP_1) | instid1(VALU_DEP_1)
	v_add_f32_e32 v9, v9, v11
	v_mul_f32_e32 v11, v165, v169
	v_fma_f32 v11, v164, v168, -v11
	s_delay_alu instid0(VALU_DEP_1) | instskip(SKIP_1) | instid1(VALU_DEP_1)
	v_add_f32_e32 v9, v9, v11
	v_mul_f32_e32 v11, v171, v175
	v_fma_f32 v11, v170, v174, -v11
	s_delay_alu instid0(VALU_DEP_1) | instskip(SKIP_1) | instid1(VALU_DEP_1)
	v_add_f32_e32 v9, v9, v11
	v_mul_f32_e32 v11, v173, v177
	v_fma_f32 v11, v172, v176, -v11
	s_delay_alu instid0(VALU_DEP_1) | instskip(SKIP_1) | instid1(VALU_DEP_1)
	v_add_f32_e32 v9, v9, v11
	v_mul_f32_e32 v11, v179, v183
	v_fma_f32 v11, v178, v182, -v11
	s_delay_alu instid0(VALU_DEP_1) | instskip(SKIP_1) | instid1(VALU_DEP_1)
	v_add_f32_e32 v9, v9, v11
	v_mul_f32_e32 v11, v181, v185
	v_fma_f32 v11, v180, v184, -v11
	s_delay_alu instid0(VALU_DEP_1) | instskip(SKIP_1) | instid1(VALU_DEP_1)
	v_add_f32_e32 v9, v9, v11
	v_mul_f32_e32 v11, v187, v191
	v_fma_f32 v11, v186, v190, -v11
	s_delay_alu instid0(VALU_DEP_1) | instskip(SKIP_1) | instid1(VALU_DEP_1)
	v_add_f32_e32 v9, v9, v11
	v_mul_f32_e32 v11, v189, v193
	v_fma_f32 v11, v188, v192, -v11
	s_delay_alu instid0(VALU_DEP_1) | instskip(SKIP_1) | instid1(VALU_DEP_1)
	v_add_f32_e32 v9, v9, v11
	v_mul_f32_e32 v11, v195, v199
	v_fma_f32 v11, v194, v198, -v11
	s_delay_alu instid0(VALU_DEP_1) | instskip(SKIP_1) | instid1(VALU_DEP_1)
	v_add_f32_e32 v9, v9, v11
	v_mul_f32_e32 v11, v197, v201
	v_fma_f32 v11, v196, v200, -v11
	s_delay_alu instid0(VALU_DEP_1) | instskip(SKIP_1) | instid1(VALU_DEP_1)
	v_add_f32_e32 v9, v9, v11
	v_mul_f32_e32 v11, v203, v207
	v_fma_f32 v11, v202, v206, -v11
	s_delay_alu instid0(VALU_DEP_1) | instskip(SKIP_1) | instid1(VALU_DEP_1)
	v_add_f32_e32 v9, v9, v11
	v_mul_f32_e32 v11, v205, v209
	v_fma_f32 v11, v204, v208, -v11
	s_delay_alu instid0(VALU_DEP_1) | instskip(SKIP_1) | instid1(VALU_DEP_1)
	v_add_f32_e32 v9, v9, v11
	v_mul_f32_e32 v11, v211, v215
	v_fma_f32 v11, v210, v214, -v11
	s_delay_alu instid0(VALU_DEP_1) | instskip(SKIP_1) | instid1(VALU_DEP_1)
	v_add_f32_e32 v9, v9, v11
	v_mul_f32_e32 v11, v213, v217
	v_fma_f32 v11, v212, v216, -v11
	s_delay_alu instid0(VALU_DEP_1) | instskip(SKIP_1) | instid1(VALU_DEP_1)
	v_add_f32_e32 v9, v9, v11
	v_mul_f32_e32 v11, v219, v223
	v_fma_f32 v11, v218, v222, -v11
	s_delay_alu instid0(VALU_DEP_1) | instskip(SKIP_1) | instid1(VALU_DEP_1)
	v_add_f32_e32 v9, v9, v11
	v_mul_f32_e32 v11, v221, v225
	v_fma_f32 v11, v220, v224, -v11
	s_delay_alu instid0(VALU_DEP_1) | instskip(SKIP_1) | instid1(VALU_DEP_1)
	v_add_f32_e32 v9, v9, v11
	v_mul_f32_e32 v11, v227, v231
	v_fma_f32 v11, v226, v230, -v11
	s_delay_alu instid0(VALU_DEP_1) | instskip(SKIP_1) | instid1(VALU_DEP_1)
	v_add_f32_e32 v9, v9, v11
	v_mul_f32_e32 v11, v229, v233
	v_fma_f32 v11, v228, v232, -v11
	s_delay_alu instid0(VALU_DEP_1) | instskip(SKIP_1) | instid1(VALU_DEP_1)
	v_add_f32_e32 v9, v9, v11
	v_mul_f32_e32 v11, v235, v239
	v_fma_f32 v11, v234, v238, -v11
	s_set_vgpr_msb 64                       ;  msbs: dst=1 src0=0 src1=0 src2=0
	s_delay_alu instid0(VALU_DEP_1) | instskip(SKIP_3) | instid1(VALU_DEP_1)
	v_dual_fmac_f32 v11 /*v267*/, v243, v246 :: v_dual_add_f32 v6 /*v262*/, v9, v11
	s_set_vgpr_msb 0                        ;  msbs: dst=0 src0=0 src1=0 src2=0
	v_mul_f32_e32 v9, v237, v241
	s_set_vgpr_msb 64                       ;  msbs: dst=1 src0=0 src1=0 src2=0
	v_fma_f32 v8 /*v264*/, v236, v240, -v9
	s_set_vgpr_msb 0                        ;  msbs: dst=0 src0=0 src1=0 src2=0
	v_mul_f32_e32 v9, v243, v247
	s_set_vgpr_msb 64                       ;  msbs: dst=1 src0=0 src1=0 src2=0
	s_delay_alu instid0(VALU_DEP_1) | instskip(SKIP_3) | instid1(VALU_DEP_1)
	v_fma_f32 v10 /*v266*/, v242, v246, -v9
	s_set_vgpr_msb 5                        ;  msbs: dst=0 src0=1 src1=1 src2=0
	v_pk_add_f32 v[128:129], v[6:7] /*v[262:263]*/, v[8:9] /*v[264:265]*/
	s_set_vgpr_msb 4                        ;  msbs: dst=0 src0=0 src1=1 src2=0
	v_pk_add_f32 v[128:129], v[128:129], v[10:11] /*v[266:267]*/
	s_set_vgpr_msb 0                        ;  msbs: dst=0 src0=0 src1=0 src2=0
	s_delay_alu instid0(VALU_DEP_1) | instskip(SKIP_2) | instid1(VALU_DEP_1)
	v_pk_add_f32 v[128:129], v[128:129], v[132:133]
	v_pk_fma_f32 v[132:133], v[114:115], v[250:251], v[130:131] neg_lo:[0,0,1] neg_hi:[0,0,1]
	v_pk_fma_f32 v[114:115], v[114:115], v[250:251], v[130:131] op_sel_hi:[1,0,1]
	v_dual_mov_b32 v130, v253 :: v_dual_mov_b32 v133, v115
	s_delay_alu instid0(VALU_DEP_1) | instskip(SKIP_1) | instid1(VALU_DEP_1)
	v_pk_add_f32 v[114:115], v[128:129], v[132:133]
	v_dual_mov_b32 v128, v117 :: v_dual_mov_b32 v129, v116
	v_pk_mul_f32 v[128:129], v[128:129], v[130:131] op_sel_hi:[1,0]
	s_delay_alu instid0(VALU_DEP_1) | instskip(SKIP_1) | instid1(VALU_DEP_1)
	v_pk_fma_f32 v[130:131], v[116:117], v[252:253], v[128:129] neg_lo:[0,0,1] neg_hi:[0,0,1]
	v_pk_fma_f32 v[116:117], v[116:117], v[252:253], v[128:129] op_sel_hi:[1,0,1]
	v_mov_b32_e32 v131, v117
	s_wait_loadcnt_dscnt 0x202
	v_pk_mul_f32 v[116:117], v[118:119], v[254:255] op_sel:[1,1] op_sel_hi:[0,1]
	s_delay_alu instid0(VALU_DEP_2) | instskip(NEXT) | instid1(VALU_DEP_2)
	v_pk_add_f32 v[114:115], v[114:115], v[130:131]
	v_pk_fma_f32 v[128:129], v[118:119], v[254:255], v[116:117] neg_lo:[0,0,1] neg_hi:[0,0,1]
	v_pk_fma_f32 v[116:117], v[118:119], v[254:255], v[116:117] op_sel_hi:[1,0,1]
	v_mov_b32_e32 v116, v121
	s_set_vgpr_msb 1                        ;  msbs: dst=0 src0=1 src1=0 src2=0
	v_mov_b32_e32 v118, v1 /*v257*/
	s_set_vgpr_msb 0                        ;  msbs: dst=0 src0=0 src1=0 src2=0
	v_dual_mov_b32 v129, v117 :: v_dual_mov_b32 v117, v120
	s_delay_alu instid0(VALU_DEP_1) | instskip(NEXT) | instid1(VALU_DEP_2)
	v_pk_add_f32 v[114:115], v[114:115], v[128:129]
	v_pk_mul_f32 v[116:117], v[116:117], v[118:119] op_sel_hi:[1,0]
	s_set_vgpr_msb 4                        ;  msbs: dst=0 src0=0 src1=1 src2=0
	s_delay_alu instid0(VALU_DEP_1) | instskip(SKIP_1) | instid1(VALU_DEP_1)
	v_pk_fma_f32 v[118:119], v[120:121], v[0:1] /*v[256:257]*/, v[116:117] neg_lo:[0,0,1] neg_hi:[0,0,1]
	v_pk_fma_f32 v[116:117], v[120:121], v[0:1] /*v[256:257]*/, v[116:117] op_sel_hi:[1,0,1]
	v_mov_b32_e32 v119, v117
	s_wait_loadcnt_dscnt 0x101
	v_pk_mul_f32 v[116:117], v[122:123], v[2:3] /*v[258:259]*/ op_sel:[1,1] op_sel_hi:[0,1]
	s_set_vgpr_msb 0                        ;  msbs: dst=0 src0=0 src1=0 src2=0
	s_delay_alu instid0(VALU_DEP_2) | instskip(SKIP_1) | instid1(VALU_DEP_2)
	v_pk_add_f32 v[114:115], v[114:115], v[118:119]
	s_set_vgpr_msb 4                        ;  msbs: dst=0 src0=0 src1=1 src2=0
	v_pk_fma_f32 v[118:119], v[122:123], v[2:3] /*v[258:259]*/, v[116:117] neg_lo:[0,0,1] neg_hi:[0,0,1]
	v_pk_fma_f32 v[116:117], v[122:123], v[2:3] /*v[258:259]*/, v[116:117] op_sel_hi:[1,0,1]
	s_delay_alu instid0(VALU_DEP_1) | instskip(SKIP_2) | instid1(VALU_DEP_2)
	v_dual_mov_b32 v116, v125 :: v_dual_mov_b32 v119, v117
	v_mov_b32_e32 v117, v124
	s_set_vgpr_msb 0                        ;  msbs: dst=0 src0=0 src1=0 src2=0
	v_pk_add_f32 v[114:115], v[114:115], v[118:119]
	s_set_vgpr_msb 1                        ;  msbs: dst=0 src0=1 src1=0 src2=0
	v_mov_b32_e32 v118, v5 /*v261*/
	s_set_vgpr_msb 0                        ;  msbs: dst=0 src0=0 src1=0 src2=0
	s_delay_alu instid0(VALU_DEP_1) | instskip(SKIP_1) | instid1(VALU_DEP_1)
	v_pk_mul_f32 v[116:117], v[116:117], v[118:119] op_sel_hi:[1,0]
	s_set_vgpr_msb 4                        ;  msbs: dst=0 src0=0 src1=1 src2=0
	v_pk_fma_f32 v[118:119], v[124:125], v[4:5] /*v[260:261]*/, v[116:117] neg_lo:[0,0,1] neg_hi:[0,0,1]
	v_pk_fma_f32 v[116:117], v[124:125], v[4:5] /*v[260:261]*/, v[116:117] op_sel_hi:[1,0,1]
	s_delay_alu instid0(VALU_DEP_1) | instskip(SKIP_3) | instid1(VALU_DEP_2)
	v_mov_b32_e32 v119, v117
	s_wait_loadcnt_dscnt 0x0
	v_pk_mul_f32 v[116:117], v[126:127], v[12:13] /*v[268:269]*/ op_sel:[1,1] op_sel_hi:[0,1]
	s_set_vgpr_msb 0                        ;  msbs: dst=0 src0=0 src1=0 src2=0
	v_pk_add_f32 v[114:115], v[114:115], v[118:119]
	s_set_vgpr_msb 4                        ;  msbs: dst=0 src0=0 src1=1 src2=0
	s_delay_alu instid0(VALU_DEP_2) | instskip(SKIP_1) | instid1(VALU_DEP_1)
	v_pk_fma_f32 v[118:119], v[126:127], v[12:13] /*v[268:269]*/, v[116:117] neg_lo:[0,0,1] neg_hi:[0,0,1]
	v_pk_fma_f32 v[116:117], v[126:127], v[12:13] /*v[268:269]*/, v[116:117] op_sel_hi:[1,0,1]
	v_mov_b32_e32 v119, v117
	scratch_load_b64 v[116:117], off, off offset:112
	s_set_vgpr_msb 0                        ;  msbs: dst=0 src0=0 src1=0 src2=0
	v_pk_add_f32 v[114:115], v[114:115], v[118:119]
	s_wait_loadcnt 0x0
	s_delay_alu instid0(VALU_DEP_1)
	v_pk_add_f32 v[114:115], v[116:117], v[114:115] neg_lo:[0,1] neg_hi:[0,1]
	scratch_store_b64 off, v[114:115], off offset:112
	s_wait_xcnt 0x0
	v_cmpx_lt_u32_e32 13, v0
	s_cbranch_execz .LBB119_323
; %bb.322:
	scratch_load_b64 v[114:115], off, off offset:104
	v_mov_b64_e32 v[116:117], 0
	scratch_store_b64 off, v[116:117], off offset:104
	s_wait_loadcnt 0x0
	ds_store_b64 v1, v[114:115]
.LBB119_323:
	s_wait_xcnt 0x0
	s_or_b32 exec_lo, exec_lo, s0
	s_wait_storecnt_dscnt 0x0
	s_barrier_signal -1
	s_barrier_wait -1
	ds_load_b128 v[114:117], v7 offset:560
	ds_load_b128 v[118:121], v7 offset:576
	;; [unrolled: 1-line block ×4, first 2 shown]
	s_clause 0x10
	scratch_load_b128 v[130:133], off, off offset:112
	scratch_load_b128 v[134:137], off, off offset:128
	;; [unrolled: 1-line block ×17, first 2 shown]
	ds_load_b128 v[146:149], v7 offset:624
	ds_load_b128 v[154:157], v7 offset:640
	;; [unrolled: 1-line block ×13, first 2 shown]
	s_clause 0x4
	scratch_load_b128 v[250:253], off, off offset:384
	scratch_load_b128 v[254:257], off, off offset:400
	s_set_vgpr_msb 64                       ;  msbs: dst=1 src0=0 src1=0 src2=0
	scratch_load_b128 v[2:5] /*v[258:261]*/, off, off offset:416
	scratch_load_b128 v[6:9] /*v[262:265]*/, off, off offset:432
	s_mov_b32 s0, exec_lo
	s_wait_loadcnt_dscnt 0x1410
	s_set_vgpr_msb 0                        ;  msbs: dst=0 src0=0 src1=0 src2=0
	v_dual_mul_f32 v9, v114, v131 :: v_dual_mul_f32 v11, v116, v133
	s_delay_alu instid0(VALU_DEP_1) | instskip(NEXT) | instid1(VALU_DEP_1)
	v_dual_fmac_f32 v9, v115, v130 :: v_dual_fmac_f32 v11, v117, v132
	v_add_f32_e32 v9, 0, v9
	s_delay_alu instid0(VALU_DEP_1)
	v_add_f32_e32 v9, v9, v11
	s_wait_loadcnt_dscnt 0x130f
	v_mul_f32_e32 v11, v118, v135
	s_wait_loadcnt_dscnt 0x40a
	s_set_vgpr_msb 64                       ;  msbs: dst=1 src0=0 src1=0 src2=0
	v_dual_mul_f32 v13 /*v269*/, v242, v247 :: v_dual_mul_f32 v15 /*v271*/, v244, v249
	s_set_vgpr_msb 0                        ;  msbs: dst=0 src0=0 src1=0 src2=0
	v_fmac_f32_e32 v11, v119, v134
	s_set_vgpr_msb 64                       ;  msbs: dst=1 src0=0 src1=0 src2=0
	s_delay_alu instid0(VALU_DEP_2) | instskip(SKIP_1) | instid1(VALU_DEP_2)
	v_dual_fmac_f32 v13 /*v269*/, v243, v246 :: v_dual_fmac_f32 v15 /*v271*/, v245, v248
	s_set_vgpr_msb 0                        ;  msbs: dst=0 src0=0 src1=0 src2=0
	v_dual_add_f32 v9, v9, v11 :: v_dual_mul_f32 v11, v120, v137
	s_delay_alu instid0(VALU_DEP_1) | instskip(NEXT) | instid1(VALU_DEP_1)
	v_fmac_f32_e32 v11, v121, v136
	v_add_f32_e32 v9, v9, v11
	v_mul_f32_e32 v11, v122, v139
	s_delay_alu instid0(VALU_DEP_1) | instskip(NEXT) | instid1(VALU_DEP_1)
	v_fmac_f32_e32 v11, v123, v138
	v_dual_add_f32 v9, v9, v11 :: v_dual_mul_f32 v11, v124, v141
	s_delay_alu instid0(VALU_DEP_1) | instskip(NEXT) | instid1(VALU_DEP_1)
	v_fmac_f32_e32 v11, v125, v140
	v_add_f32_e32 v9, v9, v11
	v_mul_f32_e32 v11, v126, v143
	s_delay_alu instid0(VALU_DEP_1) | instskip(NEXT) | instid1(VALU_DEP_1)
	v_fmac_f32_e32 v11, v127, v142
	;; [unrolled: 7-line block ×4, first 2 shown]
	v_dual_add_f32 v9, v9, v11 :: v_dual_mul_f32 v11, v156, v161
	s_delay_alu instid0(VALU_DEP_1) | instskip(NEXT) | instid1(VALU_DEP_1)
	v_fmac_f32_e32 v11, v157, v160
	v_add_f32_e32 v9, v9, v11
	s_wait_dscnt 0x9
	v_mul_f32_e32 v11, v162, v167
	s_delay_alu instid0(VALU_DEP_1) | instskip(NEXT) | instid1(VALU_DEP_1)
	v_fmac_f32_e32 v11, v163, v166
	v_dual_add_f32 v9, v9, v11 :: v_dual_mul_f32 v11, v164, v169
	s_delay_alu instid0(VALU_DEP_1) | instskip(NEXT) | instid1(VALU_DEP_1)
	v_fmac_f32_e32 v11, v165, v168
	v_add_f32_e32 v9, v9, v11
	s_wait_dscnt 0x8
	v_mul_f32_e32 v11, v170, v175
	s_delay_alu instid0(VALU_DEP_1) | instskip(NEXT) | instid1(VALU_DEP_1)
	v_fmac_f32_e32 v11, v171, v174
	v_dual_add_f32 v9, v9, v11 :: v_dual_mul_f32 v11, v172, v177
	s_delay_alu instid0(VALU_DEP_1) | instskip(NEXT) | instid1(VALU_DEP_1)
	v_fmac_f32_e32 v11, v173, v176
	v_add_f32_e32 v9, v9, v11
	s_wait_dscnt 0x7
	v_mul_f32_e32 v11, v178, v183
	s_delay_alu instid0(VALU_DEP_1) | instskip(NEXT) | instid1(VALU_DEP_1)
	v_fmac_f32_e32 v11, v179, v182
	v_dual_add_f32 v9, v9, v11 :: v_dual_mul_f32 v11, v180, v185
	s_delay_alu instid0(VALU_DEP_1) | instskip(NEXT) | instid1(VALU_DEP_1)
	v_fmac_f32_e32 v11, v181, v184
	v_add_f32_e32 v9, v9, v11
	s_wait_dscnt 0x6
	v_mul_f32_e32 v11, v186, v191
	s_delay_alu instid0(VALU_DEP_1) | instskip(NEXT) | instid1(VALU_DEP_1)
	v_fmac_f32_e32 v11, v187, v190
	v_dual_add_f32 v9, v9, v11 :: v_dual_mul_f32 v11, v188, v193
	s_delay_alu instid0(VALU_DEP_1) | instskip(NEXT) | instid1(VALU_DEP_1)
	v_fmac_f32_e32 v11, v189, v192
	v_add_f32_e32 v9, v9, v11
	s_wait_dscnt 0x5
	v_mul_f32_e32 v11, v194, v199
	s_delay_alu instid0(VALU_DEP_1) | instskip(NEXT) | instid1(VALU_DEP_1)
	v_fmac_f32_e32 v11, v195, v198
	v_dual_add_f32 v9, v9, v11 :: v_dual_mul_f32 v11, v196, v201
	s_delay_alu instid0(VALU_DEP_1) | instskip(NEXT) | instid1(VALU_DEP_1)
	v_fmac_f32_e32 v11, v197, v200
	v_add_f32_e32 v9, v9, v11
	s_wait_dscnt 0x4
	v_mul_f32_e32 v11, v202, v207
	s_delay_alu instid0(VALU_DEP_1) | instskip(NEXT) | instid1(VALU_DEP_1)
	v_fmac_f32_e32 v11, v203, v206
	v_dual_add_f32 v9, v9, v11 :: v_dual_mul_f32 v11, v204, v209
	s_delay_alu instid0(VALU_DEP_1) | instskip(NEXT) | instid1(VALU_DEP_1)
	v_fmac_f32_e32 v11, v205, v208
	v_add_f32_e32 v9, v9, v11
	s_wait_dscnt 0x3
	v_mul_f32_e32 v11, v210, v215
	s_delay_alu instid0(VALU_DEP_1) | instskip(NEXT) | instid1(VALU_DEP_1)
	v_fmac_f32_e32 v11, v211, v214
	v_dual_add_f32 v9, v9, v11 :: v_dual_mul_f32 v11, v212, v217
	s_delay_alu instid0(VALU_DEP_1) | instskip(NEXT) | instid1(VALU_DEP_1)
	v_fmac_f32_e32 v11, v213, v216
	v_add_f32_e32 v9, v9, v11
	s_wait_dscnt 0x2
	v_mul_f32_e32 v11, v218, v223
	s_delay_alu instid0(VALU_DEP_1) | instskip(NEXT) | instid1(VALU_DEP_1)
	v_fmac_f32_e32 v11, v219, v222
	v_dual_add_f32 v9, v9, v11 :: v_dual_mul_f32 v11, v220, v225
	s_delay_alu instid0(VALU_DEP_1) | instskip(NEXT) | instid1(VALU_DEP_1)
	v_fmac_f32_e32 v11, v221, v224
	v_add_f32_e32 v9, v9, v11
	s_wait_dscnt 0x1
	v_mul_f32_e32 v11, v226, v231
	s_delay_alu instid0(VALU_DEP_1) | instskip(NEXT) | instid1(VALU_DEP_1)
	v_fmac_f32_e32 v11, v227, v230
	v_dual_add_f32 v9, v9, v11 :: v_dual_mul_f32 v11, v228, v233
	s_delay_alu instid0(VALU_DEP_1) | instskip(NEXT) | instid1(VALU_DEP_1)
	v_fmac_f32_e32 v11, v229, v232
	v_add_f32_e32 v9, v9, v11
	s_wait_dscnt 0x0
	v_mul_f32_e32 v11, v234, v239
	s_delay_alu instid0(VALU_DEP_1) | instskip(NEXT) | instid1(VALU_DEP_1)
	v_fmac_f32_e32 v11, v235, v238
	v_dual_add_f32 v9, v9, v11 :: v_dual_mul_f32 v11, v236, v241
	s_delay_alu instid0(VALU_DEP_1) | instskip(SKIP_1) | instid1(VALU_DEP_1)
	v_fmac_f32_e32 v11, v237, v240
	s_set_vgpr_msb 64                       ;  msbs: dst=1 src0=0 src1=0 src2=0
	v_add_f32_e32 v11 /*v267*/, v9, v11
	s_set_vgpr_msb 0                        ;  msbs: dst=0 src0=0 src1=0 src2=0
	v_dual_mul_f32 v9, v115, v131 :: v_dual_mul_f32 v11, v117, v133
	s_delay_alu instid0(VALU_DEP_1) | instskip(NEXT) | instid1(VALU_DEP_1)
	v_dual_fma_f32 v9, v114, v130, -v9 :: v_dual_fma_f32 v11, v116, v132, -v11
	v_add_f32_e32 v9, 0, v9
	s_delay_alu instid0(VALU_DEP_1) | instskip(SKIP_1) | instid1(VALU_DEP_1)
	v_add_f32_e32 v9, v9, v11
	v_mul_f32_e32 v11, v119, v135
	v_fma_f32 v11, v118, v134, -v11
	s_delay_alu instid0(VALU_DEP_1) | instskip(SKIP_1) | instid1(VALU_DEP_1)
	v_add_f32_e32 v9, v9, v11
	v_mul_f32_e32 v11, v121, v137
	v_fma_f32 v11, v120, v136, -v11
	;; [unrolled: 4-line block ×6, first 2 shown]
	ds_load_b128 v[114:117], v7 offset:832
	ds_load_b128 v[118:121], v7 offset:848
	;; [unrolled: 1-line block ×4, first 2 shown]
	v_add_f32_e32 v9, v9, v11
	v_mul_f32_e32 v11, v147, v151
	s_delay_alu instid0(VALU_DEP_1) | instskip(NEXT) | instid1(VALU_DEP_1)
	v_fma_f32 v11, v146, v150, -v11
	v_add_f32_e32 v9, v9, v11
	v_mul_f32_e32 v11, v149, v153
	s_wait_loadcnt_dscnt 0x303
	v_pk_mul_f32 v[132:133], v[114:115], v[250:251] op_sel:[1,1] op_sel_hi:[0,1]
	s_delay_alu instid0(VALU_DEP_2) | instskip(NEXT) | instid1(VALU_DEP_2)
	v_fma_f32 v11, v148, v152, -v11
	v_pk_fma_f32 v[134:135], v[114:115], v[250:251], v[132:133] neg_lo:[0,0,1] neg_hi:[0,0,1]
	v_pk_fma_f32 v[114:115], v[114:115], v[250:251], v[132:133] op_sel_hi:[1,0,1]
	v_mov_b32_e32 v132, v253
	s_delay_alu instid0(VALU_DEP_4) | instskip(SKIP_1) | instid1(VALU_DEP_1)
	v_add_f32_e32 v9, v9, v11
	v_mul_f32_e32 v11, v155, v159
	v_dual_mov_b32 v135, v115 :: v_dual_fma_f32 v11, v154, v158, -v11
	s_delay_alu instid0(VALU_DEP_1) | instskip(SKIP_1) | instid1(VALU_DEP_1)
	v_add_f32_e32 v9, v9, v11
	v_mul_f32_e32 v11, v157, v161
	v_fma_f32 v11, v156, v160, -v11
	s_delay_alu instid0(VALU_DEP_1) | instskip(SKIP_1) | instid1(VALU_DEP_1)
	v_add_f32_e32 v9, v9, v11
	v_mul_f32_e32 v11, v163, v167
	v_fma_f32 v11, v162, v166, -v11
	;; [unrolled: 4-line block ×21, first 2 shown]
	s_set_vgpr_msb 64                       ;  msbs: dst=1 src0=0 src1=0 src2=0
	s_delay_alu instid0(VALU_DEP_1) | instskip(SKIP_3) | instid1(VALU_DEP_1)
	v_add_f32_e32 v10 /*v266*/, v9, v11
	s_set_vgpr_msb 0                        ;  msbs: dst=0 src0=0 src1=0 src2=0
	v_mul_f32_e32 v9, v243, v247
	s_set_vgpr_msb 64                       ;  msbs: dst=1 src0=0 src1=0 src2=0
	v_fma_f32 v12 /*v268*/, v242, v246, -v9
	s_set_vgpr_msb 0                        ;  msbs: dst=0 src0=0 src1=0 src2=0
	v_mul_f32_e32 v9, v245, v249
	s_set_vgpr_msb 5                        ;  msbs: dst=0 src0=1 src1=1 src2=0
	s_delay_alu instid0(VALU_DEP_2) | instskip(SKIP_1) | instid1(VALU_DEP_2)
	v_pk_add_f32 v[130:131], v[10:11] /*v[266:267]*/, v[12:13] /*v[268:269]*/
	s_set_vgpr_msb 64                       ;  msbs: dst=1 src0=0 src1=0 src2=0
	v_fma_f32 v14 /*v270*/, v244, v248, -v9
	s_set_vgpr_msb 4                        ;  msbs: dst=0 src0=0 src1=1 src2=0
	s_delay_alu instid0(VALU_DEP_1) | instskip(SKIP_1) | instid1(VALU_DEP_1)
	v_pk_add_f32 v[130:131], v[130:131], v[14:15] /*v[270:271]*/
	s_set_vgpr_msb 0                        ;  msbs: dst=0 src0=0 src1=0 src2=0
	v_pk_add_f32 v[114:115], v[130:131], v[134:135]
	v_dual_mov_b32 v130, v117 :: v_dual_mov_b32 v131, v116
	s_delay_alu instid0(VALU_DEP_1) | instskip(NEXT) | instid1(VALU_DEP_1)
	v_pk_mul_f32 v[130:131], v[130:131], v[132:133] op_sel_hi:[1,0]
	v_pk_fma_f32 v[132:133], v[116:117], v[252:253], v[130:131] neg_lo:[0,0,1] neg_hi:[0,0,1]
	v_pk_fma_f32 v[116:117], v[116:117], v[252:253], v[130:131] op_sel_hi:[1,0,1]
	s_delay_alu instid0(VALU_DEP_1) | instskip(SKIP_2) | instid1(VALU_DEP_2)
	v_mov_b32_e32 v133, v117
	s_wait_loadcnt_dscnt 0x202
	v_pk_mul_f32 v[116:117], v[118:119], v[254:255] op_sel:[1,1] op_sel_hi:[0,1]
	v_pk_add_f32 v[114:115], v[114:115], v[132:133]
	s_delay_alu instid0(VALU_DEP_2)
	v_pk_fma_f32 v[130:131], v[118:119], v[254:255], v[116:117] neg_lo:[0,0,1] neg_hi:[0,0,1]
	v_pk_fma_f32 v[116:117], v[118:119], v[254:255], v[116:117] op_sel_hi:[1,0,1]
	v_mov_b32_e32 v116, v121
	s_set_vgpr_msb 1                        ;  msbs: dst=0 src0=1 src1=0 src2=0
	v_mov_b32_e32 v118, v1 /*v257*/
	s_set_vgpr_msb 0                        ;  msbs: dst=0 src0=0 src1=0 src2=0
	v_dual_mov_b32 v131, v117 :: v_dual_mov_b32 v117, v120
	s_delay_alu instid0(VALU_DEP_1) | instskip(NEXT) | instid1(VALU_DEP_2)
	v_pk_add_f32 v[114:115], v[114:115], v[130:131]
	v_pk_mul_f32 v[116:117], v[116:117], v[118:119] op_sel_hi:[1,0]
	s_set_vgpr_msb 4                        ;  msbs: dst=0 src0=0 src1=1 src2=0
	s_delay_alu instid0(VALU_DEP_1) | instskip(SKIP_1) | instid1(VALU_DEP_1)
	v_pk_fma_f32 v[118:119], v[120:121], v[0:1] /*v[256:257]*/, v[116:117] neg_lo:[0,0,1] neg_hi:[0,0,1]
	v_pk_fma_f32 v[116:117], v[120:121], v[0:1] /*v[256:257]*/, v[116:117] op_sel_hi:[1,0,1]
	v_mov_b32_e32 v119, v117
	s_wait_loadcnt_dscnt 0x101
	v_pk_mul_f32 v[116:117], v[122:123], v[2:3] /*v[258:259]*/ op_sel:[1,1] op_sel_hi:[0,1]
	s_set_vgpr_msb 0                        ;  msbs: dst=0 src0=0 src1=0 src2=0
	s_delay_alu instid0(VALU_DEP_2) | instskip(SKIP_1) | instid1(VALU_DEP_2)
	v_pk_add_f32 v[114:115], v[114:115], v[118:119]
	s_set_vgpr_msb 4                        ;  msbs: dst=0 src0=0 src1=1 src2=0
	v_pk_fma_f32 v[118:119], v[122:123], v[2:3] /*v[258:259]*/, v[116:117] neg_lo:[0,0,1] neg_hi:[0,0,1]
	v_pk_fma_f32 v[116:117], v[122:123], v[2:3] /*v[258:259]*/, v[116:117] op_sel_hi:[1,0,1]
	s_delay_alu instid0(VALU_DEP_1) | instskip(SKIP_2) | instid1(VALU_DEP_2)
	v_dual_mov_b32 v116, v125 :: v_dual_mov_b32 v119, v117
	v_mov_b32_e32 v117, v124
	s_set_vgpr_msb 0                        ;  msbs: dst=0 src0=0 src1=0 src2=0
	v_pk_add_f32 v[114:115], v[114:115], v[118:119]
	s_set_vgpr_msb 1                        ;  msbs: dst=0 src0=1 src1=0 src2=0
	v_mov_b32_e32 v118, v5 /*v261*/
	s_set_vgpr_msb 0                        ;  msbs: dst=0 src0=0 src1=0 src2=0
	s_delay_alu instid0(VALU_DEP_1) | instskip(SKIP_1) | instid1(VALU_DEP_1)
	v_pk_mul_f32 v[116:117], v[116:117], v[118:119] op_sel_hi:[1,0]
	s_set_vgpr_msb 4                        ;  msbs: dst=0 src0=0 src1=1 src2=0
	v_pk_fma_f32 v[118:119], v[124:125], v[4:5] /*v[260:261]*/, v[116:117] neg_lo:[0,0,1] neg_hi:[0,0,1]
	v_pk_fma_f32 v[116:117], v[124:125], v[4:5] /*v[260:261]*/, v[116:117] op_sel_hi:[1,0,1]
	s_delay_alu instid0(VALU_DEP_1) | instskip(SKIP_3) | instid1(VALU_DEP_2)
	v_mov_b32_e32 v119, v117
	s_wait_loadcnt_dscnt 0x0
	v_pk_mul_f32 v[116:117], v[126:127], v[6:7] /*v[262:263]*/ op_sel:[1,1] op_sel_hi:[0,1]
	s_set_vgpr_msb 0                        ;  msbs: dst=0 src0=0 src1=0 src2=0
	v_pk_add_f32 v[114:115], v[114:115], v[118:119]
	s_set_vgpr_msb 4                        ;  msbs: dst=0 src0=0 src1=1 src2=0
	s_delay_alu instid0(VALU_DEP_2) | instskip(SKIP_1) | instid1(VALU_DEP_1)
	v_pk_fma_f32 v[118:119], v[126:127], v[6:7] /*v[262:263]*/, v[116:117] neg_lo:[0,0,1] neg_hi:[0,0,1]
	v_pk_fma_f32 v[116:117], v[126:127], v[6:7] /*v[262:263]*/, v[116:117] op_sel_hi:[1,0,1]
	v_dual_mov_b32 v116, v129 :: v_dual_mov_b32 v119, v117
	v_mov_b32_e32 v117, v128
	s_set_vgpr_msb 0                        ;  msbs: dst=0 src0=0 src1=0 src2=0
	s_delay_alu instid0(VALU_DEP_2) | instskip(SKIP_3) | instid1(VALU_DEP_1)
	v_pk_add_f32 v[114:115], v[114:115], v[118:119]
	s_set_vgpr_msb 1                        ;  msbs: dst=0 src0=1 src1=0 src2=0
	v_mov_b32_e32 v118, v9 /*v265*/
	s_set_vgpr_msb 0                        ;  msbs: dst=0 src0=0 src1=0 src2=0
	v_pk_mul_f32 v[116:117], v[116:117], v[118:119] op_sel_hi:[1,0]
	s_set_vgpr_msb 4                        ;  msbs: dst=0 src0=0 src1=1 src2=0
	s_delay_alu instid0(VALU_DEP_1) | instskip(SKIP_1) | instid1(VALU_DEP_1)
	v_pk_fma_f32 v[118:119], v[128:129], v[8:9] /*v[264:265]*/, v[116:117] neg_lo:[0,0,1] neg_hi:[0,0,1]
	v_pk_fma_f32 v[116:117], v[128:129], v[8:9] /*v[264:265]*/, v[116:117] op_sel_hi:[1,0,1]
	v_mov_b32_e32 v119, v117
	scratch_load_b64 v[116:117], off, off offset:104
	s_set_vgpr_msb 0                        ;  msbs: dst=0 src0=0 src1=0 src2=0
	v_pk_add_f32 v[114:115], v[114:115], v[118:119]
	s_wait_loadcnt 0x0
	s_delay_alu instid0(VALU_DEP_1)
	v_pk_add_f32 v[114:115], v[116:117], v[114:115] neg_lo:[0,1] neg_hi:[0,1]
	scratch_store_b64 off, v[114:115], off offset:104
	s_wait_xcnt 0x0
	v_cmpx_lt_u32_e32 12, v0
	s_cbranch_execz .LBB119_325
; %bb.324:
	scratch_load_b64 v[114:115], off, off offset:96
	v_mov_b64_e32 v[116:117], 0
	scratch_store_b64 off, v[116:117], off offset:96
	s_wait_loadcnt 0x0
	ds_store_b64 v1, v[114:115]
.LBB119_325:
	s_wait_xcnt 0x0
	s_or_b32 exec_lo, exec_lo, s0
	s_wait_storecnt_dscnt 0x0
	s_barrier_signal -1
	s_barrier_wait -1
	s_clause 0xf
	scratch_load_b128 v[118:121], off, off offset:104
	scratch_load_b128 v[126:129], off, off offset:120
	;; [unrolled: 1-line block ×16, first 2 shown]
	v_mov_b32_e32 v7, 0
	s_clause 0x1
	scratch_load_b128 v[246:249], off, off offset:360
	scratch_load_b128 v[254:257], off, off offset:376
	s_mov_b32 s0, exec_lo
	ds_load_2addr_b64 v[114:117], v7 offset0:69 offset1:70
	ds_load_2addr_b64 v[122:125], v7 offset0:71 offset1:72
	s_wait_loadcnt_dscnt 0x1101
	v_dual_mul_f32 v9, v114, v119 :: v_dual_mul_f32 v11, v116, v121
	ds_load_2addr_b64 v[130:133], v7 offset0:73 offset1:74
	ds_load_2addr_b64 v[138:141], v7 offset0:75 offset1:76
	;; [unrolled: 1-line block ×4, first 2 shown]
	v_dual_fmac_f32 v9, v115, v118 :: v_dual_fmac_f32 v11, v117, v120
	ds_load_2addr_b64 v[146:149], v7 offset0:77 offset1:78
	ds_load_2addr_b64 v[154:157], v7 offset0:79 offset1:80
	;; [unrolled: 1-line block ×4, first 2 shown]
	v_add_f32_e32 v9, 0, v9
	ds_load_2addr_b64 v[178:181], v7 offset0:85 offset1:86
	ds_load_2addr_b64 v[186:189], v7 offset0:87 offset1:88
	;; [unrolled: 1-line block ×4, first 2 shown]
	v_add_f32_e32 v9, v9, v11
	s_wait_loadcnt_dscnt 0x100c
	v_mul_f32_e32 v11, v122, v127
	ds_load_2addr_b64 v[210:213], v7 offset0:93 offset1:94
	ds_load_2addr_b64 v[218:221], v7 offset0:95 offset1:96
	;; [unrolled: 1-line block ×4, first 2 shown]
	v_fmac_f32_e32 v11, v123, v126
	s_set_vgpr_msb 64                       ;  msbs: dst=1 src0=0 src1=0 src2=0
	s_clause 0x3
	scratch_load_b128 v[2:5] /*v[258:261]*/, off, off offset:392
	scratch_load_b128 v[6:9] /*v[262:265]*/, off, off offset:408
	;; [unrolled: 1-line block ×3, first 2 shown]
	scratch_load_b64 v[20:21] /*v[276:277]*/, off, off offset:440
	s_wait_loadcnt_dscnt 0x40c
	v_dual_mul_f32 v17 /*v273*/, v244, v249 :: v_dual_mul_f32 v19 /*v275*/, v250, v255
	s_set_vgpr_msb 0                        ;  msbs: dst=0 src0=0 src1=0 src2=0
	v_dual_add_f32 v9, v9, v11 :: v_dual_mul_f32 v11, v124, v129
	s_set_vgpr_msb 64                       ;  msbs: dst=1 src0=0 src1=0 src2=0
	s_delay_alu instid0(VALU_DEP_2) | instskip(SKIP_1) | instid1(VALU_DEP_2)
	v_fmac_f32_e32 v17 /*v273*/, v245, v248
	s_set_vgpr_msb 0                        ;  msbs: dst=0 src0=0 src1=0 src2=0
	v_fmac_f32_e32 v11, v125, v128
	s_delay_alu instid0(VALU_DEP_1) | instskip(SKIP_1) | instid1(VALU_DEP_1)
	v_add_f32_e32 v9, v9, v11
	v_mul_f32_e32 v11, v130, v135
	v_fmac_f32_e32 v11, v131, v134
	s_delay_alu instid0(VALU_DEP_1) | instskip(NEXT) | instid1(VALU_DEP_1)
	v_dual_add_f32 v9, v9, v11 :: v_dual_mul_f32 v11, v132, v137
	v_fmac_f32_e32 v11, v133, v136
	s_delay_alu instid0(VALU_DEP_1) | instskip(SKIP_1) | instid1(VALU_DEP_1)
	v_add_f32_e32 v9, v9, v11
	v_mul_f32_e32 v11, v138, v143
	v_fmac_f32_e32 v11, v139, v142
	s_delay_alu instid0(VALU_DEP_1) | instskip(NEXT) | instid1(VALU_DEP_1)
	v_dual_add_f32 v9, v9, v11 :: v_dual_mul_f32 v11, v140, v145
	v_fmac_f32_e32 v11, v141, v144
	s_delay_alu instid0(VALU_DEP_1) | instskip(SKIP_2) | instid1(VALU_DEP_1)
	v_add_f32_e32 v9, v9, v11
	s_wait_dscnt 0xb
	v_mul_f32_e32 v11, v146, v151
	v_fmac_f32_e32 v11, v147, v150
	s_delay_alu instid0(VALU_DEP_1) | instskip(NEXT) | instid1(VALU_DEP_1)
	v_dual_add_f32 v9, v9, v11 :: v_dual_mul_f32 v11, v148, v153
	v_fmac_f32_e32 v11, v149, v152
	s_delay_alu instid0(VALU_DEP_1) | instskip(SKIP_2) | instid1(VALU_DEP_1)
	v_add_f32_e32 v9, v9, v11
	s_wait_dscnt 0xa
	;; [unrolled: 8-line block ×12, first 2 shown]
	v_mul_f32_e32 v11, v234, v239
	v_fmac_f32_e32 v11, v235, v238
	s_delay_alu instid0(VALU_DEP_1) | instskip(NEXT) | instid1(VALU_DEP_1)
	v_dual_add_f32 v9, v9, v11 :: v_dual_mul_f32 v11, v236, v241
	v_fmac_f32_e32 v11, v237, v240
	s_delay_alu instid0(VALU_DEP_1) | instskip(SKIP_1) | instid1(VALU_DEP_1)
	v_add_f32_e32 v9, v9, v11
	v_mul_f32_e32 v11, v242, v247
	v_fmac_f32_e32 v11, v243, v246
	s_set_vgpr_msb 64                       ;  msbs: dst=1 src0=0 src1=0 src2=0
	s_delay_alu instid0(VALU_DEP_1) | instskip(SKIP_2) | instid1(VALU_DEP_1)
	v_add_f32_e32 v15 /*v271*/, v9, v11
	s_set_vgpr_msb 0                        ;  msbs: dst=0 src0=0 src1=0 src2=0
	v_dual_mul_f32 v9, v115, v119 :: v_dual_mul_f32 v11, v117, v121
	v_dual_fma_f32 v9, v114, v118, -v9 :: v_dual_fma_f32 v11, v116, v120, -v11
	s_delay_alu instid0(VALU_DEP_1) | instskip(NEXT) | instid1(VALU_DEP_1)
	v_add_f32_e32 v9, 0, v9
	v_add_f32_e32 v9, v9, v11
	v_mul_f32_e32 v11, v123, v127
	s_delay_alu instid0(VALU_DEP_1) | instskip(NEXT) | instid1(VALU_DEP_1)
	v_fma_f32 v11, v122, v126, -v11
	v_add_f32_e32 v9, v9, v11
	v_mul_f32_e32 v11, v125, v129
	s_delay_alu instid0(VALU_DEP_1)
	v_fma_f32 v11, v124, v128, -v11
	ds_load_2addr_b64 v[114:117], v7 offset0:105 offset1:106
	ds_load_2addr_b64 v[118:121], v7 offset0:107 offset1:108
	;; [unrolled: 1-line block ×3, first 2 shown]
	ds_load_b64 v[126:127], v7 offset:888
	v_add_f32_e32 v9, v9, v11
	v_dual_mul_f32 v11, v131, v135 :: v_dual_mov_b32 v131, v252
	s_delay_alu instid0(VALU_DEP_1) | instskip(NEXT) | instid1(VALU_DEP_1)
	v_dual_fma_f32 v11, v130, v134, -v11 :: v_dual_mov_b32 v130, v253
	v_add_f32_e32 v9, v9, v11
	v_mul_f32_e32 v11, v133, v137
	s_delay_alu instid0(VALU_DEP_1) | instskip(SKIP_3) | instid1(VALU_DEP_2)
	v_fma_f32 v11, v132, v136, -v11
	s_set_vgpr_msb 1                        ;  msbs: dst=0 src0=1 src1=0 src2=0
	v_mov_b32_e32 v132, v1 /*v257*/
	s_set_vgpr_msb 0                        ;  msbs: dst=0 src0=0 src1=0 src2=0
	v_add_f32_e32 v9, v9, v11
	v_mul_f32_e32 v11, v139, v143
	s_delay_alu instid0(VALU_DEP_3) | instskip(NEXT) | instid1(VALU_DEP_2)
	v_pk_mul_f32 v[130:131], v[130:131], v[132:133] op_sel_hi:[1,0]
	v_fma_f32 v11, v138, v142, -v11
	s_set_vgpr_msb 4                        ;  msbs: dst=0 src0=0 src1=1 src2=0
	s_delay_alu instid0(VALU_DEP_2) | instskip(SKIP_3) | instid1(VALU_DEP_2)
	v_pk_fma_f32 v[132:133], v[252:253], v[0:1] /*v[256:257]*/, v[130:131] neg_lo:[0,0,1] neg_hi:[0,0,1]
	v_pk_fma_f32 v[130:131], v[252:253], v[0:1] /*v[256:257]*/, v[130:131] op_sel_hi:[1,0,1]
	s_set_vgpr_msb 0                        ;  msbs: dst=0 src0=0 src1=0 src2=0
	v_add_f32_e32 v9, v9, v11
	v_dual_mul_f32 v11, v141, v145 :: v_dual_mov_b32 v133, v131
	s_wait_loadcnt_dscnt 0x303
	s_set_vgpr_msb 4                        ;  msbs: dst=0 src0=0 src1=1 src2=0
	v_pk_mul_f32 v[130:131], v[114:115], v[2:3] /*v[258:259]*/ op_sel:[1,1] op_sel_hi:[0,1]
	s_set_vgpr_msb 0                        ;  msbs: dst=0 src0=0 src1=0 src2=0
	v_fma_f32 v11, v140, v144, -v11
	s_delay_alu instid0(VALU_DEP_1) | instskip(SKIP_1) | instid1(VALU_DEP_1)
	v_add_f32_e32 v9, v9, v11
	v_mul_f32_e32 v11, v147, v151
	v_fma_f32 v11, v146, v150, -v11
	s_delay_alu instid0(VALU_DEP_1) | instskip(SKIP_1) | instid1(VALU_DEP_1)
	v_add_f32_e32 v9, v9, v11
	v_mul_f32_e32 v11, v149, v153
	v_fma_f32 v11, v148, v152, -v11
	s_delay_alu instid0(VALU_DEP_1) | instskip(SKIP_1) | instid1(VALU_DEP_1)
	v_add_f32_e32 v9, v9, v11
	v_mul_f32_e32 v11, v155, v159
	v_fma_f32 v11, v154, v158, -v11
	s_delay_alu instid0(VALU_DEP_1) | instskip(SKIP_1) | instid1(VALU_DEP_1)
	v_add_f32_e32 v9, v9, v11
	v_mul_f32_e32 v11, v157, v161
	v_fma_f32 v11, v156, v160, -v11
	s_delay_alu instid0(VALU_DEP_1) | instskip(SKIP_1) | instid1(VALU_DEP_1)
	v_add_f32_e32 v9, v9, v11
	v_mul_f32_e32 v11, v163, v167
	v_fma_f32 v11, v162, v166, -v11
	s_delay_alu instid0(VALU_DEP_1) | instskip(SKIP_1) | instid1(VALU_DEP_1)
	v_add_f32_e32 v9, v9, v11
	v_mul_f32_e32 v11, v165, v169
	v_fma_f32 v11, v164, v168, -v11
	s_delay_alu instid0(VALU_DEP_1) | instskip(SKIP_1) | instid1(VALU_DEP_1)
	v_add_f32_e32 v9, v9, v11
	v_mul_f32_e32 v11, v171, v175
	v_fma_f32 v11, v170, v174, -v11
	s_delay_alu instid0(VALU_DEP_1) | instskip(SKIP_1) | instid1(VALU_DEP_1)
	v_add_f32_e32 v9, v9, v11
	v_mul_f32_e32 v11, v173, v177
	v_fma_f32 v11, v172, v176, -v11
	s_delay_alu instid0(VALU_DEP_1) | instskip(SKIP_1) | instid1(VALU_DEP_1)
	v_add_f32_e32 v9, v9, v11
	v_mul_f32_e32 v11, v179, v183
	v_fma_f32 v11, v178, v182, -v11
	s_delay_alu instid0(VALU_DEP_1) | instskip(SKIP_1) | instid1(VALU_DEP_1)
	v_add_f32_e32 v9, v9, v11
	v_mul_f32_e32 v11, v181, v185
	v_fma_f32 v11, v180, v184, -v11
	s_delay_alu instid0(VALU_DEP_1) | instskip(SKIP_1) | instid1(VALU_DEP_1)
	v_add_f32_e32 v9, v9, v11
	v_mul_f32_e32 v11, v187, v191
	v_fma_f32 v11, v186, v190, -v11
	s_delay_alu instid0(VALU_DEP_1) | instskip(SKIP_1) | instid1(VALU_DEP_1)
	v_add_f32_e32 v9, v9, v11
	v_mul_f32_e32 v11, v189, v193
	v_fma_f32 v11, v188, v192, -v11
	s_delay_alu instid0(VALU_DEP_1) | instskip(SKIP_1) | instid1(VALU_DEP_1)
	v_add_f32_e32 v9, v9, v11
	v_mul_f32_e32 v11, v195, v199
	v_fma_f32 v11, v194, v198, -v11
	s_delay_alu instid0(VALU_DEP_1) | instskip(SKIP_1) | instid1(VALU_DEP_1)
	v_add_f32_e32 v9, v9, v11
	v_mul_f32_e32 v11, v197, v201
	v_fma_f32 v11, v196, v200, -v11
	s_delay_alu instid0(VALU_DEP_1) | instskip(SKIP_1) | instid1(VALU_DEP_1)
	v_add_f32_e32 v9, v9, v11
	v_mul_f32_e32 v11, v203, v207
	v_fma_f32 v11, v202, v206, -v11
	s_delay_alu instid0(VALU_DEP_1) | instskip(SKIP_1) | instid1(VALU_DEP_1)
	v_add_f32_e32 v9, v9, v11
	v_mul_f32_e32 v11, v205, v209
	v_fma_f32 v11, v204, v208, -v11
	s_delay_alu instid0(VALU_DEP_1) | instskip(SKIP_1) | instid1(VALU_DEP_1)
	v_add_f32_e32 v9, v9, v11
	v_mul_f32_e32 v11, v211, v215
	v_fma_f32 v11, v210, v214, -v11
	s_delay_alu instid0(VALU_DEP_1) | instskip(SKIP_1) | instid1(VALU_DEP_1)
	v_add_f32_e32 v9, v9, v11
	v_mul_f32_e32 v11, v213, v217
	v_fma_f32 v11, v212, v216, -v11
	s_delay_alu instid0(VALU_DEP_1) | instskip(SKIP_1) | instid1(VALU_DEP_1)
	v_add_f32_e32 v9, v9, v11
	v_mul_f32_e32 v11, v219, v223
	v_fma_f32 v11, v218, v222, -v11
	s_delay_alu instid0(VALU_DEP_1) | instskip(SKIP_1) | instid1(VALU_DEP_1)
	v_add_f32_e32 v9, v9, v11
	v_mul_f32_e32 v11, v221, v225
	v_fma_f32 v11, v220, v224, -v11
	s_delay_alu instid0(VALU_DEP_1) | instskip(SKIP_1) | instid1(VALU_DEP_1)
	v_add_f32_e32 v9, v9, v11
	v_mul_f32_e32 v11, v227, v231
	v_fma_f32 v11, v226, v230, -v11
	s_delay_alu instid0(VALU_DEP_1) | instskip(SKIP_1) | instid1(VALU_DEP_1)
	v_add_f32_e32 v9, v9, v11
	v_mul_f32_e32 v11, v229, v233
	v_fma_f32 v11, v228, v232, -v11
	s_delay_alu instid0(VALU_DEP_1) | instskip(SKIP_1) | instid1(VALU_DEP_1)
	v_add_f32_e32 v9, v9, v11
	v_mul_f32_e32 v11, v235, v239
	v_fma_f32 v11, v234, v238, -v11
	s_delay_alu instid0(VALU_DEP_1) | instskip(SKIP_1) | instid1(VALU_DEP_1)
	v_add_f32_e32 v9, v9, v11
	v_mul_f32_e32 v11, v237, v241
	v_fma_f32 v11, v236, v240, -v11
	s_delay_alu instid0(VALU_DEP_1) | instskip(SKIP_1) | instid1(VALU_DEP_1)
	v_add_f32_e32 v9, v9, v11
	v_mul_f32_e32 v11, v243, v247
	v_fma_f32 v11, v242, v246, -v11
	s_set_vgpr_msb 64                       ;  msbs: dst=1 src0=0 src1=0 src2=0
	s_delay_alu instid0(VALU_DEP_1) | instskip(SKIP_3) | instid1(VALU_DEP_1)
	v_dual_fmac_f32 v19 /*v275*/, v251, v254 :: v_dual_add_f32 v14 /*v270*/, v9, v11
	s_set_vgpr_msb 0                        ;  msbs: dst=0 src0=0 src1=0 src2=0
	v_mul_f32_e32 v9, v245, v249
	s_set_vgpr_msb 64                       ;  msbs: dst=1 src0=0 src1=0 src2=0
	v_fma_f32 v16 /*v272*/, v244, v248, -v9
	s_set_vgpr_msb 0                        ;  msbs: dst=0 src0=0 src1=0 src2=0
	v_mul_f32_e32 v9, v251, v255
	s_set_vgpr_msb 64                       ;  msbs: dst=1 src0=0 src1=0 src2=0
	s_delay_alu instid0(VALU_DEP_1) | instskip(SKIP_3) | instid1(VALU_DEP_1)
	v_fma_f32 v18 /*v274*/, v250, v254, -v9
	s_set_vgpr_msb 5                        ;  msbs: dst=0 src0=1 src1=1 src2=0
	v_pk_add_f32 v[128:129], v[14:15] /*v[270:271]*/, v[16:17] /*v[272:273]*/
	s_set_vgpr_msb 4                        ;  msbs: dst=0 src0=0 src1=1 src2=0
	v_pk_add_f32 v[128:129], v[128:129], v[18:19] /*v[274:275]*/
	s_set_vgpr_msb 0                        ;  msbs: dst=0 src0=0 src1=0 src2=0
	s_delay_alu instid0(VALU_DEP_1)
	v_pk_add_f32 v[128:129], v[128:129], v[132:133]
	s_set_vgpr_msb 4                        ;  msbs: dst=0 src0=0 src1=1 src2=0
	v_pk_fma_f32 v[132:133], v[114:115], v[2:3] /*v[258:259]*/, v[130:131] neg_lo:[0,0,1] neg_hi:[0,0,1]
	v_pk_fma_f32 v[114:115], v[114:115], v[2:3] /*v[258:259]*/, v[130:131] op_sel_hi:[1,0,1]
	s_set_vgpr_msb 1                        ;  msbs: dst=0 src0=1 src1=0 src2=0
	v_mov_b32_e32 v130, v5 /*v261*/
	s_set_vgpr_msb 0                        ;  msbs: dst=0 src0=0 src1=0 src2=0
	s_delay_alu instid0(VALU_DEP_2) | instskip(NEXT) | instid1(VALU_DEP_1)
	v_mov_b32_e32 v133, v115
	v_pk_add_f32 v[114:115], v[128:129], v[132:133]
	v_dual_mov_b32 v128, v117 :: v_dual_mov_b32 v129, v116
	s_delay_alu instid0(VALU_DEP_1) | instskip(SKIP_1) | instid1(VALU_DEP_1)
	v_pk_mul_f32 v[128:129], v[128:129], v[130:131] op_sel_hi:[1,0]
	s_set_vgpr_msb 4                        ;  msbs: dst=0 src0=0 src1=1 src2=0
	v_pk_fma_f32 v[130:131], v[116:117], v[4:5] /*v[260:261]*/, v[128:129] neg_lo:[0,0,1] neg_hi:[0,0,1]
	v_pk_fma_f32 v[116:117], v[116:117], v[4:5] /*v[260:261]*/, v[128:129] op_sel_hi:[1,0,1]
	s_delay_alu instid0(VALU_DEP_1) | instskip(SKIP_3) | instid1(VALU_DEP_2)
	v_mov_b32_e32 v131, v117
	s_wait_loadcnt_dscnt 0x202
	v_pk_mul_f32 v[116:117], v[118:119], v[6:7] /*v[262:263]*/ op_sel:[1,1] op_sel_hi:[0,1]
	s_set_vgpr_msb 0                        ;  msbs: dst=0 src0=0 src1=0 src2=0
	v_pk_add_f32 v[114:115], v[114:115], v[130:131]
	s_set_vgpr_msb 4                        ;  msbs: dst=0 src0=0 src1=1 src2=0
	s_delay_alu instid0(VALU_DEP_2)
	v_pk_fma_f32 v[128:129], v[118:119], v[6:7] /*v[262:263]*/, v[116:117] neg_lo:[0,0,1] neg_hi:[0,0,1]
	v_pk_fma_f32 v[116:117], v[118:119], v[6:7] /*v[262:263]*/, v[116:117] op_sel_hi:[1,0,1]
	v_mov_b32_e32 v116, v121
	s_set_vgpr_msb 1                        ;  msbs: dst=0 src0=1 src1=0 src2=0
	v_mov_b32_e32 v118, v9 /*v265*/
	s_set_vgpr_msb 0                        ;  msbs: dst=0 src0=0 src1=0 src2=0
	v_dual_mov_b32 v129, v117 :: v_dual_mov_b32 v117, v120
	s_delay_alu instid0(VALU_DEP_1) | instskip(NEXT) | instid1(VALU_DEP_2)
	v_pk_add_f32 v[114:115], v[114:115], v[128:129]
	v_pk_mul_f32 v[116:117], v[116:117], v[118:119] op_sel_hi:[1,0]
	s_set_vgpr_msb 4                        ;  msbs: dst=0 src0=0 src1=1 src2=0
	s_delay_alu instid0(VALU_DEP_1) | instskip(SKIP_1) | instid1(VALU_DEP_1)
	v_pk_fma_f32 v[118:119], v[120:121], v[8:9] /*v[264:265]*/, v[116:117] neg_lo:[0,0,1] neg_hi:[0,0,1]
	v_pk_fma_f32 v[116:117], v[120:121], v[8:9] /*v[264:265]*/, v[116:117] op_sel_hi:[1,0,1]
	v_mov_b32_e32 v119, v117
	s_wait_loadcnt_dscnt 0x101
	v_pk_mul_f32 v[116:117], v[122:123], v[10:11] /*v[266:267]*/ op_sel:[1,1] op_sel_hi:[0,1]
	s_set_vgpr_msb 0                        ;  msbs: dst=0 src0=0 src1=0 src2=0
	s_delay_alu instid0(VALU_DEP_2) | instskip(SKIP_1) | instid1(VALU_DEP_2)
	v_pk_add_f32 v[114:115], v[114:115], v[118:119]
	s_set_vgpr_msb 4                        ;  msbs: dst=0 src0=0 src1=1 src2=0
	v_pk_fma_f32 v[118:119], v[122:123], v[10:11] /*v[266:267]*/, v[116:117] neg_lo:[0,0,1] neg_hi:[0,0,1]
	v_pk_fma_f32 v[116:117], v[122:123], v[10:11] /*v[266:267]*/, v[116:117] op_sel_hi:[1,0,1]
	s_delay_alu instid0(VALU_DEP_1) | instskip(SKIP_2) | instid1(VALU_DEP_2)
	v_dual_mov_b32 v116, v125 :: v_dual_mov_b32 v119, v117
	v_mov_b32_e32 v117, v124
	s_set_vgpr_msb 0                        ;  msbs: dst=0 src0=0 src1=0 src2=0
	v_pk_add_f32 v[114:115], v[114:115], v[118:119]
	s_set_vgpr_msb 1                        ;  msbs: dst=0 src0=1 src1=0 src2=0
	v_mov_b32_e32 v118, v13 /*v269*/
	s_set_vgpr_msb 0                        ;  msbs: dst=0 src0=0 src1=0 src2=0
	s_delay_alu instid0(VALU_DEP_1) | instskip(SKIP_1) | instid1(VALU_DEP_1)
	v_pk_mul_f32 v[116:117], v[116:117], v[118:119] op_sel_hi:[1,0]
	s_set_vgpr_msb 4                        ;  msbs: dst=0 src0=0 src1=1 src2=0
	v_pk_fma_f32 v[118:119], v[124:125], v[12:13] /*v[268:269]*/, v[116:117] neg_lo:[0,0,1] neg_hi:[0,0,1]
	v_pk_fma_f32 v[116:117], v[124:125], v[12:13] /*v[268:269]*/, v[116:117] op_sel_hi:[1,0,1]
	s_delay_alu instid0(VALU_DEP_1) | instskip(SKIP_3) | instid1(VALU_DEP_2)
	v_mov_b32_e32 v119, v117
	s_wait_loadcnt_dscnt 0x0
	v_pk_mul_f32 v[116:117], v[126:127], v[20:21] /*v[276:277]*/ op_sel:[1,1] op_sel_hi:[0,1]
	s_set_vgpr_msb 0                        ;  msbs: dst=0 src0=0 src1=0 src2=0
	v_pk_add_f32 v[114:115], v[114:115], v[118:119]
	s_set_vgpr_msb 4                        ;  msbs: dst=0 src0=0 src1=1 src2=0
	s_delay_alu instid0(VALU_DEP_2) | instskip(SKIP_1) | instid1(VALU_DEP_1)
	v_pk_fma_f32 v[118:119], v[126:127], v[20:21] /*v[276:277]*/, v[116:117] neg_lo:[0,0,1] neg_hi:[0,0,1]
	v_pk_fma_f32 v[116:117], v[126:127], v[20:21] /*v[276:277]*/, v[116:117] op_sel_hi:[1,0,1]
	v_mov_b32_e32 v119, v117
	scratch_load_b64 v[116:117], off, off offset:96
	s_set_vgpr_msb 0                        ;  msbs: dst=0 src0=0 src1=0 src2=0
	v_pk_add_f32 v[114:115], v[114:115], v[118:119]
	s_wait_loadcnt 0x0
	s_delay_alu instid0(VALU_DEP_1)
	v_pk_add_f32 v[114:115], v[116:117], v[114:115] neg_lo:[0,1] neg_hi:[0,1]
	scratch_store_b64 off, v[114:115], off offset:96
	s_wait_xcnt 0x0
	v_cmpx_lt_u32_e32 11, v0
	s_cbranch_execz .LBB119_327
; %bb.326:
	scratch_load_b64 v[114:115], off, off offset:88
	v_mov_b64_e32 v[116:117], 0
	scratch_store_b64 off, v[116:117], off offset:88
	s_wait_loadcnt 0x0
	ds_store_b64 v1, v[114:115]
.LBB119_327:
	s_wait_xcnt 0x0
	s_or_b32 exec_lo, exec_lo, s0
	s_wait_storecnt_dscnt 0x0
	s_barrier_signal -1
	s_barrier_wait -1
	ds_load_b128 v[114:117], v7 offset:544
	ds_load_b128 v[118:121], v7 offset:560
	;; [unrolled: 1-line block ×4, first 2 shown]
	s_clause 0x11
	scratch_load_b128 v[130:133], off, off offset:96
	scratch_load_b128 v[134:137], off, off offset:112
	;; [unrolled: 1-line block ×18, first 2 shown]
	ds_load_b128 v[146:149], v7 offset:608
	ds_load_b128 v[154:157], v7 offset:624
	ds_load_b128 v[242:245], v7 offset:800
	ds_load_b128 v[250:253], v7 offset:816
	ds_load_b128 v[162:165], v7 offset:640
	ds_load_b128 v[170:173], v7 offset:656
	ds_load_b128 v[178:181], v7 offset:672
	ds_load_b128 v[186:189], v7 offset:688
	ds_load_b128 v[194:197], v7 offset:704
	ds_load_b128 v[202:205], v7 offset:720
	ds_load_b128 v[210:213], v7 offset:736
	ds_load_b128 v[218:221], v7 offset:752
	ds_load_b128 v[226:229], v7 offset:768
	ds_load_b128 v[234:237], v7 offset:784
	s_set_vgpr_msb 64                       ;  msbs: dst=1 src0=0 src1=0 src2=0
	s_clause 0x3
	scratch_load_b128 v[2:5] /*v[258:261]*/, off, off offset:384
	scratch_load_b128 v[6:9] /*v[262:265]*/, off, off offset:400
	;; [unrolled: 1-line block ×4, first 2 shown]
	s_mov_b32 s0, exec_lo
	s_wait_loadcnt_dscnt 0x1511
	s_set_vgpr_msb 0                        ;  msbs: dst=0 src0=0 src1=0 src2=0
	v_dual_mul_f32 v9, v114, v131 :: v_dual_mul_f32 v11, v116, v133
	s_delay_alu instid0(VALU_DEP_1) | instskip(NEXT) | instid1(VALU_DEP_1)
	v_dual_fmac_f32 v9, v115, v130 :: v_dual_fmac_f32 v11, v117, v132
	v_add_f32_e32 v9, 0, v9
	s_delay_alu instid0(VALU_DEP_1)
	v_add_f32_e32 v9, v9, v11
	s_wait_loadcnt_dscnt 0x1410
	v_mul_f32_e32 v11, v118, v135
	s_wait_loadcnt_dscnt 0x40a
	s_set_vgpr_msb 64                       ;  msbs: dst=1 src0=0 src1=0 src2=0
	v_mul_f32_e32 v21 /*v277*/, v250, v255
	s_set_vgpr_msb 0                        ;  msbs: dst=0 src0=0 src1=0 src2=0
	v_fmac_f32_e32 v11, v119, v134
	s_delay_alu instid0(VALU_DEP_1) | instskip(NEXT) | instid1(VALU_DEP_1)
	v_dual_add_f32 v9, v9, v11 :: v_dual_mul_f32 v11, v120, v137
	v_fmac_f32_e32 v11, v121, v136
	s_delay_alu instid0(VALU_DEP_1) | instskip(SKIP_1) | instid1(VALU_DEP_1)
	v_add_f32_e32 v9, v9, v11
	v_mul_f32_e32 v11, v122, v139
	v_fmac_f32_e32 v11, v123, v138
	s_delay_alu instid0(VALU_DEP_1) | instskip(NEXT) | instid1(VALU_DEP_1)
	v_dual_add_f32 v9, v9, v11 :: v_dual_mul_f32 v11, v124, v141
	v_fmac_f32_e32 v11, v125, v140
	s_delay_alu instid0(VALU_DEP_1) | instskip(SKIP_1) | instid1(VALU_DEP_1)
	v_add_f32_e32 v9, v9, v11
	v_mul_f32_e32 v11, v126, v143
	v_fmac_f32_e32 v11, v127, v142
	s_delay_alu instid0(VALU_DEP_1) | instskip(NEXT) | instid1(VALU_DEP_1)
	v_dual_add_f32 v9, v9, v11 :: v_dual_mul_f32 v11, v128, v145
	v_fmac_f32_e32 v11, v129, v144
	s_delay_alu instid0(VALU_DEP_1) | instskip(SKIP_1) | instid1(VALU_DEP_1)
	v_add_f32_e32 v9, v9, v11
	v_mul_f32_e32 v11, v146, v151
	v_fmac_f32_e32 v11, v147, v150
	s_delay_alu instid0(VALU_DEP_1) | instskip(NEXT) | instid1(VALU_DEP_1)
	v_dual_add_f32 v9, v9, v11 :: v_dual_mul_f32 v11, v148, v153
	v_fmac_f32_e32 v11, v149, v152
	s_delay_alu instid0(VALU_DEP_1) | instskip(SKIP_1) | instid1(VALU_DEP_1)
	v_add_f32_e32 v9, v9, v11
	v_mul_f32_e32 v11, v154, v159
	v_fmac_f32_e32 v11, v155, v158
	s_delay_alu instid0(VALU_DEP_1) | instskip(NEXT) | instid1(VALU_DEP_1)
	v_dual_add_f32 v9, v9, v11 :: v_dual_mul_f32 v11, v156, v161
	v_fmac_f32_e32 v11, v157, v160
	s_delay_alu instid0(VALU_DEP_1) | instskip(SKIP_2) | instid1(VALU_DEP_1)
	v_add_f32_e32 v9, v9, v11
	s_wait_dscnt 0x9
	v_mul_f32_e32 v11, v162, v167
	v_fmac_f32_e32 v11, v163, v166
	s_delay_alu instid0(VALU_DEP_1) | instskip(NEXT) | instid1(VALU_DEP_1)
	v_dual_add_f32 v9, v9, v11 :: v_dual_mul_f32 v11, v164, v169
	v_fmac_f32_e32 v11, v165, v168
	s_delay_alu instid0(VALU_DEP_1) | instskip(SKIP_2) | instid1(VALU_DEP_1)
	v_add_f32_e32 v9, v9, v11
	s_wait_dscnt 0x8
	v_mul_f32_e32 v11, v170, v175
	;; [unrolled: 8-line block ×10, first 2 shown]
	v_fmac_f32_e32 v11, v235, v238
	s_delay_alu instid0(VALU_DEP_1) | instskip(NEXT) | instid1(VALU_DEP_1)
	v_dual_add_f32 v9, v9, v11 :: v_dual_mul_f32 v11, v236, v241
	v_fmac_f32_e32 v11, v237, v240
	s_delay_alu instid0(VALU_DEP_1) | instskip(SKIP_1) | instid1(VALU_DEP_1)
	v_add_f32_e32 v9, v9, v11
	v_mul_f32_e32 v11, v242, v247
	v_fmac_f32_e32 v11, v243, v246
	s_delay_alu instid0(VALU_DEP_1) | instskip(NEXT) | instid1(VALU_DEP_1)
	v_dual_add_f32 v9, v9, v11 :: v_dual_mul_f32 v11, v244, v249
	v_fmac_f32_e32 v11, v245, v248
	s_set_vgpr_msb 64                       ;  msbs: dst=1 src0=0 src1=0 src2=0
	s_delay_alu instid0(VALU_DEP_1) | instskip(SKIP_2) | instid1(VALU_DEP_1)
	v_add_f32_e32 v19 /*v275*/, v9, v11
	s_set_vgpr_msb 0                        ;  msbs: dst=0 src0=0 src1=0 src2=0
	v_dual_mul_f32 v9, v115, v131 :: v_dual_mul_f32 v11, v117, v133
	v_dual_fma_f32 v9, v114, v130, -v9 :: v_dual_fma_f32 v11, v116, v132, -v11
	s_delay_alu instid0(VALU_DEP_1) | instskip(NEXT) | instid1(VALU_DEP_1)
	v_add_f32_e32 v9, 0, v9
	v_add_f32_e32 v9, v9, v11
	v_mul_f32_e32 v11, v119, v135
	s_delay_alu instid0(VALU_DEP_1) | instskip(NEXT) | instid1(VALU_DEP_1)
	v_fma_f32 v11, v118, v134, -v11
	v_add_f32_e32 v9, v9, v11
	v_mul_f32_e32 v11, v121, v137
	s_delay_alu instid0(VALU_DEP_1) | instskip(NEXT) | instid1(VALU_DEP_1)
	v_fma_f32 v11, v120, v136, -v11
	;; [unrolled: 4-line block ×5, first 2 shown]
	v_add_f32_e32 v9, v9, v11
	v_mul_f32_e32 v11, v129, v145
	s_delay_alu instid0(VALU_DEP_1)
	v_fma_f32 v11, v128, v144, -v11
	ds_load_b128 v[114:117], v7 offset:832
	ds_load_b128 v[118:121], v7 offset:848
	;; [unrolled: 1-line block ×4, first 2 shown]
	v_add_f32_e32 v9, v9, v11
	v_mul_f32_e32 v11, v147, v151
	s_delay_alu instid0(VALU_DEP_1) | instskip(NEXT) | instid1(VALU_DEP_1)
	v_fma_f32 v11, v146, v150, -v11
	v_add_f32_e32 v9, v9, v11
	v_mul_f32_e32 v11, v149, v153
	s_wait_loadcnt_dscnt 0x303
	s_set_vgpr_msb 4                        ;  msbs: dst=0 src0=0 src1=1 src2=0
	v_pk_mul_f32 v[132:133], v[114:115], v[2:3] /*v[258:259]*/ op_sel:[1,1] op_sel_hi:[0,1]
	s_set_vgpr_msb 0                        ;  msbs: dst=0 src0=0 src1=0 src2=0
	v_fma_f32 v11, v148, v152, -v11
	s_set_vgpr_msb 4                        ;  msbs: dst=0 src0=0 src1=1 src2=0
	s_delay_alu instid0(VALU_DEP_2)
	v_pk_fma_f32 v[134:135], v[114:115], v[2:3] /*v[258:259]*/, v[132:133] neg_lo:[0,0,1] neg_hi:[0,0,1]
	v_pk_fma_f32 v[114:115], v[114:115], v[2:3] /*v[258:259]*/, v[132:133] op_sel_hi:[1,0,1]
	s_set_vgpr_msb 1                        ;  msbs: dst=0 src0=1 src1=0 src2=0
	v_mov_b32_e32 v132, v5 /*v261*/
	s_set_vgpr_msb 0                        ;  msbs: dst=0 src0=0 src1=0 src2=0
	v_add_f32_e32 v9, v9, v11
	v_mul_f32_e32 v11, v155, v159
	s_delay_alu instid0(VALU_DEP_1) | instskip(NEXT) | instid1(VALU_DEP_1)
	v_dual_mov_b32 v135, v115 :: v_dual_fma_f32 v11, v154, v158, -v11
	v_add_f32_e32 v9, v9, v11
	v_mul_f32_e32 v11, v157, v161
	s_delay_alu instid0(VALU_DEP_1) | instskip(NEXT) | instid1(VALU_DEP_1)
	v_fma_f32 v11, v156, v160, -v11
	v_add_f32_e32 v9, v9, v11
	v_mul_f32_e32 v11, v163, v167
	s_delay_alu instid0(VALU_DEP_1) | instskip(NEXT) | instid1(VALU_DEP_1)
	v_fma_f32 v11, v162, v166, -v11
	;; [unrolled: 4-line block ×22, first 2 shown]
	v_add_f32_e32 v9, v9, v11
	v_mul_f32_e32 v11, v245, v249
	s_delay_alu instid0(VALU_DEP_1) | instskip(SKIP_1) | instid1(VALU_DEP_1)
	v_fma_f32 v11, v244, v248, -v11
	s_set_vgpr_msb 64                       ;  msbs: dst=1 src0=0 src1=0 src2=0
	v_add_f32_e32 v18 /*v274*/, v9, v11
	s_set_vgpr_msb 0                        ;  msbs: dst=0 src0=0 src1=0 src2=0
	v_mul_f32_e32 v9, v251, v255
	s_set_vgpr_msb 64                       ;  msbs: dst=1 src0=0 src1=0 src2=0
	s_delay_alu instid0(VALU_DEP_1)
	v_fma_f32 v20 /*v276*/, v250, v254, -v9
	v_fmac_f32_e32 v21 /*v277*/, v251, v254
	s_set_vgpr_msb 4                        ;  msbs: dst=0 src0=0 src1=1 src2=0
	v_mul_f32_e32 v9, v253, v1 /*v257*/
	s_set_vgpr_msb 0x44                     ;  msbs: dst=1 src0=0 src1=1 src2=0
	v_mul_f32_e32 v23 /*v279*/, v252, v1 /*v257*/
	s_set_vgpr_msb 5                        ;  msbs: dst=0 src0=1 src1=1 src2=0
	v_pk_add_f32 v[130:131], v[18:19] /*v[274:275]*/, v[20:21] /*v[276:277]*/
	s_set_vgpr_msb 0x44                     ;  msbs: dst=1 src0=0 src1=1 src2=0
	v_fma_f32 v22 /*v278*/, v252, v0 /*v256*/, -v9
	v_fmac_f32_e32 v23 /*v279*/, v253, v0 /*v256*/
	s_set_vgpr_msb 4                        ;  msbs: dst=0 src0=0 src1=1 src2=0
	s_delay_alu instid0(VALU_DEP_1) | instskip(SKIP_1) | instid1(VALU_DEP_1)
	v_pk_add_f32 v[130:131], v[130:131], v[22:23] /*v[278:279]*/
	s_set_vgpr_msb 0                        ;  msbs: dst=0 src0=0 src1=0 src2=0
	v_pk_add_f32 v[114:115], v[130:131], v[134:135]
	v_dual_mov_b32 v130, v117 :: v_dual_mov_b32 v131, v116
	s_delay_alu instid0(VALU_DEP_1) | instskip(SKIP_1) | instid1(VALU_DEP_1)
	v_pk_mul_f32 v[130:131], v[130:131], v[132:133] op_sel_hi:[1,0]
	s_set_vgpr_msb 4                        ;  msbs: dst=0 src0=0 src1=1 src2=0
	v_pk_fma_f32 v[132:133], v[116:117], v[4:5] /*v[260:261]*/, v[130:131] neg_lo:[0,0,1] neg_hi:[0,0,1]
	v_pk_fma_f32 v[116:117], v[116:117], v[4:5] /*v[260:261]*/, v[130:131] op_sel_hi:[1,0,1]
	s_delay_alu instid0(VALU_DEP_1) | instskip(SKIP_3) | instid1(VALU_DEP_2)
	v_mov_b32_e32 v133, v117
	s_wait_loadcnt_dscnt 0x202
	v_pk_mul_f32 v[116:117], v[118:119], v[6:7] /*v[262:263]*/ op_sel:[1,1] op_sel_hi:[0,1]
	s_set_vgpr_msb 0                        ;  msbs: dst=0 src0=0 src1=0 src2=0
	v_pk_add_f32 v[114:115], v[114:115], v[132:133]
	s_set_vgpr_msb 4                        ;  msbs: dst=0 src0=0 src1=1 src2=0
	s_delay_alu instid0(VALU_DEP_2)
	v_pk_fma_f32 v[130:131], v[118:119], v[6:7] /*v[262:263]*/, v[116:117] neg_lo:[0,0,1] neg_hi:[0,0,1]
	v_pk_fma_f32 v[116:117], v[118:119], v[6:7] /*v[262:263]*/, v[116:117] op_sel_hi:[1,0,1]
	v_mov_b32_e32 v116, v121
	s_set_vgpr_msb 1                        ;  msbs: dst=0 src0=1 src1=0 src2=0
	v_mov_b32_e32 v118, v9 /*v265*/
	s_set_vgpr_msb 0                        ;  msbs: dst=0 src0=0 src1=0 src2=0
	v_dual_mov_b32 v131, v117 :: v_dual_mov_b32 v117, v120
	s_delay_alu instid0(VALU_DEP_1) | instskip(NEXT) | instid1(VALU_DEP_2)
	v_pk_add_f32 v[114:115], v[114:115], v[130:131]
	v_pk_mul_f32 v[116:117], v[116:117], v[118:119] op_sel_hi:[1,0]
	s_set_vgpr_msb 4                        ;  msbs: dst=0 src0=0 src1=1 src2=0
	s_delay_alu instid0(VALU_DEP_1) | instskip(SKIP_1) | instid1(VALU_DEP_1)
	v_pk_fma_f32 v[118:119], v[120:121], v[8:9] /*v[264:265]*/, v[116:117] neg_lo:[0,0,1] neg_hi:[0,0,1]
	v_pk_fma_f32 v[116:117], v[120:121], v[8:9] /*v[264:265]*/, v[116:117] op_sel_hi:[1,0,1]
	v_mov_b32_e32 v119, v117
	s_wait_loadcnt_dscnt 0x101
	v_pk_mul_f32 v[116:117], v[122:123], v[10:11] /*v[266:267]*/ op_sel:[1,1] op_sel_hi:[0,1]
	s_set_vgpr_msb 0                        ;  msbs: dst=0 src0=0 src1=0 src2=0
	s_delay_alu instid0(VALU_DEP_2) | instskip(SKIP_1) | instid1(VALU_DEP_2)
	v_pk_add_f32 v[114:115], v[114:115], v[118:119]
	s_set_vgpr_msb 4                        ;  msbs: dst=0 src0=0 src1=1 src2=0
	v_pk_fma_f32 v[118:119], v[122:123], v[10:11] /*v[266:267]*/, v[116:117] neg_lo:[0,0,1] neg_hi:[0,0,1]
	v_pk_fma_f32 v[116:117], v[122:123], v[10:11] /*v[266:267]*/, v[116:117] op_sel_hi:[1,0,1]
	s_delay_alu instid0(VALU_DEP_1) | instskip(SKIP_2) | instid1(VALU_DEP_2)
	v_dual_mov_b32 v116, v125 :: v_dual_mov_b32 v119, v117
	v_mov_b32_e32 v117, v124
	s_set_vgpr_msb 0                        ;  msbs: dst=0 src0=0 src1=0 src2=0
	v_pk_add_f32 v[114:115], v[114:115], v[118:119]
	s_set_vgpr_msb 1                        ;  msbs: dst=0 src0=1 src1=0 src2=0
	v_mov_b32_e32 v118, v13 /*v269*/
	s_set_vgpr_msb 0                        ;  msbs: dst=0 src0=0 src1=0 src2=0
	s_delay_alu instid0(VALU_DEP_1) | instskip(SKIP_1) | instid1(VALU_DEP_1)
	v_pk_mul_f32 v[116:117], v[116:117], v[118:119] op_sel_hi:[1,0]
	s_set_vgpr_msb 4                        ;  msbs: dst=0 src0=0 src1=1 src2=0
	v_pk_fma_f32 v[118:119], v[124:125], v[12:13] /*v[268:269]*/, v[116:117] neg_lo:[0,0,1] neg_hi:[0,0,1]
	v_pk_fma_f32 v[116:117], v[124:125], v[12:13] /*v[268:269]*/, v[116:117] op_sel_hi:[1,0,1]
	s_delay_alu instid0(VALU_DEP_1) | instskip(SKIP_3) | instid1(VALU_DEP_2)
	v_mov_b32_e32 v119, v117
	s_wait_loadcnt_dscnt 0x0
	v_pk_mul_f32 v[116:117], v[126:127], v[14:15] /*v[270:271]*/ op_sel:[1,1] op_sel_hi:[0,1]
	s_set_vgpr_msb 0                        ;  msbs: dst=0 src0=0 src1=0 src2=0
	v_pk_add_f32 v[114:115], v[114:115], v[118:119]
	s_set_vgpr_msb 4                        ;  msbs: dst=0 src0=0 src1=1 src2=0
	s_delay_alu instid0(VALU_DEP_2) | instskip(SKIP_1) | instid1(VALU_DEP_1)
	v_pk_fma_f32 v[118:119], v[126:127], v[14:15] /*v[270:271]*/, v[116:117] neg_lo:[0,0,1] neg_hi:[0,0,1]
	v_pk_fma_f32 v[116:117], v[126:127], v[14:15] /*v[270:271]*/, v[116:117] op_sel_hi:[1,0,1]
	v_dual_mov_b32 v116, v129 :: v_dual_mov_b32 v119, v117
	v_mov_b32_e32 v117, v128
	s_set_vgpr_msb 0                        ;  msbs: dst=0 src0=0 src1=0 src2=0
	s_delay_alu instid0(VALU_DEP_2) | instskip(SKIP_3) | instid1(VALU_DEP_1)
	v_pk_add_f32 v[114:115], v[114:115], v[118:119]
	s_set_vgpr_msb 1                        ;  msbs: dst=0 src0=1 src1=0 src2=0
	v_mov_b32_e32 v118, v17 /*v273*/
	s_set_vgpr_msb 0                        ;  msbs: dst=0 src0=0 src1=0 src2=0
	v_pk_mul_f32 v[116:117], v[116:117], v[118:119] op_sel_hi:[1,0]
	s_set_vgpr_msb 4                        ;  msbs: dst=0 src0=0 src1=1 src2=0
	s_delay_alu instid0(VALU_DEP_1) | instskip(SKIP_1) | instid1(VALU_DEP_1)
	v_pk_fma_f32 v[118:119], v[128:129], v[16:17] /*v[272:273]*/, v[116:117] neg_lo:[0,0,1] neg_hi:[0,0,1]
	v_pk_fma_f32 v[116:117], v[128:129], v[16:17] /*v[272:273]*/, v[116:117] op_sel_hi:[1,0,1]
	v_mov_b32_e32 v119, v117
	scratch_load_b64 v[116:117], off, off offset:88
	s_set_vgpr_msb 0                        ;  msbs: dst=0 src0=0 src1=0 src2=0
	v_pk_add_f32 v[114:115], v[114:115], v[118:119]
	s_wait_loadcnt 0x0
	s_delay_alu instid0(VALU_DEP_1)
	v_pk_add_f32 v[114:115], v[116:117], v[114:115] neg_lo:[0,1] neg_hi:[0,1]
	scratch_store_b64 off, v[114:115], off offset:88
	s_wait_xcnt 0x0
	v_cmpx_lt_u32_e32 10, v0
	s_cbranch_execz .LBB119_329
; %bb.328:
	scratch_load_b64 v[114:115], off, off offset:80
	v_mov_b64_e32 v[116:117], 0
	scratch_store_b64 off, v[116:117], off offset:80
	s_wait_loadcnt 0x0
	ds_store_b64 v1, v[114:115]
.LBB119_329:
	s_wait_xcnt 0x0
	s_or_b32 exec_lo, exec_lo, s0
	s_wait_storecnt_dscnt 0x0
	s_barrier_signal -1
	s_barrier_wait -1
	s_clause 0xf
	scratch_load_b128 v[118:121], off, off offset:88
	scratch_load_b128 v[126:129], off, off offset:104
	;; [unrolled: 1-line block ×16, first 2 shown]
	v_mov_b32_e32 v7, 0
	s_clause 0x3
	scratch_load_b128 v[246:249], off, off offset:344
	scratch_load_b128 v[254:257], off, off offset:360
	s_set_vgpr_msb 64                       ;  msbs: dst=1 src0=0 src1=0 src2=0
	scratch_load_b128 v[6:9] /*v[262:265]*/, off, off offset:376
	s_mov_b32 s0, exec_lo
	s_set_vgpr_msb 0                        ;  msbs: dst=0 src0=0 src1=0 src2=0
	ds_load_2addr_b64 v[114:117], v7 offset0:67 offset1:68
	ds_load_2addr_b64 v[122:125], v7 offset0:69 offset1:70
	s_wait_loadcnt_dscnt 0x1201
	v_dual_mul_f32 v9, v114, v119 :: v_dual_mul_f32 v11, v116, v121
	ds_load_2addr_b64 v[130:133], v7 offset0:71 offset1:72
	ds_load_2addr_b64 v[138:141], v7 offset0:73 offset1:74
	;; [unrolled: 1-line block ×4, first 2 shown]
	v_dual_fmac_f32 v9, v115, v118 :: v_dual_fmac_f32 v11, v117, v120
	ds_load_2addr_b64 v[162:165], v7 offset0:79 offset1:80
	ds_load_2addr_b64 v[170:173], v7 offset0:81 offset1:82
	;; [unrolled: 1-line block ×4, first 2 shown]
	v_add_f32_e32 v9, 0, v9
	ds_load_2addr_b64 v[194:197], v7 offset0:87 offset1:88
	ds_load_2addr_b64 v[202:205], v7 offset0:89 offset1:90
	;; [unrolled: 1-line block ×4, first 2 shown]
	v_add_f32_e32 v9, v9, v11
	s_wait_loadcnt_dscnt 0x110c
	v_mul_f32_e32 v11, v122, v127
	ds_load_2addr_b64 v[226:229], v7 offset0:95 offset1:96
	ds_load_2addr_b64 v[234:237], v7 offset0:97 offset1:98
	;; [unrolled: 1-line block ×4, first 2 shown]
	v_fmac_f32_e32 v11, v123, v126
	s_set_vgpr_msb 64                       ;  msbs: dst=1 src0=0 src1=0 src2=0
	ds_load_2addr_b64 v[2:5] /*v[258:261]*/, v7 offset0:103 offset1:104
	s_clause 0x3
	scratch_load_b128 v[10:13] /*v[266:269]*/, off, off offset:392
	scratch_load_b128 v[14:17] /*v[270:273]*/, off, off offset:408
	;; [unrolled: 1-line block ×3, first 2 shown]
	scratch_load_b64 v[28:29] /*v[284:285]*/, off, off offset:440
	s_set_vgpr_msb 0                        ;  msbs: dst=0 src0=0 src1=0 src2=0
	v_dual_add_f32 v9, v9, v11 :: v_dual_mul_f32 v11, v124, v129
	s_delay_alu instid0(VALU_DEP_1) | instskip(NEXT) | instid1(VALU_DEP_1)
	v_fmac_f32_e32 v11, v125, v128
	v_add_f32_e32 v9, v9, v11
	s_wait_loadcnt_dscnt 0x1410
	v_mul_f32_e32 v11, v130, v135
	s_delay_alu instid0(VALU_DEP_1) | instskip(NEXT) | instid1(VALU_DEP_1)
	v_fmac_f32_e32 v11, v131, v134
	v_dual_add_f32 v9, v9, v11 :: v_dual_mul_f32 v11, v132, v137
	s_delay_alu instid0(VALU_DEP_1) | instskip(NEXT) | instid1(VALU_DEP_1)
	v_fmac_f32_e32 v11, v133, v136
	v_add_f32_e32 v9, v9, v11
	s_wait_loadcnt_dscnt 0x130f
	v_mul_f32_e32 v11, v138, v143
	s_delay_alu instid0(VALU_DEP_1) | instskip(NEXT) | instid1(VALU_DEP_1)
	v_fmac_f32_e32 v11, v139, v142
	;; [unrolled: 8-line block ×15, first 2 shown]
	v_dual_add_f32 v9, v9, v11 :: v_dual_mul_f32 v11, v244, v249
	s_delay_alu instid0(VALU_DEP_1) | instskip(NEXT) | instid1(VALU_DEP_1)
	v_fmac_f32_e32 v11, v245, v248
	v_add_f32_e32 v9, v9, v11
	s_wait_loadcnt_dscnt 0x501
	v_mul_f32_e32 v11, v250, v255
	s_delay_alu instid0(VALU_DEP_1) | instskip(SKIP_1) | instid1(VALU_DEP_1)
	v_fmac_f32_e32 v11, v251, v254
	s_set_vgpr_msb 64                       ;  msbs: dst=1 src0=0 src1=0 src2=0
	v_add_f32_e32 v23 /*v279*/, v9, v11
	s_set_vgpr_msb 0                        ;  msbs: dst=0 src0=0 src1=0 src2=0
	v_dual_mul_f32 v9, v115, v119 :: v_dual_mul_f32 v11, v117, v121
	s_delay_alu instid0(VALU_DEP_1) | instskip(NEXT) | instid1(VALU_DEP_1)
	v_dual_fma_f32 v9, v114, v118, -v9 :: v_dual_fma_f32 v11, v116, v120, -v11
	v_add_f32_e32 v9, 0, v9
	s_delay_alu instid0(VALU_DEP_1) | instskip(SKIP_1) | instid1(VALU_DEP_1)
	v_add_f32_e32 v9, v9, v11
	v_mul_f32_e32 v11, v123, v127
	v_fma_f32 v11, v122, v126, -v11
	s_delay_alu instid0(VALU_DEP_1) | instskip(SKIP_1) | instid1(VALU_DEP_1)
	v_add_f32_e32 v9, v9, v11
	v_mul_f32_e32 v11, v125, v129
	v_fma_f32 v11, v124, v128, -v11
	ds_load_2addr_b64 v[114:117], v7 offset0:105 offset1:106
	ds_load_2addr_b64 v[118:121], v7 offset0:107 offset1:108
	;; [unrolled: 1-line block ×3, first 2 shown]
	ds_load_b64 v[126:127], v7 offset:888
	v_add_f32_e32 v9, v9, v11
	v_mul_f32_e32 v11, v131, v135
	s_wait_dscnt 0x4
	s_set_vgpr_msb 1                        ;  msbs: dst=0 src0=1 src1=0 src2=0
	v_mov_b32_e32 v131, v4 /*v260*/
	s_set_vgpr_msb 0                        ;  msbs: dst=0 src0=0 src1=0 src2=0
	v_fma_f32 v11, v130, v134, -v11
	s_set_vgpr_msb 1                        ;  msbs: dst=0 src0=1 src1=0 src2=0
	v_mov_b32_e32 v130, v5 /*v261*/
	s_set_vgpr_msb 0                        ;  msbs: dst=0 src0=0 src1=0 src2=0
	s_delay_alu instid0(VALU_DEP_2) | instskip(SKIP_1) | instid1(VALU_DEP_1)
	v_add_f32_e32 v9, v9, v11
	v_mul_f32_e32 v11, v133, v137
	v_fma_f32 v11, v132, v136, -v11
	s_wait_loadcnt 0x4
	s_set_vgpr_msb 1                        ;  msbs: dst=0 src0=1 src1=0 src2=0
	v_mov_b32_e32 v132, v9 /*v265*/
	s_set_vgpr_msb 0                        ;  msbs: dst=0 src0=0 src1=0 src2=0
	v_add_f32_e32 v9, v9, v11
	v_mul_f32_e32 v11, v139, v143
	s_delay_alu instid0(VALU_DEP_3) | instskip(NEXT) | instid1(VALU_DEP_2)
	v_pk_mul_f32 v[130:131], v[130:131], v[132:133] op_sel_hi:[1,0]
	v_fma_f32 v11, v138, v142, -v11
	s_set_vgpr_msb 5                        ;  msbs: dst=0 src0=1 src1=1 src2=0
	s_delay_alu instid0(VALU_DEP_2) | instskip(SKIP_3) | instid1(VALU_DEP_2)
	v_pk_fma_f32 v[132:133], v[4:5] /*v[260:261]*/, v[8:9] /*v[264:265]*/, v[130:131] neg_lo:[0,0,1] neg_hi:[0,0,1]
	v_pk_fma_f32 v[130:131], v[4:5] /*v[260:261]*/, v[8:9] /*v[264:265]*/, v[130:131] op_sel_hi:[1,0,1]
	s_set_vgpr_msb 0                        ;  msbs: dst=0 src0=0 src1=0 src2=0
	v_add_f32_e32 v9, v9, v11
	v_dual_mul_f32 v11, v141, v145 :: v_dual_mov_b32 v133, v131
	s_wait_loadcnt_dscnt 0x303
	s_set_vgpr_msb 4                        ;  msbs: dst=0 src0=0 src1=1 src2=0
	v_pk_mul_f32 v[130:131], v[114:115], v[10:11] /*v[266:267]*/ op_sel:[1,1] op_sel_hi:[0,1]
	s_set_vgpr_msb 0                        ;  msbs: dst=0 src0=0 src1=0 src2=0
	v_fma_f32 v11, v140, v144, -v11
	s_delay_alu instid0(VALU_DEP_1) | instskip(SKIP_1) | instid1(VALU_DEP_1)
	v_add_f32_e32 v9, v9, v11
	v_mul_f32_e32 v11, v147, v151
	v_fma_f32 v11, v146, v150, -v11
	s_delay_alu instid0(VALU_DEP_1) | instskip(SKIP_1) | instid1(VALU_DEP_1)
	v_add_f32_e32 v9, v9, v11
	v_mul_f32_e32 v11, v149, v153
	;; [unrolled: 4-line block ×27, first 2 shown]
	v_fma_f32 v11, v250, v254, -v11
	s_set_vgpr_msb 64                       ;  msbs: dst=1 src0=0 src1=0 src2=0
	s_delay_alu instid0(VALU_DEP_1) | instskip(SKIP_3) | instid1(VALU_DEP_1)
	v_add_f32_e32 v22 /*v278*/, v9, v11
	s_set_vgpr_msb 4                        ;  msbs: dst=0 src0=0 src1=1 src2=0
	v_mul_f32_e32 v9, v253, v1 /*v257*/
	s_set_vgpr_msb 0x44                     ;  msbs: dst=1 src0=0 src1=1 src2=0
	v_dual_mul_f32 v25 /*v281*/, v252, v1 /*v257*/ :: v_dual_fma_f32 v24 /*v280*/, v252, v0 /*v256*/, -v9
	s_set_vgpr_msb 5                        ;  msbs: dst=0 src0=1 src1=1 src2=0
	v_mul_f32_e32 v9, v3 /*v259*/, v7 /*v263*/
	s_set_vgpr_msb 0x44                     ;  msbs: dst=1 src0=0 src1=1 src2=0
	s_delay_alu instid0(VALU_DEP_2) | instskip(SKIP_1) | instid1(VALU_DEP_2)
	v_fmac_f32_e32 v25 /*v281*/, v253, v0 /*v256*/
	s_set_vgpr_msb 0x45                     ;  msbs: dst=1 src0=1 src1=1 src2=0
	v_dual_mul_f32 v27 /*v283*/, v2 /*v258*/, v7 /*v263*/ :: v_dual_fma_f32 v26 /*v282*/, v2 /*v258*/, v6 /*v262*/, -v9
	s_set_vgpr_msb 5                        ;  msbs: dst=0 src0=1 src1=1 src2=0
	s_delay_alu instid0(VALU_DEP_2) | instskip(SKIP_1) | instid1(VALU_DEP_2)
	v_pk_add_f32 v[128:129], v[22:23] /*v[278:279]*/, v[24:25] /*v[280:281]*/
	s_set_vgpr_msb 0x45                     ;  msbs: dst=1 src0=1 src1=1 src2=0
	v_fmac_f32_e32 v27 /*v283*/, v3 /*v259*/, v6 /*v262*/
	s_set_vgpr_msb 4                        ;  msbs: dst=0 src0=0 src1=1 src2=0
	s_delay_alu instid0(VALU_DEP_1) | instskip(SKIP_1) | instid1(VALU_DEP_1)
	v_pk_add_f32 v[128:129], v[128:129], v[26:27] /*v[282:283]*/
	s_set_vgpr_msb 0                        ;  msbs: dst=0 src0=0 src1=0 src2=0
	v_pk_add_f32 v[128:129], v[128:129], v[132:133]
	s_set_vgpr_msb 4                        ;  msbs: dst=0 src0=0 src1=1 src2=0
	v_pk_fma_f32 v[132:133], v[114:115], v[10:11] /*v[266:267]*/, v[130:131] neg_lo:[0,0,1] neg_hi:[0,0,1]
	v_pk_fma_f32 v[114:115], v[114:115], v[10:11] /*v[266:267]*/, v[130:131] op_sel_hi:[1,0,1]
	s_set_vgpr_msb 1                        ;  msbs: dst=0 src0=1 src1=0 src2=0
	v_mov_b32_e32 v130, v13 /*v269*/
	s_set_vgpr_msb 0                        ;  msbs: dst=0 src0=0 src1=0 src2=0
	s_delay_alu instid0(VALU_DEP_2) | instskip(NEXT) | instid1(VALU_DEP_1)
	v_mov_b32_e32 v133, v115
	v_pk_add_f32 v[114:115], v[128:129], v[132:133]
	v_dual_mov_b32 v128, v117 :: v_dual_mov_b32 v129, v116
	s_delay_alu instid0(VALU_DEP_1) | instskip(SKIP_1) | instid1(VALU_DEP_1)
	v_pk_mul_f32 v[128:129], v[128:129], v[130:131] op_sel_hi:[1,0]
	s_set_vgpr_msb 4                        ;  msbs: dst=0 src0=0 src1=1 src2=0
	v_pk_fma_f32 v[130:131], v[116:117], v[12:13] /*v[268:269]*/, v[128:129] neg_lo:[0,0,1] neg_hi:[0,0,1]
	v_pk_fma_f32 v[116:117], v[116:117], v[12:13] /*v[268:269]*/, v[128:129] op_sel_hi:[1,0,1]
	s_delay_alu instid0(VALU_DEP_1) | instskip(SKIP_3) | instid1(VALU_DEP_2)
	v_mov_b32_e32 v131, v117
	s_wait_loadcnt_dscnt 0x202
	v_pk_mul_f32 v[116:117], v[118:119], v[14:15] /*v[270:271]*/ op_sel:[1,1] op_sel_hi:[0,1]
	s_set_vgpr_msb 0                        ;  msbs: dst=0 src0=0 src1=0 src2=0
	v_pk_add_f32 v[114:115], v[114:115], v[130:131]
	s_set_vgpr_msb 4                        ;  msbs: dst=0 src0=0 src1=1 src2=0
	s_delay_alu instid0(VALU_DEP_2)
	v_pk_fma_f32 v[128:129], v[118:119], v[14:15] /*v[270:271]*/, v[116:117] neg_lo:[0,0,1] neg_hi:[0,0,1]
	v_pk_fma_f32 v[116:117], v[118:119], v[14:15] /*v[270:271]*/, v[116:117] op_sel_hi:[1,0,1]
	v_mov_b32_e32 v116, v121
	s_set_vgpr_msb 1                        ;  msbs: dst=0 src0=1 src1=0 src2=0
	v_mov_b32_e32 v118, v17 /*v273*/
	s_set_vgpr_msb 0                        ;  msbs: dst=0 src0=0 src1=0 src2=0
	v_dual_mov_b32 v129, v117 :: v_dual_mov_b32 v117, v120
	s_delay_alu instid0(VALU_DEP_1) | instskip(NEXT) | instid1(VALU_DEP_2)
	v_pk_add_f32 v[114:115], v[114:115], v[128:129]
	v_pk_mul_f32 v[116:117], v[116:117], v[118:119] op_sel_hi:[1,0]
	s_set_vgpr_msb 4                        ;  msbs: dst=0 src0=0 src1=1 src2=0
	s_delay_alu instid0(VALU_DEP_1) | instskip(SKIP_1) | instid1(VALU_DEP_1)
	v_pk_fma_f32 v[118:119], v[120:121], v[16:17] /*v[272:273]*/, v[116:117] neg_lo:[0,0,1] neg_hi:[0,0,1]
	v_pk_fma_f32 v[116:117], v[120:121], v[16:17] /*v[272:273]*/, v[116:117] op_sel_hi:[1,0,1]
	v_mov_b32_e32 v119, v117
	s_wait_loadcnt_dscnt 0x101
	v_pk_mul_f32 v[116:117], v[122:123], v[18:19] /*v[274:275]*/ op_sel:[1,1] op_sel_hi:[0,1]
	s_set_vgpr_msb 0                        ;  msbs: dst=0 src0=0 src1=0 src2=0
	s_delay_alu instid0(VALU_DEP_2) | instskip(SKIP_1) | instid1(VALU_DEP_2)
	v_pk_add_f32 v[114:115], v[114:115], v[118:119]
	s_set_vgpr_msb 4                        ;  msbs: dst=0 src0=0 src1=1 src2=0
	v_pk_fma_f32 v[118:119], v[122:123], v[18:19] /*v[274:275]*/, v[116:117] neg_lo:[0,0,1] neg_hi:[0,0,1]
	v_pk_fma_f32 v[116:117], v[122:123], v[18:19] /*v[274:275]*/, v[116:117] op_sel_hi:[1,0,1]
	s_delay_alu instid0(VALU_DEP_1) | instskip(SKIP_2) | instid1(VALU_DEP_2)
	v_dual_mov_b32 v116, v125 :: v_dual_mov_b32 v119, v117
	v_mov_b32_e32 v117, v124
	s_set_vgpr_msb 0                        ;  msbs: dst=0 src0=0 src1=0 src2=0
	v_pk_add_f32 v[114:115], v[114:115], v[118:119]
	s_set_vgpr_msb 1                        ;  msbs: dst=0 src0=1 src1=0 src2=0
	v_mov_b32_e32 v118, v21 /*v277*/
	s_set_vgpr_msb 0                        ;  msbs: dst=0 src0=0 src1=0 src2=0
	s_delay_alu instid0(VALU_DEP_1) | instskip(SKIP_1) | instid1(VALU_DEP_1)
	v_pk_mul_f32 v[116:117], v[116:117], v[118:119] op_sel_hi:[1,0]
	s_set_vgpr_msb 4                        ;  msbs: dst=0 src0=0 src1=1 src2=0
	v_pk_fma_f32 v[118:119], v[124:125], v[20:21] /*v[276:277]*/, v[116:117] neg_lo:[0,0,1] neg_hi:[0,0,1]
	v_pk_fma_f32 v[116:117], v[124:125], v[20:21] /*v[276:277]*/, v[116:117] op_sel_hi:[1,0,1]
	s_delay_alu instid0(VALU_DEP_1) | instskip(SKIP_3) | instid1(VALU_DEP_2)
	v_mov_b32_e32 v119, v117
	s_wait_loadcnt_dscnt 0x0
	v_pk_mul_f32 v[116:117], v[126:127], v[28:29] /*v[284:285]*/ op_sel:[1,1] op_sel_hi:[0,1]
	s_set_vgpr_msb 0                        ;  msbs: dst=0 src0=0 src1=0 src2=0
	v_pk_add_f32 v[114:115], v[114:115], v[118:119]
	s_set_vgpr_msb 4                        ;  msbs: dst=0 src0=0 src1=1 src2=0
	s_delay_alu instid0(VALU_DEP_2) | instskip(SKIP_1) | instid1(VALU_DEP_1)
	v_pk_fma_f32 v[118:119], v[126:127], v[28:29] /*v[284:285]*/, v[116:117] neg_lo:[0,0,1] neg_hi:[0,0,1]
	v_pk_fma_f32 v[116:117], v[126:127], v[28:29] /*v[284:285]*/, v[116:117] op_sel_hi:[1,0,1]
	v_mov_b32_e32 v119, v117
	scratch_load_b64 v[116:117], off, off offset:80
	s_set_vgpr_msb 0                        ;  msbs: dst=0 src0=0 src1=0 src2=0
	v_pk_add_f32 v[114:115], v[114:115], v[118:119]
	s_wait_loadcnt 0x0
	s_delay_alu instid0(VALU_DEP_1)
	v_pk_add_f32 v[114:115], v[116:117], v[114:115] neg_lo:[0,1] neg_hi:[0,1]
	scratch_store_b64 off, v[114:115], off offset:80
	s_wait_xcnt 0x0
	v_cmpx_lt_u32_e32 9, v0
	s_cbranch_execz .LBB119_331
; %bb.330:
	scratch_load_b64 v[114:115], off, off offset:72
	v_mov_b64_e32 v[116:117], 0
	scratch_store_b64 off, v[116:117], off offset:72
	s_wait_loadcnt 0x0
	ds_store_b64 v1, v[114:115]
.LBB119_331:
	s_wait_xcnt 0x0
	s_or_b32 exec_lo, exec_lo, s0
	s_wait_storecnt_dscnt 0x0
	s_barrier_signal -1
	s_barrier_wait -1
	ds_load_b128 v[114:117], v7 offset:528
	ds_load_b128 v[118:121], v7 offset:544
	;; [unrolled: 1-line block ×4, first 2 shown]
	s_clause 0x11
	scratch_load_b128 v[130:133], off, off offset:80
	scratch_load_b128 v[134:137], off, off offset:96
	;; [unrolled: 1-line block ×18, first 2 shown]
	ds_load_b128 v[146:149], v7 offset:592
	ds_load_b128 v[154:157], v7 offset:608
	ds_load_b128 v[162:165], v7 offset:624
	ds_load_b128 v[170:173], v7 offset:640
	ds_load_b128 v[178:181], v7 offset:656
	ds_load_b128 v[186:189], v7 offset:672
	ds_load_b128 v[194:197], v7 offset:688
	ds_load_b128 v[202:205], v7 offset:704
	ds_load_b128 v[210:213], v7 offset:720
	ds_load_b128 v[218:221], v7 offset:736
	ds_load_b128 v[226:229], v7 offset:752
	ds_load_b128 v[234:237], v7 offset:768
	ds_load_b128 v[242:245], v7 offset:784
	ds_load_b128 v[250:253], v7 offset:800
	s_set_vgpr_msb 64                       ;  msbs: dst=1 src0=0 src1=0 src2=0
	scratch_load_b128 v[6:9] /*v[262:265]*/, off, off offset:368
	ds_load_b128 v[2:5] /*v[258:261]*/, v7 offset:816
	s_clause 0x3
	scratch_load_b128 v[10:13] /*v[266:269]*/, off, off offset:384
	scratch_load_b128 v[14:17] /*v[270:273]*/, off, off offset:400
	;; [unrolled: 1-line block ×4, first 2 shown]
	s_mov_b32 s0, exec_lo
	s_wait_loadcnt_dscnt 0x1612
	s_set_vgpr_msb 0                        ;  msbs: dst=0 src0=0 src1=0 src2=0
	v_dual_mul_f32 v9, v114, v131 :: v_dual_mul_f32 v11, v116, v133
	s_delay_alu instid0(VALU_DEP_1) | instskip(NEXT) | instid1(VALU_DEP_1)
	v_dual_fmac_f32 v9, v115, v130 :: v_dual_fmac_f32 v11, v117, v132
	v_add_f32_e32 v9, 0, v9
	s_delay_alu instid0(VALU_DEP_1) | instskip(SKIP_2) | instid1(VALU_DEP_1)
	v_add_f32_e32 v9, v9, v11
	s_wait_loadcnt_dscnt 0x1511
	v_mul_f32_e32 v11, v118, v135
	v_fmac_f32_e32 v11, v119, v134
	s_delay_alu instid0(VALU_DEP_1) | instskip(NEXT) | instid1(VALU_DEP_1)
	v_dual_add_f32 v9, v9, v11 :: v_dual_mul_f32 v11, v120, v137
	v_fmac_f32_e32 v11, v121, v136
	s_wait_loadcnt_dscnt 0x400
	s_set_vgpr_msb 0x45                     ;  msbs: dst=1 src0=1 src1=1 src2=0
	v_dual_mul_f32 v29 /*v285*/, v2 /*v258*/, v7 /*v263*/ :: v_dual_mul_f32 v31 /*v287*/, v4 /*v260*/, v9 /*v265*/
	s_set_vgpr_msb 0                        ;  msbs: dst=0 src0=0 src1=0 src2=0
	v_add_f32_e32 v9, v9, v11
	v_mul_f32_e32 v11, v122, v139
	s_set_vgpr_msb 0x45                     ;  msbs: dst=1 src0=1 src1=1 src2=0
	v_dual_fmac_f32 v29 /*v285*/, v3 /*v259*/, v6 /*v262*/ :: v_dual_fmac_f32 v31 /*v287*/, v5 /*v261*/, v8 /*v264*/
	s_set_vgpr_msb 0                        ;  msbs: dst=0 src0=0 src1=0 src2=0
	s_delay_alu instid0(VALU_DEP_2) | instskip(NEXT) | instid1(VALU_DEP_1)
	v_fmac_f32_e32 v11, v123, v138
	v_dual_add_f32 v9, v9, v11 :: v_dual_mul_f32 v11, v124, v141
	s_delay_alu instid0(VALU_DEP_1) | instskip(NEXT) | instid1(VALU_DEP_1)
	v_fmac_f32_e32 v11, v125, v140
	v_add_f32_e32 v9, v9, v11
	v_mul_f32_e32 v11, v126, v143
	s_delay_alu instid0(VALU_DEP_1) | instskip(NEXT) | instid1(VALU_DEP_1)
	v_fmac_f32_e32 v11, v127, v142
	v_dual_add_f32 v9, v9, v11 :: v_dual_mul_f32 v11, v128, v145
	s_delay_alu instid0(VALU_DEP_1) | instskip(NEXT) | instid1(VALU_DEP_1)
	v_fmac_f32_e32 v11, v129, v144
	v_add_f32_e32 v9, v9, v11
	v_mul_f32_e32 v11, v146, v151
	s_delay_alu instid0(VALU_DEP_1) | instskip(NEXT) | instid1(VALU_DEP_1)
	;; [unrolled: 7-line block ×15, first 2 shown]
	v_fmac_f32_e32 v11, v251, v254
	v_add_f32_e32 v9, v9, v11
	s_set_vgpr_msb 4                        ;  msbs: dst=0 src0=0 src1=1 src2=0
	v_mul_f32_e32 v11, v252, v1 /*v257*/
	s_delay_alu instid0(VALU_DEP_1) | instskip(SKIP_1) | instid1(VALU_DEP_1)
	v_fmac_f32_e32 v11, v253, v0 /*v256*/
	s_set_vgpr_msb 64                       ;  msbs: dst=1 src0=0 src1=0 src2=0
	v_add_f32_e32 v27 /*v283*/, v9, v11
	s_set_vgpr_msb 0                        ;  msbs: dst=0 src0=0 src1=0 src2=0
	v_dual_mul_f32 v9, v115, v131 :: v_dual_mul_f32 v11, v117, v133
	s_delay_alu instid0(VALU_DEP_1) | instskip(NEXT) | instid1(VALU_DEP_1)
	v_dual_fma_f32 v9, v114, v130, -v9 :: v_dual_fma_f32 v11, v116, v132, -v11
	v_add_f32_e32 v9, 0, v9
	s_delay_alu instid0(VALU_DEP_1) | instskip(SKIP_1) | instid1(VALU_DEP_1)
	v_add_f32_e32 v9, v9, v11
	v_mul_f32_e32 v11, v119, v135
	v_fma_f32 v11, v118, v134, -v11
	s_delay_alu instid0(VALU_DEP_1) | instskip(SKIP_1) | instid1(VALU_DEP_1)
	v_add_f32_e32 v9, v9, v11
	v_mul_f32_e32 v11, v121, v137
	v_fma_f32 v11, v120, v136, -v11
	;; [unrolled: 4-line block ×6, first 2 shown]
	ds_load_b128 v[114:117], v7 offset:832
	ds_load_b128 v[118:121], v7 offset:848
	ds_load_b128 v[122:125], v7 offset:864
	ds_load_b128 v[126:129], v7 offset:880
	v_add_f32_e32 v9, v9, v11
	v_mul_f32_e32 v11, v147, v151
	s_delay_alu instid0(VALU_DEP_1) | instskip(NEXT) | instid1(VALU_DEP_1)
	v_fma_f32 v11, v146, v150, -v11
	v_add_f32_e32 v9, v9, v11
	v_mul_f32_e32 v11, v149, v153
	s_wait_loadcnt_dscnt 0x303
	s_set_vgpr_msb 4                        ;  msbs: dst=0 src0=0 src1=1 src2=0
	v_pk_mul_f32 v[132:133], v[114:115], v[10:11] /*v[266:267]*/ op_sel:[1,1] op_sel_hi:[0,1]
	s_set_vgpr_msb 0                        ;  msbs: dst=0 src0=0 src1=0 src2=0
	v_fma_f32 v11, v148, v152, -v11
	s_set_vgpr_msb 4                        ;  msbs: dst=0 src0=0 src1=1 src2=0
	s_delay_alu instid0(VALU_DEP_2)
	v_pk_fma_f32 v[134:135], v[114:115], v[10:11] /*v[266:267]*/, v[132:133] neg_lo:[0,0,1] neg_hi:[0,0,1]
	v_pk_fma_f32 v[114:115], v[114:115], v[10:11] /*v[266:267]*/, v[132:133] op_sel_hi:[1,0,1]
	s_set_vgpr_msb 1                        ;  msbs: dst=0 src0=1 src1=0 src2=0
	v_mov_b32_e32 v132, v13 /*v269*/
	s_set_vgpr_msb 0                        ;  msbs: dst=0 src0=0 src1=0 src2=0
	v_add_f32_e32 v9, v9, v11
	v_mul_f32_e32 v11, v155, v159
	s_delay_alu instid0(VALU_DEP_1) | instskip(NEXT) | instid1(VALU_DEP_1)
	v_dual_mov_b32 v135, v115 :: v_dual_fma_f32 v11, v154, v158, -v11
	v_add_f32_e32 v9, v9, v11
	v_mul_f32_e32 v11, v157, v161
	s_delay_alu instid0(VALU_DEP_1) | instskip(NEXT) | instid1(VALU_DEP_1)
	v_fma_f32 v11, v156, v160, -v11
	v_add_f32_e32 v9, v9, v11
	v_mul_f32_e32 v11, v163, v167
	s_delay_alu instid0(VALU_DEP_1) | instskip(NEXT) | instid1(VALU_DEP_1)
	v_fma_f32 v11, v162, v166, -v11
	;; [unrolled: 4-line block ×24, first 2 shown]
	v_add_f32_e32 v9, v9, v11
	s_set_vgpr_msb 4                        ;  msbs: dst=0 src0=0 src1=1 src2=0
	v_mul_f32_e32 v11, v253, v1 /*v257*/
	s_delay_alu instid0(VALU_DEP_1) | instskip(SKIP_1) | instid1(VALU_DEP_1)
	v_fma_f32 v11, v252, v0 /*v256*/, -v11
	s_set_vgpr_msb 64                       ;  msbs: dst=1 src0=0 src1=0 src2=0
	v_add_f32_e32 v26 /*v282*/, v9, v11
	s_set_vgpr_msb 5                        ;  msbs: dst=0 src0=1 src1=1 src2=0
	v_mul_f32_e32 v9, v3 /*v259*/, v7 /*v263*/
	s_set_vgpr_msb 0x45                     ;  msbs: dst=1 src0=1 src1=1 src2=0
	s_delay_alu instid0(VALU_DEP_1) | instskip(SKIP_3) | instid1(VALU_DEP_1)
	v_fma_f32 v28 /*v284*/, v2 /*v258*/, v6 /*v262*/, -v9
	s_set_vgpr_msb 5                        ;  msbs: dst=0 src0=1 src1=1 src2=0
	v_mul_f32_e32 v9, v5 /*v261*/, v9 /*v265*/
	s_set_vgpr_msb 0x45                     ;  msbs: dst=1 src0=1 src1=1 src2=0
	v_fma_f32 v30 /*v286*/, v4 /*v260*/, v8 /*v264*/, -v9
	s_set_vgpr_msb 5                        ;  msbs: dst=0 src0=1 src1=1 src2=0
	v_pk_add_f32 v[130:131], v[26:27] /*v[282:283]*/, v[28:29] /*v[284:285]*/
	s_set_vgpr_msb 4                        ;  msbs: dst=0 src0=0 src1=1 src2=0
	s_delay_alu instid0(VALU_DEP_1) | instskip(SKIP_1) | instid1(VALU_DEP_1)
	v_pk_add_f32 v[130:131], v[130:131], v[30:31] /*v[286:287]*/
	s_set_vgpr_msb 0                        ;  msbs: dst=0 src0=0 src1=0 src2=0
	v_pk_add_f32 v[114:115], v[130:131], v[134:135]
	v_dual_mov_b32 v130, v117 :: v_dual_mov_b32 v131, v116
	s_delay_alu instid0(VALU_DEP_1) | instskip(SKIP_1) | instid1(VALU_DEP_1)
	v_pk_mul_f32 v[130:131], v[130:131], v[132:133] op_sel_hi:[1,0]
	s_set_vgpr_msb 4                        ;  msbs: dst=0 src0=0 src1=1 src2=0
	v_pk_fma_f32 v[132:133], v[116:117], v[12:13] /*v[268:269]*/, v[130:131] neg_lo:[0,0,1] neg_hi:[0,0,1]
	v_pk_fma_f32 v[116:117], v[116:117], v[12:13] /*v[268:269]*/, v[130:131] op_sel_hi:[1,0,1]
	s_delay_alu instid0(VALU_DEP_1) | instskip(SKIP_3) | instid1(VALU_DEP_2)
	v_mov_b32_e32 v133, v117
	s_wait_loadcnt_dscnt 0x202
	v_pk_mul_f32 v[116:117], v[118:119], v[14:15] /*v[270:271]*/ op_sel:[1,1] op_sel_hi:[0,1]
	s_set_vgpr_msb 0                        ;  msbs: dst=0 src0=0 src1=0 src2=0
	v_pk_add_f32 v[114:115], v[114:115], v[132:133]
	s_set_vgpr_msb 4                        ;  msbs: dst=0 src0=0 src1=1 src2=0
	s_delay_alu instid0(VALU_DEP_2)
	v_pk_fma_f32 v[130:131], v[118:119], v[14:15] /*v[270:271]*/, v[116:117] neg_lo:[0,0,1] neg_hi:[0,0,1]
	v_pk_fma_f32 v[116:117], v[118:119], v[14:15] /*v[270:271]*/, v[116:117] op_sel_hi:[1,0,1]
	v_mov_b32_e32 v116, v121
	s_set_vgpr_msb 1                        ;  msbs: dst=0 src0=1 src1=0 src2=0
	v_mov_b32_e32 v118, v17 /*v273*/
	s_set_vgpr_msb 0                        ;  msbs: dst=0 src0=0 src1=0 src2=0
	v_dual_mov_b32 v131, v117 :: v_dual_mov_b32 v117, v120
	s_delay_alu instid0(VALU_DEP_1) | instskip(NEXT) | instid1(VALU_DEP_2)
	v_pk_add_f32 v[114:115], v[114:115], v[130:131]
	v_pk_mul_f32 v[116:117], v[116:117], v[118:119] op_sel_hi:[1,0]
	s_set_vgpr_msb 4                        ;  msbs: dst=0 src0=0 src1=1 src2=0
	s_delay_alu instid0(VALU_DEP_1) | instskip(SKIP_1) | instid1(VALU_DEP_1)
	v_pk_fma_f32 v[118:119], v[120:121], v[16:17] /*v[272:273]*/, v[116:117] neg_lo:[0,0,1] neg_hi:[0,0,1]
	v_pk_fma_f32 v[116:117], v[120:121], v[16:17] /*v[272:273]*/, v[116:117] op_sel_hi:[1,0,1]
	v_mov_b32_e32 v119, v117
	s_wait_loadcnt_dscnt 0x101
	v_pk_mul_f32 v[116:117], v[122:123], v[18:19] /*v[274:275]*/ op_sel:[1,1] op_sel_hi:[0,1]
	s_set_vgpr_msb 0                        ;  msbs: dst=0 src0=0 src1=0 src2=0
	s_delay_alu instid0(VALU_DEP_2) | instskip(SKIP_1) | instid1(VALU_DEP_2)
	v_pk_add_f32 v[114:115], v[114:115], v[118:119]
	s_set_vgpr_msb 4                        ;  msbs: dst=0 src0=0 src1=1 src2=0
	v_pk_fma_f32 v[118:119], v[122:123], v[18:19] /*v[274:275]*/, v[116:117] neg_lo:[0,0,1] neg_hi:[0,0,1]
	v_pk_fma_f32 v[116:117], v[122:123], v[18:19] /*v[274:275]*/, v[116:117] op_sel_hi:[1,0,1]
	s_delay_alu instid0(VALU_DEP_1) | instskip(SKIP_2) | instid1(VALU_DEP_2)
	v_dual_mov_b32 v116, v125 :: v_dual_mov_b32 v119, v117
	v_mov_b32_e32 v117, v124
	s_set_vgpr_msb 0                        ;  msbs: dst=0 src0=0 src1=0 src2=0
	v_pk_add_f32 v[114:115], v[114:115], v[118:119]
	s_set_vgpr_msb 1                        ;  msbs: dst=0 src0=1 src1=0 src2=0
	v_mov_b32_e32 v118, v21 /*v277*/
	s_set_vgpr_msb 0                        ;  msbs: dst=0 src0=0 src1=0 src2=0
	s_delay_alu instid0(VALU_DEP_1) | instskip(SKIP_1) | instid1(VALU_DEP_1)
	v_pk_mul_f32 v[116:117], v[116:117], v[118:119] op_sel_hi:[1,0]
	s_set_vgpr_msb 4                        ;  msbs: dst=0 src0=0 src1=1 src2=0
	v_pk_fma_f32 v[118:119], v[124:125], v[20:21] /*v[276:277]*/, v[116:117] neg_lo:[0,0,1] neg_hi:[0,0,1]
	v_pk_fma_f32 v[116:117], v[124:125], v[20:21] /*v[276:277]*/, v[116:117] op_sel_hi:[1,0,1]
	s_delay_alu instid0(VALU_DEP_1) | instskip(SKIP_3) | instid1(VALU_DEP_2)
	v_mov_b32_e32 v119, v117
	s_wait_loadcnt_dscnt 0x0
	v_pk_mul_f32 v[116:117], v[126:127], v[22:23] /*v[278:279]*/ op_sel:[1,1] op_sel_hi:[0,1]
	s_set_vgpr_msb 0                        ;  msbs: dst=0 src0=0 src1=0 src2=0
	v_pk_add_f32 v[114:115], v[114:115], v[118:119]
	s_set_vgpr_msb 4                        ;  msbs: dst=0 src0=0 src1=1 src2=0
	s_delay_alu instid0(VALU_DEP_2) | instskip(SKIP_1) | instid1(VALU_DEP_1)
	v_pk_fma_f32 v[118:119], v[126:127], v[22:23] /*v[278:279]*/, v[116:117] neg_lo:[0,0,1] neg_hi:[0,0,1]
	v_pk_fma_f32 v[116:117], v[126:127], v[22:23] /*v[278:279]*/, v[116:117] op_sel_hi:[1,0,1]
	v_dual_mov_b32 v116, v129 :: v_dual_mov_b32 v119, v117
	v_mov_b32_e32 v117, v128
	s_set_vgpr_msb 0                        ;  msbs: dst=0 src0=0 src1=0 src2=0
	s_delay_alu instid0(VALU_DEP_2) | instskip(SKIP_3) | instid1(VALU_DEP_1)
	v_pk_add_f32 v[114:115], v[114:115], v[118:119]
	s_set_vgpr_msb 1                        ;  msbs: dst=0 src0=1 src1=0 src2=0
	v_mov_b32_e32 v118, v25 /*v281*/
	s_set_vgpr_msb 0                        ;  msbs: dst=0 src0=0 src1=0 src2=0
	v_pk_mul_f32 v[116:117], v[116:117], v[118:119] op_sel_hi:[1,0]
	s_set_vgpr_msb 4                        ;  msbs: dst=0 src0=0 src1=1 src2=0
	s_delay_alu instid0(VALU_DEP_1) | instskip(SKIP_1) | instid1(VALU_DEP_1)
	v_pk_fma_f32 v[118:119], v[128:129], v[24:25] /*v[280:281]*/, v[116:117] neg_lo:[0,0,1] neg_hi:[0,0,1]
	v_pk_fma_f32 v[116:117], v[128:129], v[24:25] /*v[280:281]*/, v[116:117] op_sel_hi:[1,0,1]
	v_mov_b32_e32 v119, v117
	scratch_load_b64 v[116:117], off, off offset:72
	s_set_vgpr_msb 0                        ;  msbs: dst=0 src0=0 src1=0 src2=0
	v_pk_add_f32 v[114:115], v[114:115], v[118:119]
	s_wait_loadcnt 0x0
	s_delay_alu instid0(VALU_DEP_1)
	v_pk_add_f32 v[114:115], v[116:117], v[114:115] neg_lo:[0,1] neg_hi:[0,1]
	scratch_store_b64 off, v[114:115], off offset:72
	s_wait_xcnt 0x0
	v_cmpx_lt_u32_e32 8, v0
	s_cbranch_execz .LBB119_333
; %bb.332:
	scratch_load_b64 v[114:115], off, off offset:64
	v_mov_b64_e32 v[116:117], 0
	scratch_store_b64 off, v[116:117], off offset:64
	s_wait_loadcnt 0x0
	ds_store_b64 v1, v[114:115]
.LBB119_333:
	s_wait_xcnt 0x0
	s_or_b32 exec_lo, exec_lo, s0
	s_wait_storecnt_dscnt 0x0
	s_barrier_signal -1
	s_barrier_wait -1
	s_clause 0xf
	scratch_load_b128 v[118:121], off, off offset:72
	scratch_load_b128 v[126:129], off, off offset:88
	;; [unrolled: 1-line block ×16, first 2 shown]
	v_mov_b32_e32 v7, 0
	s_clause 0x4
	scratch_load_b128 v[246:249], off, off offset:328
	scratch_load_b128 v[254:257], off, off offset:344
	s_set_vgpr_msb 64                       ;  msbs: dst=1 src0=0 src1=0 src2=0
	scratch_load_b128 v[6:9] /*v[262:265]*/, off, off offset:360
	scratch_load_b128 v[14:17] /*v[270:273]*/, off, off offset:376
	s_set_vgpr_msb 0                        ;  msbs: dst=0 src0=0 src1=0 src2=0
	ds_load_2addr_b64 v[114:117], v7 offset0:65 offset1:66
	ds_load_2addr_b64 v[122:125], v7 offset0:67 offset1:68
	s_mov_b32 s0, exec_lo
	s_wait_loadcnt_dscnt 0x1301
	v_dual_mul_f32 v9, v114, v119 :: v_dual_mul_f32 v11, v116, v121
	ds_load_2addr_b64 v[130:133], v7 offset0:69 offset1:70
	ds_load_2addr_b64 v[138:141], v7 offset0:71 offset1:72
	;; [unrolled: 1-line block ×4, first 2 shown]
	v_dual_fmac_f32 v9, v115, v118 :: v_dual_fmac_f32 v11, v117, v120
	ds_load_2addr_b64 v[162:165], v7 offset0:77 offset1:78
	ds_load_2addr_b64 v[170:173], v7 offset0:79 offset1:80
	;; [unrolled: 1-line block ×4, first 2 shown]
	v_add_f32_e32 v9, 0, v9
	ds_load_2addr_b64 v[194:197], v7 offset0:85 offset1:86
	ds_load_2addr_b64 v[202:205], v7 offset0:87 offset1:88
	ds_load_2addr_b64 v[210:213], v7 offset0:89 offset1:90
	ds_load_2addr_b64 v[218:221], v7 offset0:91 offset1:92
	v_add_f32_e32 v9, v9, v11
	s_wait_loadcnt_dscnt 0x120c
	v_mul_f32_e32 v11, v122, v127
	ds_load_2addr_b64 v[226:229], v7 offset0:93 offset1:94
	ds_load_2addr_b64 v[234:237], v7 offset0:95 offset1:96
	;; [unrolled: 1-line block ×4, first 2 shown]
	v_fmac_f32_e32 v11, v123, v126
	s_set_vgpr_msb 64                       ;  msbs: dst=1 src0=0 src1=0 src2=0
	ds_load_2addr_b64 v[2:5] /*v[258:261]*/, v7 offset0:101 offset1:102
	ds_load_2addr_b64 v[10:13] /*v[266:269]*/, v7 offset0:103 offset1:104
	s_clause 0x3
	scratch_load_b128 v[18:21] /*v[274:277]*/, off, off offset:392
	scratch_load_b128 v[22:25] /*v[278:281]*/, off, off offset:408
	scratch_load_b128 v[26:29] /*v[282:285]*/, off, off offset:424
	scratch_load_b64 v[36:37] /*v[292:293]*/, off, off offset:440
	s_set_vgpr_msb 0                        ;  msbs: dst=0 src0=0 src1=0 src2=0
	v_dual_add_f32 v9, v9, v11 :: v_dual_mul_f32 v11, v124, v129
	s_delay_alu instid0(VALU_DEP_1) | instskip(NEXT) | instid1(VALU_DEP_1)
	v_fmac_f32_e32 v11, v125, v128
	v_add_f32_e32 v9, v9, v11
	s_wait_loadcnt_dscnt 0x1511
	v_mul_f32_e32 v11, v130, v135
	s_wait_loadcnt_dscnt 0x400
	s_set_vgpr_msb 0x45                     ;  msbs: dst=1 src0=1 src1=1 src2=0
	v_dual_mul_f32 v33 /*v289*/, v4 /*v260*/, v9 /*v265*/ :: v_dual_mul_f32 v35 /*v291*/, v10 /*v266*/, v15 /*v271*/
	s_set_vgpr_msb 0                        ;  msbs: dst=0 src0=0 src1=0 src2=0
	v_fmac_f32_e32 v11, v131, v134
	s_set_vgpr_msb 0x45                     ;  msbs: dst=1 src0=1 src1=1 src2=0
	s_delay_alu instid0(VALU_DEP_2) | instskip(SKIP_1) | instid1(VALU_DEP_2)
	v_dual_fmac_f32 v33 /*v289*/, v5 /*v261*/, v8 /*v264*/ :: v_dual_fmac_f32 v35 /*v291*/, v11 /*v267*/, v14 /*v270*/
	s_set_vgpr_msb 0                        ;  msbs: dst=0 src0=0 src1=0 src2=0
	v_dual_add_f32 v9, v9, v11 :: v_dual_mul_f32 v11, v132, v137
	s_delay_alu instid0(VALU_DEP_1) | instskip(NEXT) | instid1(VALU_DEP_1)
	v_fmac_f32_e32 v11, v133, v136
	v_add_f32_e32 v9, v9, v11
	v_mul_f32_e32 v11, v138, v143
	s_delay_alu instid0(VALU_DEP_1) | instskip(NEXT) | instid1(VALU_DEP_1)
	v_fmac_f32_e32 v11, v139, v142
	v_dual_add_f32 v9, v9, v11 :: v_dual_mul_f32 v11, v140, v145
	s_delay_alu instid0(VALU_DEP_1) | instskip(NEXT) | instid1(VALU_DEP_1)
	v_fmac_f32_e32 v11, v141, v144
	v_add_f32_e32 v9, v9, v11
	v_mul_f32_e32 v11, v146, v151
	s_delay_alu instid0(VALU_DEP_1) | instskip(NEXT) | instid1(VALU_DEP_1)
	v_fmac_f32_e32 v11, v147, v150
	;; [unrolled: 7-line block ×15, first 2 shown]
	v_add_f32_e32 v9, v9, v11
	s_set_vgpr_msb 4                        ;  msbs: dst=0 src0=0 src1=1 src2=0
	v_mul_f32_e32 v11, v252, v1 /*v257*/
	s_delay_alu instid0(VALU_DEP_1) | instskip(SKIP_1) | instid1(VALU_DEP_1)
	v_fmac_f32_e32 v11, v253, v0 /*v256*/
	s_set_vgpr_msb 0                        ;  msbs: dst=0 src0=0 src1=0 src2=0
	v_add_f32_e32 v9, v9, v11
	s_set_vgpr_msb 5                        ;  msbs: dst=0 src0=1 src1=1 src2=0
	v_mul_f32_e32 v11, v2 /*v258*/, v7 /*v263*/
	s_delay_alu instid0(VALU_DEP_1) | instskip(SKIP_1) | instid1(VALU_DEP_1)
	v_fmac_f32_e32 v11, v3 /*v259*/, v6 /*v262*/
	s_set_vgpr_msb 64                       ;  msbs: dst=1 src0=0 src1=0 src2=0
	v_add_f32_e32 v31 /*v287*/, v9, v11
	s_set_vgpr_msb 0                        ;  msbs: dst=0 src0=0 src1=0 src2=0
	v_dual_mul_f32 v9, v115, v119 :: v_dual_mul_f32 v11, v117, v121
	s_delay_alu instid0(VALU_DEP_1) | instskip(NEXT) | instid1(VALU_DEP_1)
	v_dual_fma_f32 v9, v114, v118, -v9 :: v_dual_fma_f32 v11, v116, v120, -v11
	v_add_f32_e32 v9, 0, v9
	s_delay_alu instid0(VALU_DEP_1) | instskip(SKIP_1) | instid1(VALU_DEP_1)
	v_add_f32_e32 v9, v9, v11
	v_mul_f32_e32 v11, v123, v127
	v_fma_f32 v11, v122, v126, -v11
	s_delay_alu instid0(VALU_DEP_1) | instskip(SKIP_1) | instid1(VALU_DEP_1)
	v_add_f32_e32 v9, v9, v11
	v_mul_f32_e32 v11, v125, v129
	v_fma_f32 v11, v124, v128, -v11
	ds_load_2addr_b64 v[114:117], v7 offset0:105 offset1:106
	ds_load_2addr_b64 v[118:121], v7 offset0:107 offset1:108
	;; [unrolled: 1-line block ×3, first 2 shown]
	ds_load_b64 v[126:127], v7 offset:888
	v_add_f32_e32 v9, v9, v11
	v_mul_f32_e32 v11, v131, v135
	s_set_vgpr_msb 1                        ;  msbs: dst=0 src0=1 src1=0 src2=0
	v_mov_b32_e32 v131, v12 /*v268*/
	s_set_vgpr_msb 0                        ;  msbs: dst=0 src0=0 src1=0 src2=0
	s_delay_alu instid0(VALU_DEP_2) | instskip(SKIP_3) | instid1(VALU_DEP_2)
	v_fma_f32 v11, v130, v134, -v11
	s_set_vgpr_msb 1                        ;  msbs: dst=0 src0=1 src1=0 src2=0
	v_mov_b32_e32 v130, v13 /*v269*/
	s_set_vgpr_msb 0                        ;  msbs: dst=0 src0=0 src1=0 src2=0
	v_add_f32_e32 v9, v9, v11
	v_mul_f32_e32 v11, v133, v137
	s_delay_alu instid0(VALU_DEP_1) | instskip(SKIP_3) | instid1(VALU_DEP_2)
	v_fma_f32 v11, v132, v136, -v11
	s_set_vgpr_msb 1                        ;  msbs: dst=0 src0=1 src1=0 src2=0
	v_mov_b32_e32 v132, v17 /*v273*/
	s_set_vgpr_msb 0                        ;  msbs: dst=0 src0=0 src1=0 src2=0
	v_add_f32_e32 v9, v9, v11
	v_mul_f32_e32 v11, v139, v143
	s_delay_alu instid0(VALU_DEP_3) | instskip(NEXT) | instid1(VALU_DEP_2)
	v_pk_mul_f32 v[130:131], v[130:131], v[132:133] op_sel_hi:[1,0]
	v_fma_f32 v11, v138, v142, -v11
	s_set_vgpr_msb 5                        ;  msbs: dst=0 src0=1 src1=1 src2=0
	s_delay_alu instid0(VALU_DEP_2) | instskip(SKIP_3) | instid1(VALU_DEP_2)
	v_pk_fma_f32 v[132:133], v[12:13] /*v[268:269]*/, v[16:17] /*v[272:273]*/, v[130:131] neg_lo:[0,0,1] neg_hi:[0,0,1]
	v_pk_fma_f32 v[130:131], v[12:13] /*v[268:269]*/, v[16:17] /*v[272:273]*/, v[130:131] op_sel_hi:[1,0,1]
	s_set_vgpr_msb 0                        ;  msbs: dst=0 src0=0 src1=0 src2=0
	v_add_f32_e32 v9, v9, v11
	v_dual_mul_f32 v11, v141, v145 :: v_dual_mov_b32 v133, v131
	s_wait_loadcnt_dscnt 0x303
	s_set_vgpr_msb 4                        ;  msbs: dst=0 src0=0 src1=1 src2=0
	v_pk_mul_f32 v[130:131], v[114:115], v[18:19] /*v[274:275]*/ op_sel:[1,1] op_sel_hi:[0,1]
	s_set_vgpr_msb 0                        ;  msbs: dst=0 src0=0 src1=0 src2=0
	v_fma_f32 v11, v140, v144, -v11
	s_delay_alu instid0(VALU_DEP_1) | instskip(SKIP_1) | instid1(VALU_DEP_1)
	v_add_f32_e32 v9, v9, v11
	v_mul_f32_e32 v11, v147, v151
	v_fma_f32 v11, v146, v150, -v11
	s_delay_alu instid0(VALU_DEP_1) | instskip(SKIP_1) | instid1(VALU_DEP_1)
	v_add_f32_e32 v9, v9, v11
	v_mul_f32_e32 v11, v149, v153
	;; [unrolled: 4-line block ×27, first 2 shown]
	v_fma_f32 v11, v250, v254, -v11
	s_delay_alu instid0(VALU_DEP_1) | instskip(SKIP_2) | instid1(VALU_DEP_1)
	v_add_f32_e32 v9, v9, v11
	s_set_vgpr_msb 4                        ;  msbs: dst=0 src0=0 src1=1 src2=0
	v_mul_f32_e32 v11, v253, v1 /*v257*/
	v_fma_f32 v11, v252, v0 /*v256*/, -v11
	s_set_vgpr_msb 0                        ;  msbs: dst=0 src0=0 src1=0 src2=0
	s_delay_alu instid0(VALU_DEP_1) | instskip(SKIP_2) | instid1(VALU_DEP_1)
	v_add_f32_e32 v9, v9, v11
	s_set_vgpr_msb 5                        ;  msbs: dst=0 src0=1 src1=1 src2=0
	v_mul_f32_e32 v11, v3 /*v259*/, v7 /*v263*/
	v_fma_f32 v11, v2 /*v258*/, v6 /*v262*/, -v11
	s_set_vgpr_msb 64                       ;  msbs: dst=1 src0=0 src1=0 src2=0
	s_delay_alu instid0(VALU_DEP_1) | instskip(SKIP_3) | instid1(VALU_DEP_1)
	v_add_f32_e32 v30 /*v286*/, v9, v11
	s_set_vgpr_msb 5                        ;  msbs: dst=0 src0=1 src1=1 src2=0
	v_mul_f32_e32 v9, v5 /*v261*/, v9 /*v265*/
	s_set_vgpr_msb 0x45                     ;  msbs: dst=1 src0=1 src1=1 src2=0
	v_fma_f32 v32 /*v288*/, v4 /*v260*/, v8 /*v264*/, -v9
	s_set_vgpr_msb 5                        ;  msbs: dst=0 src0=1 src1=1 src2=0
	v_mul_f32_e32 v9, v11 /*v267*/, v15 /*v271*/
	s_set_vgpr_msb 0x45                     ;  msbs: dst=1 src0=1 src1=1 src2=0
	s_delay_alu instid0(VALU_DEP_1) | instskip(SKIP_3) | instid1(VALU_DEP_1)
	v_fma_f32 v34 /*v290*/, v10 /*v266*/, v14 /*v270*/, -v9
	s_set_vgpr_msb 5                        ;  msbs: dst=0 src0=1 src1=1 src2=0
	v_pk_add_f32 v[128:129], v[30:31] /*v[286:287]*/, v[32:33] /*v[288:289]*/
	s_set_vgpr_msb 4                        ;  msbs: dst=0 src0=0 src1=1 src2=0
	v_pk_add_f32 v[128:129], v[128:129], v[34:35] /*v[290:291]*/
	s_set_vgpr_msb 0                        ;  msbs: dst=0 src0=0 src1=0 src2=0
	s_delay_alu instid0(VALU_DEP_1)
	v_pk_add_f32 v[128:129], v[128:129], v[132:133]
	s_set_vgpr_msb 4                        ;  msbs: dst=0 src0=0 src1=1 src2=0
	v_pk_fma_f32 v[132:133], v[114:115], v[18:19] /*v[274:275]*/, v[130:131] neg_lo:[0,0,1] neg_hi:[0,0,1]
	v_pk_fma_f32 v[114:115], v[114:115], v[18:19] /*v[274:275]*/, v[130:131] op_sel_hi:[1,0,1]
	s_set_vgpr_msb 1                        ;  msbs: dst=0 src0=1 src1=0 src2=0
	v_mov_b32_e32 v130, v21 /*v277*/
	s_set_vgpr_msb 0                        ;  msbs: dst=0 src0=0 src1=0 src2=0
	s_delay_alu instid0(VALU_DEP_2) | instskip(NEXT) | instid1(VALU_DEP_1)
	v_mov_b32_e32 v133, v115
	v_pk_add_f32 v[114:115], v[128:129], v[132:133]
	v_dual_mov_b32 v128, v117 :: v_dual_mov_b32 v129, v116
	s_delay_alu instid0(VALU_DEP_1) | instskip(SKIP_1) | instid1(VALU_DEP_1)
	v_pk_mul_f32 v[128:129], v[128:129], v[130:131] op_sel_hi:[1,0]
	s_set_vgpr_msb 4                        ;  msbs: dst=0 src0=0 src1=1 src2=0
	v_pk_fma_f32 v[130:131], v[116:117], v[20:21] /*v[276:277]*/, v[128:129] neg_lo:[0,0,1] neg_hi:[0,0,1]
	v_pk_fma_f32 v[116:117], v[116:117], v[20:21] /*v[276:277]*/, v[128:129] op_sel_hi:[1,0,1]
	s_delay_alu instid0(VALU_DEP_1) | instskip(SKIP_3) | instid1(VALU_DEP_2)
	v_mov_b32_e32 v131, v117
	s_wait_loadcnt_dscnt 0x202
	v_pk_mul_f32 v[116:117], v[118:119], v[22:23] /*v[278:279]*/ op_sel:[1,1] op_sel_hi:[0,1]
	s_set_vgpr_msb 0                        ;  msbs: dst=0 src0=0 src1=0 src2=0
	v_pk_add_f32 v[114:115], v[114:115], v[130:131]
	s_set_vgpr_msb 4                        ;  msbs: dst=0 src0=0 src1=1 src2=0
	s_delay_alu instid0(VALU_DEP_2)
	v_pk_fma_f32 v[128:129], v[118:119], v[22:23] /*v[278:279]*/, v[116:117] neg_lo:[0,0,1] neg_hi:[0,0,1]
	v_pk_fma_f32 v[116:117], v[118:119], v[22:23] /*v[278:279]*/, v[116:117] op_sel_hi:[1,0,1]
	v_mov_b32_e32 v116, v121
	s_set_vgpr_msb 1                        ;  msbs: dst=0 src0=1 src1=0 src2=0
	v_mov_b32_e32 v118, v25 /*v281*/
	s_set_vgpr_msb 0                        ;  msbs: dst=0 src0=0 src1=0 src2=0
	v_dual_mov_b32 v129, v117 :: v_dual_mov_b32 v117, v120
	s_delay_alu instid0(VALU_DEP_1) | instskip(NEXT) | instid1(VALU_DEP_2)
	v_pk_add_f32 v[114:115], v[114:115], v[128:129]
	v_pk_mul_f32 v[116:117], v[116:117], v[118:119] op_sel_hi:[1,0]
	s_set_vgpr_msb 4                        ;  msbs: dst=0 src0=0 src1=1 src2=0
	s_delay_alu instid0(VALU_DEP_1) | instskip(SKIP_1) | instid1(VALU_DEP_1)
	v_pk_fma_f32 v[118:119], v[120:121], v[24:25] /*v[280:281]*/, v[116:117] neg_lo:[0,0,1] neg_hi:[0,0,1]
	v_pk_fma_f32 v[116:117], v[120:121], v[24:25] /*v[280:281]*/, v[116:117] op_sel_hi:[1,0,1]
	v_mov_b32_e32 v119, v117
	s_wait_loadcnt_dscnt 0x101
	v_pk_mul_f32 v[116:117], v[122:123], v[26:27] /*v[282:283]*/ op_sel:[1,1] op_sel_hi:[0,1]
	s_set_vgpr_msb 0                        ;  msbs: dst=0 src0=0 src1=0 src2=0
	s_delay_alu instid0(VALU_DEP_2) | instskip(SKIP_1) | instid1(VALU_DEP_2)
	v_pk_add_f32 v[114:115], v[114:115], v[118:119]
	s_set_vgpr_msb 4                        ;  msbs: dst=0 src0=0 src1=1 src2=0
	v_pk_fma_f32 v[118:119], v[122:123], v[26:27] /*v[282:283]*/, v[116:117] neg_lo:[0,0,1] neg_hi:[0,0,1]
	v_pk_fma_f32 v[116:117], v[122:123], v[26:27] /*v[282:283]*/, v[116:117] op_sel_hi:[1,0,1]
	s_delay_alu instid0(VALU_DEP_1) | instskip(SKIP_2) | instid1(VALU_DEP_2)
	v_dual_mov_b32 v116, v125 :: v_dual_mov_b32 v119, v117
	v_mov_b32_e32 v117, v124
	s_set_vgpr_msb 0                        ;  msbs: dst=0 src0=0 src1=0 src2=0
	v_pk_add_f32 v[114:115], v[114:115], v[118:119]
	s_set_vgpr_msb 1                        ;  msbs: dst=0 src0=1 src1=0 src2=0
	v_mov_b32_e32 v118, v29 /*v285*/
	s_set_vgpr_msb 0                        ;  msbs: dst=0 src0=0 src1=0 src2=0
	s_delay_alu instid0(VALU_DEP_1) | instskip(SKIP_1) | instid1(VALU_DEP_1)
	v_pk_mul_f32 v[116:117], v[116:117], v[118:119] op_sel_hi:[1,0]
	s_set_vgpr_msb 4                        ;  msbs: dst=0 src0=0 src1=1 src2=0
	v_pk_fma_f32 v[118:119], v[124:125], v[28:29] /*v[284:285]*/, v[116:117] neg_lo:[0,0,1] neg_hi:[0,0,1]
	v_pk_fma_f32 v[116:117], v[124:125], v[28:29] /*v[284:285]*/, v[116:117] op_sel_hi:[1,0,1]
	s_delay_alu instid0(VALU_DEP_1) | instskip(SKIP_3) | instid1(VALU_DEP_2)
	v_mov_b32_e32 v119, v117
	s_wait_loadcnt_dscnt 0x0
	v_pk_mul_f32 v[116:117], v[126:127], v[36:37] /*v[292:293]*/ op_sel:[1,1] op_sel_hi:[0,1]
	s_set_vgpr_msb 0                        ;  msbs: dst=0 src0=0 src1=0 src2=0
	v_pk_add_f32 v[114:115], v[114:115], v[118:119]
	s_set_vgpr_msb 4                        ;  msbs: dst=0 src0=0 src1=1 src2=0
	s_delay_alu instid0(VALU_DEP_2) | instskip(SKIP_1) | instid1(VALU_DEP_1)
	v_pk_fma_f32 v[118:119], v[126:127], v[36:37] /*v[292:293]*/, v[116:117] neg_lo:[0,0,1] neg_hi:[0,0,1]
	v_pk_fma_f32 v[116:117], v[126:127], v[36:37] /*v[292:293]*/, v[116:117] op_sel_hi:[1,0,1]
	v_mov_b32_e32 v119, v117
	scratch_load_b64 v[116:117], off, off offset:64
	s_set_vgpr_msb 0                        ;  msbs: dst=0 src0=0 src1=0 src2=0
	v_pk_add_f32 v[114:115], v[114:115], v[118:119]
	s_wait_loadcnt 0x0
	s_delay_alu instid0(VALU_DEP_1)
	v_pk_add_f32 v[114:115], v[116:117], v[114:115] neg_lo:[0,1] neg_hi:[0,1]
	scratch_store_b64 off, v[114:115], off offset:64
	s_wait_xcnt 0x0
	v_cmpx_lt_u32_e32 7, v0
	s_cbranch_execz .LBB119_335
; %bb.334:
	scratch_load_b64 v[114:115], off, off offset:56
	v_mov_b64_e32 v[116:117], 0
	scratch_store_b64 off, v[116:117], off offset:56
	s_wait_loadcnt 0x0
	ds_store_b64 v1, v[114:115]
.LBB119_335:
	s_wait_xcnt 0x0
	s_or_b32 exec_lo, exec_lo, s0
	s_wait_storecnt_dscnt 0x0
	s_barrier_signal -1
	s_barrier_wait -1
	s_clause 0x17
	scratch_load_b128 v[114:117], off, off offset:64
	scratch_load_b128 v[118:121], off, off offset:80
	scratch_load_b128 v[122:125], off, off offset:96
	scratch_load_b128 v[126:129], off, off offset:112
	scratch_load_b128 v[130:133], off, off offset:128
	scratch_load_b128 v[134:137], off, off offset:144
	scratch_load_b128 v[138:141], off, off offset:160
	scratch_load_b128 v[142:145], off, off offset:176
	scratch_load_b128 v[146:149], off, off offset:192
	scratch_load_b128 v[150:153], off, off offset:208
	scratch_load_b128 v[154:157], off, off offset:224
	scratch_load_b128 v[158:161], off, off offset:240
	scratch_load_b128 v[162:165], off, off offset:256
	scratch_load_b128 v[166:169], off, off offset:272
	scratch_load_b128 v[170:173], off, off offset:288
	scratch_load_b128 v[174:177], off, off offset:304
	scratch_load_b128 v[178:181], off, off offset:320
	scratch_load_b128 v[182:185], off, off offset:336
	scratch_load_b128 v[186:189], off, off offset:352
	scratch_load_b128 v[190:193], off, off offset:368
	scratch_load_b128 v[194:197], off, off offset:384
	scratch_load_b128 v[198:201], off, off offset:400
	scratch_load_b128 v[202:205], off, off offset:416
	scratch_load_b128 v[206:209], off, off offset:432
	ds_load_b128 v[210:213], v7 offset:512
	ds_load_b128 v[214:217], v7 offset:528
	;; [unrolled: 1-line block ×6, first 2 shown]
	s_set_vgpr_msb 64                       ;  msbs: dst=1 src0=0 src1=0 src2=0
	scratch_load_b64 v[50:51] /*v[306:307]*/, off, off offset:56
	s_set_vgpr_msb 0                        ;  msbs: dst=0 src0=0 src1=0 src2=0
	ds_load_b128 v[234:237], v7 offset:576
	ds_load_b128 v[238:241], v7 offset:592
	;; [unrolled: 1-line block ×6, first 2 shown]
	s_set_vgpr_msb 64                       ;  msbs: dst=1 src0=0 src1=0 src2=0
	ds_load_b128 v[2:5] /*v[258:261]*/, v7 offset:640
	ds_load_b128 v[6:9] /*v[262:265]*/, v7 offset:656
	;; [unrolled: 1-line block ×12, first 2 shown]
	s_mov_b32 s0, exec_lo
	s_wait_dscnt 0xf
	v_dual_mov_b32 v56 /*v312*/, v245 :: v_dual_mov_b32 v57 /*v313*/, v244
	s_wait_dscnt 0xe
	v_dual_mov_b32 v58 /*v314*/, v249 :: v_dual_mov_b32 v59 /*v315*/, v248
	v_dual_mov_b32 v52 /*v308*/, v229 :: v_dual_mov_b32 v53 /*v309*/, v228
	;; [unrolled: 1-line block ×3, first 2 shown]
	s_wait_loadcnt 0x18
	s_set_vgpr_msb 0                        ;  msbs: dst=0 src0=0 src1=0 src2=0
	v_dual_mul_f32 v7, v210, v115 :: v_dual_mul_f32 v9, v212, v117
	s_wait_loadcnt 0x17
	v_dual_mul_f32 v83, v211, v115 :: v_dual_mul_f32 v89, v217, v121
	v_dual_mul_f32 v11, v214, v119 :: v_dual_mul_f32 v13, v216, v121
	s_delay_alu instid0(VALU_DEP_3)
	v_dual_fmac_f32 v7, v211, v114 :: v_dual_fmac_f32 v9, v213, v116
	s_wait_loadcnt_dscnt 0x110c
	v_dual_mul_f32 v35, v254, v143 :: v_dual_mul_f32 v85, v213, v117
	v_dual_mul_f32 v87, v215, v119 :: v_dual_mul_f32 v93, v221, v125
	v_dual_mul_f32 v91, v219, v123 :: v_dual_fma_f32 v83, v210, v114, -v83
	v_add_f32_e32 v7, 0, v7
	s_delay_alu instid0(VALU_DEP_4)
	v_dual_mul_f32 v95, v223, v127 :: v_dual_fma_f32 v85, v212, v116, -v85
	v_dual_fmac_f32 v11, v215, v118 :: v_dual_fmac_f32 v13, v217, v120
	s_wait_loadcnt_dscnt 0x601
	s_set_vgpr_msb 1                        ;  msbs: dst=0 src0=1 src1=0 src2=0
	v_dual_mul_f32 v81, v44 /*v300*/, v189 :: v_dual_add_f32 v83, 0, v83
	s_set_vgpr_msb 0                        ;  msbs: dst=0 src0=0 src1=0 src2=0
	v_dual_mul_f32 v97, v225, v129 :: v_dual_fma_f32 v87, v214, v118, -v87
	v_dual_add_f32 v7, v7, v9 :: v_dual_mul_f32 v15, v218, v123
	v_mul_f32_e32 v17, v220, v125
	v_dual_add_f32 v9, v83, v85 :: v_dual_fma_f32 v85, v216, v120, -v89
	s_delay_alu instid0(VALU_DEP_3) | instskip(NEXT) | instid1(VALU_DEP_4)
	v_add_f32_e32 v7, v7, v11
	v_dual_fmac_f32 v15, v219, v122 :: v_dual_mul_f32 v19, v222, v127
	s_delay_alu instid0(VALU_DEP_3) | instskip(NEXT) | instid1(VALU_DEP_3)
	v_dual_mul_f32 v21, v224, v129 :: v_dual_add_f32 v9, v9, v87
	v_dual_fma_f32 v87, v218, v122, -v91 :: v_dual_add_f32 v7, v7, v13
	v_dual_fmac_f32 v17, v221, v124 :: v_dual_mul_f32 v13, v239, v135
	s_delay_alu instid0(VALU_DEP_3) | instskip(NEXT) | instid1(VALU_DEP_3)
	v_dual_add_f32 v9, v9, v85 :: v_dual_fma_f32 v85, v220, v124, -v93
	v_add_f32_e32 v7, v7, v15
	v_dual_fmac_f32 v19, v223, v126 :: v_dual_mul_f32 v23, v234, v131
	s_delay_alu instid0(VALU_DEP_3) | instskip(NEXT) | instid1(VALU_DEP_3)
	v_dual_mul_f32 v25, v236, v133 :: v_dual_add_f32 v9, v9, v87
	v_dual_add_f32 v7, v7, v17 :: v_dual_fmac_f32 v21, v225, v128
	v_dual_mul_f32 v15, v241, v137 :: v_dual_fma_f32 v87, v222, v126, -v95
	s_delay_alu instid0(VALU_DEP_3) | instskip(NEXT) | instid1(VALU_DEP_3)
	v_dual_add_f32 v9, v9, v85 :: v_dual_mul_f32 v17, v251, v139
	v_dual_fma_f32 v85, v224, v128, -v97 :: v_dual_add_f32 v7, v7, v19
	v_dual_mul_f32 v83, v235, v131 :: v_dual_mul_f32 v11, v237, v133
	s_delay_alu instid0(VALU_DEP_3) | instskip(NEXT) | instid1(VALU_DEP_3)
	v_dual_add_f32 v9, v9, v87 :: v_dual_fmac_f32 v23, v235, v130
	v_dual_add_f32 v7, v7, v21 :: v_dual_fmac_f32 v25, v237, v132
	v_dual_mul_f32 v27, v238, v135 :: v_dual_mul_f32 v29, v240, v137
	s_delay_alu instid0(VALU_DEP_4) | instskip(NEXT) | instid1(VALU_DEP_4)
	v_dual_mul_f32 v19, v253, v141 :: v_dual_fma_f32 v83, v234, v130, -v83
	v_dual_add_f32 v9, v9, v85 :: v_dual_mul_f32 v21, v255, v143
	s_delay_alu instid0(VALU_DEP_4) | instskip(NEXT) | instid1(VALU_DEP_2)
	v_dual_fma_f32 v11, v236, v132, -v11 :: v_dual_add_f32 v7, v7, v23
	v_dual_fmac_f32 v27, v239, v134 :: v_dual_add_f32 v9, v9, v83
	v_fma_f32 v13, v238, v134, -v13
	v_dual_mul_f32 v31, v250, v139 :: v_dual_mul_f32 v33, v252, v141
	s_delay_alu instid0(VALU_DEP_3) | instskip(SKIP_1) | instid1(VALU_DEP_3)
	v_dual_add_f32 v7, v7, v25 :: v_dual_add_f32 v9, v9, v11
	v_dual_fma_f32 v15, v240, v136, -v15 :: v_dual_fmac_f32 v29, v241, v136
	v_fmac_f32_e32 v31, v251, v138
	s_delay_alu instid0(VALU_DEP_3)
	v_dual_add_f32 v7, v7, v27 :: v_dual_add_f32 v9, v9, v13
	v_fma_f32 v17, v250, v138, -v17
	s_set_vgpr_msb 1                        ;  msbs: dst=0 src0=1 src1=0 src2=0
	v_dual_mul_f32 v37, v0 /*v256*/, v145 :: v_dual_mul_f32 v39, v2 /*v258*/, v147
	s_set_vgpr_msb 0                        ;  msbs: dst=0 src0=0 src1=0 src2=0
	v_dual_add_f32 v7, v7, v29 :: v_dual_add_f32 v9, v9, v15
	v_dual_fma_f32 v19, v252, v140, -v19 :: v_dual_fmac_f32 v33, v253, v140
	s_set_vgpr_msb 1                        ;  msbs: dst=0 src0=1 src1=0 src2=0
	v_dual_mul_f32 v23, v1 /*v257*/, v145 :: v_dual_mul_f32 v11, v3 /*v259*/, v147
	s_set_vgpr_msb 0                        ;  msbs: dst=0 src0=0 src1=0 src2=0
	v_dual_add_f32 v7, v7, v31 :: v_dual_add_f32 v9, v9, v17
	v_dual_fmac_f32 v35, v255, v142 :: v_dual_fma_f32 v21, v254, v142, -v21
	s_set_vgpr_msb 1                        ;  msbs: dst=0 src0=1 src1=0 src2=0
	v_dual_fmac_f32 v37, v1 /*v257*/, v144 :: v_dual_fma_f32 v23, v0 /*v256*/, v144, -v23
	s_set_vgpr_msb 0                        ;  msbs: dst=0 src0=0 src1=0 src2=0
	v_add_f32_e32 v7, v7, v33
	s_set_vgpr_msb 1                        ;  msbs: dst=0 src0=1 src1=0 src2=0
	v_dual_mul_f32 v41, v4 /*v260*/, v149 :: v_dual_mul_f32 v43, v6 /*v262*/, v151
	v_dual_mul_f32 v13, v5 /*v261*/, v149 :: v_dual_mul_f32 v15, v7 /*v263*/, v151
	s_set_vgpr_msb 0                        ;  msbs: dst=0 src0=0 src1=0 src2=0
	v_add_f32_e32 v7, v7, v35
	v_add_f32_e32 v9, v9, v19
	s_set_vgpr_msb 1                        ;  msbs: dst=0 src0=1 src1=0 src2=0
	v_dual_fmac_f32 v39, v3 /*v259*/, v146 :: v_dual_fmac_f32 v41, v5 /*v261*/, v148
	v_fmac_f32_e32 v43, v7 /*v263*/, v150
	s_set_vgpr_msb 0                        ;  msbs: dst=0 src0=0 src1=0 src2=0
	v_add_f32_e32 v7, v7, v37
	v_add_f32_e32 v9, v9, v21
	s_set_vgpr_msb 1                        ;  msbs: dst=0 src0=1 src1=0 src2=0
	v_dual_mul_f32 v21, v13 /*v269*/, v157 :: v_dual_fma_f32 v13, v4 /*v260*/, v148, -v13
	v_dual_mul_f32 v45, v8 /*v264*/, v153 :: v_dual_mul_f32 v47, v10 /*v266*/, v155
	s_set_vgpr_msb 0                        ;  msbs: dst=0 src0=0 src1=0 src2=0
	v_add_f32_e32 v7, v7, v39
	s_set_vgpr_msb 1                        ;  msbs: dst=0 src0=1 src1=0 src2=0
	v_dual_mul_f32 v17, v9 /*v265*/, v153 :: v_dual_mul_f32 v19, v11 /*v267*/, v155
	s_set_vgpr_msb 0                        ;  msbs: dst=0 src0=0 src1=0 src2=0
	v_add_f32_e32 v9, v9, v23
	s_set_vgpr_msb 1                        ;  msbs: dst=0 src0=1 src1=0 src2=0
	v_dual_fma_f32 v11, v2 /*v258*/, v146, -v11 :: v_dual_mul_f32 v23, v15 /*v271*/, v159
	s_set_vgpr_msb 0                        ;  msbs: dst=0 src0=0 src1=0 src2=0
	v_add_f32_e32 v7, v7, v41
	s_set_vgpr_msb 1                        ;  msbs: dst=0 src0=1 src1=0 src2=0
	v_dual_fmac_f32 v45, v9 /*v265*/, v152 :: v_dual_fmac_f32 v47, v11 /*v267*/, v154
	v_fma_f32 v17, v8 /*v264*/, v152, -v17
	v_dual_mul_f32 v49, v12 /*v268*/, v157 :: v_dual_mul_f32 v51, v14 /*v270*/, v159
	s_set_vgpr_msb 0                        ;  msbs: dst=0 src0=0 src1=0 src2=0
	v_add_f32_e32 v7, v7, v43
	v_add_f32_e32 v9, v9, v11
	s_set_vgpr_msb 1                        ;  msbs: dst=0 src0=1 src1=0 src2=0
	v_dual_mul_f32 v11, v17 /*v273*/, v161 :: v_dual_fma_f32 v15, v6 /*v262*/, v150, -v15
	v_dual_fmac_f32 v49, v13 /*v269*/, v156 :: v_dual_fmac_f32 v51, v15 /*v271*/, v158
	s_set_vgpr_msb 0                        ;  msbs: dst=0 src0=0 src1=0 src2=0
	v_add_f32_e32 v7, v7, v45
	v_add_f32_e32 v9, v9, v13
	s_set_vgpr_msb 1                        ;  msbs: dst=0 src0=1 src1=0 src2=0
	v_fma_f32 v21, v12 /*v268*/, v156, -v21
	v_dual_mul_f32 v53, v16 /*v272*/, v161 :: v_dual_mul_f32 v55, v18 /*v274*/, v163
	s_set_vgpr_msb 0                        ;  msbs: dst=0 src0=0 src1=0 src2=0
	v_add_f32_e32 v7, v7, v47
	s_set_vgpr_msb 1                        ;  msbs: dst=0 src0=1 src1=0 src2=0
	v_mul_f32_e32 v13, v19 /*v275*/, v163
	s_set_vgpr_msb 0                        ;  msbs: dst=0 src0=0 src1=0 src2=0
	v_add_f32_e32 v9, v9, v15
	s_set_vgpr_msb 1                        ;  msbs: dst=0 src0=1 src1=0 src2=0
	v_dual_mul_f32 v15, v21 /*v277*/, v165 :: v_dual_fma_f32 v19, v10 /*v266*/, v154, -v19
	s_set_vgpr_msb 0                        ;  msbs: dst=0 src0=0 src1=0 src2=0
	v_add_f32_e32 v7, v7, v49
	s_set_vgpr_msb 1                        ;  msbs: dst=0 src0=1 src1=0 src2=0
	v_dual_fmac_f32 v53, v17 /*v273*/, v160 :: v_dual_fma_f32 v11, v16 /*v272*/, v160, -v11
	s_set_vgpr_msb 0                        ;  msbs: dst=0 src0=0 src1=0 src2=0
	v_add_f32_e32 v9, v9, v17
	s_set_vgpr_msb 1                        ;  msbs: dst=0 src0=1 src1=0 src2=0
	v_dual_fmac_f32 v55, v19 /*v275*/, v162 :: v_dual_fma_f32 v13, v18 /*v274*/, v162, -v13
	s_set_vgpr_msb 0                        ;  msbs: dst=0 src0=0 src1=0 src2=0
	v_add_f32_e32 v7, v7, v51
	s_set_vgpr_msb 1                        ;  msbs: dst=0 src0=1 src1=0 src2=0
	v_dual_mul_f32 v57, v20 /*v276*/, v165 :: v_dual_mul_f32 v59, v22 /*v278*/, v167
	v_mul_f32_e32 v17, v23 /*v279*/, v167
	s_set_vgpr_msb 0                        ;  msbs: dst=0 src0=0 src1=0 src2=0
	v_dual_add_f32 v9, v9, v19 :: v_dual_add_f32 v7, v7, v53
	s_set_vgpr_msb 1                        ;  msbs: dst=0 src0=1 src1=0 src2=0
	v_dual_mul_f32 v19, v25 /*v281*/, v169 :: v_dual_fma_f32 v23, v14 /*v270*/, v158, -v23
	v_dual_fmac_f32 v57, v21 /*v277*/, v164 :: v_dual_fma_f32 v15, v20 /*v276*/, v164, -v15
	s_set_vgpr_msb 0                        ;  msbs: dst=0 src0=0 src1=0 src2=0
	v_add_f32_e32 v9, v9, v21
	s_set_vgpr_msb 1                        ;  msbs: dst=0 src0=1 src1=0 src2=0
	v_dual_fmac_f32 v59, v23 /*v279*/, v166 :: v_dual_fma_f32 v17, v22 /*v278*/, v166, -v17
	s_set_vgpr_msb 0                        ;  msbs: dst=0 src0=0 src1=0 src2=0
	v_add_f32_e32 v7, v7, v55
	s_set_vgpr_msb 1                        ;  msbs: dst=0 src0=1 src1=0 src2=0
	v_dual_mul_f32 v61, v24 /*v280*/, v169 :: v_dual_mul_f32 v63, v26 /*v282*/, v171
	v_mul_f32_e32 v21, v27 /*v283*/, v171
	s_set_vgpr_msb 0                        ;  msbs: dst=0 src0=0 src1=0 src2=0
	v_dual_add_f32 v9, v9, v23 :: v_dual_add_f32 v7, v7, v57
	s_set_vgpr_msb 1                        ;  msbs: dst=0 src0=1 src1=0 src2=0
	v_dual_fmac_f32 v61, v25 /*v281*/, v168 :: v_dual_fma_f32 v19, v24 /*v280*/, v168, -v19
	v_dual_fmac_f32 v63, v27 /*v283*/, v170 :: v_dual_fma_f32 v21, v26 /*v282*/, v170, -v21
	s_set_vgpr_msb 0                        ;  msbs: dst=0 src0=0 src1=0 src2=0
	v_add_f32_e32 v7, v7, v59
	s_set_vgpr_msb 1                        ;  msbs: dst=0 src0=1 src1=0 src2=0
	v_dual_mul_f32 v65, v28 /*v284*/, v173 :: v_dual_mul_f32 v67, v30 /*v286*/, v175
	s_set_vgpr_msb 0                        ;  msbs: dst=0 src0=0 src1=0 src2=0
	v_add_f32_e32 v9, v9, v11
	s_set_vgpr_msb 1                        ;  msbs: dst=0 src0=1 src1=0 src2=0
	v_dual_mul_f32 v23, v29 /*v285*/, v173 :: v_dual_mul_f32 v11, v31 /*v287*/, v175
	s_set_vgpr_msb 0                        ;  msbs: dst=0 src0=0 src1=0 src2=0
	v_add_f32_e32 v7, v7, v61
	s_set_vgpr_msb 1                        ;  msbs: dst=0 src0=1 src1=0 src2=0
	v_fmac_f32_e32 v65, v29 /*v285*/, v172
	s_set_vgpr_msb 0                        ;  msbs: dst=0 src0=0 src1=0 src2=0
	v_add_f32_e32 v9, v9, v13
	s_set_vgpr_msb 1                        ;  msbs: dst=0 src0=1 src1=0 src2=0
	v_dual_mul_f32 v69, v32 /*v288*/, v177 :: v_dual_mul_f32 v71, v34 /*v290*/, v179
	s_set_vgpr_msb 0                        ;  msbs: dst=0 src0=0 src1=0 src2=0
	v_add_f32_e32 v7, v7, v63
	s_set_vgpr_msb 1                        ;  msbs: dst=0 src0=1 src1=0 src2=0
	v_fma_f32 v23, v28 /*v284*/, v172, -v23
	s_set_vgpr_msb 0                        ;  msbs: dst=0 src0=0 src1=0 src2=0
	v_add_f32_e32 v9, v9, v15
	s_set_vgpr_msb 1                        ;  msbs: dst=0 src0=1 src1=0 src2=0
	v_dual_fmac_f32 v67, v31 /*v287*/, v174 :: v_dual_fmac_f32 v69, v33 /*v289*/, v176
	s_set_vgpr_msb 0                        ;  msbs: dst=0 src0=0 src1=0 src2=0
	v_add_f32_e32 v7, v7, v65
	s_set_vgpr_msb 1                        ;  msbs: dst=0 src0=1 src1=0 src2=0
	v_dual_mul_f32 v73, v36 /*v292*/, v181 :: v_dual_mul_f32 v75, v38 /*v294*/, v183
	s_set_vgpr_msb 0                        ;  msbs: dst=0 src0=0 src1=0 src2=0
	v_add_f32_e32 v9, v9, v17
	s_set_vgpr_msb 1                        ;  msbs: dst=0 src0=1 src1=0 src2=0
	v_fmac_f32_e32 v71, v35 /*v291*/, v178
	s_set_vgpr_msb 0                        ;  msbs: dst=0 src0=0 src1=0 src2=0
	v_add_f32_e32 v7, v7, v67
	s_set_vgpr_msb 1                        ;  msbs: dst=0 src0=1 src1=0 src2=0
	v_dual_fmac_f32 v73, v37 /*v293*/, v180 :: v_dual_mul_f32 v77, v40 /*v296*/, v185
	v_mul_f32_e32 v79, v42 /*v298*/, v187
	s_set_vgpr_msb 0                        ;  msbs: dst=0 src0=0 src1=0 src2=0
	v_dual_add_f32 v9, v9, v19 :: v_dual_add_f32 v7, v7, v69
	s_set_vgpr_msb 1                        ;  msbs: dst=0 src0=1 src1=0 src2=0
	v_dual_mul_f32 v13, v33 /*v289*/, v177 :: v_dual_mul_f32 v15, v35 /*v291*/, v179
	v_fma_f32 v11, v30 /*v286*/, v174, -v11
	s_set_vgpr_msb 0                        ;  msbs: dst=0 src0=0 src1=0 src2=0
	v_dual_add_f32 v9, v9, v21 :: v_dual_add_f32 v7, v7, v71
	s_wait_loadcnt 0x4
	v_mov_b32_e32 v116, v197
	s_set_vgpr_msb 1                        ;  msbs: dst=0 src0=1 src1=0 src2=0
	v_dual_mul_f32 v21, v41 /*v297*/, v185 :: v_dual_fmac_f32 v75, v39 /*v295*/, v182
	v_fmac_f32_e32 v77, v41 /*v297*/, v184
	s_set_vgpr_msb 0                        ;  msbs: dst=0 src0=0 src1=0 src2=0
	v_dual_add_f32 v9, v9, v23 :: v_dual_add_f32 v7, v7, v73
	s_set_vgpr_msb 1                        ;  msbs: dst=0 src0=1 src1=0 src2=0
	v_dual_mul_f32 v23, v43 /*v299*/, v187 :: v_dual_fma_f32 v13, v32 /*v288*/, v176, -v13
	v_dual_mul_f32 v17, v37 /*v293*/, v181 :: v_dual_mul_f32 v19, v39 /*v295*/, v183
	s_set_vgpr_msb 0                        ;  msbs: dst=0 src0=0 src1=0 src2=0
	v_add_f32_e32 v7, v7, v75
	v_add_f32_e32 v9, v9, v11
	s_set_vgpr_msb 1                        ;  msbs: dst=0 src0=1 src1=0 src2=0
	v_dual_mul_f32 v11, v45 /*v301*/, v189 :: v_dual_fma_f32 v15, v34 /*v290*/, v178, -v15
	v_dual_fmac_f32 v79, v43 /*v299*/, v186 :: v_dual_fmac_f32 v81, v45 /*v301*/, v188
	s_set_vgpr_msb 0                        ;  msbs: dst=0 src0=0 src1=0 src2=0
	v_add_f32_e32 v7, v7, v77
	v_add_f32_e32 v9, v9, v13
	s_wait_dscnt 0x0
	s_set_vgpr_msb 1                        ;  msbs: dst=0 src0=1 src1=0 src2=0
	v_dual_mul_f32 v13, v47 /*v303*/, v191 :: v_dual_fma_f32 v17, v36 /*v292*/, v180, -v17
	s_wait_loadcnt 0x3
	s_set_vgpr_msb 0                        ;  msbs: dst=0 src0=0 src1=0 src2=0
	v_dual_mov_b32 v120, v201 :: v_dual_add_f32 v7, v7, v79
	v_add_f32_e32 v9, v9, v15
	s_set_vgpr_msb 1                        ;  msbs: dst=0 src0=1 src1=0 src2=0
	v_dual_mul_f32 v15, v49 /*v305*/, v193 :: v_dual_fma_f32 v19, v38 /*v294*/, v182, -v19
	s_set_vgpr_msb 0x41                     ;  msbs: dst=1 src0=1 src1=0 src2=0
	v_dual_mul_f32 v61 /*v317*/, v46 /*v302*/, v191 :: v_dual_mul_f32 v63 /*v319*/, v48 /*v304*/, v193
	s_set_vgpr_msb 0                        ;  msbs: dst=0 src0=0 src1=0 src2=0
	v_add_f32_e32 v123, v7, v81
	v_add_f32_e32 v9, v9, v17
	s_set_vgpr_msb 1                        ;  msbs: dst=0 src0=1 src1=0 src2=0
	v_fma_f32 v17, v40 /*v296*/, v184, -v21
	v_fma_f32 v11, v44 /*v300*/, v188, -v11
	s_set_vgpr_msb 0                        ;  msbs: dst=0 src0=0 src1=0 src2=0
	v_pk_mul_f32 v[114:115], v[226:227], v[194:195] op_sel:[1,1] op_sel_hi:[0,1]
	s_set_vgpr_msb 0x41                     ;  msbs: dst=1 src0=1 src1=0 src2=0
	v_dual_fmac_f32 v61 /*v317*/, v47 /*v303*/, v190 :: v_dual_fmac_f32 v63 /*v319*/, v49 /*v305*/, v192
	s_set_vgpr_msb 0                        ;  msbs: dst=0 src0=0 src1=0 src2=0
	v_add_f32_e32 v9, v9, v19
	s_set_vgpr_msb 1                        ;  msbs: dst=0 src0=1 src1=0 src2=0
	v_fma_f32 v19, v42 /*v298*/, v186, -v23
	s_set_vgpr_msb 0x41                     ;  msbs: dst=1 src0=1 src1=0 src2=0
	v_dual_fma_f32 v60 /*v316*/, v46 /*v302*/, v190, -v13 :: v_dual_fma_f32 v62 /*v318*/, v48 /*v304*/, v192, -v15
	s_set_vgpr_msb 0                        ;  msbs: dst=0 src0=0 src1=0 src2=0
	v_pk_fma_f32 v[124:125], v[226:227], v[194:195], v[114:115] op_sel_hi:[1,0,1]
	v_add_f32_e32 v9, v9, v17
	s_set_vgpr_msb 1                        ;  msbs: dst=0 src0=1 src1=0 src2=0
	v_pk_mul_f32 v[116:117], v[52:53] /*v[308:309]*/, v[116:117] op_sel_hi:[1,0]
	s_set_vgpr_msb 0                        ;  msbs: dst=0 src0=0 src1=0 src2=0
	v_pk_fma_f32 v[114:115], v[226:227], v[194:195], v[114:115] neg_lo:[0,0,1] neg_hi:[0,0,1]
	v_pk_mul_f32 v[118:119], v[230:231], v[198:199] op_sel:[1,1] op_sel_hi:[0,1]
	v_mov_b32_e32 v115, v125
	v_add_f32_e32 v9, v9, v19
	v_pk_fma_f32 v[124:125], v[228:229], v[196:197], v[116:117] op_sel_hi:[1,0,1]
	v_pk_fma_f32 v[116:117], v[228:229], v[196:197], v[116:117] neg_lo:[0,0,1] neg_hi:[0,0,1]
	v_pk_fma_f32 v[128:129], v[230:231], v[198:199], v[118:119] op_sel_hi:[1,0,1]
	s_set_vgpr_msb 1                        ;  msbs: dst=0 src0=1 src1=0 src2=0
	v_pk_mul_f32 v[120:121], v[54:55] /*v[310:311]*/, v[120:121] op_sel_hi:[1,0]
	s_set_vgpr_msb 0                        ;  msbs: dst=0 src0=0 src1=0 src2=0
	v_add_f32_e32 v122, v9, v11
	v_mov_b32_e32 v117, v125
	s_wait_loadcnt 0x2
	v_pk_mul_f32 v[126:127], v[242:243], v[202:203] op_sel:[1,1] op_sel_hi:[0,1]
	v_pk_fma_f32 v[118:119], v[230:231], v[198:199], v[118:119] neg_lo:[0,0,1] neg_hi:[0,0,1]
	v_mov_b32_e32 v119, v129
	s_set_vgpr_msb 4                        ;  msbs: dst=0 src0=0 src1=1 src2=0
	v_pk_add_f32 v[122:123], v[122:123], v[60:61] /*v[316:317]*/
	s_set_vgpr_msb 0                        ;  msbs: dst=0 src0=0 src1=0 src2=0
	v_pk_fma_f32 v[124:125], v[232:233], v[200:201], v[120:121] op_sel_hi:[1,0,1]
	v_pk_fma_f32 v[120:121], v[232:233], v[200:201], v[120:121] neg_lo:[0,0,1] neg_hi:[0,0,1]
	s_set_vgpr_msb 4                        ;  msbs: dst=0 src0=0 src1=1 src2=0
	v_pk_add_f32 v[122:123], v[122:123], v[62:63] /*v[318:319]*/
	s_set_vgpr_msb 0                        ;  msbs: dst=0 src0=0 src1=0 src2=0
	s_delay_alu instid0(VALU_DEP_1) | instskip(SKIP_1) | instid1(VALU_DEP_2)
	v_pk_add_f32 v[114:115], v[122:123], v[114:115]
	v_mov_b32_e32 v122, v205
	v_pk_add_f32 v[114:115], v[114:115], v[116:117]
	v_pk_fma_f32 v[116:117], v[242:243], v[202:203], v[126:127] op_sel_hi:[1,0,1]
	s_set_vgpr_msb 1                        ;  msbs: dst=0 src0=1 src1=0 src2=0
	s_delay_alu instid0(VALU_DEP_3)
	v_pk_mul_f32 v[122:123], v[56:57] /*v[312:313]*/, v[122:123] op_sel_hi:[1,0]
	s_set_vgpr_msb 0                        ;  msbs: dst=0 src0=0 src1=0 src2=0
	v_mov_b32_e32 v121, v125
	v_pk_fma_f32 v[124:125], v[242:243], v[202:203], v[126:127] neg_lo:[0,0,1] neg_hi:[0,0,1]
	v_pk_add_f32 v[114:115], v[114:115], v[118:119]
	v_mov_b32_e32 v125, v117
	v_pk_fma_f32 v[116:117], v[244:245], v[204:205], v[122:123] op_sel_hi:[1,0,1]
	s_wait_loadcnt 0x1
	v_pk_mul_f32 v[118:119], v[246:247], v[206:207] op_sel:[1,1] op_sel_hi:[0,1]
	v_mov_b32_e32 v116, v209
	v_pk_add_f32 v[114:115], v[114:115], v[120:121]
	v_pk_fma_f32 v[122:123], v[244:245], v[204:205], v[122:123] neg_lo:[0,0,1] neg_hi:[0,0,1]
	v_mov_b32_e32 v123, v117
	v_pk_fma_f32 v[120:121], v[246:247], v[206:207], v[118:119] op_sel_hi:[1,0,1]
	s_set_vgpr_msb 1                        ;  msbs: dst=0 src0=1 src1=0 src2=0
	v_pk_mul_f32 v[116:117], v[58:59] /*v[314:315]*/, v[116:117] op_sel_hi:[1,0]
	s_set_vgpr_msb 0                        ;  msbs: dst=0 src0=0 src1=0 src2=0
	v_pk_add_f32 v[114:115], v[114:115], v[124:125]
	v_pk_fma_f32 v[118:119], v[246:247], v[206:207], v[118:119] neg_lo:[0,0,1] neg_hi:[0,0,1]
	v_mov_b32_e32 v119, v121
	v_pk_fma_f32 v[120:121], v[248:249], v[208:209], v[116:117] op_sel_hi:[1,0,1]
	s_delay_alu instid0(VALU_DEP_4) | instskip(SKIP_1) | instid1(VALU_DEP_3)
	v_pk_add_f32 v[114:115], v[114:115], v[122:123]
	v_pk_fma_f32 v[116:117], v[248:249], v[208:209], v[116:117] neg_lo:[0,0,1] neg_hi:[0,0,1]
	v_mov_b32_e32 v117, v121
	s_delay_alu instid0(VALU_DEP_3) | instskip(NEXT) | instid1(VALU_DEP_1)
	v_pk_add_f32 v[114:115], v[114:115], v[118:119]
	v_pk_add_f32 v[114:115], v[114:115], v[116:117]
	s_wait_loadcnt 0x0
	s_set_vgpr_msb 1                        ;  msbs: dst=0 src0=1 src1=0 src2=0
	s_delay_alu instid0(VALU_DEP_1)
	v_pk_add_f32 v[114:115], v[50:51] /*v[306:307]*/, v[114:115] neg_lo:[0,1] neg_hi:[0,1]
	scratch_store_b64 off, v[114:115], off offset:56
	s_wait_xcnt 0x0
	v_cmpx_lt_u32_e32 6, v0
	s_set_vgpr_msb 0                        ;  msbs: dst=0 src0=0 src1=0 src2=0
	s_cbranch_execz .LBB119_337
; %bb.336:
	scratch_load_b64 v[114:115], off, off offset:48
	v_mov_b64_e32 v[116:117], 0
	scratch_store_b64 off, v[116:117], off offset:48
	s_wait_loadcnt 0x0
	ds_store_b64 v1, v[114:115]
.LBB119_337:
	s_wait_xcnt 0x0
	s_or_b32 exec_lo, exec_lo, s0
	s_wait_storecnt_dscnt 0x0
	s_barrier_signal -1
	s_barrier_wait -1
	s_clause 0x1a
	scratch_load_b128 v[114:117], off, off offset:56
	scratch_load_b128 v[118:121], off, off offset:72
	;; [unrolled: 1-line block ×24, first 2 shown]
	s_set_vgpr_msb 64                       ;  msbs: dst=1 src0=0 src1=0 src2=0
	scratch_load_b64 v[50:51] /*v[306:307]*/, off, off offset:440
	scratch_load_b64 v[52:53] /*v[308:309]*/, off, off offset:48
	s_set_vgpr_msb 0                        ;  msbs: dst=0 src0=0 src1=0 src2=0
	v_mov_b32_e32 v7, 0
	ds_load_2addr_b64 v[210:213], v7 offset0:63 offset1:64
	ds_load_2addr_b64 v[214:217], v7 offset0:65 offset1:66
	;; [unrolled: 1-line block ×12, first 2 shown]
	s_set_vgpr_msb 64                       ;  msbs: dst=1 src0=0 src1=0 src2=0
	ds_load_2addr_b64 v[2:5] /*v[258:261]*/, v7 offset0:79 offset1:80
	ds_load_2addr_b64 v[6:9] /*v[262:265]*/, v7 offset0:81 offset1:82
	;; [unrolled: 1-line block ×12, first 2 shown]
	ds_load_b64 v[54:55] /*v[310:311]*/, v7 offset:888
	s_wait_dscnt 0x14
	v_dual_mov_b32 v56 /*v312*/, v229 :: v_dual_mov_b32 v57 /*v313*/, v228
	s_wait_dscnt 0x11
	v_dual_mov_b32 v58 /*v314*/, v241 :: v_dual_mov_b32 v59 /*v315*/, v240
	;; [unrolled: 2-line block ×3, first 2 shown]
	s_wait_dscnt 0xd
	s_set_vgpr_msb 0x41                     ;  msbs: dst=1 src0=1 src1=0 src2=0
	v_dual_mov_b32 v62 /*v318*/, v1 /*v257*/ :: v_dual_mov_b32 v63 /*v319*/, v0 /*v256*/
	s_mov_b32 s0, exec_lo
	s_wait_loadcnt 0x19
	s_set_vgpr_msb 0                        ;  msbs: dst=0 src0=0 src1=0 src2=0
	v_dual_mul_f32 v9, v210, v115 :: v_dual_mul_f32 v11, v212, v117
	s_wait_loadcnt 0x18
	v_mul_f32_e32 v13, v214, v119
	v_dual_mul_f32 v87, v211, v115 :: v_dual_mul_f32 v89, v213, v117
	v_mul_f32_e32 v91, v215, v119
	s_wait_loadcnt 0x12
	v_dual_fmac_f32 v9, v211, v114 :: v_dual_mul_f32 v39, v252, v145
	s_delay_alu instid0(VALU_DEP_3) | instskip(SKIP_2) | instid1(VALU_DEP_3)
	v_dual_fma_f32 v87, v210, v114, -v87 :: v_dual_mul_f32 v101, v225, v129
	v_dual_fma_f32 v89, v212, v116, -v89 :: v_dual_fmac_f32 v11, v213, v116
	v_dual_mul_f32 v15, v216, v121 :: v_dual_mul_f32 v17, v218, v123
	v_dual_add_f32 v87, 0, v87 :: v_dual_add_f32 v9, 0, v9
	v_dual_mul_f32 v93, v217, v121 :: v_dual_mul_f32 v95, v219, v123
	v_dual_mul_f32 v103, v231, v131 :: v_dual_fma_f32 v91, v214, v118, -v91
	s_wait_loadcnt_dscnt 0x601
	s_set_vgpr_msb 1                        ;  msbs: dst=0 src0=1 src1=0 src2=0
	v_mul_f32_e32 v85, v46 /*v302*/, v191
	s_set_vgpr_msb 0                        ;  msbs: dst=0 src0=0 src1=0 src2=0
	v_dual_fmac_f32 v13, v215, v118 :: v_dual_add_f32 v9, v9, v11
	v_dual_add_f32 v11, v87, v89 :: v_dual_fmac_f32 v15, v217, v120
	v_dual_mul_f32 v87, v233, v133 :: v_dual_fma_f32 v89, v216, v120, -v93
	s_delay_alu instid0(VALU_DEP_2) | instskip(SKIP_3) | instid1(VALU_DEP_4)
	v_dual_add_f32 v9, v9, v13 :: v_dual_add_f32 v11, v11, v91
	v_dual_mul_f32 v19, v220, v125 :: v_dual_mul_f32 v21, v222, v127
	v_dual_mul_f32 v97, v221, v125 :: v_dual_mul_f32 v99, v223, v127
	v_dual_mul_f32 v13, v235, v135 :: v_dual_fma_f32 v91, v218, v122, -v95
	v_dual_fmac_f32 v17, v219, v122 :: v_dual_add_f32 v9, v9, v15
	s_delay_alu instid0(VALU_DEP_4) | instskip(NEXT) | instid1(VALU_DEP_4)
	v_dual_add_f32 v11, v11, v89 :: v_dual_fmac_f32 v19, v221, v124
	v_dual_mul_f32 v15, v237, v137 :: v_dual_fma_f32 v89, v220, v124, -v97
	s_delay_alu instid0(VALU_DEP_2) | instskip(SKIP_2) | instid1(VALU_DEP_3)
	v_dual_add_f32 v9, v9, v17 :: v_dual_add_f32 v11, v11, v91
	v_dual_mul_f32 v23, v224, v129 :: v_dual_mul_f32 v25, v230, v131
	v_dual_mul_f32 v17, v247, v139 :: v_dual_fma_f32 v91, v222, v126, -v99
	v_dual_fmac_f32 v21, v223, v126 :: v_dual_add_f32 v9, v9, v19
	s_delay_alu instid0(VALU_DEP_3) | instskip(SKIP_1) | instid1(VALU_DEP_2)
	v_dual_add_f32 v11, v11, v89 :: v_dual_fmac_f32 v23, v225, v128
	v_dual_mul_f32 v19, v249, v141 :: v_dual_fma_f32 v89, v224, v128, -v101
	v_dual_add_f32 v9, v9, v21 :: v_dual_add_f32 v11, v11, v91
	v_dual_mul_f32 v27, v232, v133 :: v_dual_mul_f32 v29, v234, v135
	v_dual_mul_f32 v21, v251, v143 :: v_dual_fma_f32 v91, v230, v130, -v103
	s_delay_alu instid0(VALU_DEP_3) | instskip(NEXT) | instid1(VALU_DEP_3)
	v_dual_fmac_f32 v25, v231, v130 :: v_dual_add_f32 v9, v9, v23
	v_dual_add_f32 v11, v11, v89 :: v_dual_fmac_f32 v27, v233, v132
	v_dual_mul_f32 v23, v253, v145 :: v_dual_fma_f32 v87, v232, v132, -v87
	s_delay_alu instid0(VALU_DEP_2) | instskip(SKIP_1) | instid1(VALU_DEP_2)
	v_dual_add_f32 v9, v9, v25 :: v_dual_add_f32 v11, v11, v91
	v_dual_mul_f32 v31, v236, v137 :: v_dual_mul_f32 v33, v246, v139
	v_dual_fmac_f32 v29, v235, v134 :: v_dual_add_f32 v9, v9, v27
	s_delay_alu instid0(VALU_DEP_3) | instskip(NEXT) | instid1(VALU_DEP_3)
	v_dual_fma_f32 v13, v234, v134, -v13 :: v_dual_add_f32 v11, v11, v87
	v_fmac_f32_e32 v31, v237, v136
	s_delay_alu instid0(VALU_DEP_3) | instskip(SKIP_1) | instid1(VALU_DEP_4)
	v_dual_fma_f32 v15, v236, v136, -v15 :: v_dual_add_f32 v9, v9, v29
	v_dual_mul_f32 v35, v248, v141 :: v_dual_mul_f32 v37, v250, v143
	v_add_f32_e32 v11, v11, v13
	s_delay_alu instid0(VALU_DEP_3) | instskip(SKIP_1) | instid1(VALU_DEP_3)
	v_dual_fmac_f32 v33, v247, v138 :: v_dual_add_f32 v9, v9, v31
	v_dual_fma_f32 v17, v246, v138, -v17 :: v_dual_fma_f32 v19, v248, v140, -v19
	v_dual_add_f32 v11, v11, v15 :: v_dual_fmac_f32 v35, v249, v140
	s_delay_alu instid0(VALU_DEP_3)
	v_add_f32_e32 v9, v9, v33
	s_set_vgpr_msb 1                        ;  msbs: dst=0 src0=1 src1=0 src2=0
	v_dual_mul_f32 v41, v2 /*v258*/, v147 :: v_dual_mul_f32 v43, v4 /*v260*/, v149
	s_set_vgpr_msb 0                        ;  msbs: dst=0 src0=0 src1=0 src2=0
	v_add_f32_e32 v11, v11, v17
	v_dual_fmac_f32 v37, v251, v142 :: v_dual_add_f32 v9, v9, v35
	v_fma_f32 v21, v250, v142, -v21
	s_set_vgpr_msb 1                        ;  msbs: dst=0 src0=1 src1=0 src2=0
	v_dual_mul_f32 v25, v3 /*v259*/, v147 :: v_dual_mul_f32 v27, v5 /*v261*/, v149
	s_set_vgpr_msb 0                        ;  msbs: dst=0 src0=0 src1=0 src2=0
	v_dual_add_f32 v11, v11, v19 :: v_dual_fmac_f32 v39, v253, v144
	v_dual_fma_f32 v23, v252, v144, -v23 :: v_dual_add_f32 v9, v9, v37
	s_set_vgpr_msb 1                        ;  msbs: dst=0 src0=1 src1=0 src2=0
	v_fmac_f32_e32 v41, v3 /*v259*/, v146
	s_set_vgpr_msb 0                        ;  msbs: dst=0 src0=0 src1=0 src2=0
	v_add_f32_e32 v11, v11, v21
	s_set_vgpr_msb 1                        ;  msbs: dst=0 src0=1 src1=0 src2=0
	v_dual_mul_f32 v21, v15 /*v271*/, v159 :: v_dual_fma_f32 v25, v2 /*v258*/, v146, -v25
	v_dual_mul_f32 v45, v6 /*v262*/, v151 :: v_dual_mul_f32 v47, v8 /*v264*/, v153
	s_set_vgpr_msb 0                        ;  msbs: dst=0 src0=0 src1=0 src2=0
	v_add_f32_e32 v11, v11, v23
	v_add_f32_e32 v9, v9, v39
	s_set_vgpr_msb 1                        ;  msbs: dst=0 src0=1 src1=0 src2=0
	v_dual_mul_f32 v13, v7 /*v263*/, v151 :: v_dual_mul_f32 v15, v9 /*v265*/, v153
	v_mul_f32_e32 v23, v17 /*v273*/, v161
	v_fmac_f32_e32 v43, v5 /*v261*/, v148
	v_dual_fma_f32 v27, v4 /*v260*/, v148, -v27 :: v_dual_fmac_f32 v45, v7 /*v263*/, v150
	s_set_vgpr_msb 0                        ;  msbs: dst=0 src0=0 src1=0 src2=0
	v_add_f32_e32 v11, v11, v25
	v_add_f32_e32 v9, v9, v41
	s_set_vgpr_msb 1                        ;  msbs: dst=0 src0=1 src1=0 src2=0
	v_dual_mul_f32 v25, v19 /*v275*/, v163 :: v_dual_fma_f32 v13, v6 /*v262*/, v150, -v13
	v_dual_mul_f32 v49, v10 /*v266*/, v155 :: v_dual_mul_f32 v51, v12 /*v268*/, v157
	s_set_vgpr_msb 0                        ;  msbs: dst=0 src0=0 src1=0 src2=0
	v_add_f32_e32 v11, v11, v27
	s_set_vgpr_msb 1                        ;  msbs: dst=0 src0=1 src1=0 src2=0
	v_mul_f32_e32 v27, v21 /*v277*/, v165
	s_set_vgpr_msb 0                        ;  msbs: dst=0 src0=0 src1=0 src2=0
	v_add_f32_e32 v9, v9, v43
	s_set_vgpr_msb 1                        ;  msbs: dst=0 src0=1 src1=0 src2=0
	v_dual_mul_f32 v17, v11 /*v267*/, v155 :: v_dual_mul_f32 v19, v13 /*v269*/, v157
	v_fmac_f32_e32 v47, v9 /*v265*/, v152
	v_dual_fma_f32 v15, v8 /*v264*/, v152, -v15 :: v_dual_fmac_f32 v49, v11 /*v267*/, v154
	s_set_vgpr_msb 0                        ;  msbs: dst=0 src0=0 src1=0 src2=0
	v_add_f32_e32 v11, v11, v13
	v_add_f32_e32 v9, v9, v45
	s_set_vgpr_msb 1                        ;  msbs: dst=0 src0=1 src1=0 src2=0
	v_dual_mul_f32 v13, v23 /*v279*/, v167 :: v_dual_fma_f32 v17, v10 /*v266*/, v154, -v17
	v_dual_mul_f32 v53, v14 /*v270*/, v159 :: v_dual_mul_f32 v55, v16 /*v272*/, v161
	s_set_vgpr_msb 0                        ;  msbs: dst=0 src0=0 src1=0 src2=0
	v_add_f32_e32 v11, v11, v15
	s_set_vgpr_msb 1                        ;  msbs: dst=0 src0=1 src1=0 src2=0
	v_mul_f32_e32 v15, v25 /*v281*/, v169
	s_set_vgpr_msb 0                        ;  msbs: dst=0 src0=0 src1=0 src2=0
	v_add_f32_e32 v9, v9, v47
	s_set_vgpr_msb 1                        ;  msbs: dst=0 src0=1 src1=0 src2=0
	v_fmac_f32_e32 v51, v13 /*v269*/, v156
	v_dual_fma_f32 v19, v12 /*v268*/, v156, -v19 :: v_dual_fmac_f32 v53, v15 /*v271*/, v158
	s_set_vgpr_msb 0                        ;  msbs: dst=0 src0=0 src1=0 src2=0
	v_add_f32_e32 v11, v11, v17
	v_add_f32_e32 v9, v9, v49
	s_set_vgpr_msb 1                        ;  msbs: dst=0 src0=1 src1=0 src2=0
	v_dual_mul_f32 v17, v27 /*v283*/, v171 :: v_dual_fma_f32 v21, v14 /*v270*/, v158, -v21
	v_dual_mul_f32 v57, v18 /*v274*/, v163 :: v_dual_mul_f32 v59, v20 /*v276*/, v165
	s_set_vgpr_msb 0                        ;  msbs: dst=0 src0=0 src1=0 src2=0
	v_add_f32_e32 v11, v11, v19
	s_set_vgpr_msb 1                        ;  msbs: dst=0 src0=1 src1=0 src2=0
	v_mul_f32_e32 v19, v29 /*v285*/, v173
	s_set_vgpr_msb 0                        ;  msbs: dst=0 src0=0 src1=0 src2=0
	v_add_f32_e32 v9, v9, v51
	s_set_vgpr_msb 1                        ;  msbs: dst=0 src0=1 src1=0 src2=0
	;; [unrolled: 15-line block ×7, first 2 shown]
	v_dual_fmac_f32 v75, v37 /*v293*/, v180 :: v_dual_fmac_f32 v77, v39 /*v295*/, v182
	v_dual_fma_f32 v27, v36 /*v292*/, v180, -v27 :: v_dual_fma_f32 v13, v38 /*v294*/, v182, -v13
	s_set_vgpr_msb 0                        ;  msbs: dst=0 src0=0 src1=0 src2=0
	v_add_f32_e32 v11, v11, v25
	v_add_f32_e32 v9, v9, v73
	s_set_vgpr_msb 1                        ;  msbs: dst=0 src0=1 src1=0 src2=0
	v_dual_mul_f32 v81, v42 /*v298*/, v187 :: v_dual_mul_f32 v83, v44 /*v300*/, v189
	v_fmac_f32_e32 v79, v41 /*v297*/, v184
	s_set_vgpr_msb 0                        ;  msbs: dst=0 src0=0 src1=0 src2=0
	v_add_f32_e32 v11, v11, v27
	v_add_f32_e32 v9, v9, v75
	s_set_vgpr_msb 1                        ;  msbs: dst=0 src0=1 src1=0 src2=0
	v_dual_fma_f32 v15, v40 /*v296*/, v184, -v15 :: v_dual_fmac_f32 v81, v43 /*v299*/, v186
	s_wait_loadcnt 0x4
	s_set_vgpr_msb 0                        ;  msbs: dst=0 src0=0 src1=0 src2=0
	v_dual_mov_b32 v118, v201 :: v_dual_add_f32 v11, v11, v13
	v_add_f32_e32 v9, v9, v77
	s_set_vgpr_msb 1                        ;  msbs: dst=0 src0=1 src1=0 src2=0
	v_fma_f32 v13, v42 /*v298*/, v186, -v17
	s_set_vgpr_msb 0                        ;  msbs: dst=0 src0=0 src1=0 src2=0
	v_dual_mul_f32 v25, v227, v195 :: v_dual_mov_b32 v114, v197
	v_add_f32_e32 v11, v11, v15
	v_add_f32_e32 v9, v9, v79
	s_set_vgpr_msb 1                        ;  msbs: dst=0 src0=1 src1=0 src2=0
	v_dual_fmac_f32 v83, v45 /*v301*/, v188 :: v_dual_fmac_f32 v85, v47 /*v303*/, v190
	v_fma_f32 v15, v44 /*v300*/, v188, -v19
	s_set_vgpr_msb 0                        ;  msbs: dst=0 src0=0 src1=0 src2=0
	v_add_f32_e32 v11, v11, v13
	s_set_vgpr_msb 1                        ;  msbs: dst=0 src0=1 src1=0 src2=0
	v_fma_f32 v13, v46 /*v302*/, v190, -v21
	s_set_vgpr_msb 0                        ;  msbs: dst=0 src0=0 src1=0 src2=0
	v_add_f32_e32 v9, v9, v81
	s_set_vgpr_msb 0x41                     ;  msbs: dst=1 src0=1 src1=0 src2=0
	v_dual_mul_f32 v65 /*v321*/, v48 /*v304*/, v193 :: v_dual_fma_f32 v64 /*v320*/, v48 /*v304*/, v192, -v23
	s_set_vgpr_msb 0                        ;  msbs: dst=0 src0=0 src1=0 src2=0
	v_add_f32_e32 v11, v11, v15
	s_set_vgpr_msb 1                        ;  msbs: dst=0 src0=1 src1=0 src2=0
	v_pk_mul_f32 v[114:115], v[56:57] /*v[312:313]*/, v[114:115] op_sel_hi:[1,0]
	s_set_vgpr_msb 0                        ;  msbs: dst=0 src0=0 src1=0 src2=0
	v_add_f32_e32 v9, v9, v83
	s_set_vgpr_msb 64                       ;  msbs: dst=1 src0=0 src1=0 src2=0
	v_dual_mul_f32 v67 /*v323*/, v226, v195 :: v_dual_fma_f32 v66 /*v322*/, v226, v194, -v25
	s_set_vgpr_msb 0x41                     ;  msbs: dst=1 src0=1 src1=0 src2=0
	v_fmac_f32_e32 v65 /*v321*/, v49 /*v305*/, v192
	s_set_vgpr_msb 0                        ;  msbs: dst=0 src0=0 src1=0 src2=0
	v_add_f32_e32 v122, v11, v13
	v_pk_fma_f32 v[126:127], v[228:229], v[196:197], v[114:115] op_sel_hi:[1,0,1]
	v_add_f32_e32 v123, v9, v85
	v_pk_fma_f32 v[114:115], v[228:229], v[196:197], v[114:115] neg_lo:[0,0,1] neg_hi:[0,0,1]
	v_pk_mul_f32 v[116:117], v[238:239], v[198:199] op_sel:[1,1] op_sel_hi:[0,1]
	s_set_vgpr_msb 64                       ;  msbs: dst=1 src0=0 src1=0 src2=0
	v_fmac_f32_e32 v67 /*v323*/, v227, v194
	s_set_vgpr_msb 4                        ;  msbs: dst=0 src0=0 src1=1 src2=0
	v_mov_b32_e32 v115, v127
	v_pk_add_f32 v[122:123], v[122:123], v[64:65] /*v[320:321]*/
	s_set_vgpr_msb 1                        ;  msbs: dst=0 src0=1 src1=0 src2=0
	v_pk_mul_f32 v[118:119], v[58:59] /*v[314:315]*/, v[118:119] op_sel_hi:[1,0]
	s_set_vgpr_msb 0                        ;  msbs: dst=0 src0=0 src1=0 src2=0
	v_pk_fma_f32 v[128:129], v[238:239], v[198:199], v[116:117] op_sel_hi:[1,0,1]
	v_pk_fma_f32 v[116:117], v[238:239], v[198:199], v[116:117] neg_lo:[0,0,1] neg_hi:[0,0,1]
	s_wait_loadcnt 0x3
	v_pk_mul_f32 v[120:121], v[242:243], v[202:203] op_sel:[1,1] op_sel_hi:[0,1]
	s_set_vgpr_msb 4                        ;  msbs: dst=0 src0=0 src1=1 src2=0
	v_pk_add_f32 v[122:123], v[122:123], v[66:67] /*v[322:323]*/
	v_dual_mov_b32 v124, v205 :: v_dual_mov_b32 v117, v129
	s_set_vgpr_msb 0                        ;  msbs: dst=0 src0=0 src1=0 src2=0
	v_pk_fma_f32 v[128:129], v[240:241], v[200:201], v[118:119] op_sel_hi:[1,0,1]
	v_pk_fma_f32 v[118:119], v[240:241], v[200:201], v[118:119] neg_lo:[0,0,1] neg_hi:[0,0,1]
	v_pk_add_f32 v[114:115], v[122:123], v[114:115]
	v_pk_fma_f32 v[122:123], v[242:243], v[202:203], v[120:121] op_sel_hi:[1,0,1]
	s_set_vgpr_msb 1                        ;  msbs: dst=0 src0=1 src1=0 src2=0
	v_pk_mul_f32 v[124:125], v[60:61] /*v[316:317]*/, v[124:125] op_sel_hi:[1,0]
	s_set_vgpr_msb 0                        ;  msbs: dst=0 src0=0 src1=0 src2=0
	v_mov_b32_e32 v119, v129
	v_pk_fma_f32 v[120:121], v[242:243], v[202:203], v[120:121] neg_lo:[0,0,1] neg_hi:[0,0,1]
	v_pk_add_f32 v[114:115], v[114:115], v[116:117]
	s_wait_loadcnt 0x2
	v_pk_mul_f32 v[126:127], v[254:255], v[206:207] op_sel:[1,1] op_sel_hi:[0,1]
	v_dual_mov_b32 v116, v209 :: v_dual_mov_b32 v121, v123
	v_pk_fma_f32 v[122:123], v[244:245], v[204:205], v[124:125] op_sel_hi:[1,0,1]
	v_pk_add_f32 v[114:115], v[114:115], v[118:119]
	v_pk_fma_f32 v[124:125], v[244:245], v[204:205], v[124:125] neg_lo:[0,0,1] neg_hi:[0,0,1]
	v_pk_fma_f32 v[118:119], v[254:255], v[206:207], v[126:127] op_sel_hi:[1,0,1]
	s_set_vgpr_msb 1                        ;  msbs: dst=0 src0=1 src1=0 src2=0
	v_pk_mul_f32 v[116:117], v[62:63] /*v[318:319]*/, v[116:117] op_sel_hi:[1,0]
	s_set_vgpr_msb 0                        ;  msbs: dst=0 src0=0 src1=0 src2=0
	v_mov_b32_e32 v125, v123
	v_pk_add_f32 v[114:115], v[114:115], v[120:121]
	v_pk_fma_f32 v[120:121], v[254:255], v[206:207], v[126:127] neg_lo:[0,0,1] neg_hi:[0,0,1]
	v_mov_b32_e32 v121, v119
	s_set_vgpr_msb 1                        ;  msbs: dst=0 src0=1 src1=0 src2=0
	v_pk_fma_f32 v[118:119], v[0:1] /*v[256:257]*/, v[208:209], v[116:117] op_sel_hi:[1,0,1]
	s_wait_loadcnt_dscnt 0x100
	s_set_vgpr_msb 5                        ;  msbs: dst=0 src0=1 src1=1 src2=0
	v_pk_mul_f32 v[122:123], v[54:55] /*v[310:311]*/, v[50:51] /*v[306:307]*/ op_sel:[1,1] op_sel_hi:[0,1]
	s_set_vgpr_msb 0                        ;  msbs: dst=0 src0=0 src1=0 src2=0
	v_pk_add_f32 v[114:115], v[114:115], v[124:125]
	s_set_vgpr_msb 1                        ;  msbs: dst=0 src0=1 src1=0 src2=0
	v_pk_fma_f32 v[116:117], v[0:1] /*v[256:257]*/, v[208:209], v[116:117] neg_lo:[0,0,1] neg_hi:[0,0,1]
	s_set_vgpr_msb 0                        ;  msbs: dst=0 src0=0 src1=0 src2=0
	v_mov_b32_e32 v117, v119
	s_set_vgpr_msb 5                        ;  msbs: dst=0 src0=1 src1=1 src2=0
	v_pk_fma_f32 v[118:119], v[54:55] /*v[310:311]*/, v[50:51] /*v[306:307]*/, v[122:123] op_sel_hi:[1,0,1]
	s_set_vgpr_msb 0                        ;  msbs: dst=0 src0=0 src1=0 src2=0
	v_pk_add_f32 v[114:115], v[114:115], v[120:121]
	s_set_vgpr_msb 5                        ;  msbs: dst=0 src0=1 src1=1 src2=0
	v_pk_fma_f32 v[120:121], v[54:55] /*v[310:311]*/, v[50:51] /*v[306:307]*/, v[122:123] neg_lo:[0,0,1] neg_hi:[0,0,1]
	s_set_vgpr_msb 0                        ;  msbs: dst=0 src0=0 src1=0 src2=0
	v_mov_b32_e32 v121, v119
	v_pk_add_f32 v[114:115], v[114:115], v[116:117]
	s_delay_alu instid0(VALU_DEP_1) | instskip(SKIP_2) | instid1(VALU_DEP_1)
	v_pk_add_f32 v[114:115], v[114:115], v[120:121]
	s_wait_loadcnt 0x0
	s_set_vgpr_msb 1                        ;  msbs: dst=0 src0=1 src1=0 src2=0
	v_pk_add_f32 v[114:115], v[52:53] /*v[308:309]*/, v[114:115] neg_lo:[0,1] neg_hi:[0,1]
	scratch_store_b64 off, v[114:115], off offset:48
	s_wait_xcnt 0x0
	v_cmpx_lt_u32_e32 5, v0
	s_set_vgpr_msb 0                        ;  msbs: dst=0 src0=0 src1=0 src2=0
	s_cbranch_execz .LBB119_339
; %bb.338:
	scratch_load_b64 v[114:115], off, off offset:40
	v_mov_b64_e32 v[116:117], 0
	scratch_store_b64 off, v[116:117], off offset:40
	s_wait_loadcnt 0x0
	ds_store_b64 v1, v[114:115]
.LBB119_339:
	s_wait_xcnt 0x0
	s_or_b32 exec_lo, exec_lo, s0
	s_wait_storecnt_dscnt 0x0
	s_barrier_signal -1
	s_barrier_wait -1
	s_clause 0x18
	scratch_load_b128 v[114:117], off, off offset:48
	scratch_load_b128 v[118:121], off, off offset:64
	;; [unrolled: 1-line block ×25, first 2 shown]
	ds_load_b128 v[214:217], v7 offset:496
	ds_load_b128 v[218:221], v7 offset:512
	;; [unrolled: 1-line block ×11, first 2 shown]
	s_set_vgpr_msb 64                       ;  msbs: dst=1 src0=0 src1=0 src2=0
	ds_load_b128 v[2:5] /*v[258:261]*/, v7 offset:608
	ds_load_b128 v[6:9] /*v[262:265]*/, v7 offset:880
	;; [unrolled: 1-line block ×8, first 2 shown]
	scratch_load_b64 v[58:59] /*v[314:315]*/, off, off offset:40
	ds_load_b128 v[34:37] /*v[290:293]*/, v7 offset:720
	ds_load_b128 v[38:41] /*v[294:297]*/, v7 offset:736
	;; [unrolled: 1-line block ×6, first 2 shown]
	s_mov_b32 s0, exec_lo
	s_wait_dscnt 0x13
	v_dual_mov_b32 v60 /*v316*/, v237 :: v_dual_mov_b32 v61 /*v317*/, v236
	s_wait_dscnt 0x10
	v_dual_mov_b32 v62 /*v318*/, v249 :: v_dual_mov_b32 v63 /*v319*/, v248
	s_wait_dscnt 0xf
	v_dual_mov_b32 v64 /*v320*/, v253 :: v_dual_mov_b32 v65 /*v321*/, v252
	s_wait_dscnt 0xc
	s_set_vgpr_msb 0x41                     ;  msbs: dst=1 src0=1 src1=0 src2=0
	v_dual_mov_b32 v66 /*v322*/, v9 /*v265*/ :: v_dual_mov_b32 v67 /*v323*/, v8 /*v264*/
	s_wait_loadcnt 0x19
	s_set_vgpr_msb 0                        ;  msbs: dst=0 src0=0 src1=0 src2=0
	v_dual_mul_f32 v7, v214, v115 :: v_dual_mul_f32 v9, v216, v117
	s_wait_loadcnt 0x18
	v_dual_mul_f32 v87, v215, v115 :: v_dual_mul_f32 v93, v221, v121
	v_dual_mul_f32 v11, v218, v119 :: v_dual_mul_f32 v13, v220, v121
	s_delay_alu instid0(VALU_DEP_3) | instskip(SKIP_4) | instid1(VALU_DEP_3)
	v_dual_fmac_f32 v7, v215, v114 :: v_dual_fmac_f32 v9, v217, v116
	s_wait_loadcnt 0x13
	v_dual_mul_f32 v31, v254, v139 :: v_dual_mul_f32 v89, v217, v117
	v_dual_mul_f32 v91, v219, v119 :: v_dual_mul_f32 v97, v225, v125
	v_dual_mul_f32 v95, v223, v123 :: v_dual_fma_f32 v87, v214, v114, -v87
	v_dual_mul_f32 v99, v227, v127 :: v_dual_fma_f32 v89, v216, v116, -v89
	v_dual_add_f32 v7, 0, v7 :: v_dual_fmac_f32 v11, v219, v118
	v_fmac_f32_e32 v13, v221, v120
	s_wait_loadcnt_dscnt 0x600
	s_set_vgpr_msb 1                        ;  msbs: dst=0 src0=1 src1=0 src2=0
	v_dual_mul_f32 v85, v56 /*v312*/, v193 :: v_dual_add_f32 v87, 0, v87
	s_set_vgpr_msb 0                        ;  msbs: dst=0 src0=0 src1=0 src2=0
	v_dual_mul_f32 v101, v229, v129 :: v_dual_fma_f32 v91, v218, v118, -v91
	v_dual_add_f32 v7, v7, v9 :: v_dual_mul_f32 v15, v222, v123
	v_mul_f32_e32 v17, v224, v125
	v_dual_add_f32 v9, v87, v89 :: v_dual_fma_f32 v89, v220, v120, -v93
	s_delay_alu instid0(VALU_DEP_3) | instskip(NEXT) | instid1(VALU_DEP_4)
	v_add_f32_e32 v7, v7, v11
	v_dual_fmac_f32 v15, v223, v122 :: v_dual_mul_f32 v19, v226, v127
	s_delay_alu instid0(VALU_DEP_3) | instskip(NEXT) | instid1(VALU_DEP_3)
	v_dual_mul_f32 v21, v228, v129 :: v_dual_add_f32 v9, v9, v91
	v_dual_fma_f32 v91, v222, v122, -v95 :: v_dual_add_f32 v7, v7, v13
	v_dual_fmac_f32 v17, v225, v124 :: v_dual_mul_f32 v13, v243, v135
	s_delay_alu instid0(VALU_DEP_3) | instskip(NEXT) | instid1(VALU_DEP_3)
	v_dual_add_f32 v9, v9, v89 :: v_dual_fma_f32 v89, v224, v124, -v97
	v_add_f32_e32 v7, v7, v15
	v_dual_fmac_f32 v19, v227, v126 :: v_dual_mul_f32 v23, v238, v131
	s_delay_alu instid0(VALU_DEP_3) | instskip(NEXT) | instid1(VALU_DEP_3)
	v_dual_mul_f32 v25, v240, v133 :: v_dual_add_f32 v9, v9, v91
	v_dual_add_f32 v7, v7, v17 :: v_dual_fmac_f32 v21, v229, v128
	v_dual_mul_f32 v87, v239, v131 :: v_dual_mul_f32 v11, v241, v133
	v_dual_mul_f32 v15, v245, v137 :: v_dual_fma_f32 v91, v226, v126, -v99
	s_delay_alu instid0(VALU_DEP_4) | instskip(NEXT) | instid1(VALU_DEP_4)
	v_dual_add_f32 v9, v9, v89 :: v_dual_mul_f32 v17, v255, v139
	v_dual_fma_f32 v89, v228, v128, -v101 :: v_dual_add_f32 v7, v7, v19
	s_delay_alu instid0(VALU_DEP_2) | instskip(SKIP_2) | instid1(VALU_DEP_4)
	v_dual_fmac_f32 v23, v239, v130 :: v_dual_add_f32 v9, v9, v91
	v_fma_f32 v87, v238, v130, -v87
	v_dual_mul_f32 v27, v242, v135 :: v_dual_mul_f32 v29, v244, v137
	v_add_f32_e32 v7, v7, v21
	s_delay_alu instid0(VALU_DEP_4) | instskip(NEXT) | instid1(VALU_DEP_3)
	v_dual_add_f32 v9, v9, v89 :: v_dual_fma_f32 v11, v240, v132, -v11
	v_dual_fmac_f32 v25, v241, v132 :: v_dual_fmac_f32 v27, v243, v134
	s_delay_alu instid0(VALU_DEP_3) | instskip(NEXT) | instid1(VALU_DEP_3)
	v_add_f32_e32 v7, v7, v23
	v_dual_add_f32 v9, v9, v87 :: v_dual_fma_f32 v13, v242, v134, -v13
	s_set_vgpr_msb 1                        ;  msbs: dst=0 src0=1 src1=0 src2=0
	v_dual_mul_f32 v33, v0 /*v256*/, v141 :: v_dual_mul_f32 v35, v2 /*v258*/, v143
	s_set_vgpr_msb 0                        ;  msbs: dst=0 src0=0 src1=0 src2=0
	s_delay_alu instid0(VALU_DEP_2)
	v_dual_add_f32 v7, v7, v25 :: v_dual_add_f32 v9, v9, v11
	v_dual_fma_f32 v15, v244, v136, -v15 :: v_dual_fmac_f32 v29, v245, v136
	s_set_vgpr_msb 1                        ;  msbs: dst=0 src0=1 src1=0 src2=0
	v_dual_mul_f32 v19, v1 /*v257*/, v141 :: v_dual_mul_f32 v21, v3 /*v259*/, v143
	s_set_vgpr_msb 0                        ;  msbs: dst=0 src0=0 src1=0 src2=0
	v_dual_add_f32 v7, v7, v27 :: v_dual_add_f32 v9, v9, v13
	v_dual_fmac_f32 v31, v255, v138 :: v_dual_fma_f32 v17, v254, v138, -v17
	s_set_vgpr_msb 1                        ;  msbs: dst=0 src0=1 src1=0 src2=0
	v_dual_fmac_f32 v33, v1 /*v257*/, v140 :: v_dual_fma_f32 v19, v0 /*v256*/, v140, -v19
	s_set_vgpr_msb 0                        ;  msbs: dst=0 src0=0 src1=0 src2=0
	v_add_f32_e32 v7, v7, v29
	s_set_vgpr_msb 1                        ;  msbs: dst=0 src0=1 src1=0 src2=0
	v_dual_mul_f32 v37, v4 /*v260*/, v145 :: v_dual_mul_f32 v39, v10 /*v266*/, v147
	v_dual_mul_f32 v23, v5 /*v261*/, v145 :: v_dual_mul_f32 v11, v11 /*v267*/, v147
	s_set_vgpr_msb 0                        ;  msbs: dst=0 src0=0 src1=0 src2=0
	v_add_f32_e32 v7, v7, v31
	v_add_f32_e32 v9, v9, v15
	s_set_vgpr_msb 1                        ;  msbs: dst=0 src0=1 src1=0 src2=0
	v_dual_fmac_f32 v35, v3 /*v259*/, v142 :: v_dual_fma_f32 v21, v2 /*v258*/, v142, -v21
	v_dual_fmac_f32 v37, v5 /*v261*/, v144 :: v_dual_fma_f32 v23, v4 /*v260*/, v144, -v23
	s_set_vgpr_msb 0                        ;  msbs: dst=0 src0=0 src1=0 src2=0
	v_add_f32_e32 v7, v7, v33
	v_add_f32_e32 v9, v9, v17
	s_set_vgpr_msb 1                        ;  msbs: dst=0 src0=1 src1=0 src2=0
	v_mul_f32_e32 v17, v17 /*v273*/, v153
	v_dual_mul_f32 v41, v12 /*v268*/, v149 :: v_dual_mul_f32 v43, v14 /*v270*/, v151
	s_set_vgpr_msb 0                        ;  msbs: dst=0 src0=0 src1=0 src2=0
	v_add_f32_e32 v7, v7, v35
	v_add_f32_e32 v9, v9, v19
	s_set_vgpr_msb 1                        ;  msbs: dst=0 src0=1 src1=0 src2=0
	v_dual_mul_f32 v13, v13 /*v269*/, v149 :: v_dual_mul_f32 v15, v15 /*v271*/, v151
	v_mul_f32_e32 v19, v19 /*v275*/, v155
	v_fmac_f32_e32 v39, v11 /*v267*/, v146
	s_set_vgpr_msb 0                        ;  msbs: dst=0 src0=0 src1=0 src2=0
	v_add_f32_e32 v7, v7, v37
	v_add_f32_e32 v9, v9, v21
	s_set_vgpr_msb 1                        ;  msbs: dst=0 src0=1 src1=0 src2=0
	v_mul_f32_e32 v21, v21 /*v277*/, v157
	v_dual_fmac_f32 v41, v13 /*v269*/, v148 :: v_dual_fmac_f32 v43, v15 /*v271*/, v150
	v_fma_f32 v13, v12 /*v268*/, v148, -v13
	s_set_vgpr_msb 0                        ;  msbs: dst=0 src0=0 src1=0 src2=0
	v_add_f32_e32 v7, v7, v39
	s_set_vgpr_msb 1                        ;  msbs: dst=0 src0=1 src1=0 src2=0
	v_dual_mul_f32 v45, v16 /*v272*/, v153 :: v_dual_mul_f32 v47, v18 /*v274*/, v155
	s_set_vgpr_msb 0                        ;  msbs: dst=0 src0=0 src1=0 src2=0
	v_add_f32_e32 v9, v9, v23
	s_set_vgpr_msb 1                        ;  msbs: dst=0 src0=1 src1=0 src2=0
	v_dual_fma_f32 v11, v10 /*v266*/, v146, -v11 :: v_dual_mul_f32 v23, v23 /*v279*/, v159
	s_set_vgpr_msb 0                        ;  msbs: dst=0 src0=0 src1=0 src2=0
	v_add_f32_e32 v7, v7, v41
	s_set_vgpr_msb 1                        ;  msbs: dst=0 src0=1 src1=0 src2=0
	v_dual_fmac_f32 v45, v17 /*v273*/, v152 :: v_dual_fmac_f32 v47, v19 /*v275*/, v154
	v_fma_f32 v17, v16 /*v272*/, v152, -v17
	v_dual_mul_f32 v49, v20 /*v276*/, v157 :: v_dual_mul_f32 v51, v22 /*v278*/, v159
	s_set_vgpr_msb 0                        ;  msbs: dst=0 src0=0 src1=0 src2=0
	v_add_f32_e32 v7, v7, v43
	v_add_f32_e32 v9, v9, v11
	s_set_vgpr_msb 1                        ;  msbs: dst=0 src0=1 src1=0 src2=0
	v_dual_mul_f32 v11, v25 /*v281*/, v161 :: v_dual_fma_f32 v15, v14 /*v270*/, v150, -v15
	v_dual_fmac_f32 v49, v21 /*v277*/, v156 :: v_dual_fmac_f32 v51, v23 /*v279*/, v158
	s_set_vgpr_msb 0                        ;  msbs: dst=0 src0=0 src1=0 src2=0
	v_add_f32_e32 v7, v7, v45
	v_add_f32_e32 v9, v9, v13
	s_set_vgpr_msb 1                        ;  msbs: dst=0 src0=1 src1=0 src2=0
	v_fma_f32 v21, v20 /*v276*/, v156, -v21
	v_dual_mul_f32 v53, v24 /*v280*/, v161 :: v_dual_mul_f32 v55, v26 /*v282*/, v163
	s_set_vgpr_msb 0                        ;  msbs: dst=0 src0=0 src1=0 src2=0
	v_add_f32_e32 v7, v7, v47
	s_set_vgpr_msb 1                        ;  msbs: dst=0 src0=1 src1=0 src2=0
	v_mul_f32_e32 v13, v27 /*v283*/, v163
	s_set_vgpr_msb 0                        ;  msbs: dst=0 src0=0 src1=0 src2=0
	v_add_f32_e32 v9, v9, v15
	s_set_vgpr_msb 1                        ;  msbs: dst=0 src0=1 src1=0 src2=0
	v_dual_mul_f32 v15, v29 /*v285*/, v165 :: v_dual_fma_f32 v19, v18 /*v274*/, v154, -v19
	s_set_vgpr_msb 0                        ;  msbs: dst=0 src0=0 src1=0 src2=0
	v_add_f32_e32 v7, v7, v49
	s_set_vgpr_msb 1                        ;  msbs: dst=0 src0=1 src1=0 src2=0
	v_dual_fmac_f32 v53, v25 /*v281*/, v160 :: v_dual_fma_f32 v11, v24 /*v280*/, v160, -v11
	s_set_vgpr_msb 0                        ;  msbs: dst=0 src0=0 src1=0 src2=0
	v_add_f32_e32 v9, v9, v17
	s_set_vgpr_msb 1                        ;  msbs: dst=0 src0=1 src1=0 src2=0
	v_dual_fmac_f32 v55, v27 /*v283*/, v162 :: v_dual_fma_f32 v13, v26 /*v282*/, v162, -v13
	s_set_vgpr_msb 0                        ;  msbs: dst=0 src0=0 src1=0 src2=0
	v_add_f32_e32 v7, v7, v51
	s_set_vgpr_msb 1                        ;  msbs: dst=0 src0=1 src1=0 src2=0
	v_dual_mul_f32 v57, v28 /*v284*/, v165 :: v_dual_mul_f32 v59, v30 /*v286*/, v167
	v_mul_f32_e32 v17, v31 /*v287*/, v167
	s_set_vgpr_msb 0                        ;  msbs: dst=0 src0=0 src1=0 src2=0
	v_dual_add_f32 v9, v9, v19 :: v_dual_add_f32 v7, v7, v53
	s_set_vgpr_msb 1                        ;  msbs: dst=0 src0=1 src1=0 src2=0
	v_dual_mul_f32 v19, v33 /*v289*/, v169 :: v_dual_fma_f32 v23, v22 /*v278*/, v158, -v23
	v_dual_fmac_f32 v57, v29 /*v285*/, v164 :: v_dual_fma_f32 v15, v28 /*v284*/, v164, -v15
	s_set_vgpr_msb 0                        ;  msbs: dst=0 src0=0 src1=0 src2=0
	v_add_f32_e32 v9, v9, v21
	s_set_vgpr_msb 1                        ;  msbs: dst=0 src0=1 src1=0 src2=0
	v_dual_fmac_f32 v59, v31 /*v287*/, v166 :: v_dual_fma_f32 v17, v30 /*v286*/, v166, -v17
	s_set_vgpr_msb 0                        ;  msbs: dst=0 src0=0 src1=0 src2=0
	v_add_f32_e32 v7, v7, v55
	s_set_vgpr_msb 1                        ;  msbs: dst=0 src0=1 src1=0 src2=0
	v_dual_mul_f32 v61, v32 /*v288*/, v169 :: v_dual_mul_f32 v63, v34 /*v290*/, v171
	v_mul_f32_e32 v21, v35 /*v291*/, v171
	s_set_vgpr_msb 0                        ;  msbs: dst=0 src0=0 src1=0 src2=0
	v_dual_add_f32 v9, v9, v23 :: v_dual_add_f32 v7, v7, v57
	s_set_vgpr_msb 1                        ;  msbs: dst=0 src0=1 src1=0 src2=0
	v_dual_fmac_f32 v61, v33 /*v289*/, v168 :: v_dual_fma_f32 v19, v32 /*v288*/, v168, -v19
	v_dual_fmac_f32 v63, v35 /*v291*/, v170 :: v_dual_fma_f32 v21, v34 /*v290*/, v170, -v21
	s_set_vgpr_msb 0                        ;  msbs: dst=0 src0=0 src1=0 src2=0
	v_add_f32_e32 v7, v7, v59
	s_set_vgpr_msb 1                        ;  msbs: dst=0 src0=1 src1=0 src2=0
	v_dual_mul_f32 v65, v36 /*v292*/, v173 :: v_dual_mul_f32 v67, v38 /*v294*/, v175
	s_set_vgpr_msb 0                        ;  msbs: dst=0 src0=0 src1=0 src2=0
	v_add_f32_e32 v9, v9, v11
	s_set_vgpr_msb 1                        ;  msbs: dst=0 src0=1 src1=0 src2=0
	v_dual_mul_f32 v23, v37 /*v293*/, v173 :: v_dual_mul_f32 v11, v39 /*v295*/, v175
	s_set_vgpr_msb 0                        ;  msbs: dst=0 src0=0 src1=0 src2=0
	v_add_f32_e32 v7, v7, v61
	s_set_vgpr_msb 1                        ;  msbs: dst=0 src0=1 src1=0 src2=0
	v_fmac_f32_e32 v65, v37 /*v293*/, v172
	s_set_vgpr_msb 0                        ;  msbs: dst=0 src0=0 src1=0 src2=0
	v_add_f32_e32 v9, v9, v13
	s_set_vgpr_msb 1                        ;  msbs: dst=0 src0=1 src1=0 src2=0
	v_dual_mul_f32 v69, v40 /*v296*/, v177 :: v_dual_mul_f32 v71, v42 /*v298*/, v179
	s_set_vgpr_msb 0                        ;  msbs: dst=0 src0=0 src1=0 src2=0
	v_add_f32_e32 v7, v7, v63
	s_set_vgpr_msb 1                        ;  msbs: dst=0 src0=1 src1=0 src2=0
	v_fma_f32 v23, v36 /*v292*/, v172, -v23
	s_set_vgpr_msb 0                        ;  msbs: dst=0 src0=0 src1=0 src2=0
	v_add_f32_e32 v9, v9, v15
	s_set_vgpr_msb 1                        ;  msbs: dst=0 src0=1 src1=0 src2=0
	v_dual_fmac_f32 v67, v39 /*v295*/, v174 :: v_dual_fmac_f32 v69, v41 /*v297*/, v176
	s_set_vgpr_msb 0                        ;  msbs: dst=0 src0=0 src1=0 src2=0
	v_add_f32_e32 v7, v7, v65
	s_set_vgpr_msb 1                        ;  msbs: dst=0 src0=1 src1=0 src2=0
	v_dual_mul_f32 v73, v44 /*v300*/, v181 :: v_dual_mul_f32 v75, v46 /*v302*/, v183
	s_set_vgpr_msb 0                        ;  msbs: dst=0 src0=0 src1=0 src2=0
	v_add_f32_e32 v9, v9, v17
	s_set_vgpr_msb 1                        ;  msbs: dst=0 src0=1 src1=0 src2=0
	v_fmac_f32_e32 v71, v43 /*v299*/, v178
	s_set_vgpr_msb 0                        ;  msbs: dst=0 src0=0 src1=0 src2=0
	v_add_f32_e32 v7, v7, v67
	s_set_vgpr_msb 1                        ;  msbs: dst=0 src0=1 src1=0 src2=0
	v_dual_fmac_f32 v73, v45 /*v301*/, v180 :: v_dual_mul_f32 v77, v48 /*v304*/, v185
	v_mul_f32_e32 v79, v50 /*v306*/, v187
	s_set_vgpr_msb 0                        ;  msbs: dst=0 src0=0 src1=0 src2=0
	v_dual_add_f32 v9, v9, v19 :: v_dual_add_f32 v7, v7, v69
	s_set_vgpr_msb 1                        ;  msbs: dst=0 src0=1 src1=0 src2=0
	v_dual_mul_f32 v13, v41 /*v297*/, v177 :: v_dual_mul_f32 v15, v43 /*v299*/, v179
	v_fma_f32 v11, v38 /*v294*/, v174, -v11
	s_set_vgpr_msb 0                        ;  msbs: dst=0 src0=0 src1=0 src2=0
	v_dual_add_f32 v9, v9, v21 :: v_dual_add_f32 v7, v7, v71
	s_set_vgpr_msb 1                        ;  msbs: dst=0 src0=1 src1=0 src2=0
	v_dual_mul_f32 v21, v49 /*v305*/, v185 :: v_dual_fmac_f32 v75, v47 /*v303*/, v182
	v_fmac_f32_e32 v77, v49 /*v305*/, v184
	s_set_vgpr_msb 0                        ;  msbs: dst=0 src0=0 src1=0 src2=0
	v_dual_add_f32 v9, v9, v23 :: v_dual_add_f32 v7, v7, v73
	s_set_vgpr_msb 1                        ;  msbs: dst=0 src0=1 src1=0 src2=0
	v_dual_mul_f32 v23, v51 /*v307*/, v187 :: v_dual_fma_f32 v13, v40 /*v296*/, v176, -v13
	s_wait_loadcnt 0x4
	s_set_vgpr_msb 0                        ;  msbs: dst=0 src0=0 src1=0 src2=0
	v_mov_b32_e32 v116, v201
	s_set_vgpr_msb 1                        ;  msbs: dst=0 src0=1 src1=0 src2=0
	v_dual_mul_f32 v81, v52 /*v308*/, v189 :: v_dual_mul_f32 v83, v54 /*v310*/, v191
	s_set_vgpr_msb 0                        ;  msbs: dst=0 src0=0 src1=0 src2=0
	v_add_f32_e32 v7, v7, v75
	v_add_f32_e32 v9, v9, v11
	s_set_vgpr_msb 1                        ;  msbs: dst=0 src0=1 src1=0 src2=0
	v_dual_mul_f32 v17, v45 /*v301*/, v181 :: v_dual_mul_f32 v19, v47 /*v303*/, v183
	v_dual_mul_f32 v11, v53 /*v309*/, v189 :: v_dual_fma_f32 v15, v42 /*v298*/, v178, -v15
	v_dual_fma_f32 v21, v48 /*v304*/, v184, -v21 :: v_dual_fmac_f32 v79, v51 /*v307*/, v186
	s_set_vgpr_msb 0                        ;  msbs: dst=0 src0=0 src1=0 src2=0
	v_add_f32_e32 v7, v7, v77
	v_add_f32_e32 v9, v9, v13
	s_set_vgpr_msb 1                        ;  msbs: dst=0 src0=1 src1=0 src2=0
	v_dual_mul_f32 v13, v55 /*v311*/, v191 :: v_dual_fma_f32 v17, v44 /*v300*/, v180, -v17
	v_dual_fma_f32 v23, v50 /*v306*/, v186, -v23 :: v_dual_fmac_f32 v81, v53 /*v309*/, v188
	s_delay_alu instid0(VALU_DEP_2)
	v_dual_fma_f32 v11, v52 /*v308*/, v188, -v11 :: v_dual_fma_f32 v13, v54 /*v310*/, v190, -v13
	s_set_vgpr_msb 0                        ;  msbs: dst=0 src0=0 src1=0 src2=0
	v_add_f32_e32 v7, v7, v79
	v_add_f32_e32 v9, v9, v15
	s_set_vgpr_msb 1                        ;  msbs: dst=0 src0=1 src1=0 src2=0
	v_dual_mul_f32 v15, v57 /*v313*/, v193 :: v_dual_fma_f32 v19, v46 /*v302*/, v182, -v19
	v_dual_fmac_f32 v83, v55 /*v311*/, v190 :: v_dual_fmac_f32 v85, v57 /*v313*/, v192
	s_set_vgpr_msb 0                        ;  msbs: dst=0 src0=0 src1=0 src2=0
	v_add_f32_e32 v7, v7, v81
	v_add_f32_e32 v9, v9, v17
	s_wait_loadcnt 0x3
	v_mov_b32_e32 v120, v205
	s_set_vgpr_msb 64                       ;  msbs: dst=1 src0=0 src1=0 src2=0
	v_dual_mul_f32 v69 /*v325*/, v230, v195 :: v_dual_mul_f32 v71 /*v327*/, v232, v197
	s_set_vgpr_msb 0                        ;  msbs: dst=0 src0=0 src1=0 src2=0
	v_add_f32_e32 v7, v7, v83
	v_add_f32_e32 v9, v9, v19
	v_mul_f32_e32 v19, v233, v197
	v_pk_mul_f32 v[114:115], v[234:235], v[198:199] op_sel:[1,1] op_sel_hi:[0,1]
	s_set_vgpr_msb 64                       ;  msbs: dst=1 src0=0 src1=0 src2=0
	v_dual_fmac_f32 v69 /*v325*/, v231, v194 :: v_dual_fmac_f32 v71 /*v327*/, v233, v196
	s_set_vgpr_msb 0                        ;  msbs: dst=0 src0=0 src1=0 src2=0
	v_add_f32_e32 v123, v7, v85
	v_dual_mul_f32 v17, v231, v195 :: v_dual_add_f32 v9, v9, v21
	s_set_vgpr_msb 64                       ;  msbs: dst=1 src0=0 src1=0 src2=0
	v_fma_f32 v70 /*v326*/, v232, v196, -v19
	s_set_vgpr_msb 0                        ;  msbs: dst=0 src0=0 src1=0 src2=0
	v_pk_fma_f32 v[124:125], v[234:235], v[198:199], v[114:115] op_sel_hi:[1,0,1]
	s_set_vgpr_msb 1                        ;  msbs: dst=0 src0=1 src1=0 src2=0
	v_pk_mul_f32 v[116:117], v[60:61] /*v[316:317]*/, v[116:117] op_sel_hi:[1,0]
	s_set_vgpr_msb 64                       ;  msbs: dst=1 src0=0 src1=0 src2=0
	v_fma_f32 v68 /*v324*/, v230, v194, -v17
	s_set_vgpr_msb 0                        ;  msbs: dst=0 src0=0 src1=0 src2=0
	v_add_f32_e32 v9, v9, v23
	v_pk_fma_f32 v[114:115], v[234:235], v[198:199], v[114:115] neg_lo:[0,0,1] neg_hi:[0,0,1]
	v_pk_mul_f32 v[118:119], v[246:247], v[202:203] op_sel:[1,1] op_sel_hi:[0,1]
	v_mov_b32_e32 v115, v125
	v_pk_fma_f32 v[124:125], v[236:237], v[200:201], v[116:117] op_sel_hi:[1,0,1]
	v_add_f32_e32 v9, v9, v11
	s_set_vgpr_msb 1                        ;  msbs: dst=0 src0=1 src1=0 src2=0
	v_fma_f32 v11, v56 /*v312*/, v192, -v15
	s_set_vgpr_msb 0                        ;  msbs: dst=0 src0=0 src1=0 src2=0
	v_pk_fma_f32 v[116:117], v[236:237], v[200:201], v[116:117] neg_lo:[0,0,1] neg_hi:[0,0,1]
	v_pk_fma_f32 v[128:129], v[246:247], v[202:203], v[118:119] op_sel_hi:[1,0,1]
	s_set_vgpr_msb 1                        ;  msbs: dst=0 src0=1 src1=0 src2=0
	v_pk_mul_f32 v[120:121], v[62:63] /*v[318:319]*/, v[120:121] op_sel_hi:[1,0]
	s_set_vgpr_msb 0                        ;  msbs: dst=0 src0=0 src1=0 src2=0
	v_add_f32_e32 v9, v9, v13
	v_mov_b32_e32 v117, v125
	s_wait_loadcnt 0x2
	v_pk_mul_f32 v[126:127], v[250:251], v[206:207] op_sel:[1,1] op_sel_hi:[0,1]
	v_pk_fma_f32 v[118:119], v[246:247], v[202:203], v[118:119] neg_lo:[0,0,1] neg_hi:[0,0,1]
	v_mov_b32_e32 v119, v129
	v_add_f32_e32 v122, v9, v11
	v_pk_fma_f32 v[124:125], v[248:249], v[204:205], v[120:121] op_sel_hi:[1,0,1]
	v_pk_fma_f32 v[120:121], v[248:249], v[204:205], v[120:121] neg_lo:[0,0,1] neg_hi:[0,0,1]
	s_set_vgpr_msb 4                        ;  msbs: dst=0 src0=0 src1=1 src2=0
	s_delay_alu instid0(VALU_DEP_3) | instskip(NEXT) | instid1(VALU_DEP_1)
	v_pk_add_f32 v[122:123], v[122:123], v[68:69] /*v[324:325]*/
	v_pk_add_f32 v[122:123], v[122:123], v[70:71] /*v[326:327]*/
	s_set_vgpr_msb 0                        ;  msbs: dst=0 src0=0 src1=0 src2=0
	s_delay_alu instid0(VALU_DEP_1) | instskip(SKIP_1) | instid1(VALU_DEP_2)
	v_pk_add_f32 v[114:115], v[122:123], v[114:115]
	v_mov_b32_e32 v122, v209
	v_pk_add_f32 v[114:115], v[114:115], v[116:117]
	v_pk_fma_f32 v[116:117], v[250:251], v[206:207], v[126:127] op_sel_hi:[1,0,1]
	s_set_vgpr_msb 1                        ;  msbs: dst=0 src0=1 src1=0 src2=0
	s_delay_alu instid0(VALU_DEP_3)
	v_pk_mul_f32 v[122:123], v[64:65] /*v[320:321]*/, v[122:123] op_sel_hi:[1,0]
	s_set_vgpr_msb 0                        ;  msbs: dst=0 src0=0 src1=0 src2=0
	v_mov_b32_e32 v121, v125
	v_pk_fma_f32 v[124:125], v[250:251], v[206:207], v[126:127] neg_lo:[0,0,1] neg_hi:[0,0,1]
	v_pk_add_f32 v[114:115], v[114:115], v[118:119]
	v_mov_b32_e32 v125, v117
	v_pk_fma_f32 v[116:117], v[252:253], v[208:209], v[122:123] op_sel_hi:[1,0,1]
	s_wait_loadcnt 0x1
	s_set_vgpr_msb 1                        ;  msbs: dst=0 src0=1 src1=0 src2=0
	v_pk_mul_f32 v[118:119], v[6:7] /*v[262:263]*/, v[210:211] op_sel:[1,1] op_sel_hi:[0,1]
	s_set_vgpr_msb 0                        ;  msbs: dst=0 src0=0 src1=0 src2=0
	v_mov_b32_e32 v116, v213
	v_pk_add_f32 v[114:115], v[114:115], v[120:121]
	v_pk_fma_f32 v[122:123], v[252:253], v[208:209], v[122:123] neg_lo:[0,0,1] neg_hi:[0,0,1]
	v_mov_b32_e32 v123, v117
	s_set_vgpr_msb 1                        ;  msbs: dst=0 src0=1 src1=0 src2=0
	v_pk_fma_f32 v[120:121], v[6:7] /*v[262:263]*/, v[210:211], v[118:119] op_sel_hi:[1,0,1]
	v_pk_mul_f32 v[116:117], v[66:67] /*v[322:323]*/, v[116:117] op_sel_hi:[1,0]
	s_set_vgpr_msb 0                        ;  msbs: dst=0 src0=0 src1=0 src2=0
	v_pk_add_f32 v[114:115], v[114:115], v[124:125]
	s_set_vgpr_msb 1                        ;  msbs: dst=0 src0=1 src1=0 src2=0
	v_pk_fma_f32 v[118:119], v[6:7] /*v[262:263]*/, v[210:211], v[118:119] neg_lo:[0,0,1] neg_hi:[0,0,1]
	s_set_vgpr_msb 0                        ;  msbs: dst=0 src0=0 src1=0 src2=0
	v_mov_b32_e32 v119, v121
	s_set_vgpr_msb 1                        ;  msbs: dst=0 src0=1 src1=0 src2=0
	v_pk_fma_f32 v[120:121], v[8:9] /*v[264:265]*/, v[212:213], v[116:117] op_sel_hi:[1,0,1]
	s_set_vgpr_msb 0                        ;  msbs: dst=0 src0=0 src1=0 src2=0
	v_pk_add_f32 v[114:115], v[114:115], v[122:123]
	s_set_vgpr_msb 1                        ;  msbs: dst=0 src0=1 src1=0 src2=0
	v_pk_fma_f32 v[116:117], v[8:9] /*v[264:265]*/, v[212:213], v[116:117] neg_lo:[0,0,1] neg_hi:[0,0,1]
	s_set_vgpr_msb 0                        ;  msbs: dst=0 src0=0 src1=0 src2=0
	v_mov_b32_e32 v117, v121
	v_pk_add_f32 v[114:115], v[114:115], v[118:119]
	s_delay_alu instid0(VALU_DEP_1) | instskip(SKIP_2) | instid1(VALU_DEP_1)
	v_pk_add_f32 v[114:115], v[114:115], v[116:117]
	s_wait_loadcnt 0x0
	s_set_vgpr_msb 1                        ;  msbs: dst=0 src0=1 src1=0 src2=0
	v_pk_add_f32 v[114:115], v[58:59] /*v[314:315]*/, v[114:115] neg_lo:[0,1] neg_hi:[0,1]
	scratch_store_b64 off, v[114:115], off offset:40
	s_wait_xcnt 0x0
	v_cmpx_lt_u32_e32 4, v0
	s_set_vgpr_msb 0                        ;  msbs: dst=0 src0=0 src1=0 src2=0
	s_cbranch_execz .LBB119_341
; %bb.340:
	scratch_load_b64 v[114:115], off, off offset:32
	v_mov_b64_e32 v[116:117], 0
	scratch_store_b64 off, v[116:117], off offset:32
	s_wait_loadcnt 0x0
	ds_store_b64 v1, v[114:115]
.LBB119_341:
	s_wait_xcnt 0x0
	s_or_b32 exec_lo, exec_lo, s0
	s_wait_storecnt_dscnt 0x0
	s_barrier_signal -1
	s_barrier_wait -1
	s_clause 0x1b
	scratch_load_b128 v[114:117], off, off offset:40
	scratch_load_b128 v[118:121], off, off offset:56
	;; [unrolled: 1-line block ×25, first 2 shown]
	s_set_vgpr_msb 64                       ;  msbs: dst=1 src0=0 src1=0 src2=0
	scratch_load_b64 v[58:59] /*v[314:315]*/, off, off offset:440
	scratch_load_b64 v[60:61] /*v[316:317]*/, off, off offset:32
	s_set_vgpr_msb 0                        ;  msbs: dst=0 src0=0 src1=0 src2=0
	v_mov_b32_e32 v7, 0
	ds_load_2addr_b64 v[214:217], v7 offset0:61 offset1:62
	ds_load_2addr_b64 v[218:221], v7 offset0:63 offset1:64
	;; [unrolled: 1-line block ×11, first 2 shown]
	s_set_vgpr_msb 64                       ;  msbs: dst=1 src0=0 src1=0 src2=0
	ds_load_2addr_b64 v[2:5] /*v[258:261]*/, v7 offset0:75 offset1:76
	ds_load_2addr_b64 v[6:9] /*v[262:265]*/, v7 offset0:109 offset1:110
	;; [unrolled: 1-line block ×14, first 2 shown]
	ds_load_b64 v[62:63] /*v[318:319]*/, v7 offset:888
	s_wait_dscnt 0x14
	v_dual_mov_b32 v64 /*v320*/, v237 :: v_dual_mov_b32 v65 /*v321*/, v236
	s_wait_dscnt 0x11
	v_dual_mov_b32 v66 /*v322*/, v249 :: v_dual_mov_b32 v67 /*v323*/, v248
	;; [unrolled: 2-line block ×3, first 2 shown]
	s_wait_dscnt 0xd
	s_set_vgpr_msb 0x41                     ;  msbs: dst=1 src0=1 src1=0 src2=0
	v_dual_mov_b32 v70 /*v326*/, v9 /*v265*/ :: v_dual_mov_b32 v71 /*v327*/, v8 /*v264*/
	s_mov_b32 s0, exec_lo
	s_wait_loadcnt 0x1a
	s_set_vgpr_msb 0                        ;  msbs: dst=0 src0=0 src1=0 src2=0
	v_dual_mul_f32 v9, v214, v115 :: v_dual_mul_f32 v91, v215, v115
	s_wait_loadcnt 0x19
	v_mul_f32_e32 v97, v221, v121
	v_dual_mul_f32 v11, v216, v117 :: v_dual_mul_f32 v13, v218, v119
	s_wait_loadcnt 0x18
	v_dual_mul_f32 v99, v223, v123 :: v_dual_fma_f32 v91, v214, v114, -v91
	s_delay_alu instid0(VALU_DEP_2) | instskip(SKIP_3) | instid1(VALU_DEP_2)
	v_dual_fmac_f32 v9, v215, v114 :: v_dual_fmac_f32 v11, v217, v116
	v_dual_mul_f32 v95, v219, v119 :: v_dual_mul_f32 v101, v225, v125
	v_dual_mul_f32 v15, v220, v121 :: v_dual_mul_f32 v17, v222, v123
	s_wait_loadcnt 0x16
	v_dual_mul_f32 v107, v239, v131 :: v_dual_fma_f32 v95, v218, v118, -v95
	v_dual_add_f32 v91, 0, v91 :: v_dual_mul_f32 v93, v217, v117
	v_dual_mul_f32 v19, v224, v125 :: v_dual_mul_f32 v21, v226, v127
	s_wait_loadcnt_dscnt 0x701
	s_set_vgpr_msb 1                        ;  msbs: dst=0 src0=1 src1=0 src2=0
	v_mul_f32_e32 v87, v56 /*v312*/, v193
	s_wait_loadcnt 0x6
	s_set_vgpr_msb 0                        ;  msbs: dst=0 src0=0 src1=0 src2=0
	v_dual_mul_f32 v89, v230, v195 :: v_dual_fma_f32 v93, v216, v116, -v93
	v_dual_add_f32 v9, 0, v9 :: v_dual_fmac_f32 v13, v219, v118
	v_dual_mul_f32 v103, v227, v127 :: v_dual_mul_f32 v105, v229, v129
	v_fmac_f32_e32 v15, v221, v120
	s_delay_alu instid0(VALU_DEP_3) | instskip(SKIP_2) | instid1(VALU_DEP_3)
	v_dual_add_f32 v9, v9, v11 :: v_dual_add_f32 v11, v91, v93
	v_dual_mul_f32 v91, v241, v133 :: v_dual_fma_f32 v93, v220, v120, -v97
	v_dual_mul_f32 v23, v228, v129 :: v_dual_mul_f32 v25, v238, v131
	v_dual_add_f32 v9, v9, v13 :: v_dual_add_f32 v11, v11, v95
	v_dual_mul_f32 v13, v243, v135 :: v_dual_fma_f32 v95, v222, v122, -v99
	s_delay_alu instid0(VALU_DEP_2) | instskip(NEXT) | instid1(VALU_DEP_3)
	v_dual_fmac_f32 v17, v223, v122 :: v_dual_add_f32 v9, v9, v15
	v_dual_add_f32 v11, v11, v93 :: v_dual_fmac_f32 v19, v225, v124
	v_dual_mul_f32 v15, v245, v137 :: v_dual_fma_f32 v93, v224, v124, -v101
	s_delay_alu instid0(VALU_DEP_2) | instskip(SKIP_1) | instid1(VALU_DEP_2)
	v_dual_add_f32 v9, v9, v17 :: v_dual_add_f32 v11, v11, v95
	v_dual_mul_f32 v17, v255, v139 :: v_dual_fma_f32 v95, v226, v126, -v103
	v_dual_fmac_f32 v21, v227, v126 :: v_dual_add_f32 v9, v9, v19
	s_delay_alu instid0(VALU_DEP_3) | instskip(SKIP_2) | instid1(VALU_DEP_3)
	v_dual_add_f32 v11, v11, v93 :: v_dual_fmac_f32 v23, v229, v128
	v_fma_f32 v93, v228, v128, -v105
	v_dual_mul_f32 v27, v240, v133 :: v_dual_mul_f32 v29, v242, v135
	v_dual_add_f32 v9, v9, v21 :: v_dual_add_f32 v11, v11, v95
	v_dual_fma_f32 v95, v238, v130, -v107 :: v_dual_fmac_f32 v25, v239, v130
	s_delay_alu instid0(VALU_DEP_3) | instskip(NEXT) | instid1(VALU_DEP_3)
	v_fmac_f32_e32 v27, v241, v132
	v_dual_add_f32 v9, v9, v23 :: v_dual_add_f32 v11, v11, v93
	v_fma_f32 v91, v240, v132, -v91
	v_dual_mul_f32 v31, v244, v137 :: v_dual_mul_f32 v33, v254, v139
	s_delay_alu instid0(VALU_DEP_3) | instskip(SKIP_1) | instid1(VALU_DEP_3)
	v_dual_add_f32 v9, v9, v25 :: v_dual_add_f32 v11, v11, v95
	v_fma_f32 v13, v242, v134, -v13
	v_dual_fmac_f32 v29, v243, v134 :: v_dual_fmac_f32 v31, v245, v136
	s_delay_alu instid0(VALU_DEP_3) | instskip(NEXT) | instid1(VALU_DEP_4)
	v_add_f32_e32 v9, v9, v27
	v_dual_add_f32 v11, v11, v91 :: v_dual_fma_f32 v15, v244, v136, -v15
	s_set_vgpr_msb 1                        ;  msbs: dst=0 src0=1 src1=0 src2=0
	v_dual_mul_f32 v35, v0 /*v256*/, v141 :: v_dual_mul_f32 v37, v2 /*v258*/, v143
	s_set_vgpr_msb 0                        ;  msbs: dst=0 src0=0 src1=0 src2=0
	v_add_f32_e32 v9, v9, v29
	v_dual_add_f32 v11, v11, v13 :: v_dual_fma_f32 v17, v254, v138, -v17
	s_set_vgpr_msb 1                        ;  msbs: dst=0 src0=1 src1=0 src2=0
	v_dual_mul_f32 v19, v1 /*v257*/, v141 :: v_dual_mul_f32 v21, v3 /*v259*/, v143
	s_set_vgpr_msb 0                        ;  msbs: dst=0 src0=0 src1=0 src2=0
	v_dual_fmac_f32 v33, v255, v138 :: v_dual_add_f32 v9, v9, v31
	v_add_f32_e32 v11, v11, v15
	s_set_vgpr_msb 1                        ;  msbs: dst=0 src0=1 src1=0 src2=0
	v_dual_mul_f32 v15, v17 /*v273*/, v153 :: v_dual_fma_f32 v19, v0 /*v256*/, v140, -v19
	v_fmac_f32_e32 v35, v1 /*v257*/, v140
	s_set_vgpr_msb 0                        ;  msbs: dst=0 src0=0 src1=0 src2=0
	v_add_f32_e32 v9, v9, v33
	v_add_f32_e32 v11, v11, v17
	s_set_vgpr_msb 1                        ;  msbs: dst=0 src0=1 src1=0 src2=0
	v_dual_mul_f32 v39, v4 /*v260*/, v145 :: v_dual_mul_f32 v41, v10 /*v266*/, v147
	v_dual_mul_f32 v23, v5 /*v261*/, v145 :: v_dual_mul_f32 v25, v11 /*v267*/, v147
	v_mul_f32_e32 v17, v19 /*v275*/, v155
	v_fmac_f32_e32 v37, v3 /*v259*/, v142
	s_delay_alu instid0(VALU_DEP_4)
	v_dual_fma_f32 v21, v2 /*v258*/, v142, -v21 :: v_dual_fmac_f32 v39, v5 /*v261*/, v144
	s_set_vgpr_msb 0                        ;  msbs: dst=0 src0=0 src1=0 src2=0
	v_add_f32_e32 v9, v9, v35
	v_add_f32_e32 v11, v11, v19
	s_set_vgpr_msb 1                        ;  msbs: dst=0 src0=1 src1=0 src2=0
	v_dual_mul_f32 v19, v21 /*v277*/, v157 :: v_dual_fma_f32 v23, v4 /*v260*/, v144, -v23
	v_dual_mul_f32 v43, v12 /*v268*/, v149 :: v_dual_mul_f32 v45, v14 /*v270*/, v151
	s_set_vgpr_msb 0                        ;  msbs: dst=0 src0=0 src1=0 src2=0
	v_add_f32_e32 v9, v9, v37
	v_add_f32_e32 v11, v11, v21
	s_set_vgpr_msb 1                        ;  msbs: dst=0 src0=1 src1=0 src2=0
	v_dual_mul_f32 v27, v13 /*v269*/, v149 :: v_dual_mul_f32 v13, v15 /*v271*/, v151
	v_mul_f32_e32 v21, v23 /*v279*/, v159
	v_fmac_f32_e32 v41, v11 /*v267*/, v146
	v_dual_fma_f32 v25, v10 /*v266*/, v146, -v25 :: v_dual_fmac_f32 v43, v13 /*v269*/, v148
	s_set_vgpr_msb 0                        ;  msbs: dst=0 src0=0 src1=0 src2=0
	v_add_f32_e32 v9, v9, v39
	v_add_f32_e32 v11, v11, v23
	s_set_vgpr_msb 1                        ;  msbs: dst=0 src0=1 src1=0 src2=0
	v_dual_mul_f32 v23, v25 /*v281*/, v161 :: v_dual_fma_f32 v27, v12 /*v268*/, v148, -v27
	v_dual_mul_f32 v47, v16 /*v272*/, v153 :: v_dual_mul_f32 v49, v18 /*v274*/, v155
	s_set_vgpr_msb 0                        ;  msbs: dst=0 src0=0 src1=0 src2=0
	v_add_f32_e32 v9, v9, v41
	v_add_f32_e32 v11, v11, v25
	s_set_vgpr_msb 1                        ;  msbs: dst=0 src0=1 src1=0 src2=0
	v_mul_f32_e32 v25, v27 /*v283*/, v163
	v_fmac_f32_e32 v45, v15 /*v271*/, v150
	v_dual_fma_f32 v13, v14 /*v270*/, v150, -v13 :: v_dual_fmac_f32 v47, v17 /*v273*/, v152
	s_set_vgpr_msb 0                        ;  msbs: dst=0 src0=0 src1=0 src2=0
	v_add_f32_e32 v9, v9, v43
	v_add_f32_e32 v11, v11, v27
	s_set_vgpr_msb 1                        ;  msbs: dst=0 src0=1 src1=0 src2=0
	v_dual_mul_f32 v27, v29 /*v285*/, v165 :: v_dual_fma_f32 v15, v16 /*v272*/, v152, -v15
	v_dual_mul_f32 v51, v20 /*v276*/, v157 :: v_dual_mul_f32 v53, v22 /*v278*/, v159
	s_set_vgpr_msb 0                        ;  msbs: dst=0 src0=0 src1=0 src2=0
	v_add_f32_e32 v9, v9, v45
	v_add_f32_e32 v11, v11, v13
	s_set_vgpr_msb 1                        ;  msbs: dst=0 src0=1 src1=0 src2=0
	;; [unrolled: 13-line block ×8, first 2 shown]
	v_mul_f32_e32 v21, v55 /*v311*/, v191
	v_fmac_f32_e32 v73, v43 /*v299*/, v178
	v_dual_fma_f32 v25, v42 /*v298*/, v178, -v25 :: v_dual_fmac_f32 v75, v45 /*v301*/, v180
	s_set_vgpr_msb 0                        ;  msbs: dst=0 src0=0 src1=0 src2=0
	v_add_f32_e32 v9, v9, v71
	v_add_f32_e32 v11, v11, v23
	s_set_vgpr_msb 1                        ;  msbs: dst=0 src0=1 src1=0 src2=0
	v_dual_mul_f32 v23, v57 /*v313*/, v193 :: v_dual_fma_f32 v27, v44 /*v300*/, v180, -v27
	v_fmac_f32_e32 v77, v47 /*v303*/, v182
	s_set_vgpr_msb 0                        ;  msbs: dst=0 src0=0 src1=0 src2=0
	v_add_f32_e32 v9, v9, v73
	v_add_f32_e32 v11, v11, v25
	s_set_vgpr_msb 1                        ;  msbs: dst=0 src0=1 src1=0 src2=0
	v_dual_mul_f32 v79, v48 /*v304*/, v185 :: v_dual_mul_f32 v81, v50 /*v306*/, v187
	v_fma_f32 v13, v46 /*v302*/, v182, -v13
	s_set_vgpr_msb 0                        ;  msbs: dst=0 src0=0 src1=0 src2=0
	v_add_f32_e32 v9, v9, v75
	v_add_f32_e32 v11, v11, v27
	s_set_vgpr_msb 1                        ;  msbs: dst=0 src0=1 src1=0 src2=0
	v_fmac_f32_e32 v79, v49 /*v305*/, v184
	v_dual_fma_f32 v15, v48 /*v304*/, v184, -v15 :: v_dual_fmac_f32 v81, v51 /*v307*/, v186
	s_set_vgpr_msb 0                        ;  msbs: dst=0 src0=0 src1=0 src2=0
	v_add_f32_e32 v9, v9, v77
	v_add_f32_e32 v11, v11, v13
	s_set_vgpr_msb 1                        ;  msbs: dst=0 src0=1 src1=0 src2=0
	v_dual_mul_f32 v83, v52 /*v308*/, v189 :: v_dual_mul_f32 v85, v54 /*v310*/, v191
	v_fma_f32 v17, v50 /*v306*/, v186, -v17
	s_set_vgpr_msb 0                        ;  msbs: dst=0 src0=0 src1=0 src2=0
	v_add_f32_e32 v9, v9, v79
	v_add_f32_e32 v11, v11, v15
	s_set_vgpr_msb 1                        ;  msbs: dst=0 src0=1 src1=0 src2=0
	v_fmac_f32_e32 v83, v53 /*v309*/, v188
	v_dual_fma_f32 v15, v52 /*v308*/, v188, -v19 :: v_dual_fmac_f32 v85, v55 /*v311*/, v190
	s_set_vgpr_msb 0                        ;  msbs: dst=0 src0=0 src1=0 src2=0
	v_add_f32_e32 v9, v9, v81
	v_add_f32_e32 v11, v11, v17
	s_set_vgpr_msb 1                        ;  msbs: dst=0 src0=1 src1=0 src2=0
	v_dual_fma_f32 v17, v54 /*v310*/, v190, -v21 :: v_dual_fmac_f32 v87, v57 /*v313*/, v192
	s_set_vgpr_msb 0                        ;  msbs: dst=0 src0=0 src1=0 src2=0
	v_dual_mul_f32 v25, v231, v195 :: v_dual_mul_f32 v27, v233, v197
	v_add_f32_e32 v9, v9, v83
	s_wait_loadcnt 0x4
	v_dual_add_f32 v11, v11, v15 :: v_dual_mov_b32 v118, v205
	s_set_vgpr_msb 1                        ;  msbs: dst=0 src0=1 src1=0 src2=0
	v_fma_f32 v15, v56 /*v312*/, v192, -v23
	s_set_vgpr_msb 64                       ;  msbs: dst=1 src0=0 src1=0 src2=0
	v_dual_mul_f32 v73 /*v329*/, v232, v197 :: v_dual_mul_f32 v75 /*v331*/, v234, v199
	s_set_vgpr_msb 0                        ;  msbs: dst=0 src0=0 src1=0 src2=0
	v_dual_add_f32 v9, v9, v85 :: v_dual_fmac_f32 v89, v231, v194
	v_dual_add_f32 v11, v11, v17 :: v_dual_fma_f32 v17, v230, v194, -v25
	v_dual_mul_f32 v13, v235, v199 :: v_dual_mov_b32 v114, v201
	s_set_vgpr_msb 64                       ;  msbs: dst=1 src0=0 src1=0 src2=0
	v_dual_fmac_f32 v73 /*v329*/, v233, v196 :: v_dual_fmac_f32 v75 /*v331*/, v235, v198
	s_set_vgpr_msb 0                        ;  msbs: dst=0 src0=0 src1=0 src2=0
	v_add_f32_e32 v11, v11, v15
	v_add_f32_e32 v9, v9, v87
	s_set_vgpr_msb 64                       ;  msbs: dst=1 src0=0 src1=0 src2=0
	v_dual_fma_f32 v72 /*v328*/, v232, v196, -v27 :: v_dual_fma_f32 v74 /*v330*/, v234, v198, -v13
	s_set_vgpr_msb 1                        ;  msbs: dst=0 src0=1 src1=0 src2=0
	v_pk_mul_f32 v[114:115], v[64:65] /*v[320:321]*/, v[114:115] op_sel_hi:[1,0]
	s_set_vgpr_msb 0                        ;  msbs: dst=0 src0=0 src1=0 src2=0
	v_add_f32_e32 v122, v11, v17
	v_add_f32_e32 v123, v9, v89
	v_pk_mul_f32 v[116:117], v[246:247], v[202:203] op_sel:[1,1] op_sel_hi:[0,1]
	s_set_vgpr_msb 1                        ;  msbs: dst=0 src0=1 src1=0 src2=0
	v_pk_mul_f32 v[118:119], v[66:67] /*v[322:323]*/, v[118:119] op_sel_hi:[1,0]
	s_set_vgpr_msb 0                        ;  msbs: dst=0 src0=0 src1=0 src2=0
	v_pk_fma_f32 v[126:127], v[236:237], v[200:201], v[114:115] op_sel_hi:[1,0,1]
	v_pk_fma_f32 v[114:115], v[236:237], v[200:201], v[114:115] neg_lo:[0,0,1] neg_hi:[0,0,1]
	s_set_vgpr_msb 4                        ;  msbs: dst=0 src0=0 src1=1 src2=0
	v_pk_add_f32 v[122:123], v[122:123], v[72:73] /*v[328:329]*/
	s_wait_loadcnt 0x3
	v_mov_b32_e32 v124, v209
	s_set_vgpr_msb 0                        ;  msbs: dst=0 src0=0 src1=0 src2=0
	v_pk_fma_f32 v[128:129], v[246:247], v[202:203], v[116:117] op_sel_hi:[1,0,1]
	v_mov_b32_e32 v115, v127
	v_pk_fma_f32 v[116:117], v[246:247], v[202:203], v[116:117] neg_lo:[0,0,1] neg_hi:[0,0,1]
	s_set_vgpr_msb 4                        ;  msbs: dst=0 src0=0 src1=1 src2=0
	v_pk_add_f32 v[122:123], v[122:123], v[74:75] /*v[330:331]*/
	s_set_vgpr_msb 0                        ;  msbs: dst=0 src0=0 src1=0 src2=0
	v_pk_mul_f32 v[120:121], v[250:251], v[206:207] op_sel:[1,1] op_sel_hi:[0,1]
	v_mov_b32_e32 v117, v129
	v_pk_fma_f32 v[128:129], v[248:249], v[204:205], v[118:119] op_sel_hi:[1,0,1]
	v_pk_fma_f32 v[118:119], v[248:249], v[204:205], v[118:119] neg_lo:[0,0,1] neg_hi:[0,0,1]
	v_pk_add_f32 v[114:115], v[122:123], v[114:115]
	v_pk_fma_f32 v[122:123], v[250:251], v[206:207], v[120:121] op_sel_hi:[1,0,1]
	s_set_vgpr_msb 1                        ;  msbs: dst=0 src0=1 src1=0 src2=0
	v_pk_mul_f32 v[124:125], v[68:69] /*v[324:325]*/, v[124:125] op_sel_hi:[1,0]
	s_set_vgpr_msb 0                        ;  msbs: dst=0 src0=0 src1=0 src2=0
	v_mov_b32_e32 v119, v129
	v_pk_fma_f32 v[120:121], v[250:251], v[206:207], v[120:121] neg_lo:[0,0,1] neg_hi:[0,0,1]
	v_pk_add_f32 v[114:115], v[114:115], v[116:117]
	s_wait_loadcnt 0x2
	s_set_vgpr_msb 1                        ;  msbs: dst=0 src0=1 src1=0 src2=0
	v_pk_mul_f32 v[126:127], v[6:7] /*v[262:263]*/, v[210:211] op_sel:[1,1] op_sel_hi:[0,1]
	s_set_vgpr_msb 0                        ;  msbs: dst=0 src0=0 src1=0 src2=0
	v_dual_mov_b32 v116, v213 :: v_dual_mov_b32 v121, v123
	v_pk_fma_f32 v[122:123], v[252:253], v[208:209], v[124:125] op_sel_hi:[1,0,1]
	v_pk_add_f32 v[114:115], v[114:115], v[118:119]
	v_pk_fma_f32 v[124:125], v[252:253], v[208:209], v[124:125] neg_lo:[0,0,1] neg_hi:[0,0,1]
	s_set_vgpr_msb 1                        ;  msbs: dst=0 src0=1 src1=0 src2=0
	v_pk_fma_f32 v[118:119], v[6:7] /*v[262:263]*/, v[210:211], v[126:127] op_sel_hi:[1,0,1]
	v_pk_mul_f32 v[116:117], v[70:71] /*v[326:327]*/, v[116:117] op_sel_hi:[1,0]
	s_set_vgpr_msb 0                        ;  msbs: dst=0 src0=0 src1=0 src2=0
	v_mov_b32_e32 v125, v123
	v_pk_add_f32 v[114:115], v[114:115], v[120:121]
	s_set_vgpr_msb 1                        ;  msbs: dst=0 src0=1 src1=0 src2=0
	v_pk_fma_f32 v[120:121], v[6:7] /*v[262:263]*/, v[210:211], v[126:127] neg_lo:[0,0,1] neg_hi:[0,0,1]
	s_set_vgpr_msb 0                        ;  msbs: dst=0 src0=0 src1=0 src2=0
	v_mov_b32_e32 v121, v119
	s_set_vgpr_msb 1                        ;  msbs: dst=0 src0=1 src1=0 src2=0
	v_pk_fma_f32 v[118:119], v[8:9] /*v[264:265]*/, v[212:213], v[116:117] op_sel_hi:[1,0,1]
	s_wait_loadcnt_dscnt 0x100
	s_set_vgpr_msb 5                        ;  msbs: dst=0 src0=1 src1=1 src2=0
	v_pk_mul_f32 v[122:123], v[62:63] /*v[318:319]*/, v[58:59] /*v[314:315]*/ op_sel:[1,1] op_sel_hi:[0,1]
	s_set_vgpr_msb 0                        ;  msbs: dst=0 src0=0 src1=0 src2=0
	v_pk_add_f32 v[114:115], v[114:115], v[124:125]
	s_set_vgpr_msb 1                        ;  msbs: dst=0 src0=1 src1=0 src2=0
	v_pk_fma_f32 v[116:117], v[8:9] /*v[264:265]*/, v[212:213], v[116:117] neg_lo:[0,0,1] neg_hi:[0,0,1]
	s_set_vgpr_msb 0                        ;  msbs: dst=0 src0=0 src1=0 src2=0
	v_mov_b32_e32 v117, v119
	s_set_vgpr_msb 5                        ;  msbs: dst=0 src0=1 src1=1 src2=0
	v_pk_fma_f32 v[118:119], v[62:63] /*v[318:319]*/, v[58:59] /*v[314:315]*/, v[122:123] op_sel_hi:[1,0,1]
	s_set_vgpr_msb 0                        ;  msbs: dst=0 src0=0 src1=0 src2=0
	v_pk_add_f32 v[114:115], v[114:115], v[120:121]
	s_set_vgpr_msb 5                        ;  msbs: dst=0 src0=1 src1=1 src2=0
	v_pk_fma_f32 v[120:121], v[62:63] /*v[318:319]*/, v[58:59] /*v[314:315]*/, v[122:123] neg_lo:[0,0,1] neg_hi:[0,0,1]
	s_set_vgpr_msb 0                        ;  msbs: dst=0 src0=0 src1=0 src2=0
	v_mov_b32_e32 v121, v119
	v_pk_add_f32 v[114:115], v[114:115], v[116:117]
	s_delay_alu instid0(VALU_DEP_1) | instskip(SKIP_2) | instid1(VALU_DEP_1)
	v_pk_add_f32 v[114:115], v[114:115], v[120:121]
	s_wait_loadcnt 0x0
	s_set_vgpr_msb 1                        ;  msbs: dst=0 src0=1 src1=0 src2=0
	v_pk_add_f32 v[114:115], v[60:61] /*v[316:317]*/, v[114:115] neg_lo:[0,1] neg_hi:[0,1]
	scratch_store_b64 off, v[114:115], off offset:32
	s_wait_xcnt 0x0
	v_cmpx_lt_u32_e32 3, v0
	s_set_vgpr_msb 0                        ;  msbs: dst=0 src0=0 src1=0 src2=0
	s_cbranch_execz .LBB119_343
; %bb.342:
	scratch_load_b64 v[114:115], off, off offset:24
	v_mov_b64_e32 v[116:117], 0
	scratch_store_b64 off, v[116:117], off offset:24
	s_wait_loadcnt 0x0
	ds_store_b64 v1, v[114:115]
.LBB119_343:
	s_wait_xcnt 0x0
	s_or_b32 exec_lo, exec_lo, s0
	s_wait_storecnt_dscnt 0x0
	s_barrier_signal -1
	s_barrier_wait -1
	s_clause 0x18
	scratch_load_b128 v[114:117], off, off offset:32
	scratch_load_b128 v[118:121], off, off offset:48
	;; [unrolled: 1-line block ×25, first 2 shown]
	ds_load_b128 v[214:217], v7 offset:480
	ds_load_b128 v[218:221], v7 offset:496
	scratch_load_b128 v[222:225], off, off offset:432
	ds_load_b128 v[226:229], v7 offset:512
	ds_load_b128 v[230:233], v7 offset:528
	;; [unrolled: 1-line block ×8, first 2 shown]
	s_set_vgpr_msb 64                       ;  msbs: dst=1 src0=0 src1=0 src2=0
	ds_load_b128 v[2:5] /*v[258:261]*/, v7 offset:864
	ds_load_b128 v[6:9] /*v[262:265]*/, v7 offset:608
	;; [unrolled: 1-line block ×16, first 2 shown]
	scratch_load_b64 v[66:67] /*v[322:323]*/, off, off offset:24
	s_wait_dscnt 0x13
	v_dual_mov_b32 v68 /*v324*/, v245 :: v_dual_mov_b32 v69 /*v325*/, v244
	s_wait_dscnt 0x10
	s_set_vgpr_msb 0x41                     ;  msbs: dst=1 src0=1 src1=0 src2=0
	v_dual_mov_b32 v70 /*v326*/, v1 /*v257*/ :: v_dual_mov_b32 v71 /*v327*/, v0 /*v256*/
	s_wait_dscnt 0xf
	v_dual_mov_b32 v72 /*v328*/, v5 /*v261*/ :: v_dual_mov_b32 v73 /*v329*/, v4 /*v260*/
	s_wait_dscnt 0xc
	v_dual_mov_b32 v74 /*v330*/, v17 /*v273*/ :: v_dual_mov_b32 v75 /*v331*/, v16 /*v272*/
	s_mov_b32 s0, exec_lo
	s_wait_loadcnt 0x1a
	s_set_vgpr_msb 0                        ;  msbs: dst=0 src0=0 src1=0 src2=0
	v_dual_mul_f32 v7, v214, v115 :: v_dual_mul_f32 v9, v216, v117
	v_dual_mul_f32 v53, v215, v115 :: v_dual_mul_f32 v55, v217, v117
	s_wait_loadcnt 0x19
	v_dual_mul_f32 v11, v218, v119 :: v_dual_mul_f32 v13, v220, v121
	s_delay_alu instid0(VALU_DEP_2) | instskip(SKIP_3) | instid1(VALU_DEP_3)
	v_dual_fmac_f32 v7, v215, v114 :: v_dual_fma_f32 v53, v214, v114, -v53
	v_dual_mul_f32 v69, v219, v119 :: v_dual_mul_f32 v71, v221, v121
	s_wait_loadcnt 0x17
	v_dual_mul_f32 v103, v231, v127 :: v_dual_fmac_f32 v9, v217, v116
	v_dual_fma_f32 v55, v216, v116, -v55 :: v_dual_add_f32 v7, 0, v7
	v_dual_add_f32 v53, 0, v53 :: v_dual_fmac_f32 v11, v219, v118
	v_dual_mul_f32 v105, v233, v129 :: v_dual_fma_f32 v69, v218, v118, -v69
	s_delay_alu instid0(VALU_DEP_2)
	v_dual_add_f32 v7, v7, v9 :: v_dual_add_f32 v9, v53, v55
	v_dual_mul_f32 v15, v226, v123 :: v_dual_mul_f32 v17, v228, v125
	v_dual_mul_f32 v85, v227, v123 :: v_dual_mul_f32 v87, v229, v125
	s_wait_loadcnt 0x16
	v_dual_mul_f32 v53, v235, v131 :: v_dual_fmac_f32 v13, v221, v120
	v_dual_fma_f32 v55, v220, v120, -v71 :: v_dual_add_f32 v7, v7, v11
	v_dual_add_f32 v9, v9, v69 :: v_dual_fmac_f32 v15, v227, v122
	v_dual_mul_f32 v11, v237, v133 :: v_dual_fma_f32 v69, v226, v122, -v85
	s_delay_alu instid0(VALU_DEP_2) | instskip(SKIP_3) | instid1(VALU_DEP_3)
	v_dual_add_f32 v7, v7, v13 :: v_dual_add_f32 v9, v9, v55
	v_dual_mul_f32 v19, v230, v127 :: v_dual_mul_f32 v21, v232, v129
	s_wait_loadcnt 0x15
	v_dual_mul_f32 v13, v239, v135 :: v_dual_fmac_f32 v17, v229, v124
	v_dual_fma_f32 v55, v228, v124, -v87 :: v_dual_add_f32 v7, v7, v15
	s_delay_alu instid0(VALU_DEP_3) | instskip(SKIP_1) | instid1(VALU_DEP_2)
	v_dual_add_f32 v9, v9, v69 :: v_dual_fmac_f32 v19, v231, v126
	v_dual_mul_f32 v15, v241, v137 :: v_dual_fma_f32 v69, v230, v126, -v103
	v_dual_add_f32 v7, v7, v17 :: v_dual_add_f32 v9, v9, v55
	v_dual_mul_f32 v23, v234, v131 :: v_dual_mul_f32 v25, v236, v133
	s_wait_loadcnt 0x14
	v_dual_mul_f32 v17, v247, v139 :: v_dual_fmac_f32 v21, v233, v128
	s_delay_alu instid0(VALU_DEP_3) | instskip(NEXT) | instid1(VALU_DEP_3)
	v_dual_fma_f32 v55, v232, v128, -v105 :: v_dual_add_f32 v7, v7, v19
	v_dual_add_f32 v9, v9, v69 :: v_dual_fmac_f32 v23, v235, v130
	v_dual_mul_f32 v19, v249, v141 :: v_dual_fma_f32 v53, v234, v130, -v53
	s_delay_alu instid0(VALU_DEP_2) | instskip(SKIP_3) | instid1(VALU_DEP_3)
	v_dual_add_f32 v7, v7, v21 :: v_dual_add_f32 v9, v9, v55
	v_dual_mul_f32 v27, v238, v135 :: v_dual_mul_f32 v29, v240, v137
	s_wait_loadcnt 0x13
	v_dual_mul_f32 v21, v251, v143 :: v_dual_fmac_f32 v25, v237, v132
	v_dual_fma_f32 v11, v236, v132, -v11 :: v_dual_add_f32 v7, v7, v23
	s_delay_alu instid0(VALU_DEP_3) | instskip(SKIP_1) | instid1(VALU_DEP_2)
	v_dual_add_f32 v9, v9, v53 :: v_dual_fmac_f32 v27, v239, v134
	v_dual_mul_f32 v23, v253, v145 :: v_dual_fma_f32 v13, v238, v134, -v13
	v_dual_add_f32 v7, v7, v25 :: v_dual_add_f32 v9, v9, v11
	v_dual_mul_f32 v31, v246, v139 :: v_dual_mul_f32 v33, v248, v141
	v_dual_fmac_f32 v29, v241, v136 :: v_dual_fma_f32 v15, v240, v136, -v15
	s_delay_alu instid0(VALU_DEP_3) | instskip(NEXT) | instid1(VALU_DEP_3)
	v_dual_add_f32 v7, v7, v27 :: v_dual_add_f32 v9, v9, v13
	v_dual_fmac_f32 v31, v247, v138 :: v_dual_fma_f32 v17, v246, v138, -v17
	v_dual_mul_f32 v35, v250, v143 :: v_dual_mul_f32 v37, v252, v145
	s_delay_alu instid0(VALU_DEP_3) | instskip(SKIP_1) | instid1(VALU_DEP_3)
	v_dual_add_f32 v7, v7, v29 :: v_dual_add_f32 v9, v9, v15
	v_dual_fmac_f32 v33, v249, v140 :: v_dual_fma_f32 v19, v248, v140, -v19
	v_dual_fmac_f32 v35, v251, v142 :: v_dual_fma_f32 v21, v250, v142, -v21
	s_delay_alu instid0(VALU_DEP_3)
	v_dual_add_f32 v7, v7, v31 :: v_dual_add_f32 v9, v9, v17
	s_wait_loadcnt 0x12
	s_set_vgpr_msb 1                        ;  msbs: dst=0 src0=1 src1=0 src2=0
	v_dual_mul_f32 v11, v7 /*v263*/, v147 :: v_dual_mul_f32 v13, v9 /*v265*/, v149
	s_set_vgpr_msb 0                        ;  msbs: dst=0 src0=0 src1=0 src2=0
	v_dual_fmac_f32 v37, v253, v144 :: v_dual_fma_f32 v23, v252, v144, -v23
	v_dual_add_f32 v7, v7, v33 :: v_dual_add_f32 v9, v9, v19
	s_set_vgpr_msb 1                        ;  msbs: dst=0 src0=1 src1=0 src2=0
	v_dual_mul_f32 v39, v6 /*v262*/, v147 :: v_dual_mul_f32 v41, v8 /*v264*/, v149
	v_fma_f32 v11, v6 /*v262*/, v146, -v11
	s_set_vgpr_msb 0                        ;  msbs: dst=0 src0=0 src1=0 src2=0
	v_dual_add_f32 v7, v7, v35 :: v_dual_add_f32 v9, v9, v21
	s_wait_loadcnt 0x11
	s_set_vgpr_msb 1                        ;  msbs: dst=0 src0=1 src1=0 src2=0
	v_dual_mul_f32 v15, v11 /*v267*/, v151 :: v_dual_mul_f32 v17, v13 /*v269*/, v153
	v_dual_fmac_f32 v39, v7 /*v263*/, v146 :: v_dual_fmac_f32 v41, v9 /*v265*/, v148
	s_set_vgpr_msb 0                        ;  msbs: dst=0 src0=0 src1=0 src2=0
	v_dual_add_f32 v7, v7, v37 :: v_dual_add_f32 v9, v9, v23
	s_wait_loadcnt_dscnt 0xf0a
	s_set_vgpr_msb 1                        ;  msbs: dst=0 src0=1 src1=0 src2=0
	v_dual_mul_f32 v23, v23 /*v279*/, v159 :: v_dual_fma_f32 v13, v8 /*v264*/, v148, -v13
	v_dual_mul_f32 v43, v10 /*v266*/, v151 :: v_dual_mul_f32 v45, v12 /*v268*/, v153
	s_set_vgpr_msb 0                        ;  msbs: dst=0 src0=0 src1=0 src2=0
	v_add_f32_e32 v9, v9, v11
	s_set_vgpr_msb 1                        ;  msbs: dst=0 src0=1 src1=0 src2=0
	v_mul_f32_e32 v11, v25 /*v281*/, v161
	s_set_vgpr_msb 0                        ;  msbs: dst=0 src0=0 src1=0 src2=0
	v_add_f32_e32 v7, v7, v39
	s_set_vgpr_msb 1                        ;  msbs: dst=0 src0=1 src1=0 src2=0
	v_dual_fma_f32 v15, v10 /*v266*/, v150, -v15 :: v_dual_mul_f32 v19, v19 /*v275*/, v155
	v_mul_f32_e32 v21, v21 /*v277*/, v157
	s_set_vgpr_msb 0                        ;  msbs: dst=0 src0=0 src1=0 src2=0
	v_add_f32_e32 v9, v9, v13
	s_set_vgpr_msb 1                        ;  msbs: dst=0 src0=1 src1=0 src2=0
	v_dual_fmac_f32 v43, v11 /*v267*/, v150 :: v_dual_fmac_f32 v45, v13 /*v269*/, v152
	s_set_vgpr_msb 0                        ;  msbs: dst=0 src0=0 src1=0 src2=0
	v_add_f32_e32 v7, v7, v41
	s_wait_loadcnt_dscnt 0xe09
	s_set_vgpr_msb 1                        ;  msbs: dst=0 src0=1 src1=0 src2=0
	v_dual_mul_f32 v13, v27 /*v283*/, v163 :: v_dual_fma_f32 v17, v12 /*v268*/, v152, -v17
	s_set_vgpr_msb 0                        ;  msbs: dst=0 src0=0 src1=0 src2=0
	v_add_f32_e32 v9, v9, v15
	s_set_vgpr_msb 1                        ;  msbs: dst=0 src0=1 src1=0 src2=0
	v_dual_mul_f32 v47, v18 /*v274*/, v155 :: v_dual_mul_f32 v49, v20 /*v276*/, v157
	v_mul_f32_e32 v15, v29 /*v285*/, v165
	s_set_vgpr_msb 0                        ;  msbs: dst=0 src0=0 src1=0 src2=0
	v_dual_add_f32 v7, v7, v43 :: v_dual_add_f32 v9, v9, v17
	s_wait_loadcnt_dscnt 0xd08
	s_set_vgpr_msb 1                        ;  msbs: dst=0 src0=1 src1=0 src2=0
	v_dual_fma_f32 v19, v18 /*v274*/, v154, -v19 :: v_dual_mul_f32 v17, v31 /*v287*/, v167
	v_dual_fmac_f32 v47, v19 /*v275*/, v154 :: v_dual_fmac_f32 v49, v21 /*v277*/, v156
	s_set_vgpr_msb 0                        ;  msbs: dst=0 src0=0 src1=0 src2=0
	v_add_f32_e32 v7, v7, v45
	s_set_vgpr_msb 1                        ;  msbs: dst=0 src0=1 src1=0 src2=0
	v_fma_f32 v21, v20 /*v276*/, v156, -v21
	s_set_vgpr_msb 0                        ;  msbs: dst=0 src0=0 src1=0 src2=0
	v_add_f32_e32 v9, v9, v19
	s_set_vgpr_msb 1                        ;  msbs: dst=0 src0=1 src1=0 src2=0
	v_dual_mul_f32 v51, v22 /*v278*/, v159 :: v_dual_mul_f32 v57, v24 /*v280*/, v161
	v_mul_f32_e32 v19, v33 /*v289*/, v169
	s_set_vgpr_msb 0                        ;  msbs: dst=0 src0=0 src1=0 src2=0
	v_dual_add_f32 v7, v7, v47 :: v_dual_add_f32 v9, v9, v21
	s_wait_loadcnt_dscnt 0xc07
	s_set_vgpr_msb 1                        ;  msbs: dst=0 src0=1 src1=0 src2=0
	v_dual_fma_f32 v23, v22 /*v278*/, v158, -v23 :: v_dual_mul_f32 v21, v35 /*v291*/, v171
	v_dual_mul_f32 v59, v26 /*v282*/, v163 :: v_dual_mul_f32 v61, v28 /*v284*/, v165
	v_dual_mul_f32 v63, v30 /*v286*/, v167 :: v_dual_mul_f32 v65, v32 /*v288*/, v169
	v_dual_fmac_f32 v51, v23 /*v279*/, v158 :: v_dual_fmac_f32 v57, v25 /*v281*/, v160
	v_fma_f32 v11, v24 /*v280*/, v160, -v11
	s_set_vgpr_msb 0                        ;  msbs: dst=0 src0=0 src1=0 src2=0
	v_dual_add_f32 v9, v9, v23 :: v_dual_add_f32 v7, v7, v49
	s_set_vgpr_msb 1                        ;  msbs: dst=0 src0=1 src1=0 src2=0
	v_dual_mul_f32 v23, v37 /*v293*/, v173 :: v_dual_fmac_f32 v59, v27 /*v283*/, v162
	v_fma_f32 v13, v26 /*v282*/, v162, -v13
	v_dual_fmac_f32 v61, v29 /*v285*/, v164 :: v_dual_fmac_f32 v63, v31 /*v287*/, v166
	s_set_vgpr_msb 0                        ;  msbs: dst=0 src0=0 src1=0 src2=0
	v_add_f32_e32 v9, v9, v11
	s_set_vgpr_msb 1                        ;  msbs: dst=0 src0=1 src1=0 src2=0
	v_dual_mul_f32 v67, v34 /*v290*/, v171 :: v_dual_mul_f32 v73, v36 /*v292*/, v173
	s_set_vgpr_msb 0                        ;  msbs: dst=0 src0=0 src1=0 src2=0
	v_add_f32_e32 v7, v7, v51
	s_wait_loadcnt_dscnt 0xb06
	s_set_vgpr_msb 1                        ;  msbs: dst=0 src0=1 src1=0 src2=0
	v_dual_mul_f32 v11, v39 /*v295*/, v175 :: v_dual_fma_f32 v15, v28 /*v284*/, v164, -v15
	s_set_vgpr_msb 0                        ;  msbs: dst=0 src0=0 src1=0 src2=0
	v_add_f32_e32 v9, v9, v13
	s_set_vgpr_msb 1                        ;  msbs: dst=0 src0=1 src1=0 src2=0
	v_dual_mul_f32 v13, v41 /*v297*/, v177 :: v_dual_fma_f32 v17, v30 /*v286*/, v166, -v17
	s_set_vgpr_msb 0                        ;  msbs: dst=0 src0=0 src1=0 src2=0
	v_add_f32_e32 v7, v7, v57
	s_set_vgpr_msb 1                        ;  msbs: dst=0 src0=1 src1=0 src2=0
	v_dual_fmac_f32 v65, v33 /*v289*/, v168 :: v_dual_fmac_f32 v67, v35 /*v291*/, v170
	s_set_vgpr_msb 0                        ;  msbs: dst=0 src0=0 src1=0 src2=0
	v_add_f32_e32 v9, v9, v15
	s_set_vgpr_msb 1                        ;  msbs: dst=0 src0=1 src1=0 src2=0
	v_dual_mul_f32 v75, v38 /*v294*/, v175 :: v_dual_mul_f32 v77, v40 /*v296*/, v177
	s_set_vgpr_msb 0                        ;  msbs: dst=0 src0=0 src1=0 src2=0
	v_add_f32_e32 v7, v7, v59
	s_wait_loadcnt_dscnt 0xa05
	s_set_vgpr_msb 1                        ;  msbs: dst=0 src0=1 src1=0 src2=0
	v_dual_mul_f32 v15, v43 /*v299*/, v179 :: v_dual_fma_f32 v19, v32 /*v288*/, v168, -v19
	s_set_vgpr_msb 0                        ;  msbs: dst=0 src0=0 src1=0 src2=0
	v_add_f32_e32 v9, v9, v17
	s_set_vgpr_msb 1                        ;  msbs: dst=0 src0=1 src1=0 src2=0
	v_dual_mul_f32 v17, v45 /*v301*/, v181 :: v_dual_fma_f32 v21, v34 /*v290*/, v170, -v21
	s_set_vgpr_msb 0                        ;  msbs: dst=0 src0=0 src1=0 src2=0
	v_add_f32_e32 v7, v7, v61
	s_set_vgpr_msb 1                        ;  msbs: dst=0 src0=1 src1=0 src2=0
	v_dual_fmac_f32 v73, v37 /*v293*/, v172 :: v_dual_fmac_f32 v75, v39 /*v295*/, v174
	s_set_vgpr_msb 0                        ;  msbs: dst=0 src0=0 src1=0 src2=0
	v_add_f32_e32 v9, v9, v19
	s_set_vgpr_msb 1                        ;  msbs: dst=0 src0=1 src1=0 src2=0
	v_dual_mul_f32 v79, v42 /*v298*/, v179 :: v_dual_mul_f32 v81, v44 /*v300*/, v181
	s_set_vgpr_msb 0                        ;  msbs: dst=0 src0=0 src1=0 src2=0
	v_add_f32_e32 v7, v7, v63
	s_wait_loadcnt_dscnt 0x904
	s_set_vgpr_msb 1                        ;  msbs: dst=0 src0=1 src1=0 src2=0
	v_dual_mul_f32 v19, v47 /*v303*/, v183 :: v_dual_fma_f32 v23, v36 /*v292*/, v172, -v23
	s_set_vgpr_msb 0                        ;  msbs: dst=0 src0=0 src1=0 src2=0
	v_add_f32_e32 v9, v9, v21
	s_set_vgpr_msb 1                        ;  msbs: dst=0 src0=1 src1=0 src2=0
	v_dual_mul_f32 v83, v46 /*v302*/, v183 :: v_dual_mul_f32 v89, v48 /*v304*/, v185
	v_dual_mul_f32 v21, v49 /*v305*/, v185 :: v_dual_fma_f32 v11, v38 /*v294*/, v174, -v11
	v_dual_fmac_f32 v77, v41 /*v297*/, v176 :: v_dual_fmac_f32 v79, v43 /*v299*/, v178
	s_set_vgpr_msb 0                        ;  msbs: dst=0 src0=0 src1=0 src2=0
	v_dual_add_f32 v9, v9, v23 :: v_dual_add_f32 v7, v7, v65
	s_wait_loadcnt_dscnt 0x803
	s_set_vgpr_msb 1                        ;  msbs: dst=0 src0=1 src1=0 src2=0
	v_dual_mul_f32 v23, v51 /*v307*/, v187 :: v_dual_fma_f32 v13, v40 /*v296*/, v176, -v13
	v_dual_fmac_f32 v81, v45 /*v301*/, v180 :: v_dual_fmac_f32 v83, v47 /*v303*/, v182
	s_set_vgpr_msb 0                        ;  msbs: dst=0 src0=0 src1=0 src2=0
	v_add_f32_e32 v9, v9, v11
	s_set_vgpr_msb 1                        ;  msbs: dst=0 src0=1 src1=0 src2=0
	v_dual_mul_f32 v91, v50 /*v306*/, v187 :: v_dual_mul_f32 v93, v52 /*v308*/, v189
	s_set_vgpr_msb 0                        ;  msbs: dst=0 src0=0 src1=0 src2=0
	v_add_f32_e32 v7, v7, v67
	s_set_vgpr_msb 1                        ;  msbs: dst=0 src0=1 src1=0 src2=0
	v_dual_mul_f32 v11, v53 /*v309*/, v189 :: v_dual_fma_f32 v15, v42 /*v298*/, v178, -v15
	s_set_vgpr_msb 0                        ;  msbs: dst=0 src0=0 src1=0 src2=0
	v_add_f32_e32 v9, v9, v13
	s_wait_loadcnt_dscnt 0x702
	s_set_vgpr_msb 1                        ;  msbs: dst=0 src0=1 src1=0 src2=0
	v_dual_mul_f32 v13, v55 /*v311*/, v191 :: v_dual_fma_f32 v17, v44 /*v300*/, v180, -v17
	s_set_vgpr_msb 0                        ;  msbs: dst=0 src0=0 src1=0 src2=0
	v_add_f32_e32 v7, v7, v73
	s_set_vgpr_msb 1                        ;  msbs: dst=0 src0=1 src1=0 src2=0
	v_dual_fmac_f32 v89, v49 /*v305*/, v184 :: v_dual_fmac_f32 v91, v51 /*v307*/, v186
	s_set_vgpr_msb 0                        ;  msbs: dst=0 src0=0 src1=0 src2=0
	v_add_f32_e32 v9, v9, v15
	s_set_vgpr_msb 1                        ;  msbs: dst=0 src0=1 src1=0 src2=0
	v_dual_mul_f32 v95, v54 /*v310*/, v191 :: v_dual_mul_f32 v97, v56 /*v312*/, v193
	s_set_vgpr_msb 0                        ;  msbs: dst=0 src0=0 src1=0 src2=0
	v_add_f32_e32 v7, v7, v75
	s_set_vgpr_msb 1                        ;  msbs: dst=0 src0=1 src1=0 src2=0
	v_dual_mul_f32 v15, v57 /*v313*/, v193 :: v_dual_fma_f32 v19, v46 /*v302*/, v182, -v19
	s_set_vgpr_msb 0                        ;  msbs: dst=0 src0=0 src1=0 src2=0
	v_add_f32_e32 v9, v9, v17
	s_wait_loadcnt_dscnt 0x601
	s_set_vgpr_msb 1                        ;  msbs: dst=0 src0=1 src1=0 src2=0
	v_dual_mul_f32 v17, v59 /*v315*/, v195 :: v_dual_fma_f32 v21, v48 /*v304*/, v184, -v21
	s_set_vgpr_msb 0                        ;  msbs: dst=0 src0=0 src1=0 src2=0
	v_add_f32_e32 v7, v7, v77
	s_set_vgpr_msb 1                        ;  msbs: dst=0 src0=1 src1=0 src2=0
	v_dual_fmac_f32 v93, v53 /*v309*/, v188 :: v_dual_fmac_f32 v95, v55 /*v311*/, v190
	s_set_vgpr_msb 0                        ;  msbs: dst=0 src0=0 src1=0 src2=0
	v_add_f32_e32 v9, v9, v19
	s_set_vgpr_msb 1                        ;  msbs: dst=0 src0=1 src1=0 src2=0
	v_dual_mul_f32 v19, v61 /*v317*/, v197 :: v_dual_fma_f32 v23, v50 /*v306*/, v186, -v23
	s_set_vgpr_msb 0                        ;  msbs: dst=0 src0=0 src1=0 src2=0
	v_add_f32_e32 v7, v7, v79
	s_set_vgpr_msb 1                        ;  msbs: dst=0 src0=1 src1=0 src2=0
	v_dual_mul_f32 v99, v58 /*v314*/, v195 :: v_dual_mul_f32 v101, v60 /*v316*/, v197
	s_set_vgpr_msb 0                        ;  msbs: dst=0 src0=0 src1=0 src2=0
	v_add_f32_e32 v9, v9, v21
	s_wait_loadcnt_dscnt 0x500
	s_set_vgpr_msb 1                        ;  msbs: dst=0 src0=1 src1=0 src2=0
	v_dual_mul_f32 v21, v63 /*v319*/, v199 :: v_dual_fma_f32 v11, v52 /*v308*/, v188, -v11
	s_set_vgpr_msb 0                        ;  msbs: dst=0 src0=0 src1=0 src2=0
	v_add_f32_e32 v7, v7, v81
	s_set_vgpr_msb 1                        ;  msbs: dst=0 src0=1 src1=0 src2=0
	v_fmac_f32_e32 v97, v57 /*v313*/, v192
	s_set_vgpr_msb 0                        ;  msbs: dst=0 src0=0 src1=0 src2=0
	v_add_f32_e32 v9, v9, v23
	s_set_vgpr_msb 1                        ;  msbs: dst=0 src0=1 src1=0 src2=0
	v_dual_mul_f32 v23, v65 /*v321*/, v201 :: v_dual_fma_f32 v13, v54 /*v310*/, v190, -v13
	v_fmac_f32_e32 v101, v61 /*v317*/, v196
	s_wait_loadcnt 0x4
	s_set_vgpr_msb 0                        ;  msbs: dst=0 src0=0 src1=0 src2=0
	v_mov_b32_e32 v120, v205
	v_add_f32_e32 v9, v9, v11
	v_add_f32_e32 v7, v7, v83
	s_set_vgpr_msb 1                        ;  msbs: dst=0 src0=1 src1=0 src2=0
	v_fma_f32 v11, v56 /*v312*/, v192, -v15
	v_dual_fmac_f32 v99, v59 /*v315*/, v194 :: v_dual_mul_f32 v115, v62 /*v318*/, v199
	v_mul_f32_e32 v117, v64 /*v320*/, v201
	s_set_vgpr_msb 0                        ;  msbs: dst=0 src0=0 src1=0 src2=0
	v_add_f32_e32 v9, v9, v13
	v_add_f32_e32 v7, v7, v89
	s_set_vgpr_msb 1                        ;  msbs: dst=0 src0=1 src1=0 src2=0
	v_fma_f32 v13, v58 /*v314*/, v194, -v17
	s_set_vgpr_msb 0                        ;  msbs: dst=0 src0=0 src1=0 src2=0
	v_pk_mul_f32 v[118:119], v[242:243], v[202:203] op_sel:[1,1] op_sel_hi:[0,1]
	s_wait_loadcnt 0x3
	v_mov_b32_e32 v124, v209
	v_add_f32_e32 v9, v9, v11
	v_add_f32_e32 v7, v7, v91
	s_set_vgpr_msb 1                        ;  msbs: dst=0 src0=1 src1=0 src2=0
	v_fma_f32 v11, v60 /*v316*/, v196, -v19
	v_dual_fmac_f32 v115, v63 /*v319*/, v198 :: v_dual_fma_f32 v114, v62 /*v318*/, v198, -v21
	s_set_vgpr_msb 0                        ;  msbs: dst=0 src0=0 src1=0 src2=0
	v_add_f32_e32 v9, v9, v13
	v_add_f32_e32 v7, v7, v93
	s_set_vgpr_msb 1                        ;  msbs: dst=0 src0=1 src1=0 src2=0
	v_dual_fmac_f32 v117, v65 /*v321*/, v200 :: v_dual_fma_f32 v116, v64 /*v320*/, v200, -v23
	s_set_vgpr_msb 0                        ;  msbs: dst=0 src0=0 src1=0 src2=0
	v_pk_fma_f32 v[128:129], v[242:243], v[202:203], v[118:119] op_sel_hi:[1,0,1]
	v_add_f32_e32 v126, v9, v11
	v_add_f32_e32 v7, v7, v95
	s_set_vgpr_msb 1                        ;  msbs: dst=0 src0=1 src1=0 src2=0
	v_pk_mul_f32 v[120:121], v[68:69] /*v[324:325]*/, v[120:121] op_sel_hi:[1,0]
	s_set_vgpr_msb 0                        ;  msbs: dst=0 src0=0 src1=0 src2=0
	v_pk_fma_f32 v[118:119], v[242:243], v[202:203], v[118:119] neg_lo:[0,0,1] neg_hi:[0,0,1]
	v_pk_mul_f32 v[122:123], v[254:255], v[206:207] op_sel:[1,1] op_sel_hi:[0,1]
	v_dual_mov_b32 v119, v129 :: v_dual_add_f32 v7, v7, v97
	v_pk_fma_f32 v[128:129], v[244:245], v[204:205], v[120:121] op_sel_hi:[1,0,1]
	v_pk_fma_f32 v[120:121], v[244:245], v[204:205], v[120:121] neg_lo:[0,0,1] neg_hi:[0,0,1]
	s_set_vgpr_msb 1                        ;  msbs: dst=0 src0=1 src1=0 src2=0
	v_pk_mul_f32 v[124:125], v[70:71] /*v[326:327]*/, v[124:125] op_sel_hi:[1,0]
	s_set_vgpr_msb 0                        ;  msbs: dst=0 src0=0 src1=0 src2=0
	v_dual_add_f32 v7, v7, v99 :: v_dual_mov_b32 v121, v129
	s_delay_alu instid0(VALU_DEP_1) | instskip(NEXT) | instid1(VALU_DEP_1)
	v_add_f32_e32 v127, v7, v101
	v_pk_add_f32 v[114:115], v[126:127], v[114:115]
	s_wait_loadcnt 0x2
	s_set_vgpr_msb 1                        ;  msbs: dst=0 src0=1 src1=0 src2=0
	v_pk_mul_f32 v[126:127], v[2:3] /*v[258:259]*/, v[210:211] op_sel:[1,1] op_sel_hi:[0,1]
	s_set_vgpr_msb 0                        ;  msbs: dst=0 src0=0 src1=0 src2=0
	v_pk_add_f32 v[114:115], v[114:115], v[116:117]
	v_pk_fma_f32 v[116:117], v[254:255], v[206:207], v[122:123] op_sel_hi:[1,0,1]
	v_mov_b32_e32 v116, v213
	s_delay_alu instid0(VALU_DEP_3) | instskip(SKIP_1) | instid1(VALU_DEP_4)
	v_pk_add_f32 v[114:115], v[114:115], v[118:119]
	v_pk_fma_f32 v[118:119], v[254:255], v[206:207], v[122:123] neg_lo:[0,0,1] neg_hi:[0,0,1]
	v_mov_b32_e32 v119, v117
	s_set_vgpr_msb 1                        ;  msbs: dst=0 src0=1 src1=0 src2=0
	v_pk_fma_f32 v[122:123], v[0:1] /*v[256:257]*/, v[208:209], v[124:125] op_sel_hi:[1,0,1]
	v_pk_mul_f32 v[116:117], v[72:73] /*v[328:329]*/, v[116:117] op_sel_hi:[1,0]
	s_set_vgpr_msb 0                        ;  msbs: dst=0 src0=0 src1=0 src2=0
	v_pk_add_f32 v[114:115], v[114:115], v[120:121]
	s_set_vgpr_msb 1                        ;  msbs: dst=0 src0=1 src1=0 src2=0
	v_pk_fma_f32 v[120:121], v[2:3] /*v[258:259]*/, v[210:211], v[126:127] op_sel_hi:[1,0,1]
	v_pk_fma_f32 v[124:125], v[0:1] /*v[256:257]*/, v[208:209], v[124:125] neg_lo:[0,0,1] neg_hi:[0,0,1]
	s_set_vgpr_msb 0                        ;  msbs: dst=0 src0=0 src1=0 src2=0
	v_mov_b32_e32 v125, v123
	s_set_vgpr_msb 1                        ;  msbs: dst=0 src0=1 src1=0 src2=0
	v_pk_fma_f32 v[122:123], v[2:3] /*v[258:259]*/, v[210:211], v[126:127] neg_lo:[0,0,1] neg_hi:[0,0,1]
	s_set_vgpr_msb 0                        ;  msbs: dst=0 src0=0 src1=0 src2=0
	v_pk_add_f32 v[114:115], v[114:115], v[118:119]
	v_mov_b32_e32 v123, v121
	s_set_vgpr_msb 1                        ;  msbs: dst=0 src0=1 src1=0 src2=0
	v_pk_fma_f32 v[120:121], v[4:5] /*v[260:261]*/, v[212:213], v[116:117] op_sel_hi:[1,0,1]
	s_wait_loadcnt 0x1
	v_pk_mul_f32 v[118:119], v[14:15] /*v[270:271]*/, v[222:223] op_sel:[1,1] op_sel_hi:[0,1]
	s_set_vgpr_msb 0                        ;  msbs: dst=0 src0=0 src1=0 src2=0
	v_mov_b32_e32 v120, v225
	v_pk_add_f32 v[114:115], v[114:115], v[124:125]
	s_set_vgpr_msb 1                        ;  msbs: dst=0 src0=1 src1=0 src2=0
	v_pk_fma_f32 v[116:117], v[4:5] /*v[260:261]*/, v[212:213], v[116:117] neg_lo:[0,0,1] neg_hi:[0,0,1]
	v_pk_fma_f32 v[124:125], v[14:15] /*v[270:271]*/, v[222:223], v[118:119] op_sel_hi:[1,0,1]
	s_set_vgpr_msb 0                        ;  msbs: dst=0 src0=0 src1=0 src2=0
	v_mov_b32_e32 v117, v121
	v_pk_add_f32 v[114:115], v[114:115], v[122:123]
	s_set_vgpr_msb 1                        ;  msbs: dst=0 src0=1 src1=0 src2=0
	v_pk_mul_f32 v[120:121], v[74:75] /*v[330:331]*/, v[120:121] op_sel_hi:[1,0]
	v_pk_fma_f32 v[118:119], v[14:15] /*v[270:271]*/, v[222:223], v[118:119] neg_lo:[0,0,1] neg_hi:[0,0,1]
	s_set_vgpr_msb 0                        ;  msbs: dst=0 src0=0 src1=0 src2=0
	v_mov_b32_e32 v119, v125
	v_pk_add_f32 v[114:115], v[114:115], v[116:117]
	s_set_vgpr_msb 1                        ;  msbs: dst=0 src0=1 src1=0 src2=0
	v_pk_fma_f32 v[116:117], v[16:17] /*v[272:273]*/, v[224:225], v[120:121] op_sel_hi:[1,0,1]
	v_pk_fma_f32 v[120:121], v[16:17] /*v[272:273]*/, v[224:225], v[120:121] neg_lo:[0,0,1] neg_hi:[0,0,1]
	s_set_vgpr_msb 0                        ;  msbs: dst=0 src0=0 src1=0 src2=0
	v_pk_add_f32 v[114:115], v[114:115], v[118:119]
	s_delay_alu instid0(VALU_DEP_3) | instskip(NEXT) | instid1(VALU_DEP_1)
	v_mov_b32_e32 v121, v117
	v_pk_add_f32 v[114:115], v[114:115], v[120:121]
	s_wait_loadcnt 0x0
	s_set_vgpr_msb 1                        ;  msbs: dst=0 src0=1 src1=0 src2=0
	s_delay_alu instid0(VALU_DEP_1)
	v_pk_add_f32 v[114:115], v[66:67] /*v[322:323]*/, v[114:115] neg_lo:[0,1] neg_hi:[0,1]
	scratch_store_b64 off, v[114:115], off offset:24
	s_wait_xcnt 0x0
	v_cmpx_lt_u32_e32 2, v0
	s_set_vgpr_msb 0                        ;  msbs: dst=0 src0=0 src1=0 src2=0
	s_cbranch_execz .LBB119_345
; %bb.344:
	scratch_load_b64 v[114:115], off, off offset:16
	v_mov_b64_e32 v[116:117], 0
	scratch_store_b64 off, v[116:117], off offset:16
	s_wait_loadcnt 0x0
	ds_store_b64 v1, v[114:115]
.LBB119_345:
	s_wait_xcnt 0x0
	s_or_b32 exec_lo, exec_lo, s0
	s_wait_storecnt_dscnt 0x0
	s_barrier_signal -1
	s_barrier_wait -1
	s_clause 0x1c
	scratch_load_b128 v[114:117], off, off offset:24
	scratch_load_b128 v[118:121], off, off offset:40
	;; [unrolled: 1-line block ×26, first 2 shown]
	s_set_vgpr_msb 64                       ;  msbs: dst=1 src0=0 src1=0 src2=0
	scratch_load_b64 v[66:67] /*v[322:323]*/, off, off offset:440
	scratch_load_b64 v[68:69] /*v[324:325]*/, off, off offset:16
	s_set_vgpr_msb 0                        ;  msbs: dst=0 src0=0 src1=0 src2=0
	v_mov_b32_e32 v93, 0
	ds_load_2addr_b64 v[218:221], v93 offset0:59 offset1:60
	ds_load_2addr_b64 v[222:225], v93 offset0:61 offset1:62
	;; [unrolled: 1-line block ×10, first 2 shown]
	s_set_vgpr_msb 64                       ;  msbs: dst=1 src0=0 src1=0 src2=0
	ds_load_2addr_b64 v[2:5] /*v[258:261]*/, v93 offset0:107 offset1:108
	ds_load_2addr_b64 v[6:9] /*v[262:265]*/, v93 offset0:75 offset1:76
	;; [unrolled: 1-line block ×16, first 2 shown]
	ds_load_b64 v[70:71] /*v[326:327]*/, v93 offset:888
	s_wait_dscnt 0x14
	v_dual_mov_b32 v72 /*v328*/, v245 :: v_dual_mov_b32 v73 /*v329*/, v244
	s_wait_dscnt 0x11
	s_set_vgpr_msb 0x41                     ;  msbs: dst=1 src0=1 src1=0 src2=0
	v_dual_mov_b32 v74 /*v330*/, v1 /*v257*/ :: v_dual_mov_b32 v75 /*v331*/, v0 /*v256*/
	s_wait_dscnt 0x10
	v_dual_mov_b32 v76 /*v332*/, v5 /*v261*/ :: v_dual_mov_b32 v77 /*v333*/, v4 /*v260*/
	s_wait_dscnt 0xd
	v_dual_mov_b32 v78 /*v334*/, v17 /*v273*/ :: v_dual_mov_b32 v79 /*v335*/, v16 /*v272*/
	s_mov_b32 s0, exec_lo
	s_wait_loadcnt 0x1b
	s_set_vgpr_msb 0                        ;  msbs: dst=0 src0=0 src1=0 src2=0
	v_dual_mul_f32 v7, v218, v115 :: v_dual_mul_f32 v9, v220, v117
	s_wait_loadcnt 0x1a
	v_mul_f32_e32 v11, v222, v119
	v_dual_mul_f32 v95, v219, v115 :: v_dual_mul_f32 v97, v221, v117
	v_mul_f32_e32 v99, v223, v119
	s_wait_loadcnt 0x18
	v_dual_fmac_f32 v7, v219, v114 :: v_dual_mul_f32 v109, v233, v129
	s_wait_loadcnt 0x14
	v_dual_mul_f32 v37, v252, v145 :: v_dual_fma_f32 v95, v218, v114, -v95
	v_fmac_f32_e32 v9, v221, v116
	s_delay_alu instid0(VALU_DEP_3) | instskip(SKIP_1) | instid1(VALU_DEP_4)
	v_dual_fma_f32 v97, v220, v116, -v97 :: v_dual_add_f32 v7, 0, v7
	v_dual_mul_f32 v13, v224, v121 :: v_dual_mul_f32 v15, v226, v123
	v_dual_add_f32 v95, 0, v95 :: v_dual_fmac_f32 v11, v223, v118
	v_dual_mul_f32 v101, v225, v121 :: v_dual_mul_f32 v103, v227, v123
	v_dual_mul_f32 v111, v235, v131 :: v_dual_fma_f32 v99, v222, v118, -v99
	s_delay_alu instid0(VALU_DEP_4) | instskip(NEXT) | instid1(VALU_DEP_3)
	v_dual_add_f32 v7, v7, v9 :: v_dual_fmac_f32 v13, v225, v120
	v_dual_add_f32 v9, v95, v97 :: v_dual_fma_f32 v97, v224, v120, -v101
	s_delay_alu instid0(VALU_DEP_2) | instskip(SKIP_1) | instid1(VALU_DEP_3)
	v_dual_mul_f32 v95, v237, v133 :: v_dual_add_f32 v7, v7, v11
	v_dual_mul_f32 v17, v228, v125 :: v_dual_mul_f32 v19, v230, v127
	v_dual_add_f32 v9, v9, v99 :: v_dual_fmac_f32 v15, v227, v122
	v_dual_mul_f32 v105, v229, v125 :: v_dual_mul_f32 v107, v231, v127
	v_dual_mul_f32 v11, v239, v135 :: v_dual_fma_f32 v99, v226, v122, -v103
	s_delay_alu instid0(VALU_DEP_4) | instskip(NEXT) | instid1(VALU_DEP_3)
	v_dual_add_f32 v7, v7, v13 :: v_dual_fmac_f32 v17, v229, v124
	v_dual_add_f32 v9, v9, v97 :: v_dual_fma_f32 v97, v228, v124, -v105
	s_delay_alu instid0(VALU_DEP_2) | instskip(SKIP_1) | instid1(VALU_DEP_3)
	v_dual_mul_f32 v13, v241, v137 :: v_dual_add_f32 v7, v7, v15
	v_dual_mul_f32 v21, v232, v129 :: v_dual_mul_f32 v23, v234, v131
	v_dual_add_f32 v9, v9, v99 :: v_dual_fmac_f32 v19, v231, v126
	v_dual_mul_f32 v15, v247, v139 :: v_dual_fma_f32 v99, v230, v126, -v107
	s_delay_alu instid0(VALU_DEP_3) | instskip(NEXT) | instid1(VALU_DEP_3)
	v_dual_add_f32 v7, v7, v17 :: v_dual_fmac_f32 v21, v233, v128
	v_dual_add_f32 v9, v9, v97 :: v_dual_fma_f32 v97, v232, v128, -v109
	s_delay_alu instid0(VALU_DEP_2) | instskip(SKIP_1) | instid1(VALU_DEP_3)
	v_dual_mul_f32 v17, v249, v141 :: v_dual_add_f32 v7, v7, v19
	v_dual_mul_f32 v25, v236, v133 :: v_dual_mul_f32 v27, v238, v135
	v_dual_add_f32 v9, v9, v99 :: v_dual_fmac_f32 v23, v235, v130
	v_dual_mul_f32 v19, v251, v143 :: v_dual_fma_f32 v99, v234, v130, -v111
	s_delay_alu instid0(VALU_DEP_3) | instskip(NEXT) | instid1(VALU_DEP_3)
	v_dual_add_f32 v7, v7, v21 :: v_dual_fmac_f32 v25, v237, v132
	v_dual_add_f32 v9, v9, v97 :: v_dual_fma_f32 v95, v236, v132, -v95
	s_delay_alu instid0(VALU_DEP_2) | instskip(SKIP_1) | instid1(VALU_DEP_3)
	v_dual_mul_f32 v21, v253, v145 :: v_dual_add_f32 v7, v7, v23
	v_dual_mul_f32 v29, v240, v137 :: v_dual_mul_f32 v31, v246, v139
	v_dual_add_f32 v9, v9, v99 :: v_dual_fmac_f32 v27, v239, v134
	s_delay_alu instid0(VALU_DEP_3) | instskip(NEXT) | instid1(VALU_DEP_3)
	v_dual_fma_f32 v11, v238, v134, -v11 :: v_dual_add_f32 v7, v7, v25
	v_fmac_f32_e32 v29, v241, v136
	s_delay_alu instid0(VALU_DEP_3) | instskip(SKIP_1) | instid1(VALU_DEP_4)
	v_dual_add_f32 v9, v9, v95 :: v_dual_fma_f32 v13, v240, v136, -v13
	v_dual_mul_f32 v33, v248, v141 :: v_dual_mul_f32 v35, v250, v143
	v_add_f32_e32 v7, v7, v27
	s_delay_alu instid0(VALU_DEP_3) | instskip(SKIP_1) | instid1(VALU_DEP_3)
	v_dual_add_f32 v9, v9, v11 :: v_dual_fmac_f32 v31, v247, v138
	v_dual_fma_f32 v15, v246, v138, -v15 :: v_dual_fma_f32 v17, v248, v140, -v17
	v_add_f32_e32 v7, v7, v29
	s_delay_alu instid0(VALU_DEP_3)
	v_add_f32_e32 v9, v9, v13
	v_dual_fmac_f32 v33, v249, v140 :: v_dual_fmac_f32 v35, v251, v142
	s_wait_loadcnt 0x13
	s_set_vgpr_msb 1                        ;  msbs: dst=0 src0=1 src1=0 src2=0
	v_dual_mul_f32 v39, v6 /*v262*/, v147 :: v_dual_mul_f32 v41, v8 /*v264*/, v149
	s_set_vgpr_msb 0                        ;  msbs: dst=0 src0=0 src1=0 src2=0
	v_add_f32_e32 v7, v7, v31
	v_dual_add_f32 v9, v9, v15 :: v_dual_fma_f32 v19, v250, v142, -v19
	s_wait_loadcnt 0x12
	s_set_vgpr_msb 1                        ;  msbs: dst=0 src0=1 src1=0 src2=0
	v_dual_mul_f32 v23, v7 /*v263*/, v147 :: v_dual_mul_f32 v13, v13 /*v269*/, v153
	s_set_vgpr_msb 0                        ;  msbs: dst=0 src0=0 src1=0 src2=0
	v_add_f32_e32 v7, v7, v33
	v_dual_add_f32 v9, v9, v17 :: v_dual_fma_f32 v21, v252, v144, -v21
	v_fmac_f32_e32 v37, v253, v144
	s_wait_loadcnt_dscnt 0x601
	s_set_vgpr_msb 1                        ;  msbs: dst=0 src0=1 src1=0 src2=0
	v_dual_mul_f32 v91, v62 /*v318*/, v199 :: v_dual_mul_f32 v25, v9 /*v265*/, v149
	s_set_vgpr_msb 0                        ;  msbs: dst=0 src0=0 src1=0 src2=0
	v_add_f32_e32 v7, v7, v35
	v_add_f32_e32 v9, v9, v19
	s_set_vgpr_msb 1                        ;  msbs: dst=0 src0=1 src1=0 src2=0
	v_dual_mul_f32 v15, v19 /*v275*/, v155 :: v_dual_fma_f32 v23, v6 /*v262*/, v146, -v23
	v_dual_fmac_f32 v39, v7 /*v263*/, v146 :: v_dual_fmac_f32 v41, v9 /*v265*/, v148
	s_set_vgpr_msb 0                        ;  msbs: dst=0 src0=0 src1=0 src2=0
	v_add_f32_e32 v7, v7, v37
	v_add_f32_e32 v9, v9, v21
	s_set_vgpr_msb 1                        ;  msbs: dst=0 src0=1 src1=0 src2=0
	v_dual_mul_f32 v43, v10 /*v266*/, v151 :: v_dual_mul_f32 v45, v12 /*v268*/, v153
	v_dual_mul_f32 v11, v11 /*v267*/, v151 :: v_dual_mul_f32 v17, v21 /*v277*/, v157
	v_fma_f32 v25, v8 /*v264*/, v148, -v25
	s_set_vgpr_msb 0                        ;  msbs: dst=0 src0=0 src1=0 src2=0
	v_add_f32_e32 v7, v7, v39
	v_add_f32_e32 v9, v9, v23
	s_set_vgpr_msb 1                        ;  msbs: dst=0 src0=1 src1=0 src2=0
	v_mul_f32_e32 v23, v27 /*v283*/, v163
	v_fmac_f32_e32 v43, v11 /*v267*/, v150
	v_dual_fma_f32 v11, v10 /*v266*/, v150, -v11 :: v_dual_fmac_f32 v45, v13 /*v269*/, v152
	s_set_vgpr_msb 0                        ;  msbs: dst=0 src0=0 src1=0 src2=0
	v_add_f32_e32 v7, v7, v41
	v_add_f32_e32 v9, v9, v25
	s_set_vgpr_msb 1                        ;  msbs: dst=0 src0=1 src1=0 src2=0
	v_dual_mul_f32 v47, v18 /*v274*/, v155 :: v_dual_mul_f32 v49, v20 /*v276*/, v157
	v_dual_mul_f32 v25, v29 /*v285*/, v165 :: v_dual_fma_f32 v13, v12 /*v268*/, v152, -v13
	s_set_vgpr_msb 0                        ;  msbs: dst=0 src0=0 src1=0 src2=0
	v_add_f32_e32 v7, v7, v43
	v_add_f32_e32 v9, v9, v11
	s_set_vgpr_msb 1                        ;  msbs: dst=0 src0=1 src1=0 src2=0
	v_mul_f32_e32 v11, v31 /*v287*/, v167
	v_fmac_f32_e32 v47, v19 /*v275*/, v154
	v_dual_fma_f32 v15, v18 /*v274*/, v154, -v15 :: v_dual_fmac_f32 v49, v21 /*v277*/, v156
	s_set_vgpr_msb 0                        ;  msbs: dst=0 src0=0 src1=0 src2=0
	v_add_f32_e32 v7, v7, v45
	v_add_f32_e32 v9, v9, v13
	s_set_vgpr_msb 1                        ;  msbs: dst=0 src0=1 src1=0 src2=0
	v_dual_mul_f32 v51, v22 /*v278*/, v159 :: v_dual_mul_f32 v53, v24 /*v280*/, v161
	v_dual_mul_f32 v19, v23 /*v279*/, v159 :: v_dual_mul_f32 v21, v25 /*v281*/, v161
	v_dual_mul_f32 v13, v33 /*v289*/, v169 :: v_dual_fma_f32 v17, v20 /*v276*/, v156, -v17
	s_set_vgpr_msb 0                        ;  msbs: dst=0 src0=0 src1=0 src2=0
	v_add_f32_e32 v7, v7, v47
	v_add_f32_e32 v9, v9, v15
	s_set_vgpr_msb 1                        ;  msbs: dst=0 src0=1 src1=0 src2=0
	v_mul_f32_e32 v15, v35 /*v291*/, v171
	v_fmac_f32_e32 v51, v23 /*v279*/, v158
	v_dual_fma_f32 v19, v22 /*v278*/, v158, -v19 :: v_dual_fmac_f32 v53, v25 /*v281*/, v160
	s_set_vgpr_msb 0                        ;  msbs: dst=0 src0=0 src1=0 src2=0
	v_add_f32_e32 v7, v7, v49
	v_add_f32_e32 v9, v9, v17
	s_set_vgpr_msb 1                        ;  msbs: dst=0 src0=1 src1=0 src2=0
	v_dual_mul_f32 v55, v26 /*v282*/, v163 :: v_dual_mul_f32 v57, v28 /*v284*/, v165
	v_dual_mul_f32 v17, v37 /*v293*/, v173 :: v_dual_fma_f32 v21, v24 /*v280*/, v160, -v21
	s_set_vgpr_msb 0                        ;  msbs: dst=0 src0=0 src1=0 src2=0
	v_add_f32_e32 v7, v7, v51
	v_add_f32_e32 v9, v9, v19
	s_set_vgpr_msb 1                        ;  msbs: dst=0 src0=1 src1=0 src2=0
	v_mul_f32_e32 v19, v39 /*v295*/, v175
	v_fmac_f32_e32 v55, v27 /*v283*/, v162
	v_dual_fma_f32 v23, v26 /*v282*/, v162, -v23 :: v_dual_fmac_f32 v57, v29 /*v285*/, v164
	s_set_vgpr_msb 0                        ;  msbs: dst=0 src0=0 src1=0 src2=0
	v_add_f32_e32 v7, v7, v53
	v_add_f32_e32 v9, v9, v21
	s_set_vgpr_msb 1                        ;  msbs: dst=0 src0=1 src1=0 src2=0
	;; [unrolled: 13-line block ×8, first 2 shown]
	v_dual_mul_f32 v83, v54 /*v310*/, v191 :: v_dual_mul_f32 v85, v56 /*v312*/, v193
	v_dual_mul_f32 v13, v65 /*v321*/, v201 :: v_dual_fma_f32 v17, v52 /*v308*/, v188, -v17
	s_set_vgpr_msb 0                        ;  msbs: dst=0 src0=0 src1=0 src2=0
	v_add_f32_e32 v7, v7, v79
	v_add_f32_e32 v9, v9, v15
	s_set_vgpr_msb 1                        ;  msbs: dst=0 src0=1 src1=0 src2=0
	v_fmac_f32_e32 v83, v55 /*v311*/, v190
	v_dual_fma_f32 v19, v54 /*v310*/, v190, -v19 :: v_dual_fmac_f32 v85, v57 /*v313*/, v192
	s_set_vgpr_msb 0                        ;  msbs: dst=0 src0=0 src1=0 src2=0
	v_add_f32_e32 v7, v7, v81
	s_wait_loadcnt 0x5
	v_dual_mul_f32 v15, v243, v203 :: v_dual_add_f32 v9, v9, v17
	s_set_vgpr_msb 1                        ;  msbs: dst=0 src0=1 src1=0 src2=0
	v_dual_mul_f32 v87, v58 /*v314*/, v195 :: v_dual_mul_f32 v89, v60 /*v316*/, v197
	s_set_vgpr_msb 0                        ;  msbs: dst=0 src0=0 src1=0 src2=0
	v_dual_mov_b32 v114, v205 :: v_dual_add_f32 v7, v7, v83
	s_set_vgpr_msb 1                        ;  msbs: dst=0 src0=1 src1=0 src2=0
	s_delay_alu instid0(VALU_DEP_2)
	v_dual_fma_f32 v17, v56 /*v312*/, v192, -v21 :: v_dual_fmac_f32 v87, v59 /*v315*/, v194
	s_set_vgpr_msb 0                        ;  msbs: dst=0 src0=0 src1=0 src2=0
	v_add_f32_e32 v9, v9, v19
	s_set_vgpr_msb 1                        ;  msbs: dst=0 src0=1 src1=0 src2=0
	v_dual_fma_f32 v19, v58 /*v314*/, v194, -v23 :: v_dual_fmac_f32 v89, v61 /*v317*/, v196
	s_set_vgpr_msb 0                        ;  msbs: dst=0 src0=0 src1=0 src2=0
	v_add_f32_e32 v7, v7, v85
	s_set_vgpr_msb 1                        ;  msbs: dst=0 src0=1 src1=0 src2=0
	v_pk_mul_f32 v[114:115], v[72:73] /*v[328:329]*/, v[114:115] op_sel_hi:[1,0]
	s_set_vgpr_msb 0                        ;  msbs: dst=0 src0=0 src1=0 src2=0
	v_add_f32_e32 v9, v9, v17
	s_set_vgpr_msb 1                        ;  msbs: dst=0 src0=1 src1=0 src2=0
	v_dual_fma_f32 v17, v60 /*v316*/, v196, -v25 :: v_dual_fmac_f32 v91, v63 /*v319*/, v198
	s_set_vgpr_msb 0                        ;  msbs: dst=0 src0=0 src1=0 src2=0
	v_add_f32_e32 v7, v7, v87
	v_pk_fma_f32 v[126:127], v[244:245], v[204:205], v[114:115] op_sel_hi:[1,0,1]
	v_add_f32_e32 v9, v9, v19
	v_pk_fma_f32 v[114:115], v[244:245], v[204:205], v[114:115] neg_lo:[0,0,1] neg_hi:[0,0,1]
	s_set_vgpr_msb 0x41                     ;  msbs: dst=1 src0=1 src1=0 src2=0
	v_dual_mul_f32 v81 /*v337*/, v64 /*v320*/, v201 :: v_dual_fma_f32 v80 /*v336*/, v64 /*v320*/, v200, -v13
	s_wait_loadcnt 0x4
	s_set_vgpr_msb 0                        ;  msbs: dst=0 src0=0 src1=0 src2=0
	v_dual_mov_b32 v118, v209 :: v_dual_add_f32 v7, v7, v89
	s_set_vgpr_msb 1                        ;  msbs: dst=0 src0=1 src1=0 src2=0
	v_fma_f32 v11, v62 /*v318*/, v198, -v11
	s_set_vgpr_msb 0                        ;  msbs: dst=0 src0=0 src1=0 src2=0
	v_dual_mov_b32 v115, v127 :: v_dual_add_f32 v9, v9, v17
	s_set_vgpr_msb 64                       ;  msbs: dst=1 src0=0 src1=0 src2=0
	v_dual_mul_f32 v83 /*v339*/, v242, v203 :: v_dual_fma_f32 v82 /*v338*/, v242, v202, -v15
	s_set_vgpr_msb 0x41                     ;  msbs: dst=1 src0=1 src1=0 src2=0
	v_fmac_f32_e32 v81 /*v337*/, v65 /*v321*/, v200
	s_set_vgpr_msb 0                        ;  msbs: dst=0 src0=0 src1=0 src2=0
	v_add_f32_e32 v123, v7, v91
	v_add_f32_e32 v122, v9, v11
	v_pk_mul_f32 v[116:117], v[254:255], v[206:207] op_sel:[1,1] op_sel_hi:[0,1]
	s_set_vgpr_msb 64                       ;  msbs: dst=1 src0=0 src1=0 src2=0
	v_fmac_f32_e32 v83 /*v339*/, v243, v202
	s_set_vgpr_msb 1                        ;  msbs: dst=0 src0=1 src1=0 src2=0
	v_pk_mul_f32 v[118:119], v[74:75] /*v[330:331]*/, v[118:119] op_sel_hi:[1,0]
	s_wait_loadcnt 0x3
	v_pk_mul_f32 v[120:121], v[2:3] /*v[258:259]*/, v[210:211] op_sel:[1,1] op_sel_hi:[0,1]
	s_set_vgpr_msb 4                        ;  msbs: dst=0 src0=0 src1=1 src2=0
	v_pk_add_f32 v[122:123], v[122:123], v[80:81] /*v[336:337]*/
	s_set_vgpr_msb 0                        ;  msbs: dst=0 src0=0 src1=0 src2=0
	v_pk_fma_f32 v[128:129], v[254:255], v[206:207], v[116:117] op_sel_hi:[1,0,1]
	v_pk_fma_f32 v[116:117], v[254:255], v[206:207], v[116:117] neg_lo:[0,0,1] neg_hi:[0,0,1]
	v_mov_b32_e32 v124, v213
	s_wait_loadcnt 0x2
	s_set_vgpr_msb 1                        ;  msbs: dst=0 src0=1 src1=0 src2=0
	v_pk_mul_f32 v[126:127], v[14:15] /*v[270:271]*/, v[214:215] op_sel:[1,1] op_sel_hi:[0,1]
	s_set_vgpr_msb 4                        ;  msbs: dst=0 src0=0 src1=1 src2=0
	v_pk_add_f32 v[122:123], v[122:123], v[82:83] /*v[338:339]*/
	v_mov_b32_e32 v117, v129
	s_set_vgpr_msb 1                        ;  msbs: dst=0 src0=1 src1=0 src2=0
	v_pk_fma_f32 v[128:129], v[0:1] /*v[256:257]*/, v[208:209], v[118:119] op_sel_hi:[1,0,1]
	v_pk_fma_f32 v[118:119], v[0:1] /*v[256:257]*/, v[208:209], v[118:119] neg_lo:[0,0,1] neg_hi:[0,0,1]
	v_pk_mul_f32 v[124:125], v[76:77] /*v[332:333]*/, v[124:125] op_sel_hi:[1,0]
	s_set_vgpr_msb 0                        ;  msbs: dst=0 src0=0 src1=0 src2=0
	v_pk_add_f32 v[114:115], v[122:123], v[114:115]
	s_set_vgpr_msb 1                        ;  msbs: dst=0 src0=1 src1=0 src2=0
	v_pk_fma_f32 v[122:123], v[2:3] /*v[258:259]*/, v[210:211], v[120:121] op_sel_hi:[1,0,1]
	s_set_vgpr_msb 0                        ;  msbs: dst=0 src0=0 src1=0 src2=0
	v_mov_b32_e32 v119, v129
	s_set_vgpr_msb 1                        ;  msbs: dst=0 src0=1 src1=0 src2=0
	v_pk_fma_f32 v[120:121], v[2:3] /*v[258:259]*/, v[210:211], v[120:121] neg_lo:[0,0,1] neg_hi:[0,0,1]
	s_set_vgpr_msb 0                        ;  msbs: dst=0 src0=0 src1=0 src2=0
	v_pk_add_f32 v[114:115], v[114:115], v[116:117]
	v_dual_mov_b32 v116, v217 :: v_dual_mov_b32 v121, v123
	s_set_vgpr_msb 1                        ;  msbs: dst=0 src0=1 src1=0 src2=0
	v_pk_fma_f32 v[122:123], v[4:5] /*v[260:261]*/, v[212:213], v[124:125] op_sel_hi:[1,0,1]
	v_pk_fma_f32 v[124:125], v[4:5] /*v[260:261]*/, v[212:213], v[124:125] neg_lo:[0,0,1] neg_hi:[0,0,1]
	s_set_vgpr_msb 0                        ;  msbs: dst=0 src0=0 src1=0 src2=0
	v_pk_add_f32 v[114:115], v[114:115], v[118:119]
	s_set_vgpr_msb 1                        ;  msbs: dst=0 src0=1 src1=0 src2=0
	v_pk_fma_f32 v[118:119], v[14:15] /*v[270:271]*/, v[214:215], v[126:127] op_sel_hi:[1,0,1]
	v_pk_mul_f32 v[116:117], v[78:79] /*v[334:335]*/, v[116:117] op_sel_hi:[1,0]
	s_set_vgpr_msb 0                        ;  msbs: dst=0 src0=0 src1=0 src2=0
	v_mov_b32_e32 v125, v123
	s_wait_loadcnt_dscnt 0x100
	s_set_vgpr_msb 5                        ;  msbs: dst=0 src0=1 src1=1 src2=0
	v_pk_mul_f32 v[122:123], v[70:71] /*v[326:327]*/, v[66:67] /*v[322:323]*/ op_sel:[1,1] op_sel_hi:[0,1]
	s_set_vgpr_msb 0                        ;  msbs: dst=0 src0=0 src1=0 src2=0
	v_pk_add_f32 v[114:115], v[114:115], v[120:121]
	s_set_vgpr_msb 1                        ;  msbs: dst=0 src0=1 src1=0 src2=0
	v_pk_fma_f32 v[120:121], v[14:15] /*v[270:271]*/, v[214:215], v[126:127] neg_lo:[0,0,1] neg_hi:[0,0,1]
	s_set_vgpr_msb 0                        ;  msbs: dst=0 src0=0 src1=0 src2=0
	v_mov_b32_e32 v121, v119
	s_set_vgpr_msb 1                        ;  msbs: dst=0 src0=1 src1=0 src2=0
	v_pk_fma_f32 v[118:119], v[16:17] /*v[272:273]*/, v[216:217], v[116:117] op_sel_hi:[1,0,1]
	v_pk_fma_f32 v[116:117], v[16:17] /*v[272:273]*/, v[216:217], v[116:117] neg_lo:[0,0,1] neg_hi:[0,0,1]
	s_set_vgpr_msb 0                        ;  msbs: dst=0 src0=0 src1=0 src2=0
	v_pk_add_f32 v[114:115], v[114:115], v[124:125]
	s_delay_alu instid0(VALU_DEP_3)
	v_mov_b32_e32 v117, v119
	s_set_vgpr_msb 5                        ;  msbs: dst=0 src0=1 src1=1 src2=0
	v_pk_fma_f32 v[118:119], v[70:71] /*v[326:327]*/, v[66:67] /*v[322:323]*/, v[122:123] op_sel_hi:[1,0,1]
	s_set_vgpr_msb 0                        ;  msbs: dst=0 src0=0 src1=0 src2=0
	v_pk_add_f32 v[114:115], v[114:115], v[120:121]
	s_set_vgpr_msb 5                        ;  msbs: dst=0 src0=1 src1=1 src2=0
	v_pk_fma_f32 v[120:121], v[70:71] /*v[326:327]*/, v[66:67] /*v[322:323]*/, v[122:123] neg_lo:[0,0,1] neg_hi:[0,0,1]
	s_set_vgpr_msb 0                        ;  msbs: dst=0 src0=0 src1=0 src2=0
	v_mov_b32_e32 v121, v119
	v_pk_add_f32 v[114:115], v[114:115], v[116:117]
	s_delay_alu instid0(VALU_DEP_1) | instskip(SKIP_2) | instid1(VALU_DEP_1)
	v_pk_add_f32 v[114:115], v[114:115], v[120:121]
	s_wait_loadcnt 0x0
	s_set_vgpr_msb 1                        ;  msbs: dst=0 src0=1 src1=0 src2=0
	v_pk_add_f32 v[114:115], v[68:69] /*v[324:325]*/, v[114:115] neg_lo:[0,1] neg_hi:[0,1]
	scratch_store_b64 off, v[114:115], off offset:16
	s_wait_xcnt 0x0
	v_cmpx_lt_u32_e32 1, v0
	s_set_vgpr_msb 0                        ;  msbs: dst=0 src0=0 src1=0 src2=0
	s_cbranch_execz .LBB119_347
; %bb.346:
	scratch_load_b64 v[114:115], off, off offset:8
	v_mov_b64_e32 v[116:117], 0
	scratch_store_b64 off, v[116:117], off offset:8
	s_wait_loadcnt 0x0
	ds_store_b64 v1, v[114:115]
.LBB119_347:
	s_wait_xcnt 0x0
	s_or_b32 exec_lo, exec_lo, s0
	s_wait_storecnt_dscnt 0x0
	s_barrier_signal -1
	s_barrier_wait -1
	s_clause 0x19
	scratch_load_b128 v[114:117], off, off offset:16
	scratch_load_b128 v[118:121], off, off offset:32
	;; [unrolled: 1-line block ×26, first 2 shown]
	ds_load_b128 v[218:221], v93 offset:464
	ds_load_b128 v[222:225], v93 offset:480
	;; [unrolled: 1-line block ×10, first 2 shown]
	s_set_vgpr_msb 64                       ;  msbs: dst=1 src0=0 src1=0 src2=0
	ds_load_b128 v[2:5] /*v[258:261]*/, v93 offset:624
	ds_load_b128 v[6:9] /*v[262:265]*/, v93 offset:640
	;; [unrolled: 1-line block ×4, first 2 shown]
	scratch_load_b128 v[18:21] /*v[274:277]*/, off, off offset:432
	ds_load_b128 v[22:25] /*v[278:281]*/, v93 offset:816
	ds_load_b128 v[26:29] /*v[282:285]*/, v93 offset:832
	ds_load_b128 v[30:33] /*v[286:289]*/, v93 offset:688
	ds_load_b128 v[34:37] /*v[290:293]*/, v93 offset:704
	ds_load_b128 v[38:41] /*v[294:297]*/, v93 offset:848
	ds_load_b128 v[42:45] /*v[298:301]*/, v93 offset:720
	ds_load_b128 v[46:49] /*v[302:305]*/, v93 offset:736
	ds_load_b128 v[50:53] /*v[306:309]*/, v93 offset:752
	ds_load_b128 v[54:57] /*v[310:313]*/, v93 offset:768
	ds_load_b128 v[58:61] /*v[314:317]*/, v93 offset:864
	ds_load_b128 v[62:65] /*v[318:321]*/, v93 offset:880
	scratch_load_b64 v[74:75] /*v[330:331]*/, off, off offset:8
	s_set_vgpr_msb 0                        ;  msbs: dst=0 src0=0 src1=0 src2=0
	v_ashrrev_i32_e32 v91, 31, v90
	s_set_vgpr_msb 64                       ;  msbs: dst=1 src0=0 src1=0 src2=0
	ds_load_b128 v[66:69] /*v[322:325]*/, v93 offset:784
	ds_load_b128 v[70:73] /*v[326:329]*/, v93 offset:800
	s_set_vgpr_msb 0                        ;  msbs: dst=0 src0=0 src1=0 src2=0
	v_dual_ashrrev_i32 v7, 31, v6 :: v_dual_ashrrev_i32 v9, 31, v8
	v_dual_ashrrev_i32 v11, 31, v10 :: v_dual_ashrrev_i32 v13, 31, v12
	;; [unrolled: 1-line block ×21, first 2 shown]
	s_mov_b32 s0, exec_lo
	s_wait_loadcnt_dscnt 0x1b1a
	v_dual_mul_f32 v95, v218, v115 :: v_dual_mul_f32 v97, v220, v117
	v_dual_mul_f32 v99, v219, v115 :: v_dual_mul_f32 v101, v221, v117
	s_wait_loadcnt_dscnt 0x1918
	v_dual_mul_f32 v111, v228, v125 :: v_dual_mul_f32 v113, v227, v123
	s_delay_alu instid0(VALU_DEP_3) | instskip(NEXT) | instid1(VALU_DEP_3)
	v_dual_fmac_f32 v95, v219, v114 :: v_dual_fmac_f32 v97, v221, v116
	v_dual_fma_f32 v93, v218, v114, -v99 :: v_dual_fma_f32 v99, v220, v116, -v101
	v_dual_mul_f32 v101, v222, v119 :: v_dual_mul_f32 v107, v225, v121
	v_dual_mul_f32 v109, v226, v123 :: v_dual_mul_f32 v123, v229, v125
	s_wait_loadcnt_dscnt 0x1817
	s_delay_alu instid0(VALU_DEP_2) | instskip(NEXT) | instid1(VALU_DEP_3)
	v_dual_mul_f32 v125, v230, v127 :: v_dual_fmac_f32 v101, v223, v118
	v_dual_fma_f32 v107, v224, v120, -v107 :: v_dual_mul_f32 v103, v224, v121
	v_mul_f32_e32 v105, v223, v119
	v_dual_fmac_f32 v109, v227, v122 :: v_dual_fmac_f32 v111, v229, v124
	v_dual_fma_f32 v113, v226, v122, -v113 :: v_dual_fma_f32 v122, v228, v124, -v123
	s_wait_loadcnt_dscnt 0x1716
	v_dual_mul_f32 v123, v232, v129 :: v_dual_mul_f32 v124, v234, v131
	s_wait_loadcnt_dscnt 0x1615
	v_dual_mul_f32 v218, v236, v133 :: v_dual_mul_f32 v219, v238, v135
	;; [unrolled: 2-line block ×3, first 2 shown]
	v_mul_f32_e32 v133, v237, v133
	v_dual_fmac_f32 v103, v225, v120 :: v_dual_fma_f32 v105, v222, v118, -v105
	s_wait_loadcnt_dscnt 0x1211
	v_dual_mul_f32 v225, v254, v151 :: v_dual_fmac_f32 v124, v235, v130
	v_dual_fmac_f32 v218, v237, v132 :: v_dual_fma_f32 v130, v234, v130, -v131
	v_fma_f32 v131, v236, v132, -v133
	s_set_vgpr_msb 1                        ;  msbs: dst=0 src0=1 src1=0 src2=0
	v_dual_mul_f32 v132, v0 /*v256*/, v153 :: v_dual_add_f32 v95, 0, v95
	s_wait_loadcnt_dscnt 0x100f
	v_dual_add_f32 v93, 0, v93 :: v_dual_mul_f32 v227, v6 /*v262*/, v159
	s_set_vgpr_msb 0                        ;  msbs: dst=0 src0=0 src1=0 src2=0
	v_dual_mul_f32 v220, v240, v137 :: v_dual_mul_f32 v127, v231, v127
	s_delay_alu instid0(VALU_DEP_2) | instskip(SKIP_1) | instid1(VALU_DEP_3)
	v_dual_add_f32 v95, v95, v97 :: v_dual_add_f32 v93, v93, v99
	v_dual_fmac_f32 v125, v231, v126 :: v_dual_fmac_f32 v123, v233, v128
	v_fmac_f32_e32 v220, v241, v136
	v_dual_mul_f32 v129, v233, v129 :: v_dual_mul_f32 v221, v242, v139
	s_delay_alu instid0(VALU_DEP_4) | instskip(SKIP_1) | instid1(VALU_DEP_3)
	v_add_f32_e32 v93, v93, v105
	v_dual_add_f32 v95, v95, v101 :: v_dual_fma_f32 v126, v230, v126, -v127
	v_fma_f32 v127, v232, v128, -v129
	v_dual_mul_f32 v128, v244, v141 :: v_dual_mul_f32 v129, v246, v143
	s_delay_alu instid0(VALU_DEP_4) | instskip(NEXT) | instid1(VALU_DEP_4)
	v_add_f32_e32 v93, v93, v107
	v_add_f32_e32 v95, v95, v103
	v_dual_mul_f32 v135, v239, v135 :: v_dual_mul_f32 v222, v248, v145
	s_delay_alu instid0(VALU_DEP_3) | instskip(NEXT) | instid1(VALU_DEP_3)
	v_dual_mul_f32 v223, v250, v147 :: v_dual_add_f32 v93, v93, v113
	v_add_f32_e32 v95, v95, v109
	v_dual_mul_f32 v113, v241, v137 :: v_dual_fmac_f32 v221, v243, v138
	s_set_vgpr_msb 1                        ;  msbs: dst=0 src0=1 src1=0 src2=0
	v_dual_mul_f32 v133, v2 /*v258*/, v155 :: v_dual_mul_f32 v226, v4 /*v260*/, v157
	s_set_vgpr_msb 0                        ;  msbs: dst=0 src0=0 src1=0 src2=0
	v_add_f32_e32 v95, v95, v111
	v_dual_fmac_f32 v219, v239, v134 :: v_dual_fma_f32 v113, v240, v136, -v113
	v_fma_f32 v134, v238, v134, -v135
	s_set_vgpr_msb 1                        ;  msbs: dst=0 src0=1 src1=0 src2=0
	v_dual_fmac_f32 v132, v1 /*v257*/, v152 :: v_dual_fmac_f32 v133, v3 /*v259*/, v154
	s_set_vgpr_msb 0                        ;  msbs: dst=0 src0=0 src1=0 src2=0
	v_dual_add_f32 v95, v95, v125 :: v_dual_add_f32 v93, v93, v122
	s_wait_loadcnt_dscnt 0x50c
	s_set_vgpr_msb 1                        ;  msbs: dst=0 src0=1 src1=0 src2=0
	v_mul_f32_e32 v125, v24 /*v280*/, v205
	s_set_vgpr_msb 0                        ;  msbs: dst=0 src0=0 src1=0 src2=0
	v_fmac_f32_e32 v128, v245, v140
	s_set_vgpr_msb 1                        ;  msbs: dst=0 src0=1 src1=0 src2=0
	v_dual_mul_f32 v97, v8 /*v264*/, v161 :: v_dual_mul_f32 v228, v10 /*v266*/, v163
	s_set_vgpr_msb 0                        ;  msbs: dst=0 src0=0 src1=0 src2=0
	v_dual_add_f32 v95, v95, v123 :: v_dual_add_f32 v93, v93, v126
	v_fmac_f32_e32 v129, v247, v142
	s_set_vgpr_msb 1                        ;  msbs: dst=0 src0=1 src1=0 src2=0
	v_dual_mul_f32 v99, v12 /*v268*/, v165 :: v_dual_mul_f32 v101, v14 /*v270*/, v167
	s_set_vgpr_msb 0                        ;  msbs: dst=0 src0=0 src1=0 src2=0
	v_dual_add_f32 v95, v95, v124 :: v_dual_add_f32 v93, v93, v127
	v_dual_mul_f32 v127, v243, v139 :: v_dual_mul_f32 v139, v249, v145
	s_wait_dscnt 0xa
	s_set_vgpr_msb 1                        ;  msbs: dst=0 src0=1 src1=0 src2=0
	v_dual_mul_f32 v229, v16 /*v272*/, v169 :: v_dual_mul_f32 v105, v30 /*v286*/, v171
	s_set_vgpr_msb 0                        ;  msbs: dst=0 src0=0 src1=0 src2=0
	v_add_f32_e32 v95, v95, v218
	v_add_f32_e32 v93, v93, v130
	v_mul_f32_e32 v130, v245, v141
	v_dual_mul_f32 v141, v253, v149 :: v_dual_fmac_f32 v223, v251, v146
	s_delay_alu instid0(VALU_DEP_4) | instskip(NEXT) | instid1(VALU_DEP_4)
	v_add_f32_e32 v95, v95, v219
	v_add_f32_e32 v93, v93, v131
	v_dual_mul_f32 v131, v247, v143 :: v_dual_fmac_f32 v224, v253, v148
	s_wait_dscnt 0x9
	s_set_vgpr_msb 1                        ;  msbs: dst=0 src0=1 src1=0 src2=0
	v_dual_mul_f32 v103, v32 /*v288*/, v173 :: v_dual_mul_f32 v230, v34 /*v290*/, v175
	s_set_vgpr_msb 0                        ;  msbs: dst=0 src0=0 src1=0 src2=0
	v_dual_add_f32 v95, v95, v220 :: v_dual_add_f32 v93, v93, v134
	v_dual_mul_f32 v134, v251, v147 :: v_dual_fma_f32 v127, v242, v138, -v127
	s_delay_alu instid0(VALU_DEP_2) | instskip(NEXT) | instid1(VALU_DEP_3)
	v_dual_fma_f32 v130, v244, v140, -v130 :: v_dual_add_f32 v95, v95, v221
	v_dual_add_f32 v93, v93, v113 :: v_dual_mul_f32 v113, v255, v151
	v_fma_f32 v131, v246, v142, -v131
	v_fmac_f32_e32 v225, v255, v150
	s_delay_alu instid0(VALU_DEP_3)
	v_dual_add_f32 v95, v95, v128 :: v_dual_add_f32 v93, v93, v127
	v_fmac_f32_e32 v222, v249, v144
	s_set_vgpr_msb 1                        ;  msbs: dst=0 src0=1 src1=0 src2=0
	v_dual_mul_f32 v127, v1 /*v257*/, v153 :: v_dual_mul_f32 v128, v3 /*v259*/, v155
	s_set_vgpr_msb 0                        ;  msbs: dst=0 src0=0 src1=0 src2=0
	v_dual_add_f32 v95, v95, v129 :: v_dual_add_f32 v93, v93, v130
	v_fma_f32 v130, v248, v144, -v139
	s_set_vgpr_msb 1                        ;  msbs: dst=0 src0=1 src1=0 src2=0
	v_dual_mul_f32 v129, v5 /*v261*/, v157 :: v_dual_fma_f32 v128, v2 /*v258*/, v154, -v128
	s_set_vgpr_msb 0                        ;  msbs: dst=0 src0=0 src1=0 src2=0
	v_dual_add_f32 v95, v95, v222 :: v_dual_add_f32 v93, v93, v131
	v_dual_fma_f32 v131, v250, v146, -v134 :: v_dual_fma_f32 v134, v252, v148, -v141
	s_set_vgpr_msb 1                        ;  msbs: dst=0 src0=1 src1=0 src2=0
	v_fmac_f32_e32 v226, v5 /*v261*/, v156
	s_set_vgpr_msb 0                        ;  msbs: dst=0 src0=0 src1=0 src2=0
	v_dual_add_f32 v95, v95, v223 :: v_dual_add_f32 v93, v93, v130
	v_fma_f32 v113, v254, v150, -v113
	s_set_vgpr_msb 1                        ;  msbs: dst=0 src0=1 src1=0 src2=0
	v_dual_mul_f32 v130, v7 /*v263*/, v159 :: v_dual_fma_f32 v127, v0 /*v256*/, v152, -v127
	s_set_vgpr_msb 0                        ;  msbs: dst=0 src0=0 src1=0 src2=0
	v_dual_add_f32 v95, v95, v224 :: v_dual_add_f32 v93, v93, v131
	s_set_vgpr_msb 1                        ;  msbs: dst=0 src0=1 src1=0 src2=0
	v_dual_mul_f32 v131, v9 /*v265*/, v161 :: v_dual_fmac_f32 v227, v7 /*v263*/, v158
	v_fma_f32 v130, v6 /*v262*/, v158, -v130
	s_set_vgpr_msb 0                        ;  msbs: dst=0 src0=0 src1=0 src2=0
	v_dual_add_f32 v95, v95, v225 :: v_dual_add_f32 v93, v93, v134
	s_set_vgpr_msb 1                        ;  msbs: dst=0 src0=1 src1=0 src2=0
	v_dual_mul_f32 v134, v11 /*v267*/, v163 :: v_dual_fma_f32 v129, v4 /*v260*/, v156, -v129
	v_fmac_f32_e32 v97, v9 /*v265*/, v160
	s_set_vgpr_msb 0                        ;  msbs: dst=0 src0=0 src1=0 src2=0
	v_dual_add_f32 v95, v95, v132 :: v_dual_add_f32 v93, v93, v113
	s_set_vgpr_msb 1                        ;  msbs: dst=0 src0=1 src1=0 src2=0
	v_dual_mul_f32 v113, v13 /*v269*/, v165 :: v_dual_fma_f32 v131, v8 /*v264*/, v160, -v131
	v_dual_fmac_f32 v228, v11 /*v267*/, v162 :: v_dual_fma_f32 v132, v10 /*v266*/, v162, -v134
	s_set_vgpr_msb 0                        ;  msbs: dst=0 src0=0 src1=0 src2=0
	v_dual_add_f32 v93, v93, v127 :: v_dual_add_f32 v95, v95, v133
	s_set_vgpr_msb 1                        ;  msbs: dst=0 src0=1 src1=0 src2=0
	v_dual_mul_f32 v127, v15 /*v271*/, v167 :: v_dual_fmac_f32 v99, v13 /*v269*/, v164
	v_fmac_f32_e32 v101, v15 /*v271*/, v166
	s_set_vgpr_msb 0                        ;  msbs: dst=0 src0=0 src1=0 src2=0
	v_dual_add_f32 v93, v93, v128 :: v_dual_add_f32 v95, v95, v226
	s_set_vgpr_msb 1                        ;  msbs: dst=0 src0=1 src1=0 src2=0
	v_dual_mul_f32 v128, v17 /*v273*/, v169 :: v_dual_fma_f32 v127, v14 /*v270*/, v166, -v127
	v_fmac_f32_e32 v229, v17 /*v273*/, v168
	s_set_vgpr_msb 0                        ;  msbs: dst=0 src0=0 src1=0 src2=0
	v_dual_add_f32 v93, v93, v129 :: v_dual_add_f32 v95, v95, v227
	s_set_vgpr_msb 1                        ;  msbs: dst=0 src0=1 src1=0 src2=0
	v_dual_mul_f32 v129, v31 /*v287*/, v171 :: v_dual_fma_f32 v113, v12 /*v268*/, v164, -v113
	v_dual_fmac_f32 v105, v31 /*v287*/, v170 :: v_dual_fmac_f32 v103, v33 /*v289*/, v172
	s_set_vgpr_msb 0                        ;  msbs: dst=0 src0=0 src1=0 src2=0
	v_dual_add_f32 v93, v93, v130 :: v_dual_add_f32 v95, v95, v97
	s_set_vgpr_msb 1                        ;  msbs: dst=0 src0=1 src1=0 src2=0
	v_dual_mul_f32 v130, v33 /*v289*/, v173 :: v_dual_mul_f32 v97, v35 /*v291*/, v175
	v_fmac_f32_e32 v230, v35 /*v291*/, v174
	s_set_vgpr_msb 0                        ;  msbs: dst=0 src0=0 src1=0 src2=0
	v_dual_add_f32 v93, v93, v131 :: v_dual_add_f32 v95, v95, v228
	s_set_vgpr_msb 1                        ;  msbs: dst=0 src0=1 src1=0 src2=0
	v_dual_mul_f32 v131, v37 /*v293*/, v177 :: v_dual_fma_f32 v97, v34 /*v290*/, v174, -v97
	s_wait_dscnt 0x7
	v_dual_mul_f32 v107, v36 /*v292*/, v177 :: v_dual_mul_f32 v109, v42 /*v298*/, v179
	s_set_vgpr_msb 0                        ;  msbs: dst=0 src0=0 src1=0 src2=0
	v_dual_add_f32 v93, v93, v132 :: v_dual_add_f32 v95, v95, v99
	s_set_vgpr_msb 1                        ;  msbs: dst=0 src0=1 src1=0 src2=0
	s_delay_alu instid0(VALU_DEP_2)
	v_dual_mul_f32 v99, v43 /*v299*/, v179 :: v_dual_fmac_f32 v107, v37 /*v293*/, v176
	s_wait_dscnt 0x6
	v_dual_mul_f32 v111, v44 /*v300*/, v181 :: v_dual_mul_f32 v135, v46 /*v302*/, v183
	s_set_vgpr_msb 0                        ;  msbs: dst=0 src0=0 src1=0 src2=0
	v_add_f32_e32 v95, v95, v101
	s_set_vgpr_msb 1                        ;  msbs: dst=0 src0=1 src1=0 src2=0
	v_dual_mul_f32 v101, v45 /*v301*/, v181 :: v_dual_fmac_f32 v109, v43 /*v299*/, v178
	v_fma_f32 v99, v42 /*v298*/, v178, -v99
	v_fmac_f32_e32 v111, v45 /*v301*/, v180
	s_set_vgpr_msb 0                        ;  msbs: dst=0 src0=0 src1=0 src2=0
	v_add_f32_e32 v95, v95, v229
	s_wait_dscnt 0x5
	s_set_vgpr_msb 1                        ;  msbs: dst=0 src0=1 src1=0 src2=0
	v_dual_mul_f32 v122, v48 /*v304*/, v185 :: v_dual_mul_f32 v136, v50 /*v306*/, v187
	v_fma_f32 v101, v44 /*v300*/, v180, -v101
	s_wait_dscnt 0x4
	v_dual_mul_f32 v137, v52 /*v308*/, v189 :: v_dual_mul_f32 v126, v54 /*v310*/, v191
	s_set_vgpr_msb 0                        ;  msbs: dst=0 src0=0 src1=0 src2=0
	v_add_f32_e32 v95, v95, v105
	v_add_f32_e32 v93, v93, v113
	s_set_vgpr_msb 1                        ;  msbs: dst=0 src0=1 src1=0 src2=0
	v_fma_f32 v113, v16 /*v272*/, v168, -v128
	v_dual_fma_f32 v128, v32 /*v288*/, v172, -v130 :: v_dual_mul_f32 v105, v49 /*v305*/, v185
	s_set_vgpr_msb 0                        ;  msbs: dst=0 src0=0 src1=0 src2=0
	v_add_f32_e32 v95, v95, v103
	v_add_f32_e32 v93, v93, v127
	s_set_vgpr_msb 1                        ;  msbs: dst=0 src0=1 src1=0 src2=0
	v_dual_fma_f32 v127, v30 /*v286*/, v170, -v129 :: v_dual_mul_f32 v103, v51 /*v307*/, v187
	v_dual_fmac_f32 v122, v49 /*v305*/, v184 :: v_dual_fmac_f32 v136, v51 /*v307*/, v186
	s_set_vgpr_msb 0                        ;  msbs: dst=0 src0=0 src1=0 src2=0
	v_dual_add_f32 v93, v93, v113 :: v_dual_add_f32 v95, v95, v230
	s_set_vgpr_msb 1                        ;  msbs: dst=0 src0=1 src1=0 src2=0
	v_dual_mul_f32 v113, v47 /*v303*/, v183 :: v_dual_fmac_f32 v135, v47 /*v303*/, v182
	v_fma_f32 v105, v48 /*v304*/, v184, -v105
	s_set_vgpr_msb 0                        ;  msbs: dst=0 src0=0 src1=0 src2=0
	v_add_f32_e32 v93, v93, v127
	s_set_vgpr_msb 1                        ;  msbs: dst=0 src0=1 src1=0 src2=0
	v_fma_f32 v127, v36 /*v292*/, v176, -v131
	s_set_vgpr_msb 0                        ;  msbs: dst=0 src0=0 src1=0 src2=0
	v_add_f32_e32 v95, v95, v107
	s_set_vgpr_msb 1                        ;  msbs: dst=0 src0=1 src1=0 src2=0
	v_dual_mul_f32 v107, v55 /*v311*/, v191 :: v_dual_fma_f32 v103, v50 /*v306*/, v186, -v103
	s_set_vgpr_msb 0                        ;  msbs: dst=0 src0=0 src1=0 src2=0
	v_add_f32_e32 v93, v93, v128
	s_set_vgpr_msb 1                        ;  msbs: dst=0 src0=1 src1=0 src2=0
	v_fmac_f32_e32 v137, v53 /*v309*/, v188
	s_set_vgpr_msb 0                        ;  msbs: dst=0 src0=0 src1=0 src2=0
	v_add_f32_e32 v95, v95, v109
	s_set_vgpr_msb 1                        ;  msbs: dst=0 src0=1 src1=0 src2=0
	v_dual_fma_f32 v109, v46 /*v302*/, v182, -v113 :: v_dual_mul_f32 v231, v56 /*v312*/, v193
	s_wait_dscnt 0x1
	v_mul_f32_e32 v232, v66 /*v322*/, v195
	s_set_vgpr_msb 0                        ;  msbs: dst=0 src0=0 src1=0 src2=0
	v_add_f32_e32 v93, v93, v97
	s_set_vgpr_msb 1                        ;  msbs: dst=0 src0=1 src1=0 src2=0
	v_mul_f32_e32 v97, v53 /*v309*/, v189
	s_set_vgpr_msb 0                        ;  msbs: dst=0 src0=0 src1=0 src2=0
	v_add_f32_e32 v95, v95, v111
	s_set_vgpr_msb 1                        ;  msbs: dst=0 src0=1 src1=0 src2=0
	v_dual_fmac_f32 v126, v55 /*v311*/, v190 :: v_dual_fma_f32 v107, v54 /*v310*/, v190, -v107
	s_set_vgpr_msb 0                        ;  msbs: dst=0 src0=0 src1=0 src2=0
	v_add_f32_e32 v93, v93, v127
	s_set_vgpr_msb 1                        ;  msbs: dst=0 src0=1 src1=0 src2=0
	v_fma_f32 v97, v52 /*v308*/, v188, -v97
	s_set_vgpr_msb 0                        ;  msbs: dst=0 src0=0 src1=0 src2=0
	v_add_f32_e32 v95, v95, v135
	s_set_vgpr_msb 1                        ;  msbs: dst=0 src0=1 src1=0 src2=0
	v_dual_fmac_f32 v231, v57 /*v313*/, v192 :: v_dual_mul_f32 v233, v68 /*v324*/, v197
	s_wait_dscnt 0x0
	v_mul_f32_e32 v124, v70 /*v326*/, v199
	s_set_vgpr_msb 0                        ;  msbs: dst=0 src0=0 src1=0 src2=0
	v_dual_add_f32 v93, v93, v99 :: v_dual_add_f32 v95, v95, v122
	s_set_vgpr_msb 1                        ;  msbs: dst=0 src0=1 src1=0 src2=0
	v_mul_f32_e32 v99, v57 /*v313*/, v193
	v_dual_fmac_f32 v233, v69 /*v325*/, v196 :: v_dual_fmac_f32 v124, v71 /*v327*/, v198
	s_set_vgpr_msb 0                        ;  msbs: dst=0 src0=0 src1=0 src2=0
	v_add_f32_e32 v93, v93, v101
	s_set_vgpr_msb 1                        ;  msbs: dst=0 src0=1 src1=0 src2=0
	v_mul_f32_e32 v101, v67 /*v323*/, v195
	s_set_vgpr_msb 0                        ;  msbs: dst=0 src0=0 src1=0 src2=0
	v_add_f32_e32 v95, v95, v136
	s_set_vgpr_msb 1                        ;  msbs: dst=0 src0=1 src1=0 src2=0
	v_dual_fma_f32 v99, v56 /*v312*/, v192, -v99 :: v_dual_fmac_f32 v232, v67 /*v323*/, v194
	s_set_vgpr_msb 0                        ;  msbs: dst=0 src0=0 src1=0 src2=0
	v_add_f32_e32 v93, v93, v109
	s_set_vgpr_msb 1                        ;  msbs: dst=0 src0=1 src1=0 src2=0
	v_mul_f32_e32 v109, v69 /*v325*/, v197
	s_set_vgpr_msb 0                        ;  msbs: dst=0 src0=0 src1=0 src2=0
	v_add_f32_e32 v95, v95, v137
	s_set_vgpr_msb 1                        ;  msbs: dst=0 src0=1 src1=0 src2=0
	v_dual_fma_f32 v101, v66 /*v322*/, v194, -v101 :: v_dual_mul_f32 v234, v72 /*v328*/, v201
	v_mul_f32_e32 v123, v22 /*v278*/, v203
	s_set_vgpr_msb 0                        ;  msbs: dst=0 src0=0 src1=0 src2=0
	v_add_f32_e32 v93, v93, v105
	s_set_vgpr_msb 1                        ;  msbs: dst=0 src0=1 src1=0 src2=0
	v_mul_f32_e32 v105, v71 /*v327*/, v199
	s_set_vgpr_msb 0                        ;  msbs: dst=0 src0=0 src1=0 src2=0
	v_add_f32_e32 v95, v95, v126
	s_set_vgpr_msb 1                        ;  msbs: dst=0 src0=1 src1=0 src2=0
	v_dual_fmac_f32 v234, v73 /*v329*/, v200 :: v_dual_fmac_f32 v123, v23 /*v279*/, v202
	s_set_vgpr_msb 0                        ;  msbs: dst=0 src0=0 src1=0 src2=0
	v_add_f32_e32 v93, v93, v103
	s_set_vgpr_msb 1                        ;  msbs: dst=0 src0=1 src1=0 src2=0
	v_mul_f32_e32 v103, v73 /*v329*/, v201
	s_set_vgpr_msb 0                        ;  msbs: dst=0 src0=0 src1=0 src2=0
	v_add_f32_e32 v95, v95, v231
	s_set_vgpr_msb 1                        ;  msbs: dst=0 src0=1 src1=0 src2=0
	v_dual_mov_b32 v114, v29 /*v285*/ :: v_dual_mov_b32 v115, v28 /*v284*/
	s_set_vgpr_msb 0                        ;  msbs: dst=0 src0=0 src1=0 src2=0
	v_add_f32_e32 v93, v93, v97
	s_set_vgpr_msb 1                        ;  msbs: dst=0 src0=1 src1=0 src2=0
	v_mul_f32_e32 v97, v23 /*v279*/, v203
	s_set_vgpr_msb 0                        ;  msbs: dst=0 src0=0 src1=0 src2=0
	v_add_f32_e32 v95, v95, v232
	s_wait_loadcnt 0x4
	s_set_vgpr_msb 1                        ;  msbs: dst=0 src0=1 src1=0 src2=0
	v_pk_mul_f32 v[126:127], v[26:27] /*v[282:283]*/, v[206:207] op_sel:[1,1] op_sel_hi:[0,1]
	v_dual_mov_b32 v116, v41 /*v297*/ :: v_dual_mov_b32 v117, v40 /*v296*/
	s_set_vgpr_msb 0                        ;  msbs: dst=0 src0=0 src1=0 src2=0
	v_add_f32_e32 v93, v93, v107
	s_set_vgpr_msb 1                        ;  msbs: dst=0 src0=1 src1=0 src2=0
	v_mul_f32_e32 v107, v25 /*v281*/, v205
	s_set_vgpr_msb 0                        ;  msbs: dst=0 src0=0 src1=0 src2=0
	v_dual_add_f32 v95, v95, v233 :: v_dual_mov_b32 v128, v209
	s_set_vgpr_msb 1                        ;  msbs: dst=0 src0=1 src1=0 src2=0
	v_fma_f32 v122, v22 /*v278*/, v202, -v97
	s_set_vgpr_msb 0                        ;  msbs: dst=0 src0=0 src1=0 src2=0
	v_add_f32_e32 v93, v93, v99
	s_set_vgpr_msb 1                        ;  msbs: dst=0 src0=1 src1=0 src2=0
	v_fma_f32 v99, v68 /*v324*/, v196, -v109
	s_set_vgpr_msb 0                        ;  msbs: dst=0 src0=0 src1=0 src2=0
	v_add_f32_e32 v95, v95, v124
	s_set_vgpr_msb 1                        ;  msbs: dst=0 src0=1 src1=0 src2=0
	v_dual_fmac_f32 v125, v25 /*v281*/, v204 :: v_dual_fma_f32 v124, v24 /*v280*/, v204, -v107
	s_set_vgpr_msb 0                        ;  msbs: dst=0 src0=0 src1=0 src2=0
	v_add_f32_e32 v93, v93, v101
	s_set_vgpr_msb 1                        ;  msbs: dst=0 src0=1 src1=0 src2=0
	v_fma_f32 v101, v70 /*v326*/, v198, -v105
	s_set_vgpr_msb 0                        ;  msbs: dst=0 src0=0 src1=0 src2=0
	v_add_f32_e32 v135, v95, v234
	s_set_vgpr_msb 1                        ;  msbs: dst=0 src0=1 src1=0 src2=0
	v_pk_fma_f32 v[136:137], v[26:27] /*v[282:283]*/, v[206:207], v[126:127] op_sel_hi:[1,0,1]
	s_set_vgpr_msb 0                        ;  msbs: dst=0 src0=0 src1=0 src2=0
	v_pk_mul_f32 v[114:115], v[114:115], v[128:129] op_sel_hi:[1,0]
	v_add_f32_e32 v93, v93, v99
	s_set_vgpr_msb 1                        ;  msbs: dst=0 src0=1 src1=0 src2=0
	v_fma_f32 v99, v72 /*v328*/, v200, -v103
	v_pk_fma_f32 v[126:127], v[26:27] /*v[282:283]*/, v[206:207], v[126:127] neg_lo:[0,0,1] neg_hi:[0,0,1]
	s_wait_loadcnt 0x3
	v_pk_mul_f32 v[130:131], v[38:39] /*v[294:295]*/, v[210:211] op_sel:[1,1] op_sel_hi:[0,1]
	s_set_vgpr_msb 0                        ;  msbs: dst=0 src0=0 src1=0 src2=0
	v_dual_mov_b32 v132, v213 :: v_dual_mov_b32 v127, v137
	v_add_f32_e32 v93, v93, v101
	s_set_vgpr_msb 1                        ;  msbs: dst=0 src0=1 src1=0 src2=0
	v_dual_mov_b32 v118, v61 /*v317*/ :: v_dual_mov_b32 v119, v60 /*v316*/
	s_set_vgpr_msb 0                        ;  msbs: dst=0 src0=0 src1=0 src2=0
	v_pk_mul_f32 v[116:117], v[116:117], v[132:133] op_sel_hi:[1,0]
	s_wait_loadcnt 0x2
	s_set_vgpr_msb 1                        ;  msbs: dst=0 src0=1 src1=0 src2=0
	v_pk_mul_f32 v[128:129], v[58:59] /*v[314:315]*/, v[214:215] op_sel:[1,1] op_sel_hi:[0,1]
	s_set_vgpr_msb 0                        ;  msbs: dst=0 src0=0 src1=0 src2=0
	v_add_f32_e32 v134, v93, v99
	s_set_vgpr_msb 1                        ;  msbs: dst=0 src0=1 src1=0 src2=0
	v_dual_mov_b32 v120, v65 /*v321*/ :: v_dual_mov_b32 v121, v64 /*v320*/
	v_dual_ashrrev_i32 v93, 31, v92 :: v_dual_ashrrev_i32 v95, 31, v94
	s_set_vgpr_msb 0                        ;  msbs: dst=0 src0=0 src1=0 src2=0
	v_pk_add_f32 v[122:123], v[134:135], v[122:123]
	s_set_vgpr_msb 1                        ;  msbs: dst=0 src0=1 src1=0 src2=0
	v_pk_fma_f32 v[134:135], v[28:29] /*v[284:285]*/, v[208:209], v[114:115] op_sel_hi:[1,0,1]
	v_pk_fma_f32 v[114:115], v[28:29] /*v[284:285]*/, v[208:209], v[114:115] neg_lo:[0,0,1] neg_hi:[0,0,1]
	v_dual_ashrrev_i32 v99, 31, v98 :: v_dual_ashrrev_i32 v101, 31, v100
	s_set_vgpr_msb 0                        ;  msbs: dst=0 src0=0 src1=0 src2=0
	v_pk_add_f32 v[122:123], v[122:123], v[124:125]
	s_set_vgpr_msb 1                        ;  msbs: dst=0 src0=1 src1=0 src2=0
	v_pk_fma_f32 v[124:125], v[38:39] /*v[294:295]*/, v[210:211], v[130:131] op_sel_hi:[1,0,1]
	s_set_vgpr_msb 0                        ;  msbs: dst=0 src0=0 src1=0 src2=0
	v_dual_mov_b32 v115, v135 :: v_dual_mov_b32 v124, v217
	v_dual_ashrrev_i32 v103, 31, v102 :: v_dual_ashrrev_i32 v105, 31, v104
	v_pk_add_f32 v[122:123], v[122:123], v[126:127]
	s_set_vgpr_msb 1                        ;  msbs: dst=0 src0=1 src1=0 src2=0
	v_pk_fma_f32 v[126:127], v[38:39] /*v[294:295]*/, v[210:211], v[130:131] neg_lo:[0,0,1] neg_hi:[0,0,1]
	s_set_vgpr_msb 0                        ;  msbs: dst=0 src0=0 src1=0 src2=0
	v_mov_b32_e32 v127, v125
	s_set_vgpr_msb 1                        ;  msbs: dst=0 src0=1 src1=0 src2=0
	v_pk_fma_f32 v[130:131], v[40:41] /*v[296:297]*/, v[212:213], v[116:117] op_sel_hi:[1,0,1]
	v_pk_fma_f32 v[116:117], v[40:41] /*v[296:297]*/, v[212:213], v[116:117] neg_lo:[0,0,1] neg_hi:[0,0,1]
	s_set_vgpr_msb 0                        ;  msbs: dst=0 src0=0 src1=0 src2=0
	v_pk_add_f32 v[114:115], v[122:123], v[114:115]
	s_set_vgpr_msb 1                        ;  msbs: dst=0 src0=1 src1=0 src2=0
	v_pk_fma_f32 v[122:123], v[58:59] /*v[314:315]*/, v[214:215], v[128:129] op_sel_hi:[1,0,1]
	s_set_vgpr_msb 0                        ;  msbs: dst=0 src0=0 src1=0 src2=0
	v_pk_mul_f32 v[118:119], v[118:119], v[124:125] op_sel_hi:[1,0]
	v_mov_b32_e32 v117, v131
	s_wait_loadcnt 0x1
	s_set_vgpr_msb 5                        ;  msbs: dst=0 src0=1 src1=1 src2=0
	v_pk_mul_f32 v[124:125], v[62:63] /*v[318:319]*/, v[18:19] /*v[274:275]*/ op_sel:[1,1] op_sel_hi:[0,1]
	s_set_vgpr_msb 0                        ;  msbs: dst=0 src0=0 src1=0 src2=0
	v_pk_add_f32 v[114:115], v[114:115], v[126:127]
	s_set_vgpr_msb 1                        ;  msbs: dst=0 src0=1 src1=0 src2=0
	v_pk_fma_f32 v[126:127], v[58:59] /*v[314:315]*/, v[214:215], v[128:129] neg_lo:[0,0,1] neg_hi:[0,0,1]
	s_set_vgpr_msb 0                        ;  msbs: dst=0 src0=0 src1=0 src2=0
	v_mov_b32_e32 v127, v123
	s_set_vgpr_msb 1                        ;  msbs: dst=0 src0=1 src1=0 src2=0
	v_pk_fma_f32 v[122:123], v[60:61] /*v[316:317]*/, v[216:217], v[118:119] op_sel_hi:[1,0,1]
	v_pk_fma_f32 v[118:119], v[60:61] /*v[316:317]*/, v[216:217], v[118:119] neg_lo:[0,0,1] neg_hi:[0,0,1]
	s_set_vgpr_msb 0                        ;  msbs: dst=0 src0=0 src1=0 src2=0
	v_pk_add_f32 v[114:115], v[114:115], v[116:117]
	s_set_vgpr_msb 5                        ;  msbs: dst=0 src0=1 src1=1 src2=0
	v_mov_b32_e32 v116, v21 /*v277*/
	v_pk_fma_f32 v[128:129], v[62:63] /*v[318:319]*/, v[18:19] /*v[274:275]*/, v[124:125] op_sel_hi:[1,0,1]
	s_set_vgpr_msb 0                        ;  msbs: dst=0 src0=0 src1=0 src2=0
	v_dual_mov_b32 v119, v123 :: v_dual_ashrrev_i32 v107, 31, v106
	v_ashrrev_i32_e32 v109, 31, v108
	v_pk_add_f32 v[114:115], v[114:115], v[126:127]
	v_pk_mul_f32 v[116:117], v[120:121], v[116:117] op_sel_hi:[1,0]
	s_set_vgpr_msb 5                        ;  msbs: dst=0 src0=1 src1=1 src2=0
	v_pk_fma_f32 v[120:121], v[62:63] /*v[318:319]*/, v[18:19] /*v[274:275]*/, v[124:125] neg_lo:[0,0,1] neg_hi:[0,0,1]
	s_set_vgpr_msb 0                        ;  msbs: dst=0 src0=0 src1=0 src2=0
	v_dual_mov_b32 v121, v129 :: v_dual_ashrrev_i32 v111, 31, v110
	v_ashrrev_i32_e32 v113, 31, v112
	v_pk_add_f32 v[114:115], v[114:115], v[118:119]
	s_set_vgpr_msb 5                        ;  msbs: dst=0 src0=1 src1=1 src2=0
	v_pk_fma_f32 v[118:119], v[64:65] /*v[320:321]*/, v[20:21] /*v[276:277]*/, v[116:117] op_sel_hi:[1,0,1]
	v_pk_fma_f32 v[116:117], v[64:65] /*v[320:321]*/, v[20:21] /*v[276:277]*/, v[116:117] neg_lo:[0,0,1] neg_hi:[0,0,1]
	s_set_vgpr_msb 0                        ;  msbs: dst=0 src0=0 src1=0 src2=0
	v_ashrrev_i32_e32 v97, 31, v96
	v_pk_add_f32 v[114:115], v[114:115], v[120:121]
	v_mov_b32_e32 v117, v119
	s_delay_alu instid0(VALU_DEP_1) | instskip(SKIP_2) | instid1(VALU_DEP_1)
	v_pk_add_f32 v[114:115], v[114:115], v[116:117]
	s_wait_loadcnt 0x0
	s_set_vgpr_msb 1                        ;  msbs: dst=0 src0=1 src1=0 src2=0
	v_pk_add_f32 v[114:115], v[74:75] /*v[330:331]*/, v[114:115] neg_lo:[0,1] neg_hi:[0,1]
	scratch_store_b64 off, v[114:115], off offset:8
	s_wait_xcnt 0x0
	v_cmpx_ne_u32_e32 0, v0
	s_set_vgpr_msb 0                        ;  msbs: dst=0 src0=0 src1=0 src2=0
	s_cbranch_execz .LBB119_349
; %bb.348:
	scratch_load_b64 v[114:115], off, off
	v_mov_b64_e32 v[116:117], 0
	scratch_store_b64 off, v[116:117], off
	s_wait_loadcnt 0x0
	ds_store_b64 v1, v[114:115]
.LBB119_349:
	s_wait_xcnt 0x0
	s_or_b32 exec_lo, exec_lo, s0
	s_wait_storecnt_dscnt 0x0
	s_barrier_signal -1
	s_barrier_wait -1
	s_clause 0x7
	scratch_load_b128 v[118:121], off, off offset:8
	scratch_load_b128 v[126:129], off, off offset:24
	;; [unrolled: 1-line block ×8, first 2 shown]
	v_mov_b32_e32 v0, 0
	s_clause 0x3
	scratch_load_b128 v[182:185], off, off offset:136
	scratch_load_b128 v[190:193], off, off offset:152
	;; [unrolled: 1-line block ×4, first 2 shown]
	ds_load_2addr_b64 v[114:117], v0 offset0:57 offset1:58
	s_clause 0xc
	scratch_load_b128 v[214:217], off, off offset:200
	scratch_load_b128 v[222:225], off, off offset:216
	;; [unrolled: 1-line block ×6, first 2 shown]
	s_set_vgpr_msb 64                       ;  msbs: dst=1 src0=0 src1=0 src2=0
	scratch_load_b128 v[6:9] /*v[262:265]*/, off, off offset:296
	scratch_load_b128 v[14:17] /*v[270:273]*/, off, off offset:312
	;; [unrolled: 1-line block ×6, first 2 shown]
	s_and_b32 vcc_lo, exec_lo, s12
	s_wait_loadcnt_dscnt 0x1700
	s_set_vgpr_msb 0                        ;  msbs: dst=0 src0=0 src1=0 src2=0
	v_dual_mul_f32 v1, v114, v119 :: v_dual_mul_f32 v122, v116, v121
	s_delay_alu instid0(VALU_DEP_1) | instskip(NEXT) | instid1(VALU_DEP_1)
	v_dual_fmac_f32 v1, v115, v118 :: v_dual_fmac_f32 v122, v117, v120
	v_add_f32_e32 v1, 0, v1
	s_delay_alu instid0(VALU_DEP_1) | instskip(SKIP_3) | instid1(VALU_DEP_1)
	v_add_f32_e32 v1, v1, v122
	ds_load_2addr_b64 v[122:125], v0 offset0:59 offset1:60
	s_wait_loadcnt_dscnt 0x1600
	v_mul_f32_e32 v130, v122, v127
	v_fmac_f32_e32 v130, v123, v126
	s_delay_alu instid0(VALU_DEP_1) | instskip(NEXT) | instid1(VALU_DEP_1)
	v_dual_add_f32 v1, v1, v130 :: v_dual_mul_f32 v130, v124, v129
	v_fmac_f32_e32 v130, v125, v128
	s_delay_alu instid0(VALU_DEP_1) | instskip(SKIP_3) | instid1(VALU_DEP_1)
	v_add_f32_e32 v1, v1, v130
	ds_load_2addr_b64 v[130:133], v0 offset0:61 offset1:62
	s_wait_loadcnt_dscnt 0x1500
	v_mul_f32_e32 v138, v130, v135
	v_fmac_f32_e32 v138, v131, v134
	s_delay_alu instid0(VALU_DEP_1) | instskip(NEXT) | instid1(VALU_DEP_1)
	v_dual_add_f32 v1, v1, v138 :: v_dual_mul_f32 v138, v132, v137
	v_fmac_f32_e32 v138, v133, v136
	s_delay_alu instid0(VALU_DEP_1) | instskip(SKIP_3) | instid1(VALU_DEP_1)
	v_add_f32_e32 v1, v1, v138
	ds_load_2addr_b64 v[138:141], v0 offset0:63 offset1:64
	s_wait_loadcnt_dscnt 0x1400
	v_mul_f32_e32 v146, v138, v143
	v_fmac_f32_e32 v146, v139, v142
	s_delay_alu instid0(VALU_DEP_1) | instskip(NEXT) | instid1(VALU_DEP_1)
	v_dual_add_f32 v1, v1, v146 :: v_dual_mul_f32 v146, v140, v145
	v_fmac_f32_e32 v146, v141, v144
	s_delay_alu instid0(VALU_DEP_1) | instskip(SKIP_3) | instid1(VALU_DEP_1)
	v_add_f32_e32 v1, v1, v146
	ds_load_2addr_b64 v[146:149], v0 offset0:65 offset1:66
	s_wait_loadcnt_dscnt 0x1300
	v_mul_f32_e32 v154, v146, v151
	v_fmac_f32_e32 v154, v147, v150
	s_delay_alu instid0(VALU_DEP_1) | instskip(NEXT) | instid1(VALU_DEP_1)
	v_dual_add_f32 v1, v1, v154 :: v_dual_mul_f32 v154, v148, v153
	v_fmac_f32_e32 v154, v149, v152
	s_delay_alu instid0(VALU_DEP_1) | instskip(SKIP_3) | instid1(VALU_DEP_1)
	v_add_f32_e32 v1, v1, v154
	ds_load_2addr_b64 v[154:157], v0 offset0:67 offset1:68
	s_wait_loadcnt_dscnt 0x1200
	v_mul_f32_e32 v162, v154, v159
	v_fmac_f32_e32 v162, v155, v158
	s_delay_alu instid0(VALU_DEP_1) | instskip(NEXT) | instid1(VALU_DEP_1)
	v_dual_add_f32 v1, v1, v162 :: v_dual_mul_f32 v162, v156, v161
	v_fmac_f32_e32 v162, v157, v160
	s_delay_alu instid0(VALU_DEP_1) | instskip(SKIP_3) | instid1(VALU_DEP_1)
	v_add_f32_e32 v1, v1, v162
	ds_load_2addr_b64 v[162:165], v0 offset0:69 offset1:70
	s_wait_loadcnt_dscnt 0x1100
	v_mul_f32_e32 v170, v162, v167
	v_fmac_f32_e32 v170, v163, v166
	s_delay_alu instid0(VALU_DEP_1) | instskip(NEXT) | instid1(VALU_DEP_1)
	v_dual_add_f32 v1, v1, v170 :: v_dual_mul_f32 v170, v164, v169
	v_fmac_f32_e32 v170, v165, v168
	s_delay_alu instid0(VALU_DEP_1) | instskip(SKIP_3) | instid1(VALU_DEP_1)
	v_add_f32_e32 v1, v1, v170
	ds_load_2addr_b64 v[170:173], v0 offset0:71 offset1:72
	s_wait_loadcnt_dscnt 0x1000
	v_mul_f32_e32 v178, v170, v175
	v_fmac_f32_e32 v178, v171, v174
	s_delay_alu instid0(VALU_DEP_1) | instskip(NEXT) | instid1(VALU_DEP_1)
	v_dual_add_f32 v1, v1, v178 :: v_dual_mul_f32 v178, v172, v177
	v_fmac_f32_e32 v178, v173, v176
	s_delay_alu instid0(VALU_DEP_1) | instskip(SKIP_3) | instid1(VALU_DEP_1)
	v_add_f32_e32 v1, v1, v178
	ds_load_2addr_b64 v[178:181], v0 offset0:73 offset1:74
	s_wait_loadcnt_dscnt 0xf00
	v_mul_f32_e32 v186, v178, v183
	v_fmac_f32_e32 v186, v179, v182
	s_delay_alu instid0(VALU_DEP_1) | instskip(NEXT) | instid1(VALU_DEP_1)
	v_dual_add_f32 v1, v1, v186 :: v_dual_mul_f32 v186, v180, v185
	v_fmac_f32_e32 v186, v181, v184
	s_delay_alu instid0(VALU_DEP_1) | instskip(SKIP_3) | instid1(VALU_DEP_1)
	v_add_f32_e32 v1, v1, v186
	ds_load_2addr_b64 v[186:189], v0 offset0:75 offset1:76
	s_wait_loadcnt_dscnt 0xe00
	v_mul_f32_e32 v194, v186, v191
	v_fmac_f32_e32 v194, v187, v190
	s_delay_alu instid0(VALU_DEP_1) | instskip(NEXT) | instid1(VALU_DEP_1)
	v_dual_add_f32 v1, v1, v194 :: v_dual_mul_f32 v194, v188, v193
	v_fmac_f32_e32 v194, v189, v192
	s_delay_alu instid0(VALU_DEP_1) | instskip(SKIP_3) | instid1(VALU_DEP_1)
	v_add_f32_e32 v1, v1, v194
	ds_load_2addr_b64 v[194:197], v0 offset0:77 offset1:78
	s_wait_loadcnt_dscnt 0xd00
	v_mul_f32_e32 v202, v194, v199
	v_fmac_f32_e32 v202, v195, v198
	s_delay_alu instid0(VALU_DEP_1) | instskip(NEXT) | instid1(VALU_DEP_1)
	v_dual_add_f32 v1, v1, v202 :: v_dual_mul_f32 v202, v196, v201
	v_fmac_f32_e32 v202, v197, v200
	s_delay_alu instid0(VALU_DEP_1) | instskip(SKIP_3) | instid1(VALU_DEP_1)
	v_add_f32_e32 v1, v1, v202
	ds_load_2addr_b64 v[202:205], v0 offset0:79 offset1:80
	s_wait_loadcnt_dscnt 0xc00
	v_mul_f32_e32 v210, v202, v207
	v_fmac_f32_e32 v210, v203, v206
	s_delay_alu instid0(VALU_DEP_1) | instskip(NEXT) | instid1(VALU_DEP_1)
	v_dual_add_f32 v1, v1, v210 :: v_dual_mul_f32 v210, v204, v209
	v_fmac_f32_e32 v210, v205, v208
	s_delay_alu instid0(VALU_DEP_1) | instskip(SKIP_3) | instid1(VALU_DEP_1)
	v_add_f32_e32 v1, v1, v210
	ds_load_2addr_b64 v[210:213], v0 offset0:81 offset1:82
	s_wait_loadcnt_dscnt 0xb00
	v_mul_f32_e32 v218, v210, v215
	v_fmac_f32_e32 v218, v211, v214
	s_delay_alu instid0(VALU_DEP_1) | instskip(NEXT) | instid1(VALU_DEP_1)
	v_dual_add_f32 v1, v1, v218 :: v_dual_mul_f32 v218, v212, v217
	v_fmac_f32_e32 v218, v213, v216
	s_delay_alu instid0(VALU_DEP_1) | instskip(SKIP_3) | instid1(VALU_DEP_1)
	v_add_f32_e32 v1, v1, v218
	ds_load_2addr_b64 v[218:221], v0 offset0:83 offset1:84
	s_wait_loadcnt_dscnt 0xa00
	v_mul_f32_e32 v226, v218, v223
	v_fmac_f32_e32 v226, v219, v222
	s_delay_alu instid0(VALU_DEP_1) | instskip(NEXT) | instid1(VALU_DEP_1)
	v_dual_add_f32 v1, v1, v226 :: v_dual_mul_f32 v226, v220, v225
	v_fmac_f32_e32 v226, v221, v224
	s_delay_alu instid0(VALU_DEP_1) | instskip(SKIP_3) | instid1(VALU_DEP_1)
	v_add_f32_e32 v1, v1, v226
	ds_load_2addr_b64 v[226:229], v0 offset0:85 offset1:86
	s_wait_loadcnt_dscnt 0x900
	v_mul_f32_e32 v234, v226, v231
	v_fmac_f32_e32 v234, v227, v230
	s_delay_alu instid0(VALU_DEP_1) | instskip(NEXT) | instid1(VALU_DEP_1)
	v_dual_add_f32 v1, v1, v234 :: v_dual_mul_f32 v234, v228, v233
	v_fmac_f32_e32 v234, v229, v232
	s_delay_alu instid0(VALU_DEP_1) | instskip(SKIP_3) | instid1(VALU_DEP_1)
	v_add_f32_e32 v1, v1, v234
	ds_load_2addr_b64 v[234:237], v0 offset0:87 offset1:88
	s_wait_loadcnt_dscnt 0x800
	v_mul_f32_e32 v242, v234, v239
	v_fmac_f32_e32 v242, v235, v238
	s_delay_alu instid0(VALU_DEP_1) | instskip(NEXT) | instid1(VALU_DEP_1)
	v_dual_add_f32 v1, v1, v242 :: v_dual_mul_f32 v242, v236, v241
	v_fmac_f32_e32 v242, v237, v240
	s_delay_alu instid0(VALU_DEP_1) | instskip(SKIP_3) | instid1(VALU_DEP_1)
	v_add_f32_e32 v1, v1, v242
	ds_load_2addr_b64 v[242:245], v0 offset0:89 offset1:90
	s_wait_loadcnt_dscnt 0x700
	v_mul_f32_e32 v250, v242, v247
	v_fmac_f32_e32 v250, v243, v246
	s_delay_alu instid0(VALU_DEP_1) | instskip(NEXT) | instid1(VALU_DEP_1)
	v_dual_add_f32 v1, v1, v250 :: v_dual_mul_f32 v250, v244, v249
	v_fmac_f32_e32 v250, v245, v248
	s_delay_alu instid0(VALU_DEP_1) | instskip(SKIP_4) | instid1(VALU_DEP_1)
	v_add_f32_e32 v1, v1, v250
	ds_load_2addr_b64 v[250:253], v0 offset0:91 offset1:92
	s_wait_loadcnt_dscnt 0x600
	s_set_vgpr_msb 64                       ;  msbs: dst=1 src0=0 src1=0 src2=0
	v_mul_f32_e32 v2 /*v258*/, v250, v255
	v_fmac_f32_e32 v2 /*v258*/, v251, v254
	s_set_vgpr_msb 4                        ;  msbs: dst=0 src0=0 src1=1 src2=0
	s_delay_alu instid0(VALU_DEP_1) | instskip(SKIP_2) | instid1(VALU_DEP_1)
	v_add_f32_e32 v1, v1, v2 /*v258*/
	s_set_vgpr_msb 0x44                     ;  msbs: dst=1 src0=0 src1=1 src2=0
	v_mul_f32_e32 v2 /*v258*/, v252, v1 /*v257*/
	v_fmac_f32_e32 v2 /*v258*/, v253, v0 /*v256*/
	s_set_vgpr_msb 4                        ;  msbs: dst=0 src0=0 src1=1 src2=0
	s_delay_alu instid0(VALU_DEP_1)
	v_add_f32_e32 v1, v1, v2 /*v258*/
	s_set_vgpr_msb 64                       ;  msbs: dst=1 src0=0 src1=0 src2=0
	ds_load_2addr_b64 v[2:5] /*v[258:261]*/, v0 offset0:93 offset1:94
	s_wait_loadcnt_dscnt 0x500
	s_set_vgpr_msb 0x45                     ;  msbs: dst=1 src0=1 src1=1 src2=0
	v_mul_f32_e32 v10 /*v266*/, v2 /*v258*/, v7 /*v263*/
	s_delay_alu instid0(VALU_DEP_1) | instskip(SKIP_1) | instid1(VALU_DEP_1)
	v_fmac_f32_e32 v10 /*v266*/, v3 /*v259*/, v6 /*v262*/
	s_set_vgpr_msb 4                        ;  msbs: dst=0 src0=0 src1=1 src2=0
	v_add_f32_e32 v1, v1, v10 /*v266*/
	s_set_vgpr_msb 0x45                     ;  msbs: dst=1 src0=1 src1=1 src2=0
	v_mul_f32_e32 v10 /*v266*/, v4 /*v260*/, v9 /*v265*/
	s_delay_alu instid0(VALU_DEP_1) | instskip(SKIP_1) | instid1(VALU_DEP_1)
	v_fmac_f32_e32 v10 /*v266*/, v5 /*v261*/, v8 /*v264*/
	s_set_vgpr_msb 4                        ;  msbs: dst=0 src0=0 src1=1 src2=0
	v_add_f32_e32 v1, v1, v10 /*v266*/
	s_set_vgpr_msb 64                       ;  msbs: dst=1 src0=0 src1=0 src2=0
	ds_load_2addr_b64 v[10:13] /*v[266:269]*/, v0 offset0:95 offset1:96
	s_wait_loadcnt_dscnt 0x400
	s_set_vgpr_msb 0x45                     ;  msbs: dst=1 src0=1 src1=1 src2=0
	v_mul_f32_e32 v18 /*v274*/, v10 /*v266*/, v15 /*v271*/
	s_delay_alu instid0(VALU_DEP_1) | instskip(SKIP_1) | instid1(VALU_DEP_1)
	v_fmac_f32_e32 v18 /*v274*/, v11 /*v267*/, v14 /*v270*/
	s_set_vgpr_msb 4                        ;  msbs: dst=0 src0=0 src1=1 src2=0
	v_add_f32_e32 v1, v1, v18 /*v274*/
	s_set_vgpr_msb 0x45                     ;  msbs: dst=1 src0=1 src1=1 src2=0
	v_mul_f32_e32 v18 /*v274*/, v12 /*v268*/, v17 /*v273*/
	s_delay_alu instid0(VALU_DEP_1) | instskip(SKIP_1) | instid1(VALU_DEP_1)
	v_fmac_f32_e32 v18 /*v274*/, v13 /*v269*/, v16 /*v272*/
	s_set_vgpr_msb 4                        ;  msbs: dst=0 src0=0 src1=1 src2=0
	;; [unrolled: 15-line block ×4, first 2 shown]
	v_add_f32_e32 v1, v1, v34 /*v290*/
	s_set_vgpr_msb 64                       ;  msbs: dst=1 src0=0 src1=0 src2=0
	ds_load_2addr_b64 v[34:37] /*v[290:293]*/, v0 offset0:101 offset1:102
	s_wait_loadcnt_dscnt 0x100
	s_set_vgpr_msb 0x45                     ;  msbs: dst=1 src0=1 src1=1 src2=0
	v_dual_mul_f32 v65 /*v321*/, v36 /*v292*/, v41 /*v297*/ :: v_dual_mul_f32 v42 /*v298*/, v34 /*v290*/, v39 /*v295*/
	s_delay_alu instid0(VALU_DEP_1) | instskip(SKIP_1) | instid1(VALU_DEP_1)
	v_dual_fmac_f32 v65 /*v321*/, v37 /*v293*/, v40 /*v296*/ :: v_dual_fmac_f32 v42 /*v298*/, v35 /*v291*/, v38 /*v294*/
	s_set_vgpr_msb 0x44                     ;  msbs: dst=1 src0=0 src1=1 src2=0
	v_add_f32_e32 v63 /*v319*/, v1, v42 /*v298*/
	s_set_vgpr_msb 0                        ;  msbs: dst=0 src0=0 src1=0 src2=0
	v_mul_f32_e32 v1, v115, v119
	s_set_vgpr_msb 64                       ;  msbs: dst=1 src0=0 src1=0 src2=0
	ds_load_2addr_b64 v[42:45] /*v[298:301]*/, v0 offset0:103 offset1:104
	s_clause 0x3
	scratch_load_b128 v[50:53] /*v[306:309]*/, off, off offset:392
	scratch_load_b128 v[54:57] /*v[310:313]*/, off, off offset:408
	;; [unrolled: 1-line block ×3, first 2 shown]
	scratch_load_b64 v[68:69] /*v[324:325]*/, off, off offset:440
	s_set_vgpr_msb 0                        ;  msbs: dst=0 src0=0 src1=0 src2=0
	v_dual_fma_f32 v1, v114, v118, -v1 :: v_dual_mul_f32 v114, v117, v121
	s_delay_alu instid0(VALU_DEP_1) | instskip(NEXT) | instid1(VALU_DEP_1)
	v_dual_add_f32 v1, 0, v1 :: v_dual_fma_f32 v114, v116, v120, -v114
	v_dual_add_f32 v1, v1, v114 :: v_dual_mul_f32 v114, v123, v127
	s_delay_alu instid0(VALU_DEP_1) | instskip(NEXT) | instid1(VALU_DEP_1)
	v_fma_f32 v114, v122, v126, -v114
	v_add_f32_e32 v1, v1, v114
	v_mul_f32_e32 v114, v125, v129
	s_delay_alu instid0(VALU_DEP_1) | instskip(NEXT) | instid1(VALU_DEP_1)
	v_fma_f32 v114, v124, v128, -v114
	v_dual_add_f32 v1, v1, v114 :: v_dual_mul_f32 v114, v131, v135
	s_wait_dscnt 0x0
	s_set_vgpr_msb 1                        ;  msbs: dst=0 src0=1 src1=0 src2=0
	v_mov_b32_e32 v131, v44 /*v300*/
	s_set_vgpr_msb 0                        ;  msbs: dst=0 src0=0 src1=0 src2=0
	v_fma_f32 v114, v130, v134, -v114
	s_set_vgpr_msb 1                        ;  msbs: dst=0 src0=1 src1=0 src2=0
	v_mov_b32_e32 v130, v45 /*v301*/
	s_set_vgpr_msb 0                        ;  msbs: dst=0 src0=0 src1=0 src2=0
	s_delay_alu instid0(VALU_DEP_2) | instskip(SKIP_1) | instid1(VALU_DEP_1)
	v_add_f32_e32 v1, v1, v114
	v_mul_f32_e32 v114, v133, v137
	v_fma_f32 v114, v132, v136, -v114
	s_wait_loadcnt 0x4
	s_set_vgpr_msb 1                        ;  msbs: dst=0 src0=1 src1=0 src2=0
	v_mov_b32_e32 v132, v49 /*v305*/
	s_set_vgpr_msb 0                        ;  msbs: dst=0 src0=0 src1=0 src2=0
	v_dual_add_f32 v1, v1, v114 :: v_dual_mul_f32 v114, v139, v143
	s_delay_alu instid0(VALU_DEP_2) | instskip(NEXT) | instid1(VALU_DEP_2)
	v_pk_mul_f32 v[130:131], v[130:131], v[132:133] op_sel_hi:[1,0]
	v_fma_f32 v114, v138, v142, -v114
	s_set_vgpr_msb 5                        ;  msbs: dst=0 src0=1 src1=1 src2=0
	s_delay_alu instid0(VALU_DEP_2) | instskip(SKIP_3) | instid1(VALU_DEP_2)
	v_pk_fma_f32 v[132:133], v[44:45] /*v[300:301]*/, v[48:49] /*v[304:305]*/, v[130:131] neg_lo:[0,0,1] neg_hi:[0,0,1]
	v_pk_fma_f32 v[130:131], v[44:45] /*v[300:301]*/, v[48:49] /*v[304:305]*/, v[130:131] op_sel_hi:[1,0,1]
	s_set_vgpr_msb 0                        ;  msbs: dst=0 src0=0 src1=0 src2=0
	v_add_f32_e32 v1, v1, v114
	v_dual_mul_f32 v114, v141, v145 :: v_dual_mov_b32 v133, v131
	s_delay_alu instid0(VALU_DEP_1) | instskip(NEXT) | instid1(VALU_DEP_1)
	v_fma_f32 v114, v140, v144, -v114
	v_dual_add_f32 v1, v1, v114 :: v_dual_mul_f32 v114, v147, v151
	s_delay_alu instid0(VALU_DEP_1) | instskip(NEXT) | instid1(VALU_DEP_1)
	v_fma_f32 v114, v146, v150, -v114
	v_add_f32_e32 v1, v1, v114
	v_mul_f32_e32 v114, v149, v153
	s_delay_alu instid0(VALU_DEP_1) | instskip(NEXT) | instid1(VALU_DEP_1)
	v_fma_f32 v114, v148, v152, -v114
	v_dual_add_f32 v1, v1, v114 :: v_dual_mul_f32 v114, v155, v159
	s_delay_alu instid0(VALU_DEP_1) | instskip(NEXT) | instid1(VALU_DEP_1)
	v_fma_f32 v114, v154, v158, -v114
	v_add_f32_e32 v1, v1, v114
	v_mul_f32_e32 v114, v157, v161
	;; [unrolled: 7-line block ×13, first 2 shown]
	s_delay_alu instid0(VALU_DEP_1) | instskip(NEXT) | instid1(VALU_DEP_1)
	v_fma_f32 v114, v244, v248, -v114
	v_dual_add_f32 v1, v1, v114 :: v_dual_mul_f32 v114, v251, v255
	s_delay_alu instid0(VALU_DEP_1) | instskip(NEXT) | instid1(VALU_DEP_1)
	v_fma_f32 v114, v250, v254, -v114
	v_add_f32_e32 v1, v1, v114
	s_set_vgpr_msb 4                        ;  msbs: dst=0 src0=0 src1=1 src2=0
	v_mul_f32_e32 v114, v253, v1 /*v257*/
	s_delay_alu instid0(VALU_DEP_1) | instskip(SKIP_1) | instid1(VALU_DEP_1)
	v_fma_f32 v114, v252, v0 /*v256*/, -v114
	s_set_vgpr_msb 0                        ;  msbs: dst=0 src0=0 src1=0 src2=0
	v_add_f32_e32 v1, v1, v114
	s_set_vgpr_msb 5                        ;  msbs: dst=0 src0=1 src1=1 src2=0
	v_mul_f32_e32 v114, v3 /*v259*/, v7 /*v263*/
	s_delay_alu instid0(VALU_DEP_1) | instskip(SKIP_1) | instid1(VALU_DEP_1)
	v_fma_f32 v114, v2 /*v258*/, v6 /*v262*/, -v114
	s_set_vgpr_msb 0                        ;  msbs: dst=0 src0=0 src1=0 src2=0
	v_add_f32_e32 v1, v1, v114
	s_set_vgpr_msb 5                        ;  msbs: dst=0 src0=1 src1=1 src2=0
	v_mul_f32_e32 v114, v5 /*v261*/, v9 /*v265*/
	s_delay_alu instid0(VALU_DEP_1) | instskip(SKIP_1) | instid1(VALU_DEP_1)
	v_fma_f32 v114, v4 /*v260*/, v8 /*v264*/, -v114
	;; [unrolled: 6-line block ×9, first 2 shown]
	s_set_vgpr_msb 64                       ;  msbs: dst=1 src0=0 src1=0 src2=0
	v_add_f32_e32 v62 /*v318*/, v1, v114
	s_set_vgpr_msb 0                        ;  msbs: dst=0 src0=0 src1=0 src2=0
	ds_load_2addr_b64 v[114:117], v0 offset0:105 offset1:106
	ds_load_2addr_b64 v[118:121], v0 offset0:107 offset1:108
	;; [unrolled: 1-line block ×3, first 2 shown]
	ds_load_b64 v[126:127], v0 offset:888
	s_set_vgpr_msb 5                        ;  msbs: dst=0 src0=1 src1=1 src2=0
	v_mul_f32_e32 v1, v37 /*v293*/, v41 /*v297*/
	s_set_vgpr_msb 0x45                     ;  msbs: dst=1 src0=1 src1=1 src2=0
	s_delay_alu instid0(VALU_DEP_1) | instskip(SKIP_3) | instid1(VALU_DEP_2)
	v_dual_mul_f32 v67 /*v323*/, v42 /*v298*/, v47 /*v303*/ :: v_dual_fma_f32 v64 /*v320*/, v36 /*v292*/, v40 /*v296*/, -v1
	s_set_vgpr_msb 5                        ;  msbs: dst=0 src0=1 src1=1 src2=0
	v_mul_f32_e32 v1, v43 /*v299*/, v47 /*v303*/
	s_set_vgpr_msb 0x45                     ;  msbs: dst=1 src0=1 src1=1 src2=0
	v_fmac_f32_e32 v67 /*v323*/, v43 /*v299*/, v46 /*v302*/
	s_set_vgpr_msb 5                        ;  msbs: dst=0 src0=1 src1=1 src2=0
	v_pk_add_f32 v[128:129], v[62:63] /*v[318:319]*/, v[64:65] /*v[320:321]*/
	s_set_vgpr_msb 0x45                     ;  msbs: dst=1 src0=1 src1=1 src2=0
	v_fma_f32 v66 /*v322*/, v42 /*v298*/, v46 /*v302*/, -v1
	s_set_vgpr_msb 4                        ;  msbs: dst=0 src0=0 src1=1 src2=0
	s_delay_alu instid0(VALU_DEP_1) | instskip(SKIP_3) | instid1(VALU_DEP_2)
	v_pk_add_f32 v[128:129], v[128:129], v[66:67] /*v[322:323]*/
	s_wait_loadcnt_dscnt 0x303
	v_pk_mul_f32 v[130:131], v[114:115], v[50:51] /*v[306:307]*/ op_sel:[1,1] op_sel_hi:[0,1]
	s_set_vgpr_msb 0                        ;  msbs: dst=0 src0=0 src1=0 src2=0
	v_pk_add_f32 v[128:129], v[128:129], v[132:133]
	s_set_vgpr_msb 4                        ;  msbs: dst=0 src0=0 src1=1 src2=0
	s_delay_alu instid0(VALU_DEP_2) | instskip(SKIP_4) | instid1(VALU_DEP_2)
	v_pk_fma_f32 v[132:133], v[114:115], v[50:51] /*v[306:307]*/, v[130:131] neg_lo:[0,0,1] neg_hi:[0,0,1]
	v_pk_fma_f32 v[114:115], v[114:115], v[50:51] /*v[306:307]*/, v[130:131] op_sel_hi:[1,0,1]
	s_set_vgpr_msb 1                        ;  msbs: dst=0 src0=1 src1=0 src2=0
	v_mov_b32_e32 v130, v53 /*v309*/
	s_set_vgpr_msb 0                        ;  msbs: dst=0 src0=0 src1=0 src2=0
	v_mov_b32_e32 v133, v115
	s_delay_alu instid0(VALU_DEP_1) | instskip(SKIP_1) | instid1(VALU_DEP_1)
	v_pk_add_f32 v[114:115], v[128:129], v[132:133]
	v_dual_mov_b32 v128, v117 :: v_dual_mov_b32 v129, v116
	v_pk_mul_f32 v[128:129], v[128:129], v[130:131] op_sel_hi:[1,0]
	s_set_vgpr_msb 4                        ;  msbs: dst=0 src0=0 src1=1 src2=0
	s_delay_alu instid0(VALU_DEP_1) | instskip(SKIP_1) | instid1(VALU_DEP_1)
	v_pk_fma_f32 v[130:131], v[116:117], v[52:53] /*v[308:309]*/, v[128:129] neg_lo:[0,0,1] neg_hi:[0,0,1]
	v_pk_fma_f32 v[116:117], v[116:117], v[52:53] /*v[308:309]*/, v[128:129] op_sel_hi:[1,0,1]
	v_mov_b32_e32 v131, v117
	s_wait_loadcnt_dscnt 0x202
	v_pk_mul_f32 v[116:117], v[118:119], v[54:55] /*v[310:311]*/ op_sel:[1,1] op_sel_hi:[0,1]
	s_set_vgpr_msb 0                        ;  msbs: dst=0 src0=0 src1=0 src2=0
	s_delay_alu instid0(VALU_DEP_2) | instskip(SKIP_1) | instid1(VALU_DEP_2)
	v_pk_add_f32 v[114:115], v[114:115], v[130:131]
	s_set_vgpr_msb 4                        ;  msbs: dst=0 src0=0 src1=1 src2=0
	v_pk_fma_f32 v[128:129], v[118:119], v[54:55] /*v[310:311]*/, v[116:117] neg_lo:[0,0,1] neg_hi:[0,0,1]
	v_pk_fma_f32 v[116:117], v[118:119], v[54:55] /*v[310:311]*/, v[116:117] op_sel_hi:[1,0,1]
	v_mov_b32_e32 v116, v121
	s_set_vgpr_msb 1                        ;  msbs: dst=0 src0=1 src1=0 src2=0
	v_mov_b32_e32 v118, v57 /*v313*/
	s_set_vgpr_msb 0                        ;  msbs: dst=0 src0=0 src1=0 src2=0
	v_dual_mov_b32 v129, v117 :: v_dual_mov_b32 v117, v120
	s_delay_alu instid0(VALU_DEP_1) | instskip(NEXT) | instid1(VALU_DEP_2)
	v_pk_add_f32 v[114:115], v[114:115], v[128:129]
	v_pk_mul_f32 v[116:117], v[116:117], v[118:119] op_sel_hi:[1,0]
	s_set_vgpr_msb 4                        ;  msbs: dst=0 src0=0 src1=1 src2=0
	s_delay_alu instid0(VALU_DEP_1) | instskip(SKIP_1) | instid1(VALU_DEP_1)
	v_pk_fma_f32 v[118:119], v[120:121], v[56:57] /*v[312:313]*/, v[116:117] neg_lo:[0,0,1] neg_hi:[0,0,1]
	v_pk_fma_f32 v[116:117], v[120:121], v[56:57] /*v[312:313]*/, v[116:117] op_sel_hi:[1,0,1]
	v_mov_b32_e32 v119, v117
	s_wait_loadcnt_dscnt 0x101
	v_pk_mul_f32 v[116:117], v[122:123], v[58:59] /*v[314:315]*/ op_sel:[1,1] op_sel_hi:[0,1]
	s_set_vgpr_msb 0                        ;  msbs: dst=0 src0=0 src1=0 src2=0
	s_delay_alu instid0(VALU_DEP_2) | instskip(SKIP_1) | instid1(VALU_DEP_2)
	v_pk_add_f32 v[114:115], v[114:115], v[118:119]
	s_set_vgpr_msb 4                        ;  msbs: dst=0 src0=0 src1=1 src2=0
	v_pk_fma_f32 v[118:119], v[122:123], v[58:59] /*v[314:315]*/, v[116:117] neg_lo:[0,0,1] neg_hi:[0,0,1]
	v_pk_fma_f32 v[116:117], v[122:123], v[58:59] /*v[314:315]*/, v[116:117] op_sel_hi:[1,0,1]
	s_delay_alu instid0(VALU_DEP_1) | instskip(SKIP_2) | instid1(VALU_DEP_2)
	v_dual_mov_b32 v116, v125 :: v_dual_mov_b32 v119, v117
	v_mov_b32_e32 v117, v124
	s_set_vgpr_msb 0                        ;  msbs: dst=0 src0=0 src1=0 src2=0
	v_pk_add_f32 v[114:115], v[114:115], v[118:119]
	s_set_vgpr_msb 1                        ;  msbs: dst=0 src0=1 src1=0 src2=0
	v_mov_b32_e32 v118, v61 /*v317*/
	s_set_vgpr_msb 0                        ;  msbs: dst=0 src0=0 src1=0 src2=0
	s_delay_alu instid0(VALU_DEP_1) | instskip(SKIP_1) | instid1(VALU_DEP_1)
	v_pk_mul_f32 v[116:117], v[116:117], v[118:119] op_sel_hi:[1,0]
	s_set_vgpr_msb 4                        ;  msbs: dst=0 src0=0 src1=1 src2=0
	v_pk_fma_f32 v[118:119], v[124:125], v[60:61] /*v[316:317]*/, v[116:117] neg_lo:[0,0,1] neg_hi:[0,0,1]
	v_pk_fma_f32 v[116:117], v[124:125], v[60:61] /*v[316:317]*/, v[116:117] op_sel_hi:[1,0,1]
	s_delay_alu instid0(VALU_DEP_1) | instskip(SKIP_3) | instid1(VALU_DEP_2)
	v_mov_b32_e32 v119, v117
	s_wait_loadcnt_dscnt 0x0
	v_pk_mul_f32 v[116:117], v[126:127], v[68:69] /*v[324:325]*/ op_sel:[1,1] op_sel_hi:[0,1]
	s_set_vgpr_msb 0                        ;  msbs: dst=0 src0=0 src1=0 src2=0
	v_pk_add_f32 v[114:115], v[114:115], v[118:119]
	s_set_vgpr_msb 4                        ;  msbs: dst=0 src0=0 src1=1 src2=0
	s_delay_alu instid0(VALU_DEP_2) | instskip(SKIP_1) | instid1(VALU_DEP_1)
	v_pk_fma_f32 v[118:119], v[126:127], v[68:69] /*v[324:325]*/, v[116:117] neg_lo:[0,0,1] neg_hi:[0,0,1]
	v_pk_fma_f32 v[116:117], v[126:127], v[68:69] /*v[324:325]*/, v[116:117] op_sel_hi:[1,0,1]
	v_mov_b32_e32 v119, v117
	scratch_load_b64 v[116:117], off, off
	s_set_vgpr_msb 0                        ;  msbs: dst=0 src0=0 src1=0 src2=0
	v_pk_add_f32 v[114:115], v[114:115], v[118:119]
	s_wait_loadcnt 0x0
	s_delay_alu instid0(VALU_DEP_1)
	v_pk_add_f32 v[116:117], v[116:117], v[114:115] neg_lo:[0,1] neg_hi:[0,1]
	scratch_store_b64 off, v[116:117], off
	s_cbranch_vccz .LBB119_460
; %bb.350:
	global_load_b32 v0, v0, s[8:9] offset:216
	s_wait_loadcnt 0x0
	v_cmp_ne_u32_e32 vcc_lo, 55, v0
	s_cbranch_vccz .LBB119_352
; %bb.351:
	s_wait_xcnt 0x0
	v_lshlrev_b32_e32 v0, 3, v0
	s_delay_alu instid0(VALU_DEP_1)
	v_mov_b32_e32 v116, v0
	scratch_load_b64 v[0:1], v116, off offset:-8
	scratch_load_b64 v[114:115], off, off offset:432
	s_wait_loadcnt 0x1
	scratch_store_b64 off, v[0:1], off offset:432
	s_wait_loadcnt 0x0
	scratch_store_b64 v116, v[114:115], off offset:-8
.LBB119_352:
	s_wait_xcnt 0x0
	v_mov_b32_e32 v0, 0
	global_load_b32 v1, v0, s[8:9] offset:212
	s_wait_loadcnt 0x0
	v_cmp_eq_u32_e32 vcc_lo, 54, v1
	s_cbranch_vccnz .LBB119_354
; %bb.353:
	v_lshlrev_b32_e32 v1, 3, v1
	scratch_load_b64 v[114:115], v1, off offset:-8
	scratch_load_b64 v[116:117], off, off offset:424
	s_wait_loadcnt 0x1
	scratch_store_b64 off, v[114:115], off offset:424
	s_wait_loadcnt 0x0
	scratch_store_b64 v1, v[116:117], off offset:-8
.LBB119_354:
	global_load_b32 v0, v0, s[8:9] offset:208
	s_wait_loadcnt 0x0
	v_cmp_eq_u32_e32 vcc_lo, 53, v0
	s_cbranch_vccnz .LBB119_356
; %bb.355:
	s_wait_xcnt 0x0
	v_lshlrev_b32_e32 v0, 3, v0
	s_delay_alu instid0(VALU_DEP_1)
	v_mov_b32_e32 v116, v0
	scratch_load_b64 v[0:1], v116, off offset:-8
	scratch_load_b64 v[114:115], off, off offset:416
	s_wait_loadcnt 0x1
	scratch_store_b64 off, v[0:1], off offset:416
	s_wait_loadcnt 0x0
	scratch_store_b64 v116, v[114:115], off offset:-8
.LBB119_356:
	s_wait_xcnt 0x0
	v_mov_b32_e32 v0, 0
	global_load_b32 v1, v0, s[8:9] offset:204
	s_wait_loadcnt 0x0
	v_cmp_eq_u32_e32 vcc_lo, 52, v1
	s_cbranch_vccnz .LBB119_358
; %bb.357:
	v_lshlrev_b32_e32 v1, 3, v1
	scratch_load_b64 v[114:115], v1, off offset:-8
	scratch_load_b64 v[116:117], off, off offset:408
	s_wait_loadcnt 0x1
	scratch_store_b64 off, v[114:115], off offset:408
	s_wait_loadcnt 0x0
	scratch_store_b64 v1, v[116:117], off offset:-8
.LBB119_358:
	global_load_b32 v0, v0, s[8:9] offset:200
	s_wait_loadcnt 0x0
	v_cmp_eq_u32_e32 vcc_lo, 51, v0
	s_cbranch_vccnz .LBB119_360
; %bb.359:
	s_wait_xcnt 0x0
	v_lshlrev_b32_e32 v0, 3, v0
	s_delay_alu instid0(VALU_DEP_1)
	v_mov_b32_e32 v116, v0
	scratch_load_b64 v[0:1], v116, off offset:-8
	scratch_load_b64 v[114:115], off, off offset:400
	s_wait_loadcnt 0x1
	scratch_store_b64 off, v[0:1], off offset:400
	s_wait_loadcnt 0x0
	scratch_store_b64 v116, v[114:115], off offset:-8
.LBB119_360:
	;; [unrolled: 31-line block ×26, first 2 shown]
	s_wait_xcnt 0x0
	v_mov_b32_e32 v0, 0
	global_load_b32 v1, v0, s[8:9] offset:4
	s_wait_loadcnt 0x0
	v_cmp_eq_u32_e32 vcc_lo, 2, v1
	s_cbranch_vccnz .LBB119_458
; %bb.457:
	v_lshlrev_b32_e32 v1, 3, v1
	scratch_load_b64 v[114:115], v1, off offset:-8
	scratch_load_b64 v[116:117], off, off offset:8
	s_wait_loadcnt 0x1
	scratch_store_b64 off, v[114:115], off offset:8
	s_wait_loadcnt 0x0
	scratch_store_b64 v1, v[116:117], off offset:-8
.LBB119_458:
	global_load_b32 v0, v0, s[8:9]
	scratch_load_b64 v[116:117], off, off
	s_wait_loadcnt 0x1
	v_cmp_eq_u32_e32 vcc_lo, 1, v0
	s_cbranch_vccnz .LBB119_460
; %bb.459:
	s_wait_xcnt 0x1
	v_lshlrev_b32_e32 v0, 3, v0
	s_delay_alu instid0(VALU_DEP_1)
	v_mov_b32_e32 v114, v0
	scratch_load_b64 v[0:1], v114, off offset:-8
	s_wait_loadcnt 0x0
	scratch_store_b64 off, v[0:1], off
	scratch_store_b64 v114, v[116:117], off offset:-8
	scratch_load_b64 v[116:117], off, off
.LBB119_460:
	s_wait_loadcnt 0x0
	flat_store_b64 v[2:3], v[116:117]
	scratch_load_b64 v[2:3], off, off offset:8
	v_lshl_add_u64 v[166:167], v[6:7], 3, s[2:3]
	v_lshl_add_u64 v[164:165], v[8:9], 3, s[2:3]
	;; [unrolled: 1-line block ×54, first 2 shown]
	s_wait_loadcnt 0x0
	flat_store_b64 v[4:5], v[2:3]
	scratch_load_b64 v[2:3], off, off offset:16
	s_wait_loadcnt 0x0
	flat_store_b64 v[166:167], v[2:3]
	scratch_load_b64 v[2:3], off, off offset:24
	;; [unrolled: 3-line block ×54, first 2 shown]
	s_wait_loadcnt 0x0
	flat_store_b64 v[0:1], v[2:3]
	s_sendmsg sendmsg(MSG_DEALLOC_VGPRS)
	s_endpgm
	.section	.rodata,"a",@progbits
	.p2align	6, 0x0
	.amdhsa_kernel _ZN9rocsolver6v33100L18getri_kernel_smallILi56E19rocblas_complex_numIfEPKPS3_EEvT1_iilPiilS8_bb
		.amdhsa_group_segment_fixed_size 900
		.amdhsa_private_segment_fixed_size 464
		.amdhsa_kernarg_size 60
		.amdhsa_user_sgpr_count 2
		.amdhsa_user_sgpr_dispatch_ptr 0
		.amdhsa_user_sgpr_queue_ptr 0
		.amdhsa_user_sgpr_kernarg_segment_ptr 1
		.amdhsa_user_sgpr_dispatch_id 0
		.amdhsa_user_sgpr_kernarg_preload_length 0
		.amdhsa_user_sgpr_kernarg_preload_offset 0
		.amdhsa_user_sgpr_private_segment_size 0
		.amdhsa_wavefront_size32 1
		.amdhsa_uses_dynamic_stack 0
		.amdhsa_enable_private_segment 1
		.amdhsa_system_sgpr_workgroup_id_x 1
		.amdhsa_system_sgpr_workgroup_id_y 0
		.amdhsa_system_sgpr_workgroup_id_z 0
		.amdhsa_system_sgpr_workgroup_info 0
		.amdhsa_system_vgpr_workitem_id 0
		.amdhsa_next_free_vgpr 340
		.amdhsa_next_free_sgpr 19
		.amdhsa_named_barrier_count 0
		.amdhsa_reserve_vcc 1
		.amdhsa_float_round_mode_32 0
		.amdhsa_float_round_mode_16_64 0
		.amdhsa_float_denorm_mode_32 3
		.amdhsa_float_denorm_mode_16_64 3
		.amdhsa_fp16_overflow 0
		.amdhsa_memory_ordered 1
		.amdhsa_forward_progress 1
		.amdhsa_inst_pref_size 255
		.amdhsa_round_robin_scheduling 0
		.amdhsa_exception_fp_ieee_invalid_op 0
		.amdhsa_exception_fp_denorm_src 0
		.amdhsa_exception_fp_ieee_div_zero 0
		.amdhsa_exception_fp_ieee_overflow 0
		.amdhsa_exception_fp_ieee_underflow 0
		.amdhsa_exception_fp_ieee_inexact 0
		.amdhsa_exception_int_div_zero 0
	.end_amdhsa_kernel
	.section	.text._ZN9rocsolver6v33100L18getri_kernel_smallILi56E19rocblas_complex_numIfEPKPS3_EEvT1_iilPiilS8_bb,"axG",@progbits,_ZN9rocsolver6v33100L18getri_kernel_smallILi56E19rocblas_complex_numIfEPKPS3_EEvT1_iilPiilS8_bb,comdat
.Lfunc_end119:
	.size	_ZN9rocsolver6v33100L18getri_kernel_smallILi56E19rocblas_complex_numIfEPKPS3_EEvT1_iilPiilS8_bb, .Lfunc_end119-_ZN9rocsolver6v33100L18getri_kernel_smallILi56E19rocblas_complex_numIfEPKPS3_EEvT1_iilPiilS8_bb
                                        ; -- End function
	.set _ZN9rocsolver6v33100L18getri_kernel_smallILi56E19rocblas_complex_numIfEPKPS3_EEvT1_iilPiilS8_bb.num_vgpr, 340
	.set _ZN9rocsolver6v33100L18getri_kernel_smallILi56E19rocblas_complex_numIfEPKPS3_EEvT1_iilPiilS8_bb.num_agpr, 0
	.set _ZN9rocsolver6v33100L18getri_kernel_smallILi56E19rocblas_complex_numIfEPKPS3_EEvT1_iilPiilS8_bb.numbered_sgpr, 19
	.set _ZN9rocsolver6v33100L18getri_kernel_smallILi56E19rocblas_complex_numIfEPKPS3_EEvT1_iilPiilS8_bb.num_named_barrier, 0
	.set _ZN9rocsolver6v33100L18getri_kernel_smallILi56E19rocblas_complex_numIfEPKPS3_EEvT1_iilPiilS8_bb.private_seg_size, 464
	.set _ZN9rocsolver6v33100L18getri_kernel_smallILi56E19rocblas_complex_numIfEPKPS3_EEvT1_iilPiilS8_bb.uses_vcc, 1
	.set _ZN9rocsolver6v33100L18getri_kernel_smallILi56E19rocblas_complex_numIfEPKPS3_EEvT1_iilPiilS8_bb.uses_flat_scratch, 1
	.set _ZN9rocsolver6v33100L18getri_kernel_smallILi56E19rocblas_complex_numIfEPKPS3_EEvT1_iilPiilS8_bb.has_dyn_sized_stack, 0
	.set _ZN9rocsolver6v33100L18getri_kernel_smallILi56E19rocblas_complex_numIfEPKPS3_EEvT1_iilPiilS8_bb.has_recursion, 0
	.set _ZN9rocsolver6v33100L18getri_kernel_smallILi56E19rocblas_complex_numIfEPKPS3_EEvT1_iilPiilS8_bb.has_indirect_call, 0
	.section	.AMDGPU.csdata,"",@progbits
; Kernel info:
; codeLenInByte = 115580
; TotalNumSgprs: 21
; NumVgprs: 340
; ScratchSize: 464
; MemoryBound: 0
; FloatMode: 240
; IeeeMode: 1
; LDSByteSize: 900 bytes/workgroup (compile time only)
; SGPRBlocks: 0
; VGPRBlocks: 21
; NumSGPRsForWavesPerEU: 21
; NumVGPRsForWavesPerEU: 340
; NamedBarCnt: 0
; Occupancy: 2
; WaveLimiterHint : 1
; COMPUTE_PGM_RSRC2:SCRATCH_EN: 1
; COMPUTE_PGM_RSRC2:USER_SGPR: 2
; COMPUTE_PGM_RSRC2:TRAP_HANDLER: 0
; COMPUTE_PGM_RSRC2:TGID_X_EN: 1
; COMPUTE_PGM_RSRC2:TGID_Y_EN: 0
; COMPUTE_PGM_RSRC2:TGID_Z_EN: 0
; COMPUTE_PGM_RSRC2:TIDIG_COMP_CNT: 0
	.section	.text._ZN9rocsolver6v33100L18getri_kernel_smallILi57E19rocblas_complex_numIfEPKPS3_EEvT1_iilPiilS8_bb,"axG",@progbits,_ZN9rocsolver6v33100L18getri_kernel_smallILi57E19rocblas_complex_numIfEPKPS3_EEvT1_iilPiilS8_bb,comdat
	.globl	_ZN9rocsolver6v33100L18getri_kernel_smallILi57E19rocblas_complex_numIfEPKPS3_EEvT1_iilPiilS8_bb ; -- Begin function _ZN9rocsolver6v33100L18getri_kernel_smallILi57E19rocblas_complex_numIfEPKPS3_EEvT1_iilPiilS8_bb
	.p2align	8
	.type	_ZN9rocsolver6v33100L18getri_kernel_smallILi57E19rocblas_complex_numIfEPKPS3_EEvT1_iilPiilS8_bb,@function
_ZN9rocsolver6v33100L18getri_kernel_smallILi57E19rocblas_complex_numIfEPKPS3_EEvT1_iilPiilS8_bb: ; @_ZN9rocsolver6v33100L18getri_kernel_smallILi57E19rocblas_complex_numIfEPKPS3_EEvT1_iilPiilS8_bb
; %bb.0:
	s_mov_b32 s2, exec_lo
	v_cmpx_gt_u32_e32 57, v0
	s_cbranch_execz .LBB120_242
; %bb.1:
	s_clause 0x1
	s_load_b32 s13, s[0:1], 0x38
	s_load_b64 s[2:3], s[0:1], 0x0
	s_getreg_b32 s6, hwreg(HW_REG_IB_STS2, 6, 4)
	s_wait_kmcnt 0x0
	s_bitcmp1_b32 s13, 8
	s_cselect_b32 s12, -1, 0
	s_bfe_u32 s4, ttmp6, 0x4000c
	s_and_b32 s5, ttmp6, 15
	s_add_co_i32 s4, s4, 1
	s_delay_alu instid0(SALU_CYCLE_1) | instskip(NEXT) | instid1(SALU_CYCLE_1)
	s_mul_i32 s4, ttmp9, s4
	s_add_co_i32 s5, s5, s4
	s_cmp_eq_u32 s6, 0
	s_cselect_b32 s10, ttmp9, s5
	s_load_b128 s[4:7], s[0:1], 0x28
	s_ashr_i32 s11, s10, 31
	s_delay_alu instid0(SALU_CYCLE_1) | instskip(NEXT) | instid1(SALU_CYCLE_1)
	s_lshl_b64 s[8:9], s[10:11], 3
	s_add_nc_u64 s[2:3], s[2:3], s[8:9]
	s_bfe_u32 s8, s13, 0x10008
	s_load_b64 s[2:3], s[2:3], 0x0
	s_cmp_eq_u32 s8, 0
                                        ; implicit-def: $sgpr8_sgpr9
	s_cbranch_scc1 .LBB120_3
; %bb.2:
	s_load_b96 s[16:18], s[0:1], 0x18
	s_wait_kmcnt 0x0
	s_mul_u64 s[4:5], s[4:5], s[10:11]
	s_delay_alu instid0(SALU_CYCLE_1) | instskip(SKIP_4) | instid1(SALU_CYCLE_1)
	s_lshl_b64 s[4:5], s[4:5], 2
	s_ashr_i32 s9, s18, 31
	s_mov_b32 s8, s18
	s_add_nc_u64 s[4:5], s[16:17], s[4:5]
	s_lshl_b64 s[8:9], s[8:9], 2
	s_add_nc_u64 s[8:9], s[4:5], s[8:9]
.LBB120_3:
	s_wait_kmcnt 0x0
	s_clause 0x1
	s_load_b64 s[4:5], s[0:1], 0x8
	s_load_b32 s13, s[0:1], 0x38
	v_dual_mov_b32 v117, 0 :: v_dual_lshlrev_b32 v116, 3, v0
	s_wait_kmcnt 0x0
	s_ashr_i32 s1, s4, 31
	s_mov_b32 s0, s4
	s_delay_alu instid0(SALU_CYCLE_1) | instskip(NEXT) | instid1(SALU_CYCLE_1)
	s_lshl_b64 s[0:1], s[0:1], 3
	s_add_nc_u64 s[2:3], s[2:3], s[0:1]
	s_ashr_i32 s1, s5, 31
	flat_load_b64 v[6:7], v0, s[2:3] scale_offset
	v_add_nc_u64_e32 v[2:3], s[2:3], v[116:117]
	s_mov_b32 s0, s5
	s_bitcmp0_b32 s13, 0
	s_delay_alu instid0(VALU_DEP_1)
	v_lshl_add_u64 v[4:5], s[0:1], 3, v[2:3]
	s_mov_b32 s1, -1
	s_wait_loadcnt_dscnt 0x0
	scratch_store_b64 off, v[6:7], off
	flat_load_b64 v[8:9], v[4:5]
	s_wait_xcnt 0x1
	v_add3_u32 v6, s5, s5, v0
	s_wait_loadcnt_dscnt 0x0
	scratch_store_b64 off, v[8:9], off offset:8
	flat_load_b64 v[10:11], v6, s[2:3] scale_offset
	s_wait_xcnt 0x1
	v_add_nc_u32_e32 v8, s5, v6
	s_wait_loadcnt_dscnt 0x0
	scratch_store_b64 off, v[10:11], off offset:16
	flat_load_b64 v[12:13], v8, s[2:3] scale_offset
	s_wait_xcnt 0x1
	v_add_nc_u32_e32 v10, s5, v8
	;; [unrolled: 5-line block ×54, first 2 shown]
	s_wait_loadcnt_dscnt 0x0
	scratch_store_b64 off, v[118:119], off offset:440
	flat_load_b64 v[118:119], v114, s[2:3] scale_offset
	s_wait_loadcnt_dscnt 0x0
	scratch_store_b64 off, v[118:119], off offset:448
	s_cbranch_scc1 .LBB120_240
; %bb.4:
	v_cmp_eq_u32_e64 s0, 0, v0
	s_wait_xcnt 0x0
	s_and_saveexec_b32 s1, s0
; %bb.5:
	v_mov_b32_e32 v1, 0
	ds_store_b32 v1, v1 offset:456
; %bb.6:
	s_or_b32 exec_lo, exec_lo, s1
	s_wait_storecnt_dscnt 0x0
	s_barrier_signal -1
	s_barrier_wait -1
	scratch_load_b64 v[118:119], v0, off scale_offset
	s_wait_loadcnt 0x0
	v_cmp_eq_f32_e32 vcc_lo, 0, v118
	v_cmp_eq_f32_e64 s1, 0, v119
	s_and_b32 s1, vcc_lo, s1
	s_delay_alu instid0(SALU_CYCLE_1)
	s_and_saveexec_b32 s4, s1
	s_cbranch_execz .LBB120_10
; %bb.7:
	v_mov_b32_e32 v1, 0
	s_mov_b32 s5, 0
	ds_load_b32 v7, v1 offset:456
	s_wait_dscnt 0x0
	v_readfirstlane_b32 s1, v7
	v_add_nc_u32_e32 v7, 1, v0
	s_cmp_eq_u32 s1, 0
	s_delay_alu instid0(VALU_DEP_1) | instskip(SKIP_1) | instid1(SALU_CYCLE_1)
	v_cmp_gt_i32_e32 vcc_lo, s1, v7
	s_cselect_b32 s13, -1, 0
	s_or_b32 s13, s13, vcc_lo
	s_delay_alu instid0(SALU_CYCLE_1)
	s_and_b32 exec_lo, exec_lo, s13
	s_cbranch_execz .LBB120_10
; %bb.8:
	v_mov_b32_e32 v9, s1
.LBB120_9:                              ; =>This Inner Loop Header: Depth=1
	ds_cmpstore_rtn_b32 v9, v1, v7, v9 offset:456
	s_wait_dscnt 0x0
	v_cmp_ne_u32_e32 vcc_lo, 0, v9
	v_cmp_le_i32_e64 s1, v9, v7
	s_and_b32 s1, vcc_lo, s1
	s_delay_alu instid0(SALU_CYCLE_1) | instskip(NEXT) | instid1(SALU_CYCLE_1)
	s_and_b32 s1, exec_lo, s1
	s_or_b32 s5, s1, s5
	s_delay_alu instid0(SALU_CYCLE_1)
	s_and_not1_b32 exec_lo, exec_lo, s5
	s_cbranch_execnz .LBB120_9
.LBB120_10:
	s_or_b32 exec_lo, exec_lo, s4
	v_mov_b32_e32 v1, 0
	s_barrier_signal -1
	s_barrier_wait -1
	ds_load_b32 v7, v1 offset:456
	s_and_saveexec_b32 s1, s0
	s_cbranch_execz .LBB120_12
; %bb.11:
	s_lshl_b64 s[4:5], s[10:11], 2
	s_delay_alu instid0(SALU_CYCLE_1)
	s_add_nc_u64 s[4:5], s[6:7], s[4:5]
	s_wait_dscnt 0x0
	global_store_b32 v1, v7, s[4:5]
.LBB120_12:
	s_wait_xcnt 0x0
	s_or_b32 exec_lo, exec_lo, s1
	s_wait_dscnt 0x0
	v_cmp_ne_u32_e32 vcc_lo, 0, v7
	s_mov_b32 s1, 0
	s_cbranch_vccnz .LBB120_240
; %bb.13:
	v_lshl_add_u32 v7, v0, 3, 0
                                        ; implicit-def: $vgpr121
                                        ; implicit-def: $vgpr122
	scratch_load_b64 v[118:119], v7, off
	s_wait_loadcnt 0x0
	v_cmp_ngt_f32_e64 s1, |v118|, |v119|
	s_wait_xcnt 0x0
	s_and_saveexec_b32 s4, s1
	s_delay_alu instid0(SALU_CYCLE_1)
	s_xor_b32 s1, exec_lo, s4
	s_cbranch_execz .LBB120_15
; %bb.14:
	v_div_scale_f32 v1, null, v119, v119, v118
	v_div_scale_f32 v13, vcc_lo, v118, v119, v118
	s_delay_alu instid0(VALU_DEP_2) | instskip(SKIP_1) | instid1(TRANS32_DEP_1)
	v_rcp_f32_e32 v9, v1
	v_nop
	v_fma_f32 v11, -v1, v9, 1.0
	s_delay_alu instid0(VALU_DEP_1) | instskip(NEXT) | instid1(VALU_DEP_1)
	v_fmac_f32_e32 v9, v11, v9
	v_mul_f32_e32 v11, v13, v9
	s_delay_alu instid0(VALU_DEP_1) | instskip(NEXT) | instid1(VALU_DEP_1)
	v_fma_f32 v15, -v1, v11, v13
	v_fmac_f32_e32 v11, v15, v9
	s_delay_alu instid0(VALU_DEP_1) | instskip(NEXT) | instid1(VALU_DEP_1)
	v_fma_f32 v1, -v1, v11, v13
	v_div_fmas_f32 v1, v1, v9, v11
	s_delay_alu instid0(VALU_DEP_1) | instskip(NEXT) | instid1(VALU_DEP_1)
	v_div_fixup_f32 v1, v1, v119, v118
	v_fmac_f32_e32 v119, v118, v1
	s_delay_alu instid0(VALU_DEP_1) | instskip(NEXT) | instid1(VALU_DEP_1)
	v_div_scale_f32 v9, null, v119, v119, -1.0
	v_rcp_f32_e32 v11, v9
	v_nop
	s_delay_alu instid0(TRANS32_DEP_1) | instskip(NEXT) | instid1(VALU_DEP_1)
	v_fma_f32 v13, -v9, v11, 1.0
	v_fmac_f32_e32 v11, v13, v11
	v_div_scale_f32 v13, vcc_lo, -1.0, v119, -1.0
	s_delay_alu instid0(VALU_DEP_1) | instskip(NEXT) | instid1(VALU_DEP_1)
	v_mul_f32_e32 v15, v13, v11
	v_fma_f32 v17, -v9, v15, v13
	s_delay_alu instid0(VALU_DEP_1) | instskip(NEXT) | instid1(VALU_DEP_1)
	v_fmac_f32_e32 v15, v17, v11
	v_fma_f32 v9, -v9, v15, v13
	s_delay_alu instid0(VALU_DEP_1) | instskip(NEXT) | instid1(VALU_DEP_1)
	v_div_fmas_f32 v9, v9, v11, v15
	v_div_fixup_f32 v121, v9, v119, -1.0
                                        ; implicit-def: $vgpr118_vgpr119
	s_delay_alu instid0(VALU_DEP_1) | instskip(NEXT) | instid1(VALU_DEP_1)
	v_mul_f32_e32 v122, v1, v121
	v_xor_b32_e32 v120, 0x80000000, v122
.LBB120_15:
	s_and_not1_saveexec_b32 s1, s1
	s_cbranch_execz .LBB120_17
; %bb.16:
	v_div_scale_f32 v1, null, v118, v118, v119
	v_div_scale_f32 v13, vcc_lo, v119, v118, v119
	s_delay_alu instid0(VALU_DEP_2) | instskip(SKIP_1) | instid1(TRANS32_DEP_1)
	v_rcp_f32_e32 v9, v1
	v_nop
	v_fma_f32 v11, -v1, v9, 1.0
	s_delay_alu instid0(VALU_DEP_1) | instskip(NEXT) | instid1(VALU_DEP_1)
	v_fmac_f32_e32 v9, v11, v9
	v_mul_f32_e32 v11, v13, v9
	s_delay_alu instid0(VALU_DEP_1) | instskip(NEXT) | instid1(VALU_DEP_1)
	v_fma_f32 v15, -v1, v11, v13
	v_fmac_f32_e32 v11, v15, v9
	s_delay_alu instid0(VALU_DEP_1) | instskip(NEXT) | instid1(VALU_DEP_1)
	v_fma_f32 v1, -v1, v11, v13
	v_div_fmas_f32 v1, v1, v9, v11
	s_delay_alu instid0(VALU_DEP_1) | instskip(NEXT) | instid1(VALU_DEP_1)
	v_div_fixup_f32 v1, v1, v118, v119
	v_fmac_f32_e32 v118, v119, v1
	s_delay_alu instid0(VALU_DEP_1) | instskip(SKIP_1) | instid1(VALU_DEP_2)
	v_div_scale_f32 v9, null, v118, v118, 1.0
	v_div_scale_f32 v15, vcc_lo, 1.0, v118, 1.0
	v_rcp_f32_e32 v11, v9
	v_nop
	s_delay_alu instid0(TRANS32_DEP_1) | instskip(NEXT) | instid1(VALU_DEP_1)
	v_fma_f32 v13, -v9, v11, 1.0
	v_fmac_f32_e32 v11, v13, v11
	s_delay_alu instid0(VALU_DEP_1) | instskip(NEXT) | instid1(VALU_DEP_1)
	v_mul_f32_e32 v13, v15, v11
	v_fma_f32 v17, -v9, v13, v15
	s_delay_alu instid0(VALU_DEP_1) | instskip(NEXT) | instid1(VALU_DEP_1)
	v_fmac_f32_e32 v13, v17, v11
	v_fma_f32 v9, -v9, v13, v15
	s_delay_alu instid0(VALU_DEP_1) | instskip(NEXT) | instid1(VALU_DEP_1)
	v_div_fmas_f32 v9, v9, v11, v13
	v_div_fixup_f32 v120, v9, v118, 1.0
	s_delay_alu instid0(VALU_DEP_1)
	v_xor_b32_e32 v122, 0x80000000, v120
	v_mul_f32_e64 v121, v1, -v120
.LBB120_17:
	s_or_b32 exec_lo, exec_lo, s1
	scratch_store_b64 v7, v[120:121], off
	scratch_load_b64 v[118:119], off, off offset:8
	v_xor_b32_e32 v123, 0x80000000, v121
	v_add_nc_u32_e32 v1, 0x1d0, v116
	s_wait_loadcnt 0x0
	ds_store_2addr_b64 v116, v[122:123], v[118:119] offset1:58
	s_wait_storecnt_dscnt 0x0
	s_barrier_signal -1
	s_barrier_wait -1
	s_wait_xcnt 0x0
	s_and_saveexec_b32 s1, s0
	s_cbranch_execz .LBB120_19
; %bb.18:
	scratch_load_b64 v[118:119], v7, off
	ds_load_b64 v[120:121], v1
	s_wait_loadcnt_dscnt 0x0
	v_pk_mul_f32 v[124:125], v[120:121], v[118:119] op_sel:[1,1] op_sel_hi:[0,1]
	s_delay_alu instid0(VALU_DEP_1) | instskip(SKIP_2) | instid1(VALU_DEP_3)
	v_pk_fma_f32 v[126:127], v[120:121], v[118:119], v[124:125] op_sel_hi:[1,0,1]
	v_mov_b32_e32 v9, 0
	v_pk_fma_f32 v[118:119], v[120:121], v[118:119], v[124:125] neg_lo:[0,0,1] neg_hi:[0,0,1]
	v_mov_b32_e32 v119, v127
	ds_load_b64 v[122:123], v9 offset:8
	v_pk_add_f32 v[118:119], v[118:119], 0 op_sel_hi:[1,0]
	s_wait_dscnt 0x0
	s_delay_alu instid0(VALU_DEP_1) | instskip(NEXT) | instid1(VALU_DEP_1)
	v_pk_mul_f32 v[120:121], v[118:119], v[122:123] op_sel:[1,1] op_sel_hi:[0,1]
	v_pk_fma_f32 v[124:125], v[118:119], v[122:123], v[120:121] op_sel_hi:[1,0,1]
	v_pk_fma_f32 v[118:119], v[118:119], v[122:123], v[120:121] neg_lo:[0,0,1] neg_hi:[0,0,1]
	s_delay_alu instid0(VALU_DEP_2)
	v_mov_b32_e32 v119, v125
	scratch_store_b64 off, v[118:119], off offset:8
.LBB120_19:
	s_wait_xcnt 0x0
	s_or_b32 exec_lo, exec_lo, s1
	s_wait_storecnt 0x0
	s_barrier_signal -1
	s_barrier_wait -1
	scratch_load_b64 v[118:119], off, off offset:16
	s_mov_b32 s1, exec_lo
	s_wait_loadcnt 0x0
	ds_store_b64 v1, v[118:119]
	s_wait_dscnt 0x0
	s_barrier_signal -1
	s_barrier_wait -1
	v_cmpx_gt_u32_e32 2, v0
	s_cbranch_execz .LBB120_23
; %bb.20:
	scratch_load_b64 v[118:119], v7, off
	ds_load_b64 v[120:121], v1
	s_wait_loadcnt_dscnt 0x0
	v_pk_mul_f32 v[122:123], v[120:121], v[118:119] op_sel:[1,1] op_sel_hi:[0,1]
	s_delay_alu instid0(VALU_DEP_1) | instskip(SKIP_1) | instid1(VALU_DEP_2)
	v_pk_fma_f32 v[124:125], v[120:121], v[118:119], v[122:123] op_sel_hi:[1,0,1]
	v_pk_fma_f32 v[118:119], v[120:121], v[118:119], v[122:123] neg_lo:[0,0,1] neg_hi:[0,0,1]
	v_mov_b32_e32 v119, v125
	s_delay_alu instid0(VALU_DEP_1)
	v_pk_add_f32 v[118:119], v[118:119], 0 op_sel_hi:[1,0]
	s_and_saveexec_b32 s4, s0
	s_cbranch_execz .LBB120_22
; %bb.21:
	scratch_load_b64 v[120:121], off, off offset:8
	v_mov_b32_e32 v7, 0
	ds_load_b64 v[122:123], v7 offset:472
	s_wait_loadcnt_dscnt 0x0
	v_pk_mul_f32 v[124:125], v[122:123], v[120:121] op_sel:[1,1] op_sel_hi:[0,1]
	s_delay_alu instid0(VALU_DEP_1) | instskip(SKIP_1) | instid1(VALU_DEP_2)
	v_pk_fma_f32 v[126:127], v[122:123], v[120:121], v[124:125] op_sel_hi:[1,0,1]
	v_pk_fma_f32 v[120:121], v[122:123], v[120:121], v[124:125] neg_lo:[0,0,1] neg_hi:[0,0,1]
	v_mov_b32_e32 v121, v127
	s_delay_alu instid0(VALU_DEP_1)
	v_pk_add_f32 v[118:119], v[118:119], v[120:121]
.LBB120_22:
	s_or_b32 exec_lo, exec_lo, s4
	v_mov_b32_e32 v7, 0
	ds_load_b64 v[120:121], v7 offset:16
	s_wait_dscnt 0x0
	v_pk_mul_f32 v[122:123], v[118:119], v[120:121] op_sel:[1,1] op_sel_hi:[0,1]
	s_delay_alu instid0(VALU_DEP_1) | instskip(SKIP_1) | instid1(VALU_DEP_2)
	v_pk_fma_f32 v[124:125], v[118:119], v[120:121], v[122:123] op_sel_hi:[1,0,1]
	v_pk_fma_f32 v[118:119], v[118:119], v[120:121], v[122:123] neg_lo:[0,0,1] neg_hi:[0,0,1]
	v_mov_b32_e32 v119, v125
	scratch_store_b64 off, v[118:119], off offset:16
.LBB120_23:
	s_wait_xcnt 0x0
	s_or_b32 exec_lo, exec_lo, s1
	s_wait_storecnt 0x0
	s_barrier_signal -1
	s_barrier_wait -1
	scratch_load_b64 v[118:119], off, off offset:24
	v_add_nc_u32_e32 v7, -1, v0
	s_mov_b32 s0, exec_lo
	s_wait_loadcnt 0x0
	ds_store_b64 v1, v[118:119]
	s_wait_dscnt 0x0
	s_barrier_signal -1
	s_barrier_wait -1
	v_cmpx_gt_u32_e32 3, v0
	s_cbranch_execz .LBB120_27
; %bb.24:
	v_dual_mov_b32 v118, 0 :: v_dual_add_nc_u32 v9, -1, v0
	v_add_nc_u32_e32 v11, 0x1d0, v116
	v_mov_b32_e32 v13, v116
	s_mov_b32 s1, 0
	s_delay_alu instid0(VALU_DEP_3)
	v_mov_b32_e32 v119, v118
.LBB120_25:                             ; =>This Inner Loop Header: Depth=1
	scratch_load_b64 v[120:121], v13, off
	ds_load_b64 v[122:123], v11
	s_wait_xcnt 0x0
	v_dual_add_nc_u32 v11, 8, v11 :: v_dual_add_nc_u32 v13, 8, v13
	s_wait_loadcnt_dscnt 0x0
	v_pk_mul_f32 v[124:125], v[122:123], v[120:121] op_sel:[1,1] op_sel_hi:[0,1]
	s_delay_alu instid0(VALU_DEP_1) | instskip(SKIP_2) | instid1(VALU_DEP_3)
	v_pk_fma_f32 v[126:127], v[122:123], v[120:121], v[124:125] op_sel_hi:[1,0,1]
	v_add_nc_u32_e32 v9, 1, v9
	v_pk_fma_f32 v[120:121], v[122:123], v[120:121], v[124:125] neg_lo:[0,0,1] neg_hi:[0,0,1]
	v_mov_b32_e32 v121, v127
	s_delay_alu instid0(VALU_DEP_3) | instskip(NEXT) | instid1(VALU_DEP_2)
	v_cmp_lt_u32_e32 vcc_lo, 1, v9
	v_pk_add_f32 v[118:119], v[118:119], v[120:121]
	s_or_b32 s1, vcc_lo, s1
	s_delay_alu instid0(SALU_CYCLE_1)
	s_and_not1_b32 exec_lo, exec_lo, s1
	s_cbranch_execnz .LBB120_25
; %bb.26:
	s_or_b32 exec_lo, exec_lo, s1
	v_mov_b32_e32 v9, 0
	ds_load_b64 v[120:121], v9 offset:24
	s_wait_dscnt 0x0
	v_pk_mul_f32 v[122:123], v[118:119], v[120:121] op_sel:[1,1] op_sel_hi:[0,1]
	s_delay_alu instid0(VALU_DEP_1) | instskip(SKIP_1) | instid1(VALU_DEP_2)
	v_pk_fma_f32 v[124:125], v[118:119], v[120:121], v[122:123] op_sel_hi:[1,0,1]
	v_pk_fma_f32 v[118:119], v[118:119], v[120:121], v[122:123] neg_lo:[0,0,1] neg_hi:[0,0,1]
	v_mov_b32_e32 v119, v125
	scratch_store_b64 off, v[118:119], off offset:24
.LBB120_27:
	s_wait_xcnt 0x0
	s_or_b32 exec_lo, exec_lo, s0
	s_wait_storecnt 0x0
	s_barrier_signal -1
	s_barrier_wait -1
	scratch_load_b64 v[118:119], off, off offset:32
	s_mov_b32 s0, exec_lo
	s_wait_loadcnt 0x0
	ds_store_b64 v1, v[118:119]
	s_wait_dscnt 0x0
	s_barrier_signal -1
	s_barrier_wait -1
	v_cmpx_gt_u32_e32 4, v0
	s_cbranch_execz .LBB120_31
; %bb.28:
	v_dual_mov_b32 v118, 0 :: v_dual_add_nc_u32 v9, -1, v0
	v_add_nc_u32_e32 v11, 0x1d0, v116
	v_mov_b32_e32 v13, v116
	s_mov_b32 s1, 0
	s_delay_alu instid0(VALU_DEP_3)
	v_mov_b32_e32 v119, v118
.LBB120_29:                             ; =>This Inner Loop Header: Depth=1
	scratch_load_b64 v[120:121], v13, off
	ds_load_b64 v[122:123], v11
	s_wait_xcnt 0x0
	v_dual_add_nc_u32 v11, 8, v11 :: v_dual_add_nc_u32 v13, 8, v13
	s_wait_loadcnt_dscnt 0x0
	v_pk_mul_f32 v[124:125], v[122:123], v[120:121] op_sel:[1,1] op_sel_hi:[0,1]
	s_delay_alu instid0(VALU_DEP_1) | instskip(SKIP_2) | instid1(VALU_DEP_3)
	v_pk_fma_f32 v[126:127], v[122:123], v[120:121], v[124:125] op_sel_hi:[1,0,1]
	v_add_nc_u32_e32 v9, 1, v9
	v_pk_fma_f32 v[120:121], v[122:123], v[120:121], v[124:125] neg_lo:[0,0,1] neg_hi:[0,0,1]
	v_mov_b32_e32 v121, v127
	s_delay_alu instid0(VALU_DEP_3) | instskip(NEXT) | instid1(VALU_DEP_2)
	v_cmp_lt_u32_e32 vcc_lo, 2, v9
	v_pk_add_f32 v[118:119], v[118:119], v[120:121]
	s_or_b32 s1, vcc_lo, s1
	s_delay_alu instid0(SALU_CYCLE_1)
	s_and_not1_b32 exec_lo, exec_lo, s1
	s_cbranch_execnz .LBB120_29
; %bb.30:
	s_or_b32 exec_lo, exec_lo, s1
	v_mov_b32_e32 v9, 0
	ds_load_b64 v[120:121], v9 offset:32
	s_wait_dscnt 0x0
	v_pk_mul_f32 v[122:123], v[118:119], v[120:121] op_sel:[1,1] op_sel_hi:[0,1]
	s_delay_alu instid0(VALU_DEP_1) | instskip(SKIP_1) | instid1(VALU_DEP_2)
	v_pk_fma_f32 v[124:125], v[118:119], v[120:121], v[122:123] op_sel_hi:[1,0,1]
	v_pk_fma_f32 v[118:119], v[118:119], v[120:121], v[122:123] neg_lo:[0,0,1] neg_hi:[0,0,1]
	v_mov_b32_e32 v119, v125
	scratch_store_b64 off, v[118:119], off offset:32
.LBB120_31:
	s_wait_xcnt 0x0
	s_or_b32 exec_lo, exec_lo, s0
	s_wait_storecnt 0x0
	s_barrier_signal -1
	s_barrier_wait -1
	scratch_load_b64 v[118:119], off, off offset:40
	;; [unrolled: 52-line block ×19, first 2 shown]
	s_mov_b32 s0, exec_lo
	s_wait_loadcnt 0x0
	ds_store_b64 v1, v[118:119]
	s_wait_dscnt 0x0
	s_barrier_signal -1
	s_barrier_wait -1
	v_cmpx_gt_u32_e32 22, v0
	s_cbranch_execz .LBB120_103
; %bb.100:
	v_dual_mov_b32 v118, 0 :: v_dual_add_nc_u32 v9, -1, v0
	v_add_nc_u32_e32 v11, 0x1d0, v116
	v_mov_b32_e32 v13, v116
	s_mov_b32 s1, 0
	s_delay_alu instid0(VALU_DEP_3)
	v_mov_b32_e32 v119, v118
.LBB120_101:                            ; =>This Inner Loop Header: Depth=1
	scratch_load_b64 v[120:121], v13, off
	ds_load_b64 v[122:123], v11
	s_wait_xcnt 0x0
	v_dual_add_nc_u32 v11, 8, v11 :: v_dual_add_nc_u32 v13, 8, v13
	s_wait_loadcnt_dscnt 0x0
	v_pk_mul_f32 v[124:125], v[122:123], v[120:121] op_sel:[1,1] op_sel_hi:[0,1]
	s_delay_alu instid0(VALU_DEP_1) | instskip(SKIP_2) | instid1(VALU_DEP_3)
	v_pk_fma_f32 v[126:127], v[122:123], v[120:121], v[124:125] op_sel_hi:[1,0,1]
	v_add_nc_u32_e32 v9, 1, v9
	v_pk_fma_f32 v[120:121], v[122:123], v[120:121], v[124:125] neg_lo:[0,0,1] neg_hi:[0,0,1]
	v_mov_b32_e32 v121, v127
	s_delay_alu instid0(VALU_DEP_3) | instskip(NEXT) | instid1(VALU_DEP_2)
	v_cmp_lt_u32_e32 vcc_lo, 20, v9
	v_pk_add_f32 v[118:119], v[118:119], v[120:121]
	s_or_b32 s1, vcc_lo, s1
	s_delay_alu instid0(SALU_CYCLE_1)
	s_and_not1_b32 exec_lo, exec_lo, s1
	s_cbranch_execnz .LBB120_101
; %bb.102:
	s_or_b32 exec_lo, exec_lo, s1
	v_mov_b32_e32 v9, 0
	ds_load_b64 v[120:121], v9 offset:176
	s_wait_dscnt 0x0
	v_pk_mul_f32 v[122:123], v[118:119], v[120:121] op_sel:[1,1] op_sel_hi:[0,1]
	s_delay_alu instid0(VALU_DEP_1) | instskip(SKIP_1) | instid1(VALU_DEP_2)
	v_pk_fma_f32 v[124:125], v[118:119], v[120:121], v[122:123] op_sel_hi:[1,0,1]
	v_pk_fma_f32 v[118:119], v[118:119], v[120:121], v[122:123] neg_lo:[0,0,1] neg_hi:[0,0,1]
	v_mov_b32_e32 v119, v125
	scratch_store_b64 off, v[118:119], off offset:176
.LBB120_103:
	s_wait_xcnt 0x0
	s_or_b32 exec_lo, exec_lo, s0
	s_wait_storecnt 0x0
	s_barrier_signal -1
	s_barrier_wait -1
	scratch_load_b64 v[118:119], off, off offset:184
	s_mov_b32 s0, exec_lo
	s_wait_loadcnt 0x0
	ds_store_b64 v1, v[118:119]
	s_wait_dscnt 0x0
	s_barrier_signal -1
	s_barrier_wait -1
	v_cmpx_gt_u32_e32 23, v0
	s_cbranch_execz .LBB120_107
; %bb.104:
	v_dual_mov_b32 v118, 0 :: v_dual_add_nc_u32 v9, -1, v0
	v_add_nc_u32_e32 v11, 0x1d0, v116
	v_mov_b32_e32 v13, v116
	s_mov_b32 s1, 0
	s_delay_alu instid0(VALU_DEP_3)
	v_mov_b32_e32 v119, v118
.LBB120_105:                            ; =>This Inner Loop Header: Depth=1
	scratch_load_b64 v[120:121], v13, off
	ds_load_b64 v[122:123], v11
	s_wait_xcnt 0x0
	v_dual_add_nc_u32 v11, 8, v11 :: v_dual_add_nc_u32 v13, 8, v13
	s_wait_loadcnt_dscnt 0x0
	v_pk_mul_f32 v[124:125], v[122:123], v[120:121] op_sel:[1,1] op_sel_hi:[0,1]
	s_delay_alu instid0(VALU_DEP_1) | instskip(SKIP_2) | instid1(VALU_DEP_3)
	v_pk_fma_f32 v[126:127], v[122:123], v[120:121], v[124:125] op_sel_hi:[1,0,1]
	v_add_nc_u32_e32 v9, 1, v9
	v_pk_fma_f32 v[120:121], v[122:123], v[120:121], v[124:125] neg_lo:[0,0,1] neg_hi:[0,0,1]
	v_mov_b32_e32 v121, v127
	s_delay_alu instid0(VALU_DEP_3) | instskip(NEXT) | instid1(VALU_DEP_2)
	v_cmp_lt_u32_e32 vcc_lo, 21, v9
	v_pk_add_f32 v[118:119], v[118:119], v[120:121]
	s_or_b32 s1, vcc_lo, s1
	s_delay_alu instid0(SALU_CYCLE_1)
	s_and_not1_b32 exec_lo, exec_lo, s1
	s_cbranch_execnz .LBB120_105
; %bb.106:
	s_or_b32 exec_lo, exec_lo, s1
	v_mov_b32_e32 v9, 0
	ds_load_b64 v[120:121], v9 offset:184
	s_wait_dscnt 0x0
	v_pk_mul_f32 v[122:123], v[118:119], v[120:121] op_sel:[1,1] op_sel_hi:[0,1]
	s_delay_alu instid0(VALU_DEP_1) | instskip(SKIP_1) | instid1(VALU_DEP_2)
	v_pk_fma_f32 v[124:125], v[118:119], v[120:121], v[122:123] op_sel_hi:[1,0,1]
	v_pk_fma_f32 v[118:119], v[118:119], v[120:121], v[122:123] neg_lo:[0,0,1] neg_hi:[0,0,1]
	v_mov_b32_e32 v119, v125
	scratch_store_b64 off, v[118:119], off offset:184
.LBB120_107:
	s_wait_xcnt 0x0
	s_or_b32 exec_lo, exec_lo, s0
	s_wait_storecnt 0x0
	s_barrier_signal -1
	s_barrier_wait -1
	scratch_load_b64 v[118:119], off, off offset:192
	s_mov_b32 s0, exec_lo
	s_wait_loadcnt 0x0
	ds_store_b64 v1, v[118:119]
	s_wait_dscnt 0x0
	s_barrier_signal -1
	s_barrier_wait -1
	v_cmpx_gt_u32_e32 24, v0
	s_cbranch_execz .LBB120_111
; %bb.108:
	v_dual_mov_b32 v118, 0 :: v_dual_add_nc_u32 v9, -1, v0
	v_add_nc_u32_e32 v11, 0x1d0, v116
	v_mov_b32_e32 v13, v116
	s_mov_b32 s1, 0
	s_delay_alu instid0(VALU_DEP_3)
	v_mov_b32_e32 v119, v118
.LBB120_109:                            ; =>This Inner Loop Header: Depth=1
	scratch_load_b64 v[120:121], v13, off
	ds_load_b64 v[122:123], v11
	s_wait_xcnt 0x0
	v_dual_add_nc_u32 v11, 8, v11 :: v_dual_add_nc_u32 v13, 8, v13
	s_wait_loadcnt_dscnt 0x0
	v_pk_mul_f32 v[124:125], v[122:123], v[120:121] op_sel:[1,1] op_sel_hi:[0,1]
	s_delay_alu instid0(VALU_DEP_1) | instskip(SKIP_2) | instid1(VALU_DEP_3)
	v_pk_fma_f32 v[126:127], v[122:123], v[120:121], v[124:125] op_sel_hi:[1,0,1]
	v_add_nc_u32_e32 v9, 1, v9
	v_pk_fma_f32 v[120:121], v[122:123], v[120:121], v[124:125] neg_lo:[0,0,1] neg_hi:[0,0,1]
	v_mov_b32_e32 v121, v127
	s_delay_alu instid0(VALU_DEP_3) | instskip(NEXT) | instid1(VALU_DEP_2)
	v_cmp_lt_u32_e32 vcc_lo, 22, v9
	v_pk_add_f32 v[118:119], v[118:119], v[120:121]
	s_or_b32 s1, vcc_lo, s1
	s_delay_alu instid0(SALU_CYCLE_1)
	s_and_not1_b32 exec_lo, exec_lo, s1
	s_cbranch_execnz .LBB120_109
; %bb.110:
	s_or_b32 exec_lo, exec_lo, s1
	v_mov_b32_e32 v9, 0
	ds_load_b64 v[120:121], v9 offset:192
	s_wait_dscnt 0x0
	v_pk_mul_f32 v[122:123], v[118:119], v[120:121] op_sel:[1,1] op_sel_hi:[0,1]
	s_delay_alu instid0(VALU_DEP_1) | instskip(SKIP_1) | instid1(VALU_DEP_2)
	v_pk_fma_f32 v[124:125], v[118:119], v[120:121], v[122:123] op_sel_hi:[1,0,1]
	v_pk_fma_f32 v[118:119], v[118:119], v[120:121], v[122:123] neg_lo:[0,0,1] neg_hi:[0,0,1]
	v_mov_b32_e32 v119, v125
	scratch_store_b64 off, v[118:119], off offset:192
.LBB120_111:
	s_wait_xcnt 0x0
	s_or_b32 exec_lo, exec_lo, s0
	s_wait_storecnt 0x0
	s_barrier_signal -1
	s_barrier_wait -1
	scratch_load_b64 v[118:119], off, off offset:200
	s_mov_b32 s0, exec_lo
	s_wait_loadcnt 0x0
	ds_store_b64 v1, v[118:119]
	s_wait_dscnt 0x0
	s_barrier_signal -1
	s_barrier_wait -1
	v_cmpx_gt_u32_e32 25, v0
	s_cbranch_execz .LBB120_115
; %bb.112:
	v_dual_mov_b32 v118, 0 :: v_dual_add_nc_u32 v9, -1, v0
	v_add_nc_u32_e32 v11, 0x1d0, v116
	v_mov_b32_e32 v13, v116
	s_mov_b32 s1, 0
	s_delay_alu instid0(VALU_DEP_3)
	v_mov_b32_e32 v119, v118
.LBB120_113:                            ; =>This Inner Loop Header: Depth=1
	scratch_load_b64 v[120:121], v13, off
	ds_load_b64 v[122:123], v11
	s_wait_xcnt 0x0
	v_dual_add_nc_u32 v11, 8, v11 :: v_dual_add_nc_u32 v13, 8, v13
	s_wait_loadcnt_dscnt 0x0
	v_pk_mul_f32 v[124:125], v[122:123], v[120:121] op_sel:[1,1] op_sel_hi:[0,1]
	s_delay_alu instid0(VALU_DEP_1) | instskip(SKIP_2) | instid1(VALU_DEP_3)
	v_pk_fma_f32 v[126:127], v[122:123], v[120:121], v[124:125] op_sel_hi:[1,0,1]
	v_add_nc_u32_e32 v9, 1, v9
	v_pk_fma_f32 v[120:121], v[122:123], v[120:121], v[124:125] neg_lo:[0,0,1] neg_hi:[0,0,1]
	v_mov_b32_e32 v121, v127
	s_delay_alu instid0(VALU_DEP_3) | instskip(NEXT) | instid1(VALU_DEP_2)
	v_cmp_lt_u32_e32 vcc_lo, 23, v9
	v_pk_add_f32 v[118:119], v[118:119], v[120:121]
	s_or_b32 s1, vcc_lo, s1
	s_delay_alu instid0(SALU_CYCLE_1)
	s_and_not1_b32 exec_lo, exec_lo, s1
	s_cbranch_execnz .LBB120_113
; %bb.114:
	s_or_b32 exec_lo, exec_lo, s1
	v_mov_b32_e32 v9, 0
	ds_load_b64 v[120:121], v9 offset:200
	s_wait_dscnt 0x0
	v_pk_mul_f32 v[122:123], v[118:119], v[120:121] op_sel:[1,1] op_sel_hi:[0,1]
	s_delay_alu instid0(VALU_DEP_1) | instskip(SKIP_1) | instid1(VALU_DEP_2)
	v_pk_fma_f32 v[124:125], v[118:119], v[120:121], v[122:123] op_sel_hi:[1,0,1]
	v_pk_fma_f32 v[118:119], v[118:119], v[120:121], v[122:123] neg_lo:[0,0,1] neg_hi:[0,0,1]
	v_mov_b32_e32 v119, v125
	scratch_store_b64 off, v[118:119], off offset:200
.LBB120_115:
	s_wait_xcnt 0x0
	s_or_b32 exec_lo, exec_lo, s0
	s_wait_storecnt 0x0
	s_barrier_signal -1
	s_barrier_wait -1
	scratch_load_b64 v[118:119], off, off offset:208
	s_mov_b32 s0, exec_lo
	s_wait_loadcnt 0x0
	ds_store_b64 v1, v[118:119]
	s_wait_dscnt 0x0
	s_barrier_signal -1
	s_barrier_wait -1
	v_cmpx_gt_u32_e32 26, v0
	s_cbranch_execz .LBB120_119
; %bb.116:
	v_dual_mov_b32 v118, 0 :: v_dual_add_nc_u32 v9, -1, v0
	v_add_nc_u32_e32 v11, 0x1d0, v116
	v_mov_b32_e32 v13, v116
	s_mov_b32 s1, 0
	s_delay_alu instid0(VALU_DEP_3)
	v_mov_b32_e32 v119, v118
.LBB120_117:                            ; =>This Inner Loop Header: Depth=1
	scratch_load_b64 v[120:121], v13, off
	ds_load_b64 v[122:123], v11
	s_wait_xcnt 0x0
	v_dual_add_nc_u32 v11, 8, v11 :: v_dual_add_nc_u32 v13, 8, v13
	s_wait_loadcnt_dscnt 0x0
	v_pk_mul_f32 v[124:125], v[122:123], v[120:121] op_sel:[1,1] op_sel_hi:[0,1]
	s_delay_alu instid0(VALU_DEP_1) | instskip(SKIP_2) | instid1(VALU_DEP_3)
	v_pk_fma_f32 v[126:127], v[122:123], v[120:121], v[124:125] op_sel_hi:[1,0,1]
	v_add_nc_u32_e32 v9, 1, v9
	v_pk_fma_f32 v[120:121], v[122:123], v[120:121], v[124:125] neg_lo:[0,0,1] neg_hi:[0,0,1]
	v_mov_b32_e32 v121, v127
	s_delay_alu instid0(VALU_DEP_3) | instskip(NEXT) | instid1(VALU_DEP_2)
	v_cmp_lt_u32_e32 vcc_lo, 24, v9
	v_pk_add_f32 v[118:119], v[118:119], v[120:121]
	s_or_b32 s1, vcc_lo, s1
	s_delay_alu instid0(SALU_CYCLE_1)
	s_and_not1_b32 exec_lo, exec_lo, s1
	s_cbranch_execnz .LBB120_117
; %bb.118:
	s_or_b32 exec_lo, exec_lo, s1
	v_mov_b32_e32 v9, 0
	ds_load_b64 v[120:121], v9 offset:208
	s_wait_dscnt 0x0
	v_pk_mul_f32 v[122:123], v[118:119], v[120:121] op_sel:[1,1] op_sel_hi:[0,1]
	s_delay_alu instid0(VALU_DEP_1) | instskip(SKIP_1) | instid1(VALU_DEP_2)
	v_pk_fma_f32 v[124:125], v[118:119], v[120:121], v[122:123] op_sel_hi:[1,0,1]
	v_pk_fma_f32 v[118:119], v[118:119], v[120:121], v[122:123] neg_lo:[0,0,1] neg_hi:[0,0,1]
	v_mov_b32_e32 v119, v125
	scratch_store_b64 off, v[118:119], off offset:208
.LBB120_119:
	s_wait_xcnt 0x0
	s_or_b32 exec_lo, exec_lo, s0
	s_wait_storecnt 0x0
	s_barrier_signal -1
	s_barrier_wait -1
	scratch_load_b64 v[118:119], off, off offset:216
	s_mov_b32 s0, exec_lo
	s_wait_loadcnt 0x0
	ds_store_b64 v1, v[118:119]
	s_wait_dscnt 0x0
	s_barrier_signal -1
	s_barrier_wait -1
	v_cmpx_gt_u32_e32 27, v0
	s_cbranch_execz .LBB120_123
; %bb.120:
	v_dual_mov_b32 v118, 0 :: v_dual_add_nc_u32 v9, -1, v0
	v_add_nc_u32_e32 v11, 0x1d0, v116
	v_mov_b32_e32 v13, v116
	s_mov_b32 s1, 0
	s_delay_alu instid0(VALU_DEP_3)
	v_mov_b32_e32 v119, v118
.LBB120_121:                            ; =>This Inner Loop Header: Depth=1
	scratch_load_b64 v[120:121], v13, off
	ds_load_b64 v[122:123], v11
	s_wait_xcnt 0x0
	v_dual_add_nc_u32 v11, 8, v11 :: v_dual_add_nc_u32 v13, 8, v13
	s_wait_loadcnt_dscnt 0x0
	v_pk_mul_f32 v[124:125], v[122:123], v[120:121] op_sel:[1,1] op_sel_hi:[0,1]
	s_delay_alu instid0(VALU_DEP_1) | instskip(SKIP_2) | instid1(VALU_DEP_3)
	v_pk_fma_f32 v[126:127], v[122:123], v[120:121], v[124:125] op_sel_hi:[1,0,1]
	v_add_nc_u32_e32 v9, 1, v9
	v_pk_fma_f32 v[120:121], v[122:123], v[120:121], v[124:125] neg_lo:[0,0,1] neg_hi:[0,0,1]
	v_mov_b32_e32 v121, v127
	s_delay_alu instid0(VALU_DEP_3) | instskip(NEXT) | instid1(VALU_DEP_2)
	v_cmp_lt_u32_e32 vcc_lo, 25, v9
	v_pk_add_f32 v[118:119], v[118:119], v[120:121]
	s_or_b32 s1, vcc_lo, s1
	s_delay_alu instid0(SALU_CYCLE_1)
	s_and_not1_b32 exec_lo, exec_lo, s1
	s_cbranch_execnz .LBB120_121
; %bb.122:
	s_or_b32 exec_lo, exec_lo, s1
	v_mov_b32_e32 v9, 0
	ds_load_b64 v[120:121], v9 offset:216
	s_wait_dscnt 0x0
	v_pk_mul_f32 v[122:123], v[118:119], v[120:121] op_sel:[1,1] op_sel_hi:[0,1]
	s_delay_alu instid0(VALU_DEP_1) | instskip(SKIP_1) | instid1(VALU_DEP_2)
	v_pk_fma_f32 v[124:125], v[118:119], v[120:121], v[122:123] op_sel_hi:[1,0,1]
	v_pk_fma_f32 v[118:119], v[118:119], v[120:121], v[122:123] neg_lo:[0,0,1] neg_hi:[0,0,1]
	v_mov_b32_e32 v119, v125
	scratch_store_b64 off, v[118:119], off offset:216
.LBB120_123:
	s_wait_xcnt 0x0
	s_or_b32 exec_lo, exec_lo, s0
	s_wait_storecnt 0x0
	s_barrier_signal -1
	s_barrier_wait -1
	scratch_load_b64 v[118:119], off, off offset:224
	s_mov_b32 s0, exec_lo
	s_wait_loadcnt 0x0
	ds_store_b64 v1, v[118:119]
	s_wait_dscnt 0x0
	s_barrier_signal -1
	s_barrier_wait -1
	v_cmpx_gt_u32_e32 28, v0
	s_cbranch_execz .LBB120_127
; %bb.124:
	v_dual_mov_b32 v118, 0 :: v_dual_add_nc_u32 v9, -1, v0
	v_add_nc_u32_e32 v11, 0x1d0, v116
	v_mov_b32_e32 v13, v116
	s_mov_b32 s1, 0
	s_delay_alu instid0(VALU_DEP_3)
	v_mov_b32_e32 v119, v118
.LBB120_125:                            ; =>This Inner Loop Header: Depth=1
	scratch_load_b64 v[120:121], v13, off
	ds_load_b64 v[122:123], v11
	s_wait_xcnt 0x0
	v_dual_add_nc_u32 v11, 8, v11 :: v_dual_add_nc_u32 v13, 8, v13
	s_wait_loadcnt_dscnt 0x0
	v_pk_mul_f32 v[124:125], v[122:123], v[120:121] op_sel:[1,1] op_sel_hi:[0,1]
	s_delay_alu instid0(VALU_DEP_1) | instskip(SKIP_2) | instid1(VALU_DEP_3)
	v_pk_fma_f32 v[126:127], v[122:123], v[120:121], v[124:125] op_sel_hi:[1,0,1]
	v_add_nc_u32_e32 v9, 1, v9
	v_pk_fma_f32 v[120:121], v[122:123], v[120:121], v[124:125] neg_lo:[0,0,1] neg_hi:[0,0,1]
	v_mov_b32_e32 v121, v127
	s_delay_alu instid0(VALU_DEP_3) | instskip(NEXT) | instid1(VALU_DEP_2)
	v_cmp_lt_u32_e32 vcc_lo, 26, v9
	v_pk_add_f32 v[118:119], v[118:119], v[120:121]
	s_or_b32 s1, vcc_lo, s1
	s_delay_alu instid0(SALU_CYCLE_1)
	s_and_not1_b32 exec_lo, exec_lo, s1
	s_cbranch_execnz .LBB120_125
; %bb.126:
	s_or_b32 exec_lo, exec_lo, s1
	v_mov_b32_e32 v9, 0
	ds_load_b64 v[120:121], v9 offset:224
	s_wait_dscnt 0x0
	v_pk_mul_f32 v[122:123], v[118:119], v[120:121] op_sel:[1,1] op_sel_hi:[0,1]
	s_delay_alu instid0(VALU_DEP_1) | instskip(SKIP_1) | instid1(VALU_DEP_2)
	v_pk_fma_f32 v[124:125], v[118:119], v[120:121], v[122:123] op_sel_hi:[1,0,1]
	v_pk_fma_f32 v[118:119], v[118:119], v[120:121], v[122:123] neg_lo:[0,0,1] neg_hi:[0,0,1]
	v_mov_b32_e32 v119, v125
	scratch_store_b64 off, v[118:119], off offset:224
.LBB120_127:
	s_wait_xcnt 0x0
	s_or_b32 exec_lo, exec_lo, s0
	s_wait_storecnt 0x0
	s_barrier_signal -1
	s_barrier_wait -1
	scratch_load_b64 v[118:119], off, off offset:232
	s_mov_b32 s0, exec_lo
	s_wait_loadcnt 0x0
	ds_store_b64 v1, v[118:119]
	s_wait_dscnt 0x0
	s_barrier_signal -1
	s_barrier_wait -1
	v_cmpx_gt_u32_e32 29, v0
	s_cbranch_execz .LBB120_131
; %bb.128:
	v_dual_mov_b32 v118, 0 :: v_dual_add_nc_u32 v9, -1, v0
	v_add_nc_u32_e32 v11, 0x1d0, v116
	v_mov_b32_e32 v13, v116
	s_mov_b32 s1, 0
	s_delay_alu instid0(VALU_DEP_3)
	v_mov_b32_e32 v119, v118
.LBB120_129:                            ; =>This Inner Loop Header: Depth=1
	scratch_load_b64 v[120:121], v13, off
	ds_load_b64 v[122:123], v11
	s_wait_xcnt 0x0
	v_dual_add_nc_u32 v11, 8, v11 :: v_dual_add_nc_u32 v13, 8, v13
	s_wait_loadcnt_dscnt 0x0
	v_pk_mul_f32 v[124:125], v[122:123], v[120:121] op_sel:[1,1] op_sel_hi:[0,1]
	s_delay_alu instid0(VALU_DEP_1) | instskip(SKIP_2) | instid1(VALU_DEP_3)
	v_pk_fma_f32 v[126:127], v[122:123], v[120:121], v[124:125] op_sel_hi:[1,0,1]
	v_add_nc_u32_e32 v9, 1, v9
	v_pk_fma_f32 v[120:121], v[122:123], v[120:121], v[124:125] neg_lo:[0,0,1] neg_hi:[0,0,1]
	v_mov_b32_e32 v121, v127
	s_delay_alu instid0(VALU_DEP_3) | instskip(NEXT) | instid1(VALU_DEP_2)
	v_cmp_lt_u32_e32 vcc_lo, 27, v9
	v_pk_add_f32 v[118:119], v[118:119], v[120:121]
	s_or_b32 s1, vcc_lo, s1
	s_delay_alu instid0(SALU_CYCLE_1)
	s_and_not1_b32 exec_lo, exec_lo, s1
	s_cbranch_execnz .LBB120_129
; %bb.130:
	s_or_b32 exec_lo, exec_lo, s1
	v_mov_b32_e32 v9, 0
	ds_load_b64 v[120:121], v9 offset:232
	s_wait_dscnt 0x0
	v_pk_mul_f32 v[122:123], v[118:119], v[120:121] op_sel:[1,1] op_sel_hi:[0,1]
	s_delay_alu instid0(VALU_DEP_1) | instskip(SKIP_1) | instid1(VALU_DEP_2)
	v_pk_fma_f32 v[124:125], v[118:119], v[120:121], v[122:123] op_sel_hi:[1,0,1]
	v_pk_fma_f32 v[118:119], v[118:119], v[120:121], v[122:123] neg_lo:[0,0,1] neg_hi:[0,0,1]
	v_mov_b32_e32 v119, v125
	scratch_store_b64 off, v[118:119], off offset:232
.LBB120_131:
	s_wait_xcnt 0x0
	s_or_b32 exec_lo, exec_lo, s0
	s_wait_storecnt 0x0
	s_barrier_signal -1
	s_barrier_wait -1
	scratch_load_b64 v[118:119], off, off offset:240
	s_mov_b32 s0, exec_lo
	s_wait_loadcnt 0x0
	ds_store_b64 v1, v[118:119]
	s_wait_dscnt 0x0
	s_barrier_signal -1
	s_barrier_wait -1
	v_cmpx_gt_u32_e32 30, v0
	s_cbranch_execz .LBB120_135
; %bb.132:
	v_dual_mov_b32 v118, 0 :: v_dual_add_nc_u32 v9, -1, v0
	v_add_nc_u32_e32 v11, 0x1d0, v116
	v_mov_b32_e32 v13, v116
	s_mov_b32 s1, 0
	s_delay_alu instid0(VALU_DEP_3)
	v_mov_b32_e32 v119, v118
.LBB120_133:                            ; =>This Inner Loop Header: Depth=1
	scratch_load_b64 v[120:121], v13, off
	ds_load_b64 v[122:123], v11
	s_wait_xcnt 0x0
	v_dual_add_nc_u32 v11, 8, v11 :: v_dual_add_nc_u32 v13, 8, v13
	s_wait_loadcnt_dscnt 0x0
	v_pk_mul_f32 v[124:125], v[122:123], v[120:121] op_sel:[1,1] op_sel_hi:[0,1]
	s_delay_alu instid0(VALU_DEP_1) | instskip(SKIP_2) | instid1(VALU_DEP_3)
	v_pk_fma_f32 v[126:127], v[122:123], v[120:121], v[124:125] op_sel_hi:[1,0,1]
	v_add_nc_u32_e32 v9, 1, v9
	v_pk_fma_f32 v[120:121], v[122:123], v[120:121], v[124:125] neg_lo:[0,0,1] neg_hi:[0,0,1]
	v_mov_b32_e32 v121, v127
	s_delay_alu instid0(VALU_DEP_3) | instskip(NEXT) | instid1(VALU_DEP_2)
	v_cmp_lt_u32_e32 vcc_lo, 28, v9
	v_pk_add_f32 v[118:119], v[118:119], v[120:121]
	s_or_b32 s1, vcc_lo, s1
	s_delay_alu instid0(SALU_CYCLE_1)
	s_and_not1_b32 exec_lo, exec_lo, s1
	s_cbranch_execnz .LBB120_133
; %bb.134:
	s_or_b32 exec_lo, exec_lo, s1
	v_mov_b32_e32 v9, 0
	ds_load_b64 v[120:121], v9 offset:240
	s_wait_dscnt 0x0
	v_pk_mul_f32 v[122:123], v[118:119], v[120:121] op_sel:[1,1] op_sel_hi:[0,1]
	s_delay_alu instid0(VALU_DEP_1) | instskip(SKIP_1) | instid1(VALU_DEP_2)
	v_pk_fma_f32 v[124:125], v[118:119], v[120:121], v[122:123] op_sel_hi:[1,0,1]
	v_pk_fma_f32 v[118:119], v[118:119], v[120:121], v[122:123] neg_lo:[0,0,1] neg_hi:[0,0,1]
	v_mov_b32_e32 v119, v125
	scratch_store_b64 off, v[118:119], off offset:240
.LBB120_135:
	s_wait_xcnt 0x0
	s_or_b32 exec_lo, exec_lo, s0
	s_wait_storecnt 0x0
	s_barrier_signal -1
	s_barrier_wait -1
	scratch_load_b64 v[118:119], off, off offset:248
	s_mov_b32 s0, exec_lo
	s_wait_loadcnt 0x0
	ds_store_b64 v1, v[118:119]
	s_wait_dscnt 0x0
	s_barrier_signal -1
	s_barrier_wait -1
	v_cmpx_gt_u32_e32 31, v0
	s_cbranch_execz .LBB120_139
; %bb.136:
	v_dual_mov_b32 v118, 0 :: v_dual_add_nc_u32 v9, -1, v0
	v_add_nc_u32_e32 v11, 0x1d0, v116
	v_mov_b32_e32 v13, v116
	s_mov_b32 s1, 0
	s_delay_alu instid0(VALU_DEP_3)
	v_mov_b32_e32 v119, v118
.LBB120_137:                            ; =>This Inner Loop Header: Depth=1
	scratch_load_b64 v[120:121], v13, off
	ds_load_b64 v[122:123], v11
	s_wait_xcnt 0x0
	v_dual_add_nc_u32 v11, 8, v11 :: v_dual_add_nc_u32 v13, 8, v13
	s_wait_loadcnt_dscnt 0x0
	v_pk_mul_f32 v[124:125], v[122:123], v[120:121] op_sel:[1,1] op_sel_hi:[0,1]
	s_delay_alu instid0(VALU_DEP_1) | instskip(SKIP_2) | instid1(VALU_DEP_3)
	v_pk_fma_f32 v[126:127], v[122:123], v[120:121], v[124:125] op_sel_hi:[1,0,1]
	v_add_nc_u32_e32 v9, 1, v9
	v_pk_fma_f32 v[120:121], v[122:123], v[120:121], v[124:125] neg_lo:[0,0,1] neg_hi:[0,0,1]
	v_mov_b32_e32 v121, v127
	s_delay_alu instid0(VALU_DEP_3) | instskip(NEXT) | instid1(VALU_DEP_2)
	v_cmp_lt_u32_e32 vcc_lo, 29, v9
	v_pk_add_f32 v[118:119], v[118:119], v[120:121]
	s_or_b32 s1, vcc_lo, s1
	s_delay_alu instid0(SALU_CYCLE_1)
	s_and_not1_b32 exec_lo, exec_lo, s1
	s_cbranch_execnz .LBB120_137
; %bb.138:
	s_or_b32 exec_lo, exec_lo, s1
	v_mov_b32_e32 v9, 0
	ds_load_b64 v[120:121], v9 offset:248
	s_wait_dscnt 0x0
	v_pk_mul_f32 v[122:123], v[118:119], v[120:121] op_sel:[1,1] op_sel_hi:[0,1]
	s_delay_alu instid0(VALU_DEP_1) | instskip(SKIP_1) | instid1(VALU_DEP_2)
	v_pk_fma_f32 v[124:125], v[118:119], v[120:121], v[122:123] op_sel_hi:[1,0,1]
	v_pk_fma_f32 v[118:119], v[118:119], v[120:121], v[122:123] neg_lo:[0,0,1] neg_hi:[0,0,1]
	v_mov_b32_e32 v119, v125
	scratch_store_b64 off, v[118:119], off offset:248
.LBB120_139:
	s_wait_xcnt 0x0
	s_or_b32 exec_lo, exec_lo, s0
	s_wait_storecnt 0x0
	s_barrier_signal -1
	s_barrier_wait -1
	scratch_load_b64 v[118:119], off, off offset:256
	s_mov_b32 s0, exec_lo
	s_wait_loadcnt 0x0
	ds_store_b64 v1, v[118:119]
	s_wait_dscnt 0x0
	s_barrier_signal -1
	s_barrier_wait -1
	v_cmpx_gt_u32_e32 32, v0
	s_cbranch_execz .LBB120_143
; %bb.140:
	v_dual_mov_b32 v118, 0 :: v_dual_add_nc_u32 v9, -1, v0
	v_add_nc_u32_e32 v11, 0x1d0, v116
	v_mov_b32_e32 v13, v116
	s_mov_b32 s1, 0
	s_delay_alu instid0(VALU_DEP_3)
	v_mov_b32_e32 v119, v118
.LBB120_141:                            ; =>This Inner Loop Header: Depth=1
	scratch_load_b64 v[120:121], v13, off
	ds_load_b64 v[122:123], v11
	s_wait_xcnt 0x0
	v_dual_add_nc_u32 v11, 8, v11 :: v_dual_add_nc_u32 v13, 8, v13
	s_wait_loadcnt_dscnt 0x0
	v_pk_mul_f32 v[124:125], v[122:123], v[120:121] op_sel:[1,1] op_sel_hi:[0,1]
	s_delay_alu instid0(VALU_DEP_1) | instskip(SKIP_2) | instid1(VALU_DEP_3)
	v_pk_fma_f32 v[126:127], v[122:123], v[120:121], v[124:125] op_sel_hi:[1,0,1]
	v_add_nc_u32_e32 v9, 1, v9
	v_pk_fma_f32 v[120:121], v[122:123], v[120:121], v[124:125] neg_lo:[0,0,1] neg_hi:[0,0,1]
	v_mov_b32_e32 v121, v127
	s_delay_alu instid0(VALU_DEP_3) | instskip(NEXT) | instid1(VALU_DEP_2)
	v_cmp_lt_u32_e32 vcc_lo, 30, v9
	v_pk_add_f32 v[118:119], v[118:119], v[120:121]
	s_or_b32 s1, vcc_lo, s1
	s_delay_alu instid0(SALU_CYCLE_1)
	s_and_not1_b32 exec_lo, exec_lo, s1
	s_cbranch_execnz .LBB120_141
; %bb.142:
	s_or_b32 exec_lo, exec_lo, s1
	v_mov_b32_e32 v9, 0
	ds_load_b64 v[120:121], v9 offset:256
	s_wait_dscnt 0x0
	v_pk_mul_f32 v[122:123], v[118:119], v[120:121] op_sel:[1,1] op_sel_hi:[0,1]
	s_delay_alu instid0(VALU_DEP_1) | instskip(SKIP_1) | instid1(VALU_DEP_2)
	v_pk_fma_f32 v[124:125], v[118:119], v[120:121], v[122:123] op_sel_hi:[1,0,1]
	v_pk_fma_f32 v[118:119], v[118:119], v[120:121], v[122:123] neg_lo:[0,0,1] neg_hi:[0,0,1]
	v_mov_b32_e32 v119, v125
	scratch_store_b64 off, v[118:119], off offset:256
.LBB120_143:
	s_wait_xcnt 0x0
	s_or_b32 exec_lo, exec_lo, s0
	s_wait_storecnt 0x0
	s_barrier_signal -1
	s_barrier_wait -1
	scratch_load_b64 v[118:119], off, off offset:264
	s_mov_b32 s0, exec_lo
	s_wait_loadcnt 0x0
	ds_store_b64 v1, v[118:119]
	s_wait_dscnt 0x0
	s_barrier_signal -1
	s_barrier_wait -1
	v_cmpx_gt_u32_e32 33, v0
	s_cbranch_execz .LBB120_147
; %bb.144:
	v_dual_mov_b32 v118, 0 :: v_dual_add_nc_u32 v9, -1, v0
	v_add_nc_u32_e32 v11, 0x1d0, v116
	v_mov_b32_e32 v13, v116
	s_mov_b32 s1, 0
	s_delay_alu instid0(VALU_DEP_3)
	v_mov_b32_e32 v119, v118
.LBB120_145:                            ; =>This Inner Loop Header: Depth=1
	scratch_load_b64 v[120:121], v13, off
	ds_load_b64 v[122:123], v11
	s_wait_xcnt 0x0
	v_dual_add_nc_u32 v11, 8, v11 :: v_dual_add_nc_u32 v13, 8, v13
	s_wait_loadcnt_dscnt 0x0
	v_pk_mul_f32 v[124:125], v[122:123], v[120:121] op_sel:[1,1] op_sel_hi:[0,1]
	s_delay_alu instid0(VALU_DEP_1) | instskip(SKIP_2) | instid1(VALU_DEP_3)
	v_pk_fma_f32 v[126:127], v[122:123], v[120:121], v[124:125] op_sel_hi:[1,0,1]
	v_add_nc_u32_e32 v9, 1, v9
	v_pk_fma_f32 v[120:121], v[122:123], v[120:121], v[124:125] neg_lo:[0,0,1] neg_hi:[0,0,1]
	v_mov_b32_e32 v121, v127
	s_delay_alu instid0(VALU_DEP_3) | instskip(NEXT) | instid1(VALU_DEP_2)
	v_cmp_lt_u32_e32 vcc_lo, 31, v9
	v_pk_add_f32 v[118:119], v[118:119], v[120:121]
	s_or_b32 s1, vcc_lo, s1
	s_delay_alu instid0(SALU_CYCLE_1)
	s_and_not1_b32 exec_lo, exec_lo, s1
	s_cbranch_execnz .LBB120_145
; %bb.146:
	s_or_b32 exec_lo, exec_lo, s1
	v_mov_b32_e32 v9, 0
	ds_load_b64 v[120:121], v9 offset:264
	s_wait_dscnt 0x0
	v_pk_mul_f32 v[122:123], v[118:119], v[120:121] op_sel:[1,1] op_sel_hi:[0,1]
	s_delay_alu instid0(VALU_DEP_1) | instskip(SKIP_1) | instid1(VALU_DEP_2)
	v_pk_fma_f32 v[124:125], v[118:119], v[120:121], v[122:123] op_sel_hi:[1,0,1]
	v_pk_fma_f32 v[118:119], v[118:119], v[120:121], v[122:123] neg_lo:[0,0,1] neg_hi:[0,0,1]
	v_mov_b32_e32 v119, v125
	scratch_store_b64 off, v[118:119], off offset:264
.LBB120_147:
	s_wait_xcnt 0x0
	s_or_b32 exec_lo, exec_lo, s0
	s_wait_storecnt 0x0
	s_barrier_signal -1
	s_barrier_wait -1
	scratch_load_b64 v[118:119], off, off offset:272
	s_mov_b32 s0, exec_lo
	s_wait_loadcnt 0x0
	ds_store_b64 v1, v[118:119]
	s_wait_dscnt 0x0
	s_barrier_signal -1
	s_barrier_wait -1
	v_cmpx_gt_u32_e32 34, v0
	s_cbranch_execz .LBB120_151
; %bb.148:
	v_dual_mov_b32 v118, 0 :: v_dual_add_nc_u32 v9, -1, v0
	v_add_nc_u32_e32 v11, 0x1d0, v116
	v_mov_b32_e32 v13, v116
	s_mov_b32 s1, 0
	s_delay_alu instid0(VALU_DEP_3)
	v_mov_b32_e32 v119, v118
.LBB120_149:                            ; =>This Inner Loop Header: Depth=1
	scratch_load_b64 v[120:121], v13, off
	ds_load_b64 v[122:123], v11
	s_wait_xcnt 0x0
	v_dual_add_nc_u32 v11, 8, v11 :: v_dual_add_nc_u32 v13, 8, v13
	s_wait_loadcnt_dscnt 0x0
	v_pk_mul_f32 v[124:125], v[122:123], v[120:121] op_sel:[1,1] op_sel_hi:[0,1]
	s_delay_alu instid0(VALU_DEP_1) | instskip(SKIP_2) | instid1(VALU_DEP_3)
	v_pk_fma_f32 v[126:127], v[122:123], v[120:121], v[124:125] op_sel_hi:[1,0,1]
	v_add_nc_u32_e32 v9, 1, v9
	v_pk_fma_f32 v[120:121], v[122:123], v[120:121], v[124:125] neg_lo:[0,0,1] neg_hi:[0,0,1]
	v_mov_b32_e32 v121, v127
	s_delay_alu instid0(VALU_DEP_3) | instskip(NEXT) | instid1(VALU_DEP_2)
	v_cmp_lt_u32_e32 vcc_lo, 32, v9
	v_pk_add_f32 v[118:119], v[118:119], v[120:121]
	s_or_b32 s1, vcc_lo, s1
	s_delay_alu instid0(SALU_CYCLE_1)
	s_and_not1_b32 exec_lo, exec_lo, s1
	s_cbranch_execnz .LBB120_149
; %bb.150:
	s_or_b32 exec_lo, exec_lo, s1
	v_mov_b32_e32 v9, 0
	ds_load_b64 v[120:121], v9 offset:272
	s_wait_dscnt 0x0
	v_pk_mul_f32 v[122:123], v[118:119], v[120:121] op_sel:[1,1] op_sel_hi:[0,1]
	s_delay_alu instid0(VALU_DEP_1) | instskip(SKIP_1) | instid1(VALU_DEP_2)
	v_pk_fma_f32 v[124:125], v[118:119], v[120:121], v[122:123] op_sel_hi:[1,0,1]
	v_pk_fma_f32 v[118:119], v[118:119], v[120:121], v[122:123] neg_lo:[0,0,1] neg_hi:[0,0,1]
	v_mov_b32_e32 v119, v125
	scratch_store_b64 off, v[118:119], off offset:272
.LBB120_151:
	s_wait_xcnt 0x0
	s_or_b32 exec_lo, exec_lo, s0
	s_wait_storecnt 0x0
	s_barrier_signal -1
	s_barrier_wait -1
	scratch_load_b64 v[118:119], off, off offset:280
	s_mov_b32 s0, exec_lo
	s_wait_loadcnt 0x0
	ds_store_b64 v1, v[118:119]
	s_wait_dscnt 0x0
	s_barrier_signal -1
	s_barrier_wait -1
	v_cmpx_gt_u32_e32 35, v0
	s_cbranch_execz .LBB120_155
; %bb.152:
	v_dual_mov_b32 v118, 0 :: v_dual_add_nc_u32 v9, -1, v0
	v_add_nc_u32_e32 v11, 0x1d0, v116
	v_mov_b32_e32 v13, v116
	s_mov_b32 s1, 0
	s_delay_alu instid0(VALU_DEP_3)
	v_mov_b32_e32 v119, v118
.LBB120_153:                            ; =>This Inner Loop Header: Depth=1
	scratch_load_b64 v[120:121], v13, off
	ds_load_b64 v[122:123], v11
	s_wait_xcnt 0x0
	v_dual_add_nc_u32 v11, 8, v11 :: v_dual_add_nc_u32 v13, 8, v13
	s_wait_loadcnt_dscnt 0x0
	v_pk_mul_f32 v[124:125], v[122:123], v[120:121] op_sel:[1,1] op_sel_hi:[0,1]
	s_delay_alu instid0(VALU_DEP_1) | instskip(SKIP_2) | instid1(VALU_DEP_3)
	v_pk_fma_f32 v[126:127], v[122:123], v[120:121], v[124:125] op_sel_hi:[1,0,1]
	v_add_nc_u32_e32 v9, 1, v9
	v_pk_fma_f32 v[120:121], v[122:123], v[120:121], v[124:125] neg_lo:[0,0,1] neg_hi:[0,0,1]
	v_mov_b32_e32 v121, v127
	s_delay_alu instid0(VALU_DEP_3) | instskip(NEXT) | instid1(VALU_DEP_2)
	v_cmp_lt_u32_e32 vcc_lo, 33, v9
	v_pk_add_f32 v[118:119], v[118:119], v[120:121]
	s_or_b32 s1, vcc_lo, s1
	s_delay_alu instid0(SALU_CYCLE_1)
	s_and_not1_b32 exec_lo, exec_lo, s1
	s_cbranch_execnz .LBB120_153
; %bb.154:
	s_or_b32 exec_lo, exec_lo, s1
	v_mov_b32_e32 v9, 0
	ds_load_b64 v[120:121], v9 offset:280
	s_wait_dscnt 0x0
	v_pk_mul_f32 v[122:123], v[118:119], v[120:121] op_sel:[1,1] op_sel_hi:[0,1]
	s_delay_alu instid0(VALU_DEP_1) | instskip(SKIP_1) | instid1(VALU_DEP_2)
	v_pk_fma_f32 v[124:125], v[118:119], v[120:121], v[122:123] op_sel_hi:[1,0,1]
	v_pk_fma_f32 v[118:119], v[118:119], v[120:121], v[122:123] neg_lo:[0,0,1] neg_hi:[0,0,1]
	v_mov_b32_e32 v119, v125
	scratch_store_b64 off, v[118:119], off offset:280
.LBB120_155:
	s_wait_xcnt 0x0
	s_or_b32 exec_lo, exec_lo, s0
	s_wait_storecnt 0x0
	s_barrier_signal -1
	s_barrier_wait -1
	scratch_load_b64 v[118:119], off, off offset:288
	s_mov_b32 s0, exec_lo
	s_wait_loadcnt 0x0
	ds_store_b64 v1, v[118:119]
	s_wait_dscnt 0x0
	s_barrier_signal -1
	s_barrier_wait -1
	v_cmpx_gt_u32_e32 36, v0
	s_cbranch_execz .LBB120_159
; %bb.156:
	v_dual_mov_b32 v118, 0 :: v_dual_add_nc_u32 v9, -1, v0
	v_add_nc_u32_e32 v11, 0x1d0, v116
	v_mov_b32_e32 v13, v116
	s_mov_b32 s1, 0
	s_delay_alu instid0(VALU_DEP_3)
	v_mov_b32_e32 v119, v118
.LBB120_157:                            ; =>This Inner Loop Header: Depth=1
	scratch_load_b64 v[120:121], v13, off
	ds_load_b64 v[122:123], v11
	s_wait_xcnt 0x0
	v_dual_add_nc_u32 v11, 8, v11 :: v_dual_add_nc_u32 v13, 8, v13
	s_wait_loadcnt_dscnt 0x0
	v_pk_mul_f32 v[124:125], v[122:123], v[120:121] op_sel:[1,1] op_sel_hi:[0,1]
	s_delay_alu instid0(VALU_DEP_1) | instskip(SKIP_2) | instid1(VALU_DEP_3)
	v_pk_fma_f32 v[126:127], v[122:123], v[120:121], v[124:125] op_sel_hi:[1,0,1]
	v_add_nc_u32_e32 v9, 1, v9
	v_pk_fma_f32 v[120:121], v[122:123], v[120:121], v[124:125] neg_lo:[0,0,1] neg_hi:[0,0,1]
	v_mov_b32_e32 v121, v127
	s_delay_alu instid0(VALU_DEP_3) | instskip(NEXT) | instid1(VALU_DEP_2)
	v_cmp_lt_u32_e32 vcc_lo, 34, v9
	v_pk_add_f32 v[118:119], v[118:119], v[120:121]
	s_or_b32 s1, vcc_lo, s1
	s_delay_alu instid0(SALU_CYCLE_1)
	s_and_not1_b32 exec_lo, exec_lo, s1
	s_cbranch_execnz .LBB120_157
; %bb.158:
	s_or_b32 exec_lo, exec_lo, s1
	v_mov_b32_e32 v9, 0
	ds_load_b64 v[120:121], v9 offset:288
	s_wait_dscnt 0x0
	v_pk_mul_f32 v[122:123], v[118:119], v[120:121] op_sel:[1,1] op_sel_hi:[0,1]
	s_delay_alu instid0(VALU_DEP_1) | instskip(SKIP_1) | instid1(VALU_DEP_2)
	v_pk_fma_f32 v[124:125], v[118:119], v[120:121], v[122:123] op_sel_hi:[1,0,1]
	v_pk_fma_f32 v[118:119], v[118:119], v[120:121], v[122:123] neg_lo:[0,0,1] neg_hi:[0,0,1]
	v_mov_b32_e32 v119, v125
	scratch_store_b64 off, v[118:119], off offset:288
.LBB120_159:
	s_wait_xcnt 0x0
	s_or_b32 exec_lo, exec_lo, s0
	s_wait_storecnt 0x0
	s_barrier_signal -1
	s_barrier_wait -1
	scratch_load_b64 v[118:119], off, off offset:296
	s_mov_b32 s0, exec_lo
	s_wait_loadcnt 0x0
	ds_store_b64 v1, v[118:119]
	s_wait_dscnt 0x0
	s_barrier_signal -1
	s_barrier_wait -1
	v_cmpx_gt_u32_e32 37, v0
	s_cbranch_execz .LBB120_163
; %bb.160:
	v_dual_mov_b32 v118, 0 :: v_dual_add_nc_u32 v9, -1, v0
	v_add_nc_u32_e32 v11, 0x1d0, v116
	v_mov_b32_e32 v13, v116
	s_mov_b32 s1, 0
	s_delay_alu instid0(VALU_DEP_3)
	v_mov_b32_e32 v119, v118
.LBB120_161:                            ; =>This Inner Loop Header: Depth=1
	scratch_load_b64 v[120:121], v13, off
	ds_load_b64 v[122:123], v11
	s_wait_xcnt 0x0
	v_dual_add_nc_u32 v11, 8, v11 :: v_dual_add_nc_u32 v13, 8, v13
	s_wait_loadcnt_dscnt 0x0
	v_pk_mul_f32 v[124:125], v[122:123], v[120:121] op_sel:[1,1] op_sel_hi:[0,1]
	s_delay_alu instid0(VALU_DEP_1) | instskip(SKIP_2) | instid1(VALU_DEP_3)
	v_pk_fma_f32 v[126:127], v[122:123], v[120:121], v[124:125] op_sel_hi:[1,0,1]
	v_add_nc_u32_e32 v9, 1, v9
	v_pk_fma_f32 v[120:121], v[122:123], v[120:121], v[124:125] neg_lo:[0,0,1] neg_hi:[0,0,1]
	v_mov_b32_e32 v121, v127
	s_delay_alu instid0(VALU_DEP_3) | instskip(NEXT) | instid1(VALU_DEP_2)
	v_cmp_lt_u32_e32 vcc_lo, 35, v9
	v_pk_add_f32 v[118:119], v[118:119], v[120:121]
	s_or_b32 s1, vcc_lo, s1
	s_delay_alu instid0(SALU_CYCLE_1)
	s_and_not1_b32 exec_lo, exec_lo, s1
	s_cbranch_execnz .LBB120_161
; %bb.162:
	s_or_b32 exec_lo, exec_lo, s1
	v_mov_b32_e32 v9, 0
	ds_load_b64 v[120:121], v9 offset:296
	s_wait_dscnt 0x0
	v_pk_mul_f32 v[122:123], v[118:119], v[120:121] op_sel:[1,1] op_sel_hi:[0,1]
	s_delay_alu instid0(VALU_DEP_1) | instskip(SKIP_1) | instid1(VALU_DEP_2)
	v_pk_fma_f32 v[124:125], v[118:119], v[120:121], v[122:123] op_sel_hi:[1,0,1]
	v_pk_fma_f32 v[118:119], v[118:119], v[120:121], v[122:123] neg_lo:[0,0,1] neg_hi:[0,0,1]
	v_mov_b32_e32 v119, v125
	scratch_store_b64 off, v[118:119], off offset:296
.LBB120_163:
	s_wait_xcnt 0x0
	s_or_b32 exec_lo, exec_lo, s0
	s_wait_storecnt 0x0
	s_barrier_signal -1
	s_barrier_wait -1
	scratch_load_b64 v[118:119], off, off offset:304
	s_mov_b32 s0, exec_lo
	s_wait_loadcnt 0x0
	ds_store_b64 v1, v[118:119]
	s_wait_dscnt 0x0
	s_barrier_signal -1
	s_barrier_wait -1
	v_cmpx_gt_u32_e32 38, v0
	s_cbranch_execz .LBB120_167
; %bb.164:
	v_dual_mov_b32 v118, 0 :: v_dual_add_nc_u32 v9, -1, v0
	v_add_nc_u32_e32 v11, 0x1d0, v116
	v_mov_b32_e32 v13, v116
	s_mov_b32 s1, 0
	s_delay_alu instid0(VALU_DEP_3)
	v_mov_b32_e32 v119, v118
.LBB120_165:                            ; =>This Inner Loop Header: Depth=1
	scratch_load_b64 v[120:121], v13, off
	ds_load_b64 v[122:123], v11
	s_wait_xcnt 0x0
	v_dual_add_nc_u32 v11, 8, v11 :: v_dual_add_nc_u32 v13, 8, v13
	s_wait_loadcnt_dscnt 0x0
	v_pk_mul_f32 v[124:125], v[122:123], v[120:121] op_sel:[1,1] op_sel_hi:[0,1]
	s_delay_alu instid0(VALU_DEP_1) | instskip(SKIP_2) | instid1(VALU_DEP_3)
	v_pk_fma_f32 v[126:127], v[122:123], v[120:121], v[124:125] op_sel_hi:[1,0,1]
	v_add_nc_u32_e32 v9, 1, v9
	v_pk_fma_f32 v[120:121], v[122:123], v[120:121], v[124:125] neg_lo:[0,0,1] neg_hi:[0,0,1]
	v_mov_b32_e32 v121, v127
	s_delay_alu instid0(VALU_DEP_3) | instskip(NEXT) | instid1(VALU_DEP_2)
	v_cmp_lt_u32_e32 vcc_lo, 36, v9
	v_pk_add_f32 v[118:119], v[118:119], v[120:121]
	s_or_b32 s1, vcc_lo, s1
	s_delay_alu instid0(SALU_CYCLE_1)
	s_and_not1_b32 exec_lo, exec_lo, s1
	s_cbranch_execnz .LBB120_165
; %bb.166:
	s_or_b32 exec_lo, exec_lo, s1
	v_mov_b32_e32 v9, 0
	ds_load_b64 v[120:121], v9 offset:304
	s_wait_dscnt 0x0
	v_pk_mul_f32 v[122:123], v[118:119], v[120:121] op_sel:[1,1] op_sel_hi:[0,1]
	s_delay_alu instid0(VALU_DEP_1) | instskip(SKIP_1) | instid1(VALU_DEP_2)
	v_pk_fma_f32 v[124:125], v[118:119], v[120:121], v[122:123] op_sel_hi:[1,0,1]
	v_pk_fma_f32 v[118:119], v[118:119], v[120:121], v[122:123] neg_lo:[0,0,1] neg_hi:[0,0,1]
	v_mov_b32_e32 v119, v125
	scratch_store_b64 off, v[118:119], off offset:304
.LBB120_167:
	s_wait_xcnt 0x0
	s_or_b32 exec_lo, exec_lo, s0
	s_wait_storecnt 0x0
	s_barrier_signal -1
	s_barrier_wait -1
	scratch_load_b64 v[118:119], off, off offset:312
	s_mov_b32 s0, exec_lo
	s_wait_loadcnt 0x0
	ds_store_b64 v1, v[118:119]
	s_wait_dscnt 0x0
	s_barrier_signal -1
	s_barrier_wait -1
	v_cmpx_gt_u32_e32 39, v0
	s_cbranch_execz .LBB120_171
; %bb.168:
	v_dual_mov_b32 v118, 0 :: v_dual_add_nc_u32 v9, -1, v0
	v_add_nc_u32_e32 v11, 0x1d0, v116
	v_mov_b32_e32 v13, v116
	s_mov_b32 s1, 0
	s_delay_alu instid0(VALU_DEP_3)
	v_mov_b32_e32 v119, v118
.LBB120_169:                            ; =>This Inner Loop Header: Depth=1
	scratch_load_b64 v[120:121], v13, off
	ds_load_b64 v[122:123], v11
	s_wait_xcnt 0x0
	v_dual_add_nc_u32 v11, 8, v11 :: v_dual_add_nc_u32 v13, 8, v13
	s_wait_loadcnt_dscnt 0x0
	v_pk_mul_f32 v[124:125], v[122:123], v[120:121] op_sel:[1,1] op_sel_hi:[0,1]
	s_delay_alu instid0(VALU_DEP_1) | instskip(SKIP_2) | instid1(VALU_DEP_3)
	v_pk_fma_f32 v[126:127], v[122:123], v[120:121], v[124:125] op_sel_hi:[1,0,1]
	v_add_nc_u32_e32 v9, 1, v9
	v_pk_fma_f32 v[120:121], v[122:123], v[120:121], v[124:125] neg_lo:[0,0,1] neg_hi:[0,0,1]
	v_mov_b32_e32 v121, v127
	s_delay_alu instid0(VALU_DEP_3) | instskip(NEXT) | instid1(VALU_DEP_2)
	v_cmp_lt_u32_e32 vcc_lo, 37, v9
	v_pk_add_f32 v[118:119], v[118:119], v[120:121]
	s_or_b32 s1, vcc_lo, s1
	s_delay_alu instid0(SALU_CYCLE_1)
	s_and_not1_b32 exec_lo, exec_lo, s1
	s_cbranch_execnz .LBB120_169
; %bb.170:
	s_or_b32 exec_lo, exec_lo, s1
	v_mov_b32_e32 v9, 0
	ds_load_b64 v[120:121], v9 offset:312
	s_wait_dscnt 0x0
	v_pk_mul_f32 v[122:123], v[118:119], v[120:121] op_sel:[1,1] op_sel_hi:[0,1]
	s_delay_alu instid0(VALU_DEP_1) | instskip(SKIP_1) | instid1(VALU_DEP_2)
	v_pk_fma_f32 v[124:125], v[118:119], v[120:121], v[122:123] op_sel_hi:[1,0,1]
	v_pk_fma_f32 v[118:119], v[118:119], v[120:121], v[122:123] neg_lo:[0,0,1] neg_hi:[0,0,1]
	v_mov_b32_e32 v119, v125
	scratch_store_b64 off, v[118:119], off offset:312
.LBB120_171:
	s_wait_xcnt 0x0
	s_or_b32 exec_lo, exec_lo, s0
	s_wait_storecnt 0x0
	s_barrier_signal -1
	s_barrier_wait -1
	scratch_load_b64 v[118:119], off, off offset:320
	s_mov_b32 s0, exec_lo
	s_wait_loadcnt 0x0
	ds_store_b64 v1, v[118:119]
	s_wait_dscnt 0x0
	s_barrier_signal -1
	s_barrier_wait -1
	v_cmpx_gt_u32_e32 40, v0
	s_cbranch_execz .LBB120_175
; %bb.172:
	v_dual_mov_b32 v118, 0 :: v_dual_add_nc_u32 v9, -1, v0
	v_add_nc_u32_e32 v11, 0x1d0, v116
	v_mov_b32_e32 v13, v116
	s_mov_b32 s1, 0
	s_delay_alu instid0(VALU_DEP_3)
	v_mov_b32_e32 v119, v118
.LBB120_173:                            ; =>This Inner Loop Header: Depth=1
	scratch_load_b64 v[120:121], v13, off
	ds_load_b64 v[122:123], v11
	s_wait_xcnt 0x0
	v_dual_add_nc_u32 v11, 8, v11 :: v_dual_add_nc_u32 v13, 8, v13
	s_wait_loadcnt_dscnt 0x0
	v_pk_mul_f32 v[124:125], v[122:123], v[120:121] op_sel:[1,1] op_sel_hi:[0,1]
	s_delay_alu instid0(VALU_DEP_1) | instskip(SKIP_2) | instid1(VALU_DEP_3)
	v_pk_fma_f32 v[126:127], v[122:123], v[120:121], v[124:125] op_sel_hi:[1,0,1]
	v_add_nc_u32_e32 v9, 1, v9
	v_pk_fma_f32 v[120:121], v[122:123], v[120:121], v[124:125] neg_lo:[0,0,1] neg_hi:[0,0,1]
	v_mov_b32_e32 v121, v127
	s_delay_alu instid0(VALU_DEP_3) | instskip(NEXT) | instid1(VALU_DEP_2)
	v_cmp_lt_u32_e32 vcc_lo, 38, v9
	v_pk_add_f32 v[118:119], v[118:119], v[120:121]
	s_or_b32 s1, vcc_lo, s1
	s_delay_alu instid0(SALU_CYCLE_1)
	s_and_not1_b32 exec_lo, exec_lo, s1
	s_cbranch_execnz .LBB120_173
; %bb.174:
	s_or_b32 exec_lo, exec_lo, s1
	v_mov_b32_e32 v9, 0
	ds_load_b64 v[120:121], v9 offset:320
	s_wait_dscnt 0x0
	v_pk_mul_f32 v[122:123], v[118:119], v[120:121] op_sel:[1,1] op_sel_hi:[0,1]
	s_delay_alu instid0(VALU_DEP_1) | instskip(SKIP_1) | instid1(VALU_DEP_2)
	v_pk_fma_f32 v[124:125], v[118:119], v[120:121], v[122:123] op_sel_hi:[1,0,1]
	v_pk_fma_f32 v[118:119], v[118:119], v[120:121], v[122:123] neg_lo:[0,0,1] neg_hi:[0,0,1]
	v_mov_b32_e32 v119, v125
	scratch_store_b64 off, v[118:119], off offset:320
.LBB120_175:
	s_wait_xcnt 0x0
	s_or_b32 exec_lo, exec_lo, s0
	s_wait_storecnt 0x0
	s_barrier_signal -1
	s_barrier_wait -1
	scratch_load_b64 v[118:119], off, off offset:328
	s_mov_b32 s0, exec_lo
	s_wait_loadcnt 0x0
	ds_store_b64 v1, v[118:119]
	s_wait_dscnt 0x0
	s_barrier_signal -1
	s_barrier_wait -1
	v_cmpx_gt_u32_e32 41, v0
	s_cbranch_execz .LBB120_179
; %bb.176:
	v_dual_mov_b32 v118, 0 :: v_dual_add_nc_u32 v9, -1, v0
	v_add_nc_u32_e32 v11, 0x1d0, v116
	v_mov_b32_e32 v13, v116
	s_mov_b32 s1, 0
	s_delay_alu instid0(VALU_DEP_3)
	v_mov_b32_e32 v119, v118
.LBB120_177:                            ; =>This Inner Loop Header: Depth=1
	scratch_load_b64 v[120:121], v13, off
	ds_load_b64 v[122:123], v11
	s_wait_xcnt 0x0
	v_dual_add_nc_u32 v11, 8, v11 :: v_dual_add_nc_u32 v13, 8, v13
	s_wait_loadcnt_dscnt 0x0
	v_pk_mul_f32 v[124:125], v[122:123], v[120:121] op_sel:[1,1] op_sel_hi:[0,1]
	s_delay_alu instid0(VALU_DEP_1) | instskip(SKIP_2) | instid1(VALU_DEP_3)
	v_pk_fma_f32 v[126:127], v[122:123], v[120:121], v[124:125] op_sel_hi:[1,0,1]
	v_add_nc_u32_e32 v9, 1, v9
	v_pk_fma_f32 v[120:121], v[122:123], v[120:121], v[124:125] neg_lo:[0,0,1] neg_hi:[0,0,1]
	v_mov_b32_e32 v121, v127
	s_delay_alu instid0(VALU_DEP_3) | instskip(NEXT) | instid1(VALU_DEP_2)
	v_cmp_lt_u32_e32 vcc_lo, 39, v9
	v_pk_add_f32 v[118:119], v[118:119], v[120:121]
	s_or_b32 s1, vcc_lo, s1
	s_delay_alu instid0(SALU_CYCLE_1)
	s_and_not1_b32 exec_lo, exec_lo, s1
	s_cbranch_execnz .LBB120_177
; %bb.178:
	s_or_b32 exec_lo, exec_lo, s1
	v_mov_b32_e32 v9, 0
	ds_load_b64 v[120:121], v9 offset:328
	s_wait_dscnt 0x0
	v_pk_mul_f32 v[122:123], v[118:119], v[120:121] op_sel:[1,1] op_sel_hi:[0,1]
	s_delay_alu instid0(VALU_DEP_1) | instskip(SKIP_1) | instid1(VALU_DEP_2)
	v_pk_fma_f32 v[124:125], v[118:119], v[120:121], v[122:123] op_sel_hi:[1,0,1]
	v_pk_fma_f32 v[118:119], v[118:119], v[120:121], v[122:123] neg_lo:[0,0,1] neg_hi:[0,0,1]
	v_mov_b32_e32 v119, v125
	scratch_store_b64 off, v[118:119], off offset:328
.LBB120_179:
	s_wait_xcnt 0x0
	s_or_b32 exec_lo, exec_lo, s0
	s_wait_storecnt 0x0
	s_barrier_signal -1
	s_barrier_wait -1
	scratch_load_b64 v[118:119], off, off offset:336
	s_mov_b32 s0, exec_lo
	s_wait_loadcnt 0x0
	ds_store_b64 v1, v[118:119]
	s_wait_dscnt 0x0
	s_barrier_signal -1
	s_barrier_wait -1
	v_cmpx_gt_u32_e32 42, v0
	s_cbranch_execz .LBB120_183
; %bb.180:
	v_dual_mov_b32 v118, 0 :: v_dual_add_nc_u32 v9, -1, v0
	v_add_nc_u32_e32 v11, 0x1d0, v116
	v_mov_b32_e32 v13, v116
	s_mov_b32 s1, 0
	s_delay_alu instid0(VALU_DEP_3)
	v_mov_b32_e32 v119, v118
.LBB120_181:                            ; =>This Inner Loop Header: Depth=1
	scratch_load_b64 v[120:121], v13, off
	ds_load_b64 v[122:123], v11
	s_wait_xcnt 0x0
	v_dual_add_nc_u32 v11, 8, v11 :: v_dual_add_nc_u32 v13, 8, v13
	s_wait_loadcnt_dscnt 0x0
	v_pk_mul_f32 v[124:125], v[122:123], v[120:121] op_sel:[1,1] op_sel_hi:[0,1]
	s_delay_alu instid0(VALU_DEP_1) | instskip(SKIP_2) | instid1(VALU_DEP_3)
	v_pk_fma_f32 v[126:127], v[122:123], v[120:121], v[124:125] op_sel_hi:[1,0,1]
	v_add_nc_u32_e32 v9, 1, v9
	v_pk_fma_f32 v[120:121], v[122:123], v[120:121], v[124:125] neg_lo:[0,0,1] neg_hi:[0,0,1]
	v_mov_b32_e32 v121, v127
	s_delay_alu instid0(VALU_DEP_3) | instskip(NEXT) | instid1(VALU_DEP_2)
	v_cmp_lt_u32_e32 vcc_lo, 40, v9
	v_pk_add_f32 v[118:119], v[118:119], v[120:121]
	s_or_b32 s1, vcc_lo, s1
	s_delay_alu instid0(SALU_CYCLE_1)
	s_and_not1_b32 exec_lo, exec_lo, s1
	s_cbranch_execnz .LBB120_181
; %bb.182:
	s_or_b32 exec_lo, exec_lo, s1
	v_mov_b32_e32 v9, 0
	ds_load_b64 v[120:121], v9 offset:336
	s_wait_dscnt 0x0
	v_pk_mul_f32 v[122:123], v[118:119], v[120:121] op_sel:[1,1] op_sel_hi:[0,1]
	s_delay_alu instid0(VALU_DEP_1) | instskip(SKIP_1) | instid1(VALU_DEP_2)
	v_pk_fma_f32 v[124:125], v[118:119], v[120:121], v[122:123] op_sel_hi:[1,0,1]
	v_pk_fma_f32 v[118:119], v[118:119], v[120:121], v[122:123] neg_lo:[0,0,1] neg_hi:[0,0,1]
	v_mov_b32_e32 v119, v125
	scratch_store_b64 off, v[118:119], off offset:336
.LBB120_183:
	s_wait_xcnt 0x0
	s_or_b32 exec_lo, exec_lo, s0
	s_wait_storecnt 0x0
	s_barrier_signal -1
	s_barrier_wait -1
	scratch_load_b64 v[118:119], off, off offset:344
	s_mov_b32 s0, exec_lo
	s_wait_loadcnt 0x0
	ds_store_b64 v1, v[118:119]
	s_wait_dscnt 0x0
	s_barrier_signal -1
	s_barrier_wait -1
	v_cmpx_gt_u32_e32 43, v0
	s_cbranch_execz .LBB120_187
; %bb.184:
	v_dual_mov_b32 v118, 0 :: v_dual_add_nc_u32 v9, -1, v0
	v_add_nc_u32_e32 v11, 0x1d0, v116
	v_mov_b32_e32 v13, v116
	s_mov_b32 s1, 0
	s_delay_alu instid0(VALU_DEP_3)
	v_mov_b32_e32 v119, v118
.LBB120_185:                            ; =>This Inner Loop Header: Depth=1
	scratch_load_b64 v[120:121], v13, off
	ds_load_b64 v[122:123], v11
	s_wait_xcnt 0x0
	v_dual_add_nc_u32 v11, 8, v11 :: v_dual_add_nc_u32 v13, 8, v13
	s_wait_loadcnt_dscnt 0x0
	v_pk_mul_f32 v[124:125], v[122:123], v[120:121] op_sel:[1,1] op_sel_hi:[0,1]
	s_delay_alu instid0(VALU_DEP_1) | instskip(SKIP_2) | instid1(VALU_DEP_3)
	v_pk_fma_f32 v[126:127], v[122:123], v[120:121], v[124:125] op_sel_hi:[1,0,1]
	v_add_nc_u32_e32 v9, 1, v9
	v_pk_fma_f32 v[120:121], v[122:123], v[120:121], v[124:125] neg_lo:[0,0,1] neg_hi:[0,0,1]
	v_mov_b32_e32 v121, v127
	s_delay_alu instid0(VALU_DEP_3) | instskip(NEXT) | instid1(VALU_DEP_2)
	v_cmp_lt_u32_e32 vcc_lo, 41, v9
	v_pk_add_f32 v[118:119], v[118:119], v[120:121]
	s_or_b32 s1, vcc_lo, s1
	s_delay_alu instid0(SALU_CYCLE_1)
	s_and_not1_b32 exec_lo, exec_lo, s1
	s_cbranch_execnz .LBB120_185
; %bb.186:
	s_or_b32 exec_lo, exec_lo, s1
	v_mov_b32_e32 v9, 0
	ds_load_b64 v[120:121], v9 offset:344
	s_wait_dscnt 0x0
	v_pk_mul_f32 v[122:123], v[118:119], v[120:121] op_sel:[1,1] op_sel_hi:[0,1]
	s_delay_alu instid0(VALU_DEP_1) | instskip(SKIP_1) | instid1(VALU_DEP_2)
	v_pk_fma_f32 v[124:125], v[118:119], v[120:121], v[122:123] op_sel_hi:[1,0,1]
	v_pk_fma_f32 v[118:119], v[118:119], v[120:121], v[122:123] neg_lo:[0,0,1] neg_hi:[0,0,1]
	v_mov_b32_e32 v119, v125
	scratch_store_b64 off, v[118:119], off offset:344
.LBB120_187:
	s_wait_xcnt 0x0
	s_or_b32 exec_lo, exec_lo, s0
	s_wait_storecnt 0x0
	s_barrier_signal -1
	s_barrier_wait -1
	scratch_load_b64 v[118:119], off, off offset:352
	s_mov_b32 s0, exec_lo
	s_wait_loadcnt 0x0
	ds_store_b64 v1, v[118:119]
	s_wait_dscnt 0x0
	s_barrier_signal -1
	s_barrier_wait -1
	v_cmpx_gt_u32_e32 44, v0
	s_cbranch_execz .LBB120_191
; %bb.188:
	v_dual_mov_b32 v118, 0 :: v_dual_add_nc_u32 v9, -1, v0
	v_add_nc_u32_e32 v11, 0x1d0, v116
	v_mov_b32_e32 v13, v116
	s_mov_b32 s1, 0
	s_delay_alu instid0(VALU_DEP_3)
	v_mov_b32_e32 v119, v118
.LBB120_189:                            ; =>This Inner Loop Header: Depth=1
	scratch_load_b64 v[120:121], v13, off
	ds_load_b64 v[122:123], v11
	s_wait_xcnt 0x0
	v_dual_add_nc_u32 v11, 8, v11 :: v_dual_add_nc_u32 v13, 8, v13
	s_wait_loadcnt_dscnt 0x0
	v_pk_mul_f32 v[124:125], v[122:123], v[120:121] op_sel:[1,1] op_sel_hi:[0,1]
	s_delay_alu instid0(VALU_DEP_1) | instskip(SKIP_2) | instid1(VALU_DEP_3)
	v_pk_fma_f32 v[126:127], v[122:123], v[120:121], v[124:125] op_sel_hi:[1,0,1]
	v_add_nc_u32_e32 v9, 1, v9
	v_pk_fma_f32 v[120:121], v[122:123], v[120:121], v[124:125] neg_lo:[0,0,1] neg_hi:[0,0,1]
	v_mov_b32_e32 v121, v127
	s_delay_alu instid0(VALU_DEP_3) | instskip(NEXT) | instid1(VALU_DEP_2)
	v_cmp_lt_u32_e32 vcc_lo, 42, v9
	v_pk_add_f32 v[118:119], v[118:119], v[120:121]
	s_or_b32 s1, vcc_lo, s1
	s_delay_alu instid0(SALU_CYCLE_1)
	s_and_not1_b32 exec_lo, exec_lo, s1
	s_cbranch_execnz .LBB120_189
; %bb.190:
	s_or_b32 exec_lo, exec_lo, s1
	v_mov_b32_e32 v9, 0
	ds_load_b64 v[120:121], v9 offset:352
	s_wait_dscnt 0x0
	v_pk_mul_f32 v[122:123], v[118:119], v[120:121] op_sel:[1,1] op_sel_hi:[0,1]
	s_delay_alu instid0(VALU_DEP_1) | instskip(SKIP_1) | instid1(VALU_DEP_2)
	v_pk_fma_f32 v[124:125], v[118:119], v[120:121], v[122:123] op_sel_hi:[1,0,1]
	v_pk_fma_f32 v[118:119], v[118:119], v[120:121], v[122:123] neg_lo:[0,0,1] neg_hi:[0,0,1]
	v_mov_b32_e32 v119, v125
	scratch_store_b64 off, v[118:119], off offset:352
.LBB120_191:
	s_wait_xcnt 0x0
	s_or_b32 exec_lo, exec_lo, s0
	s_wait_storecnt 0x0
	s_barrier_signal -1
	s_barrier_wait -1
	scratch_load_b64 v[118:119], off, off offset:360
	s_mov_b32 s0, exec_lo
	s_wait_loadcnt 0x0
	ds_store_b64 v1, v[118:119]
	s_wait_dscnt 0x0
	s_barrier_signal -1
	s_barrier_wait -1
	v_cmpx_gt_u32_e32 45, v0
	s_cbranch_execz .LBB120_195
; %bb.192:
	v_dual_mov_b32 v118, 0 :: v_dual_add_nc_u32 v9, -1, v0
	v_add_nc_u32_e32 v11, 0x1d0, v116
	v_mov_b32_e32 v13, v116
	s_mov_b32 s1, 0
	s_delay_alu instid0(VALU_DEP_3)
	v_mov_b32_e32 v119, v118
.LBB120_193:                            ; =>This Inner Loop Header: Depth=1
	scratch_load_b64 v[120:121], v13, off
	ds_load_b64 v[122:123], v11
	s_wait_xcnt 0x0
	v_dual_add_nc_u32 v11, 8, v11 :: v_dual_add_nc_u32 v13, 8, v13
	s_wait_loadcnt_dscnt 0x0
	v_pk_mul_f32 v[124:125], v[122:123], v[120:121] op_sel:[1,1] op_sel_hi:[0,1]
	s_delay_alu instid0(VALU_DEP_1) | instskip(SKIP_2) | instid1(VALU_DEP_3)
	v_pk_fma_f32 v[126:127], v[122:123], v[120:121], v[124:125] op_sel_hi:[1,0,1]
	v_add_nc_u32_e32 v9, 1, v9
	v_pk_fma_f32 v[120:121], v[122:123], v[120:121], v[124:125] neg_lo:[0,0,1] neg_hi:[0,0,1]
	v_mov_b32_e32 v121, v127
	s_delay_alu instid0(VALU_DEP_3) | instskip(NEXT) | instid1(VALU_DEP_2)
	v_cmp_lt_u32_e32 vcc_lo, 43, v9
	v_pk_add_f32 v[118:119], v[118:119], v[120:121]
	s_or_b32 s1, vcc_lo, s1
	s_delay_alu instid0(SALU_CYCLE_1)
	s_and_not1_b32 exec_lo, exec_lo, s1
	s_cbranch_execnz .LBB120_193
; %bb.194:
	s_or_b32 exec_lo, exec_lo, s1
	v_mov_b32_e32 v9, 0
	ds_load_b64 v[120:121], v9 offset:360
	s_wait_dscnt 0x0
	v_pk_mul_f32 v[122:123], v[118:119], v[120:121] op_sel:[1,1] op_sel_hi:[0,1]
	s_delay_alu instid0(VALU_DEP_1) | instskip(SKIP_1) | instid1(VALU_DEP_2)
	v_pk_fma_f32 v[124:125], v[118:119], v[120:121], v[122:123] op_sel_hi:[1,0,1]
	v_pk_fma_f32 v[118:119], v[118:119], v[120:121], v[122:123] neg_lo:[0,0,1] neg_hi:[0,0,1]
	v_mov_b32_e32 v119, v125
	scratch_store_b64 off, v[118:119], off offset:360
.LBB120_195:
	s_wait_xcnt 0x0
	s_or_b32 exec_lo, exec_lo, s0
	s_wait_storecnt 0x0
	s_barrier_signal -1
	s_barrier_wait -1
	scratch_load_b64 v[118:119], off, off offset:368
	s_mov_b32 s0, exec_lo
	s_wait_loadcnt 0x0
	ds_store_b64 v1, v[118:119]
	s_wait_dscnt 0x0
	s_barrier_signal -1
	s_barrier_wait -1
	v_cmpx_gt_u32_e32 46, v0
	s_cbranch_execz .LBB120_199
; %bb.196:
	v_dual_mov_b32 v118, 0 :: v_dual_add_nc_u32 v9, -1, v0
	v_add_nc_u32_e32 v11, 0x1d0, v116
	v_mov_b32_e32 v13, v116
	s_mov_b32 s1, 0
	s_delay_alu instid0(VALU_DEP_3)
	v_mov_b32_e32 v119, v118
.LBB120_197:                            ; =>This Inner Loop Header: Depth=1
	scratch_load_b64 v[120:121], v13, off
	ds_load_b64 v[122:123], v11
	s_wait_xcnt 0x0
	v_dual_add_nc_u32 v11, 8, v11 :: v_dual_add_nc_u32 v13, 8, v13
	s_wait_loadcnt_dscnt 0x0
	v_pk_mul_f32 v[124:125], v[122:123], v[120:121] op_sel:[1,1] op_sel_hi:[0,1]
	s_delay_alu instid0(VALU_DEP_1) | instskip(SKIP_2) | instid1(VALU_DEP_3)
	v_pk_fma_f32 v[126:127], v[122:123], v[120:121], v[124:125] op_sel_hi:[1,0,1]
	v_add_nc_u32_e32 v9, 1, v9
	v_pk_fma_f32 v[120:121], v[122:123], v[120:121], v[124:125] neg_lo:[0,0,1] neg_hi:[0,0,1]
	v_mov_b32_e32 v121, v127
	s_delay_alu instid0(VALU_DEP_3) | instskip(NEXT) | instid1(VALU_DEP_2)
	v_cmp_lt_u32_e32 vcc_lo, 44, v9
	v_pk_add_f32 v[118:119], v[118:119], v[120:121]
	s_or_b32 s1, vcc_lo, s1
	s_delay_alu instid0(SALU_CYCLE_1)
	s_and_not1_b32 exec_lo, exec_lo, s1
	s_cbranch_execnz .LBB120_197
; %bb.198:
	s_or_b32 exec_lo, exec_lo, s1
	v_mov_b32_e32 v9, 0
	ds_load_b64 v[120:121], v9 offset:368
	s_wait_dscnt 0x0
	v_pk_mul_f32 v[122:123], v[118:119], v[120:121] op_sel:[1,1] op_sel_hi:[0,1]
	s_delay_alu instid0(VALU_DEP_1) | instskip(SKIP_1) | instid1(VALU_DEP_2)
	v_pk_fma_f32 v[124:125], v[118:119], v[120:121], v[122:123] op_sel_hi:[1,0,1]
	v_pk_fma_f32 v[118:119], v[118:119], v[120:121], v[122:123] neg_lo:[0,0,1] neg_hi:[0,0,1]
	v_mov_b32_e32 v119, v125
	scratch_store_b64 off, v[118:119], off offset:368
.LBB120_199:
	s_wait_xcnt 0x0
	s_or_b32 exec_lo, exec_lo, s0
	s_wait_storecnt 0x0
	s_barrier_signal -1
	s_barrier_wait -1
	scratch_load_b64 v[118:119], off, off offset:376
	s_mov_b32 s0, exec_lo
	s_wait_loadcnt 0x0
	ds_store_b64 v1, v[118:119]
	s_wait_dscnt 0x0
	s_barrier_signal -1
	s_barrier_wait -1
	v_cmpx_gt_u32_e32 47, v0
	s_cbranch_execz .LBB120_203
; %bb.200:
	v_dual_mov_b32 v118, 0 :: v_dual_add_nc_u32 v9, -1, v0
	v_add_nc_u32_e32 v11, 0x1d0, v116
	v_mov_b32_e32 v13, v116
	s_mov_b32 s1, 0
	s_delay_alu instid0(VALU_DEP_3)
	v_mov_b32_e32 v119, v118
.LBB120_201:                            ; =>This Inner Loop Header: Depth=1
	scratch_load_b64 v[120:121], v13, off
	ds_load_b64 v[122:123], v11
	s_wait_xcnt 0x0
	v_dual_add_nc_u32 v11, 8, v11 :: v_dual_add_nc_u32 v13, 8, v13
	s_wait_loadcnt_dscnt 0x0
	v_pk_mul_f32 v[124:125], v[122:123], v[120:121] op_sel:[1,1] op_sel_hi:[0,1]
	s_delay_alu instid0(VALU_DEP_1) | instskip(SKIP_2) | instid1(VALU_DEP_3)
	v_pk_fma_f32 v[126:127], v[122:123], v[120:121], v[124:125] op_sel_hi:[1,0,1]
	v_add_nc_u32_e32 v9, 1, v9
	v_pk_fma_f32 v[120:121], v[122:123], v[120:121], v[124:125] neg_lo:[0,0,1] neg_hi:[0,0,1]
	v_mov_b32_e32 v121, v127
	s_delay_alu instid0(VALU_DEP_3) | instskip(NEXT) | instid1(VALU_DEP_2)
	v_cmp_lt_u32_e32 vcc_lo, 45, v9
	v_pk_add_f32 v[118:119], v[118:119], v[120:121]
	s_or_b32 s1, vcc_lo, s1
	s_delay_alu instid0(SALU_CYCLE_1)
	s_and_not1_b32 exec_lo, exec_lo, s1
	s_cbranch_execnz .LBB120_201
; %bb.202:
	s_or_b32 exec_lo, exec_lo, s1
	v_mov_b32_e32 v9, 0
	ds_load_b64 v[120:121], v9 offset:376
	s_wait_dscnt 0x0
	v_pk_mul_f32 v[122:123], v[118:119], v[120:121] op_sel:[1,1] op_sel_hi:[0,1]
	s_delay_alu instid0(VALU_DEP_1) | instskip(SKIP_1) | instid1(VALU_DEP_2)
	v_pk_fma_f32 v[124:125], v[118:119], v[120:121], v[122:123] op_sel_hi:[1,0,1]
	v_pk_fma_f32 v[118:119], v[118:119], v[120:121], v[122:123] neg_lo:[0,0,1] neg_hi:[0,0,1]
	v_mov_b32_e32 v119, v125
	scratch_store_b64 off, v[118:119], off offset:376
.LBB120_203:
	s_wait_xcnt 0x0
	s_or_b32 exec_lo, exec_lo, s0
	s_wait_storecnt 0x0
	s_barrier_signal -1
	s_barrier_wait -1
	scratch_load_b64 v[118:119], off, off offset:384
	s_mov_b32 s0, exec_lo
	s_wait_loadcnt 0x0
	ds_store_b64 v1, v[118:119]
	s_wait_dscnt 0x0
	s_barrier_signal -1
	s_barrier_wait -1
	v_cmpx_gt_u32_e32 48, v0
	s_cbranch_execz .LBB120_207
; %bb.204:
	v_dual_mov_b32 v118, 0 :: v_dual_add_nc_u32 v9, -1, v0
	v_add_nc_u32_e32 v11, 0x1d0, v116
	v_mov_b32_e32 v13, v116
	s_mov_b32 s1, 0
	s_delay_alu instid0(VALU_DEP_3)
	v_mov_b32_e32 v119, v118
.LBB120_205:                            ; =>This Inner Loop Header: Depth=1
	scratch_load_b64 v[120:121], v13, off
	ds_load_b64 v[122:123], v11
	s_wait_xcnt 0x0
	v_dual_add_nc_u32 v11, 8, v11 :: v_dual_add_nc_u32 v13, 8, v13
	s_wait_loadcnt_dscnt 0x0
	v_pk_mul_f32 v[124:125], v[122:123], v[120:121] op_sel:[1,1] op_sel_hi:[0,1]
	s_delay_alu instid0(VALU_DEP_1) | instskip(SKIP_2) | instid1(VALU_DEP_3)
	v_pk_fma_f32 v[126:127], v[122:123], v[120:121], v[124:125] op_sel_hi:[1,0,1]
	v_add_nc_u32_e32 v9, 1, v9
	v_pk_fma_f32 v[120:121], v[122:123], v[120:121], v[124:125] neg_lo:[0,0,1] neg_hi:[0,0,1]
	v_mov_b32_e32 v121, v127
	s_delay_alu instid0(VALU_DEP_3) | instskip(NEXT) | instid1(VALU_DEP_2)
	v_cmp_lt_u32_e32 vcc_lo, 46, v9
	v_pk_add_f32 v[118:119], v[118:119], v[120:121]
	s_or_b32 s1, vcc_lo, s1
	s_delay_alu instid0(SALU_CYCLE_1)
	s_and_not1_b32 exec_lo, exec_lo, s1
	s_cbranch_execnz .LBB120_205
; %bb.206:
	s_or_b32 exec_lo, exec_lo, s1
	v_mov_b32_e32 v9, 0
	ds_load_b64 v[120:121], v9 offset:384
	s_wait_dscnt 0x0
	v_pk_mul_f32 v[122:123], v[118:119], v[120:121] op_sel:[1,1] op_sel_hi:[0,1]
	s_delay_alu instid0(VALU_DEP_1) | instskip(SKIP_1) | instid1(VALU_DEP_2)
	v_pk_fma_f32 v[124:125], v[118:119], v[120:121], v[122:123] op_sel_hi:[1,0,1]
	v_pk_fma_f32 v[118:119], v[118:119], v[120:121], v[122:123] neg_lo:[0,0,1] neg_hi:[0,0,1]
	v_mov_b32_e32 v119, v125
	scratch_store_b64 off, v[118:119], off offset:384
.LBB120_207:
	s_wait_xcnt 0x0
	s_or_b32 exec_lo, exec_lo, s0
	s_wait_storecnt 0x0
	s_barrier_signal -1
	s_barrier_wait -1
	scratch_load_b64 v[118:119], off, off offset:392
	s_mov_b32 s0, exec_lo
	s_wait_loadcnt 0x0
	ds_store_b64 v1, v[118:119]
	s_wait_dscnt 0x0
	s_barrier_signal -1
	s_barrier_wait -1
	v_cmpx_gt_u32_e32 49, v0
	s_cbranch_execz .LBB120_211
; %bb.208:
	v_dual_mov_b32 v118, 0 :: v_dual_add_nc_u32 v9, -1, v0
	v_add_nc_u32_e32 v11, 0x1d0, v116
	v_mov_b32_e32 v13, v116
	s_mov_b32 s1, 0
	s_delay_alu instid0(VALU_DEP_3)
	v_mov_b32_e32 v119, v118
.LBB120_209:                            ; =>This Inner Loop Header: Depth=1
	scratch_load_b64 v[120:121], v13, off
	ds_load_b64 v[122:123], v11
	s_wait_xcnt 0x0
	v_dual_add_nc_u32 v11, 8, v11 :: v_dual_add_nc_u32 v13, 8, v13
	s_wait_loadcnt_dscnt 0x0
	v_pk_mul_f32 v[124:125], v[122:123], v[120:121] op_sel:[1,1] op_sel_hi:[0,1]
	s_delay_alu instid0(VALU_DEP_1) | instskip(SKIP_2) | instid1(VALU_DEP_3)
	v_pk_fma_f32 v[126:127], v[122:123], v[120:121], v[124:125] op_sel_hi:[1,0,1]
	v_add_nc_u32_e32 v9, 1, v9
	v_pk_fma_f32 v[120:121], v[122:123], v[120:121], v[124:125] neg_lo:[0,0,1] neg_hi:[0,0,1]
	v_mov_b32_e32 v121, v127
	s_delay_alu instid0(VALU_DEP_3) | instskip(NEXT) | instid1(VALU_DEP_2)
	v_cmp_lt_u32_e32 vcc_lo, 47, v9
	v_pk_add_f32 v[118:119], v[118:119], v[120:121]
	s_or_b32 s1, vcc_lo, s1
	s_delay_alu instid0(SALU_CYCLE_1)
	s_and_not1_b32 exec_lo, exec_lo, s1
	s_cbranch_execnz .LBB120_209
; %bb.210:
	s_or_b32 exec_lo, exec_lo, s1
	v_mov_b32_e32 v9, 0
	ds_load_b64 v[120:121], v9 offset:392
	s_wait_dscnt 0x0
	v_pk_mul_f32 v[122:123], v[118:119], v[120:121] op_sel:[1,1] op_sel_hi:[0,1]
	s_delay_alu instid0(VALU_DEP_1) | instskip(SKIP_1) | instid1(VALU_DEP_2)
	v_pk_fma_f32 v[124:125], v[118:119], v[120:121], v[122:123] op_sel_hi:[1,0,1]
	v_pk_fma_f32 v[118:119], v[118:119], v[120:121], v[122:123] neg_lo:[0,0,1] neg_hi:[0,0,1]
	v_mov_b32_e32 v119, v125
	scratch_store_b64 off, v[118:119], off offset:392
.LBB120_211:
	s_wait_xcnt 0x0
	s_or_b32 exec_lo, exec_lo, s0
	s_wait_storecnt 0x0
	s_barrier_signal -1
	s_barrier_wait -1
	scratch_load_b64 v[118:119], off, off offset:400
	s_mov_b32 s0, exec_lo
	s_wait_loadcnt 0x0
	ds_store_b64 v1, v[118:119]
	s_wait_dscnt 0x0
	s_barrier_signal -1
	s_barrier_wait -1
	v_cmpx_gt_u32_e32 50, v0
	s_cbranch_execz .LBB120_215
; %bb.212:
	v_dual_mov_b32 v118, 0 :: v_dual_add_nc_u32 v9, -1, v0
	v_add_nc_u32_e32 v11, 0x1d0, v116
	v_mov_b32_e32 v13, v116
	s_mov_b32 s1, 0
	s_delay_alu instid0(VALU_DEP_3)
	v_mov_b32_e32 v119, v118
.LBB120_213:                            ; =>This Inner Loop Header: Depth=1
	scratch_load_b64 v[120:121], v13, off
	ds_load_b64 v[122:123], v11
	s_wait_xcnt 0x0
	v_dual_add_nc_u32 v11, 8, v11 :: v_dual_add_nc_u32 v13, 8, v13
	s_wait_loadcnt_dscnt 0x0
	v_pk_mul_f32 v[124:125], v[122:123], v[120:121] op_sel:[1,1] op_sel_hi:[0,1]
	s_delay_alu instid0(VALU_DEP_1) | instskip(SKIP_2) | instid1(VALU_DEP_3)
	v_pk_fma_f32 v[126:127], v[122:123], v[120:121], v[124:125] op_sel_hi:[1,0,1]
	v_add_nc_u32_e32 v9, 1, v9
	v_pk_fma_f32 v[120:121], v[122:123], v[120:121], v[124:125] neg_lo:[0,0,1] neg_hi:[0,0,1]
	v_mov_b32_e32 v121, v127
	s_delay_alu instid0(VALU_DEP_3) | instskip(NEXT) | instid1(VALU_DEP_2)
	v_cmp_lt_u32_e32 vcc_lo, 48, v9
	v_pk_add_f32 v[118:119], v[118:119], v[120:121]
	s_or_b32 s1, vcc_lo, s1
	s_delay_alu instid0(SALU_CYCLE_1)
	s_and_not1_b32 exec_lo, exec_lo, s1
	s_cbranch_execnz .LBB120_213
; %bb.214:
	s_or_b32 exec_lo, exec_lo, s1
	v_mov_b32_e32 v9, 0
	ds_load_b64 v[120:121], v9 offset:400
	s_wait_dscnt 0x0
	v_pk_mul_f32 v[122:123], v[118:119], v[120:121] op_sel:[1,1] op_sel_hi:[0,1]
	s_delay_alu instid0(VALU_DEP_1) | instskip(SKIP_1) | instid1(VALU_DEP_2)
	v_pk_fma_f32 v[124:125], v[118:119], v[120:121], v[122:123] op_sel_hi:[1,0,1]
	v_pk_fma_f32 v[118:119], v[118:119], v[120:121], v[122:123] neg_lo:[0,0,1] neg_hi:[0,0,1]
	v_mov_b32_e32 v119, v125
	scratch_store_b64 off, v[118:119], off offset:400
.LBB120_215:
	s_wait_xcnt 0x0
	s_or_b32 exec_lo, exec_lo, s0
	s_wait_storecnt 0x0
	s_barrier_signal -1
	s_barrier_wait -1
	scratch_load_b64 v[118:119], off, off offset:408
	s_mov_b32 s0, exec_lo
	s_wait_loadcnt 0x0
	ds_store_b64 v1, v[118:119]
	s_wait_dscnt 0x0
	s_barrier_signal -1
	s_barrier_wait -1
	v_cmpx_gt_u32_e32 51, v0
	s_cbranch_execz .LBB120_219
; %bb.216:
	v_dual_mov_b32 v118, 0 :: v_dual_add_nc_u32 v9, -1, v0
	v_add_nc_u32_e32 v11, 0x1d0, v116
	v_mov_b32_e32 v13, v116
	s_mov_b32 s1, 0
	s_delay_alu instid0(VALU_DEP_3)
	v_mov_b32_e32 v119, v118
.LBB120_217:                            ; =>This Inner Loop Header: Depth=1
	scratch_load_b64 v[120:121], v13, off
	ds_load_b64 v[122:123], v11
	s_wait_xcnt 0x0
	v_dual_add_nc_u32 v11, 8, v11 :: v_dual_add_nc_u32 v13, 8, v13
	s_wait_loadcnt_dscnt 0x0
	v_pk_mul_f32 v[124:125], v[122:123], v[120:121] op_sel:[1,1] op_sel_hi:[0,1]
	s_delay_alu instid0(VALU_DEP_1) | instskip(SKIP_2) | instid1(VALU_DEP_3)
	v_pk_fma_f32 v[126:127], v[122:123], v[120:121], v[124:125] op_sel_hi:[1,0,1]
	v_add_nc_u32_e32 v9, 1, v9
	v_pk_fma_f32 v[120:121], v[122:123], v[120:121], v[124:125] neg_lo:[0,0,1] neg_hi:[0,0,1]
	v_mov_b32_e32 v121, v127
	s_delay_alu instid0(VALU_DEP_3) | instskip(NEXT) | instid1(VALU_DEP_2)
	v_cmp_lt_u32_e32 vcc_lo, 49, v9
	v_pk_add_f32 v[118:119], v[118:119], v[120:121]
	s_or_b32 s1, vcc_lo, s1
	s_delay_alu instid0(SALU_CYCLE_1)
	s_and_not1_b32 exec_lo, exec_lo, s1
	s_cbranch_execnz .LBB120_217
; %bb.218:
	s_or_b32 exec_lo, exec_lo, s1
	v_mov_b32_e32 v9, 0
	ds_load_b64 v[120:121], v9 offset:408
	s_wait_dscnt 0x0
	v_pk_mul_f32 v[122:123], v[118:119], v[120:121] op_sel:[1,1] op_sel_hi:[0,1]
	s_delay_alu instid0(VALU_DEP_1) | instskip(SKIP_1) | instid1(VALU_DEP_2)
	v_pk_fma_f32 v[124:125], v[118:119], v[120:121], v[122:123] op_sel_hi:[1,0,1]
	v_pk_fma_f32 v[118:119], v[118:119], v[120:121], v[122:123] neg_lo:[0,0,1] neg_hi:[0,0,1]
	v_mov_b32_e32 v119, v125
	scratch_store_b64 off, v[118:119], off offset:408
.LBB120_219:
	s_wait_xcnt 0x0
	s_or_b32 exec_lo, exec_lo, s0
	s_wait_storecnt 0x0
	s_barrier_signal -1
	s_barrier_wait -1
	scratch_load_b64 v[118:119], off, off offset:416
	s_mov_b32 s0, exec_lo
	s_wait_loadcnt 0x0
	ds_store_b64 v1, v[118:119]
	s_wait_dscnt 0x0
	s_barrier_signal -1
	s_barrier_wait -1
	v_cmpx_gt_u32_e32 52, v0
	s_cbranch_execz .LBB120_223
; %bb.220:
	v_dual_mov_b32 v118, 0 :: v_dual_add_nc_u32 v9, -1, v0
	v_add_nc_u32_e32 v11, 0x1d0, v116
	v_mov_b32_e32 v13, v116
	s_mov_b32 s1, 0
	s_delay_alu instid0(VALU_DEP_3)
	v_mov_b32_e32 v119, v118
.LBB120_221:                            ; =>This Inner Loop Header: Depth=1
	scratch_load_b64 v[120:121], v13, off
	ds_load_b64 v[122:123], v11
	s_wait_xcnt 0x0
	v_dual_add_nc_u32 v11, 8, v11 :: v_dual_add_nc_u32 v13, 8, v13
	s_wait_loadcnt_dscnt 0x0
	v_pk_mul_f32 v[124:125], v[122:123], v[120:121] op_sel:[1,1] op_sel_hi:[0,1]
	s_delay_alu instid0(VALU_DEP_1) | instskip(SKIP_2) | instid1(VALU_DEP_3)
	v_pk_fma_f32 v[126:127], v[122:123], v[120:121], v[124:125] op_sel_hi:[1,0,1]
	v_add_nc_u32_e32 v9, 1, v9
	v_pk_fma_f32 v[120:121], v[122:123], v[120:121], v[124:125] neg_lo:[0,0,1] neg_hi:[0,0,1]
	v_mov_b32_e32 v121, v127
	s_delay_alu instid0(VALU_DEP_3) | instskip(NEXT) | instid1(VALU_DEP_2)
	v_cmp_lt_u32_e32 vcc_lo, 50, v9
	v_pk_add_f32 v[118:119], v[118:119], v[120:121]
	s_or_b32 s1, vcc_lo, s1
	s_delay_alu instid0(SALU_CYCLE_1)
	s_and_not1_b32 exec_lo, exec_lo, s1
	s_cbranch_execnz .LBB120_221
; %bb.222:
	s_or_b32 exec_lo, exec_lo, s1
	v_mov_b32_e32 v9, 0
	ds_load_b64 v[120:121], v9 offset:416
	s_wait_dscnt 0x0
	v_pk_mul_f32 v[122:123], v[118:119], v[120:121] op_sel:[1,1] op_sel_hi:[0,1]
	s_delay_alu instid0(VALU_DEP_1) | instskip(SKIP_1) | instid1(VALU_DEP_2)
	v_pk_fma_f32 v[124:125], v[118:119], v[120:121], v[122:123] op_sel_hi:[1,0,1]
	v_pk_fma_f32 v[118:119], v[118:119], v[120:121], v[122:123] neg_lo:[0,0,1] neg_hi:[0,0,1]
	v_mov_b32_e32 v119, v125
	scratch_store_b64 off, v[118:119], off offset:416
.LBB120_223:
	s_wait_xcnt 0x0
	s_or_b32 exec_lo, exec_lo, s0
	s_wait_storecnt 0x0
	s_barrier_signal -1
	s_barrier_wait -1
	scratch_load_b64 v[118:119], off, off offset:424
	s_mov_b32 s0, exec_lo
	s_wait_loadcnt 0x0
	ds_store_b64 v1, v[118:119]
	s_wait_dscnt 0x0
	s_barrier_signal -1
	s_barrier_wait -1
	v_cmpx_gt_u32_e32 53, v0
	s_cbranch_execz .LBB120_227
; %bb.224:
	v_dual_mov_b32 v118, 0 :: v_dual_add_nc_u32 v9, -1, v0
	v_add_nc_u32_e32 v11, 0x1d0, v116
	v_mov_b32_e32 v13, v116
	s_mov_b32 s1, 0
	s_delay_alu instid0(VALU_DEP_3)
	v_mov_b32_e32 v119, v118
.LBB120_225:                            ; =>This Inner Loop Header: Depth=1
	scratch_load_b64 v[120:121], v13, off
	ds_load_b64 v[122:123], v11
	s_wait_xcnt 0x0
	v_dual_add_nc_u32 v11, 8, v11 :: v_dual_add_nc_u32 v13, 8, v13
	s_wait_loadcnt_dscnt 0x0
	v_pk_mul_f32 v[124:125], v[122:123], v[120:121] op_sel:[1,1] op_sel_hi:[0,1]
	s_delay_alu instid0(VALU_DEP_1) | instskip(SKIP_2) | instid1(VALU_DEP_3)
	v_pk_fma_f32 v[126:127], v[122:123], v[120:121], v[124:125] op_sel_hi:[1,0,1]
	v_add_nc_u32_e32 v9, 1, v9
	v_pk_fma_f32 v[120:121], v[122:123], v[120:121], v[124:125] neg_lo:[0,0,1] neg_hi:[0,0,1]
	v_mov_b32_e32 v121, v127
	s_delay_alu instid0(VALU_DEP_3) | instskip(NEXT) | instid1(VALU_DEP_2)
	v_cmp_lt_u32_e32 vcc_lo, 51, v9
	v_pk_add_f32 v[118:119], v[118:119], v[120:121]
	s_or_b32 s1, vcc_lo, s1
	s_delay_alu instid0(SALU_CYCLE_1)
	s_and_not1_b32 exec_lo, exec_lo, s1
	s_cbranch_execnz .LBB120_225
; %bb.226:
	s_or_b32 exec_lo, exec_lo, s1
	v_mov_b32_e32 v9, 0
	ds_load_b64 v[120:121], v9 offset:424
	s_wait_dscnt 0x0
	v_pk_mul_f32 v[122:123], v[118:119], v[120:121] op_sel:[1,1] op_sel_hi:[0,1]
	s_delay_alu instid0(VALU_DEP_1) | instskip(SKIP_1) | instid1(VALU_DEP_2)
	v_pk_fma_f32 v[124:125], v[118:119], v[120:121], v[122:123] op_sel_hi:[1,0,1]
	v_pk_fma_f32 v[118:119], v[118:119], v[120:121], v[122:123] neg_lo:[0,0,1] neg_hi:[0,0,1]
	v_mov_b32_e32 v119, v125
	scratch_store_b64 off, v[118:119], off offset:424
.LBB120_227:
	s_wait_xcnt 0x0
	s_or_b32 exec_lo, exec_lo, s0
	s_wait_storecnt 0x0
	s_barrier_signal -1
	s_barrier_wait -1
	scratch_load_b64 v[118:119], off, off offset:432
	s_mov_b32 s0, exec_lo
	s_wait_loadcnt 0x0
	ds_store_b64 v1, v[118:119]
	s_wait_dscnt 0x0
	s_barrier_signal -1
	s_barrier_wait -1
	v_cmpx_gt_u32_e32 54, v0
	s_cbranch_execz .LBB120_231
; %bb.228:
	v_dual_mov_b32 v118, 0 :: v_dual_add_nc_u32 v9, -1, v0
	v_add_nc_u32_e32 v11, 0x1d0, v116
	v_mov_b32_e32 v13, v116
	s_mov_b32 s1, 0
	s_delay_alu instid0(VALU_DEP_3)
	v_mov_b32_e32 v119, v118
.LBB120_229:                            ; =>This Inner Loop Header: Depth=1
	scratch_load_b64 v[120:121], v13, off
	ds_load_b64 v[122:123], v11
	s_wait_xcnt 0x0
	v_dual_add_nc_u32 v11, 8, v11 :: v_dual_add_nc_u32 v13, 8, v13
	s_wait_loadcnt_dscnt 0x0
	v_pk_mul_f32 v[124:125], v[122:123], v[120:121] op_sel:[1,1] op_sel_hi:[0,1]
	s_delay_alu instid0(VALU_DEP_1) | instskip(SKIP_2) | instid1(VALU_DEP_3)
	v_pk_fma_f32 v[126:127], v[122:123], v[120:121], v[124:125] op_sel_hi:[1,0,1]
	v_add_nc_u32_e32 v9, 1, v9
	v_pk_fma_f32 v[120:121], v[122:123], v[120:121], v[124:125] neg_lo:[0,0,1] neg_hi:[0,0,1]
	v_mov_b32_e32 v121, v127
	s_delay_alu instid0(VALU_DEP_3) | instskip(NEXT) | instid1(VALU_DEP_2)
	v_cmp_lt_u32_e32 vcc_lo, 52, v9
	v_pk_add_f32 v[118:119], v[118:119], v[120:121]
	s_or_b32 s1, vcc_lo, s1
	s_delay_alu instid0(SALU_CYCLE_1)
	s_and_not1_b32 exec_lo, exec_lo, s1
	s_cbranch_execnz .LBB120_229
; %bb.230:
	s_or_b32 exec_lo, exec_lo, s1
	v_mov_b32_e32 v9, 0
	ds_load_b64 v[120:121], v9 offset:432
	s_wait_dscnt 0x0
	v_pk_mul_f32 v[122:123], v[118:119], v[120:121] op_sel:[1,1] op_sel_hi:[0,1]
	s_delay_alu instid0(VALU_DEP_1) | instskip(SKIP_1) | instid1(VALU_DEP_2)
	v_pk_fma_f32 v[124:125], v[118:119], v[120:121], v[122:123] op_sel_hi:[1,0,1]
	v_pk_fma_f32 v[118:119], v[118:119], v[120:121], v[122:123] neg_lo:[0,0,1] neg_hi:[0,0,1]
	v_mov_b32_e32 v119, v125
	scratch_store_b64 off, v[118:119], off offset:432
.LBB120_231:
	s_wait_xcnt 0x0
	s_or_b32 exec_lo, exec_lo, s0
	s_wait_storecnt 0x0
	s_barrier_signal -1
	s_barrier_wait -1
	scratch_load_b64 v[118:119], off, off offset:440
	s_mov_b32 s0, exec_lo
	s_wait_loadcnt 0x0
	ds_store_b64 v1, v[118:119]
	s_wait_dscnt 0x0
	s_barrier_signal -1
	s_barrier_wait -1
	v_cmpx_gt_u32_e32 55, v0
	s_cbranch_execz .LBB120_235
; %bb.232:
	v_dual_mov_b32 v118, 0 :: v_dual_add_nc_u32 v9, -1, v0
	v_add_nc_u32_e32 v11, 0x1d0, v116
	v_mov_b32_e32 v13, v116
	s_mov_b32 s1, 0
	s_delay_alu instid0(VALU_DEP_3)
	v_mov_b32_e32 v119, v118
.LBB120_233:                            ; =>This Inner Loop Header: Depth=1
	scratch_load_b64 v[120:121], v13, off
	ds_load_b64 v[122:123], v11
	s_wait_xcnt 0x0
	v_dual_add_nc_u32 v11, 8, v11 :: v_dual_add_nc_u32 v13, 8, v13
	s_wait_loadcnt_dscnt 0x0
	v_pk_mul_f32 v[124:125], v[122:123], v[120:121] op_sel:[1,1] op_sel_hi:[0,1]
	s_delay_alu instid0(VALU_DEP_1) | instskip(SKIP_2) | instid1(VALU_DEP_3)
	v_pk_fma_f32 v[126:127], v[122:123], v[120:121], v[124:125] op_sel_hi:[1,0,1]
	v_add_nc_u32_e32 v9, 1, v9
	v_pk_fma_f32 v[120:121], v[122:123], v[120:121], v[124:125] neg_lo:[0,0,1] neg_hi:[0,0,1]
	v_mov_b32_e32 v121, v127
	s_delay_alu instid0(VALU_DEP_3) | instskip(NEXT) | instid1(VALU_DEP_2)
	v_cmp_lt_u32_e32 vcc_lo, 53, v9
	v_pk_add_f32 v[118:119], v[118:119], v[120:121]
	s_or_b32 s1, vcc_lo, s1
	s_delay_alu instid0(SALU_CYCLE_1)
	s_and_not1_b32 exec_lo, exec_lo, s1
	s_cbranch_execnz .LBB120_233
; %bb.234:
	s_or_b32 exec_lo, exec_lo, s1
	v_mov_b32_e32 v9, 0
	ds_load_b64 v[120:121], v9 offset:440
	s_wait_dscnt 0x0
	v_pk_mul_f32 v[122:123], v[118:119], v[120:121] op_sel:[1,1] op_sel_hi:[0,1]
	s_delay_alu instid0(VALU_DEP_1) | instskip(SKIP_1) | instid1(VALU_DEP_2)
	v_pk_fma_f32 v[124:125], v[118:119], v[120:121], v[122:123] op_sel_hi:[1,0,1]
	v_pk_fma_f32 v[118:119], v[118:119], v[120:121], v[122:123] neg_lo:[0,0,1] neg_hi:[0,0,1]
	v_mov_b32_e32 v119, v125
	scratch_store_b64 off, v[118:119], off offset:440
.LBB120_235:
	s_wait_xcnt 0x0
	s_or_b32 exec_lo, exec_lo, s0
	s_wait_storecnt 0x0
	s_barrier_signal -1
	s_barrier_wait -1
	scratch_load_b64 v[118:119], off, off offset:448
	s_mov_b32 s0, exec_lo
	s_wait_loadcnt 0x0
	ds_store_b64 v1, v[118:119]
	s_wait_dscnt 0x0
	s_barrier_signal -1
	s_barrier_wait -1
	v_cmpx_ne_u32_e32 56, v0
	s_cbranch_execz .LBB120_239
; %bb.236:
	v_dual_mov_b32 v118, 0 :: v_dual_mov_b32 v9, v116
	s_mov_b32 s1, 0
	s_delay_alu instid0(VALU_DEP_1)
	v_mov_b32_e32 v119, v118
.LBB120_237:                            ; =>This Inner Loop Header: Depth=1
	scratch_load_b64 v[116:117], v9, off
	ds_load_b64 v[120:121], v1
	v_add_nc_u32_e32 v1, 8, v1
	s_wait_xcnt 0x0
	v_add_nc_u32_e32 v9, 8, v9
	s_wait_loadcnt_dscnt 0x0
	v_pk_mul_f32 v[122:123], v[120:121], v[116:117] op_sel:[1,1] op_sel_hi:[0,1]
	s_delay_alu instid0(VALU_DEP_1) | instskip(SKIP_2) | instid1(VALU_DEP_3)
	v_pk_fma_f32 v[124:125], v[120:121], v[116:117], v[122:123] op_sel_hi:[1,0,1]
	v_add_nc_u32_e32 v7, 1, v7
	v_pk_fma_f32 v[116:117], v[120:121], v[116:117], v[122:123] neg_lo:[0,0,1] neg_hi:[0,0,1]
	v_mov_b32_e32 v117, v125
	s_delay_alu instid0(VALU_DEP_3) | instskip(NEXT) | instid1(VALU_DEP_2)
	v_cmp_lt_u32_e32 vcc_lo, 54, v7
	v_pk_add_f32 v[118:119], v[118:119], v[116:117]
	s_or_b32 s1, vcc_lo, s1
	s_delay_alu instid0(SALU_CYCLE_1)
	s_and_not1_b32 exec_lo, exec_lo, s1
	s_cbranch_execnz .LBB120_237
; %bb.238:
	s_or_b32 exec_lo, exec_lo, s1
	v_mov_b32_e32 v1, 0
	ds_load_b64 v[116:117], v1 offset:448
	s_wait_dscnt 0x0
	v_pk_mul_f32 v[120:121], v[118:119], v[116:117] op_sel:[1,1] op_sel_hi:[0,1]
	s_delay_alu instid0(VALU_DEP_1) | instskip(SKIP_1) | instid1(VALU_DEP_2)
	v_pk_fma_f32 v[122:123], v[118:119], v[116:117], v[120:121] op_sel_hi:[1,0,1]
	v_pk_fma_f32 v[116:117], v[118:119], v[116:117], v[120:121] neg_lo:[0,0,1] neg_hi:[0,0,1]
	v_mov_b32_e32 v117, v123
	scratch_store_b64 off, v[116:117], off offset:448
.LBB120_239:
	s_wait_xcnt 0x0
	s_or_b32 exec_lo, exec_lo, s0
	s_mov_b32 s1, -1
	s_wait_storecnt 0x0
	s_barrier_signal -1
	s_barrier_wait -1
.LBB120_240:
	s_and_b32 vcc_lo, exec_lo, s1
	s_cbranch_vccz .LBB120_242
; %bb.241:
	v_mov_b32_e32 v1, 0
	s_lshl_b64 s[0:1], s[10:11], 2
	s_delay_alu instid0(SALU_CYCLE_1)
	s_add_nc_u64 s[0:1], s[6:7], s[0:1]
	global_load_b32 v1, v1, s[0:1]
	s_wait_loadcnt 0x0
	v_cmp_ne_u32_e32 vcc_lo, 0, v1
	s_cbranch_vccz .LBB120_243
.LBB120_242:
	s_sendmsg sendmsg(MSG_DEALLOC_VGPRS)
	s_endpgm
.LBB120_243:
	s_wait_xcnt 0x0
	v_lshl_add_u32 v1, v0, 3, 0x1d0
	s_mov_b32 s0, exec_lo
	v_cmpx_eq_u32_e32 56, v0
	s_cbranch_execz .LBB120_245
; %bb.244:
	scratch_load_b64 v[116:117], off, off offset:440
	v_mov_b64_e32 v[118:119], 0
	scratch_store_b64 off, v[118:119], off offset:440
	s_wait_loadcnt 0x0
	ds_store_b64 v1, v[116:117]
.LBB120_245:
	s_wait_xcnt 0x0
	s_or_b32 exec_lo, exec_lo, s0
	s_wait_storecnt_dscnt 0x0
	s_barrier_signal -1
	s_barrier_wait -1
	s_clause 0x1
	scratch_load_b64 v[116:117], off, off offset:448
	scratch_load_b64 v[118:119], off, off offset:440
	v_mov_b32_e32 v7, 0
	s_mov_b32 s0, exec_lo
	ds_load_b64 v[120:121], v7 offset:912
	s_wait_loadcnt_dscnt 0x100
	v_pk_mul_f32 v[122:123], v[120:121], v[116:117] op_sel:[1,1] op_sel_hi:[0,1]
	s_delay_alu instid0(VALU_DEP_1) | instskip(SKIP_1) | instid1(VALU_DEP_2)
	v_pk_fma_f32 v[124:125], v[120:121], v[116:117], v[122:123] op_sel_hi:[1,0,1]
	v_pk_fma_f32 v[116:117], v[120:121], v[116:117], v[122:123] neg_lo:[0,0,1] neg_hi:[0,0,1]
	v_mov_b32_e32 v117, v125
	s_delay_alu instid0(VALU_DEP_1) | instskip(SKIP_1) | instid1(VALU_DEP_1)
	v_pk_add_f32 v[116:117], v[116:117], 0 op_sel_hi:[1,0]
	s_wait_loadcnt 0x0
	v_pk_add_f32 v[116:117], v[118:119], v[116:117] neg_lo:[0,1] neg_hi:[0,1]
	scratch_store_b64 off, v[116:117], off offset:440
	s_wait_xcnt 0x0
	v_cmpx_lt_u32_e32 54, v0
	s_cbranch_execz .LBB120_247
; %bb.246:
	scratch_load_b64 v[116:117], off, off offset:432
	v_mov_b64_e32 v[118:119], 0
	scratch_store_b64 off, v[118:119], off offset:432
	s_wait_loadcnt 0x0
	ds_store_b64 v1, v[116:117]
.LBB120_247:
	s_wait_xcnt 0x0
	s_or_b32 exec_lo, exec_lo, s0
	s_wait_storecnt_dscnt 0x0
	s_barrier_signal -1
	s_barrier_wait -1
	s_clause 0x1
	scratch_load_b128 v[116:119], off, off offset:440
	scratch_load_b64 v[124:125], off, off offset:432
	ds_load_2addr_b64 v[120:123], v7 offset0:113 offset1:114
	s_mov_b32 s0, exec_lo
	s_wait_dscnt 0x0
	v_dual_mov_b32 v126, v123 :: v_dual_mov_b32 v127, v122
	s_wait_loadcnt 0x1
	v_pk_mul_f32 v[128:129], v[120:121], v[116:117] op_sel:[1,1] op_sel_hi:[0,1]
	s_delay_alu instid0(VALU_DEP_1) | instskip(SKIP_2) | instid1(VALU_DEP_3)
	v_pk_fma_f32 v[132:133], v[120:121], v[116:117], v[128:129] op_sel_hi:[1,0,1]
	v_mov_b32_e32 v130, v119
	v_pk_fma_f32 v[116:117], v[120:121], v[116:117], v[128:129] neg_lo:[0,0,1] neg_hi:[0,0,1]
	v_mov_b32_e32 v117, v133
	s_delay_alu instid0(VALU_DEP_3) | instskip(NEXT) | instid1(VALU_DEP_2)
	v_pk_mul_f32 v[126:127], v[126:127], v[130:131] op_sel_hi:[1,0]
	v_pk_add_f32 v[116:117], v[116:117], 0 op_sel_hi:[1,0]
	s_delay_alu instid0(VALU_DEP_2) | instskip(SKIP_1) | instid1(VALU_DEP_2)
	v_pk_fma_f32 v[120:121], v[122:123], v[118:119], v[126:127] op_sel_hi:[1,0,1]
	v_pk_fma_f32 v[118:119], v[122:123], v[118:119], v[126:127] neg_lo:[0,0,1] neg_hi:[0,0,1]
	v_mov_b32_e32 v119, v121
	s_delay_alu instid0(VALU_DEP_1) | instskip(SKIP_1) | instid1(VALU_DEP_1)
	v_pk_add_f32 v[116:117], v[116:117], v[118:119]
	s_wait_loadcnt 0x0
	v_pk_add_f32 v[116:117], v[124:125], v[116:117] neg_lo:[0,1] neg_hi:[0,1]
	scratch_store_b64 off, v[116:117], off offset:432
	s_wait_xcnt 0x0
	v_cmpx_lt_u32_e32 53, v0
	s_cbranch_execz .LBB120_249
; %bb.248:
	scratch_load_b64 v[116:117], off, off offset:424
	v_mov_b64_e32 v[118:119], 0
	scratch_store_b64 off, v[118:119], off offset:424
	s_wait_loadcnt 0x0
	ds_store_b64 v1, v[116:117]
.LBB120_249:
	s_wait_xcnt 0x0
	s_or_b32 exec_lo, exec_lo, s0
	s_wait_storecnt_dscnt 0x0
	s_barrier_signal -1
	s_barrier_wait -1
	s_clause 0x2
	scratch_load_b128 v[116:119], off, off offset:432
	scratch_load_b64 v[124:125], off, off offset:448
	scratch_load_b64 v[126:127], off, off offset:424
	v_mov_b32_e32 v7, 0
	ds_load_b128 v[120:123], v7 offset:896
	ds_load_b64 v[128:129], v7 offset:912
	s_mov_b32 s0, exec_lo
	s_wait_dscnt 0x1
	v_dual_mov_b32 v130, v123 :: v_dual_mov_b32 v131, v122
	s_wait_loadcnt 0x2
	v_mov_b32_e32 v134, v119
	v_pk_mul_f32 v[132:133], v[120:121], v[116:117] op_sel:[1,1] op_sel_hi:[0,1]
	s_delay_alu instid0(VALU_DEP_2) | instskip(NEXT) | instid1(VALU_DEP_2)
	v_pk_mul_f32 v[130:131], v[130:131], v[134:135] op_sel_hi:[1,0]
	v_pk_fma_f32 v[136:137], v[120:121], v[116:117], v[132:133] op_sel_hi:[1,0,1]
	v_pk_fma_f32 v[116:117], v[120:121], v[116:117], v[132:133] neg_lo:[0,0,1] neg_hi:[0,0,1]
	s_wait_loadcnt_dscnt 0x100
	v_pk_mul_f32 v[132:133], v[128:129], v[124:125] op_sel:[1,1] op_sel_hi:[0,1]
	v_pk_fma_f32 v[120:121], v[122:123], v[118:119], v[130:131] op_sel_hi:[1,0,1]
	v_mov_b32_e32 v117, v137
	v_pk_fma_f32 v[118:119], v[122:123], v[118:119], v[130:131] neg_lo:[0,0,1] neg_hi:[0,0,1]
	s_delay_alu instid0(VALU_DEP_4) | instskip(NEXT) | instid1(VALU_DEP_4)
	v_pk_fma_f32 v[122:123], v[128:129], v[124:125], v[132:133] neg_lo:[0,0,1] neg_hi:[0,0,1]
	v_mov_b32_e32 v119, v121
	s_delay_alu instid0(VALU_DEP_4) | instskip(SKIP_1) | instid1(VALU_DEP_2)
	v_pk_add_f32 v[116:117], v[116:117], 0 op_sel_hi:[1,0]
	v_pk_fma_f32 v[120:121], v[128:129], v[124:125], v[132:133] op_sel_hi:[1,0,1]
	v_pk_add_f32 v[116:117], v[116:117], v[118:119]
	s_delay_alu instid0(VALU_DEP_2) | instskip(NEXT) | instid1(VALU_DEP_1)
	v_mov_b32_e32 v123, v121
	v_pk_add_f32 v[116:117], v[116:117], v[122:123]
	s_wait_loadcnt 0x0
	s_delay_alu instid0(VALU_DEP_1)
	v_pk_add_f32 v[116:117], v[126:127], v[116:117] neg_lo:[0,1] neg_hi:[0,1]
	scratch_store_b64 off, v[116:117], off offset:424
	s_wait_xcnt 0x0
	v_cmpx_lt_u32_e32 52, v0
	s_cbranch_execz .LBB120_251
; %bb.250:
	scratch_load_b64 v[116:117], off, off offset:416
	v_mov_b64_e32 v[118:119], 0
	scratch_store_b64 off, v[118:119], off offset:416
	s_wait_loadcnt 0x0
	ds_store_b64 v1, v[116:117]
.LBB120_251:
	s_wait_xcnt 0x0
	s_or_b32 exec_lo, exec_lo, s0
	s_wait_storecnt_dscnt 0x0
	s_barrier_signal -1
	s_barrier_wait -1
	s_clause 0x2
	scratch_load_b128 v[116:119], off, off offset:424
	scratch_load_b128 v[120:123], off, off offset:440
	scratch_load_b64 v[132:133], off, off offset:416
	ds_load_2addr_b64 v[124:127], v7 offset0:111 offset1:112
	ds_load_2addr_b64 v[128:131], v7 offset0:113 offset1:114
	s_mov_b32 s0, exec_lo
	s_wait_dscnt 0x1
	v_dual_mov_b32 v134, v127 :: v_dual_mov_b32 v135, v126
	s_wait_loadcnt_dscnt 0x200
	v_dual_mov_b32 v140, v131 :: v_dual_mov_b32 v138, v119
	v_pk_mul_f32 v[136:137], v[124:125], v[116:117] op_sel:[1,1] op_sel_hi:[0,1]
	s_delay_alu instid0(VALU_DEP_2) | instskip(NEXT) | instid1(VALU_DEP_2)
	v_pk_mul_f32 v[134:135], v[134:135], v[138:139] op_sel_hi:[1,0]
	v_pk_fma_f32 v[142:143], v[124:125], v[116:117], v[136:137] op_sel_hi:[1,0,1]
	v_pk_fma_f32 v[116:117], v[124:125], v[116:117], v[136:137] neg_lo:[0,0,1] neg_hi:[0,0,1]
	v_mov_b32_e32 v141, v130
	s_wait_loadcnt 0x1
	v_pk_mul_f32 v[138:139], v[128:129], v[120:121] op_sel:[1,1] op_sel_hi:[0,1]
	v_pk_fma_f32 v[124:125], v[126:127], v[118:119], v[134:135] op_sel_hi:[1,0,1]
	v_dual_mov_b32 v117, v143 :: v_dual_mov_b32 v124, v123
	v_pk_fma_f32 v[118:119], v[126:127], v[118:119], v[134:135] neg_lo:[0,0,1] neg_hi:[0,0,1]
	s_delay_alu instid0(VALU_DEP_4) | instskip(NEXT) | instid1(VALU_DEP_4)
	v_pk_fma_f32 v[136:137], v[128:129], v[120:121], v[138:139] op_sel_hi:[1,0,1]
	v_mov_b32_e32 v119, v125
	s_delay_alu instid0(VALU_DEP_4) | instskip(SKIP_2) | instid1(VALU_DEP_3)
	v_pk_add_f32 v[116:117], v[116:117], 0 op_sel_hi:[1,0]
	v_pk_mul_f32 v[124:125], v[140:141], v[124:125] op_sel_hi:[1,0]
	v_pk_fma_f32 v[120:121], v[128:129], v[120:121], v[138:139] neg_lo:[0,0,1] neg_hi:[0,0,1]
	v_pk_add_f32 v[116:117], v[116:117], v[118:119]
	s_delay_alu instid0(VALU_DEP_3) | instskip(SKIP_2) | instid1(VALU_DEP_3)
	v_pk_fma_f32 v[118:119], v[130:131], v[122:123], v[124:125] op_sel_hi:[1,0,1]
	v_mov_b32_e32 v121, v137
	v_pk_fma_f32 v[122:123], v[130:131], v[122:123], v[124:125] neg_lo:[0,0,1] neg_hi:[0,0,1]
	v_mov_b32_e32 v123, v119
	s_delay_alu instid0(VALU_DEP_3) | instskip(NEXT) | instid1(VALU_DEP_1)
	v_pk_add_f32 v[116:117], v[116:117], v[120:121]
	v_pk_add_f32 v[116:117], v[116:117], v[122:123]
	s_wait_loadcnt 0x0
	s_delay_alu instid0(VALU_DEP_1)
	v_pk_add_f32 v[116:117], v[132:133], v[116:117] neg_lo:[0,1] neg_hi:[0,1]
	scratch_store_b64 off, v[116:117], off offset:416
	s_wait_xcnt 0x0
	v_cmpx_lt_u32_e32 51, v0
	s_cbranch_execz .LBB120_253
; %bb.252:
	scratch_load_b64 v[116:117], off, off offset:408
	v_mov_b64_e32 v[118:119], 0
	scratch_store_b64 off, v[118:119], off offset:408
	s_wait_loadcnt 0x0
	ds_store_b64 v1, v[116:117]
.LBB120_253:
	s_wait_xcnt 0x0
	s_or_b32 exec_lo, exec_lo, s0
	s_wait_storecnt_dscnt 0x0
	s_barrier_signal -1
	s_barrier_wait -1
	s_clause 0x3
	scratch_load_b128 v[116:119], off, off offset:416
	scratch_load_b128 v[120:123], off, off offset:432
	scratch_load_b64 v[132:133], off, off offset:448
	scratch_load_b64 v[134:135], off, off offset:408
	v_mov_b32_e32 v7, 0
	ds_load_b128 v[124:127], v7 offset:880
	ds_load_b128 v[128:131], v7 offset:896
	s_mov_b32 s0, exec_lo
	s_wait_dscnt 0x1
	v_dual_mov_b32 v136, v127 :: v_dual_mov_b32 v137, v126
	ds_load_b64 v[142:143], v7 offset:912
	s_wait_dscnt 0x1
	v_dual_mov_b32 v144, v131 :: v_dual_mov_b32 v145, v130
	s_wait_loadcnt 0x3
	v_pk_mul_f32 v[138:139], v[124:125], v[116:117] op_sel:[1,1] op_sel_hi:[0,1]
	v_mov_b32_e32 v140, v119
	s_delay_alu instid0(VALU_DEP_2) | instskip(NEXT) | instid1(VALU_DEP_2)
	v_pk_fma_f32 v[146:147], v[124:125], v[116:117], v[138:139] op_sel_hi:[1,0,1]
	v_pk_mul_f32 v[136:137], v[136:137], v[140:141] op_sel_hi:[1,0]
	v_pk_fma_f32 v[116:117], v[124:125], v[116:117], v[138:139] neg_lo:[0,0,1] neg_hi:[0,0,1]
	s_wait_loadcnt 0x2
	v_pk_mul_f32 v[140:141], v[128:129], v[120:121] op_sel:[1,1] op_sel_hi:[0,1]
	v_dual_mov_b32 v146, v123 :: v_dual_mov_b32 v117, v147
	v_pk_fma_f32 v[124:125], v[126:127], v[118:119], v[136:137] op_sel_hi:[1,0,1]
	v_pk_fma_f32 v[118:119], v[126:127], v[118:119], v[136:137] neg_lo:[0,0,1] neg_hi:[0,0,1]
	s_delay_alu instid0(VALU_DEP_4) | instskip(NEXT) | instid1(VALU_DEP_4)
	v_pk_fma_f32 v[138:139], v[128:129], v[120:121], v[140:141] op_sel_hi:[1,0,1]
	v_pk_mul_f32 v[144:145], v[144:145], v[146:147] op_sel_hi:[1,0]
	v_pk_add_f32 v[116:117], v[116:117], 0 op_sel_hi:[1,0]
	v_mov_b32_e32 v119, v125
	v_pk_fma_f32 v[120:121], v[128:129], v[120:121], v[140:141] neg_lo:[0,0,1] neg_hi:[0,0,1]
	v_mov_b32_e32 v121, v139
	v_pk_fma_f32 v[124:125], v[130:131], v[122:123], v[144:145] op_sel_hi:[1,0,1]
	v_pk_fma_f32 v[122:123], v[130:131], v[122:123], v[144:145] neg_lo:[0,0,1] neg_hi:[0,0,1]
	v_pk_add_f32 v[116:117], v[116:117], v[118:119]
	s_wait_loadcnt_dscnt 0x100
	v_pk_mul_f32 v[118:119], v[142:143], v[132:133] op_sel:[1,1] op_sel_hi:[0,1]
	s_delay_alu instid0(VALU_DEP_2) | instskip(NEXT) | instid1(VALU_DEP_2)
	v_pk_add_f32 v[116:117], v[116:117], v[120:121]
	v_pk_fma_f32 v[120:121], v[142:143], v[132:133], v[118:119] op_sel_hi:[1,0,1]
	v_mov_b32_e32 v123, v125
	v_pk_fma_f32 v[118:119], v[142:143], v[132:133], v[118:119] neg_lo:[0,0,1] neg_hi:[0,0,1]
	s_delay_alu instid0(VALU_DEP_3) | instskip(NEXT) | instid1(VALU_DEP_3)
	v_mov_b32_e32 v119, v121
	v_pk_add_f32 v[116:117], v[116:117], v[122:123]
	s_delay_alu instid0(VALU_DEP_1) | instskip(SKIP_1) | instid1(VALU_DEP_1)
	v_pk_add_f32 v[116:117], v[116:117], v[118:119]
	s_wait_loadcnt 0x0
	v_pk_add_f32 v[116:117], v[134:135], v[116:117] neg_lo:[0,1] neg_hi:[0,1]
	scratch_store_b64 off, v[116:117], off offset:408
	s_wait_xcnt 0x0
	v_cmpx_lt_u32_e32 50, v0
	s_cbranch_execz .LBB120_255
; %bb.254:
	scratch_load_b64 v[116:117], off, off offset:400
	v_mov_b64_e32 v[118:119], 0
	scratch_store_b64 off, v[118:119], off offset:400
	s_wait_loadcnt 0x0
	ds_store_b64 v1, v[116:117]
.LBB120_255:
	s_wait_xcnt 0x0
	s_or_b32 exec_lo, exec_lo, s0
	s_wait_storecnt_dscnt 0x0
	s_barrier_signal -1
	s_barrier_wait -1
	s_clause 0x3
	scratch_load_b128 v[116:119], off, off offset:408
	scratch_load_b128 v[120:123], off, off offset:424
	;; [unrolled: 1-line block ×3, first 2 shown]
	scratch_load_b64 v[140:141], off, off offset:400
	ds_load_2addr_b64 v[128:131], v7 offset0:109 offset1:110
	ds_load_2addr_b64 v[132:135], v7 offset0:111 offset1:112
	;; [unrolled: 1-line block ×3, first 2 shown]
	s_mov_b32 s0, exec_lo
	s_wait_dscnt 0x2
	v_dual_mov_b32 v142, v131 :: v_dual_mov_b32 v143, v130
	s_wait_dscnt 0x1
	v_dual_mov_b32 v144, v135 :: v_dual_mov_b32 v145, v134
	;; [unrolled: 2-line block ×3, first 2 shown]
	s_wait_loadcnt 0x3
	v_pk_mul_f32 v[146:147], v[128:129], v[116:117] op_sel:[1,1] op_sel_hi:[0,1]
	v_mov_b32_e32 v148, v119
	s_delay_alu instid0(VALU_DEP_2) | instskip(NEXT) | instid1(VALU_DEP_2)
	v_pk_fma_f32 v[152:153], v[128:129], v[116:117], v[146:147] op_sel_hi:[1,0,1]
	v_pk_mul_f32 v[142:143], v[142:143], v[148:149] op_sel_hi:[1,0]
	v_pk_fma_f32 v[116:117], v[128:129], v[116:117], v[146:147] neg_lo:[0,0,1] neg_hi:[0,0,1]
	s_wait_loadcnt 0x2
	v_pk_mul_f32 v[148:149], v[132:133], v[120:121] op_sel:[1,1] op_sel_hi:[0,1]
	v_mov_b32_e32 v152, v123
	v_pk_fma_f32 v[128:129], v[130:131], v[118:119], v[142:143] op_sel_hi:[1,0,1]
	v_mov_b32_e32 v117, v153
	v_pk_fma_f32 v[118:119], v[130:131], v[118:119], v[142:143] neg_lo:[0,0,1] neg_hi:[0,0,1]
	v_pk_fma_f32 v[146:147], v[132:133], v[120:121], v[148:149] op_sel_hi:[1,0,1]
	v_pk_mul_f32 v[144:145], v[144:145], v[152:153] op_sel_hi:[1,0]
	v_mov_b32_e32 v119, v129
	v_pk_add_f32 v[116:117], v[116:117], 0 op_sel_hi:[1,0]
	v_pk_fma_f32 v[120:121], v[132:133], v[120:121], v[148:149] neg_lo:[0,0,1] neg_hi:[0,0,1]
	s_wait_loadcnt 0x1
	v_pk_mul_f32 v[128:129], v[136:137], v[124:125] op_sel:[1,1] op_sel_hi:[0,1]
	v_mov_b32_e32 v121, v147
	v_pk_fma_f32 v[130:131], v[134:135], v[122:123], v[144:145] op_sel_hi:[1,0,1]
	v_pk_add_f32 v[116:117], v[116:117], v[118:119]
	v_mov_b32_e32 v118, v127
	v_pk_fma_f32 v[122:123], v[134:135], v[122:123], v[144:145] neg_lo:[0,0,1] neg_hi:[0,0,1]
	v_pk_fma_f32 v[132:133], v[136:137], v[124:125], v[128:129] op_sel_hi:[1,0,1]
	v_mov_b32_e32 v123, v131
	v_pk_add_f32 v[116:117], v[116:117], v[120:121]
	v_pk_mul_f32 v[118:119], v[150:151], v[118:119] op_sel_hi:[1,0]
	v_pk_fma_f32 v[120:121], v[136:137], v[124:125], v[128:129] neg_lo:[0,0,1] neg_hi:[0,0,1]
	v_mov_b32_e32 v121, v133
	s_delay_alu instid0(VALU_DEP_4) | instskip(NEXT) | instid1(VALU_DEP_4)
	v_pk_add_f32 v[116:117], v[116:117], v[122:123]
	v_pk_fma_f32 v[122:123], v[138:139], v[126:127], v[118:119] op_sel_hi:[1,0,1]
	v_pk_fma_f32 v[118:119], v[138:139], v[126:127], v[118:119] neg_lo:[0,0,1] neg_hi:[0,0,1]
	s_delay_alu instid0(VALU_DEP_3) | instskip(NEXT) | instid1(VALU_DEP_3)
	v_pk_add_f32 v[116:117], v[116:117], v[120:121]
	v_mov_b32_e32 v119, v123
	s_delay_alu instid0(VALU_DEP_1) | instskip(SKIP_1) | instid1(VALU_DEP_1)
	v_pk_add_f32 v[116:117], v[116:117], v[118:119]
	s_wait_loadcnt 0x0
	v_pk_add_f32 v[116:117], v[140:141], v[116:117] neg_lo:[0,1] neg_hi:[0,1]
	scratch_store_b64 off, v[116:117], off offset:400
	s_wait_xcnt 0x0
	v_cmpx_lt_u32_e32 49, v0
	s_cbranch_execz .LBB120_257
; %bb.256:
	scratch_load_b64 v[116:117], off, off offset:392
	v_mov_b64_e32 v[118:119], 0
	scratch_store_b64 off, v[118:119], off offset:392
	s_wait_loadcnt 0x0
	ds_store_b64 v1, v[116:117]
.LBB120_257:
	s_wait_xcnt 0x0
	s_or_b32 exec_lo, exec_lo, s0
	s_wait_storecnt_dscnt 0x0
	s_barrier_signal -1
	s_barrier_wait -1
	s_clause 0x4
	scratch_load_b128 v[116:119], off, off offset:400
	scratch_load_b128 v[120:123], off, off offset:416
	;; [unrolled: 1-line block ×3, first 2 shown]
	scratch_load_b64 v[140:141], off, off offset:448
	scratch_load_b64 v[142:143], off, off offset:392
	v_mov_b32_e32 v7, 0
	ds_load_b128 v[128:131], v7 offset:864
	ds_load_b128 v[132:135], v7 offset:880
	;; [unrolled: 1-line block ×3, first 2 shown]
	ds_load_b64 v[144:145], v7 offset:912
	s_mov_b32 s0, exec_lo
	s_wait_dscnt 0x3
	v_dual_mov_b32 v146, v131 :: v_dual_mov_b32 v147, v130
	s_wait_dscnt 0x2
	v_dual_mov_b32 v148, v135 :: v_dual_mov_b32 v149, v134
	;; [unrolled: 2-line block ×3, first 2 shown]
	s_wait_loadcnt 0x4
	v_pk_mul_f32 v[150:151], v[128:129], v[116:117] op_sel:[1,1] op_sel_hi:[0,1]
	v_mov_b32_e32 v152, v119
	s_wait_loadcnt 0x3
	v_pk_mul_f32 v[156:157], v[132:133], v[120:121] op_sel:[1,1] op_sel_hi:[0,1]
	s_wait_loadcnt 0x2
	v_pk_mul_f32 v[160:161], v[136:137], v[124:125] op_sel:[1,1] op_sel_hi:[0,1]
	v_pk_fma_f32 v[158:159], v[128:129], v[116:117], v[150:151] op_sel_hi:[1,0,1]
	v_pk_mul_f32 v[146:147], v[146:147], v[152:153] op_sel_hi:[1,0]
	v_pk_fma_f32 v[116:117], v[128:129], v[116:117], v[150:151] neg_lo:[0,0,1] neg_hi:[0,0,1]
	v_mov_b32_e32 v152, v123
	v_pk_fma_f32 v[150:151], v[132:133], v[120:121], v[156:157] op_sel_hi:[1,0,1]
	v_mov_b32_e32 v117, v159
	v_pk_fma_f32 v[128:129], v[130:131], v[118:119], v[146:147] op_sel_hi:[1,0,1]
	v_pk_fma_f32 v[118:119], v[130:131], v[118:119], v[146:147] neg_lo:[0,0,1] neg_hi:[0,0,1]
	v_pk_mul_f32 v[148:149], v[148:149], v[152:153] op_sel_hi:[1,0]
	v_pk_fma_f32 v[120:121], v[132:133], v[120:121], v[156:157] neg_lo:[0,0,1] neg_hi:[0,0,1]
	v_pk_add_f32 v[116:117], v[116:117], 0 op_sel_hi:[1,0]
	v_dual_mov_b32 v119, v129 :: v_dual_mov_b32 v128, v127
	s_delay_alu instid0(VALU_DEP_4) | instskip(SKIP_2) | instid1(VALU_DEP_4)
	v_pk_fma_f32 v[130:131], v[134:135], v[122:123], v[148:149] op_sel_hi:[1,0,1]
	v_mov_b32_e32 v121, v151
	v_pk_fma_f32 v[122:123], v[134:135], v[122:123], v[148:149] neg_lo:[0,0,1] neg_hi:[0,0,1]
	v_pk_add_f32 v[116:117], v[116:117], v[118:119]
	v_pk_fma_f32 v[118:119], v[136:137], v[124:125], v[160:161] op_sel_hi:[1,0,1]
	v_pk_mul_f32 v[128:129], v[154:155], v[128:129] op_sel_hi:[1,0]
	v_mov_b32_e32 v123, v131
	s_delay_alu instid0(VALU_DEP_4)
	v_pk_add_f32 v[116:117], v[116:117], v[120:121]
	v_pk_fma_f32 v[120:121], v[136:137], v[124:125], v[160:161] neg_lo:[0,0,1] neg_hi:[0,0,1]
	v_mov_b32_e32 v121, v119
	v_pk_fma_f32 v[118:119], v[138:139], v[126:127], v[128:129] op_sel_hi:[1,0,1]
	v_pk_fma_f32 v[124:125], v[138:139], v[126:127], v[128:129] neg_lo:[0,0,1] neg_hi:[0,0,1]
	v_pk_add_f32 v[116:117], v[116:117], v[122:123]
	s_wait_loadcnt_dscnt 0x100
	v_pk_mul_f32 v[122:123], v[144:145], v[140:141] op_sel:[1,1] op_sel_hi:[0,1]
	v_mov_b32_e32 v125, v119
	s_delay_alu instid0(VALU_DEP_3) | instskip(NEXT) | instid1(VALU_DEP_3)
	v_pk_add_f32 v[116:117], v[116:117], v[120:121]
	v_pk_fma_f32 v[118:119], v[144:145], v[140:141], v[122:123] op_sel_hi:[1,0,1]
	v_pk_fma_f32 v[120:121], v[144:145], v[140:141], v[122:123] neg_lo:[0,0,1] neg_hi:[0,0,1]
	s_delay_alu instid0(VALU_DEP_3) | instskip(NEXT) | instid1(VALU_DEP_3)
	v_pk_add_f32 v[116:117], v[116:117], v[124:125]
	v_mov_b32_e32 v121, v119
	s_delay_alu instid0(VALU_DEP_1) | instskip(SKIP_1) | instid1(VALU_DEP_1)
	v_pk_add_f32 v[116:117], v[116:117], v[120:121]
	s_wait_loadcnt 0x0
	v_pk_add_f32 v[116:117], v[142:143], v[116:117] neg_lo:[0,1] neg_hi:[0,1]
	scratch_store_b64 off, v[116:117], off offset:392
	s_wait_xcnt 0x0
	v_cmpx_lt_u32_e32 48, v0
	s_cbranch_execz .LBB120_259
; %bb.258:
	scratch_load_b64 v[116:117], off, off offset:384
	v_mov_b64_e32 v[118:119], 0
	scratch_store_b64 off, v[118:119], off offset:384
	s_wait_loadcnt 0x0
	ds_store_b64 v1, v[116:117]
.LBB120_259:
	s_wait_xcnt 0x0
	s_or_b32 exec_lo, exec_lo, s0
	s_wait_storecnt_dscnt 0x0
	s_barrier_signal -1
	s_barrier_wait -1
	s_clause 0x4
	scratch_load_b128 v[116:119], off, off offset:392
	scratch_load_b128 v[120:123], off, off offset:408
	;; [unrolled: 1-line block ×4, first 2 shown]
	scratch_load_b64 v[148:149], off, off offset:384
	ds_load_2addr_b64 v[132:135], v7 offset0:107 offset1:108
	ds_load_2addr_b64 v[136:139], v7 offset0:109 offset1:110
	;; [unrolled: 1-line block ×4, first 2 shown]
	s_mov_b32 s0, exec_lo
	s_wait_dscnt 0x3
	v_dual_mov_b32 v150, v135 :: v_dual_mov_b32 v151, v134
	s_wait_dscnt 0x2
	v_dual_mov_b32 v152, v139 :: v_dual_mov_b32 v153, v138
	;; [unrolled: 2-line block ×3, first 2 shown]
	v_dual_mov_b32 v155, v142 :: v_dual_mov_b32 v160, v147
	s_wait_loadcnt 0x4
	v_mov_b32_e32 v158, v119
	v_pk_mul_f32 v[156:157], v[132:133], v[116:117] op_sel:[1,1] op_sel_hi:[0,1]
	s_wait_loadcnt 0x3
	v_pk_mul_f32 v[162:163], v[136:137], v[120:121] op_sel:[1,1] op_sel_hi:[0,1]
	s_wait_loadcnt 0x2
	v_pk_mul_f32 v[166:167], v[140:141], v[124:125] op_sel:[1,1] op_sel_hi:[0,1]
	v_pk_mul_f32 v[150:151], v[150:151], v[158:159] op_sel_hi:[1,0]
	v_pk_fma_f32 v[164:165], v[132:133], v[116:117], v[156:157] op_sel_hi:[1,0,1]
	v_pk_fma_f32 v[116:117], v[132:133], v[116:117], v[156:157] neg_lo:[0,0,1] neg_hi:[0,0,1]
	v_mov_b32_e32 v158, v123
	v_pk_fma_f32 v[156:157], v[136:137], v[120:121], v[162:163] op_sel_hi:[1,0,1]
	v_pk_fma_f32 v[132:133], v[134:135], v[118:119], v[150:151] op_sel_hi:[1,0,1]
	v_mov_b32_e32 v117, v165
	v_pk_fma_f32 v[118:119], v[134:135], v[118:119], v[150:151] neg_lo:[0,0,1] neg_hi:[0,0,1]
	v_pk_mul_f32 v[152:153], v[152:153], v[158:159] op_sel_hi:[1,0]
	s_delay_alu instid0(VALU_DEP_4) | instskip(NEXT) | instid1(VALU_DEP_4)
	v_dual_mov_b32 v132, v127 :: v_dual_mov_b32 v119, v133
	v_pk_add_f32 v[116:117], v[116:117], 0 op_sel_hi:[1,0]
	v_pk_fma_f32 v[120:121], v[136:137], v[120:121], v[162:163] neg_lo:[0,0,1] neg_hi:[0,0,1]
	v_mov_b32_e32 v121, v157
	v_pk_fma_f32 v[134:135], v[138:139], v[122:123], v[152:153] op_sel_hi:[1,0,1]
	v_pk_mul_f32 v[132:133], v[154:155], v[132:133] op_sel_hi:[1,0]
	v_pk_add_f32 v[116:117], v[116:117], v[118:119]
	v_pk_fma_f32 v[118:119], v[140:141], v[124:125], v[166:167] op_sel_hi:[1,0,1]
	v_pk_fma_f32 v[122:123], v[138:139], v[122:123], v[152:153] neg_lo:[0,0,1] neg_hi:[0,0,1]
	v_mov_b32_e32 v123, v135
	v_pk_fma_f32 v[124:125], v[140:141], v[124:125], v[166:167] neg_lo:[0,0,1] neg_hi:[0,0,1]
	v_pk_add_f32 v[116:117], v[116:117], v[120:121]
	v_mov_b32_e32 v125, v119
	v_pk_fma_f32 v[118:119], v[142:143], v[126:127], v[132:133] op_sel_hi:[1,0,1]
	s_wait_loadcnt 0x1
	v_pk_mul_f32 v[120:121], v[144:145], v[128:129] op_sel:[1,1] op_sel_hi:[0,1]
	v_mov_b32_e32 v118, v131
	v_pk_add_f32 v[116:117], v[116:117], v[122:123]
	v_pk_fma_f32 v[126:127], v[142:143], v[126:127], v[132:133] neg_lo:[0,0,1] neg_hi:[0,0,1]
	v_mov_b32_e32 v127, v119
	v_pk_fma_f32 v[122:123], v[144:145], v[128:129], v[120:121] op_sel_hi:[1,0,1]
	v_pk_mul_f32 v[118:119], v[160:161], v[118:119] op_sel_hi:[1,0]
	v_pk_add_f32 v[116:117], v[116:117], v[124:125]
	v_pk_fma_f32 v[120:121], v[144:145], v[128:129], v[120:121] neg_lo:[0,0,1] neg_hi:[0,0,1]
	s_delay_alu instid0(VALU_DEP_4) | instskip(NEXT) | instid1(VALU_DEP_4)
	v_mov_b32_e32 v121, v123
	v_pk_fma_f32 v[122:123], v[146:147], v[130:131], v[118:119] op_sel_hi:[1,0,1]
	s_delay_alu instid0(VALU_DEP_4) | instskip(SKIP_1) | instid1(VALU_DEP_3)
	v_pk_add_f32 v[116:117], v[116:117], v[126:127]
	v_pk_fma_f32 v[118:119], v[146:147], v[130:131], v[118:119] neg_lo:[0,0,1] neg_hi:[0,0,1]
	v_mov_b32_e32 v119, v123
	s_delay_alu instid0(VALU_DEP_3) | instskip(NEXT) | instid1(VALU_DEP_1)
	v_pk_add_f32 v[116:117], v[116:117], v[120:121]
	v_pk_add_f32 v[116:117], v[116:117], v[118:119]
	s_wait_loadcnt 0x0
	s_delay_alu instid0(VALU_DEP_1)
	v_pk_add_f32 v[116:117], v[148:149], v[116:117] neg_lo:[0,1] neg_hi:[0,1]
	scratch_store_b64 off, v[116:117], off offset:384
	s_wait_xcnt 0x0
	v_cmpx_lt_u32_e32 47, v0
	s_cbranch_execz .LBB120_261
; %bb.260:
	scratch_load_b64 v[116:117], off, off offset:376
	v_mov_b64_e32 v[118:119], 0
	scratch_store_b64 off, v[118:119], off offset:376
	s_wait_loadcnt 0x0
	ds_store_b64 v1, v[116:117]
.LBB120_261:
	s_wait_xcnt 0x0
	s_or_b32 exec_lo, exec_lo, s0
	s_wait_storecnt_dscnt 0x0
	s_barrier_signal -1
	s_barrier_wait -1
	s_clause 0x5
	scratch_load_b128 v[116:119], off, off offset:384
	scratch_load_b128 v[120:123], off, off offset:400
	;; [unrolled: 1-line block ×4, first 2 shown]
	scratch_load_b64 v[148:149], off, off offset:448
	scratch_load_b64 v[150:151], off, off offset:376
	v_mov_b32_e32 v7, 0
	ds_load_b128 v[132:135], v7 offset:848
	ds_load_b128 v[136:139], v7 offset:864
	;; [unrolled: 1-line block ×4, first 2 shown]
	ds_load_b64 v[152:153], v7 offset:912
	s_mov_b32 s0, exec_lo
	s_wait_dscnt 0x4
	v_dual_mov_b32 v154, v135 :: v_dual_mov_b32 v155, v134
	s_wait_dscnt 0x1
	v_dual_mov_b32 v156, v139 :: v_dual_mov_b32 v161, v146
	v_dual_mov_b32 v157, v138 :: v_dual_mov_b32 v158, v143
	;; [unrolled: 1-line block ×3, first 2 shown]
	s_wait_loadcnt 0x5
	v_dual_mov_b32 v162, v119 :: v_dual_mul_f32 v163, v132, v117
	v_mul_f32_e32 v9, v133, v117
	s_wait_loadcnt 0x4
	v_pk_mul_f32 v[164:165], v[136:137], v[120:121] op_sel:[1,1] op_sel_hi:[0,1]
	v_mov_b32_e32 v166, v123
	s_wait_loadcnt 0x3
	v_pk_mul_f32 v[168:169], v[140:141], v[124:125] op_sel:[1,1] op_sel_hi:[0,1]
	v_pk_mul_f32 v[154:155], v[154:155], v[162:163] op_sel_hi:[1,0]
	v_dual_fmac_f32 v163, v133, v116 :: v_dual_fma_f32 v162, v132, v116, -v9
	v_mov_b32_e32 v116, v127
	v_pk_fma_f32 v[170:171], v[136:137], v[120:121], v[164:165] op_sel_hi:[1,0,1]
	s_delay_alu instid0(VALU_DEP_4)
	v_pk_fma_f32 v[132:133], v[134:135], v[118:119], v[154:155] op_sel_hi:[1,0,1]
	v_pk_fma_f32 v[118:119], v[134:135], v[118:119], v[154:155] neg_lo:[0,0,1] neg_hi:[0,0,1]
	v_pk_mul_f32 v[156:157], v[156:157], v[166:167] op_sel_hi:[1,0]
	v_pk_add_f32 v[162:163], v[162:163], 0 op_sel_hi:[1,0]
	v_pk_fma_f32 v[120:121], v[136:137], v[120:121], v[164:165] neg_lo:[0,0,1] neg_hi:[0,0,1]
	v_dual_mov_b32 v119, v133 :: v_dual_mov_b32 v121, v171
	s_delay_alu instid0(VALU_DEP_4) | instskip(SKIP_2) | instid1(VALU_DEP_4)
	v_pk_fma_f32 v[134:135], v[138:139], v[122:123], v[156:157] op_sel_hi:[1,0,1]
	v_pk_fma_f32 v[122:123], v[138:139], v[122:123], v[156:157] neg_lo:[0,0,1] neg_hi:[0,0,1]
	v_pk_fma_f32 v[136:137], v[140:141], v[124:125], v[168:169] op_sel_hi:[1,0,1]
	v_pk_add_f32 v[118:119], v[162:163], v[118:119]
	v_pk_mul_f32 v[116:117], v[158:159], v[116:117] op_sel_hi:[1,0]
	v_mov_b32_e32 v123, v135
	v_pk_fma_f32 v[124:125], v[140:141], v[124:125], v[168:169] neg_lo:[0,0,1] neg_hi:[0,0,1]
	s_wait_loadcnt 0x2
	v_pk_mul_f32 v[132:133], v[144:145], v[128:129] op_sel:[1,1] op_sel_hi:[0,1]
	v_pk_add_f32 v[118:119], v[118:119], v[120:121]
	v_mov_b32_e32 v120, v131
	v_pk_fma_f32 v[134:135], v[142:143], v[126:127], v[116:117] op_sel_hi:[1,0,1]
	v_mov_b32_e32 v125, v137
	v_pk_fma_f32 v[116:117], v[142:143], v[126:127], v[116:117] neg_lo:[0,0,1] neg_hi:[0,0,1]
	v_pk_add_f32 v[118:119], v[118:119], v[122:123]
	v_pk_fma_f32 v[122:123], v[144:145], v[128:129], v[132:133] op_sel_hi:[1,0,1]
	v_pk_mul_f32 v[120:121], v[160:161], v[120:121] op_sel_hi:[1,0]
	v_mov_b32_e32 v117, v135
	s_delay_alu instid0(VALU_DEP_4)
	v_pk_add_f32 v[118:119], v[118:119], v[124:125]
	v_pk_fma_f32 v[124:125], v[144:145], v[128:129], v[132:133] neg_lo:[0,0,1] neg_hi:[0,0,1]
	v_mov_b32_e32 v125, v123
	v_pk_fma_f32 v[122:123], v[146:147], v[130:131], v[120:121] op_sel_hi:[1,0,1]
	v_pk_fma_f32 v[120:121], v[146:147], v[130:131], v[120:121] neg_lo:[0,0,1] neg_hi:[0,0,1]
	v_pk_add_f32 v[116:117], v[118:119], v[116:117]
	s_wait_loadcnt_dscnt 0x100
	v_pk_mul_f32 v[118:119], v[152:153], v[148:149] op_sel:[1,1] op_sel_hi:[0,1]
	v_mov_b32_e32 v121, v123
	s_delay_alu instid0(VALU_DEP_3) | instskip(NEXT) | instid1(VALU_DEP_3)
	v_pk_add_f32 v[116:117], v[116:117], v[124:125]
	v_pk_fma_f32 v[122:123], v[152:153], v[148:149], v[118:119] op_sel_hi:[1,0,1]
	v_pk_fma_f32 v[118:119], v[152:153], v[148:149], v[118:119] neg_lo:[0,0,1] neg_hi:[0,0,1]
	s_delay_alu instid0(VALU_DEP_3) | instskip(NEXT) | instid1(VALU_DEP_3)
	v_pk_add_f32 v[116:117], v[116:117], v[120:121]
	v_mov_b32_e32 v119, v123
	s_delay_alu instid0(VALU_DEP_1) | instskip(SKIP_1) | instid1(VALU_DEP_1)
	v_pk_add_f32 v[116:117], v[116:117], v[118:119]
	s_wait_loadcnt 0x0
	v_pk_add_f32 v[116:117], v[150:151], v[116:117] neg_lo:[0,1] neg_hi:[0,1]
	scratch_store_b64 off, v[116:117], off offset:376
	s_wait_xcnt 0x0
	v_cmpx_lt_u32_e32 46, v0
	s_cbranch_execz .LBB120_263
; %bb.262:
	scratch_load_b64 v[116:117], off, off offset:368
	v_mov_b64_e32 v[118:119], 0
	scratch_store_b64 off, v[118:119], off offset:368
	s_wait_loadcnt 0x0
	ds_store_b64 v1, v[116:117]
.LBB120_263:
	s_wait_xcnt 0x0
	s_or_b32 exec_lo, exec_lo, s0
	s_wait_storecnt_dscnt 0x0
	s_barrier_signal -1
	s_barrier_wait -1
	s_clause 0x5
	scratch_load_b128 v[116:119], off, off offset:376
	scratch_load_b128 v[120:123], off, off offset:392
	;; [unrolled: 1-line block ×5, first 2 shown]
	scratch_load_b64 v[156:157], off, off offset:368
	ds_load_2addr_b64 v[136:139], v7 offset0:107 offset1:108
	ds_load_2addr_b64 v[140:143], v7 offset0:109 offset1:110
	;; [unrolled: 1-line block ×5, first 2 shown]
	s_mov_b32 s0, exec_lo
	s_wait_dscnt 0x4
	v_dual_mov_b32 v158, v139 :: v_dual_mov_b32 v159, v138
	s_wait_dscnt 0x3
	v_dual_mov_b32 v160, v143 :: v_dual_mov_b32 v161, v142
	;; [unrolled: 2-line block ×4, first 2 shown]
	s_wait_loadcnt_dscnt 0x500
	v_dual_mul_f32 v167, v152, v117 :: v_dual_mul_f32 v169, v154, v119
	v_dual_mul_f32 v7, v153, v117 :: v_dual_mul_f32 v9, v155, v119
	s_wait_loadcnt 0x4
	v_pk_mul_f32 v[170:171], v[136:137], v[120:121] op_sel:[1,1] op_sel_hi:[0,1]
	s_wait_loadcnt 0x3
	v_dual_mov_b32 v172, v123 :: v_dual_mov_b32 v176, v127
	v_dual_fmac_f32 v167, v153, v116 :: v_dual_fmac_f32 v169, v155, v118
	v_dual_fma_f32 v166, v152, v116, -v7 :: v_dual_fma_f32 v168, v154, v118, -v9
	v_pk_fma_f32 v[116:117], v[136:137], v[120:121], v[170:171] op_sel_hi:[1,0,1]
	s_delay_alu instid0(VALU_DEP_4) | instskip(SKIP_1) | instid1(VALU_DEP_4)
	v_pk_mul_f32 v[118:119], v[158:159], v[172:173] op_sel_hi:[1,0]
	v_pk_fma_f32 v[120:121], v[136:137], v[120:121], v[170:171] neg_lo:[0,0,1] neg_hi:[0,0,1]
	v_pk_add_f32 v[152:153], v[166:167], 0 op_sel_hi:[1,0]
	v_pk_mul_f32 v[174:175], v[140:141], v[124:125] op_sel:[1,1] op_sel_hi:[0,1]
	v_mov_b32_e32 v121, v117
	v_pk_fma_f32 v[116:117], v[138:139], v[122:123], v[118:119] op_sel_hi:[1,0,1]
	v_pk_fma_f32 v[118:119], v[138:139], v[122:123], v[118:119] neg_lo:[0,0,1] neg_hi:[0,0,1]
	v_pk_add_f32 v[136:137], v[152:153], v[168:169]
	v_pk_fma_f32 v[152:153], v[140:141], v[124:125], v[174:175] op_sel_hi:[1,0,1]
	v_pk_mul_f32 v[158:159], v[160:161], v[176:177] op_sel_hi:[1,0]
	v_mov_b32_e32 v119, v117
	s_wait_loadcnt 0x2
	v_pk_mul_f32 v[154:155], v[144:145], v[128:129] op_sel:[1,1] op_sel_hi:[0,1]
	v_pk_add_f32 v[116:117], v[136:137], v[120:121]
	v_mov_b32_e32 v120, v131
	v_pk_fma_f32 v[122:123], v[140:141], v[124:125], v[174:175] neg_lo:[0,0,1] neg_hi:[0,0,1]
	v_mov_b32_e32 v123, v153
	v_pk_fma_f32 v[124:125], v[142:143], v[126:127], v[158:159] op_sel_hi:[1,0,1]
	v_pk_add_f32 v[116:117], v[116:117], v[118:119]
	v_pk_fma_f32 v[118:119], v[144:145], v[128:129], v[154:155] op_sel_hi:[1,0,1]
	v_pk_mul_f32 v[120:121], v[162:163], v[120:121] op_sel_hi:[1,0]
	v_pk_fma_f32 v[126:127], v[142:143], v[126:127], v[158:159] neg_lo:[0,0,1] neg_hi:[0,0,1]
	v_mov_b32_e32 v127, v125
	v_pk_add_f32 v[116:117], v[116:117], v[122:123]
	v_pk_fma_f32 v[124:125], v[144:145], v[128:129], v[154:155] neg_lo:[0,0,1] neg_hi:[0,0,1]
	v_mov_b32_e32 v125, v119
	v_pk_fma_f32 v[118:119], v[146:147], v[130:131], v[120:121] op_sel_hi:[1,0,1]
	s_wait_loadcnt 0x1
	v_pk_mul_f32 v[122:123], v[148:149], v[132:133] op_sel:[1,1] op_sel_hi:[0,1]
	v_pk_add_f32 v[116:117], v[116:117], v[126:127]
	v_mov_b32_e32 v118, v135
	v_pk_fma_f32 v[120:121], v[146:147], v[130:131], v[120:121] neg_lo:[0,0,1] neg_hi:[0,0,1]
	v_mov_b32_e32 v121, v119
	v_pk_fma_f32 v[126:127], v[148:149], v[132:133], v[122:123] op_sel_hi:[1,0,1]
	v_pk_add_f32 v[116:117], v[116:117], v[124:125]
	v_pk_mul_f32 v[118:119], v[164:165], v[118:119] op_sel_hi:[1,0]
	v_pk_fma_f32 v[122:123], v[148:149], v[132:133], v[122:123] neg_lo:[0,0,1] neg_hi:[0,0,1]
	s_delay_alu instid0(VALU_DEP_3) | instskip(NEXT) | instid1(VALU_DEP_3)
	v_pk_add_f32 v[116:117], v[116:117], v[120:121]
	v_pk_fma_f32 v[120:121], v[150:151], v[134:135], v[118:119] op_sel_hi:[1,0,1]
	v_mov_b32_e32 v123, v127
	v_pk_fma_f32 v[118:119], v[150:151], v[134:135], v[118:119] neg_lo:[0,0,1] neg_hi:[0,0,1]
	s_delay_alu instid0(VALU_DEP_3) | instskip(NEXT) | instid1(VALU_DEP_3)
	v_mov_b32_e32 v119, v121
	v_pk_add_f32 v[116:117], v[116:117], v[122:123]
	s_delay_alu instid0(VALU_DEP_1) | instskip(SKIP_1) | instid1(VALU_DEP_1)
	v_pk_add_f32 v[116:117], v[116:117], v[118:119]
	s_wait_loadcnt 0x0
	v_pk_add_f32 v[116:117], v[156:157], v[116:117] neg_lo:[0,1] neg_hi:[0,1]
	scratch_store_b64 off, v[116:117], off offset:368
	s_wait_xcnt 0x0
	v_cmpx_lt_u32_e32 45, v0
	s_cbranch_execz .LBB120_265
; %bb.264:
	scratch_load_b64 v[116:117], off, off offset:360
	v_mov_b64_e32 v[118:119], 0
	scratch_store_b64 off, v[118:119], off offset:360
	s_wait_loadcnt 0x0
	ds_store_b64 v1, v[116:117]
.LBB120_265:
	s_wait_xcnt 0x0
	s_or_b32 exec_lo, exec_lo, s0
	s_wait_storecnt_dscnt 0x0
	s_barrier_signal -1
	s_barrier_wait -1
	s_clause 0x6
	scratch_load_b128 v[116:119], off, off offset:368
	scratch_load_b128 v[120:123], off, off offset:384
	;; [unrolled: 1-line block ×5, first 2 shown]
	scratch_load_b64 v[156:157], off, off offset:448
	scratch_load_b64 v[158:159], off, off offset:360
	v_mov_b32_e32 v7, 0
	ds_load_b128 v[136:139], v7 offset:848
	ds_load_b128 v[140:143], v7 offset:864
	;; [unrolled: 1-line block ×5, first 2 shown]
	ds_load_b64 v[160:161], v7 offset:912
	s_mov_b32 s0, exec_lo
	s_wait_dscnt 0x5
	v_dual_mov_b32 v162, v139 :: v_dual_mov_b32 v163, v138
	s_wait_dscnt 0x2
	v_dual_mov_b32 v164, v143 :: v_dual_mov_b32 v169, v150
	v_dual_mov_b32 v165, v142 :: v_dual_mov_b32 v166, v147
	;; [unrolled: 1-line block ×3, first 2 shown]
	s_wait_loadcnt_dscnt 0x601
	v_dual_mul_f32 v9, v152, v117 :: v_dual_mul_f32 v11, v153, v117
	v_dual_mul_f32 v13, v155, v119 :: v_dual_mul_f32 v171, v154, v119
	s_wait_loadcnt 0x5
	v_dual_mul_f32 v173, v136, v121 :: v_dual_mul_f32 v15, v137, v121
	s_wait_loadcnt 0x4
	v_dual_mov_b32 v172, v123 :: v_dual_mov_b32 v176, v127
	v_dual_fmac_f32 v9, v153, v116 :: v_dual_fma_f32 v11, v152, v116, -v11
	v_dual_fma_f32 v170, v154, v118, -v13 :: v_dual_fmac_f32 v171, v155, v118
	s_delay_alu instid0(VALU_DEP_3) | instskip(NEXT) | instid1(VALU_DEP_3)
	v_pk_mul_f32 v[116:117], v[162:163], v[172:173] op_sel_hi:[1,0]
	v_dual_add_f32 v119, 0, v9 :: v_dual_add_f32 v118, 0, v11
	s_wait_loadcnt 0x3
	v_mov_b32_e32 v152, v131
	v_pk_mul_f32 v[174:175], v[140:141], v[124:125] op_sel:[1,1] op_sel_hi:[0,1]
	v_dual_fmac_f32 v173, v137, v120 :: v_dual_fma_f32 v172, v136, v120, -v15
	v_pk_fma_f32 v[120:121], v[138:139], v[122:123], v[116:117] op_sel_hi:[1,0,1]
	v_pk_add_f32 v[118:119], v[118:119], v[170:171]
	v_pk_fma_f32 v[116:117], v[138:139], v[122:123], v[116:117] neg_lo:[0,0,1] neg_hi:[0,0,1]
	v_pk_fma_f32 v[136:137], v[140:141], v[124:125], v[174:175] op_sel_hi:[1,0,1]
	v_pk_mul_f32 v[154:155], v[164:165], v[176:177] op_sel_hi:[1,0]
	v_mov_b32_e32 v117, v121
	v_pk_add_f32 v[118:119], v[118:119], v[172:173]
	v_pk_fma_f32 v[122:123], v[140:141], v[124:125], v[174:175] neg_lo:[0,0,1] neg_hi:[0,0,1]
	v_pk_mul_f32 v[178:179], v[144:145], v[128:129] op_sel:[1,1] op_sel_hi:[0,1]
	v_mov_b32_e32 v123, v137
	v_pk_fma_f32 v[124:125], v[142:143], v[126:127], v[154:155] op_sel_hi:[1,0,1]
	v_pk_add_f32 v[116:117], v[118:119], v[116:117]
	v_pk_fma_f32 v[126:127], v[142:143], v[126:127], v[154:155] neg_lo:[0,0,1] neg_hi:[0,0,1]
	v_pk_fma_f32 v[118:119], v[144:145], v[128:129], v[178:179] op_sel_hi:[1,0,1]
	v_pk_mul_f32 v[136:137], v[166:167], v[152:153] op_sel_hi:[1,0]
	s_wait_loadcnt 0x2
	v_dual_mov_b32 v127, v125 :: v_dual_mov_b32 v118, v135
	v_pk_add_f32 v[116:117], v[116:117], v[122:123]
	v_pk_fma_f32 v[122:123], v[144:145], v[128:129], v[178:179] neg_lo:[0,0,1] neg_hi:[0,0,1]
	v_pk_mul_f32 v[120:121], v[148:149], v[132:133] op_sel:[1,1] op_sel_hi:[0,1]
	v_pk_fma_f32 v[124:125], v[146:147], v[130:131], v[136:137] op_sel_hi:[1,0,1]
	v_mov_b32_e32 v123, v119
	v_pk_add_f32 v[116:117], v[116:117], v[126:127]
	v_pk_fma_f32 v[128:129], v[146:147], v[130:131], v[136:137] neg_lo:[0,0,1] neg_hi:[0,0,1]
	v_pk_fma_f32 v[126:127], v[148:149], v[132:133], v[120:121] op_sel_hi:[1,0,1]
	v_pk_mul_f32 v[118:119], v[168:169], v[118:119] op_sel_hi:[1,0]
	v_mov_b32_e32 v129, v125
	v_pk_add_f32 v[116:117], v[116:117], v[122:123]
	v_pk_fma_f32 v[120:121], v[148:149], v[132:133], v[120:121] neg_lo:[0,0,1] neg_hi:[0,0,1]
	s_wait_loadcnt_dscnt 0x100
	v_pk_mul_f32 v[124:125], v[160:161], v[156:157] op_sel:[1,1] op_sel_hi:[0,1]
	v_pk_fma_f32 v[122:123], v[150:151], v[134:135], v[118:119] op_sel_hi:[1,0,1]
	v_mov_b32_e32 v121, v127
	v_pk_add_f32 v[116:117], v[116:117], v[128:129]
	v_pk_fma_f32 v[118:119], v[150:151], v[134:135], v[118:119] neg_lo:[0,0,1] neg_hi:[0,0,1]
	s_delay_alu instid0(VALU_DEP_4) | instskip(SKIP_1) | instid1(VALU_DEP_4)
	v_mov_b32_e32 v119, v123
	v_pk_fma_f32 v[122:123], v[160:161], v[156:157], v[124:125] neg_lo:[0,0,1] neg_hi:[0,0,1]
	v_pk_add_f32 v[116:117], v[116:117], v[120:121]
	v_pk_fma_f32 v[120:121], v[160:161], v[156:157], v[124:125] op_sel_hi:[1,0,1]
	s_delay_alu instid0(VALU_DEP_2) | instskip(NEXT) | instid1(VALU_DEP_2)
	v_pk_add_f32 v[116:117], v[116:117], v[118:119]
	v_mov_b32_e32 v123, v121
	s_delay_alu instid0(VALU_DEP_1) | instskip(SKIP_1) | instid1(VALU_DEP_1)
	v_pk_add_f32 v[116:117], v[116:117], v[122:123]
	s_wait_loadcnt 0x0
	v_pk_add_f32 v[116:117], v[158:159], v[116:117] neg_lo:[0,1] neg_hi:[0,1]
	scratch_store_b64 off, v[116:117], off offset:360
	s_wait_xcnt 0x0
	v_cmpx_lt_u32_e32 44, v0
	s_cbranch_execz .LBB120_267
; %bb.266:
	scratch_load_b64 v[116:117], off, off offset:352
	v_mov_b64_e32 v[118:119], 0
	scratch_store_b64 off, v[118:119], off offset:352
	s_wait_loadcnt 0x0
	ds_store_b64 v1, v[116:117]
.LBB120_267:
	s_wait_xcnt 0x0
	s_or_b32 exec_lo, exec_lo, s0
	s_wait_storecnt_dscnt 0x0
	s_barrier_signal -1
	s_barrier_wait -1
	s_clause 0x6
	scratch_load_b128 v[116:119], off, off offset:360
	scratch_load_b128 v[120:123], off, off offset:376
	;; [unrolled: 1-line block ×6, first 2 shown]
	scratch_load_b64 v[164:165], off, off offset:352
	ds_load_2addr_b64 v[140:143], v7 offset0:107 offset1:108
	ds_load_2addr_b64 v[144:147], v7 offset0:109 offset1:110
	;; [unrolled: 1-line block ×6, first 2 shown]
	s_mov_b32 s0, exec_lo
	s_wait_dscnt 0x5
	v_dual_mov_b32 v166, v143 :: v_dual_mov_b32 v167, v142
	s_wait_dscnt 0x4
	v_dual_mov_b32 v168, v147 :: v_dual_mov_b32 v169, v146
	;; [unrolled: 2-line block ×4, first 2 shown]
	s_wait_loadcnt_dscnt 0x601
	v_dual_mul_f32 v7, v156, v117 :: v_dual_mul_f32 v9, v158, v119
	v_dual_mul_f32 v11, v157, v117 :: v_dual_mul_f32 v13, v159, v119
	s_wait_loadcnt 0x4
	s_delay_alu instid0(VALU_DEP_2)
	v_dual_mov_b32 v180, v127 :: v_dual_fmac_f32 v7, v157, v116
	s_wait_dscnt 0x0
	v_dual_mul_f32 v175, v160, v121 :: v_dual_mul_f32 v177, v162, v123
	v_dual_fma_f32 v11, v156, v116, -v11 :: v_dual_fmac_f32 v9, v159, v118
	v_dual_mul_f32 v15, v161, v121 :: v_dual_mul_f32 v17, v163, v123
	v_dual_fma_f32 v13, v158, v118, -v13 :: v_dual_add_f32 v7, 0, v7
	s_wait_loadcnt 0x3
	s_delay_alu instid0(VALU_DEP_3) | instskip(SKIP_3) | instid1(VALU_DEP_4)
	v_dual_add_f32 v11, 0, v11 :: v_dual_mov_b32 v118, v131
	v_pk_mul_f32 v[178:179], v[140:141], v[124:125] op_sel:[1,1] op_sel_hi:[0,1]
	v_pk_mul_f32 v[116:117], v[144:145], v[128:129] op_sel:[1,1] op_sel_hi:[0,1]
	v_dual_fmac_f32 v175, v161, v120 :: v_dual_add_f32 v121, v7, v9
	v_dual_fma_f32 v174, v160, v120, -v15 :: v_dual_add_f32 v120, v11, v13
	v_fmac_f32_e32 v177, v163, v122
	v_fma_f32 v176, v162, v122, -v17
	v_pk_fma_f32 v[122:123], v[140:141], v[124:125], v[178:179] op_sel_hi:[1,0,1]
	v_pk_mul_f32 v[156:157], v[166:167], v[180:181] op_sel_hi:[1,0]
	v_pk_add_f32 v[120:121], v[120:121], v[174:175]
	v_pk_fma_f32 v[124:125], v[140:141], v[124:125], v[178:179] neg_lo:[0,0,1] neg_hi:[0,0,1]
	v_pk_fma_f32 v[140:141], v[144:145], v[128:129], v[116:117] op_sel_hi:[1,0,1]
	v_pk_fma_f32 v[116:117], v[144:145], v[128:129], v[116:117] neg_lo:[0,0,1] neg_hi:[0,0,1]
	v_mov_b32_e32 v125, v123
	v_pk_fma_f32 v[122:123], v[142:143], v[126:127], v[156:157] op_sel_hi:[1,0,1]
	v_pk_fma_f32 v[126:127], v[142:143], v[126:127], v[156:157] neg_lo:[0,0,1] neg_hi:[0,0,1]
	v_mov_b32_e32 v117, v141
	v_pk_add_f32 v[120:121], v[120:121], v[176:177]
	v_pk_mul_f32 v[118:119], v[168:169], v[118:119] op_sel_hi:[1,0]
	s_wait_loadcnt 0x2
	v_dual_mov_b32 v127, v123 :: v_dual_mov_b32 v122, v135
	v_pk_mul_f32 v[158:159], v[148:149], v[132:133] op_sel:[1,1] op_sel_hi:[0,1]
	v_pk_add_f32 v[120:121], v[120:121], v[124:125]
	v_pk_fma_f32 v[124:125], v[146:147], v[130:131], v[118:119] op_sel_hi:[1,0,1]
	v_pk_fma_f32 v[118:119], v[146:147], v[130:131], v[118:119] neg_lo:[0,0,1] neg_hi:[0,0,1]
	v_pk_mul_f32 v[122:123], v[170:171], v[122:123] op_sel_hi:[1,0]
	s_delay_alu instid0(VALU_DEP_4) | instskip(SKIP_3) | instid1(VALU_DEP_4)
	v_pk_add_f32 v[120:121], v[120:121], v[126:127]
	v_pk_fma_f32 v[126:127], v[148:149], v[132:133], v[158:159] op_sel_hi:[1,0,1]
	v_mov_b32_e32 v119, v125
	v_pk_fma_f32 v[124:125], v[148:149], v[132:133], v[158:159] neg_lo:[0,0,1] neg_hi:[0,0,1]
	v_pk_add_f32 v[116:117], v[120:121], v[116:117]
	s_wait_loadcnt 0x1
	v_pk_mul_f32 v[120:121], v[152:153], v[136:137] op_sel:[1,1] op_sel_hi:[0,1]
	v_mov_b32_e32 v125, v127
	v_pk_fma_f32 v[126:127], v[150:151], v[134:135], v[122:123] op_sel_hi:[1,0,1]
	v_pk_fma_f32 v[122:123], v[150:151], v[134:135], v[122:123] neg_lo:[0,0,1] neg_hi:[0,0,1]
	v_pk_add_f32 v[116:117], v[116:117], v[118:119]
	v_mov_b32_e32 v118, v139
	v_pk_fma_f32 v[128:129], v[152:153], v[136:137], v[120:121] op_sel_hi:[1,0,1]
	v_mov_b32_e32 v123, v127
	v_pk_fma_f32 v[120:121], v[152:153], v[136:137], v[120:121] neg_lo:[0,0,1] neg_hi:[0,0,1]
	v_pk_add_f32 v[116:117], v[116:117], v[124:125]
	v_pk_mul_f32 v[118:119], v[172:173], v[118:119] op_sel_hi:[1,0]
	s_delay_alu instid0(VALU_DEP_2) | instskip(NEXT) | instid1(VALU_DEP_2)
	v_pk_add_f32 v[116:117], v[116:117], v[122:123]
	v_pk_fma_f32 v[122:123], v[154:155], v[138:139], v[118:119] op_sel_hi:[1,0,1]
	v_mov_b32_e32 v121, v129
	v_pk_fma_f32 v[118:119], v[154:155], v[138:139], v[118:119] neg_lo:[0,0,1] neg_hi:[0,0,1]
	s_delay_alu instid0(VALU_DEP_3) | instskip(NEXT) | instid1(VALU_DEP_3)
	v_mov_b32_e32 v119, v123
	v_pk_add_f32 v[116:117], v[116:117], v[120:121]
	s_delay_alu instid0(VALU_DEP_1) | instskip(SKIP_1) | instid1(VALU_DEP_1)
	v_pk_add_f32 v[116:117], v[116:117], v[118:119]
	s_wait_loadcnt 0x0
	v_pk_add_f32 v[116:117], v[164:165], v[116:117] neg_lo:[0,1] neg_hi:[0,1]
	scratch_store_b64 off, v[116:117], off offset:352
	s_wait_xcnt 0x0
	v_cmpx_lt_u32_e32 43, v0
	s_cbranch_execz .LBB120_269
; %bb.268:
	scratch_load_b64 v[116:117], off, off offset:344
	v_mov_b64_e32 v[118:119], 0
	scratch_store_b64 off, v[118:119], off offset:344
	s_wait_loadcnt 0x0
	ds_store_b64 v1, v[116:117]
.LBB120_269:
	s_wait_xcnt 0x0
	s_or_b32 exec_lo, exec_lo, s0
	s_wait_storecnt_dscnt 0x0
	s_barrier_signal -1
	s_barrier_wait -1
	s_clause 0x7
	scratch_load_b128 v[116:119], off, off offset:352
	scratch_load_b128 v[120:123], off, off offset:368
	;; [unrolled: 1-line block ×6, first 2 shown]
	scratch_load_b64 v[164:165], off, off offset:448
	scratch_load_b64 v[166:167], off, off offset:344
	v_mov_b32_e32 v7, 0
	ds_load_b128 v[140:143], v7 offset:848
	ds_load_b128 v[144:147], v7 offset:864
	;; [unrolled: 1-line block ×6, first 2 shown]
	ds_load_b64 v[168:169], v7 offset:912
	s_mov_b32 s0, exec_lo
	s_wait_dscnt 0x6
	v_dual_mov_b32 v170, v143 :: v_dual_mov_b32 v171, v142
	s_wait_dscnt 0x3
	v_dual_mov_b32 v172, v147 :: v_dual_mov_b32 v177, v154
	v_dual_mov_b32 v173, v146 :: v_dual_mov_b32 v174, v151
	;; [unrolled: 1-line block ×3, first 2 shown]
	s_wait_loadcnt_dscnt 0x702
	v_dual_mul_f32 v9, v156, v117 :: v_dual_mul_f32 v15, v157, v117
	v_dual_mul_f32 v17, v159, v119 :: v_dual_mul_f32 v11, v158, v119
	s_wait_loadcnt_dscnt 0x601
	s_delay_alu instid0(VALU_DEP_2) | instskip(NEXT) | instid1(VALU_DEP_3)
	v_dual_mul_f32 v13, v160, v121 :: v_dual_fmac_f32 v9, v157, v116
	v_dual_fma_f32 v15, v156, v116, -v15 :: v_dual_mul_f32 v19, v161, v121
	v_mul_f32_e32 v21, v163, v123
	s_wait_loadcnt 0x4
	v_dual_mov_b32 v116, v131 :: v_dual_fma_f32 v17, v158, v118, -v17
	v_dual_fmac_f32 v11, v159, v118 :: v_dual_add_f32 v9, 0, v9
	v_dual_add_f32 v15, 0, v15 :: v_dual_fmac_f32 v13, v161, v120
	v_dual_mul_f32 v179, v162, v123 :: v_dual_mul_f32 v181, v140, v125
	v_dual_mul_f32 v23, v141, v125 :: v_dual_mov_b32 v180, v127
	s_delay_alu instid0(VALU_DEP_4) | instskip(NEXT) | instid1(VALU_DEP_4)
	v_dual_fma_f32 v19, v160, v120, -v19 :: v_dual_add_f32 v9, v9, v11
	v_dual_add_f32 v11, v15, v17 :: v_dual_fma_f32 v178, v162, v122, -v21
	s_delay_alu instid0(VALU_DEP_4) | instskip(NEXT) | instid1(VALU_DEP_4)
	v_fmac_f32_e32 v179, v163, v122
	v_pk_mul_f32 v[120:121], v[170:171], v[180:181] op_sel_hi:[1,0]
	s_delay_alu instid0(VALU_DEP_3)
	v_dual_add_f32 v123, v9, v13 :: v_dual_add_f32 v122, v11, v19
	v_fmac_f32_e32 v181, v141, v124
	v_pk_mul_f32 v[182:183], v[144:145], v[128:129] op_sel:[1,1] op_sel_hi:[0,1]
	s_wait_loadcnt 0x3
	v_dual_mov_b32 v156, v135 :: v_dual_fma_f32 v180, v140, v124, -v23
	v_pk_fma_f32 v[124:125], v[142:143], v[126:127], v[120:121] op_sel_hi:[1,0,1]
	v_pk_add_f32 v[122:123], v[122:123], v[178:179]
	v_pk_fma_f32 v[120:121], v[142:143], v[126:127], v[120:121] neg_lo:[0,0,1] neg_hi:[0,0,1]
	v_pk_fma_f32 v[140:141], v[144:145], v[128:129], v[182:183] op_sel_hi:[1,0,1]
	v_pk_mul_f32 v[116:117], v[172:173], v[116:117] op_sel_hi:[1,0]
	v_mov_b32_e32 v121, v125
	v_pk_add_f32 v[122:123], v[122:123], v[180:181]
	v_pk_fma_f32 v[126:127], v[144:145], v[128:129], v[182:183] neg_lo:[0,0,1] neg_hi:[0,0,1]
	v_pk_mul_f32 v[118:119], v[148:149], v[132:133] op_sel:[1,1] op_sel_hi:[0,1]
	v_mov_b32_e32 v127, v141
	v_pk_fma_f32 v[128:129], v[146:147], v[130:131], v[116:117] op_sel_hi:[1,0,1]
	v_pk_add_f32 v[120:121], v[122:123], v[120:121]
	v_pk_fma_f32 v[116:117], v[146:147], v[130:131], v[116:117] neg_lo:[0,0,1] neg_hi:[0,0,1]
	v_pk_fma_f32 v[122:123], v[148:149], v[132:133], v[118:119] op_sel_hi:[1,0,1]
	v_pk_mul_f32 v[140:141], v[174:175], v[156:157] op_sel_hi:[1,0]
	s_wait_loadcnt 0x2
	v_dual_mov_b32 v117, v129 :: v_dual_mov_b32 v122, v139
	v_pk_add_f32 v[120:121], v[120:121], v[126:127]
	v_pk_fma_f32 v[118:119], v[148:149], v[132:133], v[118:119] neg_lo:[0,0,1] neg_hi:[0,0,1]
	v_pk_mul_f32 v[124:125], v[152:153], v[136:137] op_sel:[1,1] op_sel_hi:[0,1]
	v_pk_fma_f32 v[126:127], v[150:151], v[134:135], v[140:141] op_sel_hi:[1,0,1]
	v_mov_b32_e32 v119, v123
	v_pk_add_f32 v[116:117], v[120:121], v[116:117]
	v_pk_fma_f32 v[128:129], v[150:151], v[134:135], v[140:141] neg_lo:[0,0,1] neg_hi:[0,0,1]
	v_pk_fma_f32 v[120:121], v[152:153], v[136:137], v[124:125] op_sel_hi:[1,0,1]
	v_pk_mul_f32 v[122:123], v[176:177], v[122:123] op_sel_hi:[1,0]
	v_mov_b32_e32 v129, v127
	v_pk_add_f32 v[116:117], v[116:117], v[118:119]
	v_pk_fma_f32 v[118:119], v[152:153], v[136:137], v[124:125] neg_lo:[0,0,1] neg_hi:[0,0,1]
	v_mov_b32_e32 v119, v121
	v_pk_fma_f32 v[120:121], v[154:155], v[138:139], v[122:123] op_sel_hi:[1,0,1]
	s_wait_loadcnt_dscnt 0x100
	v_pk_mul_f32 v[124:125], v[168:169], v[164:165] op_sel:[1,1] op_sel_hi:[0,1]
	v_pk_add_f32 v[116:117], v[116:117], v[128:129]
	v_pk_fma_f32 v[122:123], v[154:155], v[138:139], v[122:123] neg_lo:[0,0,1] neg_hi:[0,0,1]
	v_mov_b32_e32 v123, v121
	s_delay_alu instid0(VALU_DEP_4) | instskip(NEXT) | instid1(VALU_DEP_4)
	v_pk_fma_f32 v[120:121], v[168:169], v[164:165], v[124:125] neg_lo:[0,0,1] neg_hi:[0,0,1]
	v_pk_add_f32 v[116:117], v[116:117], v[118:119]
	v_pk_fma_f32 v[118:119], v[168:169], v[164:165], v[124:125] op_sel_hi:[1,0,1]
	s_delay_alu instid0(VALU_DEP_2) | instskip(NEXT) | instid1(VALU_DEP_2)
	v_pk_add_f32 v[116:117], v[116:117], v[122:123]
	v_mov_b32_e32 v121, v119
	s_delay_alu instid0(VALU_DEP_1) | instskip(SKIP_1) | instid1(VALU_DEP_1)
	v_pk_add_f32 v[116:117], v[116:117], v[120:121]
	s_wait_loadcnt 0x0
	v_pk_add_f32 v[116:117], v[166:167], v[116:117] neg_lo:[0,1] neg_hi:[0,1]
	scratch_store_b64 off, v[116:117], off offset:344
	s_wait_xcnt 0x0
	v_cmpx_lt_u32_e32 42, v0
	s_cbranch_execz .LBB120_271
; %bb.270:
	scratch_load_b64 v[116:117], off, off offset:336
	v_mov_b64_e32 v[118:119], 0
	scratch_store_b64 off, v[118:119], off offset:336
	s_wait_loadcnt 0x0
	ds_store_b64 v1, v[116:117]
.LBB120_271:
	s_wait_xcnt 0x0
	s_or_b32 exec_lo, exec_lo, s0
	s_wait_storecnt_dscnt 0x0
	s_barrier_signal -1
	s_barrier_wait -1
	s_clause 0x7
	scratch_load_b128 v[116:119], off, off offset:344
	scratch_load_b128 v[120:123], off, off offset:360
	;; [unrolled: 1-line block ×7, first 2 shown]
	scratch_load_b64 v[172:173], off, off offset:336
	ds_load_2addr_b64 v[144:147], v7 offset0:107 offset1:108
	ds_load_2addr_b64 v[148:151], v7 offset0:109 offset1:110
	;; [unrolled: 1-line block ×7, first 2 shown]
	s_mov_b32 s0, exec_lo
	s_wait_dscnt 0x6
	v_dual_mov_b32 v174, v147 :: v_dual_mov_b32 v175, v146
	s_wait_dscnt 0x5
	v_dual_mov_b32 v176, v151 :: v_dual_mov_b32 v177, v150
	;; [unrolled: 2-line block ×4, first 2 shown]
	s_wait_loadcnt_dscnt 0x702
	v_dual_mul_f32 v7, v160, v117 :: v_dual_mul_f32 v9, v162, v119
	v_dual_mul_f32 v15, v161, v117 :: v_dual_mul_f32 v17, v163, v119
	s_wait_loadcnt_dscnt 0x601
	v_dual_mul_f32 v11, v164, v121 :: v_dual_mul_f32 v13, v166, v123
	s_delay_alu instid0(VALU_DEP_3) | instskip(NEXT) | instid1(VALU_DEP_3)
	v_dual_fmac_f32 v7, v161, v116 :: v_dual_fmac_f32 v9, v163, v118
	v_dual_fma_f32 v15, v160, v116, -v15 :: v_dual_fma_f32 v17, v162, v118, -v17
	v_dual_mul_f32 v19, v165, v121 :: v_dual_mul_f32 v21, v167, v123
	s_wait_loadcnt 0x4
	s_delay_alu instid0(VALU_DEP_3) | instskip(NEXT) | instid1(VALU_DEP_3)
	v_dual_add_f32 v7, 0, v7 :: v_dual_mov_b32 v118, v131
	v_dual_add_f32 v15, 0, v15 :: v_dual_fmac_f32 v11, v165, v120
	s_delay_alu instid0(VALU_DEP_2) | instskip(SKIP_2) | instid1(VALU_DEP_3)
	v_dual_fma_f32 v19, v164, v120, -v19 :: v_dual_add_f32 v7, v7, v9
	s_wait_dscnt 0x0
	v_dual_mul_f32 v183, v168, v125 :: v_dual_mul_f32 v185, v170, v127
	v_dual_add_f32 v9, v15, v17 :: v_dual_fma_f32 v15, v166, v122, -v21
	v_dual_mul_f32 v23, v169, v125 :: v_dual_mul_f32 v25, v171, v127
	s_delay_alu instid0(VALU_DEP_2) | instskip(NEXT) | instid1(VALU_DEP_4)
	v_dual_fmac_f32 v13, v167, v122 :: v_dual_add_f32 v9, v9, v19
	v_dual_add_f32 v7, v7, v11 :: v_dual_fmac_f32 v183, v169, v124
	v_pk_mul_f32 v[116:117], v[144:145], v[128:129] op_sel:[1,1] op_sel_hi:[0,1]
	s_wait_loadcnt 0x3
	v_pk_mul_f32 v[120:121], v[148:149], v[132:133] op_sel:[1,1] op_sel_hi:[0,1]
	v_dual_mov_b32 v122, v135 :: v_dual_fma_f32 v182, v168, v124, -v23
	v_dual_add_f32 v125, v7, v13 :: v_dual_add_f32 v124, v9, v15
	v_fmac_f32_e32 v185, v171, v126
	v_fma_f32 v184, v170, v126, -v25
	v_pk_fma_f32 v[126:127], v[144:145], v[128:129], v[116:117] op_sel_hi:[1,0,1]
	v_pk_mul_f32 v[118:119], v[174:175], v[118:119] op_sel_hi:[1,0]
	v_pk_add_f32 v[124:125], v[124:125], v[182:183]
	v_pk_fma_f32 v[116:117], v[144:145], v[128:129], v[116:117] neg_lo:[0,0,1] neg_hi:[0,0,1]
	v_pk_fma_f32 v[128:129], v[148:149], v[132:133], v[120:121] op_sel_hi:[1,0,1]
	v_pk_fma_f32 v[120:121], v[148:149], v[132:133], v[120:121] neg_lo:[0,0,1] neg_hi:[0,0,1]
	v_mov_b32_e32 v117, v127
	v_pk_fma_f32 v[126:127], v[146:147], v[130:131], v[118:119] op_sel_hi:[1,0,1]
	v_pk_fma_f32 v[118:119], v[146:147], v[130:131], v[118:119] neg_lo:[0,0,1] neg_hi:[0,0,1]
	v_mov_b32_e32 v121, v129
	v_pk_add_f32 v[124:125], v[124:125], v[184:185]
	v_pk_mul_f32 v[122:123], v[176:177], v[122:123] op_sel_hi:[1,0]
	v_mov_b32_e32 v119, v127
	s_wait_loadcnt 0x2
	v_pk_mul_f32 v[160:161], v[152:153], v[136:137] op_sel:[1,1] op_sel_hi:[0,1]
	v_pk_add_f32 v[116:117], v[124:125], v[116:117]
	v_mov_b32_e32 v124, v139
	v_pk_fma_f32 v[126:127], v[150:151], v[134:135], v[122:123] op_sel_hi:[1,0,1]
	v_pk_fma_f32 v[122:123], v[150:151], v[134:135], v[122:123] neg_lo:[0,0,1] neg_hi:[0,0,1]
	s_delay_alu instid0(VALU_DEP_4)
	v_pk_add_f32 v[116:117], v[116:117], v[118:119]
	v_pk_fma_f32 v[118:119], v[152:153], v[136:137], v[160:161] op_sel_hi:[1,0,1]
	v_pk_mul_f32 v[124:125], v[178:179], v[124:125] op_sel_hi:[1,0]
	v_mov_b32_e32 v123, v127
	v_pk_fma_f32 v[126:127], v[152:153], v[136:137], v[160:161] neg_lo:[0,0,1] neg_hi:[0,0,1]
	v_pk_add_f32 v[116:117], v[116:117], v[120:121]
	v_mov_b32_e32 v127, v119
	v_pk_fma_f32 v[118:119], v[154:155], v[138:139], v[124:125] op_sel_hi:[1,0,1]
	s_wait_loadcnt 0x1
	v_pk_mul_f32 v[120:121], v[156:157], v[140:141] op_sel:[1,1] op_sel_hi:[0,1]
	v_mov_b32_e32 v118, v143
	v_pk_add_f32 v[116:117], v[116:117], v[122:123]
	v_pk_fma_f32 v[124:125], v[154:155], v[138:139], v[124:125] neg_lo:[0,0,1] neg_hi:[0,0,1]
	v_mov_b32_e32 v125, v119
	v_pk_fma_f32 v[122:123], v[156:157], v[140:141], v[120:121] op_sel_hi:[1,0,1]
	v_pk_mul_f32 v[118:119], v[180:181], v[118:119] op_sel_hi:[1,0]
	v_pk_add_f32 v[116:117], v[116:117], v[126:127]
	v_pk_fma_f32 v[120:121], v[156:157], v[140:141], v[120:121] neg_lo:[0,0,1] neg_hi:[0,0,1]
	s_delay_alu instid0(VALU_DEP_4) | instskip(NEXT) | instid1(VALU_DEP_4)
	v_mov_b32_e32 v121, v123
	v_pk_fma_f32 v[122:123], v[158:159], v[142:143], v[118:119] op_sel_hi:[1,0,1]
	s_delay_alu instid0(VALU_DEP_4) | instskip(SKIP_1) | instid1(VALU_DEP_3)
	v_pk_add_f32 v[116:117], v[116:117], v[124:125]
	v_pk_fma_f32 v[118:119], v[158:159], v[142:143], v[118:119] neg_lo:[0,0,1] neg_hi:[0,0,1]
	v_mov_b32_e32 v119, v123
	s_delay_alu instid0(VALU_DEP_3) | instskip(NEXT) | instid1(VALU_DEP_1)
	v_pk_add_f32 v[116:117], v[116:117], v[120:121]
	v_pk_add_f32 v[116:117], v[116:117], v[118:119]
	s_wait_loadcnt 0x0
	s_delay_alu instid0(VALU_DEP_1)
	v_pk_add_f32 v[116:117], v[172:173], v[116:117] neg_lo:[0,1] neg_hi:[0,1]
	scratch_store_b64 off, v[116:117], off offset:336
	s_wait_xcnt 0x0
	v_cmpx_lt_u32_e32 41, v0
	s_cbranch_execz .LBB120_273
; %bb.272:
	scratch_load_b64 v[116:117], off, off offset:328
	v_mov_b64_e32 v[118:119], 0
	scratch_store_b64 off, v[118:119], off offset:328
	s_wait_loadcnt 0x0
	ds_store_b64 v1, v[116:117]
.LBB120_273:
	s_wait_xcnt 0x0
	s_or_b32 exec_lo, exec_lo, s0
	s_wait_storecnt_dscnt 0x0
	s_barrier_signal -1
	s_barrier_wait -1
	s_clause 0x8
	scratch_load_b128 v[116:119], off, off offset:336
	scratch_load_b128 v[120:123], off, off offset:352
	;; [unrolled: 1-line block ×7, first 2 shown]
	scratch_load_b64 v[172:173], off, off offset:448
	scratch_load_b64 v[174:175], off, off offset:328
	v_mov_b32_e32 v7, 0
	ds_load_b128 v[144:147], v7 offset:848
	ds_load_b128 v[148:151], v7 offset:864
	;; [unrolled: 1-line block ×7, first 2 shown]
	ds_load_b64 v[176:177], v7 offset:912
	s_mov_b32 s0, exec_lo
	s_wait_dscnt 0x7
	v_dual_mov_b32 v178, v147 :: v_dual_mov_b32 v179, v146
	s_wait_dscnt 0x4
	v_dual_mov_b32 v180, v151 :: v_dual_mov_b32 v185, v158
	v_dual_mov_b32 v181, v150 :: v_dual_mov_b32 v182, v155
	;; [unrolled: 1-line block ×3, first 2 shown]
	s_wait_loadcnt_dscnt 0x803
	v_dual_mul_f32 v9, v160, v117 :: v_dual_mul_f32 v19, v161, v117
	v_dual_mul_f32 v21, v163, v119 :: v_dual_mul_f32 v11, v162, v119
	s_wait_loadcnt_dscnt 0x702
	v_mul_f32_e32 v13, v164, v121
	s_wait_loadcnt 0x5
	v_dual_mul_f32 v31, v145, v129 :: v_dual_fma_f32 v19, v160, v116, -v19
	v_dual_fmac_f32 v9, v161, v116 :: v_dual_mov_b32 v116, v131
	v_dual_mul_f32 v23, v165, v121 :: v_dual_mul_f32 v25, v167, v123
	v_dual_fmac_f32 v11, v163, v118 :: v_dual_fma_f32 v21, v162, v118, -v21
	s_delay_alu instid0(VALU_DEP_3) | instskip(SKIP_3) | instid1(VALU_DEP_3)
	v_dual_add_f32 v9, 0, v9 :: v_dual_add_f32 v19, 0, v19
	s_wait_dscnt 0x1
	v_dual_mul_f32 v15, v166, v123 :: v_dual_mul_f32 v17, v168, v125
	v_dual_fmac_f32 v13, v165, v120 :: v_dual_fma_f32 v23, v164, v120, -v23
	v_dual_add_f32 v9, v9, v11 :: v_dual_add_f32 v11, v19, v21
	v_dual_mul_f32 v27, v169, v125 :: v_dual_mul_f32 v29, v171, v127
	s_wait_loadcnt 0x4
	v_dual_mov_b32 v120, v135 :: v_dual_fma_f32 v19, v166, v122, -v25
	s_delay_alu instid0(VALU_DEP_3) | instskip(SKIP_2) | instid1(VALU_DEP_3)
	v_dual_fmac_f32 v15, v167, v122 :: v_dual_add_f32 v9, v9, v13
	v_dual_add_f32 v11, v11, v23 :: v_dual_fmac_f32 v17, v169, v124
	v_dual_mul_f32 v187, v170, v127 :: v_dual_mul_f32 v189, v144, v129
	v_dual_fma_f32 v13, v168, v124, -v27 :: v_dual_add_f32 v9, v9, v15
	s_delay_alu instid0(VALU_DEP_3) | instskip(NEXT) | instid1(VALU_DEP_3)
	v_dual_add_f32 v11, v11, v19 :: v_dual_fma_f32 v186, v170, v126, -v29
	v_fmac_f32_e32 v187, v171, v126
	v_pk_mul_f32 v[116:117], v[178:179], v[116:117] op_sel_hi:[1,0]
	s_delay_alu instid0(VALU_DEP_4) | instskip(NEXT) | instid1(VALU_DEP_4)
	v_add_f32_e32 v125, v9, v17
	v_dual_add_f32 v124, v11, v13 :: v_dual_fmac_f32 v189, v145, v128
	v_pk_mul_f32 v[118:119], v[148:149], v[132:133] op_sel:[1,1] op_sel_hi:[0,1]
	s_wait_loadcnt 0x3
	v_dual_mov_b32 v126, v139 :: v_dual_fma_f32 v188, v144, v128, -v31
	v_pk_fma_f32 v[128:129], v[146:147], v[130:131], v[116:117] op_sel_hi:[1,0,1]
	v_pk_add_f32 v[124:125], v[124:125], v[186:187]
	v_pk_fma_f32 v[116:117], v[146:147], v[130:131], v[116:117] neg_lo:[0,0,1] neg_hi:[0,0,1]
	v_pk_fma_f32 v[144:145], v[148:149], v[132:133], v[118:119] op_sel_hi:[1,0,1]
	v_pk_mul_f32 v[120:121], v[180:181], v[120:121] op_sel_hi:[1,0]
	v_mov_b32_e32 v117, v129
	v_pk_add_f32 v[124:125], v[124:125], v[188:189]
	v_pk_fma_f32 v[118:119], v[148:149], v[132:133], v[118:119] neg_lo:[0,0,1] neg_hi:[0,0,1]
	v_pk_mul_f32 v[122:123], v[152:153], v[136:137] op_sel:[1,1] op_sel_hi:[0,1]
	v_mov_b32_e32 v119, v145
	v_pk_fma_f32 v[130:131], v[150:151], v[134:135], v[120:121] op_sel_hi:[1,0,1]
	v_pk_add_f32 v[116:117], v[124:125], v[116:117]
	v_pk_fma_f32 v[120:121], v[150:151], v[134:135], v[120:121] neg_lo:[0,0,1] neg_hi:[0,0,1]
	v_pk_fma_f32 v[124:125], v[152:153], v[136:137], v[122:123] op_sel_hi:[1,0,1]
	v_pk_mul_f32 v[126:127], v[182:183], v[126:127] op_sel_hi:[1,0]
	v_mov_b32_e32 v121, v131
	v_pk_add_f32 v[116:117], v[116:117], v[118:119]
	v_pk_fma_f32 v[122:123], v[152:153], v[136:137], v[122:123] neg_lo:[0,0,1] neg_hi:[0,0,1]
	s_wait_loadcnt 0x2
	v_pk_mul_f32 v[128:129], v[156:157], v[140:141] op_sel:[1,1] op_sel_hi:[0,1]
	v_dual_mov_b32 v118, v143 :: v_dual_mov_b32 v123, v125
	v_pk_fma_f32 v[124:125], v[154:155], v[138:139], v[126:127] op_sel_hi:[1,0,1]
	v_pk_add_f32 v[116:117], v[116:117], v[120:121]
	v_pk_fma_f32 v[126:127], v[154:155], v[138:139], v[126:127] neg_lo:[0,0,1] neg_hi:[0,0,1]
	v_pk_fma_f32 v[120:121], v[156:157], v[140:141], v[128:129] op_sel_hi:[1,0,1]
	v_pk_mul_f32 v[118:119], v[184:185], v[118:119] op_sel_hi:[1,0]
	v_mov_b32_e32 v127, v125
	v_pk_add_f32 v[116:117], v[116:117], v[122:123]
	v_pk_fma_f32 v[122:123], v[156:157], v[140:141], v[128:129] neg_lo:[0,0,1] neg_hi:[0,0,1]
	v_mov_b32_e32 v123, v121
	v_pk_fma_f32 v[120:121], v[158:159], v[142:143], v[118:119] op_sel_hi:[1,0,1]
	s_wait_loadcnt_dscnt 0x100
	v_pk_mul_f32 v[124:125], v[176:177], v[172:173] op_sel:[1,1] op_sel_hi:[0,1]
	v_pk_add_f32 v[116:117], v[116:117], v[126:127]
	v_pk_fma_f32 v[118:119], v[158:159], v[142:143], v[118:119] neg_lo:[0,0,1] neg_hi:[0,0,1]
	v_mov_b32_e32 v119, v121
	s_delay_alu instid0(VALU_DEP_4) | instskip(NEXT) | instid1(VALU_DEP_4)
	v_pk_fma_f32 v[120:121], v[176:177], v[172:173], v[124:125] op_sel_hi:[1,0,1]
	v_pk_add_f32 v[116:117], v[116:117], v[122:123]
	v_pk_fma_f32 v[122:123], v[176:177], v[172:173], v[124:125] neg_lo:[0,0,1] neg_hi:[0,0,1]
	s_delay_alu instid0(VALU_DEP_3) | instskip(NEXT) | instid1(VALU_DEP_3)
	v_mov_b32_e32 v123, v121
	v_pk_add_f32 v[116:117], v[116:117], v[118:119]
	s_delay_alu instid0(VALU_DEP_1) | instskip(SKIP_1) | instid1(VALU_DEP_1)
	v_pk_add_f32 v[116:117], v[116:117], v[122:123]
	s_wait_loadcnt 0x0
	v_pk_add_f32 v[116:117], v[174:175], v[116:117] neg_lo:[0,1] neg_hi:[0,1]
	scratch_store_b64 off, v[116:117], off offset:328
	s_wait_xcnt 0x0
	v_cmpx_lt_u32_e32 40, v0
	s_cbranch_execz .LBB120_275
; %bb.274:
	scratch_load_b64 v[116:117], off, off offset:320
	v_mov_b64_e32 v[118:119], 0
	scratch_store_b64 off, v[118:119], off offset:320
	s_wait_loadcnt 0x0
	ds_store_b64 v1, v[116:117]
.LBB120_275:
	s_wait_xcnt 0x0
	s_or_b32 exec_lo, exec_lo, s0
	s_wait_storecnt_dscnt 0x0
	s_barrier_signal -1
	s_barrier_wait -1
	s_clause 0x8
	scratch_load_b128 v[116:119], off, off offset:328
	scratch_load_b128 v[120:123], off, off offset:344
	;; [unrolled: 1-line block ×8, first 2 shown]
	scratch_load_b64 v[180:181], off, off offset:320
	ds_load_2addr_b64 v[148:151], v7 offset0:107 offset1:108
	ds_load_2addr_b64 v[152:155], v7 offset0:109 offset1:110
	;; [unrolled: 1-line block ×8, first 2 shown]
	s_mov_b32 s0, exec_lo
	s_wait_dscnt 0x7
	v_dual_mov_b32 v182, v151 :: v_dual_mov_b32 v183, v150
	s_wait_dscnt 0x6
	v_dual_mov_b32 v184, v155 :: v_dual_mov_b32 v185, v154
	;; [unrolled: 2-line block ×4, first 2 shown]
	s_wait_loadcnt_dscnt 0x803
	v_dual_mul_f32 v7, v164, v117 :: v_dual_mul_f32 v9, v166, v119
	v_dual_mul_f32 v19, v165, v117 :: v_dual_mul_f32 v21, v167, v119
	s_wait_loadcnt_dscnt 0x702
	v_dual_mul_f32 v11, v168, v121 :: v_dual_mul_f32 v13, v170, v123
	s_delay_alu instid0(VALU_DEP_3) | instskip(SKIP_3) | instid1(VALU_DEP_3)
	v_dual_fmac_f32 v7, v165, v116 :: v_dual_fmac_f32 v9, v167, v118
	s_wait_loadcnt_dscnt 0x500
	v_dual_fma_f32 v19, v164, v116, -v19 :: v_dual_mul_f32 v31, v177, v129
	v_dual_mul_f32 v23, v169, v121 :: v_dual_mul_f32 v25, v171, v123
	v_dual_fma_f32 v21, v166, v118, -v21 :: v_dual_add_f32 v7, 0, v7
	s_delay_alu instid0(VALU_DEP_3) | instskip(SKIP_1) | instid1(VALU_DEP_4)
	v_dual_add_f32 v19, 0, v19 :: v_dual_fmac_f32 v11, v169, v120
	v_dual_mul_f32 v15, v172, v125 :: v_dual_mul_f32 v17, v174, v127
	v_dual_mul_f32 v33, v179, v131 :: v_dual_fma_f32 v23, v168, v120, -v23
	s_delay_alu instid0(VALU_DEP_4) | instskip(NEXT) | instid1(VALU_DEP_3)
	v_add_f32_e32 v7, v7, v9
	v_dual_add_f32 v9, v19, v21 :: v_dual_fmac_f32 v15, v173, v124
	v_dual_mul_f32 v27, v173, v125 :: v_dual_mul_f32 v29, v175, v127
	s_delay_alu instid0(VALU_DEP_2) | instskip(NEXT) | instid1(VALU_DEP_4)
	v_dual_fmac_f32 v13, v171, v122 :: v_dual_add_f32 v9, v9, v23
	v_dual_fma_f32 v19, v170, v122, -v25 :: v_dual_add_f32 v7, v7, v11
	s_wait_loadcnt 0x4
	s_delay_alu instid0(VALU_DEP_3) | instskip(SKIP_1) | instid1(VALU_DEP_3)
	v_dual_fma_f32 v11, v172, v124, -v27 :: v_dual_mov_b32 v118, v135
	v_dual_mul_f32 v191, v176, v129 :: v_dual_mul_f32 v193, v178, v131
	v_dual_add_f32 v7, v7, v13 :: v_dual_fma_f32 v13, v174, v126, -v29
	v_dual_add_f32 v9, v9, v19 :: v_dual_fmac_f32 v17, v175, v126
	v_pk_mul_f32 v[116:117], v[148:149], v[132:133] op_sel:[1,1] op_sel_hi:[0,1]
	s_delay_alu instid0(VALU_DEP_3) | instskip(SKIP_1) | instid1(VALU_DEP_3)
	v_dual_add_f32 v7, v7, v15 :: v_dual_fmac_f32 v191, v177, v128
	s_wait_loadcnt 0x3
	v_dual_add_f32 v9, v9, v11 :: v_dual_mov_b32 v122, v139
	s_delay_alu instid0(VALU_DEP_2) | instskip(NEXT) | instid1(VALU_DEP_2)
	v_dual_fma_f32 v190, v176, v128, -v31 :: v_dual_add_f32 v125, v7, v17
	v_dual_fma_f32 v192, v178, v130, -v33 :: v_dual_add_f32 v124, v9, v13
	v_fmac_f32_e32 v193, v179, v130
	v_pk_fma_f32 v[126:127], v[148:149], v[132:133], v[116:117] op_sel_hi:[1,0,1]
	v_pk_mul_f32 v[118:119], v[182:183], v[118:119] op_sel_hi:[1,0]
	v_pk_fma_f32 v[116:117], v[148:149], v[132:133], v[116:117] neg_lo:[0,0,1] neg_hi:[0,0,1]
	v_pk_add_f32 v[124:125], v[124:125], v[190:191]
	v_pk_mul_f32 v[120:121], v[152:153], v[136:137] op_sel:[1,1] op_sel_hi:[0,1]
	v_mov_b32_e32 v117, v127
	v_pk_fma_f32 v[126:127], v[150:151], v[134:135], v[118:119] op_sel_hi:[1,0,1]
	v_pk_fma_f32 v[118:119], v[150:151], v[134:135], v[118:119] neg_lo:[0,0,1] neg_hi:[0,0,1]
	v_pk_add_f32 v[124:125], v[124:125], v[192:193]
	v_pk_fma_f32 v[130:131], v[152:153], v[136:137], v[120:121] op_sel_hi:[1,0,1]
	v_pk_mul_f32 v[122:123], v[184:185], v[122:123] op_sel_hi:[1,0]
	v_mov_b32_e32 v119, v127
	s_wait_loadcnt 0x2
	v_pk_mul_f32 v[128:129], v[156:157], v[140:141] op_sel:[1,1] op_sel_hi:[0,1]
	v_pk_add_f32 v[116:117], v[124:125], v[116:117]
	v_mov_b32_e32 v124, v143
	v_pk_fma_f32 v[120:121], v[152:153], v[136:137], v[120:121] neg_lo:[0,0,1] neg_hi:[0,0,1]
	v_mov_b32_e32 v121, v131
	v_pk_fma_f32 v[126:127], v[154:155], v[138:139], v[122:123] op_sel_hi:[1,0,1]
	v_pk_add_f32 v[116:117], v[116:117], v[118:119]
	v_pk_fma_f32 v[118:119], v[156:157], v[140:141], v[128:129] op_sel_hi:[1,0,1]
	v_pk_mul_f32 v[124:125], v[186:187], v[124:125] op_sel_hi:[1,0]
	v_pk_fma_f32 v[122:123], v[154:155], v[138:139], v[122:123] neg_lo:[0,0,1] neg_hi:[0,0,1]
	v_mov_b32_e32 v123, v127
	v_pk_add_f32 v[116:117], v[116:117], v[120:121]
	v_pk_fma_f32 v[126:127], v[156:157], v[140:141], v[128:129] neg_lo:[0,0,1] neg_hi:[0,0,1]
	v_mov_b32_e32 v127, v119
	v_pk_fma_f32 v[118:119], v[158:159], v[142:143], v[124:125] op_sel_hi:[1,0,1]
	s_wait_loadcnt 0x1
	v_pk_mul_f32 v[120:121], v[160:161], v[144:145] op_sel:[1,1] op_sel_hi:[0,1]
	v_pk_add_f32 v[116:117], v[116:117], v[122:123]
	v_mov_b32_e32 v118, v147
	v_pk_fma_f32 v[124:125], v[158:159], v[142:143], v[124:125] neg_lo:[0,0,1] neg_hi:[0,0,1]
	v_mov_b32_e32 v125, v119
	v_pk_fma_f32 v[122:123], v[160:161], v[144:145], v[120:121] op_sel_hi:[1,0,1]
	v_pk_add_f32 v[116:117], v[116:117], v[126:127]
	v_pk_mul_f32 v[118:119], v[188:189], v[118:119] op_sel_hi:[1,0]
	v_pk_fma_f32 v[120:121], v[160:161], v[144:145], v[120:121] neg_lo:[0,0,1] neg_hi:[0,0,1]
	s_delay_alu instid0(VALU_DEP_4) | instskip(NEXT) | instid1(VALU_DEP_4)
	v_mov_b32_e32 v121, v123
	v_pk_add_f32 v[116:117], v[116:117], v[124:125]
	s_delay_alu instid0(VALU_DEP_4) | instskip(SKIP_1) | instid1(VALU_DEP_2)
	v_pk_fma_f32 v[122:123], v[162:163], v[146:147], v[118:119] op_sel_hi:[1,0,1]
	v_pk_fma_f32 v[118:119], v[162:163], v[146:147], v[118:119] neg_lo:[0,0,1] neg_hi:[0,0,1]
	v_mov_b32_e32 v119, v123
	s_delay_alu instid0(VALU_DEP_4) | instskip(NEXT) | instid1(VALU_DEP_1)
	v_pk_add_f32 v[116:117], v[116:117], v[120:121]
	v_pk_add_f32 v[116:117], v[116:117], v[118:119]
	s_wait_loadcnt 0x0
	s_delay_alu instid0(VALU_DEP_1)
	v_pk_add_f32 v[116:117], v[180:181], v[116:117] neg_lo:[0,1] neg_hi:[0,1]
	scratch_store_b64 off, v[116:117], off offset:320
	s_wait_xcnt 0x0
	v_cmpx_lt_u32_e32 39, v0
	s_cbranch_execz .LBB120_277
; %bb.276:
	scratch_load_b64 v[116:117], off, off offset:312
	v_mov_b64_e32 v[118:119], 0
	scratch_store_b64 off, v[118:119], off offset:312
	s_wait_loadcnt 0x0
	ds_store_b64 v1, v[116:117]
.LBB120_277:
	s_wait_xcnt 0x0
	s_or_b32 exec_lo, exec_lo, s0
	s_wait_storecnt_dscnt 0x0
	s_barrier_signal -1
	s_barrier_wait -1
	s_clause 0x9
	scratch_load_b128 v[116:119], off, off offset:320
	scratch_load_b128 v[120:123], off, off offset:336
	;; [unrolled: 1-line block ×8, first 2 shown]
	scratch_load_b64 v[180:181], off, off offset:448
	scratch_load_b64 v[182:183], off, off offset:312
	v_mov_b32_e32 v7, 0
	ds_load_b128 v[148:151], v7 offset:848
	ds_load_b128 v[152:155], v7 offset:864
	;; [unrolled: 1-line block ×8, first 2 shown]
	ds_load_b64 v[184:185], v7 offset:912
	s_mov_b32 s0, exec_lo
	s_wait_dscnt 0x8
	v_dual_mov_b32 v186, v151 :: v_dual_mov_b32 v187, v150
	s_wait_dscnt 0x5
	v_dual_mov_b32 v188, v155 :: v_dual_mov_b32 v193, v162
	v_dual_mov_b32 v189, v154 :: v_dual_mov_b32 v190, v159
	;; [unrolled: 1-line block ×3, first 2 shown]
	s_wait_loadcnt_dscnt 0x904
	v_dual_mul_f32 v9, v164, v117 :: v_dual_mul_f32 v23, v165, v117
	v_dual_mul_f32 v25, v167, v119 :: v_dual_mul_f32 v11, v166, v119
	s_wait_loadcnt_dscnt 0x803
	v_mul_f32_e32 v13, v168, v121
	s_wait_loadcnt_dscnt 0x601
	v_dual_mul_f32 v35, v177, v129 :: v_dual_fma_f32 v23, v164, v116, -v23
	v_dual_fmac_f32 v9, v165, v116 :: v_dual_mul_f32 v37, v179, v131
	v_dual_mul_f32 v27, v169, v121 :: v_dual_mul_f32 v29, v171, v123
	v_dual_fmac_f32 v11, v167, v118 :: v_dual_fma_f32 v25, v166, v118, -v25
	s_delay_alu instid0(VALU_DEP_3)
	v_dual_add_f32 v9, 0, v9 :: v_dual_add_f32 v23, 0, v23
	v_dual_mul_f32 v15, v170, v123 :: v_dual_mul_f32 v17, v172, v125
	s_wait_loadcnt 0x5
	v_dual_mul_f32 v39, v149, v133 :: v_dual_fma_f32 v27, v168, v120, -v27
	v_fmac_f32_e32 v13, v169, v120
	v_dual_add_f32 v9, v9, v11 :: v_dual_mov_b32 v116, v135
	v_add_f32_e32 v11, v23, v25
	v_dual_mul_f32 v31, v173, v125 :: v_dual_mul_f32 v33, v175, v127
	v_dual_fmac_f32 v15, v171, v122 :: v_dual_fma_f32 v23, v170, v122, -v29
	s_delay_alu instid0(VALU_DEP_3) | instskip(SKIP_1) | instid1(VALU_DEP_4)
	v_dual_add_f32 v9, v9, v13 :: v_dual_add_f32 v11, v11, v27
	v_dual_mul_f32 v19, v174, v127 :: v_dual_mul_f32 v21, v176, v129
	v_dual_fmac_f32 v17, v173, v124 :: v_dual_fma_f32 v13, v172, v124, -v31
	s_wait_loadcnt 0x4
	s_delay_alu instid0(VALU_DEP_3) | instskip(SKIP_1) | instid1(VALU_DEP_2)
	v_dual_add_f32 v9, v9, v15 :: v_dual_mov_b32 v120, v139
	v_dual_add_f32 v11, v11, v23 :: v_dual_fma_f32 v15, v174, v126, -v33
	v_dual_fmac_f32 v19, v175, v126 :: v_dual_add_f32 v9, v9, v17
	v_dual_mul_f32 v195, v178, v131 :: v_dual_mul_f32 v197, v148, v133
	s_delay_alu instid0(VALU_DEP_3) | instskip(NEXT) | instid1(VALU_DEP_3)
	v_dual_add_f32 v11, v11, v13 :: v_dual_fmac_f32 v21, v177, v128
	v_dual_fma_f32 v13, v176, v128, -v35 :: v_dual_add_f32 v9, v9, v19
	s_delay_alu instid0(VALU_DEP_3) | instskip(NEXT) | instid1(VALU_DEP_3)
	v_fmac_f32_e32 v195, v179, v130
	v_dual_add_f32 v11, v11, v15 :: v_dual_fma_f32 v194, v178, v130, -v37
	v_pk_mul_f32 v[116:117], v[186:187], v[116:117] op_sel_hi:[1,0]
	s_delay_alu instid0(VALU_DEP_4) | instskip(SKIP_1) | instid1(VALU_DEP_4)
	v_add_f32_e32 v125, v9, v21
	v_pk_mul_f32 v[118:119], v[152:153], v[136:137] op_sel:[1,1] op_sel_hi:[0,1]
	v_dual_add_f32 v124, v11, v13 :: v_dual_fmac_f32 v197, v149, v132
	s_wait_loadcnt 0x3
	v_dual_mov_b32 v126, v143 :: v_dual_fma_f32 v196, v148, v132, -v39
	v_pk_fma_f32 v[128:129], v[150:151], v[134:135], v[116:117] op_sel_hi:[1,0,1]
	s_delay_alu instid0(VALU_DEP_3)
	v_pk_add_f32 v[124:125], v[124:125], v[194:195]
	v_pk_fma_f32 v[116:117], v[150:151], v[134:135], v[116:117] neg_lo:[0,0,1] neg_hi:[0,0,1]
	v_pk_fma_f32 v[130:131], v[152:153], v[136:137], v[118:119] op_sel_hi:[1,0,1]
	v_pk_mul_f32 v[120:121], v[188:189], v[120:121] op_sel_hi:[1,0]
	v_mov_b32_e32 v117, v129
	v_pk_add_f32 v[124:125], v[124:125], v[196:197]
	v_pk_fma_f32 v[118:119], v[152:153], v[136:137], v[118:119] neg_lo:[0,0,1] neg_hi:[0,0,1]
	v_pk_mul_f32 v[122:123], v[156:157], v[140:141] op_sel:[1,1] op_sel_hi:[0,1]
	v_mov_b32_e32 v119, v131
	v_pk_fma_f32 v[130:131], v[154:155], v[138:139], v[120:121] op_sel_hi:[1,0,1]
	v_pk_add_f32 v[116:117], v[124:125], v[116:117]
	v_pk_fma_f32 v[120:121], v[154:155], v[138:139], v[120:121] neg_lo:[0,0,1] neg_hi:[0,0,1]
	v_pk_fma_f32 v[124:125], v[156:157], v[140:141], v[122:123] op_sel_hi:[1,0,1]
	v_pk_mul_f32 v[126:127], v[190:191], v[126:127] op_sel_hi:[1,0]
	v_mov_b32_e32 v121, v131
	v_pk_add_f32 v[116:117], v[116:117], v[118:119]
	v_pk_fma_f32 v[122:123], v[156:157], v[140:141], v[122:123] neg_lo:[0,0,1] neg_hi:[0,0,1]
	s_wait_loadcnt 0x2
	v_pk_mul_f32 v[128:129], v[160:161], v[144:145] op_sel:[1,1] op_sel_hi:[0,1]
	v_dual_mov_b32 v118, v147 :: v_dual_mov_b32 v123, v125
	v_pk_fma_f32 v[124:125], v[158:159], v[142:143], v[126:127] op_sel_hi:[1,0,1]
	v_pk_add_f32 v[116:117], v[116:117], v[120:121]
	v_pk_fma_f32 v[126:127], v[158:159], v[142:143], v[126:127] neg_lo:[0,0,1] neg_hi:[0,0,1]
	v_pk_fma_f32 v[120:121], v[160:161], v[144:145], v[128:129] op_sel_hi:[1,0,1]
	v_pk_mul_f32 v[118:119], v[192:193], v[118:119] op_sel_hi:[1,0]
	v_mov_b32_e32 v127, v125
	v_pk_add_f32 v[116:117], v[116:117], v[122:123]
	v_pk_fma_f32 v[122:123], v[160:161], v[144:145], v[128:129] neg_lo:[0,0,1] neg_hi:[0,0,1]
	v_mov_b32_e32 v123, v121
	v_pk_fma_f32 v[120:121], v[162:163], v[146:147], v[118:119] op_sel_hi:[1,0,1]
	s_wait_loadcnt_dscnt 0x100
	v_pk_mul_f32 v[124:125], v[184:185], v[180:181] op_sel:[1,1] op_sel_hi:[0,1]
	v_pk_add_f32 v[116:117], v[116:117], v[126:127]
	v_pk_fma_f32 v[118:119], v[162:163], v[146:147], v[118:119] neg_lo:[0,0,1] neg_hi:[0,0,1]
	v_mov_b32_e32 v119, v121
	s_delay_alu instid0(VALU_DEP_4) | instskip(NEXT) | instid1(VALU_DEP_4)
	v_pk_fma_f32 v[120:121], v[184:185], v[180:181], v[124:125] op_sel_hi:[1,0,1]
	v_pk_add_f32 v[116:117], v[116:117], v[122:123]
	v_pk_fma_f32 v[122:123], v[184:185], v[180:181], v[124:125] neg_lo:[0,0,1] neg_hi:[0,0,1]
	s_delay_alu instid0(VALU_DEP_3) | instskip(NEXT) | instid1(VALU_DEP_3)
	v_mov_b32_e32 v123, v121
	v_pk_add_f32 v[116:117], v[116:117], v[118:119]
	s_delay_alu instid0(VALU_DEP_1) | instskip(SKIP_1) | instid1(VALU_DEP_1)
	v_pk_add_f32 v[116:117], v[116:117], v[122:123]
	s_wait_loadcnt 0x0
	v_pk_add_f32 v[116:117], v[182:183], v[116:117] neg_lo:[0,1] neg_hi:[0,1]
	scratch_store_b64 off, v[116:117], off offset:312
	s_wait_xcnt 0x0
	v_cmpx_lt_u32_e32 38, v0
	s_cbranch_execz .LBB120_279
; %bb.278:
	scratch_load_b64 v[116:117], off, off offset:304
	v_mov_b64_e32 v[118:119], 0
	scratch_store_b64 off, v[118:119], off offset:304
	s_wait_loadcnt 0x0
	ds_store_b64 v1, v[116:117]
.LBB120_279:
	s_wait_xcnt 0x0
	s_or_b32 exec_lo, exec_lo, s0
	s_wait_storecnt_dscnt 0x0
	s_barrier_signal -1
	s_barrier_wait -1
	s_clause 0x9
	scratch_load_b128 v[116:119], off, off offset:312
	scratch_load_b128 v[120:123], off, off offset:328
	;; [unrolled: 1-line block ×9, first 2 shown]
	scratch_load_b64 v[188:189], off, off offset:304
	ds_load_2addr_b64 v[152:155], v7 offset0:107 offset1:108
	ds_load_2addr_b64 v[156:159], v7 offset0:109 offset1:110
	;; [unrolled: 1-line block ×9, first 2 shown]
	s_mov_b32 s0, exec_lo
	s_wait_dscnt 0x8
	v_dual_mov_b32 v190, v155 :: v_dual_mov_b32 v191, v154
	s_wait_dscnt 0x7
	v_dual_mov_b32 v192, v159 :: v_dual_mov_b32 v193, v158
	;; [unrolled: 2-line block ×4, first 2 shown]
	s_wait_loadcnt_dscnt 0x904
	v_dual_mul_f32 v7, v168, v117 :: v_dual_mul_f32 v9, v170, v119
	v_dual_mul_f32 v23, v169, v117 :: v_dual_mul_f32 v25, v171, v119
	s_wait_loadcnt_dscnt 0x803
	v_dual_mul_f32 v11, v172, v121 :: v_dual_mul_f32 v13, v174, v123
	s_delay_alu instid0(VALU_DEP_3) | instskip(SKIP_3) | instid1(VALU_DEP_3)
	v_dual_fmac_f32 v7, v169, v116 :: v_dual_fmac_f32 v9, v171, v118
	s_wait_loadcnt_dscnt 0x601
	v_dual_fma_f32 v23, v168, v116, -v23 :: v_dual_mul_f32 v35, v181, v129
	v_dual_mul_f32 v27, v173, v121 :: v_dual_mul_f32 v29, v175, v123
	v_dual_fma_f32 v25, v170, v118, -v25 :: v_dual_add_f32 v7, 0, v7
	s_delay_alu instid0(VALU_DEP_3) | instskip(SKIP_1) | instid1(VALU_DEP_4)
	v_dual_add_f32 v23, 0, v23 :: v_dual_fmac_f32 v11, v173, v120
	v_dual_mul_f32 v15, v176, v125 :: v_dual_mul_f32 v17, v178, v127
	v_dual_mul_f32 v37, v183, v131 :: v_dual_fma_f32 v27, v172, v120, -v27
	s_delay_alu instid0(VALU_DEP_4) | instskip(NEXT) | instid1(VALU_DEP_3)
	v_add_f32_e32 v7, v7, v9
	v_dual_add_f32 v9, v23, v25 :: v_dual_fmac_f32 v15, v177, v124
	v_dual_mul_f32 v31, v177, v125 :: v_dual_mul_f32 v33, v179, v127
	s_wait_loadcnt_dscnt 0x500
	v_dual_mul_f32 v23, v185, v133 :: v_dual_fmac_f32 v13, v175, v122
	v_dual_fma_f32 v25, v174, v122, -v29 :: v_dual_add_f32 v7, v7, v11
	s_delay_alu instid0(VALU_DEP_3) | instskip(SKIP_1) | instid1(VALU_DEP_3)
	v_dual_add_f32 v9, v9, v27 :: v_dual_fma_f32 v27, v176, v124, -v31
	v_dual_mul_f32 v19, v180, v129 :: v_dual_mul_f32 v21, v182, v131
	v_add_f32_e32 v7, v7, v13
	s_delay_alu instid0(VALU_DEP_3) | instskip(SKIP_1) | instid1(VALU_DEP_3)
	v_dual_mul_f32 v11, v187, v135 :: v_dual_add_f32 v9, v9, v25
	v_fmac_f32_e32 v17, v179, v126
	v_dual_fma_f32 v13, v178, v126, -v33 :: v_dual_add_f32 v7, v7, v15
	s_wait_loadcnt 0x4
	v_dual_mov_b32 v118, v139 :: v_dual_fmac_f32 v19, v181, v128
	v_dual_add_f32 v9, v9, v27 :: v_dual_fma_f32 v15, v180, v128, -v35
	s_delay_alu instid0(VALU_DEP_3) | instskip(SKIP_1) | instid1(VALU_DEP_3)
	v_add_f32_e32 v7, v7, v17
	v_dual_mul_f32 v199, v184, v133 :: v_dual_mul_f32 v201, v186, v135
	v_dual_add_f32 v9, v9, v13 :: v_dual_fmac_f32 v21, v183, v130
	s_delay_alu instid0(VALU_DEP_3) | instskip(SKIP_2) | instid1(VALU_DEP_3)
	v_dual_fma_f32 v13, v182, v130, -v37 :: v_dual_add_f32 v7, v7, v19
	v_pk_mul_f32 v[116:117], v[152:153], v[136:137] op_sel:[1,1] op_sel_hi:[0,1]
	s_wait_loadcnt 0x3
	v_dual_add_f32 v9, v9, v15 :: v_dual_mov_b32 v122, v143
	s_delay_alu instid0(VALU_DEP_3) | instskip(NEXT) | instid1(VALU_DEP_2)
	v_dual_fmac_f32 v199, v185, v132 :: v_dual_add_f32 v125, v7, v21
	v_dual_fma_f32 v198, v184, v132, -v23 :: v_dual_add_f32 v124, v9, v13
	v_dual_fmac_f32 v201, v187, v134 :: v_dual_fma_f32 v200, v186, v134, -v11
	v_pk_fma_f32 v[126:127], v[152:153], v[136:137], v[116:117] op_sel_hi:[1,0,1]
	v_pk_mul_f32 v[118:119], v[190:191], v[118:119] op_sel_hi:[1,0]
	s_delay_alu instid0(VALU_DEP_4)
	v_pk_add_f32 v[124:125], v[124:125], v[198:199]
	v_pk_fma_f32 v[116:117], v[152:153], v[136:137], v[116:117] neg_lo:[0,0,1] neg_hi:[0,0,1]
	v_pk_mul_f32 v[120:121], v[156:157], v[140:141] op_sel:[1,1] op_sel_hi:[0,1]
	v_mov_b32_e32 v117, v127
	v_pk_fma_f32 v[126:127], v[154:155], v[138:139], v[118:119] op_sel_hi:[1,0,1]
	v_pk_add_f32 v[124:125], v[124:125], v[200:201]
	v_pk_fma_f32 v[118:119], v[154:155], v[138:139], v[118:119] neg_lo:[0,0,1] neg_hi:[0,0,1]
	v_pk_fma_f32 v[130:131], v[156:157], v[140:141], v[120:121] op_sel_hi:[1,0,1]
	v_pk_mul_f32 v[122:123], v[192:193], v[122:123] op_sel_hi:[1,0]
	v_mov_b32_e32 v119, v127
	v_pk_add_f32 v[116:117], v[124:125], v[116:117]
	s_wait_loadcnt 0x2
	v_pk_mul_f32 v[128:129], v[160:161], v[144:145] op_sel:[1,1] op_sel_hi:[0,1]
	v_mov_b32_e32 v124, v147
	v_pk_fma_f32 v[120:121], v[156:157], v[140:141], v[120:121] neg_lo:[0,0,1] neg_hi:[0,0,1]
	v_mov_b32_e32 v121, v131
	v_pk_fma_f32 v[126:127], v[158:159], v[142:143], v[122:123] op_sel_hi:[1,0,1]
	v_pk_add_f32 v[116:117], v[116:117], v[118:119]
	v_pk_fma_f32 v[118:119], v[160:161], v[144:145], v[128:129] op_sel_hi:[1,0,1]
	v_pk_mul_f32 v[124:125], v[194:195], v[124:125] op_sel_hi:[1,0]
	v_pk_fma_f32 v[122:123], v[158:159], v[142:143], v[122:123] neg_lo:[0,0,1] neg_hi:[0,0,1]
	v_mov_b32_e32 v123, v127
	v_pk_add_f32 v[116:117], v[116:117], v[120:121]
	v_pk_fma_f32 v[126:127], v[160:161], v[144:145], v[128:129] neg_lo:[0,0,1] neg_hi:[0,0,1]
	v_mov_b32_e32 v127, v119
	v_pk_fma_f32 v[118:119], v[162:163], v[146:147], v[124:125] op_sel_hi:[1,0,1]
	s_wait_loadcnt 0x1
	v_pk_mul_f32 v[120:121], v[164:165], v[148:149] op_sel:[1,1] op_sel_hi:[0,1]
	v_pk_add_f32 v[116:117], v[116:117], v[122:123]
	v_mov_b32_e32 v118, v151
	v_pk_fma_f32 v[124:125], v[162:163], v[146:147], v[124:125] neg_lo:[0,0,1] neg_hi:[0,0,1]
	v_mov_b32_e32 v125, v119
	v_pk_fma_f32 v[122:123], v[164:165], v[148:149], v[120:121] op_sel_hi:[1,0,1]
	v_pk_add_f32 v[116:117], v[116:117], v[126:127]
	v_pk_mul_f32 v[118:119], v[196:197], v[118:119] op_sel_hi:[1,0]
	v_pk_fma_f32 v[120:121], v[164:165], v[148:149], v[120:121] neg_lo:[0,0,1] neg_hi:[0,0,1]
	s_delay_alu instid0(VALU_DEP_4) | instskip(NEXT) | instid1(VALU_DEP_4)
	v_mov_b32_e32 v121, v123
	v_pk_add_f32 v[116:117], v[116:117], v[124:125]
	s_delay_alu instid0(VALU_DEP_4) | instskip(SKIP_1) | instid1(VALU_DEP_2)
	v_pk_fma_f32 v[122:123], v[166:167], v[150:151], v[118:119] op_sel_hi:[1,0,1]
	v_pk_fma_f32 v[118:119], v[166:167], v[150:151], v[118:119] neg_lo:[0,0,1] neg_hi:[0,0,1]
	v_mov_b32_e32 v119, v123
	s_delay_alu instid0(VALU_DEP_4) | instskip(NEXT) | instid1(VALU_DEP_1)
	v_pk_add_f32 v[116:117], v[116:117], v[120:121]
	v_pk_add_f32 v[116:117], v[116:117], v[118:119]
	s_wait_loadcnt 0x0
	s_delay_alu instid0(VALU_DEP_1)
	v_pk_add_f32 v[116:117], v[188:189], v[116:117] neg_lo:[0,1] neg_hi:[0,1]
	scratch_store_b64 off, v[116:117], off offset:304
	s_wait_xcnt 0x0
	v_cmpx_lt_u32_e32 37, v0
	s_cbranch_execz .LBB120_281
; %bb.280:
	scratch_load_b64 v[116:117], off, off offset:296
	v_mov_b64_e32 v[118:119], 0
	scratch_store_b64 off, v[118:119], off offset:296
	s_wait_loadcnt 0x0
	ds_store_b64 v1, v[116:117]
.LBB120_281:
	s_wait_xcnt 0x0
	s_or_b32 exec_lo, exec_lo, s0
	s_wait_storecnt_dscnt 0x0
	s_barrier_signal -1
	s_barrier_wait -1
	s_clause 0xa
	scratch_load_b128 v[116:119], off, off offset:304
	scratch_load_b128 v[120:123], off, off offset:320
	;; [unrolled: 1-line block ×9, first 2 shown]
	scratch_load_b64 v[188:189], off, off offset:448
	scratch_load_b64 v[190:191], off, off offset:296
	v_mov_b32_e32 v7, 0
	ds_load_b128 v[152:155], v7 offset:848
	ds_load_b128 v[156:159], v7 offset:864
	;; [unrolled: 1-line block ×9, first 2 shown]
	ds_load_b64 v[192:193], v7 offset:912
	s_mov_b32 s0, exec_lo
	s_wait_dscnt 0x9
	v_dual_mov_b32 v194, v155 :: v_dual_mov_b32 v195, v154
	s_wait_dscnt 0x6
	v_dual_mov_b32 v196, v159 :: v_dual_mov_b32 v201, v166
	v_dual_mov_b32 v197, v158 :: v_dual_mov_b32 v198, v163
	;; [unrolled: 1-line block ×3, first 2 shown]
	s_wait_loadcnt_dscnt 0xa05
	v_dual_mul_f32 v9, v168, v117 :: v_dual_mul_f32 v27, v169, v117
	v_dual_mul_f32 v29, v171, v119 :: v_dual_mul_f32 v11, v170, v119
	s_wait_loadcnt_dscnt 0x904
	v_mul_f32_e32 v13, v172, v121
	s_wait_loadcnt_dscnt 0x702
	v_dual_mul_f32 v39, v181, v129 :: v_dual_fma_f32 v27, v168, v116, -v27
	v_dual_fmac_f32 v9, v169, v116 :: v_dual_mul_f32 v41, v183, v131
	v_dual_mul_f32 v31, v173, v121 :: v_dual_mul_f32 v33, v175, v123
	v_dual_fmac_f32 v11, v171, v118 :: v_dual_fma_f32 v29, v170, v118, -v29
	s_delay_alu instid0(VALU_DEP_3) | instskip(SKIP_4) | instid1(VALU_DEP_3)
	v_dual_add_f32 v9, 0, v9 :: v_dual_add_f32 v27, 0, v27
	v_dual_mul_f32 v15, v174, v123 :: v_dual_mul_f32 v17, v176, v125
	s_wait_loadcnt_dscnt 0x601
	v_dual_mul_f32 v43, v185, v133 :: v_dual_fma_f32 v31, v172, v120, -v31
	v_fmac_f32_e32 v13, v173, v120
	v_dual_add_f32 v9, v9, v11 :: v_dual_fmac_f32 v15, v175, v122
	v_add_f32_e32 v11, v27, v29
	v_dual_mul_f32 v35, v177, v125 :: v_dual_mul_f32 v37, v179, v127
	v_dual_mul_f32 v27, v187, v135 :: v_dual_fma_f32 v29, v174, v122, -v33
	s_delay_alu instid0(VALU_DEP_3) | instskip(SKIP_3) | instid1(VALU_DEP_3)
	v_dual_add_f32 v9, v9, v13 :: v_dual_add_f32 v11, v11, v31
	v_dual_mul_f32 v19, v178, v127 :: v_dual_mul_f32 v21, v180, v129
	s_wait_loadcnt 0x5
	v_dual_mul_f32 v13, v153, v137 :: v_dual_fma_f32 v31, v176, v124, -v35
	v_dual_fmac_f32 v17, v177, v124 :: v_dual_add_f32 v11, v11, v29
	v_dual_add_f32 v9, v9, v15 :: v_dual_mov_b32 v116, v139
	v_dual_fmac_f32 v19, v179, v126 :: v_dual_fma_f32 v15, v178, v126, -v37
	s_delay_alu instid0(VALU_DEP_2) | instskip(SKIP_3) | instid1(VALU_DEP_3)
	v_dual_add_f32 v11, v11, v31 :: v_dual_add_f32 v9, v9, v17
	v_dual_mul_f32 v23, v182, v131 :: v_dual_mul_f32 v25, v184, v133
	v_dual_fmac_f32 v21, v181, v128 :: v_dual_fma_f32 v17, v180, v128, -v39
	s_wait_loadcnt 0x4
	v_dual_add_f32 v9, v9, v19 :: v_dual_mov_b32 v120, v143
	v_dual_add_f32 v11, v11, v15 :: v_dual_fma_f32 v15, v182, v130, -v41
	s_delay_alu instid0(VALU_DEP_2) | instskip(SKIP_1) | instid1(VALU_DEP_3)
	v_dual_fmac_f32 v23, v183, v130 :: v_dual_add_f32 v9, v9, v21
	v_dual_mul_f32 v203, v186, v135 :: v_dual_mul_f32 v205, v152, v137
	v_dual_add_f32 v11, v11, v17 :: v_dual_fmac_f32 v25, v185, v132
	s_delay_alu instid0(VALU_DEP_3) | instskip(NEXT) | instid1(VALU_DEP_3)
	v_dual_fma_f32 v17, v184, v132, -v43 :: v_dual_add_f32 v9, v9, v23
	v_fmac_f32_e32 v203, v187, v134
	s_delay_alu instid0(VALU_DEP_3) | instskip(SKIP_1) | instid1(VALU_DEP_4)
	v_dual_add_f32 v11, v11, v15 :: v_dual_fma_f32 v202, v186, v134, -v27
	v_pk_mul_f32 v[116:117], v[194:195], v[116:117] op_sel_hi:[1,0]
	v_add_f32_e32 v125, v9, v25
	v_pk_mul_f32 v[118:119], v[156:157], v[140:141] op_sel:[1,1] op_sel_hi:[0,1]
	s_delay_alu instid0(VALU_DEP_4) | instskip(SKIP_3) | instid1(VALU_DEP_3)
	v_dual_add_f32 v124, v11, v17 :: v_dual_fmac_f32 v205, v153, v136
	s_wait_loadcnt 0x3
	v_dual_mov_b32 v126, v147 :: v_dual_fma_f32 v204, v152, v136, -v13
	v_pk_fma_f32 v[128:129], v[154:155], v[138:139], v[116:117] op_sel_hi:[1,0,1]
	v_pk_add_f32 v[124:125], v[124:125], v[202:203]
	v_pk_fma_f32 v[116:117], v[154:155], v[138:139], v[116:117] neg_lo:[0,0,1] neg_hi:[0,0,1]
	v_pk_fma_f32 v[130:131], v[156:157], v[140:141], v[118:119] op_sel_hi:[1,0,1]
	v_pk_mul_f32 v[120:121], v[196:197], v[120:121] op_sel_hi:[1,0]
	v_mov_b32_e32 v117, v129
	v_pk_add_f32 v[124:125], v[124:125], v[204:205]
	v_pk_fma_f32 v[118:119], v[156:157], v[140:141], v[118:119] neg_lo:[0,0,1] neg_hi:[0,0,1]
	v_pk_mul_f32 v[122:123], v[160:161], v[144:145] op_sel:[1,1] op_sel_hi:[0,1]
	v_mov_b32_e32 v119, v131
	v_pk_fma_f32 v[130:131], v[158:159], v[142:143], v[120:121] op_sel_hi:[1,0,1]
	v_pk_add_f32 v[116:117], v[124:125], v[116:117]
	v_pk_fma_f32 v[120:121], v[158:159], v[142:143], v[120:121] neg_lo:[0,0,1] neg_hi:[0,0,1]
	v_pk_fma_f32 v[124:125], v[160:161], v[144:145], v[122:123] op_sel_hi:[1,0,1]
	v_pk_mul_f32 v[126:127], v[198:199], v[126:127] op_sel_hi:[1,0]
	v_mov_b32_e32 v121, v131
	v_pk_add_f32 v[116:117], v[116:117], v[118:119]
	v_pk_fma_f32 v[122:123], v[160:161], v[144:145], v[122:123] neg_lo:[0,0,1] neg_hi:[0,0,1]
	s_wait_loadcnt 0x2
	v_pk_mul_f32 v[128:129], v[164:165], v[148:149] op_sel:[1,1] op_sel_hi:[0,1]
	v_dual_mov_b32 v118, v151 :: v_dual_mov_b32 v123, v125
	v_pk_fma_f32 v[124:125], v[162:163], v[146:147], v[126:127] op_sel_hi:[1,0,1]
	v_pk_add_f32 v[116:117], v[116:117], v[120:121]
	v_pk_fma_f32 v[126:127], v[162:163], v[146:147], v[126:127] neg_lo:[0,0,1] neg_hi:[0,0,1]
	v_pk_fma_f32 v[120:121], v[164:165], v[148:149], v[128:129] op_sel_hi:[1,0,1]
	v_pk_mul_f32 v[118:119], v[200:201], v[118:119] op_sel_hi:[1,0]
	v_mov_b32_e32 v127, v125
	v_pk_add_f32 v[116:117], v[116:117], v[122:123]
	v_pk_fma_f32 v[122:123], v[164:165], v[148:149], v[128:129] neg_lo:[0,0,1] neg_hi:[0,0,1]
	v_mov_b32_e32 v123, v121
	v_pk_fma_f32 v[120:121], v[166:167], v[150:151], v[118:119] op_sel_hi:[1,0,1]
	s_wait_loadcnt_dscnt 0x100
	v_pk_mul_f32 v[124:125], v[192:193], v[188:189] op_sel:[1,1] op_sel_hi:[0,1]
	v_pk_add_f32 v[116:117], v[116:117], v[126:127]
	v_pk_fma_f32 v[118:119], v[166:167], v[150:151], v[118:119] neg_lo:[0,0,1] neg_hi:[0,0,1]
	v_mov_b32_e32 v119, v121
	s_delay_alu instid0(VALU_DEP_4) | instskip(NEXT) | instid1(VALU_DEP_4)
	v_pk_fma_f32 v[120:121], v[192:193], v[188:189], v[124:125] op_sel_hi:[1,0,1]
	v_pk_add_f32 v[116:117], v[116:117], v[122:123]
	v_pk_fma_f32 v[122:123], v[192:193], v[188:189], v[124:125] neg_lo:[0,0,1] neg_hi:[0,0,1]
	s_delay_alu instid0(VALU_DEP_3) | instskip(NEXT) | instid1(VALU_DEP_3)
	v_mov_b32_e32 v123, v121
	v_pk_add_f32 v[116:117], v[116:117], v[118:119]
	s_delay_alu instid0(VALU_DEP_1) | instskip(SKIP_1) | instid1(VALU_DEP_1)
	v_pk_add_f32 v[116:117], v[116:117], v[122:123]
	s_wait_loadcnt 0x0
	v_pk_add_f32 v[116:117], v[190:191], v[116:117] neg_lo:[0,1] neg_hi:[0,1]
	scratch_store_b64 off, v[116:117], off offset:296
	s_wait_xcnt 0x0
	v_cmpx_lt_u32_e32 36, v0
	s_cbranch_execz .LBB120_283
; %bb.282:
	scratch_load_b64 v[116:117], off, off offset:288
	v_mov_b64_e32 v[118:119], 0
	scratch_store_b64 off, v[118:119], off offset:288
	s_wait_loadcnt 0x0
	ds_store_b64 v1, v[116:117]
.LBB120_283:
	s_wait_xcnt 0x0
	s_or_b32 exec_lo, exec_lo, s0
	s_wait_storecnt_dscnt 0x0
	s_barrier_signal -1
	s_barrier_wait -1
	s_clause 0xa
	scratch_load_b128 v[116:119], off, off offset:296
	scratch_load_b128 v[120:123], off, off offset:312
	;; [unrolled: 1-line block ×10, first 2 shown]
	scratch_load_b64 v[196:197], off, off offset:288
	ds_load_2addr_b64 v[156:159], v7 offset0:107 offset1:108
	ds_load_2addr_b64 v[160:163], v7 offset0:109 offset1:110
	;; [unrolled: 1-line block ×10, first 2 shown]
	s_mov_b32 s0, exec_lo
	s_wait_dscnt 0x9
	v_dual_mov_b32 v198, v159 :: v_dual_mov_b32 v199, v158
	s_wait_dscnt 0x8
	v_dual_mov_b32 v200, v163 :: v_dual_mov_b32 v201, v162
	;; [unrolled: 2-line block ×4, first 2 shown]
	s_wait_loadcnt_dscnt 0xa05
	v_dual_mul_f32 v7, v172, v117 :: v_dual_mul_f32 v9, v174, v119
	v_dual_mul_f32 v27, v173, v117 :: v_dual_mul_f32 v29, v175, v119
	s_wait_loadcnt_dscnt 0x904
	v_dual_mul_f32 v11, v176, v121 :: v_dual_mul_f32 v13, v178, v123
	s_delay_alu instid0(VALU_DEP_3) | instskip(SKIP_3) | instid1(VALU_DEP_3)
	v_dual_fmac_f32 v7, v173, v116 :: v_dual_fmac_f32 v9, v175, v118
	s_wait_loadcnt_dscnt 0x702
	v_dual_fma_f32 v27, v172, v116, -v27 :: v_dual_mul_f32 v39, v185, v129
	v_dual_mul_f32 v31, v177, v121 :: v_dual_mul_f32 v33, v179, v123
	v_dual_fma_f32 v29, v174, v118, -v29 :: v_dual_add_f32 v7, 0, v7
	s_delay_alu instid0(VALU_DEP_3) | instskip(SKIP_1) | instid1(VALU_DEP_4)
	v_dual_add_f32 v27, 0, v27 :: v_dual_fmac_f32 v11, v177, v120
	v_dual_mul_f32 v15, v180, v125 :: v_dual_mul_f32 v17, v182, v127
	v_dual_mul_f32 v41, v187, v131 :: v_dual_fma_f32 v31, v176, v120, -v31
	s_delay_alu instid0(VALU_DEP_4) | instskip(NEXT) | instid1(VALU_DEP_3)
	v_add_f32_e32 v7, v7, v9
	v_dual_add_f32 v9, v27, v29 :: v_dual_fmac_f32 v15, v181, v124
	v_dual_mul_f32 v35, v181, v125 :: v_dual_mul_f32 v37, v183, v127
	s_wait_loadcnt_dscnt 0x601
	v_dual_mul_f32 v27, v189, v133 :: v_dual_fmac_f32 v13, v179, v122
	v_dual_fma_f32 v29, v178, v122, -v33 :: v_dual_add_f32 v7, v7, v11
	s_delay_alu instid0(VALU_DEP_3) | instskip(SKIP_1) | instid1(VALU_DEP_3)
	v_dual_add_f32 v9, v9, v31 :: v_dual_fma_f32 v31, v180, v124, -v35
	v_dual_mul_f32 v19, v184, v129 :: v_dual_mul_f32 v21, v186, v131
	v_add_f32_e32 v7, v7, v13
	s_delay_alu instid0(VALU_DEP_3) | instskip(SKIP_2) | instid1(VALU_DEP_3)
	v_dual_mul_f32 v11, v191, v135 :: v_dual_add_f32 v9, v9, v29
	s_wait_loadcnt_dscnt 0x500
	v_dual_mul_f32 v13, v193, v137 :: v_dual_fmac_f32 v17, v183, v126
	v_dual_fma_f32 v29, v182, v126, -v37 :: v_dual_add_f32 v7, v7, v15
	s_delay_alu instid0(VALU_DEP_3) | instskip(SKIP_1) | instid1(VALU_DEP_3)
	v_dual_add_f32 v9, v9, v31 :: v_dual_fma_f32 v31, v184, v128, -v39
	v_dual_mul_f32 v15, v195, v139 :: v_dual_fmac_f32 v19, v185, v128
	v_dual_add_f32 v7, v7, v17 :: v_dual_fma_f32 v17, v186, v130, -v41
	s_delay_alu instid0(VALU_DEP_3) | instskip(SKIP_1) | instid1(VALU_DEP_3)
	v_dual_add_f32 v9, v9, v29 :: v_dual_fmac_f32 v21, v187, v130
	v_dual_mul_f32 v23, v188, v133 :: v_dual_mul_f32 v25, v190, v135
	v_add_f32_e32 v7, v7, v19
	s_wait_loadcnt 0x4
	s_delay_alu instid0(VALU_DEP_3) | instskip(NEXT) | instid1(VALU_DEP_3)
	v_dual_add_f32 v9, v9, v31 :: v_dual_mov_b32 v118, v143
	v_fmac_f32_e32 v23, v189, v132
	s_delay_alu instid0(VALU_DEP_3) | instskip(NEXT) | instid1(VALU_DEP_3)
	v_dual_fma_f32 v19, v188, v132, -v27 :: v_dual_add_f32 v7, v7, v21
	v_dual_add_f32 v9, v9, v17 :: v_dual_fmac_f32 v25, v191, v134
	v_dual_mul_f32 v207, v192, v137 :: v_dual_mul_f32 v209, v194, v139
	s_delay_alu instid0(VALU_DEP_3) | instskip(SKIP_1) | instid1(VALU_DEP_3)
	v_dual_fma_f32 v11, v190, v134, -v11 :: v_dual_add_f32 v7, v7, v23
	s_wait_loadcnt 0x3
	v_dual_add_f32 v9, v9, v19 :: v_dual_mov_b32 v122, v147
	v_pk_mul_f32 v[116:117], v[156:157], v[140:141] op_sel:[1,1] op_sel_hi:[0,1]
	v_dual_fmac_f32 v207, v193, v136 :: v_dual_fma_f32 v206, v192, v136, -v13
	s_delay_alu instid0(VALU_DEP_3) | instskip(SKIP_1) | instid1(VALU_DEP_4)
	v_dual_add_f32 v125, v7, v25 :: v_dual_add_f32 v124, v9, v11
	v_dual_fmac_f32 v209, v195, v138 :: v_dual_fma_f32 v208, v194, v138, -v15
	v_pk_fma_f32 v[126:127], v[156:157], v[140:141], v[116:117] op_sel_hi:[1,0,1]
	v_pk_mul_f32 v[118:119], v[198:199], v[118:119] op_sel_hi:[1,0]
	s_delay_alu instid0(VALU_DEP_4)
	v_pk_add_f32 v[124:125], v[124:125], v[206:207]
	v_pk_fma_f32 v[116:117], v[156:157], v[140:141], v[116:117] neg_lo:[0,0,1] neg_hi:[0,0,1]
	v_pk_mul_f32 v[120:121], v[160:161], v[144:145] op_sel:[1,1] op_sel_hi:[0,1]
	v_mov_b32_e32 v117, v127
	v_pk_fma_f32 v[126:127], v[158:159], v[142:143], v[118:119] op_sel_hi:[1,0,1]
	v_pk_add_f32 v[124:125], v[124:125], v[208:209]
	v_pk_fma_f32 v[118:119], v[158:159], v[142:143], v[118:119] neg_lo:[0,0,1] neg_hi:[0,0,1]
	v_pk_fma_f32 v[130:131], v[160:161], v[144:145], v[120:121] op_sel_hi:[1,0,1]
	v_pk_mul_f32 v[122:123], v[200:201], v[122:123] op_sel_hi:[1,0]
	v_mov_b32_e32 v119, v127
	v_pk_add_f32 v[116:117], v[124:125], v[116:117]
	s_wait_loadcnt 0x2
	v_pk_mul_f32 v[128:129], v[164:165], v[148:149] op_sel:[1,1] op_sel_hi:[0,1]
	v_mov_b32_e32 v124, v151
	v_pk_fma_f32 v[120:121], v[160:161], v[144:145], v[120:121] neg_lo:[0,0,1] neg_hi:[0,0,1]
	v_mov_b32_e32 v121, v131
	v_pk_fma_f32 v[126:127], v[162:163], v[146:147], v[122:123] op_sel_hi:[1,0,1]
	v_pk_add_f32 v[116:117], v[116:117], v[118:119]
	v_pk_fma_f32 v[118:119], v[164:165], v[148:149], v[128:129] op_sel_hi:[1,0,1]
	v_pk_mul_f32 v[124:125], v[202:203], v[124:125] op_sel_hi:[1,0]
	v_pk_fma_f32 v[122:123], v[162:163], v[146:147], v[122:123] neg_lo:[0,0,1] neg_hi:[0,0,1]
	v_mov_b32_e32 v123, v127
	v_pk_add_f32 v[116:117], v[116:117], v[120:121]
	v_pk_fma_f32 v[126:127], v[164:165], v[148:149], v[128:129] neg_lo:[0,0,1] neg_hi:[0,0,1]
	v_mov_b32_e32 v127, v119
	v_pk_fma_f32 v[118:119], v[166:167], v[150:151], v[124:125] op_sel_hi:[1,0,1]
	s_wait_loadcnt 0x1
	v_pk_mul_f32 v[120:121], v[168:169], v[152:153] op_sel:[1,1] op_sel_hi:[0,1]
	v_pk_add_f32 v[116:117], v[116:117], v[122:123]
	v_mov_b32_e32 v118, v155
	v_pk_fma_f32 v[124:125], v[166:167], v[150:151], v[124:125] neg_lo:[0,0,1] neg_hi:[0,0,1]
	v_mov_b32_e32 v125, v119
	v_pk_fma_f32 v[122:123], v[168:169], v[152:153], v[120:121] op_sel_hi:[1,0,1]
	v_pk_add_f32 v[116:117], v[116:117], v[126:127]
	v_pk_mul_f32 v[118:119], v[204:205], v[118:119] op_sel_hi:[1,0]
	v_pk_fma_f32 v[120:121], v[168:169], v[152:153], v[120:121] neg_lo:[0,0,1] neg_hi:[0,0,1]
	s_delay_alu instid0(VALU_DEP_4) | instskip(NEXT) | instid1(VALU_DEP_4)
	v_mov_b32_e32 v121, v123
	v_pk_add_f32 v[116:117], v[116:117], v[124:125]
	s_delay_alu instid0(VALU_DEP_4) | instskip(SKIP_1) | instid1(VALU_DEP_2)
	v_pk_fma_f32 v[122:123], v[170:171], v[154:155], v[118:119] op_sel_hi:[1,0,1]
	v_pk_fma_f32 v[118:119], v[170:171], v[154:155], v[118:119] neg_lo:[0,0,1] neg_hi:[0,0,1]
	v_mov_b32_e32 v119, v123
	s_delay_alu instid0(VALU_DEP_4) | instskip(NEXT) | instid1(VALU_DEP_1)
	v_pk_add_f32 v[116:117], v[116:117], v[120:121]
	v_pk_add_f32 v[116:117], v[116:117], v[118:119]
	s_wait_loadcnt 0x0
	s_delay_alu instid0(VALU_DEP_1)
	v_pk_add_f32 v[116:117], v[196:197], v[116:117] neg_lo:[0,1] neg_hi:[0,1]
	scratch_store_b64 off, v[116:117], off offset:288
	s_wait_xcnt 0x0
	v_cmpx_lt_u32_e32 35, v0
	s_cbranch_execz .LBB120_285
; %bb.284:
	scratch_load_b64 v[116:117], off, off offset:280
	v_mov_b64_e32 v[118:119], 0
	scratch_store_b64 off, v[118:119], off offset:280
	s_wait_loadcnt 0x0
	ds_store_b64 v1, v[116:117]
.LBB120_285:
	s_wait_xcnt 0x0
	s_or_b32 exec_lo, exec_lo, s0
	s_wait_storecnt_dscnt 0x0
	s_barrier_signal -1
	s_barrier_wait -1
	s_clause 0xb
	scratch_load_b128 v[116:119], off, off offset:288
	scratch_load_b128 v[120:123], off, off offset:304
	;; [unrolled: 1-line block ×10, first 2 shown]
	scratch_load_b64 v[196:197], off, off offset:448
	scratch_load_b64 v[198:199], off, off offset:280
	v_mov_b32_e32 v7, 0
	ds_load_b128 v[156:159], v7 offset:848
	ds_load_b128 v[160:163], v7 offset:864
	;; [unrolled: 1-line block ×10, first 2 shown]
	ds_load_b64 v[200:201], v7 offset:912
	s_mov_b32 s0, exec_lo
	s_wait_dscnt 0xa
	v_dual_mov_b32 v202, v159 :: v_dual_mov_b32 v203, v158
	s_wait_dscnt 0x7
	v_dual_mov_b32 v204, v163 :: v_dual_mov_b32 v209, v170
	v_dual_mov_b32 v205, v162 :: v_dual_mov_b32 v206, v167
	;; [unrolled: 1-line block ×3, first 2 shown]
	s_wait_loadcnt_dscnt 0xb06
	v_dual_mul_f32 v9, v172, v117 :: v_dual_mul_f32 v31, v173, v117
	v_dual_mul_f32 v33, v175, v119 :: v_dual_mul_f32 v11, v174, v119
	s_wait_loadcnt_dscnt 0xa05
	v_mul_f32_e32 v13, v176, v121
	s_wait_loadcnt_dscnt 0x803
	v_dual_mul_f32 v43, v185, v129 :: v_dual_fma_f32 v31, v172, v116, -v31
	v_dual_fmac_f32 v9, v173, v116 :: v_dual_mul_f32 v45, v187, v131
	v_dual_mul_f32 v35, v177, v121 :: v_dual_mul_f32 v37, v179, v123
	v_dual_fmac_f32 v11, v175, v118 :: v_dual_fma_f32 v33, v174, v118, -v33
	s_delay_alu instid0(VALU_DEP_3) | instskip(SKIP_4) | instid1(VALU_DEP_3)
	v_dual_add_f32 v9, 0, v9 :: v_dual_add_f32 v31, 0, v31
	v_dual_mul_f32 v15, v178, v123 :: v_dual_mul_f32 v17, v180, v125
	s_wait_loadcnt_dscnt 0x702
	v_dual_mul_f32 v47, v189, v133 :: v_dual_fma_f32 v35, v176, v120, -v35
	v_fmac_f32_e32 v13, v177, v120
	v_dual_add_f32 v9, v9, v11 :: v_dual_fmac_f32 v15, v179, v122
	v_add_f32_e32 v11, v31, v33
	v_dual_mul_f32 v39, v181, v125 :: v_dual_mul_f32 v41, v183, v127
	v_dual_mul_f32 v31, v191, v135 :: v_dual_fma_f32 v33, v178, v122, -v37
	s_delay_alu instid0(VALU_DEP_3) | instskip(SKIP_3) | instid1(VALU_DEP_3)
	v_dual_add_f32 v9, v9, v13 :: v_dual_add_f32 v11, v11, v35
	v_dual_mul_f32 v19, v182, v127 :: v_dual_mul_f32 v21, v184, v129
	s_wait_loadcnt_dscnt 0x601
	v_dual_mul_f32 v13, v193, v137 :: v_dual_fma_f32 v35, v180, v124, -v39
	v_dual_fmac_f32 v17, v181, v124 :: v_dual_add_f32 v11, v11, v33
	s_delay_alu instid0(VALU_DEP_3) | instskip(SKIP_1) | instid1(VALU_DEP_2)
	v_dual_add_f32 v9, v9, v15 :: v_dual_fmac_f32 v19, v183, v126
	v_dual_mul_f32 v15, v195, v139 :: v_dual_fma_f32 v33, v182, v126, -v41
	v_dual_add_f32 v11, v11, v35 :: v_dual_add_f32 v9, v9, v17
	v_dual_mul_f32 v23, v186, v131 :: v_dual_mul_f32 v25, v188, v133
	s_wait_loadcnt 0x5
	v_dual_mul_f32 v17, v157, v141 :: v_dual_fma_f32 v35, v184, v128, -v43
	s_delay_alu instid0(VALU_DEP_3) | instskip(SKIP_2) | instid1(VALU_DEP_2)
	v_dual_fmac_f32 v21, v185, v128 :: v_dual_add_f32 v11, v11, v33
	v_dual_add_f32 v9, v9, v19 :: v_dual_mov_b32 v116, v143
	v_dual_fmac_f32 v23, v187, v130 :: v_dual_fma_f32 v19, v186, v130, -v45
	v_dual_add_f32 v11, v11, v35 :: v_dual_add_f32 v9, v9, v21
	v_dual_mul_f32 v27, v190, v135 :: v_dual_mul_f32 v29, v192, v137
	v_dual_fmac_f32 v25, v189, v132 :: v_dual_fma_f32 v21, v188, v132, -v47
	s_wait_loadcnt 0x4
	s_delay_alu instid0(VALU_DEP_3) | instskip(SKIP_1) | instid1(VALU_DEP_2)
	v_dual_add_f32 v9, v9, v23 :: v_dual_mov_b32 v120, v147
	v_dual_add_f32 v11, v11, v19 :: v_dual_fma_f32 v19, v190, v134, -v31
	v_dual_fmac_f32 v27, v191, v134 :: v_dual_add_f32 v9, v9, v25
	v_dual_mul_f32 v211, v194, v139 :: v_dual_mul_f32 v213, v156, v141
	s_delay_alu instid0(VALU_DEP_3) | instskip(NEXT) | instid1(VALU_DEP_3)
	v_dual_add_f32 v11, v11, v21 :: v_dual_fmac_f32 v29, v193, v136
	v_dual_fma_f32 v13, v192, v136, -v13 :: v_dual_add_f32 v9, v9, v27
	s_delay_alu instid0(VALU_DEP_3) | instskip(NEXT) | instid1(VALU_DEP_3)
	v_fmac_f32_e32 v211, v195, v138
	v_dual_add_f32 v11, v11, v19 :: v_dual_fma_f32 v210, v194, v138, -v15
	v_pk_mul_f32 v[116:117], v[202:203], v[116:117] op_sel_hi:[1,0]
	s_delay_alu instid0(VALU_DEP_4) | instskip(SKIP_1) | instid1(VALU_DEP_4)
	v_add_f32_e32 v125, v9, v29
	v_pk_mul_f32 v[118:119], v[160:161], v[144:145] op_sel:[1,1] op_sel_hi:[0,1]
	v_dual_add_f32 v124, v11, v13 :: v_dual_fmac_f32 v213, v157, v140
	s_wait_loadcnt 0x3
	v_dual_mov_b32 v126, v151 :: v_dual_fma_f32 v212, v156, v140, -v17
	v_pk_fma_f32 v[128:129], v[158:159], v[142:143], v[116:117] op_sel_hi:[1,0,1]
	s_delay_alu instid0(VALU_DEP_3)
	v_pk_add_f32 v[124:125], v[124:125], v[210:211]
	v_pk_fma_f32 v[116:117], v[158:159], v[142:143], v[116:117] neg_lo:[0,0,1] neg_hi:[0,0,1]
	v_pk_fma_f32 v[130:131], v[160:161], v[144:145], v[118:119] op_sel_hi:[1,0,1]
	v_pk_mul_f32 v[120:121], v[204:205], v[120:121] op_sel_hi:[1,0]
	v_mov_b32_e32 v117, v129
	v_pk_add_f32 v[124:125], v[124:125], v[212:213]
	v_pk_fma_f32 v[118:119], v[160:161], v[144:145], v[118:119] neg_lo:[0,0,1] neg_hi:[0,0,1]
	v_pk_mul_f32 v[122:123], v[164:165], v[148:149] op_sel:[1,1] op_sel_hi:[0,1]
	v_mov_b32_e32 v119, v131
	v_pk_fma_f32 v[130:131], v[162:163], v[146:147], v[120:121] op_sel_hi:[1,0,1]
	v_pk_add_f32 v[116:117], v[124:125], v[116:117]
	v_pk_fma_f32 v[120:121], v[162:163], v[146:147], v[120:121] neg_lo:[0,0,1] neg_hi:[0,0,1]
	v_pk_fma_f32 v[124:125], v[164:165], v[148:149], v[122:123] op_sel_hi:[1,0,1]
	v_pk_mul_f32 v[126:127], v[206:207], v[126:127] op_sel_hi:[1,0]
	v_mov_b32_e32 v121, v131
	v_pk_add_f32 v[116:117], v[116:117], v[118:119]
	v_pk_fma_f32 v[122:123], v[164:165], v[148:149], v[122:123] neg_lo:[0,0,1] neg_hi:[0,0,1]
	s_wait_loadcnt 0x2
	v_pk_mul_f32 v[128:129], v[168:169], v[152:153] op_sel:[1,1] op_sel_hi:[0,1]
	v_dual_mov_b32 v118, v155 :: v_dual_mov_b32 v123, v125
	v_pk_fma_f32 v[124:125], v[166:167], v[150:151], v[126:127] op_sel_hi:[1,0,1]
	v_pk_add_f32 v[116:117], v[116:117], v[120:121]
	v_pk_fma_f32 v[126:127], v[166:167], v[150:151], v[126:127] neg_lo:[0,0,1] neg_hi:[0,0,1]
	v_pk_fma_f32 v[120:121], v[168:169], v[152:153], v[128:129] op_sel_hi:[1,0,1]
	v_pk_mul_f32 v[118:119], v[208:209], v[118:119] op_sel_hi:[1,0]
	v_mov_b32_e32 v127, v125
	v_pk_add_f32 v[116:117], v[116:117], v[122:123]
	v_pk_fma_f32 v[122:123], v[168:169], v[152:153], v[128:129] neg_lo:[0,0,1] neg_hi:[0,0,1]
	v_mov_b32_e32 v123, v121
	v_pk_fma_f32 v[120:121], v[170:171], v[154:155], v[118:119] op_sel_hi:[1,0,1]
	s_wait_loadcnt_dscnt 0x100
	v_pk_mul_f32 v[124:125], v[200:201], v[196:197] op_sel:[1,1] op_sel_hi:[0,1]
	v_pk_add_f32 v[116:117], v[116:117], v[126:127]
	v_pk_fma_f32 v[118:119], v[170:171], v[154:155], v[118:119] neg_lo:[0,0,1] neg_hi:[0,0,1]
	v_mov_b32_e32 v119, v121
	s_delay_alu instid0(VALU_DEP_4) | instskip(NEXT) | instid1(VALU_DEP_4)
	v_pk_fma_f32 v[120:121], v[200:201], v[196:197], v[124:125] op_sel_hi:[1,0,1]
	v_pk_add_f32 v[116:117], v[116:117], v[122:123]
	v_pk_fma_f32 v[122:123], v[200:201], v[196:197], v[124:125] neg_lo:[0,0,1] neg_hi:[0,0,1]
	s_delay_alu instid0(VALU_DEP_3) | instskip(NEXT) | instid1(VALU_DEP_3)
	v_mov_b32_e32 v123, v121
	v_pk_add_f32 v[116:117], v[116:117], v[118:119]
	s_delay_alu instid0(VALU_DEP_1) | instskip(SKIP_1) | instid1(VALU_DEP_1)
	v_pk_add_f32 v[116:117], v[116:117], v[122:123]
	s_wait_loadcnt 0x0
	v_pk_add_f32 v[116:117], v[198:199], v[116:117] neg_lo:[0,1] neg_hi:[0,1]
	scratch_store_b64 off, v[116:117], off offset:280
	s_wait_xcnt 0x0
	v_cmpx_lt_u32_e32 34, v0
	s_cbranch_execz .LBB120_287
; %bb.286:
	scratch_load_b64 v[116:117], off, off offset:272
	v_mov_b64_e32 v[118:119], 0
	scratch_store_b64 off, v[118:119], off offset:272
	s_wait_loadcnt 0x0
	ds_store_b64 v1, v[116:117]
.LBB120_287:
	s_wait_xcnt 0x0
	s_or_b32 exec_lo, exec_lo, s0
	s_wait_storecnt_dscnt 0x0
	s_barrier_signal -1
	s_barrier_wait -1
	s_clause 0xb
	scratch_load_b128 v[116:119], off, off offset:280
	scratch_load_b128 v[120:123], off, off offset:296
	;; [unrolled: 1-line block ×11, first 2 shown]
	scratch_load_b64 v[204:205], off, off offset:272
	ds_load_2addr_b64 v[160:163], v7 offset0:107 offset1:108
	ds_load_2addr_b64 v[164:167], v7 offset0:109 offset1:110
	;; [unrolled: 1-line block ×11, first 2 shown]
	s_mov_b32 s0, exec_lo
	s_wait_dscnt 0xa
	v_dual_mov_b32 v206, v163 :: v_dual_mov_b32 v207, v162
	s_wait_dscnt 0x9
	v_dual_mov_b32 v208, v167 :: v_dual_mov_b32 v209, v166
	;; [unrolled: 2-line block ×4, first 2 shown]
	s_wait_loadcnt_dscnt 0xb06
	v_dual_mul_f32 v7, v176, v117 :: v_dual_mul_f32 v9, v178, v119
	v_dual_mul_f32 v31, v177, v117 :: v_dual_mul_f32 v33, v179, v119
	s_wait_loadcnt_dscnt 0xa05
	v_dual_mul_f32 v11, v180, v121 :: v_dual_mul_f32 v13, v182, v123
	s_delay_alu instid0(VALU_DEP_3) | instskip(SKIP_3) | instid1(VALU_DEP_3)
	v_dual_fmac_f32 v7, v177, v116 :: v_dual_fmac_f32 v9, v179, v118
	s_wait_loadcnt_dscnt 0x803
	v_dual_fma_f32 v31, v176, v116, -v31 :: v_dual_mul_f32 v43, v189, v129
	v_dual_mul_f32 v35, v181, v121 :: v_dual_mul_f32 v37, v183, v123
	v_dual_fma_f32 v33, v178, v118, -v33 :: v_dual_add_f32 v7, 0, v7
	s_delay_alu instid0(VALU_DEP_3) | instskip(SKIP_1) | instid1(VALU_DEP_4)
	v_dual_add_f32 v31, 0, v31 :: v_dual_fmac_f32 v11, v181, v120
	v_dual_mul_f32 v15, v184, v125 :: v_dual_mul_f32 v17, v186, v127
	v_dual_mul_f32 v45, v191, v131 :: v_dual_fma_f32 v35, v180, v120, -v35
	s_delay_alu instid0(VALU_DEP_4) | instskip(NEXT) | instid1(VALU_DEP_3)
	v_add_f32_e32 v7, v7, v9
	v_dual_add_f32 v9, v31, v33 :: v_dual_fmac_f32 v15, v185, v124
	v_dual_mul_f32 v39, v185, v125 :: v_dual_mul_f32 v41, v187, v127
	s_wait_loadcnt_dscnt 0x702
	v_dual_mul_f32 v31, v193, v133 :: v_dual_fmac_f32 v13, v183, v122
	v_dual_fma_f32 v33, v182, v122, -v37 :: v_dual_add_f32 v7, v7, v11
	s_delay_alu instid0(VALU_DEP_3) | instskip(SKIP_1) | instid1(VALU_DEP_3)
	v_dual_add_f32 v9, v9, v35 :: v_dual_fma_f32 v35, v184, v124, -v39
	v_dual_mul_f32 v19, v188, v129 :: v_dual_mul_f32 v21, v190, v131
	v_add_f32_e32 v7, v7, v13
	s_delay_alu instid0(VALU_DEP_3) | instskip(SKIP_2) | instid1(VALU_DEP_3)
	v_dual_mul_f32 v11, v195, v135 :: v_dual_add_f32 v9, v9, v33
	s_wait_loadcnt_dscnt 0x601
	v_dual_mul_f32 v13, v197, v137 :: v_dual_fmac_f32 v17, v187, v126
	v_dual_fma_f32 v33, v186, v126, -v41 :: v_dual_add_f32 v7, v7, v15
	s_delay_alu instid0(VALU_DEP_3) | instskip(SKIP_1) | instid1(VALU_DEP_3)
	v_dual_add_f32 v9, v9, v35 :: v_dual_fma_f32 v35, v188, v128, -v43
	v_dual_mul_f32 v15, v199, v139 :: v_dual_fmac_f32 v19, v189, v128
	v_add_f32_e32 v7, v7, v17
	s_delay_alu instid0(VALU_DEP_3)
	v_dual_add_f32 v9, v9, v33 :: v_dual_fmac_f32 v21, v191, v130
	v_dual_mul_f32 v23, v192, v133 :: v_dual_mul_f32 v25, v194, v135
	s_wait_loadcnt_dscnt 0x500
	v_dual_fma_f32 v33, v190, v130, -v45 :: v_dual_mul_f32 v17, v201, v141
	v_add_f32_e32 v7, v7, v19
	v_dual_add_f32 v9, v9, v35 :: v_dual_fma_f32 v31, v192, v132, -v31
	v_dual_mul_f32 v19, v203, v143 :: v_dual_fmac_f32 v23, v193, v132
	s_delay_alu instid0(VALU_DEP_3) | instskip(NEXT) | instid1(VALU_DEP_3)
	v_dual_add_f32 v7, v7, v21 :: v_dual_fma_f32 v11, v194, v134, -v11
	v_dual_add_f32 v9, v9, v33 :: v_dual_fmac_f32 v25, v195, v134
	v_dual_mul_f32 v27, v196, v137 :: v_dual_mul_f32 v29, v198, v139
	s_delay_alu instid0(VALU_DEP_3) | instskip(SKIP_1) | instid1(VALU_DEP_3)
	v_add_f32_e32 v7, v7, v23
	s_wait_loadcnt 0x4
	v_dual_add_f32 v9, v9, v31 :: v_dual_mov_b32 v118, v147
	s_delay_alu instid0(VALU_DEP_3) | instskip(NEXT) | instid1(VALU_DEP_2)
	v_dual_fmac_f32 v27, v197, v136 :: v_dual_fma_f32 v13, v196, v136, -v13
	v_dual_add_f32 v7, v7, v25 :: v_dual_add_f32 v9, v9, v11
	v_dual_fmac_f32 v29, v199, v138 :: v_dual_mul_f32 v215, v200, v141
	v_mul_f32_e32 v217, v202, v143
	s_delay_alu instid0(VALU_DEP_3) | instskip(SKIP_4) | instid1(VALU_DEP_3)
	v_dual_fma_f32 v11, v198, v138, -v15 :: v_dual_add_f32 v7, v7, v27
	s_wait_loadcnt 0x3
	v_dual_add_f32 v9, v9, v13 :: v_dual_mov_b32 v122, v151
	v_pk_mul_f32 v[116:117], v[160:161], v[144:145] op_sel:[1,1] op_sel_hi:[0,1]
	v_dual_fmac_f32 v215, v201, v140 :: v_dual_fma_f32 v214, v200, v140, -v17
	v_dual_add_f32 v125, v7, v29 :: v_dual_add_f32 v124, v9, v11
	v_dual_fmac_f32 v217, v203, v142 :: v_dual_fma_f32 v216, v202, v142, -v19
	s_delay_alu instid0(VALU_DEP_4) | instskip(SKIP_1) | instid1(VALU_DEP_4)
	v_pk_fma_f32 v[126:127], v[160:161], v[144:145], v[116:117] op_sel_hi:[1,0,1]
	v_pk_mul_f32 v[118:119], v[206:207], v[118:119] op_sel_hi:[1,0]
	v_pk_add_f32 v[124:125], v[124:125], v[214:215]
	v_pk_fma_f32 v[116:117], v[160:161], v[144:145], v[116:117] neg_lo:[0,0,1] neg_hi:[0,0,1]
	v_pk_mul_f32 v[120:121], v[164:165], v[148:149] op_sel:[1,1] op_sel_hi:[0,1]
	v_mov_b32_e32 v117, v127
	v_pk_fma_f32 v[126:127], v[162:163], v[146:147], v[118:119] op_sel_hi:[1,0,1]
	v_pk_add_f32 v[124:125], v[124:125], v[216:217]
	v_pk_fma_f32 v[118:119], v[162:163], v[146:147], v[118:119] neg_lo:[0,0,1] neg_hi:[0,0,1]
	v_pk_fma_f32 v[130:131], v[164:165], v[148:149], v[120:121] op_sel_hi:[1,0,1]
	v_pk_mul_f32 v[122:123], v[208:209], v[122:123] op_sel_hi:[1,0]
	v_mov_b32_e32 v119, v127
	v_pk_add_f32 v[116:117], v[124:125], v[116:117]
	s_wait_loadcnt 0x2
	v_pk_mul_f32 v[128:129], v[168:169], v[152:153] op_sel:[1,1] op_sel_hi:[0,1]
	v_mov_b32_e32 v124, v155
	v_pk_fma_f32 v[120:121], v[164:165], v[148:149], v[120:121] neg_lo:[0,0,1] neg_hi:[0,0,1]
	v_mov_b32_e32 v121, v131
	v_pk_fma_f32 v[126:127], v[166:167], v[150:151], v[122:123] op_sel_hi:[1,0,1]
	v_pk_add_f32 v[116:117], v[116:117], v[118:119]
	v_pk_fma_f32 v[118:119], v[168:169], v[152:153], v[128:129] op_sel_hi:[1,0,1]
	v_pk_mul_f32 v[124:125], v[210:211], v[124:125] op_sel_hi:[1,0]
	v_pk_fma_f32 v[122:123], v[166:167], v[150:151], v[122:123] neg_lo:[0,0,1] neg_hi:[0,0,1]
	v_mov_b32_e32 v123, v127
	v_pk_add_f32 v[116:117], v[116:117], v[120:121]
	v_pk_fma_f32 v[126:127], v[168:169], v[152:153], v[128:129] neg_lo:[0,0,1] neg_hi:[0,0,1]
	v_mov_b32_e32 v127, v119
	v_pk_fma_f32 v[118:119], v[170:171], v[154:155], v[124:125] op_sel_hi:[1,0,1]
	s_wait_loadcnt 0x1
	v_pk_mul_f32 v[120:121], v[172:173], v[156:157] op_sel:[1,1] op_sel_hi:[0,1]
	v_pk_add_f32 v[116:117], v[116:117], v[122:123]
	v_mov_b32_e32 v118, v159
	v_pk_fma_f32 v[124:125], v[170:171], v[154:155], v[124:125] neg_lo:[0,0,1] neg_hi:[0,0,1]
	v_mov_b32_e32 v125, v119
	v_pk_fma_f32 v[122:123], v[172:173], v[156:157], v[120:121] op_sel_hi:[1,0,1]
	v_pk_add_f32 v[116:117], v[116:117], v[126:127]
	v_pk_mul_f32 v[118:119], v[212:213], v[118:119] op_sel_hi:[1,0]
	v_pk_fma_f32 v[120:121], v[172:173], v[156:157], v[120:121] neg_lo:[0,0,1] neg_hi:[0,0,1]
	s_delay_alu instid0(VALU_DEP_4) | instskip(NEXT) | instid1(VALU_DEP_4)
	v_mov_b32_e32 v121, v123
	v_pk_add_f32 v[116:117], v[116:117], v[124:125]
	s_delay_alu instid0(VALU_DEP_4) | instskip(SKIP_1) | instid1(VALU_DEP_2)
	v_pk_fma_f32 v[122:123], v[174:175], v[158:159], v[118:119] op_sel_hi:[1,0,1]
	v_pk_fma_f32 v[118:119], v[174:175], v[158:159], v[118:119] neg_lo:[0,0,1] neg_hi:[0,0,1]
	v_mov_b32_e32 v119, v123
	s_delay_alu instid0(VALU_DEP_4) | instskip(NEXT) | instid1(VALU_DEP_1)
	v_pk_add_f32 v[116:117], v[116:117], v[120:121]
	v_pk_add_f32 v[116:117], v[116:117], v[118:119]
	s_wait_loadcnt 0x0
	s_delay_alu instid0(VALU_DEP_1)
	v_pk_add_f32 v[116:117], v[204:205], v[116:117] neg_lo:[0,1] neg_hi:[0,1]
	scratch_store_b64 off, v[116:117], off offset:272
	s_wait_xcnt 0x0
	v_cmpx_lt_u32_e32 33, v0
	s_cbranch_execz .LBB120_289
; %bb.288:
	scratch_load_b64 v[116:117], off, off offset:264
	v_mov_b64_e32 v[118:119], 0
	scratch_store_b64 off, v[118:119], off offset:264
	s_wait_loadcnt 0x0
	ds_store_b64 v1, v[116:117]
.LBB120_289:
	s_wait_xcnt 0x0
	s_or_b32 exec_lo, exec_lo, s0
	s_wait_storecnt_dscnt 0x0
	s_barrier_signal -1
	s_barrier_wait -1
	s_clause 0xc
	scratch_load_b128 v[116:119], off, off offset:272
	scratch_load_b128 v[120:123], off, off offset:288
	;; [unrolled: 1-line block ×11, first 2 shown]
	scratch_load_b64 v[204:205], off, off offset:448
	scratch_load_b64 v[206:207], off, off offset:264
	v_mov_b32_e32 v7, 0
	ds_load_b128 v[160:163], v7 offset:848
	ds_load_b128 v[164:167], v7 offset:864
	;; [unrolled: 1-line block ×11, first 2 shown]
	ds_load_b64 v[208:209], v7 offset:912
	s_mov_b32 s0, exec_lo
	s_wait_dscnt 0xb
	v_dual_mov_b32 v210, v163 :: v_dual_mov_b32 v211, v162
	s_wait_dscnt 0x8
	v_dual_mov_b32 v212, v167 :: v_dual_mov_b32 v217, v174
	v_dual_mov_b32 v213, v166 :: v_dual_mov_b32 v214, v171
	;; [unrolled: 1-line block ×3, first 2 shown]
	s_wait_loadcnt_dscnt 0xc07
	v_dual_mul_f32 v9, v176, v117 :: v_dual_mul_f32 v35, v177, v117
	v_dual_mul_f32 v37, v179, v119 :: v_dual_mul_f32 v11, v178, v119
	s_wait_loadcnt_dscnt 0xb06
	v_mul_f32_e32 v13, v180, v121
	s_wait_loadcnt_dscnt 0x904
	v_dual_mul_f32 v47, v189, v129 :: v_dual_fma_f32 v35, v176, v116, -v35
	v_dual_fmac_f32 v9, v177, v116 :: v_dual_mul_f32 v49, v191, v131
	v_dual_mul_f32 v39, v181, v121 :: v_dual_mul_f32 v41, v183, v123
	v_dual_fmac_f32 v11, v179, v118 :: v_dual_fma_f32 v37, v178, v118, -v37
	s_delay_alu instid0(VALU_DEP_3) | instskip(SKIP_4) | instid1(VALU_DEP_3)
	v_dual_add_f32 v9, 0, v9 :: v_dual_add_f32 v35, 0, v35
	v_dual_mul_f32 v15, v182, v123 :: v_dual_mul_f32 v17, v184, v125
	s_wait_loadcnt_dscnt 0x803
	v_dual_mul_f32 v51, v193, v133 :: v_dual_fma_f32 v39, v180, v120, -v39
	v_fmac_f32_e32 v13, v181, v120
	v_dual_add_f32 v9, v9, v11 :: v_dual_fmac_f32 v15, v183, v122
	v_add_f32_e32 v11, v35, v37
	v_dual_mul_f32 v43, v185, v125 :: v_dual_mul_f32 v45, v187, v127
	v_dual_mul_f32 v35, v195, v135 :: v_dual_fma_f32 v37, v182, v122, -v41
	s_delay_alu instid0(VALU_DEP_3) | instskip(SKIP_3) | instid1(VALU_DEP_3)
	v_dual_add_f32 v9, v9, v13 :: v_dual_add_f32 v11, v11, v39
	v_dual_mul_f32 v19, v186, v127 :: v_dual_mul_f32 v21, v188, v129
	s_wait_loadcnt_dscnt 0x701
	v_dual_mul_f32 v13, v201, v137 :: v_dual_fma_f32 v39, v184, v124, -v43
	v_dual_fmac_f32 v17, v185, v124 :: v_dual_add_f32 v11, v11, v37
	s_delay_alu instid0(VALU_DEP_3) | instskip(SKIP_1) | instid1(VALU_DEP_2)
	v_dual_add_f32 v9, v9, v15 :: v_dual_fmac_f32 v19, v187, v126
	v_dual_mul_f32 v15, v203, v139 :: v_dual_fma_f32 v37, v186, v126, -v45
	v_dual_add_f32 v11, v11, v39 :: v_dual_add_f32 v9, v9, v17
	v_dual_mul_f32 v23, v190, v131 :: v_dual_mul_f32 v25, v192, v133
	s_wait_loadcnt 0x6
	v_dual_mul_f32 v17, v197, v141 :: v_dual_fma_f32 v39, v188, v128, -v47
	s_delay_alu instid0(VALU_DEP_3) | instskip(NEXT) | instid1(VALU_DEP_3)
	v_dual_fmac_f32 v21, v189, v128 :: v_dual_add_f32 v11, v11, v37
	v_dual_add_f32 v9, v9, v19 :: v_dual_fmac_f32 v23, v191, v130
	v_dual_mul_f32 v19, v199, v143 :: v_dual_fma_f32 v37, v190, v130, -v49
	s_delay_alu instid0(VALU_DEP_2) | instskip(SKIP_3) | instid1(VALU_DEP_3)
	v_dual_add_f32 v11, v11, v39 :: v_dual_add_f32 v9, v9, v21
	v_dual_mul_f32 v27, v194, v135 :: v_dual_mul_f32 v29, v200, v137
	s_wait_loadcnt 0x5
	v_dual_mul_f32 v21, v161, v145 :: v_dual_fma_f32 v39, v192, v132, -v51
	v_dual_fmac_f32 v25, v193, v132 :: v_dual_add_f32 v11, v11, v37
	v_dual_add_f32 v9, v9, v23 :: v_dual_mov_b32 v116, v147
	v_fmac_f32_e32 v27, v195, v134
	s_delay_alu instid0(VALU_DEP_3) | instskip(NEXT) | instid1(VALU_DEP_3)
	v_dual_fma_f32 v23, v194, v134, -v35 :: v_dual_add_f32 v11, v11, v39
	v_dual_add_f32 v9, v9, v25 :: v_dual_mul_f32 v31, v202, v139
	v_dual_mul_f32 v33, v196, v141 :: v_dual_fmac_f32 v29, v201, v136
	s_delay_alu instid0(VALU_DEP_3) | instskip(SKIP_1) | instid1(VALU_DEP_3)
	v_dual_add_f32 v11, v11, v23 :: v_dual_fma_f32 v13, v200, v136, -v13
	s_wait_loadcnt 0x4
	v_dual_add_f32 v9, v9, v27 :: v_dual_mov_b32 v120, v151
	v_fma_f32 v15, v202, v138, -v15
	v_fmac_f32_e32 v31, v203, v138
	v_dual_add_f32 v11, v11, v13 :: v_dual_fmac_f32 v33, v197, v140
	s_delay_alu instid0(VALU_DEP_4) | instskip(SKIP_1) | instid1(VALU_DEP_3)
	v_dual_add_f32 v9, v9, v29 :: v_dual_mul_f32 v219, v198, v143
	v_mul_f32_e32 v221, v160, v145
	v_dual_fma_f32 v13, v196, v140, -v17 :: v_dual_add_f32 v11, v11, v15
	s_delay_alu instid0(VALU_DEP_3) | instskip(NEXT) | instid1(VALU_DEP_4)
	v_dual_fma_f32 v218, v198, v142, -v19 :: v_dual_add_f32 v9, v9, v31
	v_fmac_f32_e32 v219, v199, v142
	v_pk_mul_f32 v[116:117], v[210:211], v[116:117] op_sel_hi:[1,0]
	s_delay_alu instid0(VALU_DEP_4) | instskip(NEXT) | instid1(VALU_DEP_4)
	v_dual_add_f32 v124, v11, v13 :: v_dual_fmac_f32 v221, v161, v144
	v_add_f32_e32 v125, v9, v33
	v_pk_mul_f32 v[118:119], v[164:165], v[148:149] op_sel:[1,1] op_sel_hi:[0,1]
	s_wait_loadcnt 0x3
	v_dual_mov_b32 v126, v155 :: v_dual_fma_f32 v220, v160, v144, -v21
	v_pk_fma_f32 v[128:129], v[162:163], v[146:147], v[116:117] op_sel_hi:[1,0,1]
	v_pk_add_f32 v[124:125], v[124:125], v[218:219]
	v_pk_fma_f32 v[116:117], v[162:163], v[146:147], v[116:117] neg_lo:[0,0,1] neg_hi:[0,0,1]
	v_pk_fma_f32 v[130:131], v[164:165], v[148:149], v[118:119] op_sel_hi:[1,0,1]
	v_pk_mul_f32 v[120:121], v[212:213], v[120:121] op_sel_hi:[1,0]
	v_mov_b32_e32 v117, v129
	v_pk_add_f32 v[124:125], v[124:125], v[220:221]
	v_pk_fma_f32 v[118:119], v[164:165], v[148:149], v[118:119] neg_lo:[0,0,1] neg_hi:[0,0,1]
	v_pk_mul_f32 v[122:123], v[168:169], v[152:153] op_sel:[1,1] op_sel_hi:[0,1]
	v_mov_b32_e32 v119, v131
	v_pk_fma_f32 v[130:131], v[166:167], v[150:151], v[120:121] op_sel_hi:[1,0,1]
	v_pk_add_f32 v[116:117], v[124:125], v[116:117]
	v_pk_fma_f32 v[120:121], v[166:167], v[150:151], v[120:121] neg_lo:[0,0,1] neg_hi:[0,0,1]
	v_pk_fma_f32 v[124:125], v[168:169], v[152:153], v[122:123] op_sel_hi:[1,0,1]
	v_pk_mul_f32 v[126:127], v[214:215], v[126:127] op_sel_hi:[1,0]
	v_mov_b32_e32 v121, v131
	v_pk_add_f32 v[116:117], v[116:117], v[118:119]
	v_pk_fma_f32 v[122:123], v[168:169], v[152:153], v[122:123] neg_lo:[0,0,1] neg_hi:[0,0,1]
	s_wait_loadcnt 0x2
	v_pk_mul_f32 v[128:129], v[172:173], v[156:157] op_sel:[1,1] op_sel_hi:[0,1]
	v_dual_mov_b32 v118, v159 :: v_dual_mov_b32 v123, v125
	v_pk_fma_f32 v[124:125], v[170:171], v[154:155], v[126:127] op_sel_hi:[1,0,1]
	v_pk_add_f32 v[116:117], v[116:117], v[120:121]
	v_pk_fma_f32 v[126:127], v[170:171], v[154:155], v[126:127] neg_lo:[0,0,1] neg_hi:[0,0,1]
	v_pk_fma_f32 v[120:121], v[172:173], v[156:157], v[128:129] op_sel_hi:[1,0,1]
	v_pk_mul_f32 v[118:119], v[216:217], v[118:119] op_sel_hi:[1,0]
	v_mov_b32_e32 v127, v125
	v_pk_add_f32 v[116:117], v[116:117], v[122:123]
	v_pk_fma_f32 v[122:123], v[172:173], v[156:157], v[128:129] neg_lo:[0,0,1] neg_hi:[0,0,1]
	v_mov_b32_e32 v123, v121
	v_pk_fma_f32 v[120:121], v[174:175], v[158:159], v[118:119] op_sel_hi:[1,0,1]
	s_wait_loadcnt_dscnt 0x100
	v_pk_mul_f32 v[124:125], v[208:209], v[204:205] op_sel:[1,1] op_sel_hi:[0,1]
	v_pk_add_f32 v[116:117], v[116:117], v[126:127]
	v_pk_fma_f32 v[118:119], v[174:175], v[158:159], v[118:119] neg_lo:[0,0,1] neg_hi:[0,0,1]
	v_mov_b32_e32 v119, v121
	s_delay_alu instid0(VALU_DEP_4) | instskip(NEXT) | instid1(VALU_DEP_4)
	v_pk_fma_f32 v[120:121], v[208:209], v[204:205], v[124:125] op_sel_hi:[1,0,1]
	v_pk_add_f32 v[116:117], v[116:117], v[122:123]
	v_pk_fma_f32 v[122:123], v[208:209], v[204:205], v[124:125] neg_lo:[0,0,1] neg_hi:[0,0,1]
	s_delay_alu instid0(VALU_DEP_3) | instskip(NEXT) | instid1(VALU_DEP_3)
	v_mov_b32_e32 v123, v121
	v_pk_add_f32 v[116:117], v[116:117], v[118:119]
	s_delay_alu instid0(VALU_DEP_1) | instskip(SKIP_1) | instid1(VALU_DEP_1)
	v_pk_add_f32 v[116:117], v[116:117], v[122:123]
	s_wait_loadcnt 0x0
	v_pk_add_f32 v[116:117], v[206:207], v[116:117] neg_lo:[0,1] neg_hi:[0,1]
	scratch_store_b64 off, v[116:117], off offset:264
	s_wait_xcnt 0x0
	v_cmpx_lt_u32_e32 32, v0
	s_cbranch_execz .LBB120_291
; %bb.290:
	scratch_load_b64 v[116:117], off, off offset:256
	v_mov_b64_e32 v[118:119], 0
	scratch_store_b64 off, v[118:119], off offset:256
	s_wait_loadcnt 0x0
	ds_store_b64 v1, v[116:117]
.LBB120_291:
	s_wait_xcnt 0x0
	s_or_b32 exec_lo, exec_lo, s0
	s_wait_storecnt_dscnt 0x0
	s_barrier_signal -1
	s_barrier_wait -1
	s_clause 0xc
	scratch_load_b128 v[116:119], off, off offset:264
	scratch_load_b128 v[120:123], off, off offset:280
	;; [unrolled: 1-line block ×12, first 2 shown]
	scratch_load_b64 v[212:213], off, off offset:256
	ds_load_2addr_b64 v[164:167], v7 offset0:107 offset1:108
	ds_load_2addr_b64 v[168:171], v7 offset0:109 offset1:110
	;; [unrolled: 1-line block ×12, first 2 shown]
	s_mov_b32 s0, exec_lo
	s_wait_dscnt 0xb
	v_dual_mov_b32 v214, v167 :: v_dual_mov_b32 v215, v166
	s_wait_dscnt 0xa
	v_dual_mov_b32 v216, v171 :: v_dual_mov_b32 v217, v170
	;; [unrolled: 2-line block ×4, first 2 shown]
	s_wait_loadcnt_dscnt 0xc07
	v_dual_mul_f32 v7, v180, v117 :: v_dual_mul_f32 v9, v182, v119
	v_dual_mul_f32 v35, v181, v117 :: v_dual_mul_f32 v37, v183, v119
	s_wait_loadcnt_dscnt 0xb06
	v_dual_mul_f32 v11, v184, v121 :: v_dual_mul_f32 v13, v186, v123
	s_delay_alu instid0(VALU_DEP_3) | instskip(SKIP_3) | instid1(VALU_DEP_3)
	v_dual_fmac_f32 v7, v181, v116 :: v_dual_fmac_f32 v9, v183, v118
	s_wait_loadcnt_dscnt 0x904
	v_dual_fma_f32 v35, v180, v116, -v35 :: v_dual_mul_f32 v47, v193, v129
	v_dual_mul_f32 v39, v185, v121 :: v_dual_mul_f32 v41, v187, v123
	v_dual_fma_f32 v37, v182, v118, -v37 :: v_dual_add_f32 v7, 0, v7
	s_delay_alu instid0(VALU_DEP_3) | instskip(SKIP_1) | instid1(VALU_DEP_4)
	v_dual_add_f32 v35, 0, v35 :: v_dual_fmac_f32 v11, v185, v120
	v_dual_mul_f32 v15, v188, v125 :: v_dual_mul_f32 v17, v190, v127
	v_dual_mul_f32 v49, v195, v131 :: v_dual_fma_f32 v39, v184, v120, -v39
	s_delay_alu instid0(VALU_DEP_4) | instskip(NEXT) | instid1(VALU_DEP_3)
	v_add_f32_e32 v7, v7, v9
	v_dual_add_f32 v9, v35, v37 :: v_dual_fmac_f32 v15, v189, v124
	v_dual_mul_f32 v43, v189, v125 :: v_dual_mul_f32 v45, v191, v127
	s_wait_loadcnt_dscnt 0x803
	v_dual_mul_f32 v35, v197, v133 :: v_dual_fmac_f32 v13, v187, v122
	v_dual_fma_f32 v37, v186, v122, -v41 :: v_dual_add_f32 v7, v7, v11
	s_delay_alu instid0(VALU_DEP_3) | instskip(SKIP_1) | instid1(VALU_DEP_3)
	v_dual_add_f32 v9, v9, v39 :: v_dual_fma_f32 v39, v188, v124, -v43
	v_dual_mul_f32 v19, v192, v129 :: v_dual_mul_f32 v21, v194, v131
	v_add_f32_e32 v7, v7, v13
	s_delay_alu instid0(VALU_DEP_3) | instskip(SKIP_2) | instid1(VALU_DEP_3)
	v_dual_mul_f32 v11, v199, v135 :: v_dual_add_f32 v9, v9, v37
	s_wait_loadcnt_dscnt 0x702
	v_dual_mul_f32 v13, v201, v137 :: v_dual_fmac_f32 v17, v191, v126
	v_dual_fma_f32 v37, v190, v126, -v45 :: v_dual_add_f32 v7, v7, v15
	s_delay_alu instid0(VALU_DEP_3) | instskip(SKIP_1) | instid1(VALU_DEP_3)
	v_dual_add_f32 v9, v9, v39 :: v_dual_fma_f32 v39, v192, v128, -v47
	v_dual_mul_f32 v15, v203, v139 :: v_dual_fmac_f32 v19, v193, v128
	v_add_f32_e32 v7, v7, v17
	s_delay_alu instid0(VALU_DEP_3)
	v_dual_add_f32 v9, v9, v37 :: v_dual_fmac_f32 v21, v195, v130
	v_dual_mul_f32 v23, v196, v133 :: v_dual_mul_f32 v25, v198, v135
	s_wait_loadcnt_dscnt 0x601
	v_dual_fma_f32 v37, v194, v130, -v49 :: v_dual_mul_f32 v17, v205, v141
	v_add_f32_e32 v7, v7, v19
	v_dual_add_f32 v9, v9, v39 :: v_dual_fma_f32 v35, v196, v132, -v35
	v_dual_mul_f32 v19, v207, v143 :: v_dual_fmac_f32 v23, v197, v132
	s_delay_alu instid0(VALU_DEP_3) | instskip(NEXT) | instid1(VALU_DEP_3)
	v_dual_add_f32 v7, v7, v21 :: v_dual_fma_f32 v11, v198, v134, -v11
	v_dual_add_f32 v9, v9, v37 :: v_dual_fmac_f32 v25, v199, v134
	v_dual_mul_f32 v27, v200, v137 :: v_dual_mul_f32 v29, v202, v139
	s_wait_loadcnt_dscnt 0x500
	s_delay_alu instid0(VALU_DEP_3) | instskip(NEXT) | instid1(VALU_DEP_3)
	v_dual_mul_f32 v21, v209, v145 :: v_dual_add_f32 v7, v7, v23
	v_dual_add_f32 v9, v9, v35 :: v_dual_fma_f32 v13, v200, v136, -v13
	s_delay_alu instid0(VALU_DEP_3) | instskip(NEXT) | instid1(VALU_DEP_2)
	v_dual_mul_f32 v23, v211, v147 :: v_dual_fmac_f32 v27, v201, v136
	v_dual_add_f32 v7, v7, v25 :: v_dual_add_f32 v9, v9, v11
	v_dual_mul_f32 v31, v204, v141 :: v_dual_mul_f32 v33, v206, v143
	v_dual_fmac_f32 v29, v203, v138 :: v_dual_fma_f32 v11, v202, v138, -v15
	s_delay_alu instid0(VALU_DEP_3) | instskip(SKIP_1) | instid1(VALU_DEP_3)
	v_dual_add_f32 v7, v7, v27 :: v_dual_add_f32 v9, v9, v13
	s_wait_loadcnt 0x4
	v_dual_mov_b32 v118, v151 :: v_dual_fmac_f32 v31, v205, v140
	s_delay_alu instid0(VALU_DEP_2) | instskip(NEXT) | instid1(VALU_DEP_3)
	v_dual_fma_f32 v13, v204, v140, -v17 :: v_dual_add_f32 v7, v7, v29
	v_dual_add_f32 v9, v9, v11 :: v_dual_fmac_f32 v33, v207, v142
	v_dual_mul_f32 v223, v208, v145 :: v_dual_mul_f32 v225, v210, v147
	s_delay_alu instid0(VALU_DEP_3) | instskip(SKIP_1) | instid1(VALU_DEP_3)
	v_dual_fma_f32 v11, v206, v142, -v19 :: v_dual_add_f32 v7, v7, v31
	s_wait_loadcnt 0x3
	v_dual_add_f32 v9, v9, v13 :: v_dual_mov_b32 v122, v155
	v_pk_mul_f32 v[116:117], v[164:165], v[148:149] op_sel:[1,1] op_sel_hi:[0,1]
	v_dual_fmac_f32 v223, v209, v144 :: v_dual_fma_f32 v222, v208, v144, -v21
	s_delay_alu instid0(VALU_DEP_3) | instskip(SKIP_1) | instid1(VALU_DEP_4)
	v_dual_add_f32 v125, v7, v33 :: v_dual_add_f32 v124, v9, v11
	v_dual_fmac_f32 v225, v211, v146 :: v_dual_fma_f32 v224, v210, v146, -v23
	v_pk_fma_f32 v[126:127], v[164:165], v[148:149], v[116:117] op_sel_hi:[1,0,1]
	v_pk_mul_f32 v[118:119], v[214:215], v[118:119] op_sel_hi:[1,0]
	s_delay_alu instid0(VALU_DEP_4)
	v_pk_add_f32 v[124:125], v[124:125], v[222:223]
	v_pk_fma_f32 v[116:117], v[164:165], v[148:149], v[116:117] neg_lo:[0,0,1] neg_hi:[0,0,1]
	v_pk_mul_f32 v[120:121], v[168:169], v[152:153] op_sel:[1,1] op_sel_hi:[0,1]
	v_mov_b32_e32 v117, v127
	v_pk_fma_f32 v[126:127], v[166:167], v[150:151], v[118:119] op_sel_hi:[1,0,1]
	v_pk_add_f32 v[124:125], v[124:125], v[224:225]
	v_pk_fma_f32 v[118:119], v[166:167], v[150:151], v[118:119] neg_lo:[0,0,1] neg_hi:[0,0,1]
	v_pk_fma_f32 v[130:131], v[168:169], v[152:153], v[120:121] op_sel_hi:[1,0,1]
	v_pk_mul_f32 v[122:123], v[216:217], v[122:123] op_sel_hi:[1,0]
	v_mov_b32_e32 v119, v127
	v_pk_add_f32 v[116:117], v[124:125], v[116:117]
	s_wait_loadcnt 0x2
	v_pk_mul_f32 v[128:129], v[172:173], v[156:157] op_sel:[1,1] op_sel_hi:[0,1]
	v_mov_b32_e32 v124, v159
	v_pk_fma_f32 v[120:121], v[168:169], v[152:153], v[120:121] neg_lo:[0,0,1] neg_hi:[0,0,1]
	v_mov_b32_e32 v121, v131
	v_pk_fma_f32 v[126:127], v[170:171], v[154:155], v[122:123] op_sel_hi:[1,0,1]
	v_pk_add_f32 v[116:117], v[116:117], v[118:119]
	v_pk_fma_f32 v[118:119], v[172:173], v[156:157], v[128:129] op_sel_hi:[1,0,1]
	v_pk_mul_f32 v[124:125], v[218:219], v[124:125] op_sel_hi:[1,0]
	v_pk_fma_f32 v[122:123], v[170:171], v[154:155], v[122:123] neg_lo:[0,0,1] neg_hi:[0,0,1]
	v_mov_b32_e32 v123, v127
	v_pk_add_f32 v[116:117], v[116:117], v[120:121]
	v_pk_fma_f32 v[126:127], v[172:173], v[156:157], v[128:129] neg_lo:[0,0,1] neg_hi:[0,0,1]
	v_mov_b32_e32 v127, v119
	v_pk_fma_f32 v[118:119], v[174:175], v[158:159], v[124:125] op_sel_hi:[1,0,1]
	s_wait_loadcnt 0x1
	v_pk_mul_f32 v[120:121], v[176:177], v[160:161] op_sel:[1,1] op_sel_hi:[0,1]
	v_pk_add_f32 v[116:117], v[116:117], v[122:123]
	v_mov_b32_e32 v118, v163
	v_pk_fma_f32 v[124:125], v[174:175], v[158:159], v[124:125] neg_lo:[0,0,1] neg_hi:[0,0,1]
	v_mov_b32_e32 v125, v119
	v_pk_fma_f32 v[122:123], v[176:177], v[160:161], v[120:121] op_sel_hi:[1,0,1]
	v_pk_add_f32 v[116:117], v[116:117], v[126:127]
	v_pk_mul_f32 v[118:119], v[220:221], v[118:119] op_sel_hi:[1,0]
	v_pk_fma_f32 v[120:121], v[176:177], v[160:161], v[120:121] neg_lo:[0,0,1] neg_hi:[0,0,1]
	s_delay_alu instid0(VALU_DEP_4) | instskip(NEXT) | instid1(VALU_DEP_4)
	v_mov_b32_e32 v121, v123
	v_pk_add_f32 v[116:117], v[116:117], v[124:125]
	s_delay_alu instid0(VALU_DEP_4) | instskip(SKIP_1) | instid1(VALU_DEP_2)
	v_pk_fma_f32 v[122:123], v[178:179], v[162:163], v[118:119] op_sel_hi:[1,0,1]
	v_pk_fma_f32 v[118:119], v[178:179], v[162:163], v[118:119] neg_lo:[0,0,1] neg_hi:[0,0,1]
	v_mov_b32_e32 v119, v123
	s_delay_alu instid0(VALU_DEP_4) | instskip(NEXT) | instid1(VALU_DEP_1)
	v_pk_add_f32 v[116:117], v[116:117], v[120:121]
	v_pk_add_f32 v[116:117], v[116:117], v[118:119]
	s_wait_loadcnt 0x0
	s_delay_alu instid0(VALU_DEP_1)
	v_pk_add_f32 v[116:117], v[212:213], v[116:117] neg_lo:[0,1] neg_hi:[0,1]
	scratch_store_b64 off, v[116:117], off offset:256
	s_wait_xcnt 0x0
	v_cmpx_lt_u32_e32 31, v0
	s_cbranch_execz .LBB120_293
; %bb.292:
	scratch_load_b64 v[116:117], off, off offset:248
	v_mov_b64_e32 v[118:119], 0
	scratch_store_b64 off, v[118:119], off offset:248
	s_wait_loadcnt 0x0
	ds_store_b64 v1, v[116:117]
.LBB120_293:
	s_wait_xcnt 0x0
	s_or_b32 exec_lo, exec_lo, s0
	s_wait_storecnt_dscnt 0x0
	s_barrier_signal -1
	s_barrier_wait -1
	s_clause 0xd
	scratch_load_b128 v[116:119], off, off offset:256
	scratch_load_b128 v[120:123], off, off offset:272
	;; [unrolled: 1-line block ×12, first 2 shown]
	scratch_load_b64 v[212:213], off, off offset:448
	scratch_load_b64 v[214:215], off, off offset:248
	v_mov_b32_e32 v7, 0
	ds_load_b128 v[164:167], v7 offset:848
	ds_load_b128 v[168:171], v7 offset:864
	;; [unrolled: 1-line block ×12, first 2 shown]
	ds_load_b64 v[216:217], v7 offset:912
	s_mov_b32 s0, exec_lo
	s_wait_dscnt 0xc
	v_dual_mov_b32 v218, v167 :: v_dual_mov_b32 v219, v166
	s_wait_dscnt 0x9
	v_dual_mov_b32 v220, v171 :: v_dual_mov_b32 v225, v178
	v_dual_mov_b32 v221, v170 :: v_dual_mov_b32 v222, v175
	;; [unrolled: 1-line block ×3, first 2 shown]
	s_wait_loadcnt_dscnt 0xd08
	v_dual_mul_f32 v9, v180, v117 :: v_dual_mul_f32 v39, v181, v117
	v_dual_mul_f32 v41, v183, v119 :: v_dual_mul_f32 v11, v182, v119
	s_wait_loadcnt_dscnt 0xc07
	v_mul_f32_e32 v13, v184, v121
	s_wait_loadcnt_dscnt 0xa05
	v_dual_mul_f32 v51, v193, v129 :: v_dual_fma_f32 v39, v180, v116, -v39
	v_dual_fmac_f32 v9, v181, v116 :: v_dual_mul_f32 v53, v195, v131
	v_dual_mul_f32 v43, v185, v121 :: v_dual_mul_f32 v45, v187, v123
	v_dual_fmac_f32 v11, v183, v118 :: v_dual_fma_f32 v41, v182, v118, -v41
	s_delay_alu instid0(VALU_DEP_3) | instskip(SKIP_4) | instid1(VALU_DEP_3)
	v_dual_add_f32 v9, 0, v9 :: v_dual_add_f32 v39, 0, v39
	v_dual_mul_f32 v15, v186, v123 :: v_dual_mul_f32 v17, v188, v125
	s_wait_loadcnt_dscnt 0x904
	v_dual_mul_f32 v55, v197, v133 :: v_dual_fma_f32 v43, v184, v120, -v43
	v_fmac_f32_e32 v13, v185, v120
	v_dual_add_f32 v9, v9, v11 :: v_dual_fmac_f32 v15, v187, v122
	v_add_f32_e32 v11, v39, v41
	v_dual_mul_f32 v47, v189, v125 :: v_dual_mul_f32 v49, v191, v127
	v_dual_mul_f32 v39, v199, v135 :: v_dual_fma_f32 v41, v186, v122, -v45
	s_delay_alu instid0(VALU_DEP_3) | instskip(SKIP_3) | instid1(VALU_DEP_3)
	v_dual_add_f32 v9, v9, v13 :: v_dual_add_f32 v11, v11, v43
	v_dual_mul_f32 v19, v190, v127 :: v_dual_mul_f32 v21, v192, v129
	s_wait_loadcnt_dscnt 0x803
	v_dual_mul_f32 v13, v201, v137 :: v_dual_fma_f32 v43, v188, v124, -v47
	v_dual_fmac_f32 v17, v189, v124 :: v_dual_add_f32 v11, v11, v41
	s_delay_alu instid0(VALU_DEP_3) | instskip(SKIP_1) | instid1(VALU_DEP_2)
	v_dual_add_f32 v9, v9, v15 :: v_dual_fmac_f32 v19, v191, v126
	v_dual_mul_f32 v15, v203, v139 :: v_dual_fma_f32 v41, v190, v126, -v49
	v_dual_add_f32 v11, v11, v43 :: v_dual_add_f32 v9, v9, v17
	v_dual_mul_f32 v23, v194, v131 :: v_dual_mul_f32 v25, v196, v133
	s_wait_loadcnt_dscnt 0x702
	v_dual_mul_f32 v17, v205, v141 :: v_dual_fma_f32 v43, v192, v128, -v51
	s_delay_alu instid0(VALU_DEP_3) | instskip(NEXT) | instid1(VALU_DEP_3)
	v_dual_fmac_f32 v21, v193, v128 :: v_dual_add_f32 v11, v11, v41
	v_dual_add_f32 v9, v9, v19 :: v_dual_fmac_f32 v23, v195, v130
	v_dual_mul_f32 v19, v207, v143 :: v_dual_fma_f32 v41, v194, v130, -v53
	s_delay_alu instid0(VALU_DEP_2) | instskip(SKIP_3) | instid1(VALU_DEP_3)
	v_dual_add_f32 v11, v11, v43 :: v_dual_add_f32 v9, v9, v21
	v_dual_mul_f32 v27, v198, v135 :: v_dual_mul_f32 v29, v200, v137
	s_wait_loadcnt_dscnt 0x601
	v_dual_mul_f32 v21, v209, v145 :: v_dual_fma_f32 v43, v196, v132, -v55
	v_dual_fmac_f32 v25, v197, v132 :: v_dual_add_f32 v11, v11, v41
	s_delay_alu instid0(VALU_DEP_3) | instskip(SKIP_1) | instid1(VALU_DEP_2)
	v_dual_add_f32 v9, v9, v23 :: v_dual_fmac_f32 v27, v199, v134
	v_dual_mul_f32 v23, v211, v147 :: v_dual_fma_f32 v39, v198, v134, -v39
	v_dual_add_f32 v11, v11, v43 :: v_dual_add_f32 v9, v9, v25
	v_dual_mul_f32 v31, v202, v139 :: v_dual_mul_f32 v33, v204, v141
	s_wait_loadcnt 0x5
	v_dual_mul_f32 v25, v165, v149 :: v_dual_fma_f32 v13, v200, v136, -v13
	s_delay_alu instid0(VALU_DEP_3) | instskip(SKIP_2) | instid1(VALU_DEP_3)
	v_dual_fmac_f32 v29, v201, v136 :: v_dual_add_f32 v11, v11, v39
	v_dual_add_f32 v9, v9, v27 :: v_dual_mov_b32 v116, v151
	v_fmac_f32_e32 v31, v203, v138
	v_dual_fma_f32 v15, v202, v138, -v15 :: v_dual_add_f32 v11, v11, v13
	s_delay_alu instid0(VALU_DEP_3) | instskip(SKIP_1) | instid1(VALU_DEP_3)
	v_dual_add_f32 v9, v9, v29 :: v_dual_mul_f32 v35, v206, v143
	v_dual_mul_f32 v37, v208, v145 :: v_dual_fmac_f32 v33, v205, v140
	v_dual_add_f32 v11, v11, v15 :: v_dual_fma_f32 v13, v204, v140, -v17
	s_wait_loadcnt 0x4
	s_delay_alu instid0(VALU_DEP_3) | instskip(SKIP_3) | instid1(VALU_DEP_4)
	v_dual_add_f32 v9, v9, v31 :: v_dual_mov_b32 v120, v155
	v_fma_f32 v15, v206, v142, -v19
	v_fmac_f32_e32 v35, v207, v142
	v_dual_add_f32 v11, v11, v13 :: v_dual_fmac_f32 v37, v209, v144
	v_dual_add_f32 v9, v9, v33 :: v_dual_mul_f32 v227, v210, v147
	v_mul_f32_e32 v229, v164, v149
	s_delay_alu instid0(VALU_DEP_3) | instskip(NEXT) | instid1(VALU_DEP_3)
	v_dual_fma_f32 v13, v208, v144, -v21 :: v_dual_add_f32 v11, v11, v15
	v_dual_fma_f32 v226, v210, v146, -v23 :: v_dual_add_f32 v9, v9, v35
	s_delay_alu instid0(VALU_DEP_4) | instskip(SKIP_1) | instid1(VALU_DEP_4)
	v_fmac_f32_e32 v227, v211, v146
	v_pk_mul_f32 v[116:117], v[218:219], v[116:117] op_sel_hi:[1,0]
	v_dual_add_f32 v124, v11, v13 :: v_dual_fmac_f32 v229, v165, v148
	s_delay_alu instid0(VALU_DEP_4)
	v_add_f32_e32 v125, v9, v37
	v_pk_mul_f32 v[118:119], v[168:169], v[152:153] op_sel:[1,1] op_sel_hi:[0,1]
	s_wait_loadcnt 0x3
	v_dual_mov_b32 v126, v159 :: v_dual_fma_f32 v228, v164, v148, -v25
	v_pk_fma_f32 v[128:129], v[166:167], v[150:151], v[116:117] op_sel_hi:[1,0,1]
	v_pk_add_f32 v[124:125], v[124:125], v[226:227]
	v_pk_fma_f32 v[116:117], v[166:167], v[150:151], v[116:117] neg_lo:[0,0,1] neg_hi:[0,0,1]
	v_pk_fma_f32 v[130:131], v[168:169], v[152:153], v[118:119] op_sel_hi:[1,0,1]
	v_pk_mul_f32 v[120:121], v[220:221], v[120:121] op_sel_hi:[1,0]
	v_mov_b32_e32 v117, v129
	v_pk_add_f32 v[124:125], v[124:125], v[228:229]
	v_pk_fma_f32 v[118:119], v[168:169], v[152:153], v[118:119] neg_lo:[0,0,1] neg_hi:[0,0,1]
	v_pk_mul_f32 v[122:123], v[172:173], v[156:157] op_sel:[1,1] op_sel_hi:[0,1]
	v_mov_b32_e32 v119, v131
	v_pk_fma_f32 v[130:131], v[170:171], v[154:155], v[120:121] op_sel_hi:[1,0,1]
	v_pk_add_f32 v[116:117], v[124:125], v[116:117]
	v_pk_fma_f32 v[120:121], v[170:171], v[154:155], v[120:121] neg_lo:[0,0,1] neg_hi:[0,0,1]
	v_pk_fma_f32 v[124:125], v[172:173], v[156:157], v[122:123] op_sel_hi:[1,0,1]
	v_pk_mul_f32 v[126:127], v[222:223], v[126:127] op_sel_hi:[1,0]
	v_mov_b32_e32 v121, v131
	v_pk_add_f32 v[116:117], v[116:117], v[118:119]
	v_pk_fma_f32 v[122:123], v[172:173], v[156:157], v[122:123] neg_lo:[0,0,1] neg_hi:[0,0,1]
	s_wait_loadcnt 0x2
	v_pk_mul_f32 v[128:129], v[176:177], v[160:161] op_sel:[1,1] op_sel_hi:[0,1]
	v_dual_mov_b32 v118, v163 :: v_dual_mov_b32 v123, v125
	v_pk_fma_f32 v[124:125], v[174:175], v[158:159], v[126:127] op_sel_hi:[1,0,1]
	v_pk_add_f32 v[116:117], v[116:117], v[120:121]
	v_pk_fma_f32 v[126:127], v[174:175], v[158:159], v[126:127] neg_lo:[0,0,1] neg_hi:[0,0,1]
	v_pk_fma_f32 v[120:121], v[176:177], v[160:161], v[128:129] op_sel_hi:[1,0,1]
	v_pk_mul_f32 v[118:119], v[224:225], v[118:119] op_sel_hi:[1,0]
	v_mov_b32_e32 v127, v125
	v_pk_add_f32 v[116:117], v[116:117], v[122:123]
	v_pk_fma_f32 v[122:123], v[176:177], v[160:161], v[128:129] neg_lo:[0,0,1] neg_hi:[0,0,1]
	v_mov_b32_e32 v123, v121
	v_pk_fma_f32 v[120:121], v[178:179], v[162:163], v[118:119] op_sel_hi:[1,0,1]
	s_wait_loadcnt_dscnt 0x100
	v_pk_mul_f32 v[124:125], v[216:217], v[212:213] op_sel:[1,1] op_sel_hi:[0,1]
	v_pk_add_f32 v[116:117], v[116:117], v[126:127]
	v_pk_fma_f32 v[118:119], v[178:179], v[162:163], v[118:119] neg_lo:[0,0,1] neg_hi:[0,0,1]
	v_mov_b32_e32 v119, v121
	s_delay_alu instid0(VALU_DEP_4) | instskip(NEXT) | instid1(VALU_DEP_4)
	v_pk_fma_f32 v[120:121], v[216:217], v[212:213], v[124:125] op_sel_hi:[1,0,1]
	v_pk_add_f32 v[116:117], v[116:117], v[122:123]
	v_pk_fma_f32 v[122:123], v[216:217], v[212:213], v[124:125] neg_lo:[0,0,1] neg_hi:[0,0,1]
	s_delay_alu instid0(VALU_DEP_3) | instskip(NEXT) | instid1(VALU_DEP_3)
	v_mov_b32_e32 v123, v121
	v_pk_add_f32 v[116:117], v[116:117], v[118:119]
	s_delay_alu instid0(VALU_DEP_1) | instskip(SKIP_1) | instid1(VALU_DEP_1)
	v_pk_add_f32 v[116:117], v[116:117], v[122:123]
	s_wait_loadcnt 0x0
	v_pk_add_f32 v[116:117], v[214:215], v[116:117] neg_lo:[0,1] neg_hi:[0,1]
	scratch_store_b64 off, v[116:117], off offset:248
	s_wait_xcnt 0x0
	v_cmpx_lt_u32_e32 30, v0
	s_cbranch_execz .LBB120_295
; %bb.294:
	scratch_load_b64 v[116:117], off, off offset:240
	v_mov_b64_e32 v[118:119], 0
	scratch_store_b64 off, v[118:119], off offset:240
	s_wait_loadcnt 0x0
	ds_store_b64 v1, v[116:117]
.LBB120_295:
	s_wait_xcnt 0x0
	s_or_b32 exec_lo, exec_lo, s0
	s_wait_storecnt_dscnt 0x0
	s_barrier_signal -1
	s_barrier_wait -1
	s_clause 0xd
	scratch_load_b128 v[116:119], off, off offset:248
	scratch_load_b128 v[120:123], off, off offset:264
	;; [unrolled: 1-line block ×13, first 2 shown]
	scratch_load_b64 v[220:221], off, off offset:240
	ds_load_2addr_b64 v[168:171], v7 offset0:107 offset1:108
	ds_load_2addr_b64 v[172:175], v7 offset0:109 offset1:110
	;; [unrolled: 1-line block ×13, first 2 shown]
	s_mov_b32 s0, exec_lo
	s_wait_dscnt 0xc
	v_dual_mov_b32 v222, v171 :: v_dual_mov_b32 v223, v170
	s_wait_dscnt 0xb
	v_dual_mov_b32 v224, v175 :: v_dual_mov_b32 v225, v174
	;; [unrolled: 2-line block ×4, first 2 shown]
	s_wait_loadcnt_dscnt 0xd08
	v_dual_mul_f32 v7, v184, v117 :: v_dual_mul_f32 v9, v186, v119
	v_dual_mul_f32 v39, v185, v117 :: v_dual_mul_f32 v41, v187, v119
	s_wait_loadcnt_dscnt 0xc07
	v_dual_mul_f32 v11, v188, v121 :: v_dual_mul_f32 v13, v190, v123
	s_delay_alu instid0(VALU_DEP_3) | instskip(SKIP_3) | instid1(VALU_DEP_3)
	v_dual_fmac_f32 v7, v185, v116 :: v_dual_fmac_f32 v9, v187, v118
	s_wait_loadcnt_dscnt 0xa05
	v_dual_fma_f32 v39, v184, v116, -v39 :: v_dual_mul_f32 v51, v197, v129
	v_dual_mul_f32 v43, v189, v121 :: v_dual_mul_f32 v45, v191, v123
	v_dual_fma_f32 v41, v186, v118, -v41 :: v_dual_add_f32 v7, 0, v7
	s_delay_alu instid0(VALU_DEP_3) | instskip(SKIP_1) | instid1(VALU_DEP_4)
	v_dual_add_f32 v39, 0, v39 :: v_dual_fmac_f32 v11, v189, v120
	v_dual_mul_f32 v15, v192, v125 :: v_dual_mul_f32 v17, v194, v127
	v_dual_mul_f32 v53, v199, v131 :: v_dual_fma_f32 v43, v188, v120, -v43
	s_delay_alu instid0(VALU_DEP_4) | instskip(NEXT) | instid1(VALU_DEP_3)
	v_add_f32_e32 v7, v7, v9
	v_dual_add_f32 v9, v39, v41 :: v_dual_fmac_f32 v15, v193, v124
	v_dual_mul_f32 v47, v193, v125 :: v_dual_mul_f32 v49, v195, v127
	s_wait_loadcnt_dscnt 0x903
	v_dual_mul_f32 v39, v205, v133 :: v_dual_fmac_f32 v13, v191, v122
	v_dual_fma_f32 v41, v190, v122, -v45 :: v_dual_add_f32 v7, v7, v11
	s_delay_alu instid0(VALU_DEP_3) | instskip(SKIP_1) | instid1(VALU_DEP_3)
	v_dual_add_f32 v9, v9, v43 :: v_dual_fma_f32 v43, v192, v124, -v47
	v_dual_mul_f32 v19, v196, v129 :: v_dual_mul_f32 v21, v198, v131
	v_add_f32_e32 v7, v7, v13
	s_delay_alu instid0(VALU_DEP_3) | instskip(SKIP_2) | instid1(VALU_DEP_3)
	v_dual_mul_f32 v11, v207, v135 :: v_dual_add_f32 v9, v9, v41
	s_wait_loadcnt_dscnt 0x802
	v_dual_mul_f32 v13, v209, v137 :: v_dual_fmac_f32 v17, v195, v126
	v_dual_fma_f32 v41, v194, v126, -v49 :: v_dual_add_f32 v7, v7, v15
	s_delay_alu instid0(VALU_DEP_3) | instskip(SKIP_1) | instid1(VALU_DEP_3)
	v_dual_add_f32 v9, v9, v43 :: v_dual_fma_f32 v43, v196, v128, -v51
	v_dual_mul_f32 v15, v211, v139 :: v_dual_fmac_f32 v19, v197, v128
	v_add_f32_e32 v7, v7, v17
	s_delay_alu instid0(VALU_DEP_3)
	v_dual_add_f32 v9, v9, v41 :: v_dual_fmac_f32 v21, v199, v130
	v_dual_mul_f32 v23, v204, v133 :: v_dual_mul_f32 v25, v206, v135
	s_wait_loadcnt_dscnt 0x701
	v_dual_fma_f32 v41, v198, v130, -v53 :: v_dual_mul_f32 v17, v213, v141
	v_add_f32_e32 v7, v7, v19
	v_dual_add_f32 v9, v9, v43 :: v_dual_fma_f32 v39, v204, v132, -v39
	v_dual_mul_f32 v19, v215, v143 :: v_dual_fmac_f32 v23, v205, v132
	s_delay_alu instid0(VALU_DEP_3) | instskip(NEXT) | instid1(VALU_DEP_3)
	v_dual_add_f32 v7, v7, v21 :: v_dual_fma_f32 v11, v206, v134, -v11
	v_dual_add_f32 v9, v9, v41 :: v_dual_fmac_f32 v25, v207, v134
	v_dual_mul_f32 v27, v208, v137 :: v_dual_mul_f32 v29, v210, v139
	s_wait_loadcnt_dscnt 0x600
	s_delay_alu instid0(VALU_DEP_3) | instskip(NEXT) | instid1(VALU_DEP_3)
	v_dual_mul_f32 v21, v217, v145 :: v_dual_add_f32 v7, v7, v23
	v_dual_add_f32 v9, v9, v39 :: v_dual_fma_f32 v13, v208, v136, -v13
	s_delay_alu instid0(VALU_DEP_3) | instskip(NEXT) | instid1(VALU_DEP_2)
	v_dual_mul_f32 v23, v219, v147 :: v_dual_fmac_f32 v27, v209, v136
	v_dual_add_f32 v7, v7, v25 :: v_dual_add_f32 v9, v9, v11
	v_dual_mul_f32 v31, v212, v141 :: v_dual_mul_f32 v33, v214, v143
	s_wait_loadcnt 0x5
	v_dual_mul_f32 v11, v201, v149 :: v_dual_fmac_f32 v29, v211, v138
	s_delay_alu instid0(VALU_DEP_3) | instskip(SKIP_2) | instid1(VALU_DEP_2)
	v_dual_fma_f32 v15, v210, v138, -v15 :: v_dual_add_f32 v7, v7, v27
	v_dual_add_f32 v9, v9, v13 :: v_dual_mul_f32 v13, v203, v151
	v_dual_fmac_f32 v31, v213, v140 :: v_dual_fma_f32 v17, v212, v140, -v17
	v_dual_add_f32 v7, v7, v29 :: v_dual_add_f32 v9, v9, v15
	v_dual_mul_f32 v35, v216, v145 :: v_dual_mul_f32 v37, v218, v147
	v_dual_fmac_f32 v33, v215, v142 :: v_dual_fma_f32 v15, v214, v142, -v19
	s_delay_alu instid0(VALU_DEP_3) | instskip(SKIP_1) | instid1(VALU_DEP_3)
	v_dual_add_f32 v7, v7, v31 :: v_dual_add_f32 v9, v9, v17
	s_wait_loadcnt 0x4
	v_dual_mov_b32 v118, v155 :: v_dual_fmac_f32 v35, v217, v144
	s_delay_alu instid0(VALU_DEP_2) | instskip(NEXT) | instid1(VALU_DEP_3)
	v_dual_fma_f32 v17, v216, v144, -v21 :: v_dual_add_f32 v7, v7, v33
	v_dual_add_f32 v9, v9, v15 :: v_dual_fmac_f32 v37, v219, v146
	v_dual_mul_f32 v231, v200, v149 :: v_dual_mul_f32 v233, v202, v151
	s_delay_alu instid0(VALU_DEP_3) | instskip(SKIP_1) | instid1(VALU_DEP_3)
	v_dual_fma_f32 v15, v218, v146, -v23 :: v_dual_add_f32 v7, v7, v35
	s_wait_loadcnt 0x3
	v_dual_add_f32 v9, v9, v17 :: v_dual_mov_b32 v122, v159
	v_pk_mul_f32 v[116:117], v[168:169], v[152:153] op_sel:[1,1] op_sel_hi:[0,1]
	s_delay_alu instid0(VALU_DEP_3) | instskip(NEXT) | instid1(VALU_DEP_3)
	v_dual_fmac_f32 v231, v201, v148 :: v_dual_add_f32 v125, v7, v37
	v_dual_fma_f32 v230, v200, v148, -v11 :: v_dual_add_f32 v124, v9, v15
	v_fmac_f32_e32 v233, v203, v150
	s_delay_alu instid0(VALU_DEP_4)
	v_pk_fma_f32 v[126:127], v[168:169], v[152:153], v[116:117] op_sel_hi:[1,0,1]
	v_fma_f32 v232, v202, v150, -v13
	v_pk_mul_f32 v[118:119], v[222:223], v[118:119] op_sel_hi:[1,0]
	v_pk_add_f32 v[124:125], v[124:125], v[230:231]
	v_pk_fma_f32 v[116:117], v[168:169], v[152:153], v[116:117] neg_lo:[0,0,1] neg_hi:[0,0,1]
	v_pk_mul_f32 v[120:121], v[172:173], v[156:157] op_sel:[1,1] op_sel_hi:[0,1]
	v_mov_b32_e32 v117, v127
	v_pk_fma_f32 v[126:127], v[170:171], v[154:155], v[118:119] op_sel_hi:[1,0,1]
	v_pk_add_f32 v[124:125], v[124:125], v[232:233]
	v_pk_fma_f32 v[118:119], v[170:171], v[154:155], v[118:119] neg_lo:[0,0,1] neg_hi:[0,0,1]
	v_pk_fma_f32 v[130:131], v[172:173], v[156:157], v[120:121] op_sel_hi:[1,0,1]
	v_pk_mul_f32 v[122:123], v[224:225], v[122:123] op_sel_hi:[1,0]
	v_mov_b32_e32 v119, v127
	v_pk_add_f32 v[116:117], v[124:125], v[116:117]
	s_wait_loadcnt 0x2
	v_pk_mul_f32 v[128:129], v[176:177], v[160:161] op_sel:[1,1] op_sel_hi:[0,1]
	v_mov_b32_e32 v124, v163
	v_pk_fma_f32 v[120:121], v[172:173], v[156:157], v[120:121] neg_lo:[0,0,1] neg_hi:[0,0,1]
	v_pk_fma_f32 v[126:127], v[174:175], v[158:159], v[122:123] op_sel_hi:[1,0,1]
	v_mov_b32_e32 v121, v131
	v_pk_add_f32 v[116:117], v[116:117], v[118:119]
	v_pk_fma_f32 v[118:119], v[176:177], v[160:161], v[128:129] op_sel_hi:[1,0,1]
	v_pk_mul_f32 v[124:125], v[226:227], v[124:125] op_sel_hi:[1,0]
	v_pk_fma_f32 v[122:123], v[174:175], v[158:159], v[122:123] neg_lo:[0,0,1] neg_hi:[0,0,1]
	v_mov_b32_e32 v123, v127
	v_pk_add_f32 v[116:117], v[116:117], v[120:121]
	v_pk_fma_f32 v[126:127], v[176:177], v[160:161], v[128:129] neg_lo:[0,0,1] neg_hi:[0,0,1]
	v_mov_b32_e32 v127, v119
	v_pk_fma_f32 v[118:119], v[178:179], v[162:163], v[124:125] op_sel_hi:[1,0,1]
	s_wait_loadcnt 0x1
	v_pk_mul_f32 v[120:121], v[180:181], v[164:165] op_sel:[1,1] op_sel_hi:[0,1]
	v_pk_add_f32 v[116:117], v[116:117], v[122:123]
	v_mov_b32_e32 v118, v167
	v_pk_fma_f32 v[124:125], v[178:179], v[162:163], v[124:125] neg_lo:[0,0,1] neg_hi:[0,0,1]
	s_delay_alu instid0(VALU_DEP_4)
	v_pk_fma_f32 v[122:123], v[180:181], v[164:165], v[120:121] op_sel_hi:[1,0,1]
	v_mov_b32_e32 v125, v119
	v_pk_add_f32 v[116:117], v[116:117], v[126:127]
	v_pk_mul_f32 v[118:119], v[228:229], v[118:119] op_sel_hi:[1,0]
	v_pk_fma_f32 v[120:121], v[180:181], v[164:165], v[120:121] neg_lo:[0,0,1] neg_hi:[0,0,1]
	v_mov_b32_e32 v121, v123
	s_delay_alu instid0(VALU_DEP_4) | instskip(NEXT) | instid1(VALU_DEP_4)
	v_pk_add_f32 v[116:117], v[116:117], v[124:125]
	v_pk_fma_f32 v[122:123], v[182:183], v[166:167], v[118:119] op_sel_hi:[1,0,1]
	v_pk_fma_f32 v[118:119], v[182:183], v[166:167], v[118:119] neg_lo:[0,0,1] neg_hi:[0,0,1]
	s_delay_alu instid0(VALU_DEP_3) | instskip(NEXT) | instid1(VALU_DEP_3)
	v_pk_add_f32 v[116:117], v[116:117], v[120:121]
	v_mov_b32_e32 v119, v123
	s_delay_alu instid0(VALU_DEP_1) | instskip(SKIP_1) | instid1(VALU_DEP_1)
	v_pk_add_f32 v[116:117], v[116:117], v[118:119]
	s_wait_loadcnt 0x0
	v_pk_add_f32 v[116:117], v[220:221], v[116:117] neg_lo:[0,1] neg_hi:[0,1]
	scratch_store_b64 off, v[116:117], off offset:240
	s_wait_xcnt 0x0
	v_cmpx_lt_u32_e32 29, v0
	s_cbranch_execz .LBB120_297
; %bb.296:
	scratch_load_b64 v[116:117], off, off offset:232
	v_mov_b64_e32 v[118:119], 0
	scratch_store_b64 off, v[118:119], off offset:232
	s_wait_loadcnt 0x0
	ds_store_b64 v1, v[116:117]
.LBB120_297:
	s_wait_xcnt 0x0
	s_or_b32 exec_lo, exec_lo, s0
	s_wait_storecnt_dscnt 0x0
	s_barrier_signal -1
	s_barrier_wait -1
	s_clause 0xe
	scratch_load_b128 v[116:119], off, off offset:240
	scratch_load_b128 v[120:123], off, off offset:256
	;; [unrolled: 1-line block ×13, first 2 shown]
	scratch_load_b64 v[220:221], off, off offset:448
	scratch_load_b64 v[222:223], off, off offset:232
	v_mov_b32_e32 v7, 0
	ds_load_b128 v[168:171], v7 offset:848
	ds_load_b128 v[172:175], v7 offset:864
	;; [unrolled: 1-line block ×13, first 2 shown]
	ds_load_b64 v[224:225], v7 offset:912
	s_mov_b32 s0, exec_lo
	s_wait_dscnt 0xd
	v_dual_mov_b32 v226, v171 :: v_dual_mov_b32 v227, v170
	s_wait_dscnt 0xa
	v_dual_mov_b32 v228, v175 :: v_dual_mov_b32 v233, v182
	v_dual_mov_b32 v229, v174 :: v_dual_mov_b32 v230, v179
	;; [unrolled: 1-line block ×3, first 2 shown]
	s_wait_loadcnt_dscnt 0xe09
	v_dual_mul_f32 v9, v184, v117 :: v_dual_mul_f32 v43, v185, v117
	v_dual_mul_f32 v45, v187, v119 :: v_dual_mul_f32 v11, v186, v119
	s_wait_loadcnt_dscnt 0xd08
	v_mul_f32_e32 v13, v188, v121
	s_wait_loadcnt_dscnt 0xb05
	v_dual_mul_f32 v55, v201, v129 :: v_dual_fma_f32 v43, v184, v116, -v43
	v_dual_fmac_f32 v9, v185, v116 :: v_dual_mul_f32 v57, v203, v131
	v_dual_mul_f32 v47, v189, v121 :: v_dual_mul_f32 v49, v191, v123
	v_dual_fmac_f32 v11, v187, v118 :: v_dual_fma_f32 v45, v186, v118, -v45
	s_delay_alu instid0(VALU_DEP_3) | instskip(SKIP_4) | instid1(VALU_DEP_3)
	v_dual_add_f32 v9, 0, v9 :: v_dual_add_f32 v43, 0, v43
	v_dual_mul_f32 v15, v190, v123 :: v_dual_mul_f32 v17, v192, v125
	s_wait_loadcnt_dscnt 0xa04
	v_dual_mul_f32 v59, v205, v133 :: v_dual_fma_f32 v47, v188, v120, -v47
	v_fmac_f32_e32 v13, v189, v120
	v_dual_add_f32 v9, v9, v11 :: v_dual_fmac_f32 v15, v191, v122
	v_add_f32_e32 v11, v43, v45
	v_dual_mul_f32 v51, v193, v125 :: v_dual_mul_f32 v53, v195, v127
	v_dual_mul_f32 v43, v207, v135 :: v_dual_fma_f32 v45, v190, v122, -v49
	s_delay_alu instid0(VALU_DEP_3) | instskip(SKIP_3) | instid1(VALU_DEP_3)
	v_dual_add_f32 v9, v9, v13 :: v_dual_add_f32 v11, v11, v47
	v_dual_mul_f32 v19, v194, v127 :: v_dual_mul_f32 v21, v200, v129
	s_wait_loadcnt_dscnt 0x903
	v_dual_mul_f32 v13, v209, v137 :: v_dual_fma_f32 v47, v192, v124, -v51
	v_dual_fmac_f32 v17, v193, v124 :: v_dual_add_f32 v11, v11, v45
	s_delay_alu instid0(VALU_DEP_3) | instskip(SKIP_1) | instid1(VALU_DEP_2)
	v_dual_add_f32 v9, v9, v15 :: v_dual_fmac_f32 v19, v195, v126
	v_dual_mul_f32 v15, v211, v139 :: v_dual_fma_f32 v45, v194, v126, -v53
	v_dual_add_f32 v11, v11, v47 :: v_dual_add_f32 v9, v9, v17
	v_dual_mul_f32 v23, v202, v131 :: v_dual_mul_f32 v25, v204, v133
	s_wait_loadcnt_dscnt 0x802
	v_dual_mul_f32 v17, v213, v141 :: v_dual_fma_f32 v47, v200, v128, -v55
	s_delay_alu instid0(VALU_DEP_3) | instskip(NEXT) | instid1(VALU_DEP_3)
	v_dual_fmac_f32 v21, v201, v128 :: v_dual_add_f32 v11, v11, v45
	v_dual_add_f32 v9, v9, v19 :: v_dual_fmac_f32 v23, v203, v130
	v_dual_mul_f32 v19, v215, v143 :: v_dual_fma_f32 v45, v202, v130, -v57
	s_delay_alu instid0(VALU_DEP_2) | instskip(SKIP_3) | instid1(VALU_DEP_3)
	v_dual_add_f32 v11, v11, v47 :: v_dual_add_f32 v9, v9, v21
	v_dual_mul_f32 v27, v206, v135 :: v_dual_mul_f32 v29, v208, v137
	s_wait_loadcnt_dscnt 0x701
	v_dual_mul_f32 v21, v217, v145 :: v_dual_fma_f32 v47, v204, v132, -v59
	v_dual_fmac_f32 v25, v205, v132 :: v_dual_add_f32 v11, v11, v45
	s_delay_alu instid0(VALU_DEP_3) | instskip(SKIP_1) | instid1(VALU_DEP_2)
	v_dual_add_f32 v9, v9, v23 :: v_dual_fmac_f32 v27, v207, v134
	v_dual_mul_f32 v23, v219, v147 :: v_dual_fma_f32 v43, v206, v134, -v43
	v_dual_add_f32 v11, v11, v47 :: v_dual_add_f32 v9, v9, v25
	v_dual_mul_f32 v31, v210, v139 :: v_dual_mul_f32 v33, v212, v141
	s_wait_loadcnt 0x6
	v_dual_mul_f32 v25, v197, v149 :: v_dual_fma_f32 v13, v208, v136, -v13
	s_delay_alu instid0(VALU_DEP_3) | instskip(NEXT) | instid1(VALU_DEP_3)
	v_dual_fmac_f32 v29, v209, v136 :: v_dual_add_f32 v11, v11, v43
	v_dual_add_f32 v9, v9, v27 :: v_dual_fmac_f32 v31, v211, v138
	v_dual_mul_f32 v27, v199, v151 :: v_dual_fma_f32 v15, v210, v138, -v15
	s_delay_alu instid0(VALU_DEP_3) | instskip(NEXT) | instid1(VALU_DEP_3)
	v_dual_add_f32 v11, v11, v13 :: v_dual_fmac_f32 v33, v213, v140
	v_dual_add_f32 v9, v9, v29 :: v_dual_fma_f32 v17, v212, v140, -v17
	v_dual_mul_f32 v35, v214, v143 :: v_dual_mul_f32 v37, v216, v145
	s_wait_loadcnt 0x5
	s_delay_alu instid0(VALU_DEP_3) | instskip(NEXT) | instid1(VALU_DEP_3)
	v_dual_mul_f32 v13, v169, v153 :: v_dual_add_f32 v11, v11, v15
	v_dual_add_f32 v9, v9, v31 :: v_dual_mov_b32 v116, v155
	s_delay_alu instid0(VALU_DEP_3) | instskip(NEXT) | instid1(VALU_DEP_3)
	v_fmac_f32_e32 v35, v215, v142
	v_dual_fma_f32 v15, v214, v142, -v19 :: v_dual_add_f32 v11, v11, v17
	s_delay_alu instid0(VALU_DEP_3) | instskip(SKIP_1) | instid1(VALU_DEP_3)
	v_dual_add_f32 v9, v9, v33 :: v_dual_mul_f32 v39, v218, v147
	v_dual_mul_f32 v41, v196, v149 :: v_dual_fmac_f32 v37, v217, v144
	v_dual_add_f32 v11, v11, v15 :: v_dual_fma_f32 v17, v216, v144, -v21
	s_wait_loadcnt 0x4
	s_delay_alu instid0(VALU_DEP_3) | instskip(SKIP_3) | instid1(VALU_DEP_4)
	v_dual_add_f32 v9, v9, v35 :: v_dual_mov_b32 v120, v159
	v_fma_f32 v15, v218, v146, -v23
	v_fmac_f32_e32 v39, v219, v146
	v_dual_add_f32 v11, v11, v17 :: v_dual_fmac_f32 v41, v197, v148
	v_dual_add_f32 v9, v9, v37 :: v_dual_mul_f32 v235, v198, v151
	v_mul_f32_e32 v237, v168, v153
	s_delay_alu instid0(VALU_DEP_3) | instskip(NEXT) | instid1(VALU_DEP_3)
	v_dual_fma_f32 v17, v196, v148, -v25 :: v_dual_add_f32 v11, v11, v15
	v_dual_fma_f32 v234, v198, v150, -v27 :: v_dual_add_f32 v9, v9, v39
	s_delay_alu instid0(VALU_DEP_4) | instskip(SKIP_1) | instid1(VALU_DEP_4)
	v_fmac_f32_e32 v235, v199, v150
	v_pk_mul_f32 v[116:117], v[226:227], v[116:117] op_sel_hi:[1,0]
	v_dual_add_f32 v124, v11, v17 :: v_dual_fmac_f32 v237, v169, v152
	s_delay_alu instid0(VALU_DEP_4)
	v_add_f32_e32 v125, v9, v41
	v_pk_mul_f32 v[118:119], v[172:173], v[156:157] op_sel:[1,1] op_sel_hi:[0,1]
	s_wait_loadcnt 0x3
	v_dual_mov_b32 v126, v163 :: v_dual_fma_f32 v236, v168, v152, -v13
	v_pk_fma_f32 v[128:129], v[170:171], v[154:155], v[116:117] op_sel_hi:[1,0,1]
	v_pk_add_f32 v[124:125], v[124:125], v[234:235]
	v_pk_fma_f32 v[116:117], v[170:171], v[154:155], v[116:117] neg_lo:[0,0,1] neg_hi:[0,0,1]
	v_pk_fma_f32 v[130:131], v[172:173], v[156:157], v[118:119] op_sel_hi:[1,0,1]
	v_pk_mul_f32 v[120:121], v[228:229], v[120:121] op_sel_hi:[1,0]
	v_mov_b32_e32 v117, v129
	v_pk_add_f32 v[124:125], v[124:125], v[236:237]
	v_pk_fma_f32 v[118:119], v[172:173], v[156:157], v[118:119] neg_lo:[0,0,1] neg_hi:[0,0,1]
	v_pk_mul_f32 v[122:123], v[176:177], v[160:161] op_sel:[1,1] op_sel_hi:[0,1]
	v_mov_b32_e32 v119, v131
	v_pk_fma_f32 v[130:131], v[174:175], v[158:159], v[120:121] op_sel_hi:[1,0,1]
	v_pk_add_f32 v[116:117], v[124:125], v[116:117]
	v_pk_fma_f32 v[120:121], v[174:175], v[158:159], v[120:121] neg_lo:[0,0,1] neg_hi:[0,0,1]
	v_pk_fma_f32 v[124:125], v[176:177], v[160:161], v[122:123] op_sel_hi:[1,0,1]
	v_pk_mul_f32 v[126:127], v[230:231], v[126:127] op_sel_hi:[1,0]
	v_mov_b32_e32 v121, v131
	v_pk_add_f32 v[116:117], v[116:117], v[118:119]
	v_pk_fma_f32 v[122:123], v[176:177], v[160:161], v[122:123] neg_lo:[0,0,1] neg_hi:[0,0,1]
	s_wait_loadcnt 0x2
	v_pk_mul_f32 v[128:129], v[180:181], v[164:165] op_sel:[1,1] op_sel_hi:[0,1]
	v_dual_mov_b32 v118, v167 :: v_dual_mov_b32 v123, v125
	v_pk_fma_f32 v[124:125], v[178:179], v[162:163], v[126:127] op_sel_hi:[1,0,1]
	v_pk_add_f32 v[116:117], v[116:117], v[120:121]
	v_pk_fma_f32 v[126:127], v[178:179], v[162:163], v[126:127] neg_lo:[0,0,1] neg_hi:[0,0,1]
	v_pk_fma_f32 v[120:121], v[180:181], v[164:165], v[128:129] op_sel_hi:[1,0,1]
	v_pk_mul_f32 v[118:119], v[232:233], v[118:119] op_sel_hi:[1,0]
	v_mov_b32_e32 v127, v125
	v_pk_add_f32 v[116:117], v[116:117], v[122:123]
	v_pk_fma_f32 v[122:123], v[180:181], v[164:165], v[128:129] neg_lo:[0,0,1] neg_hi:[0,0,1]
	v_mov_b32_e32 v123, v121
	v_pk_fma_f32 v[120:121], v[182:183], v[166:167], v[118:119] op_sel_hi:[1,0,1]
	s_wait_loadcnt_dscnt 0x100
	v_pk_mul_f32 v[124:125], v[224:225], v[220:221] op_sel:[1,1] op_sel_hi:[0,1]
	v_pk_add_f32 v[116:117], v[116:117], v[126:127]
	v_pk_fma_f32 v[118:119], v[182:183], v[166:167], v[118:119] neg_lo:[0,0,1] neg_hi:[0,0,1]
	v_mov_b32_e32 v119, v121
	s_delay_alu instid0(VALU_DEP_4) | instskip(NEXT) | instid1(VALU_DEP_4)
	v_pk_fma_f32 v[120:121], v[224:225], v[220:221], v[124:125] op_sel_hi:[1,0,1]
	v_pk_add_f32 v[116:117], v[116:117], v[122:123]
	v_pk_fma_f32 v[122:123], v[224:225], v[220:221], v[124:125] neg_lo:[0,0,1] neg_hi:[0,0,1]
	s_delay_alu instid0(VALU_DEP_3) | instskip(NEXT) | instid1(VALU_DEP_3)
	v_mov_b32_e32 v123, v121
	v_pk_add_f32 v[116:117], v[116:117], v[118:119]
	s_delay_alu instid0(VALU_DEP_1) | instskip(SKIP_1) | instid1(VALU_DEP_1)
	v_pk_add_f32 v[116:117], v[116:117], v[122:123]
	s_wait_loadcnt 0x0
	v_pk_add_f32 v[116:117], v[222:223], v[116:117] neg_lo:[0,1] neg_hi:[0,1]
	scratch_store_b64 off, v[116:117], off offset:232
	s_wait_xcnt 0x0
	v_cmpx_lt_u32_e32 28, v0
	s_cbranch_execz .LBB120_299
; %bb.298:
	scratch_load_b64 v[116:117], off, off offset:224
	v_mov_b64_e32 v[118:119], 0
	scratch_store_b64 off, v[118:119], off offset:224
	s_wait_loadcnt 0x0
	ds_store_b64 v1, v[116:117]
.LBB120_299:
	s_wait_xcnt 0x0
	s_or_b32 exec_lo, exec_lo, s0
	s_wait_storecnt_dscnt 0x0
	s_barrier_signal -1
	s_barrier_wait -1
	s_clause 0xe
	scratch_load_b128 v[116:119], off, off offset:232
	scratch_load_b128 v[120:123], off, off offset:248
	;; [unrolled: 1-line block ×14, first 2 shown]
	scratch_load_b64 v[228:229], off, off offset:224
	ds_load_2addr_b64 v[172:175], v7 offset0:107 offset1:108
	ds_load_2addr_b64 v[176:179], v7 offset0:109 offset1:110
	;; [unrolled: 1-line block ×14, first 2 shown]
	s_mov_b32 s0, exec_lo
	s_wait_dscnt 0xd
	v_dual_mov_b32 v230, v175 :: v_dual_mov_b32 v231, v174
	s_wait_dscnt 0xc
	v_dual_mov_b32 v232, v179 :: v_dual_mov_b32 v233, v178
	;; [unrolled: 2-line block ×4, first 2 shown]
	s_wait_loadcnt_dscnt 0xe09
	v_dual_mul_f32 v7, v188, v117 :: v_dual_mul_f32 v9, v190, v119
	v_dual_mul_f32 v43, v189, v117 :: v_dual_mul_f32 v45, v191, v119
	s_wait_loadcnt_dscnt 0xd08
	v_dual_mul_f32 v11, v192, v121 :: v_dual_mul_f32 v13, v194, v123
	s_delay_alu instid0(VALU_DEP_3) | instskip(SKIP_3) | instid1(VALU_DEP_3)
	v_dual_fmac_f32 v7, v189, v116 :: v_dual_fmac_f32 v9, v191, v118
	s_wait_loadcnt_dscnt 0xb06
	v_dual_fma_f32 v43, v188, v116, -v43 :: v_dual_mul_f32 v55, v201, v129
	v_dual_mul_f32 v47, v193, v121 :: v_dual_mul_f32 v49, v195, v123
	v_dual_fma_f32 v45, v190, v118, -v45 :: v_dual_add_f32 v7, 0, v7
	s_delay_alu instid0(VALU_DEP_3) | instskip(SKIP_1) | instid1(VALU_DEP_4)
	v_dual_add_f32 v43, 0, v43 :: v_dual_fmac_f32 v11, v193, v120
	v_dual_mul_f32 v15, v196, v125 :: v_dual_mul_f32 v17, v198, v127
	v_dual_mul_f32 v57, v203, v131 :: v_dual_fma_f32 v47, v192, v120, -v47
	s_delay_alu instid0(VALU_DEP_4) | instskip(NEXT) | instid1(VALU_DEP_3)
	v_add_f32_e32 v7, v7, v9
	v_dual_add_f32 v9, v43, v45 :: v_dual_fmac_f32 v15, v197, v124
	v_dual_mul_f32 v51, v197, v125 :: v_dual_mul_f32 v53, v199, v127
	s_wait_loadcnt_dscnt 0xa05
	v_dual_mul_f32 v43, v205, v133 :: v_dual_fmac_f32 v13, v195, v122
	v_dual_fma_f32 v45, v194, v122, -v49 :: v_dual_add_f32 v7, v7, v11
	s_delay_alu instid0(VALU_DEP_3) | instskip(SKIP_1) | instid1(VALU_DEP_3)
	v_dual_add_f32 v9, v9, v47 :: v_dual_fma_f32 v47, v196, v124, -v51
	v_dual_mul_f32 v19, v200, v129 :: v_dual_mul_f32 v21, v202, v131
	v_add_f32_e32 v7, v7, v13
	s_delay_alu instid0(VALU_DEP_3) | instskip(SKIP_2) | instid1(VALU_DEP_3)
	v_dual_mul_f32 v11, v207, v135 :: v_dual_add_f32 v9, v9, v45
	s_wait_loadcnt_dscnt 0x904
	v_dual_mul_f32 v13, v209, v137 :: v_dual_fmac_f32 v17, v199, v126
	v_dual_fma_f32 v45, v198, v126, -v53 :: v_dual_add_f32 v7, v7, v15
	s_delay_alu instid0(VALU_DEP_3) | instskip(SKIP_1) | instid1(VALU_DEP_3)
	v_dual_add_f32 v9, v9, v47 :: v_dual_fma_f32 v47, v200, v128, -v55
	v_dual_mul_f32 v15, v211, v139 :: v_dual_fmac_f32 v19, v201, v128
	v_add_f32_e32 v7, v7, v17
	s_delay_alu instid0(VALU_DEP_3)
	v_dual_add_f32 v9, v9, v45 :: v_dual_fmac_f32 v21, v203, v130
	v_dual_mul_f32 v23, v204, v133 :: v_dual_mul_f32 v25, v206, v135
	s_wait_loadcnt_dscnt 0x803
	v_dual_fma_f32 v45, v202, v130, -v57 :: v_dual_mul_f32 v17, v213, v141
	v_add_f32_e32 v7, v7, v19
	v_dual_add_f32 v9, v9, v47 :: v_dual_fma_f32 v43, v204, v132, -v43
	v_dual_mul_f32 v19, v215, v143 :: v_dual_fmac_f32 v23, v205, v132
	s_delay_alu instid0(VALU_DEP_3) | instskip(NEXT) | instid1(VALU_DEP_3)
	v_dual_add_f32 v7, v7, v21 :: v_dual_fma_f32 v11, v206, v134, -v11
	v_dual_add_f32 v9, v9, v45 :: v_dual_fmac_f32 v25, v207, v134
	v_dual_mul_f32 v27, v208, v137 :: v_dual_mul_f32 v29, v210, v139
	s_wait_loadcnt_dscnt 0x702
	s_delay_alu instid0(VALU_DEP_3) | instskip(NEXT) | instid1(VALU_DEP_3)
	v_dual_mul_f32 v21, v217, v145 :: v_dual_add_f32 v7, v7, v23
	v_dual_add_f32 v9, v9, v43 :: v_dual_fma_f32 v13, v208, v136, -v13
	s_delay_alu instid0(VALU_DEP_3) | instskip(NEXT) | instid1(VALU_DEP_2)
	v_dual_mul_f32 v23, v219, v147 :: v_dual_fmac_f32 v27, v209, v136
	v_dual_add_f32 v7, v7, v25 :: v_dual_add_f32 v9, v9, v11
	v_dual_mul_f32 v31, v212, v141 :: v_dual_mul_f32 v33, v214, v143
	s_wait_loadcnt_dscnt 0x601
	v_dual_mul_f32 v11, v221, v149 :: v_dual_fmac_f32 v29, v211, v138
	s_delay_alu instid0(VALU_DEP_3) | instskip(SKIP_2) | instid1(VALU_DEP_2)
	v_dual_fma_f32 v15, v210, v138, -v15 :: v_dual_add_f32 v7, v7, v27
	v_dual_add_f32 v9, v9, v13 :: v_dual_mul_f32 v13, v223, v151
	v_dual_fmac_f32 v31, v213, v140 :: v_dual_fma_f32 v17, v212, v140, -v17
	v_dual_add_f32 v7, v7, v29 :: v_dual_add_f32 v9, v9, v15
	v_dual_mul_f32 v35, v216, v145 :: v_dual_mul_f32 v37, v218, v147
	s_wait_loadcnt_dscnt 0x500
	v_dual_mul_f32 v15, v225, v153 :: v_dual_fmac_f32 v33, v215, v142
	s_delay_alu instid0(VALU_DEP_3) | instskip(SKIP_2) | instid1(VALU_DEP_2)
	v_dual_fma_f32 v19, v214, v142, -v19 :: v_dual_add_f32 v7, v7, v31
	v_dual_add_f32 v9, v9, v17 :: v_dual_mul_f32 v17, v227, v155
	v_dual_fmac_f32 v35, v217, v144 :: v_dual_fma_f32 v21, v216, v144, -v21
	v_dual_add_f32 v7, v7, v33 :: v_dual_add_f32 v9, v9, v19
	v_dual_mul_f32 v39, v220, v149 :: v_dual_mul_f32 v41, v222, v151
	v_dual_fmac_f32 v37, v219, v146 :: v_dual_fma_f32 v19, v218, v146, -v23
	s_delay_alu instid0(VALU_DEP_3) | instskip(SKIP_1) | instid1(VALU_DEP_3)
	v_dual_add_f32 v7, v7, v35 :: v_dual_add_f32 v9, v9, v21
	s_wait_loadcnt 0x4
	v_dual_mov_b32 v118, v159 :: v_dual_fmac_f32 v39, v221, v148
	s_delay_alu instid0(VALU_DEP_2) | instskip(NEXT) | instid1(VALU_DEP_3)
	v_dual_fma_f32 v11, v220, v148, -v11 :: v_dual_add_f32 v7, v7, v37
	v_dual_add_f32 v9, v9, v19 :: v_dual_fmac_f32 v41, v223, v150
	v_dual_mul_f32 v239, v224, v153 :: v_dual_mul_f32 v241, v226, v155
	s_delay_alu instid0(VALU_DEP_3) | instskip(SKIP_1) | instid1(VALU_DEP_3)
	v_dual_fma_f32 v13, v222, v150, -v13 :: v_dual_add_f32 v7, v7, v39
	s_wait_loadcnt 0x3
	v_dual_add_f32 v9, v9, v11 :: v_dual_mov_b32 v122, v163
	v_pk_mul_f32 v[116:117], v[172:173], v[156:157] op_sel:[1,1] op_sel_hi:[0,1]
	s_delay_alu instid0(VALU_DEP_3) | instskip(NEXT) | instid1(VALU_DEP_3)
	v_dual_fmac_f32 v239, v225, v152 :: v_dual_add_f32 v125, v7, v41
	v_dual_fma_f32 v238, v224, v152, -v15 :: v_dual_add_f32 v124, v9, v13
	v_fmac_f32_e32 v241, v227, v154
	s_delay_alu instid0(VALU_DEP_4)
	v_pk_fma_f32 v[126:127], v[172:173], v[156:157], v[116:117] op_sel_hi:[1,0,1]
	v_fma_f32 v240, v226, v154, -v17
	v_pk_mul_f32 v[118:119], v[230:231], v[118:119] op_sel_hi:[1,0]
	v_pk_add_f32 v[124:125], v[124:125], v[238:239]
	v_pk_fma_f32 v[116:117], v[172:173], v[156:157], v[116:117] neg_lo:[0,0,1] neg_hi:[0,0,1]
	v_pk_mul_f32 v[120:121], v[176:177], v[160:161] op_sel:[1,1] op_sel_hi:[0,1]
	v_mov_b32_e32 v117, v127
	v_pk_fma_f32 v[126:127], v[174:175], v[158:159], v[118:119] op_sel_hi:[1,0,1]
	v_pk_add_f32 v[124:125], v[124:125], v[240:241]
	v_pk_fma_f32 v[118:119], v[174:175], v[158:159], v[118:119] neg_lo:[0,0,1] neg_hi:[0,0,1]
	v_pk_fma_f32 v[130:131], v[176:177], v[160:161], v[120:121] op_sel_hi:[1,0,1]
	v_pk_mul_f32 v[122:123], v[232:233], v[122:123] op_sel_hi:[1,0]
	v_mov_b32_e32 v119, v127
	v_pk_add_f32 v[116:117], v[124:125], v[116:117]
	s_wait_loadcnt 0x2
	v_pk_mul_f32 v[128:129], v[180:181], v[164:165] op_sel:[1,1] op_sel_hi:[0,1]
	v_mov_b32_e32 v124, v167
	v_pk_fma_f32 v[120:121], v[176:177], v[160:161], v[120:121] neg_lo:[0,0,1] neg_hi:[0,0,1]
	v_pk_fma_f32 v[126:127], v[178:179], v[162:163], v[122:123] op_sel_hi:[1,0,1]
	v_mov_b32_e32 v121, v131
	v_pk_add_f32 v[116:117], v[116:117], v[118:119]
	v_pk_fma_f32 v[118:119], v[180:181], v[164:165], v[128:129] op_sel_hi:[1,0,1]
	v_pk_mul_f32 v[124:125], v[234:235], v[124:125] op_sel_hi:[1,0]
	v_pk_fma_f32 v[122:123], v[178:179], v[162:163], v[122:123] neg_lo:[0,0,1] neg_hi:[0,0,1]
	v_mov_b32_e32 v123, v127
	v_pk_add_f32 v[116:117], v[116:117], v[120:121]
	v_pk_fma_f32 v[126:127], v[180:181], v[164:165], v[128:129] neg_lo:[0,0,1] neg_hi:[0,0,1]
	v_mov_b32_e32 v127, v119
	v_pk_fma_f32 v[118:119], v[182:183], v[166:167], v[124:125] op_sel_hi:[1,0,1]
	s_wait_loadcnt 0x1
	v_pk_mul_f32 v[120:121], v[184:185], v[168:169] op_sel:[1,1] op_sel_hi:[0,1]
	v_pk_add_f32 v[116:117], v[116:117], v[122:123]
	v_mov_b32_e32 v118, v171
	v_pk_fma_f32 v[124:125], v[182:183], v[166:167], v[124:125] neg_lo:[0,0,1] neg_hi:[0,0,1]
	s_delay_alu instid0(VALU_DEP_4)
	v_pk_fma_f32 v[122:123], v[184:185], v[168:169], v[120:121] op_sel_hi:[1,0,1]
	v_mov_b32_e32 v125, v119
	v_pk_add_f32 v[116:117], v[116:117], v[126:127]
	v_pk_mul_f32 v[118:119], v[236:237], v[118:119] op_sel_hi:[1,0]
	v_pk_fma_f32 v[120:121], v[184:185], v[168:169], v[120:121] neg_lo:[0,0,1] neg_hi:[0,0,1]
	v_mov_b32_e32 v121, v123
	s_delay_alu instid0(VALU_DEP_4) | instskip(NEXT) | instid1(VALU_DEP_4)
	v_pk_add_f32 v[116:117], v[116:117], v[124:125]
	v_pk_fma_f32 v[122:123], v[186:187], v[170:171], v[118:119] op_sel_hi:[1,0,1]
	v_pk_fma_f32 v[118:119], v[186:187], v[170:171], v[118:119] neg_lo:[0,0,1] neg_hi:[0,0,1]
	s_delay_alu instid0(VALU_DEP_3) | instskip(NEXT) | instid1(VALU_DEP_3)
	v_pk_add_f32 v[116:117], v[116:117], v[120:121]
	v_mov_b32_e32 v119, v123
	s_delay_alu instid0(VALU_DEP_1) | instskip(SKIP_1) | instid1(VALU_DEP_1)
	v_pk_add_f32 v[116:117], v[116:117], v[118:119]
	s_wait_loadcnt 0x0
	v_pk_add_f32 v[116:117], v[228:229], v[116:117] neg_lo:[0,1] neg_hi:[0,1]
	scratch_store_b64 off, v[116:117], off offset:224
	s_wait_xcnt 0x0
	v_cmpx_lt_u32_e32 27, v0
	s_cbranch_execz .LBB120_301
; %bb.300:
	scratch_load_b64 v[116:117], off, off offset:216
	v_mov_b64_e32 v[118:119], 0
	scratch_store_b64 off, v[118:119], off offset:216
	s_wait_loadcnt 0x0
	ds_store_b64 v1, v[116:117]
.LBB120_301:
	s_wait_xcnt 0x0
	s_or_b32 exec_lo, exec_lo, s0
	s_wait_storecnt_dscnt 0x0
	s_barrier_signal -1
	s_barrier_wait -1
	s_clause 0xf
	scratch_load_b128 v[116:119], off, off offset:224
	scratch_load_b128 v[120:123], off, off offset:240
	;; [unrolled: 1-line block ×14, first 2 shown]
	scratch_load_b64 v[228:229], off, off offset:448
	scratch_load_b64 v[230:231], off, off offset:216
	v_mov_b32_e32 v7, 0
	ds_load_b128 v[172:175], v7 offset:848
	ds_load_b128 v[176:179], v7 offset:864
	;; [unrolled: 1-line block ×14, first 2 shown]
	ds_load_b64 v[232:233], v7 offset:912
	s_mov_b32 s0, exec_lo
	s_wait_dscnt 0xe
	v_dual_mov_b32 v234, v175 :: v_dual_mov_b32 v235, v174
	s_wait_dscnt 0xb
	v_dual_mov_b32 v236, v179 :: v_dual_mov_b32 v241, v186
	v_dual_mov_b32 v237, v178 :: v_dual_mov_b32 v238, v183
	;; [unrolled: 1-line block ×3, first 2 shown]
	s_wait_loadcnt_dscnt 0xf0a
	v_dual_mul_f32 v9, v188, v117 :: v_dual_mul_f32 v47, v189, v117
	v_dual_mul_f32 v49, v191, v119 :: v_dual_mul_f32 v11, v190, v119
	s_wait_loadcnt_dscnt 0xe09
	v_mul_f32_e32 v13, v192, v121
	s_wait_loadcnt_dscnt 0xc07
	v_dual_mul_f32 v59, v201, v129 :: v_dual_fma_f32 v47, v188, v116, -v47
	v_dual_fmac_f32 v9, v189, v116 :: v_dual_mul_f32 v61, v203, v131
	v_dual_mul_f32 v51, v193, v121 :: v_dual_mul_f32 v53, v195, v123
	v_dual_fmac_f32 v11, v191, v118 :: v_dual_fma_f32 v49, v190, v118, -v49
	s_delay_alu instid0(VALU_DEP_3) | instskip(SKIP_4) | instid1(VALU_DEP_3)
	v_dual_add_f32 v9, 0, v9 :: v_dual_add_f32 v47, 0, v47
	v_dual_mul_f32 v15, v194, v123 :: v_dual_mul_f32 v17, v196, v125
	s_wait_loadcnt_dscnt 0xb06
	v_dual_mul_f32 v63, v205, v133 :: v_dual_fma_f32 v51, v192, v120, -v51
	v_fmac_f32_e32 v13, v193, v120
	v_dual_add_f32 v9, v9, v11 :: v_dual_fmac_f32 v15, v195, v122
	v_add_f32_e32 v11, v47, v49
	v_dual_mul_f32 v55, v197, v125 :: v_dual_mul_f32 v57, v199, v127
	v_dual_mul_f32 v47, v207, v135 :: v_dual_fma_f32 v49, v194, v122, -v53
	s_delay_alu instid0(VALU_DEP_3) | instskip(SKIP_3) | instid1(VALU_DEP_3)
	v_dual_add_f32 v9, v9, v13 :: v_dual_add_f32 v11, v11, v51
	v_dual_mul_f32 v19, v198, v127 :: v_dual_mul_f32 v21, v200, v129
	s_wait_loadcnt_dscnt 0xa05
	v_dual_mul_f32 v13, v209, v137 :: v_dual_fma_f32 v51, v196, v124, -v55
	v_dual_fmac_f32 v17, v197, v124 :: v_dual_add_f32 v11, v11, v49
	s_delay_alu instid0(VALU_DEP_3) | instskip(SKIP_1) | instid1(VALU_DEP_2)
	v_dual_add_f32 v9, v9, v15 :: v_dual_fmac_f32 v19, v199, v126
	v_dual_mul_f32 v15, v211, v139 :: v_dual_fma_f32 v49, v198, v126, -v57
	v_dual_add_f32 v11, v11, v51 :: v_dual_add_f32 v9, v9, v17
	v_dual_mul_f32 v23, v202, v131 :: v_dual_mul_f32 v25, v204, v133
	s_wait_loadcnt_dscnt 0x904
	v_dual_mul_f32 v17, v213, v141 :: v_dual_fma_f32 v51, v200, v128, -v59
	s_delay_alu instid0(VALU_DEP_3) | instskip(NEXT) | instid1(VALU_DEP_3)
	v_dual_fmac_f32 v21, v201, v128 :: v_dual_add_f32 v11, v11, v49
	v_dual_add_f32 v9, v9, v19 :: v_dual_fmac_f32 v23, v203, v130
	v_dual_mul_f32 v19, v215, v143 :: v_dual_fma_f32 v49, v202, v130, -v61
	s_delay_alu instid0(VALU_DEP_2) | instskip(SKIP_3) | instid1(VALU_DEP_3)
	v_dual_add_f32 v11, v11, v51 :: v_dual_add_f32 v9, v9, v21
	v_dual_mul_f32 v27, v206, v135 :: v_dual_mul_f32 v29, v208, v137
	s_wait_loadcnt_dscnt 0x803
	v_dual_mul_f32 v21, v217, v145 :: v_dual_fma_f32 v51, v204, v132, -v63
	v_dual_fmac_f32 v25, v205, v132 :: v_dual_add_f32 v11, v11, v49
	s_delay_alu instid0(VALU_DEP_3) | instskip(SKIP_1) | instid1(VALU_DEP_2)
	v_dual_add_f32 v9, v9, v23 :: v_dual_fmac_f32 v27, v207, v134
	v_dual_mul_f32 v23, v219, v147 :: v_dual_fma_f32 v47, v206, v134, -v47
	v_dual_add_f32 v11, v11, v51 :: v_dual_add_f32 v9, v9, v25
	v_dual_mul_f32 v31, v210, v139 :: v_dual_mul_f32 v33, v212, v141
	s_wait_loadcnt_dscnt 0x702
	v_dual_mul_f32 v25, v221, v149 :: v_dual_fma_f32 v13, v208, v136, -v13
	s_delay_alu instid0(VALU_DEP_3) | instskip(NEXT) | instid1(VALU_DEP_3)
	v_dual_fmac_f32 v29, v209, v136 :: v_dual_add_f32 v11, v11, v47
	v_dual_add_f32 v9, v9, v27 :: v_dual_fmac_f32 v31, v211, v138
	v_dual_mul_f32 v27, v223, v151 :: v_dual_fma_f32 v15, v210, v138, -v15
	s_delay_alu instid0(VALU_DEP_3) | instskip(NEXT) | instid1(VALU_DEP_3)
	v_dual_add_f32 v11, v11, v13 :: v_dual_fmac_f32 v33, v213, v140
	v_dual_add_f32 v9, v9, v29 :: v_dual_fma_f32 v17, v212, v140, -v17
	v_dual_mul_f32 v35, v214, v143 :: v_dual_mul_f32 v37, v216, v145
	s_wait_loadcnt_dscnt 0x601
	s_delay_alu instid0(VALU_DEP_3) | instskip(NEXT) | instid1(VALU_DEP_2)
	v_dual_mul_f32 v13, v225, v153 :: v_dual_add_f32 v11, v11, v15
	v_dual_add_f32 v9, v9, v31 :: v_dual_fmac_f32 v35, v215, v142
	v_dual_mul_f32 v15, v227, v155 :: v_dual_fma_f32 v19, v214, v142, -v19
	s_delay_alu instid0(VALU_DEP_3) | instskip(NEXT) | instid1(VALU_DEP_3)
	v_dual_add_f32 v11, v11, v17 :: v_dual_fmac_f32 v37, v217, v144
	v_dual_add_f32 v9, v9, v33 :: v_dual_fma_f32 v21, v216, v144, -v21
	v_dual_mul_f32 v39, v218, v147 :: v_dual_mul_f32 v41, v220, v149
	s_wait_loadcnt 0x5
	s_delay_alu instid0(VALU_DEP_3) | instskip(NEXT) | instid1(VALU_DEP_3)
	v_dual_mul_f32 v17, v173, v157 :: v_dual_add_f32 v11, v11, v19
	v_dual_add_f32 v9, v9, v35 :: v_dual_mov_b32 v116, v159
	s_delay_alu instid0(VALU_DEP_3) | instskip(NEXT) | instid1(VALU_DEP_3)
	v_fmac_f32_e32 v39, v219, v146
	v_dual_fma_f32 v19, v218, v146, -v23 :: v_dual_add_f32 v11, v11, v21
	s_delay_alu instid0(VALU_DEP_3) | instskip(SKIP_1) | instid1(VALU_DEP_3)
	v_dual_add_f32 v9, v9, v37 :: v_dual_mul_f32 v43, v222, v151
	v_dual_mul_f32 v45, v224, v153 :: v_dual_fmac_f32 v41, v221, v148
	v_dual_add_f32 v11, v11, v19 :: v_dual_fma_f32 v21, v220, v148, -v25
	s_wait_loadcnt 0x4
	s_delay_alu instid0(VALU_DEP_3) | instskip(SKIP_3) | instid1(VALU_DEP_4)
	v_dual_add_f32 v9, v9, v39 :: v_dual_mov_b32 v120, v163
	v_fma_f32 v19, v222, v150, -v27
	v_fmac_f32_e32 v43, v223, v150
	v_dual_add_f32 v11, v11, v21 :: v_dual_fmac_f32 v45, v225, v152
	v_dual_add_f32 v9, v9, v41 :: v_dual_mul_f32 v243, v226, v155
	v_mul_f32_e32 v245, v172, v157
	s_delay_alu instid0(VALU_DEP_3) | instskip(NEXT) | instid1(VALU_DEP_3)
	v_dual_fma_f32 v13, v224, v152, -v13 :: v_dual_add_f32 v11, v11, v19
	v_dual_fma_f32 v242, v226, v154, -v15 :: v_dual_add_f32 v9, v9, v43
	s_delay_alu instid0(VALU_DEP_4) | instskip(SKIP_1) | instid1(VALU_DEP_4)
	v_fmac_f32_e32 v243, v227, v154
	v_pk_mul_f32 v[116:117], v[234:235], v[116:117] op_sel_hi:[1,0]
	v_dual_add_f32 v124, v11, v13 :: v_dual_fmac_f32 v245, v173, v156
	s_delay_alu instid0(VALU_DEP_4)
	v_add_f32_e32 v125, v9, v45
	v_pk_mul_f32 v[118:119], v[176:177], v[160:161] op_sel:[1,1] op_sel_hi:[0,1]
	s_wait_loadcnt 0x3
	v_dual_mov_b32 v126, v167 :: v_dual_fma_f32 v244, v172, v156, -v17
	v_pk_fma_f32 v[128:129], v[174:175], v[158:159], v[116:117] op_sel_hi:[1,0,1]
	v_pk_add_f32 v[124:125], v[124:125], v[242:243]
	v_pk_fma_f32 v[116:117], v[174:175], v[158:159], v[116:117] neg_lo:[0,0,1] neg_hi:[0,0,1]
	v_pk_fma_f32 v[130:131], v[176:177], v[160:161], v[118:119] op_sel_hi:[1,0,1]
	v_pk_mul_f32 v[120:121], v[236:237], v[120:121] op_sel_hi:[1,0]
	v_mov_b32_e32 v117, v129
	v_pk_add_f32 v[124:125], v[124:125], v[244:245]
	v_pk_fma_f32 v[118:119], v[176:177], v[160:161], v[118:119] neg_lo:[0,0,1] neg_hi:[0,0,1]
	v_pk_mul_f32 v[122:123], v[180:181], v[164:165] op_sel:[1,1] op_sel_hi:[0,1]
	v_mov_b32_e32 v119, v131
	v_pk_fma_f32 v[130:131], v[178:179], v[162:163], v[120:121] op_sel_hi:[1,0,1]
	v_pk_add_f32 v[116:117], v[124:125], v[116:117]
	v_pk_fma_f32 v[120:121], v[178:179], v[162:163], v[120:121] neg_lo:[0,0,1] neg_hi:[0,0,1]
	v_pk_fma_f32 v[124:125], v[180:181], v[164:165], v[122:123] op_sel_hi:[1,0,1]
	v_pk_mul_f32 v[126:127], v[238:239], v[126:127] op_sel_hi:[1,0]
	v_mov_b32_e32 v121, v131
	v_pk_add_f32 v[116:117], v[116:117], v[118:119]
	v_pk_fma_f32 v[122:123], v[180:181], v[164:165], v[122:123] neg_lo:[0,0,1] neg_hi:[0,0,1]
	s_wait_loadcnt 0x2
	v_pk_mul_f32 v[128:129], v[184:185], v[168:169] op_sel:[1,1] op_sel_hi:[0,1]
	v_dual_mov_b32 v118, v171 :: v_dual_mov_b32 v123, v125
	v_pk_fma_f32 v[124:125], v[182:183], v[166:167], v[126:127] op_sel_hi:[1,0,1]
	v_pk_add_f32 v[116:117], v[116:117], v[120:121]
	v_pk_fma_f32 v[126:127], v[182:183], v[166:167], v[126:127] neg_lo:[0,0,1] neg_hi:[0,0,1]
	v_pk_fma_f32 v[120:121], v[184:185], v[168:169], v[128:129] op_sel_hi:[1,0,1]
	v_pk_mul_f32 v[118:119], v[240:241], v[118:119] op_sel_hi:[1,0]
	v_mov_b32_e32 v127, v125
	v_pk_add_f32 v[116:117], v[116:117], v[122:123]
	v_pk_fma_f32 v[122:123], v[184:185], v[168:169], v[128:129] neg_lo:[0,0,1] neg_hi:[0,0,1]
	v_mov_b32_e32 v123, v121
	v_pk_fma_f32 v[120:121], v[186:187], v[170:171], v[118:119] op_sel_hi:[1,0,1]
	s_wait_loadcnt_dscnt 0x100
	v_pk_mul_f32 v[124:125], v[232:233], v[228:229] op_sel:[1,1] op_sel_hi:[0,1]
	v_pk_add_f32 v[116:117], v[116:117], v[126:127]
	v_pk_fma_f32 v[118:119], v[186:187], v[170:171], v[118:119] neg_lo:[0,0,1] neg_hi:[0,0,1]
	v_mov_b32_e32 v119, v121
	s_delay_alu instid0(VALU_DEP_4) | instskip(NEXT) | instid1(VALU_DEP_4)
	v_pk_fma_f32 v[120:121], v[232:233], v[228:229], v[124:125] op_sel_hi:[1,0,1]
	v_pk_add_f32 v[116:117], v[116:117], v[122:123]
	v_pk_fma_f32 v[122:123], v[232:233], v[228:229], v[124:125] neg_lo:[0,0,1] neg_hi:[0,0,1]
	s_delay_alu instid0(VALU_DEP_3) | instskip(NEXT) | instid1(VALU_DEP_3)
	v_mov_b32_e32 v123, v121
	v_pk_add_f32 v[116:117], v[116:117], v[118:119]
	s_delay_alu instid0(VALU_DEP_1) | instskip(SKIP_1) | instid1(VALU_DEP_1)
	v_pk_add_f32 v[116:117], v[116:117], v[122:123]
	s_wait_loadcnt 0x0
	v_pk_add_f32 v[116:117], v[230:231], v[116:117] neg_lo:[0,1] neg_hi:[0,1]
	scratch_store_b64 off, v[116:117], off offset:216
	s_wait_xcnt 0x0
	v_cmpx_lt_u32_e32 26, v0
	s_cbranch_execz .LBB120_303
; %bb.302:
	scratch_load_b64 v[116:117], off, off offset:208
	v_mov_b64_e32 v[118:119], 0
	scratch_store_b64 off, v[118:119], off offset:208
	s_wait_loadcnt 0x0
	ds_store_b64 v1, v[116:117]
.LBB120_303:
	s_wait_xcnt 0x0
	s_or_b32 exec_lo, exec_lo, s0
	s_wait_storecnt_dscnt 0x0
	s_barrier_signal -1
	s_barrier_wait -1
	s_clause 0xf
	scratch_load_b128 v[116:119], off, off offset:216
	scratch_load_b128 v[120:123], off, off offset:232
	;; [unrolled: 1-line block ×15, first 2 shown]
	scratch_load_b64 v[236:237], off, off offset:208
	ds_load_2addr_b64 v[176:179], v7 offset0:107 offset1:108
	ds_load_2addr_b64 v[180:183], v7 offset0:109 offset1:110
	;; [unrolled: 1-line block ×15, first 2 shown]
	s_mov_b32 s0, exec_lo
	s_wait_dscnt 0xe
	v_dual_mov_b32 v238, v179 :: v_dual_mov_b32 v239, v178
	s_wait_dscnt 0xd
	v_dual_mov_b32 v240, v183 :: v_dual_mov_b32 v241, v182
	;; [unrolled: 2-line block ×4, first 2 shown]
	s_wait_loadcnt_dscnt 0xf0a
	v_dual_mul_f32 v7, v192, v117 :: v_dual_mul_f32 v9, v194, v119
	v_dual_mul_f32 v47, v193, v117 :: v_dual_mul_f32 v49, v195, v119
	s_wait_loadcnt_dscnt 0xe09
	v_dual_mul_f32 v11, v196, v121 :: v_dual_mul_f32 v13, v198, v123
	s_delay_alu instid0(VALU_DEP_3) | instskip(SKIP_3) | instid1(VALU_DEP_3)
	v_dual_fmac_f32 v7, v193, v116 :: v_dual_fmac_f32 v9, v195, v118
	s_wait_loadcnt_dscnt 0xc06
	v_dual_fma_f32 v47, v192, v116, -v47 :: v_dual_mul_f32 v59, v209, v129
	v_dual_mul_f32 v51, v197, v121 :: v_dual_mul_f32 v53, v199, v123
	v_dual_fma_f32 v49, v194, v118, -v49 :: v_dual_add_f32 v7, 0, v7
	s_delay_alu instid0(VALU_DEP_3) | instskip(SKIP_1) | instid1(VALU_DEP_4)
	v_dual_add_f32 v47, 0, v47 :: v_dual_fmac_f32 v11, v197, v120
	v_dual_mul_f32 v15, v204, v125 :: v_dual_mul_f32 v17, v206, v127
	v_dual_mul_f32 v61, v211, v131 :: v_dual_fma_f32 v51, v196, v120, -v51
	s_delay_alu instid0(VALU_DEP_4) | instskip(NEXT) | instid1(VALU_DEP_3)
	v_add_f32_e32 v7, v7, v9
	v_dual_add_f32 v9, v47, v49 :: v_dual_fmac_f32 v15, v205, v124
	v_dual_mul_f32 v55, v205, v125 :: v_dual_mul_f32 v57, v207, v127
	s_wait_loadcnt_dscnt 0xb05
	v_dual_mul_f32 v47, v213, v133 :: v_dual_fmac_f32 v13, v199, v122
	v_dual_fma_f32 v49, v198, v122, -v53 :: v_dual_add_f32 v7, v7, v11
	s_delay_alu instid0(VALU_DEP_3) | instskip(SKIP_1) | instid1(VALU_DEP_3)
	v_dual_add_f32 v9, v9, v51 :: v_dual_fma_f32 v51, v204, v124, -v55
	v_dual_mul_f32 v19, v208, v129 :: v_dual_mul_f32 v21, v210, v131
	v_add_f32_e32 v7, v7, v13
	s_delay_alu instid0(VALU_DEP_3) | instskip(SKIP_2) | instid1(VALU_DEP_3)
	v_dual_mul_f32 v11, v215, v135 :: v_dual_add_f32 v9, v9, v49
	s_wait_loadcnt_dscnt 0xa04
	v_dual_mul_f32 v13, v217, v137 :: v_dual_fmac_f32 v17, v207, v126
	v_dual_fma_f32 v49, v206, v126, -v57 :: v_dual_add_f32 v7, v7, v15
	s_delay_alu instid0(VALU_DEP_3) | instskip(SKIP_1) | instid1(VALU_DEP_3)
	v_dual_add_f32 v9, v9, v51 :: v_dual_fma_f32 v51, v208, v128, -v59
	v_dual_mul_f32 v15, v219, v139 :: v_dual_fmac_f32 v19, v209, v128
	v_add_f32_e32 v7, v7, v17
	s_delay_alu instid0(VALU_DEP_3)
	v_dual_add_f32 v9, v9, v49 :: v_dual_fmac_f32 v21, v211, v130
	v_dual_mul_f32 v23, v212, v133 :: v_dual_mul_f32 v25, v214, v135
	s_wait_loadcnt_dscnt 0x903
	v_dual_fma_f32 v49, v210, v130, -v61 :: v_dual_mul_f32 v17, v221, v141
	v_add_f32_e32 v7, v7, v19
	v_dual_add_f32 v9, v9, v51 :: v_dual_fma_f32 v47, v212, v132, -v47
	v_dual_mul_f32 v19, v223, v143 :: v_dual_fmac_f32 v23, v213, v132
	s_delay_alu instid0(VALU_DEP_3) | instskip(NEXT) | instid1(VALU_DEP_3)
	v_dual_add_f32 v7, v7, v21 :: v_dual_fma_f32 v11, v214, v134, -v11
	v_dual_add_f32 v9, v9, v49 :: v_dual_fmac_f32 v25, v215, v134
	v_dual_mul_f32 v27, v216, v137 :: v_dual_mul_f32 v29, v218, v139
	s_wait_loadcnt_dscnt 0x802
	s_delay_alu instid0(VALU_DEP_3) | instskip(NEXT) | instid1(VALU_DEP_3)
	v_dual_mul_f32 v21, v225, v145 :: v_dual_add_f32 v7, v7, v23
	v_dual_add_f32 v9, v9, v47 :: v_dual_fma_f32 v13, v216, v136, -v13
	s_delay_alu instid0(VALU_DEP_3) | instskip(NEXT) | instid1(VALU_DEP_2)
	v_dual_mul_f32 v23, v227, v147 :: v_dual_fmac_f32 v27, v217, v136
	v_dual_add_f32 v7, v7, v25 :: v_dual_add_f32 v9, v9, v11
	v_dual_mul_f32 v31, v220, v141 :: v_dual_mul_f32 v33, v222, v143
	s_wait_loadcnt_dscnt 0x701
	v_dual_mul_f32 v11, v229, v149 :: v_dual_fmac_f32 v29, v219, v138
	s_delay_alu instid0(VALU_DEP_3) | instskip(SKIP_2) | instid1(VALU_DEP_2)
	v_dual_fma_f32 v15, v218, v138, -v15 :: v_dual_add_f32 v7, v7, v27
	v_dual_add_f32 v9, v9, v13 :: v_dual_mul_f32 v13, v231, v151
	v_dual_fmac_f32 v31, v221, v140 :: v_dual_fma_f32 v17, v220, v140, -v17
	v_dual_add_f32 v7, v7, v29 :: v_dual_add_f32 v9, v9, v15
	v_dual_mul_f32 v35, v224, v145 :: v_dual_mul_f32 v37, v226, v147
	s_wait_loadcnt_dscnt 0x600
	v_dual_mul_f32 v15, v233, v153 :: v_dual_fmac_f32 v33, v223, v142
	s_delay_alu instid0(VALU_DEP_3) | instskip(SKIP_2) | instid1(VALU_DEP_2)
	v_dual_fma_f32 v19, v222, v142, -v19 :: v_dual_add_f32 v7, v7, v31
	v_dual_add_f32 v9, v9, v17 :: v_dual_mul_f32 v17, v235, v155
	v_dual_fmac_f32 v35, v225, v144 :: v_dual_fma_f32 v21, v224, v144, -v21
	v_dual_add_f32 v7, v7, v33 :: v_dual_add_f32 v9, v9, v19
	v_dual_mul_f32 v39, v228, v149 :: v_dual_mul_f32 v41, v230, v151
	s_wait_loadcnt 0x5
	v_dual_mul_f32 v19, v201, v157 :: v_dual_fmac_f32 v37, v227, v146
	s_delay_alu instid0(VALU_DEP_3) | instskip(SKIP_2) | instid1(VALU_DEP_3)
	v_dual_fma_f32 v23, v226, v146, -v23 :: v_dual_add_f32 v7, v7, v35
	v_dual_add_f32 v9, v9, v21 :: v_dual_mul_f32 v21, v203, v159
	v_fmac_f32_e32 v39, v229, v148
	v_dual_fma_f32 v11, v228, v148, -v11 :: v_dual_add_f32 v7, v7, v37
	s_delay_alu instid0(VALU_DEP_3) | instskip(SKIP_1) | instid1(VALU_DEP_3)
	v_dual_add_f32 v9, v9, v23 :: v_dual_mul_f32 v43, v232, v153
	v_dual_mul_f32 v45, v234, v155 :: v_dual_fmac_f32 v41, v231, v150
	v_dual_fma_f32 v13, v230, v150, -v13 :: v_dual_add_f32 v7, v7, v39
	s_wait_loadcnt 0x4
	s_delay_alu instid0(VALU_DEP_3) | instskip(SKIP_1) | instid1(VALU_DEP_3)
	v_dual_add_f32 v9, v9, v11 :: v_dual_mov_b32 v118, v163
	v_fmac_f32_e32 v43, v233, v152
	v_dual_fma_f32 v11, v232, v152, -v15 :: v_dual_add_f32 v7, v7, v41
	s_delay_alu instid0(VALU_DEP_3) | instskip(SKIP_1) | instid1(VALU_DEP_3)
	v_dual_add_f32 v9, v9, v13 :: v_dual_fmac_f32 v45, v235, v154
	v_dual_mul_f32 v247, v200, v157 :: v_dual_mul_f32 v249, v202, v159
	v_dual_fma_f32 v13, v234, v154, -v17 :: v_dual_add_f32 v7, v7, v43
	s_wait_loadcnt 0x3
	s_delay_alu instid0(VALU_DEP_3) | instskip(SKIP_1) | instid1(VALU_DEP_3)
	v_dual_add_f32 v9, v9, v11 :: v_dual_mov_b32 v122, v167
	v_pk_mul_f32 v[116:117], v[176:177], v[160:161] op_sel:[1,1] op_sel_hi:[0,1]
	v_dual_fmac_f32 v247, v201, v156 :: v_dual_add_f32 v125, v7, v45
	s_delay_alu instid0(VALU_DEP_3) | instskip(SKIP_1) | instid1(VALU_DEP_4)
	v_dual_fma_f32 v246, v200, v156, -v19 :: v_dual_add_f32 v124, v9, v13
	v_fmac_f32_e32 v249, v203, v158
	v_pk_fma_f32 v[126:127], v[176:177], v[160:161], v[116:117] op_sel_hi:[1,0,1]
	v_fma_f32 v248, v202, v158, -v21
	v_pk_mul_f32 v[118:119], v[238:239], v[118:119] op_sel_hi:[1,0]
	v_pk_add_f32 v[124:125], v[124:125], v[246:247]
	v_pk_fma_f32 v[116:117], v[176:177], v[160:161], v[116:117] neg_lo:[0,0,1] neg_hi:[0,0,1]
	v_pk_mul_f32 v[120:121], v[180:181], v[164:165] op_sel:[1,1] op_sel_hi:[0,1]
	v_mov_b32_e32 v117, v127
	v_pk_fma_f32 v[126:127], v[178:179], v[162:163], v[118:119] op_sel_hi:[1,0,1]
	v_pk_add_f32 v[124:125], v[124:125], v[248:249]
	v_pk_fma_f32 v[118:119], v[178:179], v[162:163], v[118:119] neg_lo:[0,0,1] neg_hi:[0,0,1]
	v_pk_fma_f32 v[130:131], v[180:181], v[164:165], v[120:121] op_sel_hi:[1,0,1]
	v_pk_mul_f32 v[122:123], v[240:241], v[122:123] op_sel_hi:[1,0]
	v_mov_b32_e32 v119, v127
	v_pk_add_f32 v[116:117], v[124:125], v[116:117]
	s_wait_loadcnt 0x2
	v_pk_mul_f32 v[128:129], v[184:185], v[168:169] op_sel:[1,1] op_sel_hi:[0,1]
	v_mov_b32_e32 v124, v171
	v_pk_fma_f32 v[120:121], v[180:181], v[164:165], v[120:121] neg_lo:[0,0,1] neg_hi:[0,0,1]
	v_pk_fma_f32 v[126:127], v[182:183], v[166:167], v[122:123] op_sel_hi:[1,0,1]
	v_mov_b32_e32 v121, v131
	v_pk_add_f32 v[116:117], v[116:117], v[118:119]
	v_pk_fma_f32 v[118:119], v[184:185], v[168:169], v[128:129] op_sel_hi:[1,0,1]
	v_pk_mul_f32 v[124:125], v[242:243], v[124:125] op_sel_hi:[1,0]
	v_pk_fma_f32 v[122:123], v[182:183], v[166:167], v[122:123] neg_lo:[0,0,1] neg_hi:[0,0,1]
	v_mov_b32_e32 v123, v127
	v_pk_add_f32 v[116:117], v[116:117], v[120:121]
	v_pk_fma_f32 v[126:127], v[184:185], v[168:169], v[128:129] neg_lo:[0,0,1] neg_hi:[0,0,1]
	v_mov_b32_e32 v127, v119
	v_pk_fma_f32 v[118:119], v[186:187], v[170:171], v[124:125] op_sel_hi:[1,0,1]
	s_wait_loadcnt 0x1
	v_pk_mul_f32 v[120:121], v[188:189], v[172:173] op_sel:[1,1] op_sel_hi:[0,1]
	v_pk_add_f32 v[116:117], v[116:117], v[122:123]
	v_mov_b32_e32 v118, v175
	v_pk_fma_f32 v[124:125], v[186:187], v[170:171], v[124:125] neg_lo:[0,0,1] neg_hi:[0,0,1]
	s_delay_alu instid0(VALU_DEP_4)
	v_pk_fma_f32 v[122:123], v[188:189], v[172:173], v[120:121] op_sel_hi:[1,0,1]
	v_mov_b32_e32 v125, v119
	v_pk_add_f32 v[116:117], v[116:117], v[126:127]
	v_pk_mul_f32 v[118:119], v[244:245], v[118:119] op_sel_hi:[1,0]
	v_pk_fma_f32 v[120:121], v[188:189], v[172:173], v[120:121] neg_lo:[0,0,1] neg_hi:[0,0,1]
	v_mov_b32_e32 v121, v123
	s_delay_alu instid0(VALU_DEP_4) | instskip(NEXT) | instid1(VALU_DEP_4)
	v_pk_add_f32 v[116:117], v[116:117], v[124:125]
	v_pk_fma_f32 v[122:123], v[190:191], v[174:175], v[118:119] op_sel_hi:[1,0,1]
	v_pk_fma_f32 v[118:119], v[190:191], v[174:175], v[118:119] neg_lo:[0,0,1] neg_hi:[0,0,1]
	s_delay_alu instid0(VALU_DEP_3) | instskip(NEXT) | instid1(VALU_DEP_3)
	v_pk_add_f32 v[116:117], v[116:117], v[120:121]
	v_mov_b32_e32 v119, v123
	s_delay_alu instid0(VALU_DEP_1) | instskip(SKIP_1) | instid1(VALU_DEP_1)
	v_pk_add_f32 v[116:117], v[116:117], v[118:119]
	s_wait_loadcnt 0x0
	v_pk_add_f32 v[116:117], v[236:237], v[116:117] neg_lo:[0,1] neg_hi:[0,1]
	scratch_store_b64 off, v[116:117], off offset:208
	s_wait_xcnt 0x0
	v_cmpx_lt_u32_e32 25, v0
	s_cbranch_execz .LBB120_305
; %bb.304:
	scratch_load_b64 v[116:117], off, off offset:200
	v_mov_b64_e32 v[118:119], 0
	scratch_store_b64 off, v[118:119], off offset:200
	s_wait_loadcnt 0x0
	ds_store_b64 v1, v[116:117]
.LBB120_305:
	s_wait_xcnt 0x0
	s_or_b32 exec_lo, exec_lo, s0
	s_wait_storecnt_dscnt 0x0
	s_barrier_signal -1
	s_barrier_wait -1
	s_clause 0x10
	scratch_load_b128 v[116:119], off, off offset:208
	scratch_load_b128 v[120:123], off, off offset:224
	;; [unrolled: 1-line block ×15, first 2 shown]
	scratch_load_b64 v[236:237], off, off offset:448
	scratch_load_b64 v[238:239], off, off offset:200
	v_mov_b32_e32 v7, 0
	ds_load_b128 v[176:179], v7 offset:848
	ds_load_b128 v[180:183], v7 offset:864
	;; [unrolled: 1-line block ×15, first 2 shown]
	ds_load_b64 v[240:241], v7 offset:912
	s_mov_b32 s0, exec_lo
	s_wait_dscnt 0xf
	v_dual_mov_b32 v242, v179 :: v_dual_mov_b32 v243, v178
	s_wait_dscnt 0xc
	v_dual_mov_b32 v244, v183 :: v_dual_mov_b32 v249, v190
	v_dual_mov_b32 v245, v182 :: v_dual_mov_b32 v246, v187
	;; [unrolled: 1-line block ×3, first 2 shown]
	s_wait_loadcnt_dscnt 0x100b
	v_dual_mul_f32 v9, v192, v117 :: v_dual_mul_f32 v51, v193, v117
	v_dual_mul_f32 v53, v195, v119 :: v_dual_mul_f32 v11, v194, v119
	s_wait_loadcnt_dscnt 0xf09
	v_mul_f32_e32 v13, v200, v121
	s_wait_loadcnt_dscnt 0xd07
	v_dual_mul_f32 v63, v209, v129 :: v_dual_fma_f32 v51, v192, v116, -v51
	v_dual_fmac_f32 v9, v193, v116 :: v_dual_mul_f32 v65, v211, v131
	v_dual_mul_f32 v55, v201, v121 :: v_dual_mul_f32 v57, v203, v123
	v_dual_fmac_f32 v11, v195, v118 :: v_dual_fma_f32 v53, v194, v118, -v53
	s_delay_alu instid0(VALU_DEP_3) | instskip(SKIP_4) | instid1(VALU_DEP_3)
	v_dual_add_f32 v9, 0, v9 :: v_dual_add_f32 v51, 0, v51
	v_dual_mul_f32 v15, v202, v123 :: v_dual_mul_f32 v17, v204, v125
	s_wait_loadcnt_dscnt 0xc06
	v_dual_mul_f32 v67, v213, v133 :: v_dual_fma_f32 v55, v200, v120, -v55
	v_fmac_f32_e32 v13, v201, v120
	v_dual_add_f32 v9, v9, v11 :: v_dual_fmac_f32 v15, v203, v122
	v_add_f32_e32 v11, v51, v53
	v_dual_mul_f32 v59, v205, v125 :: v_dual_mul_f32 v61, v207, v127
	v_dual_mul_f32 v51, v215, v135 :: v_dual_fma_f32 v53, v202, v122, -v57
	s_delay_alu instid0(VALU_DEP_3) | instskip(SKIP_3) | instid1(VALU_DEP_3)
	v_dual_add_f32 v9, v9, v13 :: v_dual_add_f32 v11, v11, v55
	v_dual_mul_f32 v19, v206, v127 :: v_dual_mul_f32 v21, v208, v129
	s_wait_loadcnt_dscnt 0xb05
	v_dual_mul_f32 v13, v217, v137 :: v_dual_fma_f32 v55, v204, v124, -v59
	v_dual_fmac_f32 v17, v205, v124 :: v_dual_add_f32 v11, v11, v53
	s_delay_alu instid0(VALU_DEP_3) | instskip(SKIP_1) | instid1(VALU_DEP_2)
	v_dual_add_f32 v9, v9, v15 :: v_dual_fmac_f32 v19, v207, v126
	v_dual_mul_f32 v15, v219, v139 :: v_dual_fma_f32 v53, v206, v126, -v61
	v_dual_add_f32 v11, v11, v55 :: v_dual_add_f32 v9, v9, v17
	v_dual_mul_f32 v23, v210, v131 :: v_dual_mul_f32 v25, v212, v133
	s_wait_loadcnt_dscnt 0xa04
	v_dual_mul_f32 v17, v221, v141 :: v_dual_fma_f32 v55, v208, v128, -v63
	s_delay_alu instid0(VALU_DEP_3) | instskip(NEXT) | instid1(VALU_DEP_3)
	v_dual_fmac_f32 v21, v209, v128 :: v_dual_add_f32 v11, v11, v53
	v_dual_add_f32 v9, v9, v19 :: v_dual_fmac_f32 v23, v211, v130
	v_dual_mul_f32 v19, v223, v143 :: v_dual_fma_f32 v53, v210, v130, -v65
	s_delay_alu instid0(VALU_DEP_2) | instskip(SKIP_3) | instid1(VALU_DEP_3)
	v_dual_add_f32 v11, v11, v55 :: v_dual_add_f32 v9, v9, v21
	v_dual_mul_f32 v27, v214, v135 :: v_dual_mul_f32 v29, v216, v137
	s_wait_loadcnt_dscnt 0x903
	v_dual_mul_f32 v21, v225, v145 :: v_dual_fma_f32 v55, v212, v132, -v67
	v_dual_fmac_f32 v25, v213, v132 :: v_dual_add_f32 v11, v11, v53
	s_delay_alu instid0(VALU_DEP_3) | instskip(SKIP_1) | instid1(VALU_DEP_2)
	v_dual_add_f32 v9, v9, v23 :: v_dual_fmac_f32 v27, v215, v134
	v_dual_mul_f32 v23, v227, v147 :: v_dual_fma_f32 v51, v214, v134, -v51
	v_dual_add_f32 v11, v11, v55 :: v_dual_add_f32 v9, v9, v25
	v_dual_mul_f32 v31, v218, v139 :: v_dual_mul_f32 v33, v220, v141
	s_wait_loadcnt_dscnt 0x802
	v_dual_mul_f32 v25, v229, v149 :: v_dual_fma_f32 v13, v216, v136, -v13
	s_delay_alu instid0(VALU_DEP_3) | instskip(NEXT) | instid1(VALU_DEP_3)
	v_dual_fmac_f32 v29, v217, v136 :: v_dual_add_f32 v11, v11, v51
	v_dual_add_f32 v9, v9, v27 :: v_dual_fmac_f32 v31, v219, v138
	v_dual_mul_f32 v27, v231, v151 :: v_dual_fma_f32 v15, v218, v138, -v15
	s_delay_alu instid0(VALU_DEP_3) | instskip(NEXT) | instid1(VALU_DEP_3)
	v_dual_add_f32 v11, v11, v13 :: v_dual_fmac_f32 v33, v221, v140
	v_dual_add_f32 v9, v9, v29 :: v_dual_fma_f32 v17, v220, v140, -v17
	v_dual_mul_f32 v35, v222, v143 :: v_dual_mul_f32 v37, v224, v145
	s_wait_loadcnt_dscnt 0x701
	s_delay_alu instid0(VALU_DEP_3) | instskip(NEXT) | instid1(VALU_DEP_2)
	v_dual_mul_f32 v13, v233, v153 :: v_dual_add_f32 v11, v11, v15
	v_dual_add_f32 v9, v9, v31 :: v_dual_fmac_f32 v35, v223, v142
	v_dual_mul_f32 v15, v235, v155 :: v_dual_fma_f32 v19, v222, v142, -v19
	s_delay_alu instid0(VALU_DEP_3) | instskip(NEXT) | instid1(VALU_DEP_3)
	v_dual_add_f32 v11, v11, v17 :: v_dual_fmac_f32 v37, v225, v144
	v_dual_add_f32 v9, v9, v33 :: v_dual_fma_f32 v21, v224, v144, -v21
	v_dual_mul_f32 v39, v226, v147 :: v_dual_mul_f32 v41, v228, v149
	s_wait_loadcnt 0x6
	s_delay_alu instid0(VALU_DEP_3) | instskip(NEXT) | instid1(VALU_DEP_2)
	v_dual_mul_f32 v17, v197, v157 :: v_dual_add_f32 v11, v11, v19
	v_dual_add_f32 v9, v9, v35 :: v_dual_fmac_f32 v39, v227, v146
	v_dual_mul_f32 v19, v199, v159 :: v_dual_fma_f32 v23, v226, v146, -v23
	s_delay_alu instid0(VALU_DEP_3) | instskip(NEXT) | instid1(VALU_DEP_3)
	v_dual_add_f32 v11, v11, v21 :: v_dual_fmac_f32 v41, v229, v148
	v_dual_add_f32 v9, v9, v37 :: v_dual_fma_f32 v25, v228, v148, -v25
	v_dual_mul_f32 v43, v230, v151 :: v_dual_mul_f32 v45, v232, v153
	s_wait_loadcnt 0x5
	s_delay_alu instid0(VALU_DEP_3) | instskip(NEXT) | instid1(VALU_DEP_3)
	v_dual_mul_f32 v21, v177, v161 :: v_dual_add_f32 v11, v11, v23
	v_dual_add_f32 v9, v9, v39 :: v_dual_mov_b32 v116, v163
	s_delay_alu instid0(VALU_DEP_3) | instskip(NEXT) | instid1(VALU_DEP_3)
	v_fmac_f32_e32 v43, v231, v150
	v_dual_fma_f32 v23, v230, v150, -v27 :: v_dual_add_f32 v11, v11, v25
	s_delay_alu instid0(VALU_DEP_3) | instskip(SKIP_1) | instid1(VALU_DEP_3)
	v_dual_add_f32 v9, v9, v41 :: v_dual_mul_f32 v47, v234, v155
	v_dual_mul_f32 v49, v196, v157 :: v_dual_fmac_f32 v45, v233, v152
	v_dual_add_f32 v11, v11, v23 :: v_dual_fma_f32 v13, v232, v152, -v13
	s_wait_loadcnt 0x4
	s_delay_alu instid0(VALU_DEP_3) | instskip(SKIP_3) | instid1(VALU_DEP_4)
	v_dual_add_f32 v9, v9, v43 :: v_dual_mov_b32 v120, v167
	v_fma_f32 v15, v234, v154, -v15
	v_fmac_f32_e32 v47, v235, v154
	v_dual_add_f32 v11, v11, v13 :: v_dual_fmac_f32 v49, v197, v156
	v_dual_add_f32 v9, v9, v45 :: v_dual_mul_f32 v251, v198, v159
	v_mul_f32_e32 v253, v176, v161
	s_delay_alu instid0(VALU_DEP_3) | instskip(NEXT) | instid1(VALU_DEP_3)
	v_dual_fma_f32 v13, v196, v156, -v17 :: v_dual_add_f32 v11, v11, v15
	v_dual_fma_f32 v250, v198, v158, -v19 :: v_dual_add_f32 v9, v9, v47
	s_delay_alu instid0(VALU_DEP_4) | instskip(SKIP_1) | instid1(VALU_DEP_4)
	v_fmac_f32_e32 v251, v199, v158
	v_pk_mul_f32 v[116:117], v[242:243], v[116:117] op_sel_hi:[1,0]
	v_dual_add_f32 v124, v11, v13 :: v_dual_fmac_f32 v253, v177, v160
	s_delay_alu instid0(VALU_DEP_4)
	v_add_f32_e32 v125, v9, v49
	v_pk_mul_f32 v[118:119], v[180:181], v[164:165] op_sel:[1,1] op_sel_hi:[0,1]
	s_wait_loadcnt 0x3
	v_dual_mov_b32 v126, v171 :: v_dual_fma_f32 v252, v176, v160, -v21
	v_pk_fma_f32 v[128:129], v[178:179], v[162:163], v[116:117] op_sel_hi:[1,0,1]
	v_pk_add_f32 v[124:125], v[124:125], v[250:251]
	v_pk_fma_f32 v[116:117], v[178:179], v[162:163], v[116:117] neg_lo:[0,0,1] neg_hi:[0,0,1]
	v_pk_fma_f32 v[130:131], v[180:181], v[164:165], v[118:119] op_sel_hi:[1,0,1]
	v_pk_mul_f32 v[120:121], v[244:245], v[120:121] op_sel_hi:[1,0]
	v_mov_b32_e32 v117, v129
	v_pk_add_f32 v[124:125], v[124:125], v[252:253]
	v_pk_fma_f32 v[118:119], v[180:181], v[164:165], v[118:119] neg_lo:[0,0,1] neg_hi:[0,0,1]
	v_pk_mul_f32 v[122:123], v[184:185], v[168:169] op_sel:[1,1] op_sel_hi:[0,1]
	v_mov_b32_e32 v119, v131
	v_pk_fma_f32 v[130:131], v[182:183], v[166:167], v[120:121] op_sel_hi:[1,0,1]
	v_pk_add_f32 v[116:117], v[124:125], v[116:117]
	v_pk_fma_f32 v[120:121], v[182:183], v[166:167], v[120:121] neg_lo:[0,0,1] neg_hi:[0,0,1]
	v_pk_fma_f32 v[124:125], v[184:185], v[168:169], v[122:123] op_sel_hi:[1,0,1]
	v_pk_mul_f32 v[126:127], v[246:247], v[126:127] op_sel_hi:[1,0]
	v_mov_b32_e32 v121, v131
	v_pk_add_f32 v[116:117], v[116:117], v[118:119]
	v_pk_fma_f32 v[122:123], v[184:185], v[168:169], v[122:123] neg_lo:[0,0,1] neg_hi:[0,0,1]
	s_wait_loadcnt 0x2
	v_pk_mul_f32 v[128:129], v[188:189], v[172:173] op_sel:[1,1] op_sel_hi:[0,1]
	v_dual_mov_b32 v118, v175 :: v_dual_mov_b32 v123, v125
	v_pk_fma_f32 v[124:125], v[186:187], v[170:171], v[126:127] op_sel_hi:[1,0,1]
	v_pk_add_f32 v[116:117], v[116:117], v[120:121]
	v_pk_fma_f32 v[126:127], v[186:187], v[170:171], v[126:127] neg_lo:[0,0,1] neg_hi:[0,0,1]
	v_pk_fma_f32 v[120:121], v[188:189], v[172:173], v[128:129] op_sel_hi:[1,0,1]
	v_pk_mul_f32 v[118:119], v[248:249], v[118:119] op_sel_hi:[1,0]
	v_mov_b32_e32 v127, v125
	v_pk_add_f32 v[116:117], v[116:117], v[122:123]
	v_pk_fma_f32 v[122:123], v[188:189], v[172:173], v[128:129] neg_lo:[0,0,1] neg_hi:[0,0,1]
	v_mov_b32_e32 v123, v121
	v_pk_fma_f32 v[120:121], v[190:191], v[174:175], v[118:119] op_sel_hi:[1,0,1]
	s_wait_loadcnt_dscnt 0x100
	v_pk_mul_f32 v[124:125], v[240:241], v[236:237] op_sel:[1,1] op_sel_hi:[0,1]
	v_pk_add_f32 v[116:117], v[116:117], v[126:127]
	v_pk_fma_f32 v[118:119], v[190:191], v[174:175], v[118:119] neg_lo:[0,0,1] neg_hi:[0,0,1]
	v_mov_b32_e32 v119, v121
	s_delay_alu instid0(VALU_DEP_4) | instskip(NEXT) | instid1(VALU_DEP_4)
	v_pk_fma_f32 v[120:121], v[240:241], v[236:237], v[124:125] op_sel_hi:[1,0,1]
	v_pk_add_f32 v[116:117], v[116:117], v[122:123]
	v_pk_fma_f32 v[122:123], v[240:241], v[236:237], v[124:125] neg_lo:[0,0,1] neg_hi:[0,0,1]
	s_delay_alu instid0(VALU_DEP_3) | instskip(NEXT) | instid1(VALU_DEP_3)
	v_mov_b32_e32 v123, v121
	v_pk_add_f32 v[116:117], v[116:117], v[118:119]
	s_delay_alu instid0(VALU_DEP_1) | instskip(SKIP_1) | instid1(VALU_DEP_1)
	v_pk_add_f32 v[116:117], v[116:117], v[122:123]
	s_wait_loadcnt 0x0
	v_pk_add_f32 v[116:117], v[238:239], v[116:117] neg_lo:[0,1] neg_hi:[0,1]
	scratch_store_b64 off, v[116:117], off offset:200
	s_wait_xcnt 0x0
	v_cmpx_lt_u32_e32 24, v0
	s_cbranch_execz .LBB120_307
; %bb.306:
	scratch_load_b64 v[116:117], off, off offset:192
	v_mov_b64_e32 v[118:119], 0
	scratch_store_b64 off, v[118:119], off offset:192
	s_wait_loadcnt 0x0
	ds_store_b64 v1, v[116:117]
.LBB120_307:
	s_wait_xcnt 0x0
	s_or_b32 exec_lo, exec_lo, s0
	s_wait_storecnt_dscnt 0x0
	s_barrier_signal -1
	s_barrier_wait -1
	s_clause 0x10
	scratch_load_b128 v[116:119], off, off offset:200
	scratch_load_b128 v[120:123], off, off offset:216
	;; [unrolled: 1-line block ×16, first 2 shown]
	scratch_load_b64 v[244:245], off, off offset:192
	ds_load_2addr_b64 v[180:183], v7 offset0:107 offset1:108
	ds_load_2addr_b64 v[184:187], v7 offset0:109 offset1:110
	ds_load_2addr_b64 v[188:191], v7 offset0:111 offset1:112
	ds_load_2addr_b64 v[192:195], v7 offset0:113 offset1:114
	ds_load_2addr_b64 v[196:199], v7 offset0:83 offset1:84
	ds_load_2addr_b64 v[200:203], v7 offset0:85 offset1:86
	ds_load_2addr_b64 v[204:207], v7 offset0:87 offset1:88
	ds_load_2addr_b64 v[208:211], v7 offset0:89 offset1:90
	ds_load_2addr_b64 v[212:215], v7 offset0:91 offset1:92
	ds_load_2addr_b64 v[216:219], v7 offset0:93 offset1:94
	ds_load_2addr_b64 v[220:223], v7 offset0:95 offset1:96
	ds_load_2addr_b64 v[224:227], v7 offset0:97 offset1:98
	ds_load_2addr_b64 v[228:231], v7 offset0:99 offset1:100
	ds_load_2addr_b64 v[232:235], v7 offset0:101 offset1:102
	ds_load_2addr_b64 v[236:239], v7 offset0:103 offset1:104
	ds_load_2addr_b64 v[240:243], v7 offset0:105 offset1:106
	s_mov_b32 s0, exec_lo
	s_wait_dscnt 0xf
	v_dual_mov_b32 v246, v183 :: v_dual_mov_b32 v247, v182
	s_wait_dscnt 0xe
	v_dual_mov_b32 v248, v187 :: v_dual_mov_b32 v249, v186
	;; [unrolled: 2-line block ×4, first 2 shown]
	s_wait_loadcnt_dscnt 0x100b
	v_dual_mul_f32 v7, v196, v117 :: v_dual_mul_f32 v9, v198, v119
	s_wait_loadcnt_dscnt 0xf0a
	v_dual_mul_f32 v51, v197, v117 :: v_dual_mul_f32 v57, v203, v123
	s_wait_loadcnt_dscnt 0xe09
	v_mul_f32_e32 v59, v205, v125
	v_dual_fmac_f32 v7, v197, v116 :: v_dual_fmac_f32 v9, v199, v118
	s_delay_alu instid0(VALU_DEP_3)
	v_dual_mul_f32 v53, v199, v119 :: v_dual_fma_f32 v51, v196, v116, -v51
	v_dual_mul_f32 v11, v200, v121 :: v_dual_mul_f32 v13, v202, v123
	s_wait_loadcnt_dscnt 0x500
	v_mul_f32_e32 v255, v240, v161
	v_dual_mul_f32 v55, v201, v121 :: v_dual_mul_f32 v61, v207, v127
	v_dual_mul_f32 v63, v209, v129 :: v_dual_fma_f32 v53, v198, v118, -v53
	v_dual_add_f32 v7, 0, v7 :: v_dual_fmac_f32 v11, v201, v120
	s_delay_alu instid0(VALU_DEP_3) | instskip(SKIP_1) | instid1(VALU_DEP_3)
	v_dual_add_f32 v51, 0, v51 :: v_dual_fma_f32 v55, v200, v120, -v55
	v_dual_mul_f32 v15, v204, v125 :: v_dual_mul_f32 v17, v206, v127
	v_add_f32_e32 v7, v7, v9
	s_delay_alu instid0(VALU_DEP_3) | instskip(NEXT) | instid1(VALU_DEP_3)
	v_dual_add_f32 v9, v51, v53 :: v_dual_fma_f32 v53, v202, v122, -v57
	v_dual_fmac_f32 v15, v205, v124 :: v_dual_fmac_f32 v13, v203, v122
	s_delay_alu instid0(VALU_DEP_3) | instskip(NEXT) | instid1(VALU_DEP_3)
	v_add_f32_e32 v7, v7, v11
	v_add_f32_e32 v9, v9, v55
	v_dual_mul_f32 v11, v215, v135 :: v_dual_fma_f32 v55, v204, v124, -v59
	v_dual_mul_f32 v19, v208, v129 :: v_dual_mul_f32 v21, v210, v131
	s_delay_alu instid0(VALU_DEP_4) | instskip(NEXT) | instid1(VALU_DEP_4)
	v_add_f32_e32 v7, v7, v13
	v_add_f32_e32 v9, v9, v53
	v_dual_mul_f32 v13, v217, v137 :: v_dual_fmac_f32 v17, v207, v126
	s_delay_alu instid0(VALU_DEP_3) | instskip(SKIP_1) | instid1(VALU_DEP_4)
	v_dual_fma_f32 v53, v206, v126, -v61 :: v_dual_add_f32 v7, v7, v15
	v_fmac_f32_e32 v19, v209, v128
	v_dual_add_f32 v9, v9, v55 :: v_dual_fma_f32 v55, v208, v128, -v63
	v_dual_mul_f32 v65, v211, v131 :: v_dual_mul_f32 v51, v213, v133
	s_delay_alu instid0(VALU_DEP_2) | instskip(NEXT) | instid1(VALU_DEP_2)
	v_dual_mul_f32 v15, v219, v139 :: v_dual_add_f32 v9, v9, v53
	v_dual_add_f32 v7, v7, v17 :: v_dual_fma_f32 v53, v210, v130, -v65
	v_dual_mul_f32 v23, v212, v133 :: v_dual_mul_f32 v25, v214, v135
	v_dual_mul_f32 v17, v221, v141 :: v_dual_fmac_f32 v21, v211, v130
	s_delay_alu instid0(VALU_DEP_2) | instskip(SKIP_2) | instid1(VALU_DEP_3)
	v_dual_add_f32 v7, v7, v19 :: v_dual_fmac_f32 v23, v213, v132
	v_dual_add_f32 v9, v9, v55 :: v_dual_fma_f32 v51, v212, v132, -v51
	v_mul_f32_e32 v19, v223, v143
	v_dual_add_f32 v7, v7, v21 :: v_dual_fma_f32 v11, v214, v134, -v11
	s_delay_alu instid0(VALU_DEP_3) | instskip(SKIP_2) | instid1(VALU_DEP_2)
	v_add_f32_e32 v9, v9, v53
	v_dual_mul_f32 v27, v216, v137 :: v_dual_mul_f32 v29, v218, v139
	v_dual_mul_f32 v21, v225, v145 :: v_dual_fmac_f32 v25, v215, v134
	v_dual_add_f32 v7, v7, v23 :: v_dual_fmac_f32 v27, v217, v136
	s_delay_alu instid0(VALU_DEP_4) | instskip(SKIP_1) | instid1(VALU_DEP_2)
	v_dual_add_f32 v9, v9, v51 :: v_dual_fma_f32 v13, v216, v136, -v13
	v_dual_mul_f32 v31, v220, v141 :: v_dual_mul_f32 v33, v222, v143
	v_dual_add_f32 v7, v7, v25 :: v_dual_add_f32 v9, v9, v11
	v_dual_fmac_f32 v29, v219, v138 :: v_dual_fma_f32 v15, v218, v138, -v15
	s_delay_alu instid0(VALU_DEP_2) | instskip(NEXT) | instid1(VALU_DEP_3)
	v_dual_fmac_f32 v31, v221, v140 :: v_dual_add_f32 v7, v7, v27
	v_dual_add_f32 v9, v9, v13 :: v_dual_mul_f32 v13, v231, v151
	v_fma_f32 v17, v220, v140, -v17
	v_dual_mul_f32 v35, v224, v145 :: v_dual_mul_f32 v37, v226, v147
	s_delay_alu instid0(VALU_DEP_3) | instskip(SKIP_1) | instid1(VALU_DEP_2)
	v_dual_add_f32 v7, v7, v29 :: v_dual_add_f32 v9, v9, v15
	v_dual_fmac_f32 v33, v223, v142 :: v_dual_mul_f32 v15, v233, v153
	v_dual_fma_f32 v19, v222, v142, -v19 :: v_dual_add_f32 v7, v7, v31
	s_delay_alu instid0(VALU_DEP_3) | instskip(SKIP_2) | instid1(VALU_DEP_3)
	v_dual_add_f32 v9, v9, v17 :: v_dual_mul_f32 v23, v227, v147
	v_dual_mul_f32 v11, v229, v149 :: v_dual_mul_f32 v17, v235, v155
	v_dual_fmac_f32 v35, v225, v144 :: v_dual_fma_f32 v21, v224, v144, -v21
	v_dual_add_f32 v7, v7, v33 :: v_dual_add_f32 v9, v9, v19
	v_dual_fmac_f32 v37, v227, v146 :: v_dual_mul_f32 v39, v228, v149
	v_dual_mul_f32 v41, v230, v151 :: v_dual_mul_f32 v19, v237, v157
	s_delay_alu instid0(VALU_DEP_3) | instskip(NEXT) | instid1(VALU_DEP_4)
	v_dual_fma_f32 v23, v226, v146, -v23 :: v_dual_add_f32 v7, v7, v35
	v_dual_add_f32 v9, v9, v21 :: v_dual_mul_f32 v21, v239, v159
	s_delay_alu instid0(VALU_DEP_4) | instskip(NEXT) | instid1(VALU_DEP_3)
	v_fmac_f32_e32 v39, v229, v148
	v_dual_fma_f32 v11, v228, v148, -v11 :: v_dual_add_f32 v7, v7, v37
	s_delay_alu instid0(VALU_DEP_3) | instskip(SKIP_2) | instid1(VALU_DEP_2)
	v_dual_add_f32 v9, v9, v23 :: v_dual_fmac_f32 v41, v231, v150
	v_dual_mul_f32 v43, v232, v153 :: v_dual_mul_f32 v45, v234, v155
	v_dual_mul_f32 v23, v241, v161 :: v_dual_fma_f32 v13, v230, v150, -v13
	v_dual_add_f32 v7, v7, v39 :: v_dual_fmac_f32 v43, v233, v152
	s_delay_alu instid0(VALU_DEP_4) | instskip(SKIP_1) | instid1(VALU_DEP_3)
	v_dual_add_f32 v9, v9, v11 :: v_dual_fma_f32 v15, v232, v152, -v15
	v_mul_f32_e32 v11, v243, v163
	v_add_f32_e32 v7, v7, v41
	v_dual_mul_f32 v47, v236, v157 :: v_dual_mul_f32 v49, v238, v159
	s_delay_alu instid0(VALU_DEP_4) | instskip(NEXT) | instid1(VALU_DEP_3)
	v_dual_add_f32 v9, v9, v13 :: v_dual_fmac_f32 v45, v235, v154
	v_dual_fma_f32 v13, v234, v154, -v17 :: v_dual_add_f32 v7, v7, v43
	s_delay_alu instid0(VALU_DEP_3) | instskip(SKIP_1) | instid1(VALU_DEP_3)
	v_fmac_f32_e32 v47, v237, v156
	s_wait_loadcnt 0x4
	v_dual_add_f32 v9, v9, v15 :: v_dual_mov_b32 v118, v167
	s_delay_alu instid0(VALU_DEP_3) | instskip(SKIP_1) | instid1(VALU_DEP_3)
	v_dual_fma_f32 v15, v236, v156, -v19 :: v_dual_add_f32 v7, v7, v45
	v_pk_mul_f32 v[116:117], v[180:181], v[164:165] op_sel:[1,1] op_sel_hi:[0,1]
	v_dual_add_f32 v9, v9, v13 :: v_dual_fmac_f32 v49, v239, v158
	s_delay_alu instid0(VALU_DEP_3) | instskip(SKIP_2) | instid1(VALU_DEP_3)
	v_dual_fma_f32 v13, v238, v158, -v21 :: v_dual_add_f32 v7, v7, v47
	v_fmac_f32_e32 v255, v241, v160
	s_wait_loadcnt 0x3
	v_dual_add_f32 v9, v9, v15 :: v_dual_mov_b32 v122, v171
	s_set_vgpr_msb 64                       ;  msbs: dst=1 src0=0 src1=0 src2=0
	v_dual_mul_f32 v1 /*v257*/, v242, v163 :: v_dual_fma_f32 v0 /*v256*/, v242, v162, -v11
	s_set_vgpr_msb 0                        ;  msbs: dst=0 src0=0 src1=0 src2=0
	v_dual_fma_f32 v254, v240, v160, -v23 :: v_dual_add_f32 v125, v7, v49
	v_pk_fma_f32 v[126:127], v[180:181], v[164:165], v[116:117] op_sel_hi:[1,0,1]
	v_add_f32_e32 v124, v9, v13
	v_pk_fma_f32 v[116:117], v[180:181], v[164:165], v[116:117] neg_lo:[0,0,1] neg_hi:[0,0,1]
	s_set_vgpr_msb 64                       ;  msbs: dst=1 src0=0 src1=0 src2=0
	v_fmac_f32_e32 v1 /*v257*/, v243, v162
	s_set_vgpr_msb 0                        ;  msbs: dst=0 src0=0 src1=0 src2=0
	v_pk_mul_f32 v[118:119], v[246:247], v[118:119] op_sel_hi:[1,0]
	v_mov_b32_e32 v117, v127
	v_pk_add_f32 v[124:125], v[124:125], v[254:255]
	v_pk_mul_f32 v[120:121], v[184:185], v[168:169] op_sel:[1,1] op_sel_hi:[0,1]
	v_pk_mul_f32 v[122:123], v[248:249], v[122:123] op_sel_hi:[1,0]
	v_pk_fma_f32 v[126:127], v[182:183], v[166:167], v[118:119] op_sel_hi:[1,0,1]
	v_pk_fma_f32 v[118:119], v[182:183], v[166:167], v[118:119] neg_lo:[0,0,1] neg_hi:[0,0,1]
	s_set_vgpr_msb 4                        ;  msbs: dst=0 src0=0 src1=1 src2=0
	v_pk_add_f32 v[124:125], v[124:125], v[0:1] /*v[256:257]*/
	s_set_vgpr_msb 0                        ;  msbs: dst=0 src0=0 src1=0 src2=0
	v_pk_fma_f32 v[130:131], v[184:185], v[168:169], v[120:121] op_sel_hi:[1,0,1]
	s_wait_loadcnt 0x2
	v_pk_mul_f32 v[128:129], v[188:189], v[172:173] op_sel:[1,1] op_sel_hi:[0,1]
	v_mov_b32_e32 v119, v127
	v_pk_fma_f32 v[120:121], v[184:185], v[168:169], v[120:121] neg_lo:[0,0,1] neg_hi:[0,0,1]
	v_pk_add_f32 v[116:117], v[124:125], v[116:117]
	v_mov_b32_e32 v124, v175
	v_pk_fma_f32 v[126:127], v[186:187], v[170:171], v[122:123] op_sel_hi:[1,0,1]
	v_mov_b32_e32 v121, v131
	v_pk_fma_f32 v[122:123], v[186:187], v[170:171], v[122:123] neg_lo:[0,0,1] neg_hi:[0,0,1]
	v_pk_add_f32 v[116:117], v[116:117], v[118:119]
	v_pk_fma_f32 v[118:119], v[188:189], v[172:173], v[128:129] op_sel_hi:[1,0,1]
	v_pk_mul_f32 v[124:125], v[250:251], v[124:125] op_sel_hi:[1,0]
	v_mov_b32_e32 v123, v127
	v_pk_fma_f32 v[126:127], v[188:189], v[172:173], v[128:129] neg_lo:[0,0,1] neg_hi:[0,0,1]
	v_pk_add_f32 v[116:117], v[116:117], v[120:121]
	v_mov_b32_e32 v127, v119
	v_pk_fma_f32 v[118:119], v[190:191], v[174:175], v[124:125] op_sel_hi:[1,0,1]
	s_wait_loadcnt 0x1
	v_pk_mul_f32 v[120:121], v[192:193], v[176:177] op_sel:[1,1] op_sel_hi:[0,1]
	v_mov_b32_e32 v118, v179
	v_pk_add_f32 v[116:117], v[116:117], v[122:123]
	v_pk_fma_f32 v[124:125], v[190:191], v[174:175], v[124:125] neg_lo:[0,0,1] neg_hi:[0,0,1]
	s_delay_alu instid0(VALU_DEP_4) | instskip(SKIP_1) | instid1(VALU_DEP_4)
	v_pk_fma_f32 v[122:123], v[192:193], v[176:177], v[120:121] op_sel_hi:[1,0,1]
	v_mov_b32_e32 v125, v119
	v_pk_add_f32 v[116:117], v[116:117], v[126:127]
	v_pk_mul_f32 v[118:119], v[252:253], v[118:119] op_sel_hi:[1,0]
	v_pk_fma_f32 v[120:121], v[192:193], v[176:177], v[120:121] neg_lo:[0,0,1] neg_hi:[0,0,1]
	v_mov_b32_e32 v121, v123
	s_delay_alu instid0(VALU_DEP_4) | instskip(NEXT) | instid1(VALU_DEP_4)
	v_pk_add_f32 v[116:117], v[116:117], v[124:125]
	v_pk_fma_f32 v[122:123], v[194:195], v[178:179], v[118:119] op_sel_hi:[1,0,1]
	v_pk_fma_f32 v[118:119], v[194:195], v[178:179], v[118:119] neg_lo:[0,0,1] neg_hi:[0,0,1]
	s_delay_alu instid0(VALU_DEP_3) | instskip(NEXT) | instid1(VALU_DEP_3)
	v_pk_add_f32 v[116:117], v[116:117], v[120:121]
	v_mov_b32_e32 v119, v123
	s_delay_alu instid0(VALU_DEP_1) | instskip(SKIP_1) | instid1(VALU_DEP_1)
	v_pk_add_f32 v[116:117], v[116:117], v[118:119]
	s_wait_loadcnt 0x0
	v_pk_add_f32 v[116:117], v[244:245], v[116:117] neg_lo:[0,1] neg_hi:[0,1]
	scratch_store_b64 off, v[116:117], off offset:192
	s_wait_xcnt 0x0
	v_cmpx_lt_u32_e32 23, v0
	s_cbranch_execz .LBB120_309
; %bb.308:
	scratch_load_b64 v[116:117], off, off offset:184
	v_mov_b64_e32 v[118:119], 0
	scratch_store_b64 off, v[118:119], off offset:184
	s_wait_loadcnt 0x0
	ds_store_b64 v1, v[116:117]
.LBB120_309:
	s_wait_xcnt 0x0
	s_or_b32 exec_lo, exec_lo, s0
	s_wait_storecnt_dscnt 0x0
	s_barrier_signal -1
	s_barrier_wait -1
	s_clause 0x11
	scratch_load_b128 v[116:119], off, off offset:192
	scratch_load_b128 v[120:123], off, off offset:208
	;; [unrolled: 1-line block ×16, first 2 shown]
	scratch_load_b64 v[244:245], off, off offset:448
	scratch_load_b64 v[246:247], off, off offset:184
	v_mov_b32_e32 v7, 0
	ds_load_b128 v[180:183], v7 offset:848
	ds_load_b128 v[184:187], v7 offset:864
	;; [unrolled: 1-line block ×16, first 2 shown]
	ds_load_b64 v[248:249], v7 offset:912
	s_mov_b32 s0, exec_lo
	s_wait_dscnt 0x10
	v_dual_mov_b32 v250, v183 :: v_dual_mov_b32 v251, v182
	s_wait_dscnt 0xe
	v_dual_mov_b32 v252, v187 :: v_dual_mov_b32 v255, v190
	v_dual_mov_b32 v253, v186 :: v_dual_mov_b32 v254, v191
	s_wait_dscnt 0xd
	s_set_vgpr_msb 64                       ;  msbs: dst=1 src0=0 src1=0 src2=0
	v_dual_mov_b32 v0 /*v256*/, v195 :: v_dual_mov_b32 v1 /*v257*/, v194
	s_wait_loadcnt_dscnt 0x110c
	s_set_vgpr_msb 0                        ;  msbs: dst=0 src0=0 src1=0 src2=0
	v_dual_mul_f32 v9, v196, v117 :: v_dual_mul_f32 v55, v197, v117
	v_dual_mul_f32 v57, v199, v119 :: v_dual_mul_f32 v11, v198, v119
	s_wait_loadcnt_dscnt 0x100b
	v_mul_f32_e32 v13, v200, v121
	s_wait_loadcnt_dscnt 0xe09
	v_dual_mul_f32 v67, v209, v129 :: v_dual_fma_f32 v55, v196, v116, -v55
	v_dual_fmac_f32 v9, v197, v116 :: v_dual_mul_f32 v69, v211, v131
	v_dual_mul_f32 v59, v201, v121 :: v_dual_mul_f32 v61, v203, v123
	v_dual_fmac_f32 v11, v199, v118 :: v_dual_fma_f32 v57, v198, v118, -v57
	s_delay_alu instid0(VALU_DEP_3) | instskip(SKIP_4) | instid1(VALU_DEP_3)
	v_dual_add_f32 v9, 0, v9 :: v_dual_add_f32 v55, 0, v55
	v_dual_mul_f32 v15, v202, v123 :: v_dual_mul_f32 v17, v204, v125
	s_wait_loadcnt_dscnt 0xd08
	v_dual_mul_f32 v71, v213, v133 :: v_dual_fma_f32 v59, v200, v120, -v59
	v_fmac_f32_e32 v13, v201, v120
	v_dual_add_f32 v9, v9, v11 :: v_dual_fmac_f32 v15, v203, v122
	v_add_f32_e32 v11, v55, v57
	v_dual_mul_f32 v63, v205, v125 :: v_dual_mul_f32 v65, v207, v127
	v_dual_mul_f32 v55, v215, v135 :: v_dual_fma_f32 v57, v202, v122, -v61
	s_delay_alu instid0(VALU_DEP_3) | instskip(SKIP_3) | instid1(VALU_DEP_3)
	v_dual_add_f32 v9, v9, v13 :: v_dual_add_f32 v11, v11, v59
	v_dual_mul_f32 v19, v206, v127 :: v_dual_mul_f32 v21, v208, v129
	s_wait_loadcnt_dscnt 0xc07
	v_dual_mul_f32 v13, v217, v137 :: v_dual_fma_f32 v59, v204, v124, -v63
	v_dual_fmac_f32 v17, v205, v124 :: v_dual_add_f32 v11, v11, v57
	s_delay_alu instid0(VALU_DEP_3) | instskip(SKIP_1) | instid1(VALU_DEP_2)
	v_dual_add_f32 v9, v9, v15 :: v_dual_fmac_f32 v19, v207, v126
	v_dual_mul_f32 v15, v219, v139 :: v_dual_fma_f32 v57, v206, v126, -v65
	v_dual_add_f32 v11, v11, v59 :: v_dual_add_f32 v9, v9, v17
	v_dual_mul_f32 v23, v210, v131 :: v_dual_mul_f32 v25, v212, v133
	s_wait_loadcnt_dscnt 0xb06
	v_dual_mul_f32 v17, v221, v141 :: v_dual_fma_f32 v59, v208, v128, -v67
	s_delay_alu instid0(VALU_DEP_3) | instskip(NEXT) | instid1(VALU_DEP_3)
	v_dual_fmac_f32 v21, v209, v128 :: v_dual_add_f32 v11, v11, v57
	v_dual_add_f32 v9, v9, v19 :: v_dual_fmac_f32 v23, v211, v130
	v_dual_mul_f32 v19, v223, v143 :: v_dual_fma_f32 v57, v210, v130, -v69
	s_delay_alu instid0(VALU_DEP_2) | instskip(SKIP_3) | instid1(VALU_DEP_3)
	v_dual_add_f32 v11, v11, v59 :: v_dual_add_f32 v9, v9, v21
	v_dual_mul_f32 v27, v214, v135 :: v_dual_mul_f32 v29, v216, v137
	s_wait_loadcnt_dscnt 0xa05
	v_dual_mul_f32 v21, v225, v145 :: v_dual_fma_f32 v59, v212, v132, -v71
	v_dual_fmac_f32 v25, v213, v132 :: v_dual_add_f32 v11, v11, v57
	s_delay_alu instid0(VALU_DEP_3) | instskip(SKIP_1) | instid1(VALU_DEP_2)
	v_dual_add_f32 v9, v9, v23 :: v_dual_fmac_f32 v27, v215, v134
	v_dual_mul_f32 v23, v227, v147 :: v_dual_fma_f32 v55, v214, v134, -v55
	v_dual_add_f32 v11, v11, v59 :: v_dual_add_f32 v9, v9, v25
	v_dual_mul_f32 v31, v218, v139 :: v_dual_mul_f32 v33, v220, v141
	s_wait_loadcnt_dscnt 0x904
	v_dual_mul_f32 v25, v229, v149 :: v_dual_fma_f32 v13, v216, v136, -v13
	s_delay_alu instid0(VALU_DEP_3) | instskip(NEXT) | instid1(VALU_DEP_3)
	v_dual_fmac_f32 v29, v217, v136 :: v_dual_add_f32 v11, v11, v55
	v_dual_add_f32 v9, v9, v27 :: v_dual_fmac_f32 v31, v219, v138
	v_dual_mul_f32 v27, v231, v151 :: v_dual_fma_f32 v15, v218, v138, -v15
	s_delay_alu instid0(VALU_DEP_3) | instskip(NEXT) | instid1(VALU_DEP_3)
	v_dual_add_f32 v11, v11, v13 :: v_dual_fmac_f32 v33, v221, v140
	v_dual_add_f32 v9, v9, v29 :: v_dual_fma_f32 v17, v220, v140, -v17
	v_dual_mul_f32 v35, v222, v143 :: v_dual_mul_f32 v37, v224, v145
	s_wait_loadcnt_dscnt 0x803
	s_delay_alu instid0(VALU_DEP_3) | instskip(NEXT) | instid1(VALU_DEP_2)
	v_dual_mul_f32 v13, v233, v153 :: v_dual_add_f32 v11, v11, v15
	v_dual_add_f32 v9, v9, v31 :: v_dual_fmac_f32 v35, v223, v142
	v_dual_mul_f32 v15, v235, v155 :: v_dual_fma_f32 v19, v222, v142, -v19
	s_delay_alu instid0(VALU_DEP_3) | instskip(NEXT) | instid1(VALU_DEP_3)
	v_dual_add_f32 v11, v11, v17 :: v_dual_fmac_f32 v37, v225, v144
	v_dual_add_f32 v9, v9, v33 :: v_dual_fma_f32 v21, v224, v144, -v21
	v_dual_mul_f32 v39, v226, v147 :: v_dual_mul_f32 v41, v228, v149
	s_wait_loadcnt_dscnt 0x702
	s_delay_alu instid0(VALU_DEP_3) | instskip(NEXT) | instid1(VALU_DEP_2)
	v_dual_mul_f32 v17, v237, v157 :: v_dual_add_f32 v11, v11, v19
	;; [unrolled: 9-line block ×3, first 2 shown]
	v_dual_add_f32 v9, v9, v39 :: v_dual_fmac_f32 v43, v231, v150
	v_dual_mul_f32 v23, v243, v163 :: v_dual_fma_f32 v27, v230, v150, -v27
	s_delay_alu instid0(VALU_DEP_3) | instskip(NEXT) | instid1(VALU_DEP_3)
	v_dual_add_f32 v11, v11, v25 :: v_dual_fmac_f32 v45, v233, v152
	v_dual_add_f32 v9, v9, v41 :: v_dual_fma_f32 v13, v232, v152, -v13
	v_dual_mul_f32 v47, v234, v155 :: v_dual_mul_f32 v49, v236, v157
	s_wait_loadcnt 0x5
	s_delay_alu instid0(VALU_DEP_3) | instskip(NEXT) | instid1(VALU_DEP_3)
	v_dual_mul_f32 v25, v181, v165 :: v_dual_add_f32 v11, v11, v27
	v_dual_add_f32 v9, v9, v43 :: v_dual_mov_b32 v116, v167
	s_delay_alu instid0(VALU_DEP_3) | instskip(NEXT) | instid1(VALU_DEP_3)
	v_fmac_f32_e32 v47, v235, v154
	v_dual_fma_f32 v15, v234, v154, -v15 :: v_dual_add_f32 v11, v11, v13
	s_delay_alu instid0(VALU_DEP_3) | instskip(SKIP_1) | instid1(VALU_DEP_3)
	v_dual_add_f32 v9, v9, v45 :: v_dual_mul_f32 v51, v238, v159
	v_dual_mul_f32 v53, v240, v161 :: v_dual_fmac_f32 v49, v237, v156
	v_dual_add_f32 v11, v11, v15 :: v_dual_fma_f32 v13, v236, v156, -v17
	s_wait_loadcnt 0x4
	s_delay_alu instid0(VALU_DEP_3) | instskip(SKIP_3) | instid1(VALU_DEP_4)
	v_dual_add_f32 v9, v9, v47 :: v_dual_mov_b32 v120, v171
	v_fma_f32 v15, v238, v158, -v19
	v_fmac_f32_e32 v51, v239, v158
	v_dual_add_f32 v11, v11, v13 :: v_dual_fmac_f32 v53, v241, v160
	v_add_f32_e32 v9, v9, v49
	s_set_vgpr_msb 64                       ;  msbs: dst=1 src0=0 src1=0 src2=0
	v_dual_mul_f32 v3 /*v259*/, v242, v163 :: v_dual_mul_f32 v5 /*v261*/, v180, v165
	s_set_vgpr_msb 0                        ;  msbs: dst=0 src0=0 src1=0 src2=0
	v_fma_f32 v13, v240, v160, -v21
	v_pk_mul_f32 v[116:117], v[250:251], v[116:117] op_sel_hi:[1,0]
	v_add_f32_e32 v9, v9, v51
	v_add_f32_e32 v11, v11, v15
	s_set_vgpr_msb 64                       ;  msbs: dst=1 src0=0 src1=0 src2=0
	v_dual_fmac_f32 v3 /*v259*/, v243, v162 :: v_dual_fmac_f32 v5 /*v261*/, v181, v164
	v_dual_fma_f32 v2 /*v258*/, v242, v162, -v23 :: v_dual_fma_f32 v4 /*v260*/, v180, v164, -v25
	s_set_vgpr_msb 0                        ;  msbs: dst=0 src0=0 src1=0 src2=0
	v_add_f32_e32 v125, v9, v53
	v_pk_fma_f32 v[128:129], v[182:183], v[166:167], v[116:117] op_sel_hi:[1,0,1]
	v_add_f32_e32 v124, v11, v13
	v_pk_fma_f32 v[116:117], v[182:183], v[166:167], v[116:117] neg_lo:[0,0,1] neg_hi:[0,0,1]
	v_pk_mul_f32 v[118:119], v[184:185], v[168:169] op_sel:[1,1] op_sel_hi:[0,1]
	v_pk_mul_f32 v[120:121], v[252:253], v[120:121] op_sel_hi:[1,0]
	v_mov_b32_e32 v117, v129
	s_set_vgpr_msb 4                        ;  msbs: dst=0 src0=0 src1=1 src2=0
	v_pk_add_f32 v[124:125], v[124:125], v[2:3] /*v[258:259]*/
	s_wait_loadcnt 0x3
	s_set_vgpr_msb 0                        ;  msbs: dst=0 src0=0 src1=0 src2=0
	v_pk_mul_f32 v[122:123], v[188:189], v[172:173] op_sel:[1,1] op_sel_hi:[0,1]
	v_pk_fma_f32 v[130:131], v[184:185], v[168:169], v[118:119] op_sel_hi:[1,0,1]
	v_pk_fma_f32 v[118:119], v[184:185], v[168:169], v[118:119] neg_lo:[0,0,1] neg_hi:[0,0,1]
	v_mov_b32_e32 v126, v175
	s_set_vgpr_msb 4                        ;  msbs: dst=0 src0=0 src1=1 src2=0
	v_pk_add_f32 v[124:125], v[124:125], v[4:5] /*v[260:261]*/
	s_wait_loadcnt 0x2
	s_set_vgpr_msb 0                        ;  msbs: dst=0 src0=0 src1=0 src2=0
	v_pk_mul_f32 v[128:129], v[192:193], v[176:177] op_sel:[1,1] op_sel_hi:[0,1]
	v_mov_b32_e32 v119, v131
	v_pk_fma_f32 v[130:131], v[186:187], v[170:171], v[120:121] op_sel_hi:[1,0,1]
	v_pk_fma_f32 v[120:121], v[186:187], v[170:171], v[120:121] neg_lo:[0,0,1] neg_hi:[0,0,1]
	v_pk_add_f32 v[116:117], v[124:125], v[116:117]
	v_pk_fma_f32 v[124:125], v[188:189], v[172:173], v[122:123] op_sel_hi:[1,0,1]
	v_pk_mul_f32 v[126:127], v[254:255], v[126:127] op_sel_hi:[1,0]
	v_mov_b32_e32 v121, v131
	v_pk_fma_f32 v[122:123], v[188:189], v[172:173], v[122:123] neg_lo:[0,0,1] neg_hi:[0,0,1]
	v_pk_add_f32 v[116:117], v[116:117], v[118:119]
	v_dual_mov_b32 v118, v179 :: v_dual_mov_b32 v123, v125
	v_pk_fma_f32 v[124:125], v[190:191], v[174:175], v[126:127] op_sel_hi:[1,0,1]
	v_pk_fma_f32 v[126:127], v[190:191], v[174:175], v[126:127] neg_lo:[0,0,1] neg_hi:[0,0,1]
	s_delay_alu instid0(VALU_DEP_4)
	v_pk_add_f32 v[116:117], v[116:117], v[120:121]
	v_pk_fma_f32 v[120:121], v[192:193], v[176:177], v[128:129] op_sel_hi:[1,0,1]
	s_set_vgpr_msb 1                        ;  msbs: dst=0 src0=1 src1=0 src2=0
	v_pk_mul_f32 v[118:119], v[0:1] /*v[256:257]*/, v[118:119] op_sel_hi:[1,0]
	s_set_vgpr_msb 0                        ;  msbs: dst=0 src0=0 src1=0 src2=0
	v_mov_b32_e32 v127, v125
	s_wait_loadcnt_dscnt 0x100
	v_pk_mul_f32 v[124:125], v[248:249], v[244:245] op_sel:[1,1] op_sel_hi:[0,1]
	v_pk_add_f32 v[116:117], v[116:117], v[122:123]
	v_pk_fma_f32 v[122:123], v[192:193], v[176:177], v[128:129] neg_lo:[0,0,1] neg_hi:[0,0,1]
	v_mov_b32_e32 v123, v121
	v_pk_fma_f32 v[120:121], v[194:195], v[178:179], v[118:119] op_sel_hi:[1,0,1]
	v_pk_fma_f32 v[118:119], v[194:195], v[178:179], v[118:119] neg_lo:[0,0,1] neg_hi:[0,0,1]
	v_pk_add_f32 v[116:117], v[116:117], v[126:127]
	s_delay_alu instid0(VALU_DEP_3) | instskip(SKIP_1) | instid1(VALU_DEP_3)
	v_mov_b32_e32 v119, v121
	v_pk_fma_f32 v[120:121], v[248:249], v[244:245], v[124:125] op_sel_hi:[1,0,1]
	v_pk_add_f32 v[116:117], v[116:117], v[122:123]
	v_pk_fma_f32 v[122:123], v[248:249], v[244:245], v[124:125] neg_lo:[0,0,1] neg_hi:[0,0,1]
	s_delay_alu instid0(VALU_DEP_3) | instskip(NEXT) | instid1(VALU_DEP_3)
	v_mov_b32_e32 v123, v121
	v_pk_add_f32 v[116:117], v[116:117], v[118:119]
	s_delay_alu instid0(VALU_DEP_1) | instskip(SKIP_1) | instid1(VALU_DEP_1)
	v_pk_add_f32 v[116:117], v[116:117], v[122:123]
	s_wait_loadcnt 0x0
	v_pk_add_f32 v[116:117], v[246:247], v[116:117] neg_lo:[0,1] neg_hi:[0,1]
	scratch_store_b64 off, v[116:117], off offset:184
	s_wait_xcnt 0x0
	v_cmpx_lt_u32_e32 22, v0
	s_cbranch_execz .LBB120_311
; %bb.310:
	scratch_load_b64 v[116:117], off, off offset:176
	v_mov_b64_e32 v[118:119], 0
	scratch_store_b64 off, v[118:119], off offset:176
	s_wait_loadcnt 0x0
	ds_store_b64 v1, v[116:117]
.LBB120_311:
	s_wait_xcnt 0x0
	s_or_b32 exec_lo, exec_lo, s0
	s_wait_storecnt_dscnt 0x0
	s_barrier_signal -1
	s_barrier_wait -1
	s_clause 0x11
	scratch_load_b128 v[116:119], off, off offset:184
	scratch_load_b128 v[120:123], off, off offset:200
	;; [unrolled: 1-line block ×17, first 2 shown]
	scratch_load_b64 v[252:253], off, off offset:176
	ds_load_2addr_b64 v[184:187], v7 offset0:107 offset1:108
	ds_load_2addr_b64 v[188:191], v7 offset0:109 offset1:110
	;; [unrolled: 1-line block ×17, first 2 shown]
	s_mov_b32 s0, exec_lo
	s_wait_dscnt 0x10
	v_dual_mov_b32 v254, v187 :: v_dual_mov_b32 v255, v186
	s_wait_dscnt 0xf
	s_set_vgpr_msb 64                       ;  msbs: dst=1 src0=0 src1=0 src2=0
	v_dual_mov_b32 v0 /*v256*/, v191 :: v_dual_mov_b32 v1 /*v257*/, v190
	s_wait_dscnt 0xe
	v_dual_mov_b32 v2 /*v258*/, v195 :: v_dual_mov_b32 v3 /*v259*/, v194
	s_wait_dscnt 0xd
	v_dual_mov_b32 v4 /*v260*/, v199 :: v_dual_mov_b32 v5 /*v261*/, v198
	s_wait_loadcnt_dscnt 0x110b
	s_set_vgpr_msb 0                        ;  msbs: dst=0 src0=0 src1=0 src2=0
	v_dual_mul_f32 v7, v204, v117 :: v_dual_mul_f32 v9, v206, v119
	v_dual_mul_f32 v55, v205, v117 :: v_dual_mul_f32 v57, v207, v119
	s_wait_loadcnt_dscnt 0x100a
	v_dual_mul_f32 v11, v208, v121 :: v_dual_mul_f32 v13, v210, v123
	s_delay_alu instid0(VALU_DEP_3) | instskip(SKIP_3) | instid1(VALU_DEP_3)
	v_dual_fmac_f32 v7, v205, v116 :: v_dual_fmac_f32 v9, v207, v118
	s_wait_loadcnt_dscnt 0xe08
	v_dual_fma_f32 v55, v204, v116, -v55 :: v_dual_mul_f32 v67, v217, v129
	v_dual_mul_f32 v59, v209, v121 :: v_dual_mul_f32 v61, v211, v123
	v_dual_fma_f32 v57, v206, v118, -v57 :: v_dual_add_f32 v7, 0, v7
	s_delay_alu instid0(VALU_DEP_3) | instskip(SKIP_1) | instid1(VALU_DEP_4)
	v_dual_add_f32 v55, 0, v55 :: v_dual_fmac_f32 v11, v209, v120
	v_dual_mul_f32 v15, v212, v125 :: v_dual_mul_f32 v17, v214, v127
	v_dual_mul_f32 v69, v219, v131 :: v_dual_fma_f32 v59, v208, v120, -v59
	s_delay_alu instid0(VALU_DEP_4) | instskip(NEXT) | instid1(VALU_DEP_3)
	v_add_f32_e32 v7, v7, v9
	v_dual_add_f32 v9, v55, v57 :: v_dual_fmac_f32 v15, v213, v124
	v_dual_mul_f32 v63, v213, v125 :: v_dual_mul_f32 v65, v215, v127
	s_wait_loadcnt_dscnt 0xd07
	v_dual_mul_f32 v55, v221, v133 :: v_dual_fmac_f32 v13, v211, v122
	v_dual_fma_f32 v57, v210, v122, -v61 :: v_dual_add_f32 v7, v7, v11
	s_delay_alu instid0(VALU_DEP_3) | instskip(SKIP_1) | instid1(VALU_DEP_3)
	v_dual_add_f32 v9, v9, v59 :: v_dual_fma_f32 v59, v212, v124, -v63
	v_dual_mul_f32 v19, v216, v129 :: v_dual_mul_f32 v21, v218, v131
	v_add_f32_e32 v7, v7, v13
	s_delay_alu instid0(VALU_DEP_3) | instskip(SKIP_2) | instid1(VALU_DEP_3)
	v_dual_mul_f32 v11, v223, v135 :: v_dual_add_f32 v9, v9, v57
	s_wait_loadcnt_dscnt 0xc06
	v_dual_mul_f32 v13, v225, v137 :: v_dual_fmac_f32 v17, v215, v126
	v_dual_fma_f32 v57, v214, v126, -v65 :: v_dual_add_f32 v7, v7, v15
	s_delay_alu instid0(VALU_DEP_3) | instskip(SKIP_1) | instid1(VALU_DEP_3)
	v_dual_add_f32 v9, v9, v59 :: v_dual_fma_f32 v59, v216, v128, -v67
	v_dual_mul_f32 v15, v227, v139 :: v_dual_fmac_f32 v19, v217, v128
	v_add_f32_e32 v7, v7, v17
	s_delay_alu instid0(VALU_DEP_3)
	v_dual_add_f32 v9, v9, v57 :: v_dual_fmac_f32 v21, v219, v130
	v_dual_mul_f32 v23, v220, v133 :: v_dual_mul_f32 v25, v222, v135
	s_wait_loadcnt_dscnt 0xb05
	v_dual_fma_f32 v57, v218, v130, -v69 :: v_dual_mul_f32 v17, v229, v141
	v_add_f32_e32 v7, v7, v19
	v_dual_add_f32 v9, v9, v59 :: v_dual_fma_f32 v55, v220, v132, -v55
	v_dual_mul_f32 v19, v231, v143 :: v_dual_fmac_f32 v23, v221, v132
	s_delay_alu instid0(VALU_DEP_3) | instskip(NEXT) | instid1(VALU_DEP_3)
	v_dual_add_f32 v7, v7, v21 :: v_dual_fma_f32 v11, v222, v134, -v11
	v_dual_add_f32 v9, v9, v57 :: v_dual_fmac_f32 v25, v223, v134
	v_dual_mul_f32 v27, v224, v137 :: v_dual_mul_f32 v29, v226, v139
	s_wait_loadcnt_dscnt 0xa04
	s_delay_alu instid0(VALU_DEP_3) | instskip(NEXT) | instid1(VALU_DEP_3)
	v_dual_mul_f32 v21, v233, v145 :: v_dual_add_f32 v7, v7, v23
	v_dual_add_f32 v9, v9, v55 :: v_dual_fma_f32 v13, v224, v136, -v13
	s_delay_alu instid0(VALU_DEP_3) | instskip(NEXT) | instid1(VALU_DEP_2)
	v_dual_mul_f32 v23, v235, v147 :: v_dual_fmac_f32 v27, v225, v136
	v_dual_add_f32 v7, v7, v25 :: v_dual_add_f32 v9, v9, v11
	v_dual_mul_f32 v31, v228, v141 :: v_dual_mul_f32 v33, v230, v143
	s_wait_loadcnt_dscnt 0x903
	v_dual_mul_f32 v11, v237, v149 :: v_dual_fmac_f32 v29, v227, v138
	s_delay_alu instid0(VALU_DEP_3) | instskip(SKIP_2) | instid1(VALU_DEP_2)
	v_dual_fma_f32 v15, v226, v138, -v15 :: v_dual_add_f32 v7, v7, v27
	v_dual_add_f32 v9, v9, v13 :: v_dual_mul_f32 v13, v239, v151
	v_dual_fmac_f32 v31, v229, v140 :: v_dual_fma_f32 v17, v228, v140, -v17
	v_dual_add_f32 v7, v7, v29 :: v_dual_add_f32 v9, v9, v15
	v_dual_mul_f32 v35, v232, v145 :: v_dual_mul_f32 v37, v234, v147
	s_wait_loadcnt_dscnt 0x802
	v_dual_mul_f32 v15, v241, v153 :: v_dual_fmac_f32 v33, v231, v142
	s_delay_alu instid0(VALU_DEP_3) | instskip(SKIP_2) | instid1(VALU_DEP_2)
	v_dual_fma_f32 v19, v230, v142, -v19 :: v_dual_add_f32 v7, v7, v31
	v_dual_add_f32 v9, v9, v17 :: v_dual_mul_f32 v17, v243, v155
	v_dual_fmac_f32 v35, v233, v144 :: v_dual_fma_f32 v21, v232, v144, -v21
	v_dual_add_f32 v7, v7, v33 :: v_dual_add_f32 v9, v9, v19
	v_dual_mul_f32 v39, v236, v149 :: v_dual_mul_f32 v41, v238, v151
	s_wait_loadcnt_dscnt 0x701
	v_dual_mul_f32 v19, v245, v157 :: v_dual_fmac_f32 v37, v235, v146
	s_delay_alu instid0(VALU_DEP_3) | instskip(SKIP_2) | instid1(VALU_DEP_3)
	v_dual_fma_f32 v23, v234, v146, -v23 :: v_dual_add_f32 v7, v7, v35
	v_dual_add_f32 v9, v9, v21 :: v_dual_mul_f32 v21, v247, v159
	v_fmac_f32_e32 v39, v237, v148
	v_dual_fma_f32 v11, v236, v148, -v11 :: v_dual_add_f32 v7, v7, v37
	s_delay_alu instid0(VALU_DEP_3)
	v_dual_add_f32 v9, v9, v23 :: v_dual_mul_f32 v43, v240, v153
	s_wait_loadcnt_dscnt 0x600
	v_dual_mul_f32 v45, v242, v155 :: v_dual_mul_f32 v23, v249, v161
	v_fmac_f32_e32 v41, v239, v150
	v_dual_fma_f32 v13, v238, v150, -v13 :: v_dual_add_f32 v7, v7, v39
	v_dual_add_f32 v9, v9, v11 :: v_dual_fma_f32 v15, v240, v152, -v15
	v_dual_mul_f32 v11, v251, v163 :: v_dual_fmac_f32 v43, v241, v152
	s_delay_alu instid0(VALU_DEP_3) | instskip(NEXT) | instid1(VALU_DEP_3)
	v_dual_add_f32 v7, v7, v41 :: v_dual_fma_f32 v17, v242, v154, -v17
	v_dual_add_f32 v9, v9, v13 :: v_dual_fmac_f32 v45, v243, v154
	v_dual_mul_f32 v47, v244, v157 :: v_dual_mul_f32 v49, v246, v159
	s_wait_loadcnt 0x5
	s_delay_alu instid0(VALU_DEP_3) | instskip(NEXT) | instid1(VALU_DEP_3)
	v_dual_mul_f32 v13, v201, v165 :: v_dual_add_f32 v7, v7, v43
	v_dual_add_f32 v9, v9, v15 :: v_dual_fma_f32 v19, v244, v156, -v19
	s_delay_alu instid0(VALU_DEP_3) | instskip(NEXT) | instid1(VALU_DEP_3)
	v_dual_mul_f32 v15, v203, v167 :: v_dual_fmac_f32 v47, v245, v156
	v_add_f32_e32 v7, v7, v45
	s_delay_alu instid0(VALU_DEP_3) | instskip(SKIP_1) | instid1(VALU_DEP_3)
	v_dual_add_f32 v9, v9, v17 :: v_dual_fmac_f32 v49, v247, v158
	v_dual_mul_f32 v51, v248, v161 :: v_dual_mul_f32 v53, v250, v163
	v_dual_fma_f32 v17, v246, v158, -v21 :: v_dual_add_f32 v7, v7, v47
	s_wait_loadcnt 0x4
	s_delay_alu instid0(VALU_DEP_3) | instskip(NEXT) | instid1(VALU_DEP_3)
	v_dual_add_f32 v9, v9, v19 :: v_dual_mov_b32 v118, v171
	v_fmac_f32_e32 v51, v249, v160
	s_delay_alu instid0(VALU_DEP_3) | instskip(NEXT) | instid1(VALU_DEP_3)
	v_dual_fma_f32 v19, v248, v160, -v23 :: v_dual_add_f32 v7, v7, v49
	v_dual_add_f32 v9, v9, v17 :: v_dual_fmac_f32 v53, v251, v162
	s_set_vgpr_msb 64                       ;  msbs: dst=1 src0=0 src1=0 src2=0
	v_dual_mul_f32 v7 /*v263*/, v200, v165 :: v_dual_mul_f32 v9 /*v265*/, v202, v167
	s_set_vgpr_msb 0                        ;  msbs: dst=0 src0=0 src1=0 src2=0
	v_dual_fma_f32 v11, v250, v162, -v11 :: v_dual_add_f32 v7, v7, v51
	s_wait_loadcnt 0x3
	v_dual_add_f32 v9, v9, v19 :: v_dual_mov_b32 v122, v175
	v_pk_mul_f32 v[116:117], v[184:185], v[168:169] op_sel:[1,1] op_sel_hi:[0,1]
	s_set_vgpr_msb 64                       ;  msbs: dst=1 src0=0 src1=0 src2=0
	v_dual_fmac_f32 v7 /*v263*/, v201, v164 :: v_dual_fmac_f32 v9 /*v265*/, v203, v166
	v_dual_fma_f32 v6 /*v262*/, v200, v164, -v13 :: v_dual_fma_f32 v8 /*v264*/, v202, v166, -v15
	s_set_vgpr_msb 0                        ;  msbs: dst=0 src0=0 src1=0 src2=0
	v_dual_add_f32 v125, v7, v53 :: v_dual_add_f32 v124, v9, v11
	v_pk_fma_f32 v[126:127], v[184:185], v[168:169], v[116:117] op_sel_hi:[1,0,1]
	v_pk_mul_f32 v[118:119], v[254:255], v[118:119] op_sel_hi:[1,0]
	v_pk_fma_f32 v[116:117], v[184:185], v[168:169], v[116:117] neg_lo:[0,0,1] neg_hi:[0,0,1]
	v_pk_mul_f32 v[120:121], v[188:189], v[172:173] op_sel:[1,1] op_sel_hi:[0,1]
	s_set_vgpr_msb 4                        ;  msbs: dst=0 src0=0 src1=1 src2=0
	v_pk_add_f32 v[124:125], v[124:125], v[6:7] /*v[262:263]*/
	v_mov_b32_e32 v117, v127
	s_set_vgpr_msb 0                        ;  msbs: dst=0 src0=0 src1=0 src2=0
	v_pk_fma_f32 v[126:127], v[186:187], v[170:171], v[118:119] op_sel_hi:[1,0,1]
	v_pk_fma_f32 v[118:119], v[186:187], v[170:171], v[118:119] neg_lo:[0,0,1] neg_hi:[0,0,1]
	v_pk_fma_f32 v[130:131], v[188:189], v[172:173], v[120:121] op_sel_hi:[1,0,1]
	s_set_vgpr_msb 4                        ;  msbs: dst=0 src0=0 src1=1 src2=0
	v_pk_add_f32 v[124:125], v[124:125], v[8:9] /*v[264:265]*/
	s_set_vgpr_msb 1                        ;  msbs: dst=0 src0=1 src1=0 src2=0
	v_pk_mul_f32 v[122:123], v[0:1] /*v[256:257]*/, v[122:123] op_sel_hi:[1,0]
	s_set_vgpr_msb 0                        ;  msbs: dst=0 src0=0 src1=0 src2=0
	v_mov_b32_e32 v119, v127
	s_wait_loadcnt 0x2
	v_pk_mul_f32 v[128:129], v[192:193], v[176:177] op_sel:[1,1] op_sel_hi:[0,1]
	v_pk_fma_f32 v[120:121], v[188:189], v[172:173], v[120:121] neg_lo:[0,0,1] neg_hi:[0,0,1]
	v_pk_add_f32 v[116:117], v[124:125], v[116:117]
	v_dual_mov_b32 v124, v179 :: v_dual_mov_b32 v121, v131
	v_pk_fma_f32 v[126:127], v[190:191], v[174:175], v[122:123] op_sel_hi:[1,0,1]
	v_pk_fma_f32 v[122:123], v[190:191], v[174:175], v[122:123] neg_lo:[0,0,1] neg_hi:[0,0,1]
	s_delay_alu instid0(VALU_DEP_4)
	v_pk_add_f32 v[116:117], v[116:117], v[118:119]
	v_pk_fma_f32 v[118:119], v[192:193], v[176:177], v[128:129] op_sel_hi:[1,0,1]
	s_set_vgpr_msb 1                        ;  msbs: dst=0 src0=1 src1=0 src2=0
	v_pk_mul_f32 v[124:125], v[2:3] /*v[258:259]*/, v[124:125] op_sel_hi:[1,0]
	s_set_vgpr_msb 0                        ;  msbs: dst=0 src0=0 src1=0 src2=0
	v_mov_b32_e32 v123, v127
	v_pk_fma_f32 v[126:127], v[192:193], v[176:177], v[128:129] neg_lo:[0,0,1] neg_hi:[0,0,1]
	v_pk_add_f32 v[116:117], v[116:117], v[120:121]
	v_mov_b32_e32 v127, v119
	v_pk_fma_f32 v[118:119], v[194:195], v[178:179], v[124:125] op_sel_hi:[1,0,1]
	s_wait_loadcnt 0x1
	v_pk_mul_f32 v[120:121], v[196:197], v[180:181] op_sel:[1,1] op_sel_hi:[0,1]
	v_mov_b32_e32 v118, v183
	v_pk_add_f32 v[116:117], v[116:117], v[122:123]
	v_pk_fma_f32 v[124:125], v[194:195], v[178:179], v[124:125] neg_lo:[0,0,1] neg_hi:[0,0,1]
	v_mov_b32_e32 v125, v119
	v_pk_fma_f32 v[122:123], v[196:197], v[180:181], v[120:121] op_sel_hi:[1,0,1]
	s_set_vgpr_msb 1                        ;  msbs: dst=0 src0=1 src1=0 src2=0
	v_pk_mul_f32 v[118:119], v[4:5] /*v[260:261]*/, v[118:119] op_sel_hi:[1,0]
	s_set_vgpr_msb 0                        ;  msbs: dst=0 src0=0 src1=0 src2=0
	v_pk_add_f32 v[116:117], v[116:117], v[126:127]
	v_pk_fma_f32 v[120:121], v[196:197], v[180:181], v[120:121] neg_lo:[0,0,1] neg_hi:[0,0,1]
	v_mov_b32_e32 v121, v123
	v_pk_fma_f32 v[122:123], v[198:199], v[182:183], v[118:119] op_sel_hi:[1,0,1]
	s_delay_alu instid0(VALU_DEP_4) | instskip(SKIP_1) | instid1(VALU_DEP_3)
	v_pk_add_f32 v[116:117], v[116:117], v[124:125]
	v_pk_fma_f32 v[118:119], v[198:199], v[182:183], v[118:119] neg_lo:[0,0,1] neg_hi:[0,0,1]
	v_mov_b32_e32 v119, v123
	s_delay_alu instid0(VALU_DEP_3) | instskip(NEXT) | instid1(VALU_DEP_1)
	v_pk_add_f32 v[116:117], v[116:117], v[120:121]
	v_pk_add_f32 v[116:117], v[116:117], v[118:119]
	s_wait_loadcnt 0x0
	s_delay_alu instid0(VALU_DEP_1)
	v_pk_add_f32 v[116:117], v[252:253], v[116:117] neg_lo:[0,1] neg_hi:[0,1]
	scratch_store_b64 off, v[116:117], off offset:176
	s_wait_xcnt 0x0
	v_cmpx_lt_u32_e32 21, v0
	s_cbranch_execz .LBB120_313
; %bb.312:
	scratch_load_b64 v[116:117], off, off offset:168
	v_mov_b64_e32 v[118:119], 0
	scratch_store_b64 off, v[118:119], off offset:168
	s_wait_loadcnt 0x0
	ds_store_b64 v1, v[116:117]
.LBB120_313:
	s_wait_xcnt 0x0
	s_or_b32 exec_lo, exec_lo, s0
	s_wait_storecnt_dscnt 0x0
	s_barrier_signal -1
	s_barrier_wait -1
	s_clause 0x12
	scratch_load_b128 v[116:119], off, off offset:176
	scratch_load_b128 v[120:123], off, off offset:192
	;; [unrolled: 1-line block ×17, first 2 shown]
	scratch_load_b64 v[252:253], off, off offset:448
	scratch_load_b64 v[254:255], off, off offset:168
	v_mov_b32_e32 v7, 0
	ds_load_b128 v[184:187], v7 offset:848
	ds_load_b128 v[188:191], v7 offset:864
	;; [unrolled: 1-line block ×17, first 2 shown]
	s_set_vgpr_msb 64                       ;  msbs: dst=1 src0=0 src1=0 src2=0
	ds_load_b64 v[0:1] /*v[256:257]*/, v7 offset:912
	s_mov_b32 s0, exec_lo
	s_wait_dscnt 0x11
	v_dual_mov_b32 v2 /*v258*/, v187 :: v_dual_mov_b32 v3 /*v259*/, v186
	s_wait_dscnt 0x10
	v_dual_mov_b32 v4 /*v260*/, v191 :: v_dual_mov_b32 v5 /*v261*/, v190
	;; [unrolled: 2-line block ×4, first 2 shown]
	s_wait_loadcnt_dscnt 0x120c
	s_set_vgpr_msb 0                        ;  msbs: dst=0 src0=0 src1=0 src2=0
	v_dual_mul_f32 v9, v204, v117 :: v_dual_mul_f32 v59, v205, v117
	v_dual_mul_f32 v61, v207, v119 :: v_dual_mul_f32 v11, v206, v119
	s_wait_loadcnt_dscnt 0x110b
	v_mul_f32_e32 v13, v208, v121
	s_wait_loadcnt_dscnt 0xf09
	v_dual_mul_f32 v71, v217, v129 :: v_dual_fma_f32 v59, v204, v116, -v59
	v_dual_fmac_f32 v9, v205, v116 :: v_dual_mul_f32 v73, v219, v131
	v_dual_mul_f32 v63, v209, v121 :: v_dual_mul_f32 v65, v211, v123
	v_dual_fmac_f32 v11, v207, v118 :: v_dual_fma_f32 v61, v206, v118, -v61
	s_delay_alu instid0(VALU_DEP_3) | instskip(SKIP_4) | instid1(VALU_DEP_3)
	v_dual_add_f32 v9, 0, v9 :: v_dual_add_f32 v59, 0, v59
	v_dual_mul_f32 v15, v210, v123 :: v_dual_mul_f32 v17, v212, v125
	s_wait_loadcnt_dscnt 0xe08
	v_dual_mul_f32 v75, v221, v133 :: v_dual_fma_f32 v63, v208, v120, -v63
	v_fmac_f32_e32 v13, v209, v120
	v_dual_add_f32 v9, v9, v11 :: v_dual_fmac_f32 v15, v211, v122
	v_add_f32_e32 v11, v59, v61
	v_dual_mul_f32 v67, v213, v125 :: v_dual_mul_f32 v69, v215, v127
	v_dual_mul_f32 v59, v223, v135 :: v_dual_fma_f32 v61, v210, v122, -v65
	s_delay_alu instid0(VALU_DEP_3) | instskip(SKIP_3) | instid1(VALU_DEP_3)
	v_dual_add_f32 v9, v9, v13 :: v_dual_add_f32 v11, v11, v63
	v_dual_mul_f32 v19, v214, v127 :: v_dual_mul_f32 v21, v216, v129
	s_wait_loadcnt_dscnt 0xd07
	v_dual_mul_f32 v13, v225, v137 :: v_dual_fma_f32 v63, v212, v124, -v67
	v_dual_fmac_f32 v17, v213, v124 :: v_dual_add_f32 v11, v11, v61
	s_delay_alu instid0(VALU_DEP_3) | instskip(SKIP_1) | instid1(VALU_DEP_2)
	v_dual_add_f32 v9, v9, v15 :: v_dual_fmac_f32 v19, v215, v126
	v_dual_mul_f32 v15, v227, v139 :: v_dual_fma_f32 v61, v214, v126, -v69
	v_dual_add_f32 v11, v11, v63 :: v_dual_add_f32 v9, v9, v17
	v_dual_mul_f32 v23, v218, v131 :: v_dual_mul_f32 v25, v220, v133
	s_wait_loadcnt_dscnt 0xc06
	v_dual_mul_f32 v17, v229, v141 :: v_dual_fma_f32 v63, v216, v128, -v71
	s_delay_alu instid0(VALU_DEP_3) | instskip(NEXT) | instid1(VALU_DEP_3)
	v_dual_fmac_f32 v21, v217, v128 :: v_dual_add_f32 v11, v11, v61
	v_dual_add_f32 v9, v9, v19 :: v_dual_fmac_f32 v23, v219, v130
	v_dual_mul_f32 v19, v231, v143 :: v_dual_fma_f32 v61, v218, v130, -v73
	s_delay_alu instid0(VALU_DEP_2) | instskip(SKIP_3) | instid1(VALU_DEP_3)
	v_dual_add_f32 v11, v11, v63 :: v_dual_add_f32 v9, v9, v21
	v_dual_mul_f32 v27, v222, v135 :: v_dual_mul_f32 v29, v224, v137
	s_wait_loadcnt_dscnt 0xb05
	v_dual_mul_f32 v21, v233, v145 :: v_dual_fma_f32 v63, v220, v132, -v75
	v_dual_fmac_f32 v25, v221, v132 :: v_dual_add_f32 v11, v11, v61
	s_delay_alu instid0(VALU_DEP_3) | instskip(SKIP_1) | instid1(VALU_DEP_2)
	v_dual_add_f32 v9, v9, v23 :: v_dual_fmac_f32 v27, v223, v134
	v_dual_mul_f32 v23, v235, v147 :: v_dual_fma_f32 v59, v222, v134, -v59
	v_dual_add_f32 v11, v11, v63 :: v_dual_add_f32 v9, v9, v25
	v_dual_mul_f32 v31, v226, v139 :: v_dual_mul_f32 v33, v228, v141
	s_wait_loadcnt_dscnt 0xa04
	v_dual_mul_f32 v25, v237, v149 :: v_dual_fma_f32 v13, v224, v136, -v13
	s_delay_alu instid0(VALU_DEP_3) | instskip(NEXT) | instid1(VALU_DEP_3)
	v_dual_fmac_f32 v29, v225, v136 :: v_dual_add_f32 v11, v11, v59
	v_dual_add_f32 v9, v9, v27 :: v_dual_fmac_f32 v31, v227, v138
	v_dual_mul_f32 v27, v239, v151 :: v_dual_fma_f32 v15, v226, v138, -v15
	s_delay_alu instid0(VALU_DEP_3) | instskip(NEXT) | instid1(VALU_DEP_3)
	v_dual_add_f32 v11, v11, v13 :: v_dual_fmac_f32 v33, v229, v140
	v_dual_add_f32 v9, v9, v29 :: v_dual_fma_f32 v17, v228, v140, -v17
	v_dual_mul_f32 v35, v230, v143 :: v_dual_mul_f32 v37, v232, v145
	s_wait_loadcnt_dscnt 0x903
	s_delay_alu instid0(VALU_DEP_3) | instskip(NEXT) | instid1(VALU_DEP_2)
	v_dual_mul_f32 v13, v241, v153 :: v_dual_add_f32 v11, v11, v15
	v_dual_add_f32 v9, v9, v31 :: v_dual_fmac_f32 v35, v231, v142
	v_dual_mul_f32 v15, v243, v155 :: v_dual_fma_f32 v19, v230, v142, -v19
	s_delay_alu instid0(VALU_DEP_3) | instskip(NEXT) | instid1(VALU_DEP_3)
	v_dual_add_f32 v11, v11, v17 :: v_dual_fmac_f32 v37, v233, v144
	v_dual_add_f32 v9, v9, v33 :: v_dual_fma_f32 v21, v232, v144, -v21
	v_dual_mul_f32 v39, v234, v147 :: v_dual_mul_f32 v41, v236, v149
	s_wait_loadcnt_dscnt 0x802
	s_delay_alu instid0(VALU_DEP_3) | instskip(NEXT) | instid1(VALU_DEP_2)
	v_dual_mul_f32 v17, v245, v157 :: v_dual_add_f32 v11, v11, v19
	;; [unrolled: 9-line block ×3, first 2 shown]
	v_dual_add_f32 v9, v9, v39 :: v_dual_fmac_f32 v43, v239, v150
	v_dual_mul_f32 v23, v251, v163 :: v_dual_fma_f32 v27, v238, v150, -v27
	s_delay_alu instid0(VALU_DEP_3) | instskip(NEXT) | instid1(VALU_DEP_3)
	v_dual_add_f32 v11, v11, v25 :: v_dual_fmac_f32 v45, v241, v152
	v_dual_add_f32 v9, v9, v41 :: v_dual_fma_f32 v13, v240, v152, -v13
	v_dual_mul_f32 v47, v242, v155 :: v_dual_mul_f32 v49, v244, v157
	s_wait_loadcnt 0x6
	s_delay_alu instid0(VALU_DEP_3) | instskip(NEXT) | instid1(VALU_DEP_2)
	v_dual_mul_f32 v25, v197, v165 :: v_dual_add_f32 v11, v11, v27
	v_dual_add_f32 v9, v9, v43 :: v_dual_fmac_f32 v47, v243, v154
	v_dual_mul_f32 v27, v199, v167 :: v_dual_fma_f32 v15, v242, v154, -v15
	s_delay_alu instid0(VALU_DEP_3) | instskip(NEXT) | instid1(VALU_DEP_3)
	v_dual_add_f32 v11, v11, v13 :: v_dual_fmac_f32 v49, v245, v156
	v_dual_add_f32 v9, v9, v45 :: v_dual_fma_f32 v17, v244, v156, -v17
	v_dual_mul_f32 v51, v246, v159 :: v_dual_mul_f32 v53, v248, v161
	s_wait_loadcnt 0x5
	s_delay_alu instid0(VALU_DEP_3) | instskip(NEXT) | instid1(VALU_DEP_3)
	v_dual_mul_f32 v13, v185, v169 :: v_dual_add_f32 v11, v11, v15
	v_dual_add_f32 v9, v9, v47 :: v_dual_mov_b32 v116, v171
	s_delay_alu instid0(VALU_DEP_3) | instskip(NEXT) | instid1(VALU_DEP_3)
	v_fmac_f32_e32 v51, v247, v158
	v_dual_fma_f32 v15, v246, v158, -v19 :: v_dual_add_f32 v11, v11, v17
	s_delay_alu instid0(VALU_DEP_3) | instskip(SKIP_1) | instid1(VALU_DEP_3)
	v_dual_add_f32 v9, v9, v49 :: v_dual_mul_f32 v55, v250, v163
	v_dual_mul_f32 v57, v196, v165 :: v_dual_fmac_f32 v53, v249, v160
	v_dual_add_f32 v11, v11, v15 :: v_dual_fma_f32 v17, v248, v160, -v21
	s_wait_loadcnt 0x4
	s_delay_alu instid0(VALU_DEP_3) | instskip(SKIP_3) | instid1(VALU_DEP_4)
	v_dual_add_f32 v9, v9, v51 :: v_dual_mov_b32 v120, v175
	v_fma_f32 v15, v250, v162, -v23
	v_fmac_f32_e32 v55, v251, v162
	v_dual_add_f32 v11, v11, v17 :: v_dual_fmac_f32 v57, v197, v164
	v_add_f32_e32 v9, v9, v53
	s_set_vgpr_msb 64                       ;  msbs: dst=1 src0=0 src1=0 src2=0
	v_dual_mul_f32 v11 /*v267*/, v198, v167 :: v_dual_mul_f32 v13 /*v269*/, v184, v169
	s_set_vgpr_msb 0                        ;  msbs: dst=0 src0=0 src1=0 src2=0
	v_fma_f32 v17, v196, v164, -v25
	s_set_vgpr_msb 1                        ;  msbs: dst=0 src0=1 src1=0 src2=0
	v_pk_mul_f32 v[116:117], v[2:3] /*v[258:259]*/, v[116:117] op_sel_hi:[1,0]
	s_set_vgpr_msb 0                        ;  msbs: dst=0 src0=0 src1=0 src2=0
	v_add_f32_e32 v9, v9, v55
	v_add_f32_e32 v11, v11, v15
	s_set_vgpr_msb 64                       ;  msbs: dst=1 src0=0 src1=0 src2=0
	v_dual_fmac_f32 v11 /*v267*/, v199, v166 :: v_dual_fmac_f32 v13 /*v269*/, v185, v168
	v_dual_fma_f32 v10 /*v266*/, v198, v166, -v27 :: v_dual_fma_f32 v12 /*v268*/, v184, v168, -v13
	s_set_vgpr_msb 0                        ;  msbs: dst=0 src0=0 src1=0 src2=0
	v_add_f32_e32 v125, v9, v57
	v_pk_fma_f32 v[128:129], v[186:187], v[170:171], v[116:117] op_sel_hi:[1,0,1]
	v_add_f32_e32 v124, v11, v17
	v_pk_fma_f32 v[116:117], v[186:187], v[170:171], v[116:117] neg_lo:[0,0,1] neg_hi:[0,0,1]
	v_pk_mul_f32 v[118:119], v[188:189], v[172:173] op_sel:[1,1] op_sel_hi:[0,1]
	s_set_vgpr_msb 1                        ;  msbs: dst=0 src0=1 src1=0 src2=0
	v_pk_mul_f32 v[120:121], v[4:5] /*v[260:261]*/, v[120:121] op_sel_hi:[1,0]
	s_set_vgpr_msb 4                        ;  msbs: dst=0 src0=0 src1=1 src2=0
	v_mov_b32_e32 v117, v129
	v_pk_add_f32 v[124:125], v[124:125], v[10:11] /*v[266:267]*/
	s_wait_loadcnt 0x3
	s_set_vgpr_msb 0                        ;  msbs: dst=0 src0=0 src1=0 src2=0
	v_pk_mul_f32 v[122:123], v[192:193], v[176:177] op_sel:[1,1] op_sel_hi:[0,1]
	v_pk_fma_f32 v[130:131], v[188:189], v[172:173], v[118:119] op_sel_hi:[1,0,1]
	v_pk_fma_f32 v[118:119], v[188:189], v[172:173], v[118:119] neg_lo:[0,0,1] neg_hi:[0,0,1]
	v_mov_b32_e32 v126, v179
	s_set_vgpr_msb 4                        ;  msbs: dst=0 src0=0 src1=1 src2=0
	v_pk_add_f32 v[124:125], v[124:125], v[12:13] /*v[268:269]*/
	s_wait_loadcnt 0x2
	s_set_vgpr_msb 0                        ;  msbs: dst=0 src0=0 src1=0 src2=0
	v_pk_mul_f32 v[128:129], v[200:201], v[180:181] op_sel:[1,1] op_sel_hi:[0,1]
	v_mov_b32_e32 v119, v131
	v_pk_fma_f32 v[130:131], v[190:191], v[174:175], v[120:121] op_sel_hi:[1,0,1]
	v_pk_fma_f32 v[120:121], v[190:191], v[174:175], v[120:121] neg_lo:[0,0,1] neg_hi:[0,0,1]
	v_pk_add_f32 v[116:117], v[124:125], v[116:117]
	v_pk_fma_f32 v[124:125], v[192:193], v[176:177], v[122:123] op_sel_hi:[1,0,1]
	s_set_vgpr_msb 1                        ;  msbs: dst=0 src0=1 src1=0 src2=0
	v_pk_mul_f32 v[126:127], v[6:7] /*v[262:263]*/, v[126:127] op_sel_hi:[1,0]
	s_set_vgpr_msb 0                        ;  msbs: dst=0 src0=0 src1=0 src2=0
	v_mov_b32_e32 v121, v131
	v_pk_fma_f32 v[122:123], v[192:193], v[176:177], v[122:123] neg_lo:[0,0,1] neg_hi:[0,0,1]
	v_pk_add_f32 v[116:117], v[116:117], v[118:119]
	v_dual_mov_b32 v118, v183 :: v_dual_mov_b32 v123, v125
	v_pk_fma_f32 v[124:125], v[194:195], v[178:179], v[126:127] op_sel_hi:[1,0,1]
	v_pk_fma_f32 v[126:127], v[194:195], v[178:179], v[126:127] neg_lo:[0,0,1] neg_hi:[0,0,1]
	s_delay_alu instid0(VALU_DEP_4)
	v_pk_add_f32 v[116:117], v[116:117], v[120:121]
	v_pk_fma_f32 v[120:121], v[200:201], v[180:181], v[128:129] op_sel_hi:[1,0,1]
	s_set_vgpr_msb 1                        ;  msbs: dst=0 src0=1 src1=0 src2=0
	v_pk_mul_f32 v[118:119], v[8:9] /*v[264:265]*/, v[118:119] op_sel_hi:[1,0]
	s_set_vgpr_msb 0                        ;  msbs: dst=0 src0=0 src1=0 src2=0
	v_mov_b32_e32 v127, v125
	s_wait_loadcnt_dscnt 0x100
	s_set_vgpr_msb 1                        ;  msbs: dst=0 src0=1 src1=0 src2=0
	v_pk_mul_f32 v[124:125], v[0:1] /*v[256:257]*/, v[252:253] op_sel:[1,1] op_sel_hi:[0,1]
	s_set_vgpr_msb 0                        ;  msbs: dst=0 src0=0 src1=0 src2=0
	v_pk_add_f32 v[116:117], v[116:117], v[122:123]
	v_pk_fma_f32 v[122:123], v[200:201], v[180:181], v[128:129] neg_lo:[0,0,1] neg_hi:[0,0,1]
	v_mov_b32_e32 v123, v121
	v_pk_fma_f32 v[120:121], v[202:203], v[182:183], v[118:119] op_sel_hi:[1,0,1]
	v_pk_fma_f32 v[118:119], v[202:203], v[182:183], v[118:119] neg_lo:[0,0,1] neg_hi:[0,0,1]
	v_pk_add_f32 v[116:117], v[116:117], v[126:127]
	s_delay_alu instid0(VALU_DEP_3)
	v_mov_b32_e32 v119, v121
	s_set_vgpr_msb 1                        ;  msbs: dst=0 src0=1 src1=0 src2=0
	v_pk_fma_f32 v[120:121], v[0:1] /*v[256:257]*/, v[252:253], v[124:125] op_sel_hi:[1,0,1]
	s_set_vgpr_msb 0                        ;  msbs: dst=0 src0=0 src1=0 src2=0
	v_pk_add_f32 v[116:117], v[116:117], v[122:123]
	s_set_vgpr_msb 1                        ;  msbs: dst=0 src0=1 src1=0 src2=0
	v_pk_fma_f32 v[122:123], v[0:1] /*v[256:257]*/, v[252:253], v[124:125] neg_lo:[0,0,1] neg_hi:[0,0,1]
	s_set_vgpr_msb 0                        ;  msbs: dst=0 src0=0 src1=0 src2=0
	v_mov_b32_e32 v123, v121
	v_pk_add_f32 v[116:117], v[116:117], v[118:119]
	s_delay_alu instid0(VALU_DEP_1) | instskip(SKIP_1) | instid1(VALU_DEP_1)
	v_pk_add_f32 v[116:117], v[116:117], v[122:123]
	s_wait_loadcnt 0x0
	v_pk_add_f32 v[116:117], v[254:255], v[116:117] neg_lo:[0,1] neg_hi:[0,1]
	scratch_store_b64 off, v[116:117], off offset:168
	s_wait_xcnt 0x0
	v_cmpx_lt_u32_e32 20, v0
	s_cbranch_execz .LBB120_315
; %bb.314:
	scratch_load_b64 v[116:117], off, off offset:160
	v_mov_b64_e32 v[118:119], 0
	scratch_store_b64 off, v[118:119], off offset:160
	s_wait_loadcnt 0x0
	ds_store_b64 v1, v[116:117]
.LBB120_315:
	s_wait_xcnt 0x0
	s_or_b32 exec_lo, exec_lo, s0
	s_wait_storecnt_dscnt 0x0
	s_barrier_signal -1
	s_barrier_wait -1
	s_clause 0x13
	scratch_load_b128 v[116:119], off, off offset:168
	scratch_load_b128 v[120:123], off, off offset:184
	;; [unrolled: 1-line block ×18, first 2 shown]
	s_set_vgpr_msb 64                       ;  msbs: dst=1 src0=0 src1=0 src2=0
	scratch_load_b64 v[4:5] /*v[260:261]*/, off, off offset:160
	s_set_vgpr_msb 0                        ;  msbs: dst=0 src0=0 src1=0 src2=0
	ds_load_2addr_b64 v[188:191], v7 offset0:107 offset1:108
	ds_load_2addr_b64 v[192:195], v7 offset0:109 offset1:110
	;; [unrolled: 1-line block ×17, first 2 shown]
	s_set_vgpr_msb 64                       ;  msbs: dst=1 src0=0 src1=0 src2=0
	ds_load_2addr_b64 v[0:3] /*v[256:259]*/, v7 offset0:105 offset1:106
	s_mov_b32 s0, exec_lo
	s_wait_dscnt 0x11
	v_dual_mov_b32 v6 /*v262*/, v191 :: v_dual_mov_b32 v7 /*v263*/, v190
	s_wait_dscnt 0x10
	v_dual_mov_b32 v8 /*v264*/, v195 :: v_dual_mov_b32 v9 /*v265*/, v194
	;; [unrolled: 2-line block ×4, first 2 shown]
	s_wait_loadcnt_dscnt 0x120d
	s_set_vgpr_msb 0                        ;  msbs: dst=0 src0=0 src1=0 src2=0
	v_dual_mul_f32 v7, v204, v117 :: v_dual_mul_f32 v9, v206, v119
	v_dual_mul_f32 v59, v205, v117 :: v_dual_mul_f32 v61, v207, v119
	s_wait_loadcnt_dscnt 0x110c
	v_dual_mul_f32 v11, v208, v121 :: v_dual_mul_f32 v13, v210, v123
	s_delay_alu instid0(VALU_DEP_3) | instskip(SKIP_3) | instid1(VALU_DEP_3)
	v_dual_fmac_f32 v7, v205, v116 :: v_dual_fmac_f32 v9, v207, v118
	s_wait_loadcnt_dscnt 0xf0a
	v_dual_fma_f32 v59, v204, v116, -v59 :: v_dual_mul_f32 v71, v217, v129
	v_dual_mul_f32 v63, v209, v121 :: v_dual_mul_f32 v65, v211, v123
	v_dual_fma_f32 v61, v206, v118, -v61 :: v_dual_add_f32 v7, 0, v7
	s_delay_alu instid0(VALU_DEP_3) | instskip(SKIP_1) | instid1(VALU_DEP_4)
	v_dual_add_f32 v59, 0, v59 :: v_dual_fmac_f32 v11, v209, v120
	v_dual_mul_f32 v15, v212, v125 :: v_dual_mul_f32 v17, v214, v127
	v_dual_mul_f32 v73, v219, v131 :: v_dual_fma_f32 v63, v208, v120, -v63
	s_delay_alu instid0(VALU_DEP_4) | instskip(NEXT) | instid1(VALU_DEP_3)
	v_add_f32_e32 v7, v7, v9
	v_dual_add_f32 v9, v59, v61 :: v_dual_fmac_f32 v15, v213, v124
	v_dual_mul_f32 v67, v213, v125 :: v_dual_mul_f32 v69, v215, v127
	s_wait_loadcnt_dscnt 0xe09
	v_dual_mul_f32 v59, v221, v133 :: v_dual_fmac_f32 v13, v211, v122
	v_dual_fma_f32 v61, v210, v122, -v65 :: v_dual_add_f32 v7, v7, v11
	s_delay_alu instid0(VALU_DEP_3) | instskip(SKIP_1) | instid1(VALU_DEP_3)
	v_dual_add_f32 v9, v9, v63 :: v_dual_fma_f32 v63, v212, v124, -v67
	v_dual_mul_f32 v19, v216, v129 :: v_dual_mul_f32 v21, v218, v131
	v_add_f32_e32 v7, v7, v13
	s_delay_alu instid0(VALU_DEP_3) | instskip(SKIP_2) | instid1(VALU_DEP_3)
	v_dual_mul_f32 v11, v223, v135 :: v_dual_add_f32 v9, v9, v61
	s_wait_loadcnt_dscnt 0xd08
	v_dual_mul_f32 v13, v225, v137 :: v_dual_fmac_f32 v17, v215, v126
	v_dual_fma_f32 v61, v214, v126, -v69 :: v_dual_add_f32 v7, v7, v15
	s_delay_alu instid0(VALU_DEP_3) | instskip(SKIP_1) | instid1(VALU_DEP_3)
	v_dual_add_f32 v9, v9, v63 :: v_dual_fma_f32 v63, v216, v128, -v71
	v_dual_mul_f32 v15, v227, v139 :: v_dual_fmac_f32 v19, v217, v128
	v_add_f32_e32 v7, v7, v17
	s_delay_alu instid0(VALU_DEP_3)
	v_dual_add_f32 v9, v9, v61 :: v_dual_fmac_f32 v21, v219, v130
	v_dual_mul_f32 v23, v220, v133 :: v_dual_mul_f32 v25, v222, v135
	s_wait_loadcnt_dscnt 0xc07
	v_dual_fma_f32 v61, v218, v130, -v73 :: v_dual_mul_f32 v17, v229, v141
	v_add_f32_e32 v7, v7, v19
	v_dual_add_f32 v9, v9, v63 :: v_dual_fma_f32 v59, v220, v132, -v59
	v_dual_mul_f32 v19, v231, v143 :: v_dual_fmac_f32 v23, v221, v132
	s_delay_alu instid0(VALU_DEP_3) | instskip(NEXT) | instid1(VALU_DEP_3)
	v_dual_add_f32 v7, v7, v21 :: v_dual_fma_f32 v11, v222, v134, -v11
	v_dual_add_f32 v9, v9, v61 :: v_dual_fmac_f32 v25, v223, v134
	v_dual_mul_f32 v27, v224, v137 :: v_dual_mul_f32 v29, v226, v139
	s_wait_loadcnt_dscnt 0xb06
	s_delay_alu instid0(VALU_DEP_3) | instskip(NEXT) | instid1(VALU_DEP_3)
	v_dual_mul_f32 v21, v233, v145 :: v_dual_add_f32 v7, v7, v23
	v_dual_add_f32 v9, v9, v59 :: v_dual_fma_f32 v13, v224, v136, -v13
	s_delay_alu instid0(VALU_DEP_3) | instskip(NEXT) | instid1(VALU_DEP_2)
	v_dual_mul_f32 v23, v235, v147 :: v_dual_fmac_f32 v27, v225, v136
	v_dual_add_f32 v7, v7, v25 :: v_dual_add_f32 v9, v9, v11
	v_dual_mul_f32 v31, v228, v141 :: v_dual_mul_f32 v33, v230, v143
	s_wait_loadcnt_dscnt 0xa05
	v_dual_mul_f32 v11, v237, v149 :: v_dual_fmac_f32 v29, v227, v138
	s_delay_alu instid0(VALU_DEP_3) | instskip(SKIP_2) | instid1(VALU_DEP_2)
	v_dual_fma_f32 v15, v226, v138, -v15 :: v_dual_add_f32 v7, v7, v27
	v_dual_add_f32 v9, v9, v13 :: v_dual_mul_f32 v13, v239, v151
	v_dual_fmac_f32 v31, v229, v140 :: v_dual_fma_f32 v17, v228, v140, -v17
	v_dual_add_f32 v7, v7, v29 :: v_dual_add_f32 v9, v9, v15
	v_dual_mul_f32 v35, v232, v145 :: v_dual_mul_f32 v37, v234, v147
	s_wait_loadcnt_dscnt 0x904
	v_dual_mul_f32 v15, v241, v153 :: v_dual_fmac_f32 v33, v231, v142
	s_delay_alu instid0(VALU_DEP_3) | instskip(SKIP_2) | instid1(VALU_DEP_2)
	v_dual_fma_f32 v19, v230, v142, -v19 :: v_dual_add_f32 v7, v7, v31
	v_dual_add_f32 v9, v9, v17 :: v_dual_mul_f32 v17, v243, v155
	v_dual_fmac_f32 v35, v233, v144 :: v_dual_fma_f32 v21, v232, v144, -v21
	v_dual_add_f32 v7, v7, v33 :: v_dual_add_f32 v9, v9, v19
	v_dual_mul_f32 v39, v236, v149 :: v_dual_mul_f32 v41, v238, v151
	s_wait_loadcnt_dscnt 0x803
	v_dual_mul_f32 v19, v245, v157 :: v_dual_fmac_f32 v37, v235, v146
	s_delay_alu instid0(VALU_DEP_3) | instskip(SKIP_2) | instid1(VALU_DEP_3)
	v_dual_fma_f32 v23, v234, v146, -v23 :: v_dual_add_f32 v7, v7, v35
	v_dual_add_f32 v9, v9, v21 :: v_dual_mul_f32 v21, v247, v159
	v_fmac_f32_e32 v39, v237, v148
	v_dual_fma_f32 v11, v236, v148, -v11 :: v_dual_add_f32 v7, v7, v37
	s_delay_alu instid0(VALU_DEP_3)
	v_dual_add_f32 v9, v9, v23 :: v_dual_mul_f32 v43, v240, v153
	s_wait_loadcnt_dscnt 0x702
	v_dual_mul_f32 v45, v242, v155 :: v_dual_mul_f32 v23, v249, v161
	v_fmac_f32_e32 v41, v239, v150
	v_dual_fma_f32 v13, v238, v150, -v13 :: v_dual_add_f32 v7, v7, v39
	v_dual_add_f32 v9, v9, v11 :: v_dual_fma_f32 v15, v240, v152, -v15
	v_dual_mul_f32 v11, v251, v163 :: v_dual_fmac_f32 v43, v241, v152
	s_delay_alu instid0(VALU_DEP_3) | instskip(NEXT) | instid1(VALU_DEP_3)
	v_dual_add_f32 v7, v7, v41 :: v_dual_fma_f32 v17, v242, v154, -v17
	v_dual_add_f32 v9, v9, v13 :: v_dual_fmac_f32 v45, v243, v154
	v_dual_mul_f32 v47, v244, v157 :: v_dual_mul_f32 v49, v246, v159
	s_wait_loadcnt_dscnt 0x601
	s_delay_alu instid0(VALU_DEP_3) | instskip(NEXT) | instid1(VALU_DEP_3)
	v_dual_mul_f32 v13, v253, v165 :: v_dual_add_f32 v7, v7, v43
	v_dual_add_f32 v9, v9, v15 :: v_dual_fma_f32 v19, v244, v156, -v19
	s_delay_alu instid0(VALU_DEP_3) | instskip(NEXT) | instid1(VALU_DEP_3)
	v_dual_mul_f32 v15, v255, v167 :: v_dual_fmac_f32 v47, v245, v156
	v_dual_add_f32 v7, v7, v45 :: v_dual_fma_f32 v21, v246, v158, -v21
	s_delay_alu instid0(VALU_DEP_3) | instskip(SKIP_1) | instid1(VALU_DEP_3)
	v_dual_add_f32 v9, v9, v17 :: v_dual_fmac_f32 v49, v247, v158
	v_dual_mul_f32 v51, v248, v161 :: v_dual_mul_f32 v53, v250, v163
	v_add_f32_e32 v7, v7, v47
	s_delay_alu instid0(VALU_DEP_3) | instskip(NEXT) | instid1(VALU_DEP_3)
	v_dual_add_f32 v9, v9, v19 :: v_dual_fma_f32 v23, v248, v160, -v23
	v_dual_fmac_f32 v51, v249, v160 :: v_dual_mul_f32 v55, v252, v165
	s_delay_alu instid0(VALU_DEP_3) | instskip(NEXT) | instid1(VALU_DEP_3)
	v_dual_mul_f32 v57, v254, v167 :: v_dual_add_f32 v7, v7, v49
	v_dual_fma_f32 v11, v250, v162, -v11 :: v_dual_add_f32 v9, v9, v21
	v_fmac_f32_e32 v53, v251, v162
	s_wait_loadcnt 0x4
	v_mov_b32_e32 v118, v175
	v_dual_add_f32 v7, v7, v51 :: v_dual_fmac_f32 v55, v253, v164
	v_dual_add_f32 v9, v9, v23 :: v_dual_fma_f32 v13, v252, v164, -v13
	s_wait_dscnt 0x0
	s_set_vgpr_msb 0x41                     ;  msbs: dst=1 src0=1 src1=0 src2=0
	v_dual_mul_f32 v15 /*v271*/, v0 /*v256*/, v169 :: v_dual_mul_f32 v17 /*v273*/, v2 /*v258*/, v171
	s_set_vgpr_msb 0                        ;  msbs: dst=0 src0=0 src1=0 src2=0
	v_dual_add_f32 v7, v7, v53 :: v_dual_add_f32 v9, v9, v11
	v_fmac_f32_e32 v57, v255, v166
	s_set_vgpr_msb 1                        ;  msbs: dst=0 src0=1 src1=0 src2=0
	v_dual_mul_f32 v17, v1 /*v257*/, v169 :: v_dual_mul_f32 v19, v3 /*v259*/, v171
	s_set_vgpr_msb 0                        ;  msbs: dst=0 src0=0 src1=0 src2=0
	v_dual_fma_f32 v11, v254, v166, -v15 :: v_dual_add_f32 v7, v7, v55
	s_wait_loadcnt 0x3
	v_dual_add_f32 v9, v9, v13 :: v_dual_mov_b32 v122, v179
	v_pk_mul_f32 v[116:117], v[188:189], v[172:173] op_sel:[1,1] op_sel_hi:[0,1]
	s_set_vgpr_msb 0x41                     ;  msbs: dst=1 src0=1 src1=0 src2=0
	v_dual_fmac_f32 v15 /*v271*/, v1 /*v257*/, v168 :: v_dual_fmac_f32 v17 /*v273*/, v3 /*v259*/, v170
	v_dual_fma_f32 v14 /*v270*/, v0 /*v256*/, v168, -v17 :: v_dual_fma_f32 v16 /*v272*/, v2 /*v258*/, v170, -v19
	s_set_vgpr_msb 0                        ;  msbs: dst=0 src0=0 src1=0 src2=0
	v_dual_add_f32 v125, v7, v57 :: v_dual_add_f32 v124, v9, v11
	v_pk_fma_f32 v[126:127], v[188:189], v[172:173], v[116:117] op_sel_hi:[1,0,1]
	s_set_vgpr_msb 1                        ;  msbs: dst=0 src0=1 src1=0 src2=0
	v_pk_mul_f32 v[118:119], v[6:7] /*v[262:263]*/, v[118:119] op_sel_hi:[1,0]
	s_set_vgpr_msb 0                        ;  msbs: dst=0 src0=0 src1=0 src2=0
	v_pk_fma_f32 v[116:117], v[188:189], v[172:173], v[116:117] neg_lo:[0,0,1] neg_hi:[0,0,1]
	v_pk_mul_f32 v[120:121], v[192:193], v[176:177] op_sel:[1,1] op_sel_hi:[0,1]
	s_set_vgpr_msb 4                        ;  msbs: dst=0 src0=0 src1=1 src2=0
	v_pk_add_f32 v[124:125], v[124:125], v[14:15] /*v[270:271]*/
	v_mov_b32_e32 v117, v127
	s_set_vgpr_msb 0                        ;  msbs: dst=0 src0=0 src1=0 src2=0
	v_pk_fma_f32 v[126:127], v[190:191], v[174:175], v[118:119] op_sel_hi:[1,0,1]
	v_pk_fma_f32 v[118:119], v[190:191], v[174:175], v[118:119] neg_lo:[0,0,1] neg_hi:[0,0,1]
	v_pk_fma_f32 v[130:131], v[192:193], v[176:177], v[120:121] op_sel_hi:[1,0,1]
	s_set_vgpr_msb 4                        ;  msbs: dst=0 src0=0 src1=1 src2=0
	v_pk_add_f32 v[124:125], v[124:125], v[16:17] /*v[272:273]*/
	s_set_vgpr_msb 1                        ;  msbs: dst=0 src0=1 src1=0 src2=0
	v_pk_mul_f32 v[122:123], v[8:9] /*v[264:265]*/, v[122:123] op_sel_hi:[1,0]
	s_set_vgpr_msb 0                        ;  msbs: dst=0 src0=0 src1=0 src2=0
	v_mov_b32_e32 v119, v127
	s_wait_loadcnt 0x2
	v_pk_mul_f32 v[128:129], v[196:197], v[180:181] op_sel:[1,1] op_sel_hi:[0,1]
	v_pk_fma_f32 v[120:121], v[192:193], v[176:177], v[120:121] neg_lo:[0,0,1] neg_hi:[0,0,1]
	v_pk_add_f32 v[116:117], v[124:125], v[116:117]
	v_dual_mov_b32 v124, v183 :: v_dual_mov_b32 v121, v131
	v_pk_fma_f32 v[126:127], v[194:195], v[178:179], v[122:123] op_sel_hi:[1,0,1]
	v_pk_fma_f32 v[122:123], v[194:195], v[178:179], v[122:123] neg_lo:[0,0,1] neg_hi:[0,0,1]
	s_delay_alu instid0(VALU_DEP_4)
	v_pk_add_f32 v[116:117], v[116:117], v[118:119]
	v_pk_fma_f32 v[118:119], v[196:197], v[180:181], v[128:129] op_sel_hi:[1,0,1]
	s_set_vgpr_msb 1                        ;  msbs: dst=0 src0=1 src1=0 src2=0
	v_pk_mul_f32 v[124:125], v[10:11] /*v[266:267]*/, v[124:125] op_sel_hi:[1,0]
	s_set_vgpr_msb 0                        ;  msbs: dst=0 src0=0 src1=0 src2=0
	v_mov_b32_e32 v123, v127
	v_pk_fma_f32 v[126:127], v[196:197], v[180:181], v[128:129] neg_lo:[0,0,1] neg_hi:[0,0,1]
	v_pk_add_f32 v[116:117], v[116:117], v[120:121]
	v_mov_b32_e32 v127, v119
	v_pk_fma_f32 v[118:119], v[198:199], v[182:183], v[124:125] op_sel_hi:[1,0,1]
	s_wait_loadcnt 0x1
	v_pk_mul_f32 v[120:121], v[200:201], v[184:185] op_sel:[1,1] op_sel_hi:[0,1]
	v_mov_b32_e32 v118, v187
	v_pk_add_f32 v[116:117], v[116:117], v[122:123]
	v_pk_fma_f32 v[124:125], v[198:199], v[182:183], v[124:125] neg_lo:[0,0,1] neg_hi:[0,0,1]
	v_mov_b32_e32 v125, v119
	v_pk_fma_f32 v[122:123], v[200:201], v[184:185], v[120:121] op_sel_hi:[1,0,1]
	s_set_vgpr_msb 1                        ;  msbs: dst=0 src0=1 src1=0 src2=0
	v_pk_mul_f32 v[118:119], v[12:13] /*v[268:269]*/, v[118:119] op_sel_hi:[1,0]
	s_set_vgpr_msb 0                        ;  msbs: dst=0 src0=0 src1=0 src2=0
	v_pk_add_f32 v[116:117], v[116:117], v[126:127]
	v_pk_fma_f32 v[120:121], v[200:201], v[184:185], v[120:121] neg_lo:[0,0,1] neg_hi:[0,0,1]
	v_mov_b32_e32 v121, v123
	v_pk_fma_f32 v[122:123], v[202:203], v[186:187], v[118:119] op_sel_hi:[1,0,1]
	s_delay_alu instid0(VALU_DEP_4) | instskip(SKIP_1) | instid1(VALU_DEP_3)
	v_pk_add_f32 v[116:117], v[116:117], v[124:125]
	v_pk_fma_f32 v[118:119], v[202:203], v[186:187], v[118:119] neg_lo:[0,0,1] neg_hi:[0,0,1]
	v_mov_b32_e32 v119, v123
	s_delay_alu instid0(VALU_DEP_3) | instskip(NEXT) | instid1(VALU_DEP_1)
	v_pk_add_f32 v[116:117], v[116:117], v[120:121]
	v_pk_add_f32 v[116:117], v[116:117], v[118:119]
	s_wait_loadcnt 0x0
	s_set_vgpr_msb 1                        ;  msbs: dst=0 src0=1 src1=0 src2=0
	s_delay_alu instid0(VALU_DEP_1)
	v_pk_add_f32 v[116:117], v[4:5] /*v[260:261]*/, v[116:117] neg_lo:[0,1] neg_hi:[0,1]
	scratch_store_b64 off, v[116:117], off offset:160
	s_wait_xcnt 0x0
	v_cmpx_lt_u32_e32 19, v0
	s_set_vgpr_msb 0                        ;  msbs: dst=0 src0=0 src1=0 src2=0
	s_cbranch_execz .LBB120_317
; %bb.316:
	scratch_load_b64 v[116:117], off, off offset:152
	v_mov_b64_e32 v[118:119], 0
	scratch_store_b64 off, v[118:119], off offset:152
	s_wait_loadcnt 0x0
	ds_store_b64 v1, v[116:117]
.LBB120_317:
	s_wait_xcnt 0x0
	s_or_b32 exec_lo, exec_lo, s0
	s_wait_storecnt_dscnt 0x0
	s_barrier_signal -1
	s_barrier_wait -1
	s_clause 0x14
	scratch_load_b128 v[116:119], off, off offset:160
	scratch_load_b128 v[120:123], off, off offset:176
	;; [unrolled: 1-line block ×18, first 2 shown]
	s_set_vgpr_msb 64                       ;  msbs: dst=1 src0=0 src1=0 src2=0
	scratch_load_b64 v[4:5] /*v[260:261]*/, off, off offset:448
	scratch_load_b64 v[6:7] /*v[262:263]*/, off, off offset:152
	s_set_vgpr_msb 0                        ;  msbs: dst=0 src0=0 src1=0 src2=0
	v_mov_b32_e32 v7, 0
	ds_load_b128 v[188:191], v7 offset:848
	ds_load_b128 v[192:195], v7 offset:864
	;; [unrolled: 1-line block ×17, first 2 shown]
	s_set_vgpr_msb 64                       ;  msbs: dst=1 src0=0 src1=0 src2=0
	ds_load_b128 v[0:3] /*v[256:259]*/, v7 offset:832
	ds_load_b64 v[8:9] /*v[264:265]*/, v7 offset:912
	s_mov_b32 s0, exec_lo
	s_wait_dscnt 0x12
	v_dual_mov_b32 v10 /*v266*/, v191 :: v_dual_mov_b32 v11 /*v267*/, v190
	s_wait_dscnt 0x11
	v_dual_mov_b32 v12 /*v268*/, v195 :: v_dual_mov_b32 v13 /*v269*/, v194
	;; [unrolled: 2-line block ×4, first 2 shown]
	s_wait_loadcnt 0x13
	s_set_vgpr_msb 0                        ;  msbs: dst=0 src0=0 src1=0 src2=0
	v_dual_mul_f32 v9, v200, v117 :: v_dual_mul_f32 v11, v202, v119
	s_wait_loadcnt 0x12
	v_dual_mul_f32 v13, v204, v121 :: v_dual_mul_f32 v65, v203, v119
	s_wait_loadcnt_dscnt 0x100b
	v_dual_mul_f32 v67, v205, v121 :: v_dual_mul_f32 v77, v219, v131
	v_dual_mul_f32 v15, v206, v123 :: v_dual_mul_f32 v17, v212, v125
	v_dual_mul_f32 v63, v201, v117 :: v_dual_fmac_f32 v9, v201, v116
	v_dual_fma_f32 v65, v202, v118, -v65 :: v_dual_mul_f32 v69, v207, v123
	s_wait_loadcnt_dscnt 0x702
	v_dual_mul_f32 v71, v213, v125 :: v_dual_mul_f32 v59, v254, v167
	s_delay_alu instid0(VALU_DEP_3)
	v_fma_f32 v63, v200, v116, -v63
	s_wait_loadcnt_dscnt 0x601
	s_set_vgpr_msb 1                        ;  msbs: dst=0 src0=1 src1=0 src2=0
	v_mul_f32_e32 v61, v0 /*v256*/, v169
	s_set_vgpr_msb 0                        ;  msbs: dst=0 src0=0 src1=0 src2=0
	v_dual_fmac_f32 v11, v203, v118 :: v_dual_add_f32 v9, 0, v9
	v_dual_mul_f32 v79, v221, v133 :: v_dual_fma_f32 v67, v204, v120, -v67
	v_dual_add_f32 v63, 0, v63 :: v_dual_fmac_f32 v13, v205, v120
	s_delay_alu instid0(VALU_DEP_3) | instskip(SKIP_1) | instid1(VALU_DEP_3)
	v_dual_add_f32 v9, v9, v11 :: v_dual_fmac_f32 v15, v207, v122
	v_dual_mul_f32 v19, v214, v127 :: v_dual_mul_f32 v21, v216, v129
	v_add_f32_e32 v11, v63, v65
	v_dual_mul_f32 v63, v223, v135 :: v_dual_fma_f32 v65, v206, v122, -v69
	s_delay_alu instid0(VALU_DEP_4) | instskip(NEXT) | instid1(VALU_DEP_3)
	v_dual_add_f32 v9, v9, v13 :: v_dual_mul_f32 v73, v215, v127
	v_dual_mul_f32 v75, v217, v129 :: v_dual_add_f32 v11, v11, v67
	v_dual_mul_f32 v13, v225, v137 :: v_dual_fma_f32 v67, v212, v124, -v71
	v_fmac_f32_e32 v17, v213, v124
	s_delay_alu instid0(VALU_DEP_4) | instskip(NEXT) | instid1(VALU_DEP_4)
	v_dual_add_f32 v9, v9, v15 :: v_dual_fmac_f32 v19, v215, v126
	v_add_f32_e32 v11, v11, v65
	v_dual_mul_f32 v15, v227, v139 :: v_dual_fma_f32 v65, v214, v126, -v73
	s_delay_alu instid0(VALU_DEP_3) | instskip(NEXT) | instid1(VALU_DEP_3)
	v_dual_add_f32 v9, v9, v17 :: v_dual_mul_f32 v23, v218, v131
	v_dual_mul_f32 v25, v220, v133 :: v_dual_add_f32 v11, v11, v67
	v_dual_mul_f32 v17, v229, v141 :: v_dual_fma_f32 v67, v216, v128, -v75
	v_fmac_f32_e32 v21, v217, v128
	s_delay_alu instid0(VALU_DEP_4) | instskip(NEXT) | instid1(VALU_DEP_4)
	v_dual_add_f32 v9, v9, v19 :: v_dual_fmac_f32 v23, v219, v130
	v_add_f32_e32 v11, v11, v65
	v_dual_mul_f32 v19, v231, v143 :: v_dual_fma_f32 v65, v218, v130, -v77
	s_delay_alu instid0(VALU_DEP_3) | instskip(NEXT) | instid1(VALU_DEP_3)
	;; [unrolled: 9-line block ×4, first 2 shown]
	v_dual_add_f32 v9, v9, v29 :: v_dual_fma_f32 v17, v228, v140, -v17
	v_dual_add_f32 v11, v11, v13 :: v_dual_fmac_f32 v33, v229, v140
	v_dual_mul_f32 v35, v230, v143 :: v_dual_mul_f32 v37, v232, v145
	s_delay_alu instid0(VALU_DEP_2) | instskip(NEXT) | instid1(VALU_DEP_2)
	v_dual_mul_f32 v13, v241, v153 :: v_dual_add_f32 v11, v11, v15
	v_dual_add_f32 v9, v9, v31 :: v_dual_fmac_f32 v35, v231, v142
	v_dual_mul_f32 v15, v243, v155 :: v_dual_fma_f32 v19, v230, v142, -v19
	s_delay_alu instid0(VALU_DEP_3) | instskip(NEXT) | instid1(VALU_DEP_3)
	v_dual_add_f32 v11, v11, v17 :: v_dual_fmac_f32 v37, v233, v144
	v_dual_add_f32 v9, v9, v33 :: v_dual_fma_f32 v21, v232, v144, -v21
	v_dual_mul_f32 v39, v234, v147 :: v_dual_mul_f32 v41, v236, v149
	s_delay_alu instid0(VALU_DEP_3) | instskip(NEXT) | instid1(VALU_DEP_2)
	v_dual_mul_f32 v17, v245, v157 :: v_dual_add_f32 v11, v11, v19
	v_dual_add_f32 v9, v9, v35 :: v_dual_fmac_f32 v39, v235, v146
	v_dual_mul_f32 v19, v247, v159 :: v_dual_fma_f32 v23, v234, v146, -v23
	s_delay_alu instid0(VALU_DEP_3) | instskip(NEXT) | instid1(VALU_DEP_3)
	v_dual_add_f32 v11, v11, v21 :: v_dual_fmac_f32 v41, v237, v148
	v_dual_add_f32 v9, v9, v37 :: v_dual_fma_f32 v25, v236, v148, -v25
	v_dual_mul_f32 v43, v238, v151 :: v_dual_mul_f32 v45, v240, v153
	s_delay_alu instid0(VALU_DEP_3) | instskip(NEXT) | instid1(VALU_DEP_2)
	v_dual_mul_f32 v21, v249, v161 :: v_dual_add_f32 v11, v11, v23
	v_dual_add_f32 v9, v9, v39 :: v_dual_fmac_f32 v43, v239, v150
	v_dual_mul_f32 v23, v251, v163 :: v_dual_fma_f32 v27, v238, v150, -v27
	s_delay_alu instid0(VALU_DEP_3) | instskip(NEXT) | instid1(VALU_DEP_3)
	v_dual_add_f32 v11, v11, v25 :: v_dual_fmac_f32 v45, v241, v152
	v_dual_add_f32 v9, v9, v41 :: v_dual_fma_f32 v13, v240, v152, -v13
	v_dual_mul_f32 v47, v242, v155 :: v_dual_mul_f32 v49, v244, v157
	s_delay_alu instid0(VALU_DEP_3) | instskip(NEXT) | instid1(VALU_DEP_2)
	v_dual_mul_f32 v25, v253, v165 :: v_dual_add_f32 v11, v11, v27
	v_dual_add_f32 v9, v9, v43 :: v_dual_fmac_f32 v47, v243, v154
	v_dual_mul_f32 v27, v255, v167 :: v_dual_fma_f32 v15, v242, v154, -v15
	s_delay_alu instid0(VALU_DEP_3) | instskip(NEXT) | instid1(VALU_DEP_3)
	v_dual_add_f32 v11, v11, v13 :: v_dual_fmac_f32 v49, v245, v156
	v_dual_add_f32 v9, v9, v45 :: v_dual_fma_f32 v17, v244, v156, -v17
	v_dual_mul_f32 v51, v246, v159 :: v_dual_mul_f32 v53, v248, v161
	s_delay_alu instid0(VALU_DEP_3) | instskip(NEXT) | instid1(VALU_DEP_2)
	v_dual_add_f32 v11, v11, v15 :: v_dual_fma_f32 v19, v246, v158, -v19
	v_dual_add_f32 v9, v9, v47 :: v_dual_fmac_f32 v51, v247, v158
	v_dual_mul_f32 v55, v250, v163 :: v_dual_mul_f32 v57, v252, v165
	s_delay_alu instid0(VALU_DEP_3) | instskip(NEXT) | instid1(VALU_DEP_3)
	v_dual_add_f32 v11, v11, v17 :: v_dual_fmac_f32 v53, v249, v160
	v_dual_add_f32 v9, v9, v49 :: v_dual_fma_f32 v21, v248, v160, -v21
	s_wait_loadcnt 0x5
	s_delay_alu instid0(VALU_DEP_2) | instskip(NEXT) | instid1(VALU_DEP_2)
	v_dual_mul_f32 v17, v189, v173 :: v_dual_add_f32 v11, v11, v19
	v_dual_mov_b32 v116, v175 :: v_dual_add_f32 v9, v9, v51
	v_fmac_f32_e32 v55, v251, v162
	s_delay_alu instid0(VALU_DEP_3) | instskip(SKIP_1) | instid1(VALU_DEP_4)
	v_dual_fma_f32 v19, v250, v162, -v23 :: v_dual_add_f32 v11, v11, v21
	v_fmac_f32_e32 v57, v253, v164
	v_dual_add_f32 v9, v9, v53 :: v_dual_fma_f32 v21, v252, v164, -v25
	s_set_vgpr_msb 1                        ;  msbs: dst=0 src0=1 src1=0 src2=0
	v_dual_mul_f32 v13, v1 /*v257*/, v169 :: v_dual_mul_f32 v15, v3 /*v259*/, v171
	s_set_vgpr_msb 0                        ;  msbs: dst=0 src0=0 src1=0 src2=0
	v_add_f32_e32 v11, v11, v19
	s_wait_loadcnt 0x4
	v_dual_add_f32 v9, v9, v55 :: v_dual_mov_b32 v120, v179
	v_fma_f32 v19, v254, v166, -v27
	v_fmac_f32_e32 v59, v255, v166
	s_set_vgpr_msb 0x41                     ;  msbs: dst=1 src0=1 src1=0 src2=0
	v_dual_mul_f32 v19 /*v275*/, v2 /*v258*/, v171 :: v_dual_fma_f32 v18 /*v274*/, v2 /*v258*/, v170, -v15
	s_set_vgpr_msb 0                        ;  msbs: dst=0 src0=0 src1=0 src2=0
	v_add_f32_e32 v9, v9, v57
	v_add_f32_e32 v11, v11, v21
	s_set_vgpr_msb 1                        ;  msbs: dst=0 src0=1 src1=0 src2=0
	v_fmac_f32_e32 v61, v1 /*v257*/, v168
	v_fma_f32 v13, v0 /*v256*/, v168, -v13
	v_pk_mul_f32 v[116:117], v[10:11] /*v[266:267]*/, v[116:117] op_sel_hi:[1,0]
	s_set_vgpr_msb 0                        ;  msbs: dst=0 src0=0 src1=0 src2=0
	v_add_f32_e32 v9, v9, v59
	v_add_f32_e32 v11, v11, v19
	s_set_vgpr_msb 64                       ;  msbs: dst=1 src0=0 src1=0 src2=0
	v_dual_mul_f32 v21 /*v277*/, v188, v173 :: v_dual_fma_f32 v20 /*v276*/, v188, v172, -v17
	s_set_vgpr_msb 0x41                     ;  msbs: dst=1 src0=1 src1=0 src2=0
	v_fmac_f32_e32 v19 /*v275*/, v3 /*v259*/, v170
	s_set_vgpr_msb 0                        ;  msbs: dst=0 src0=0 src1=0 src2=0
	v_add_f32_e32 v125, v9, v61
	v_pk_fma_f32 v[128:129], v[190:191], v[174:175], v[116:117] op_sel_hi:[1,0,1]
	v_add_f32_e32 v124, v11, v13
	v_pk_fma_f32 v[116:117], v[190:191], v[174:175], v[116:117] neg_lo:[0,0,1] neg_hi:[0,0,1]
	v_pk_mul_f32 v[118:119], v[192:193], v[176:177] op_sel:[1,1] op_sel_hi:[0,1]
	s_set_vgpr_msb 64                       ;  msbs: dst=1 src0=0 src1=0 src2=0
	v_fmac_f32_e32 v21 /*v277*/, v189, v172
	s_set_vgpr_msb 4                        ;  msbs: dst=0 src0=0 src1=1 src2=0
	v_mov_b32_e32 v117, v129
	v_pk_add_f32 v[124:125], v[124:125], v[18:19] /*v[274:275]*/
	s_set_vgpr_msb 1                        ;  msbs: dst=0 src0=1 src1=0 src2=0
	v_pk_mul_f32 v[120:121], v[12:13] /*v[268:269]*/, v[120:121] op_sel_hi:[1,0]
	s_set_vgpr_msb 0                        ;  msbs: dst=0 src0=0 src1=0 src2=0
	v_pk_fma_f32 v[130:131], v[192:193], v[176:177], v[118:119] op_sel_hi:[1,0,1]
	v_pk_fma_f32 v[118:119], v[192:193], v[176:177], v[118:119] neg_lo:[0,0,1] neg_hi:[0,0,1]
	s_wait_loadcnt 0x3
	v_pk_mul_f32 v[122:123], v[196:197], v[180:181] op_sel:[1,1] op_sel_hi:[0,1]
	s_set_vgpr_msb 4                        ;  msbs: dst=0 src0=0 src1=1 src2=0
	v_pk_add_f32 v[124:125], v[124:125], v[20:21] /*v[276:277]*/
	v_dual_mov_b32 v126, v183 :: v_dual_mov_b32 v119, v131
	s_set_vgpr_msb 0                        ;  msbs: dst=0 src0=0 src1=0 src2=0
	v_pk_fma_f32 v[130:131], v[194:195], v[178:179], v[120:121] op_sel_hi:[1,0,1]
	v_pk_fma_f32 v[120:121], v[194:195], v[178:179], v[120:121] neg_lo:[0,0,1] neg_hi:[0,0,1]
	v_pk_add_f32 v[116:117], v[124:125], v[116:117]
	v_pk_fma_f32 v[124:125], v[196:197], v[180:181], v[122:123] op_sel_hi:[1,0,1]
	s_set_vgpr_msb 1                        ;  msbs: dst=0 src0=1 src1=0 src2=0
	v_pk_mul_f32 v[126:127], v[14:15] /*v[270:271]*/, v[126:127] op_sel_hi:[1,0]
	s_set_vgpr_msb 0                        ;  msbs: dst=0 src0=0 src1=0 src2=0
	v_mov_b32_e32 v121, v131
	v_pk_fma_f32 v[122:123], v[196:197], v[180:181], v[122:123] neg_lo:[0,0,1] neg_hi:[0,0,1]
	v_pk_add_f32 v[116:117], v[116:117], v[118:119]
	s_wait_loadcnt 0x2
	v_pk_mul_f32 v[128:129], v[208:209], v[184:185] op_sel:[1,1] op_sel_hi:[0,1]
	v_dual_mov_b32 v118, v187 :: v_dual_mov_b32 v123, v125
	v_pk_fma_f32 v[124:125], v[198:199], v[182:183], v[126:127] op_sel_hi:[1,0,1]
	v_pk_add_f32 v[116:117], v[116:117], v[120:121]
	v_pk_fma_f32 v[126:127], v[198:199], v[182:183], v[126:127] neg_lo:[0,0,1] neg_hi:[0,0,1]
	v_pk_fma_f32 v[120:121], v[208:209], v[184:185], v[128:129] op_sel_hi:[1,0,1]
	s_set_vgpr_msb 1                        ;  msbs: dst=0 src0=1 src1=0 src2=0
	v_pk_mul_f32 v[118:119], v[16:17] /*v[272:273]*/, v[118:119] op_sel_hi:[1,0]
	s_set_vgpr_msb 0                        ;  msbs: dst=0 src0=0 src1=0 src2=0
	v_mov_b32_e32 v127, v125
	v_pk_add_f32 v[116:117], v[116:117], v[122:123]
	v_pk_fma_f32 v[122:123], v[208:209], v[184:185], v[128:129] neg_lo:[0,0,1] neg_hi:[0,0,1]
	v_mov_b32_e32 v123, v121
	v_pk_fma_f32 v[120:121], v[210:211], v[186:187], v[118:119] op_sel_hi:[1,0,1]
	s_wait_loadcnt_dscnt 0x100
	s_set_vgpr_msb 5                        ;  msbs: dst=0 src0=1 src1=1 src2=0
	v_pk_mul_f32 v[124:125], v[8:9] /*v[264:265]*/, v[4:5] /*v[260:261]*/ op_sel:[1,1] op_sel_hi:[0,1]
	s_set_vgpr_msb 0                        ;  msbs: dst=0 src0=0 src1=0 src2=0
	v_pk_add_f32 v[116:117], v[116:117], v[126:127]
	v_pk_fma_f32 v[118:119], v[210:211], v[186:187], v[118:119] neg_lo:[0,0,1] neg_hi:[0,0,1]
	v_mov_b32_e32 v119, v121
	s_set_vgpr_msb 5                        ;  msbs: dst=0 src0=1 src1=1 src2=0
	v_pk_fma_f32 v[120:121], v[8:9] /*v[264:265]*/, v[4:5] /*v[260:261]*/, v[124:125] op_sel_hi:[1,0,1]
	s_set_vgpr_msb 0                        ;  msbs: dst=0 src0=0 src1=0 src2=0
	v_pk_add_f32 v[116:117], v[116:117], v[122:123]
	s_set_vgpr_msb 5                        ;  msbs: dst=0 src0=1 src1=1 src2=0
	v_pk_fma_f32 v[122:123], v[8:9] /*v[264:265]*/, v[4:5] /*v[260:261]*/, v[124:125] neg_lo:[0,0,1] neg_hi:[0,0,1]
	s_set_vgpr_msb 0                        ;  msbs: dst=0 src0=0 src1=0 src2=0
	v_mov_b32_e32 v123, v121
	v_pk_add_f32 v[116:117], v[116:117], v[118:119]
	s_delay_alu instid0(VALU_DEP_1) | instskip(SKIP_2) | instid1(VALU_DEP_1)
	v_pk_add_f32 v[116:117], v[116:117], v[122:123]
	s_wait_loadcnt 0x0
	s_set_vgpr_msb 1                        ;  msbs: dst=0 src0=1 src1=0 src2=0
	v_pk_add_f32 v[116:117], v[6:7] /*v[262:263]*/, v[116:117] neg_lo:[0,1] neg_hi:[0,1]
	scratch_store_b64 off, v[116:117], off offset:152
	s_wait_xcnt 0x0
	v_cmpx_lt_u32_e32 18, v0
	s_set_vgpr_msb 0                        ;  msbs: dst=0 src0=0 src1=0 src2=0
	s_cbranch_execz .LBB120_319
; %bb.318:
	scratch_load_b64 v[116:117], off, off offset:144
	v_mov_b64_e32 v[118:119], 0
	scratch_store_b64 off, v[118:119], off offset:144
	s_wait_loadcnt 0x0
	ds_store_b64 v1, v[116:117]
.LBB120_319:
	s_wait_xcnt 0x0
	s_or_b32 exec_lo, exec_lo, s0
	s_wait_storecnt_dscnt 0x0
	s_barrier_signal -1
	s_barrier_wait -1
	s_clause 0x14
	scratch_load_b128 v[116:119], off, off offset:152
	scratch_load_b128 v[120:123], off, off offset:168
	;; [unrolled: 1-line block ×19, first 2 shown]
	s_set_vgpr_msb 64                       ;  msbs: dst=1 src0=0 src1=0 src2=0
	scratch_load_b64 v[12:13] /*v[268:269]*/, off, off offset:144
	s_set_vgpr_msb 0                        ;  msbs: dst=0 src0=0 src1=0 src2=0
	ds_load_2addr_b64 v[192:195], v7 offset0:107 offset1:108
	ds_load_2addr_b64 v[196:199], v7 offset0:109 offset1:110
	;; [unrolled: 1-line block ×16, first 2 shown]
	s_set_vgpr_msb 64                       ;  msbs: dst=1 src0=0 src1=0 src2=0
	ds_load_2addr_b64 v[0:3] /*v[256:259]*/, v7 offset0:99 offset1:100
	ds_load_2addr_b64 v[4:7] /*v[260:263]*/, v7 offset0:101 offset1:102
	;; [unrolled: 1-line block ×3, first 2 shown]
	s_mov_b32 s0, exec_lo
	s_wait_dscnt 0x12
	v_dual_mov_b32 v14 /*v270*/, v195 :: v_dual_mov_b32 v15 /*v271*/, v194
	s_wait_dscnt 0x11
	v_dual_mov_b32 v16 /*v272*/, v199 :: v_dual_mov_b32 v17 /*v273*/, v198
	s_wait_dscnt 0xf
	v_dual_mov_b32 v18 /*v274*/, v207 :: v_dual_mov_b32 v19 /*v275*/, v206
	s_wait_dscnt 0xe
	v_dual_mov_b32 v20 /*v276*/, v211 :: v_dual_mov_b32 v21 /*v277*/, v210
	s_wait_loadcnt_dscnt 0x130d
	s_set_vgpr_msb 0                        ;  msbs: dst=0 src0=0 src1=0 src2=0
	v_dual_mul_f32 v7, v212, v117 :: v_dual_mul_f32 v9, v214, v119
	v_dual_mul_f32 v63, v213, v117 :: v_dual_mul_f32 v65, v215, v119
	s_wait_loadcnt_dscnt 0x120c
	v_dual_mul_f32 v11, v216, v121 :: v_dual_mul_f32 v13, v218, v123
	s_delay_alu instid0(VALU_DEP_3) | instskip(SKIP_3) | instid1(VALU_DEP_3)
	v_dual_fmac_f32 v7, v213, v116 :: v_dual_fmac_f32 v9, v215, v118
	s_wait_loadcnt_dscnt 0x100a
	v_dual_fma_f32 v63, v212, v116, -v63 :: v_dual_mul_f32 v75, v225, v129
	v_dual_mul_f32 v67, v217, v121 :: v_dual_mul_f32 v69, v219, v123
	v_dual_fma_f32 v65, v214, v118, -v65 :: v_dual_add_f32 v7, 0, v7
	s_delay_alu instid0(VALU_DEP_3) | instskip(SKIP_1) | instid1(VALU_DEP_4)
	v_dual_add_f32 v63, 0, v63 :: v_dual_fmac_f32 v11, v217, v120
	v_dual_mul_f32 v15, v220, v125 :: v_dual_mul_f32 v17, v222, v127
	v_dual_mul_f32 v77, v227, v131 :: v_dual_fma_f32 v67, v216, v120, -v67
	s_delay_alu instid0(VALU_DEP_4) | instskip(NEXT) | instid1(VALU_DEP_3)
	v_add_f32_e32 v7, v7, v9
	v_dual_add_f32 v9, v63, v65 :: v_dual_fmac_f32 v15, v221, v124
	v_dual_mul_f32 v71, v221, v125 :: v_dual_mul_f32 v73, v223, v127
	s_wait_loadcnt_dscnt 0xf09
	v_dual_mul_f32 v63, v229, v133 :: v_dual_fmac_f32 v13, v219, v122
	v_dual_fma_f32 v65, v218, v122, -v69 :: v_dual_add_f32 v7, v7, v11
	s_delay_alu instid0(VALU_DEP_3) | instskip(SKIP_1) | instid1(VALU_DEP_3)
	v_dual_add_f32 v9, v9, v67 :: v_dual_fma_f32 v67, v220, v124, -v71
	v_dual_mul_f32 v19, v224, v129 :: v_dual_mul_f32 v21, v226, v131
	v_add_f32_e32 v7, v7, v13
	s_delay_alu instid0(VALU_DEP_3) | instskip(SKIP_2) | instid1(VALU_DEP_3)
	v_dual_mul_f32 v11, v231, v135 :: v_dual_add_f32 v9, v9, v65
	s_wait_loadcnt_dscnt 0xe08
	v_dual_mul_f32 v13, v233, v137 :: v_dual_fmac_f32 v17, v223, v126
	v_dual_fma_f32 v65, v222, v126, -v73 :: v_dual_add_f32 v7, v7, v15
	s_delay_alu instid0(VALU_DEP_3) | instskip(SKIP_1) | instid1(VALU_DEP_3)
	v_dual_add_f32 v9, v9, v67 :: v_dual_fma_f32 v67, v224, v128, -v75
	v_dual_mul_f32 v15, v235, v139 :: v_dual_fmac_f32 v19, v225, v128
	v_add_f32_e32 v7, v7, v17
	s_delay_alu instid0(VALU_DEP_3)
	v_dual_add_f32 v9, v9, v65 :: v_dual_fmac_f32 v21, v227, v130
	v_dual_mul_f32 v23, v228, v133 :: v_dual_mul_f32 v25, v230, v135
	s_wait_loadcnt_dscnt 0xd07
	v_dual_fma_f32 v65, v226, v130, -v77 :: v_dual_mul_f32 v17, v237, v141
	v_add_f32_e32 v7, v7, v19
	v_dual_add_f32 v9, v9, v67 :: v_dual_fma_f32 v63, v228, v132, -v63
	v_dual_mul_f32 v19, v239, v143 :: v_dual_fmac_f32 v23, v229, v132
	s_delay_alu instid0(VALU_DEP_3) | instskip(NEXT) | instid1(VALU_DEP_3)
	v_dual_add_f32 v7, v7, v21 :: v_dual_fma_f32 v11, v230, v134, -v11
	v_dual_add_f32 v9, v9, v65 :: v_dual_fmac_f32 v25, v231, v134
	v_dual_mul_f32 v27, v232, v137 :: v_dual_mul_f32 v29, v234, v139
	s_wait_loadcnt_dscnt 0xc06
	s_delay_alu instid0(VALU_DEP_3) | instskip(NEXT) | instid1(VALU_DEP_3)
	v_dual_mul_f32 v21, v241, v145 :: v_dual_add_f32 v7, v7, v23
	v_dual_add_f32 v9, v9, v63 :: v_dual_fma_f32 v13, v232, v136, -v13
	s_delay_alu instid0(VALU_DEP_3) | instskip(NEXT) | instid1(VALU_DEP_2)
	v_dual_mul_f32 v23, v243, v147 :: v_dual_fmac_f32 v27, v233, v136
	v_dual_add_f32 v7, v7, v25 :: v_dual_add_f32 v9, v9, v11
	v_dual_mul_f32 v31, v236, v141 :: v_dual_mul_f32 v33, v238, v143
	s_wait_loadcnt_dscnt 0xb05
	v_dual_mul_f32 v11, v245, v149 :: v_dual_fmac_f32 v29, v235, v138
	s_delay_alu instid0(VALU_DEP_3) | instskip(SKIP_2) | instid1(VALU_DEP_2)
	v_dual_fma_f32 v15, v234, v138, -v15 :: v_dual_add_f32 v7, v7, v27
	v_dual_add_f32 v9, v9, v13 :: v_dual_mul_f32 v13, v247, v151
	v_dual_fmac_f32 v31, v237, v140 :: v_dual_fma_f32 v17, v236, v140, -v17
	v_dual_add_f32 v7, v7, v29 :: v_dual_add_f32 v9, v9, v15
	v_dual_mul_f32 v35, v240, v145 :: v_dual_mul_f32 v37, v242, v147
	s_wait_loadcnt_dscnt 0xa04
	v_dual_mul_f32 v15, v249, v153 :: v_dual_fmac_f32 v33, v239, v142
	s_delay_alu instid0(VALU_DEP_3) | instskip(SKIP_2) | instid1(VALU_DEP_2)
	v_dual_fma_f32 v19, v238, v142, -v19 :: v_dual_add_f32 v7, v7, v31
	v_dual_add_f32 v9, v9, v17 :: v_dual_mul_f32 v17, v251, v155
	v_dual_fmac_f32 v35, v241, v144 :: v_dual_fma_f32 v21, v240, v144, -v21
	v_dual_add_f32 v7, v7, v33 :: v_dual_add_f32 v9, v9, v19
	v_dual_mul_f32 v39, v244, v149 :: v_dual_mul_f32 v41, v246, v151
	s_wait_loadcnt_dscnt 0x903
	v_dual_mul_f32 v19, v253, v157 :: v_dual_fmac_f32 v37, v243, v146
	s_delay_alu instid0(VALU_DEP_3) | instskip(SKIP_2) | instid1(VALU_DEP_3)
	v_dual_fma_f32 v23, v242, v146, -v23 :: v_dual_add_f32 v7, v7, v35
	v_dual_add_f32 v9, v9, v21 :: v_dual_mul_f32 v21, v255, v159
	v_fmac_f32_e32 v39, v245, v148
	v_dual_fma_f32 v11, v244, v148, -v11 :: v_dual_add_f32 v7, v7, v37
	s_delay_alu instid0(VALU_DEP_3) | instskip(SKIP_1) | instid1(VALU_DEP_3)
	v_dual_add_f32 v9, v9, v23 :: v_dual_mul_f32 v43, v248, v153
	v_dual_mul_f32 v45, v250, v155 :: v_dual_fmac_f32 v41, v247, v150
	v_dual_fma_f32 v13, v246, v150, -v13 :: v_dual_add_f32 v7, v7, v39
	s_delay_alu instid0(VALU_DEP_3) | instskip(NEXT) | instid1(VALU_DEP_4)
	v_add_f32_e32 v9, v9, v11
	v_fmac_f32_e32 v43, v249, v152
	v_fma_f32 v15, v248, v152, -v15
	v_dual_mul_f32 v47, v252, v157 :: v_dual_mul_f32 v49, v254, v159
	v_add_f32_e32 v7, v7, v41
	v_dual_add_f32 v9, v9, v13 :: v_dual_fmac_f32 v45, v251, v154
	v_fma_f32 v17, v250, v154, -v17
	s_wait_loadcnt_dscnt 0x802
	s_set_vgpr_msb 1                        ;  msbs: dst=0 src0=1 src1=0 src2=0
	v_dual_mul_f32 v51, v0 /*v256*/, v161 :: v_dual_mul_f32 v53, v2 /*v258*/, v163
	s_set_vgpr_msb 0                        ;  msbs: dst=0 src0=0 src1=0 src2=0
	v_add_f32_e32 v7, v7, v43
	v_add_f32_e32 v9, v9, v15
	v_fmac_f32_e32 v47, v253, v156
	v_fma_f32 v19, v252, v156, -v19
	s_wait_loadcnt_dscnt 0x701
	s_set_vgpr_msb 1                        ;  msbs: dst=0 src0=1 src1=0 src2=0
	v_dual_mul_f32 v55, v4 /*v260*/, v165 :: v_dual_mul_f32 v57, v6 /*v262*/, v167
	s_set_vgpr_msb 0                        ;  msbs: dst=0 src0=0 src1=0 src2=0
	v_add_f32_e32 v7, v7, v45
	v_add_f32_e32 v9, v9, v17
	s_set_vgpr_msb 1                        ;  msbs: dst=0 src0=1 src1=0 src2=0
	v_dual_mul_f32 v23, v1 /*v257*/, v161 :: v_dual_mul_f32 v11, v3 /*v259*/, v163
	s_set_vgpr_msb 0                        ;  msbs: dst=0 src0=0 src1=0 src2=0
	v_fmac_f32_e32 v49, v255, v158
	v_dual_fma_f32 v21, v254, v158, -v21 :: v_dual_add_f32 v7, v7, v47
	v_add_f32_e32 v9, v9, v19
	s_set_vgpr_msb 1                        ;  msbs: dst=0 src0=1 src1=0 src2=0
	v_dual_fmac_f32 v51, v1 /*v257*/, v160 :: v_dual_fmac_f32 v53, v3 /*v259*/, v162
	v_dual_fma_f32 v23, v0 /*v256*/, v160, -v23 :: v_dual_fmac_f32 v57, v7 /*v263*/, v166
	s_set_vgpr_msb 0                        ;  msbs: dst=0 src0=0 src1=0 src2=0
	v_add_f32_e32 v9, v9, v21
	v_add_f32_e32 v7, v7, v49
	s_set_vgpr_msb 1                        ;  msbs: dst=0 src0=1 src1=0 src2=0
	v_dual_mul_f32 v13, v5 /*v261*/, v165 :: v_dual_mul_f32 v15, v7 /*v263*/, v167
	v_fma_f32 v11, v2 /*v258*/, v162, -v11
	s_set_vgpr_msb 0                        ;  msbs: dst=0 src0=0 src1=0 src2=0
	v_add_f32_e32 v9, v9, v23
	v_add_f32_e32 v7, v7, v51
	s_wait_loadcnt_dscnt 0x600
	s_set_vgpr_msb 1                        ;  msbs: dst=0 src0=1 src1=0 src2=0
	v_dual_mul_f32 v59, v8 /*v264*/, v169 :: v_dual_mul_f32 v61, v10 /*v266*/, v171
	v_dual_fmac_f32 v55, v5 /*v261*/, v164 :: v_dual_fma_f32 v13, v4 /*v260*/, v164, -v13
	s_set_vgpr_msb 0                        ;  msbs: dst=0 src0=0 src1=0 src2=0
	v_dual_add_f32 v7, v7, v53 :: v_dual_add_f32 v9, v9, v11
	s_set_vgpr_msb 1                        ;  msbs: dst=0 src0=1 src1=0 src2=0
	v_dual_mul_f32 v17, v9 /*v265*/, v169 :: v_dual_mul_f32 v19, v11 /*v267*/, v171
	v_fma_f32 v11, v6 /*v262*/, v166, -v15
	v_fmac_f32_e32 v61, v11 /*v267*/, v170
	s_set_vgpr_msb 0                        ;  msbs: dst=0 src0=0 src1=0 src2=0
	v_dual_add_f32 v7, v7, v55 :: v_dual_add_f32 v9, v9, v13
	s_set_vgpr_msb 1                        ;  msbs: dst=0 src0=1 src1=0 src2=0
	v_fma_f32 v13, v8 /*v264*/, v168, -v17
	s_wait_loadcnt 0x4
	s_set_vgpr_msb 0                        ;  msbs: dst=0 src0=0 src1=0 src2=0
	v_mov_b32_e32 v118, v179
	s_set_vgpr_msb 1                        ;  msbs: dst=0 src0=1 src1=0 src2=0
	v_fmac_f32_e32 v59, v9 /*v265*/, v168
	s_wait_loadcnt 0x3
	s_set_vgpr_msb 0                        ;  msbs: dst=0 src0=0 src1=0 src2=0
	v_dual_mov_b32 v122, v183 :: v_dual_add_f32 v9, v9, v11
	s_set_vgpr_msb 1                        ;  msbs: dst=0 src0=1 src1=0 src2=0
	v_fma_f32 v11, v10 /*v266*/, v170, -v19
	s_set_vgpr_msb 64                       ;  msbs: dst=1 src0=0 src1=0 src2=0
	v_dual_mul_f32 v23 /*v279*/, v200, v173 :: v_dual_mul_f32 v25 /*v281*/, v202, v175
	s_set_vgpr_msb 0                        ;  msbs: dst=0 src0=0 src1=0 src2=0
	v_dual_mul_f32 v21, v201, v173 :: v_dual_mul_f32 v23, v203, v175
	v_add_f32_e32 v9, v9, v13
	v_add_f32_e32 v7, v7, v57
	v_pk_mul_f32 v[116:117], v[192:193], v[176:177] op_sel:[1,1] op_sel_hi:[0,1]
	s_set_vgpr_msb 64                       ;  msbs: dst=1 src0=0 src1=0 src2=0
	v_dual_fmac_f32 v23 /*v279*/, v201, v172 :: v_dual_fmac_f32 v25 /*v281*/, v203, v174
	s_set_vgpr_msb 0                        ;  msbs: dst=0 src0=0 src1=0 src2=0
	v_add_f32_e32 v124, v9, v11
	v_add_f32_e32 v7, v7, v59
	s_set_vgpr_msb 64                       ;  msbs: dst=1 src0=0 src1=0 src2=0
	v_dual_fma_f32 v22 /*v278*/, v200, v172, -v21 :: v_dual_fma_f32 v24 /*v280*/, v202, v174, -v23
	s_set_vgpr_msb 0                        ;  msbs: dst=0 src0=0 src1=0 src2=0
	v_pk_fma_f32 v[126:127], v[192:193], v[176:177], v[116:117] op_sel_hi:[1,0,1]
	s_set_vgpr_msb 1                        ;  msbs: dst=0 src0=1 src1=0 src2=0
	v_pk_mul_f32 v[118:119], v[14:15] /*v[270:271]*/, v[118:119] op_sel_hi:[1,0]
	s_set_vgpr_msb 0                        ;  msbs: dst=0 src0=0 src1=0 src2=0
	v_add_f32_e32 v125, v7, v61
	v_pk_fma_f32 v[116:117], v[192:193], v[176:177], v[116:117] neg_lo:[0,0,1] neg_hi:[0,0,1]
	v_pk_mul_f32 v[120:121], v[196:197], v[180:181] op_sel:[1,1] op_sel_hi:[0,1]
	v_mov_b32_e32 v117, v127
	v_pk_fma_f32 v[126:127], v[194:195], v[178:179], v[118:119] op_sel_hi:[1,0,1]
	s_set_vgpr_msb 4                        ;  msbs: dst=0 src0=0 src1=1 src2=0
	v_pk_add_f32 v[124:125], v[124:125], v[22:23] /*v[278:279]*/
	s_set_vgpr_msb 0                        ;  msbs: dst=0 src0=0 src1=0 src2=0
	v_pk_fma_f32 v[118:119], v[194:195], v[178:179], v[118:119] neg_lo:[0,0,1] neg_hi:[0,0,1]
	v_pk_fma_f32 v[130:131], v[196:197], v[180:181], v[120:121] op_sel_hi:[1,0,1]
	s_set_vgpr_msb 1                        ;  msbs: dst=0 src0=1 src1=0 src2=0
	v_pk_mul_f32 v[122:123], v[16:17] /*v[272:273]*/, v[122:123] op_sel_hi:[1,0]
	s_set_vgpr_msb 4                        ;  msbs: dst=0 src0=0 src1=1 src2=0
	v_mov_b32_e32 v119, v127
	v_pk_add_f32 v[124:125], v[124:125], v[24:25] /*v[280:281]*/
	s_wait_loadcnt 0x2
	s_set_vgpr_msb 0                        ;  msbs: dst=0 src0=0 src1=0 src2=0
	v_pk_mul_f32 v[128:129], v[204:205], v[184:185] op_sel:[1,1] op_sel_hi:[0,1]
	v_pk_fma_f32 v[120:121], v[196:197], v[180:181], v[120:121] neg_lo:[0,0,1] neg_hi:[0,0,1]
	v_mov_b32_e32 v121, v131
	v_pk_fma_f32 v[126:127], v[198:199], v[182:183], v[122:123] op_sel_hi:[1,0,1]
	v_pk_add_f32 v[116:117], v[124:125], v[116:117]
	v_mov_b32_e32 v124, v187
	v_pk_fma_f32 v[122:123], v[198:199], v[182:183], v[122:123] neg_lo:[0,0,1] neg_hi:[0,0,1]
	s_delay_alu instid0(VALU_DEP_3)
	v_pk_add_f32 v[116:117], v[116:117], v[118:119]
	v_pk_fma_f32 v[118:119], v[204:205], v[184:185], v[128:129] op_sel_hi:[1,0,1]
	s_set_vgpr_msb 1                        ;  msbs: dst=0 src0=1 src1=0 src2=0
	v_pk_mul_f32 v[124:125], v[18:19] /*v[274:275]*/, v[124:125] op_sel_hi:[1,0]
	s_set_vgpr_msb 0                        ;  msbs: dst=0 src0=0 src1=0 src2=0
	v_mov_b32_e32 v123, v127
	v_pk_fma_f32 v[126:127], v[204:205], v[184:185], v[128:129] neg_lo:[0,0,1] neg_hi:[0,0,1]
	v_pk_add_f32 v[116:117], v[116:117], v[120:121]
	v_mov_b32_e32 v127, v119
	v_pk_fma_f32 v[118:119], v[206:207], v[186:187], v[124:125] op_sel_hi:[1,0,1]
	s_wait_loadcnt 0x1
	v_pk_mul_f32 v[120:121], v[208:209], v[188:189] op_sel:[1,1] op_sel_hi:[0,1]
	v_mov_b32_e32 v118, v191
	v_pk_add_f32 v[116:117], v[116:117], v[122:123]
	v_pk_fma_f32 v[124:125], v[206:207], v[186:187], v[124:125] neg_lo:[0,0,1] neg_hi:[0,0,1]
	v_mov_b32_e32 v125, v119
	v_pk_fma_f32 v[122:123], v[208:209], v[188:189], v[120:121] op_sel_hi:[1,0,1]
	s_set_vgpr_msb 1                        ;  msbs: dst=0 src0=1 src1=0 src2=0
	v_pk_mul_f32 v[118:119], v[20:21] /*v[276:277]*/, v[118:119] op_sel_hi:[1,0]
	s_set_vgpr_msb 0                        ;  msbs: dst=0 src0=0 src1=0 src2=0
	v_pk_add_f32 v[116:117], v[116:117], v[126:127]
	v_pk_fma_f32 v[120:121], v[208:209], v[188:189], v[120:121] neg_lo:[0,0,1] neg_hi:[0,0,1]
	v_mov_b32_e32 v121, v123
	v_pk_fma_f32 v[122:123], v[210:211], v[190:191], v[118:119] op_sel_hi:[1,0,1]
	s_delay_alu instid0(VALU_DEP_4) | instskip(SKIP_1) | instid1(VALU_DEP_3)
	v_pk_add_f32 v[116:117], v[116:117], v[124:125]
	v_pk_fma_f32 v[118:119], v[210:211], v[190:191], v[118:119] neg_lo:[0,0,1] neg_hi:[0,0,1]
	v_mov_b32_e32 v119, v123
	s_delay_alu instid0(VALU_DEP_3) | instskip(NEXT) | instid1(VALU_DEP_1)
	v_pk_add_f32 v[116:117], v[116:117], v[120:121]
	v_pk_add_f32 v[116:117], v[116:117], v[118:119]
	s_wait_loadcnt 0x0
	s_set_vgpr_msb 1                        ;  msbs: dst=0 src0=1 src1=0 src2=0
	s_delay_alu instid0(VALU_DEP_1)
	v_pk_add_f32 v[116:117], v[12:13] /*v[268:269]*/, v[116:117] neg_lo:[0,1] neg_hi:[0,1]
	scratch_store_b64 off, v[116:117], off offset:144
	s_wait_xcnt 0x0
	v_cmpx_lt_u32_e32 17, v0
	s_set_vgpr_msb 0                        ;  msbs: dst=0 src0=0 src1=0 src2=0
	s_cbranch_execz .LBB120_321
; %bb.320:
	scratch_load_b64 v[116:117], off, off offset:136
	v_mov_b64_e32 v[118:119], 0
	scratch_store_b64 off, v[118:119], off offset:136
	s_wait_loadcnt 0x0
	ds_store_b64 v1, v[116:117]
.LBB120_321:
	s_wait_xcnt 0x0
	s_or_b32 exec_lo, exec_lo, s0
	v_mov_b32_e32 v7, 0
	s_wait_storecnt_dscnt 0x0
	s_barrier_signal -1
	s_barrier_wait -1
	ds_load_b128 v[116:119], v7 offset:608
	ds_load_b128 v[120:123], v7 offset:624
	;; [unrolled: 1-line block ×4, first 2 shown]
	s_clause 0xf
	scratch_load_b128 v[132:135], off, off offset:144
	scratch_load_b128 v[136:139], off, off offset:160
	;; [unrolled: 1-line block ×16, first 2 shown]
	s_mov_b32 s0, exec_lo
	s_wait_loadcnt_dscnt 0xf03
	v_mul_f32_e32 v9, v116, v133
	ds_load_b128 v[228:231], v7 offset:832
	ds_load_b128 v[236:239], v7 offset:848
	ds_load_b128 v[148:151], v7 offset:672
	ds_load_b128 v[156:159], v7 offset:688
	v_dual_fmac_f32 v9, v117, v132 :: v_dual_mul_f32 v11, v118, v135
	ds_load_b128 v[164:167], v7 offset:704
	ds_load_b128 v[172:175], v7 offset:720
	;; [unrolled: 1-line block ×4, first 2 shown]
	v_dual_add_f32 v9, 0, v9 :: v_dual_fmac_f32 v11, v119, v134
	ds_load_b128 v[196:199], v7 offset:768
	ds_load_b128 v[204:207], v7 offset:784
	;; [unrolled: 1-line block ×4, first 2 shown]
	s_wait_loadcnt_dscnt 0xe0e
	v_dual_add_f32 v9, v9, v11 :: v_dual_mul_f32 v11, v120, v137
	s_clause 0x4
	scratch_load_b128 v[244:247], off, off offset:400
	scratch_load_b128 v[248:251], off, off offset:416
	;; [unrolled: 1-line block ×3, first 2 shown]
	s_set_vgpr_msb 64                       ;  msbs: dst=1 src0=0 src1=0 src2=0
	scratch_load_b64 v[6:7] /*v[262:263]*/, off, off offset:448
	s_wait_loadcnt_dscnt 0x40a
	v_dual_mul_f32 v3 /*v259*/, v230, v235 :: v_dual_mul_f32 v5 /*v261*/, v236, v241
	s_set_vgpr_msb 0                        ;  msbs: dst=0 src0=0 src1=0 src2=0
	v_fmac_f32_e32 v11, v121, v136
	s_set_vgpr_msb 64                       ;  msbs: dst=1 src0=0 src1=0 src2=0
	s_delay_alu instid0(VALU_DEP_2) | instskip(SKIP_1) | instid1(VALU_DEP_2)
	v_dual_fmac_f32 v3 /*v259*/, v231, v234 :: v_dual_fmac_f32 v5 /*v261*/, v237, v240
	s_set_vgpr_msb 0                        ;  msbs: dst=0 src0=0 src1=0 src2=0
	v_add_f32_e32 v9, v9, v11
	v_mul_f32_e32 v11, v122, v139
	s_delay_alu instid0(VALU_DEP_1) | instskip(NEXT) | instid1(VALU_DEP_1)
	v_fmac_f32_e32 v11, v123, v138
	v_dual_add_f32 v9, v9, v11 :: v_dual_mul_f32 v11, v124, v141
	s_delay_alu instid0(VALU_DEP_1) | instskip(NEXT) | instid1(VALU_DEP_1)
	v_fmac_f32_e32 v11, v125, v140
	v_add_f32_e32 v9, v9, v11
	v_mul_f32_e32 v11, v126, v143
	s_delay_alu instid0(VALU_DEP_1) | instskip(NEXT) | instid1(VALU_DEP_1)
	v_fmac_f32_e32 v11, v127, v142
	v_dual_add_f32 v9, v9, v11 :: v_dual_mul_f32 v11, v128, v145
	s_delay_alu instid0(VALU_DEP_1) | instskip(NEXT) | instid1(VALU_DEP_1)
	v_fmac_f32_e32 v11, v129, v144
	v_add_f32_e32 v9, v9, v11
	v_mul_f32_e32 v11, v130, v147
	s_delay_alu instid0(VALU_DEP_1) | instskip(SKIP_1) | instid1(VALU_DEP_1)
	v_fmac_f32_e32 v11, v131, v146
	s_wait_dscnt 0x9
	v_dual_add_f32 v9, v9, v11 :: v_dual_mul_f32 v11, v148, v153
	s_delay_alu instid0(VALU_DEP_1) | instskip(NEXT) | instid1(VALU_DEP_1)
	v_fmac_f32_e32 v11, v149, v152
	v_add_f32_e32 v9, v9, v11
	v_mul_f32_e32 v11, v150, v155
	s_delay_alu instid0(VALU_DEP_1) | instskip(SKIP_1) | instid1(VALU_DEP_1)
	v_fmac_f32_e32 v11, v151, v154
	s_wait_dscnt 0x8
	v_dual_add_f32 v9, v9, v11 :: v_dual_mul_f32 v11, v156, v161
	s_delay_alu instid0(VALU_DEP_1) | instskip(NEXT) | instid1(VALU_DEP_1)
	v_fmac_f32_e32 v11, v157, v160
	v_add_f32_e32 v9, v9, v11
	v_mul_f32_e32 v11, v158, v163
	s_delay_alu instid0(VALU_DEP_1) | instskip(SKIP_1) | instid1(VALU_DEP_1)
	v_fmac_f32_e32 v11, v159, v162
	s_wait_dscnt 0x7
	v_dual_add_f32 v9, v9, v11 :: v_dual_mul_f32 v11, v164, v169
	s_delay_alu instid0(VALU_DEP_1) | instskip(NEXT) | instid1(VALU_DEP_1)
	v_fmac_f32_e32 v11, v165, v168
	v_add_f32_e32 v9, v9, v11
	v_mul_f32_e32 v11, v166, v171
	s_delay_alu instid0(VALU_DEP_1) | instskip(SKIP_1) | instid1(VALU_DEP_1)
	v_fmac_f32_e32 v11, v167, v170
	s_wait_dscnt 0x6
	v_dual_add_f32 v9, v9, v11 :: v_dual_mul_f32 v11, v172, v177
	s_delay_alu instid0(VALU_DEP_1) | instskip(NEXT) | instid1(VALU_DEP_1)
	v_fmac_f32_e32 v11, v173, v176
	v_add_f32_e32 v9, v9, v11
	v_mul_f32_e32 v11, v174, v179
	s_delay_alu instid0(VALU_DEP_1) | instskip(SKIP_1) | instid1(VALU_DEP_1)
	v_fmac_f32_e32 v11, v175, v178
	s_wait_dscnt 0x5
	v_dual_add_f32 v9, v9, v11 :: v_dual_mul_f32 v11, v180, v185
	s_delay_alu instid0(VALU_DEP_1) | instskip(NEXT) | instid1(VALU_DEP_1)
	v_fmac_f32_e32 v11, v181, v184
	v_add_f32_e32 v9, v9, v11
	v_mul_f32_e32 v11, v182, v187
	s_delay_alu instid0(VALU_DEP_1) | instskip(SKIP_1) | instid1(VALU_DEP_1)
	v_fmac_f32_e32 v11, v183, v186
	s_wait_dscnt 0x4
	v_dual_add_f32 v9, v9, v11 :: v_dual_mul_f32 v11, v188, v193
	s_delay_alu instid0(VALU_DEP_1) | instskip(NEXT) | instid1(VALU_DEP_1)
	v_fmac_f32_e32 v11, v189, v192
	v_add_f32_e32 v9, v9, v11
	v_mul_f32_e32 v11, v190, v195
	s_delay_alu instid0(VALU_DEP_1) | instskip(SKIP_1) | instid1(VALU_DEP_1)
	v_fmac_f32_e32 v11, v191, v194
	s_wait_dscnt 0x3
	v_dual_add_f32 v9, v9, v11 :: v_dual_mul_f32 v11, v196, v201
	s_delay_alu instid0(VALU_DEP_1) | instskip(NEXT) | instid1(VALU_DEP_1)
	v_fmac_f32_e32 v11, v197, v200
	v_add_f32_e32 v9, v9, v11
	v_mul_f32_e32 v11, v198, v203
	s_delay_alu instid0(VALU_DEP_1) | instskip(SKIP_1) | instid1(VALU_DEP_1)
	v_fmac_f32_e32 v11, v199, v202
	s_wait_dscnt 0x2
	v_dual_add_f32 v9, v9, v11 :: v_dual_mul_f32 v11, v204, v209
	s_delay_alu instid0(VALU_DEP_1) | instskip(NEXT) | instid1(VALU_DEP_1)
	v_fmac_f32_e32 v11, v205, v208
	v_add_f32_e32 v9, v9, v11
	v_mul_f32_e32 v11, v206, v211
	s_delay_alu instid0(VALU_DEP_1) | instskip(SKIP_1) | instid1(VALU_DEP_1)
	v_fmac_f32_e32 v11, v207, v210
	s_wait_dscnt 0x1
	v_dual_add_f32 v9, v9, v11 :: v_dual_mul_f32 v11, v212, v217
	s_delay_alu instid0(VALU_DEP_1) | instskip(NEXT) | instid1(VALU_DEP_1)
	v_fmac_f32_e32 v11, v213, v216
	v_add_f32_e32 v9, v9, v11
	v_mul_f32_e32 v11, v214, v219
	s_delay_alu instid0(VALU_DEP_1) | instskip(SKIP_1) | instid1(VALU_DEP_1)
	v_fmac_f32_e32 v11, v215, v218
	s_wait_dscnt 0x0
	v_dual_add_f32 v9, v9, v11 :: v_dual_mul_f32 v11, v220, v225
	s_delay_alu instid0(VALU_DEP_1) | instskip(NEXT) | instid1(VALU_DEP_1)
	v_fmac_f32_e32 v11, v221, v224
	v_add_f32_e32 v9, v9, v11
	v_mul_f32_e32 v11, v222, v227
	s_delay_alu instid0(VALU_DEP_1) | instskip(NEXT) | instid1(VALU_DEP_1)
	v_fmac_f32_e32 v11, v223, v226
	v_dual_add_f32 v9, v9, v11 :: v_dual_mul_f32 v11, v228, v233
	s_delay_alu instid0(VALU_DEP_1) | instskip(SKIP_1) | instid1(VALU_DEP_1)
	v_fmac_f32_e32 v11, v229, v232
	s_set_vgpr_msb 64                       ;  msbs: dst=1 src0=0 src1=0 src2=0
	v_add_f32_e32 v1 /*v257*/, v9, v11
	s_set_vgpr_msb 0                        ;  msbs: dst=0 src0=0 src1=0 src2=0
	v_dual_mul_f32 v9, v117, v133 :: v_dual_mul_f32 v11, v119, v135
	s_delay_alu instid0(VALU_DEP_1) | instskip(NEXT) | instid1(VALU_DEP_2)
	v_dual_mov_b32 v133, v238 :: v_dual_fma_f32 v9, v116, v132, -v9
	v_dual_fma_f32 v11, v118, v134, -v11 :: v_dual_mov_b32 v132, v239
	s_delay_alu instid0(VALU_DEP_2) | instskip(NEXT) | instid1(VALU_DEP_1)
	v_dual_mov_b32 v134, v243 :: v_dual_add_f32 v9, 0, v9
	v_pk_mul_f32 v[132:133], v[132:133], v[134:135] op_sel_hi:[1,0]
	s_delay_alu instid0(VALU_DEP_2) | instskip(SKIP_1) | instid1(VALU_DEP_3)
	v_add_f32_e32 v9, v9, v11
	v_mul_f32_e32 v11, v121, v137
	v_pk_fma_f32 v[134:135], v[238:239], v[242:243], v[132:133] neg_lo:[0,0,1] neg_hi:[0,0,1]
	v_pk_fma_f32 v[132:133], v[238:239], v[242:243], v[132:133] op_sel_hi:[1,0,1]
	s_delay_alu instid0(VALU_DEP_1) | instskip(NEXT) | instid1(VALU_DEP_1)
	v_dual_fma_f32 v11, v120, v136, -v11 :: v_dual_mov_b32 v135, v133
	v_add_f32_e32 v9, v9, v11
	v_mul_f32_e32 v11, v123, v139
	s_delay_alu instid0(VALU_DEP_1) | instskip(NEXT) | instid1(VALU_DEP_1)
	v_fma_f32 v11, v122, v138, -v11
	v_add_f32_e32 v9, v9, v11
	v_mul_f32_e32 v11, v125, v141
	s_delay_alu instid0(VALU_DEP_1) | instskip(NEXT) | instid1(VALU_DEP_1)
	v_fma_f32 v11, v124, v140, -v11
	;; [unrolled: 4-line block ×3, first 2 shown]
	v_add_f32_e32 v9, v9, v11
	v_mul_f32_e32 v11, v129, v145
	s_delay_alu instid0(VALU_DEP_1)
	v_fma_f32 v11, v128, v144, -v11
	ds_load_b128 v[116:119], v7 offset:864
	ds_load_b128 v[120:123], v7 offset:880
	;; [unrolled: 1-line block ×3, first 2 shown]
	ds_load_b64 v[128:129], v7 offset:912
	v_add_f32_e32 v9, v9, v11
	v_mul_f32_e32 v11, v131, v147
	s_delay_alu instid0(VALU_DEP_1) | instskip(NEXT) | instid1(VALU_DEP_1)
	v_fma_f32 v11, v130, v146, -v11
	v_add_f32_e32 v9, v9, v11
	v_mul_f32_e32 v11, v149, v153
	s_wait_loadcnt_dscnt 0x303
	v_pk_mul_f32 v[132:133], v[116:117], v[244:245] op_sel:[1,1] op_sel_hi:[0,1]
	s_delay_alu instid0(VALU_DEP_2) | instskip(NEXT) | instid1(VALU_DEP_1)
	v_fma_f32 v11, v148, v152, -v11
	v_add_f32_e32 v9, v9, v11
	v_mul_f32_e32 v11, v151, v155
	s_delay_alu instid0(VALU_DEP_1) | instskip(NEXT) | instid1(VALU_DEP_1)
	v_fma_f32 v11, v150, v154, -v11
	v_add_f32_e32 v9, v9, v11
	v_mul_f32_e32 v11, v157, v161
	s_delay_alu instid0(VALU_DEP_1) | instskip(NEXT) | instid1(VALU_DEP_1)
	;; [unrolled: 4-line block ×19, first 2 shown]
	v_fma_f32 v11, v222, v226, -v11
	v_add_f32_e32 v9, v9, v11
	v_mul_f32_e32 v11, v229, v233
	s_delay_alu instid0(VALU_DEP_1) | instskip(SKIP_1) | instid1(VALU_DEP_1)
	v_fma_f32 v11, v228, v232, -v11
	s_set_vgpr_msb 64                       ;  msbs: dst=1 src0=0 src1=0 src2=0
	v_add_f32_e32 v0 /*v256*/, v9, v11
	s_set_vgpr_msb 0                        ;  msbs: dst=0 src0=0 src1=0 src2=0
	v_mul_f32_e32 v9, v231, v235
	s_set_vgpr_msb 64                       ;  msbs: dst=1 src0=0 src1=0 src2=0
	s_delay_alu instid0(VALU_DEP_1) | instskip(SKIP_3) | instid1(VALU_DEP_2)
	v_fma_f32 v2 /*v258*/, v230, v234, -v9
	s_set_vgpr_msb 0                        ;  msbs: dst=0 src0=0 src1=0 src2=0
	v_mul_f32_e32 v9, v237, v241
	s_set_vgpr_msb 5                        ;  msbs: dst=0 src0=1 src1=1 src2=0
	v_pk_add_f32 v[130:131], v[0:1] /*v[256:257]*/, v[2:3] /*v[258:259]*/
	s_set_vgpr_msb 64                       ;  msbs: dst=1 src0=0 src1=0 src2=0
	s_delay_alu instid0(VALU_DEP_2) | instskip(SKIP_1) | instid1(VALU_DEP_1)
	v_fma_f32 v4 /*v260*/, v236, v240, -v9
	s_set_vgpr_msb 4                        ;  msbs: dst=0 src0=0 src1=1 src2=0
	v_pk_add_f32 v[130:131], v[130:131], v[4:5] /*v[260:261]*/
	s_set_vgpr_msb 0                        ;  msbs: dst=0 src0=0 src1=0 src2=0
	s_delay_alu instid0(VALU_DEP_1) | instskip(SKIP_2) | instid1(VALU_DEP_1)
	v_pk_add_f32 v[130:131], v[130:131], v[134:135]
	v_pk_fma_f32 v[134:135], v[116:117], v[244:245], v[132:133] neg_lo:[0,0,1] neg_hi:[0,0,1]
	v_pk_fma_f32 v[116:117], v[116:117], v[244:245], v[132:133] op_sel_hi:[1,0,1]
	v_dual_mov_b32 v132, v247 :: v_dual_mov_b32 v135, v117
	s_delay_alu instid0(VALU_DEP_1) | instskip(SKIP_1) | instid1(VALU_DEP_1)
	v_pk_add_f32 v[116:117], v[130:131], v[134:135]
	v_dual_mov_b32 v130, v119 :: v_dual_mov_b32 v131, v118
	v_pk_mul_f32 v[130:131], v[130:131], v[132:133] op_sel_hi:[1,0]
	s_delay_alu instid0(VALU_DEP_1) | instskip(SKIP_1) | instid1(VALU_DEP_1)
	v_pk_fma_f32 v[132:133], v[118:119], v[246:247], v[130:131] neg_lo:[0,0,1] neg_hi:[0,0,1]
	v_pk_fma_f32 v[118:119], v[118:119], v[246:247], v[130:131] op_sel_hi:[1,0,1]
	v_mov_b32_e32 v133, v119
	s_wait_loadcnt_dscnt 0x202
	v_pk_mul_f32 v[118:119], v[120:121], v[248:249] op_sel:[1,1] op_sel_hi:[0,1]
	s_delay_alu instid0(VALU_DEP_2) | instskip(NEXT) | instid1(VALU_DEP_2)
	v_pk_add_f32 v[116:117], v[116:117], v[132:133]
	v_pk_fma_f32 v[130:131], v[120:121], v[248:249], v[118:119] neg_lo:[0,0,1] neg_hi:[0,0,1]
	v_pk_fma_f32 v[118:119], v[120:121], v[248:249], v[118:119] op_sel_hi:[1,0,1]
	v_dual_mov_b32 v118, v123 :: v_dual_mov_b32 v120, v251
	s_delay_alu instid0(VALU_DEP_2) | instskip(NEXT) | instid1(VALU_DEP_1)
	v_dual_mov_b32 v131, v119 :: v_dual_mov_b32 v119, v122
	v_pk_add_f32 v[116:117], v[116:117], v[130:131]
	s_delay_alu instid0(VALU_DEP_2) | instskip(NEXT) | instid1(VALU_DEP_1)
	v_pk_mul_f32 v[118:119], v[118:119], v[120:121] op_sel_hi:[1,0]
	v_pk_fma_f32 v[120:121], v[122:123], v[250:251], v[118:119] neg_lo:[0,0,1] neg_hi:[0,0,1]
	v_pk_fma_f32 v[118:119], v[122:123], v[250:251], v[118:119] op_sel_hi:[1,0,1]
	s_delay_alu instid0(VALU_DEP_1) | instskip(SKIP_2) | instid1(VALU_DEP_2)
	v_mov_b32_e32 v121, v119
	s_wait_loadcnt_dscnt 0x101
	v_pk_mul_f32 v[118:119], v[124:125], v[252:253] op_sel:[1,1] op_sel_hi:[0,1]
	v_pk_add_f32 v[116:117], v[116:117], v[120:121]
	s_delay_alu instid0(VALU_DEP_2) | instskip(SKIP_1) | instid1(VALU_DEP_1)
	v_pk_fma_f32 v[120:121], v[124:125], v[252:253], v[118:119] neg_lo:[0,0,1] neg_hi:[0,0,1]
	v_pk_fma_f32 v[118:119], v[124:125], v[252:253], v[118:119] op_sel_hi:[1,0,1]
	v_dual_mov_b32 v118, v127 :: v_dual_mov_b32 v121, v119
	v_mov_b32_e32 v119, v126
	s_delay_alu instid0(VALU_DEP_2) | instskip(SKIP_1) | instid1(VALU_DEP_1)
	v_pk_add_f32 v[116:117], v[116:117], v[120:121]
	v_mov_b32_e32 v120, v255
	v_pk_mul_f32 v[118:119], v[118:119], v[120:121] op_sel_hi:[1,0]
	s_delay_alu instid0(VALU_DEP_1) | instskip(SKIP_1) | instid1(VALU_DEP_1)
	v_pk_fma_f32 v[120:121], v[126:127], v[254:255], v[118:119] neg_lo:[0,0,1] neg_hi:[0,0,1]
	v_pk_fma_f32 v[118:119], v[126:127], v[254:255], v[118:119] op_sel_hi:[1,0,1]
	v_mov_b32_e32 v121, v119
	s_wait_loadcnt_dscnt 0x0
	s_set_vgpr_msb 4                        ;  msbs: dst=0 src0=0 src1=1 src2=0
	v_pk_mul_f32 v[118:119], v[128:129], v[6:7] /*v[262:263]*/ op_sel:[1,1] op_sel_hi:[0,1]
	s_set_vgpr_msb 0                        ;  msbs: dst=0 src0=0 src1=0 src2=0
	v_pk_add_f32 v[116:117], v[116:117], v[120:121]
	s_set_vgpr_msb 4                        ;  msbs: dst=0 src0=0 src1=1 src2=0
	s_delay_alu instid0(VALU_DEP_2) | instskip(SKIP_1) | instid1(VALU_DEP_1)
	v_pk_fma_f32 v[120:121], v[128:129], v[6:7] /*v[262:263]*/, v[118:119] neg_lo:[0,0,1] neg_hi:[0,0,1]
	v_pk_fma_f32 v[118:119], v[128:129], v[6:7] /*v[262:263]*/, v[118:119] op_sel_hi:[1,0,1]
	v_mov_b32_e32 v121, v119
	scratch_load_b64 v[118:119], off, off offset:136
	s_set_vgpr_msb 0                        ;  msbs: dst=0 src0=0 src1=0 src2=0
	v_pk_add_f32 v[116:117], v[116:117], v[120:121]
	s_wait_loadcnt 0x0
	s_delay_alu instid0(VALU_DEP_1)
	v_pk_add_f32 v[116:117], v[118:119], v[116:117] neg_lo:[0,1] neg_hi:[0,1]
	scratch_store_b64 off, v[116:117], off offset:136
	s_wait_xcnt 0x0
	v_cmpx_lt_u32_e32 16, v0
	s_cbranch_execz .LBB120_323
; %bb.322:
	scratch_load_b64 v[116:117], off, off offset:128
	v_mov_b64_e32 v[118:119], 0
	scratch_store_b64 off, v[118:119], off offset:128
	s_wait_loadcnt 0x0
	ds_store_b64 v1, v[116:117]
.LBB120_323:
	s_wait_xcnt 0x0
	s_or_b32 exec_lo, exec_lo, s0
	s_wait_storecnt_dscnt 0x0
	s_barrier_signal -1
	s_barrier_wait -1
	s_clause 0xf
	scratch_load_b128 v[120:123], off, off offset:136
	scratch_load_b128 v[128:131], off, off offset:152
	;; [unrolled: 1-line block ×16, first 2 shown]
	ds_load_2addr_b64 v[116:119], v7 offset0:75 offset1:76
	ds_load_2addr_b64 v[124:127], v7 offset0:77 offset1:78
	;; [unrolled: 1-line block ×16, first 2 shown]
	s_clause 0x4
	scratch_load_b128 v[244:247], off, off offset:392
	scratch_load_b128 v[248:251], off, off offset:408
	;; [unrolled: 1-line block ×3, first 2 shown]
	s_set_vgpr_msb 64                       ;  msbs: dst=1 src0=0 src1=0 src2=0
	scratch_load_b128 v[0:3] /*v[256:259]*/, off, off offset:440
	s_mov_b32 s0, exec_lo
	s_wait_loadcnt_dscnt 0x130f
	s_set_vgpr_msb 0                        ;  msbs: dst=0 src0=0 src1=0 src2=0
	v_dual_mul_f32 v9, v116, v121 :: v_dual_mul_f32 v11, v118, v123
	s_delay_alu instid0(VALU_DEP_1) | instskip(NEXT) | instid1(VALU_DEP_1)
	v_dual_fmac_f32 v9, v117, v120 :: v_dual_fmac_f32 v11, v119, v122
	v_add_f32_e32 v9, 0, v9
	s_wait_loadcnt_dscnt 0x120e
	s_delay_alu instid0(VALU_DEP_1)
	v_dual_add_f32 v9, v9, v11 :: v_dual_mul_f32 v11, v124, v129
	s_wait_loadcnt_dscnt 0x408
	s_set_vgpr_msb 64                       ;  msbs: dst=1 src0=0 src1=0 src2=0
	v_dual_mul_f32 v7 /*v263*/, v236, v241 :: v_dual_mul_f32 v9 /*v265*/, v238, v243
	s_set_vgpr_msb 0                        ;  msbs: dst=0 src0=0 src1=0 src2=0
	v_fmac_f32_e32 v11, v125, v128
	s_set_vgpr_msb 64                       ;  msbs: dst=1 src0=0 src1=0 src2=0
	s_delay_alu instid0(VALU_DEP_2) | instskip(SKIP_1) | instid1(VALU_DEP_2)
	v_fmac_f32_e32 v7 /*v263*/, v237, v240
	s_set_vgpr_msb 0                        ;  msbs: dst=0 src0=0 src1=0 src2=0
	v_add_f32_e32 v9, v9, v11
	v_mul_f32_e32 v11, v126, v131
	s_delay_alu instid0(VALU_DEP_1) | instskip(NEXT) | instid1(VALU_DEP_1)
	v_fmac_f32_e32 v11, v127, v130
	v_dual_add_f32 v9, v9, v11 :: v_dual_mul_f32 v11, v132, v137
	s_delay_alu instid0(VALU_DEP_1) | instskip(NEXT) | instid1(VALU_DEP_1)
	v_fmac_f32_e32 v11, v133, v136
	v_add_f32_e32 v9, v9, v11
	v_mul_f32_e32 v11, v134, v139
	s_delay_alu instid0(VALU_DEP_1) | instskip(NEXT) | instid1(VALU_DEP_1)
	v_fmac_f32_e32 v11, v135, v138
	v_dual_add_f32 v9, v9, v11 :: v_dual_mul_f32 v11, v140, v145
	s_delay_alu instid0(VALU_DEP_1) | instskip(NEXT) | instid1(VALU_DEP_1)
	v_fmac_f32_e32 v11, v141, v144
	;; [unrolled: 7-line block ×4, first 2 shown]
	v_add_f32_e32 v9, v9, v11
	v_mul_f32_e32 v11, v158, v163
	s_delay_alu instid0(VALU_DEP_1) | instskip(SKIP_1) | instid1(VALU_DEP_1)
	v_fmac_f32_e32 v11, v159, v162
	s_wait_dscnt 0x7
	v_dual_add_f32 v9, v9, v11 :: v_dual_mul_f32 v11, v164, v169
	s_delay_alu instid0(VALU_DEP_1) | instskip(NEXT) | instid1(VALU_DEP_1)
	v_fmac_f32_e32 v11, v165, v168
	v_add_f32_e32 v9, v9, v11
	v_mul_f32_e32 v11, v166, v171
	s_delay_alu instid0(VALU_DEP_1) | instskip(SKIP_1) | instid1(VALU_DEP_1)
	v_fmac_f32_e32 v11, v167, v170
	s_wait_dscnt 0x6
	v_dual_add_f32 v9, v9, v11 :: v_dual_mul_f32 v11, v172, v177
	s_delay_alu instid0(VALU_DEP_1) | instskip(NEXT) | instid1(VALU_DEP_1)
	v_fmac_f32_e32 v11, v173, v176
	;; [unrolled: 8-line block ×8, first 2 shown]
	v_add_f32_e32 v9, v9, v11
	v_mul_f32_e32 v11, v222, v227
	s_delay_alu instid0(VALU_DEP_1) | instskip(NEXT) | instid1(VALU_DEP_1)
	v_fmac_f32_e32 v11, v223, v226
	v_dual_add_f32 v9, v9, v11 :: v_dual_mul_f32 v11, v228, v233
	s_delay_alu instid0(VALU_DEP_1) | instskip(NEXT) | instid1(VALU_DEP_1)
	v_fmac_f32_e32 v11, v229, v232
	v_add_f32_e32 v9, v9, v11
	v_mul_f32_e32 v11, v230, v235
	s_delay_alu instid0(VALU_DEP_1) | instskip(SKIP_1) | instid1(VALU_DEP_1)
	v_fmac_f32_e32 v11, v231, v234
	s_set_vgpr_msb 64                       ;  msbs: dst=1 src0=0 src1=0 src2=0
	v_add_f32_e32 v5 /*v261*/, v9, v11
	s_set_vgpr_msb 0                        ;  msbs: dst=0 src0=0 src1=0 src2=0
	v_dual_mul_f32 v9, v117, v121 :: v_dual_mul_f32 v11, v119, v123
	s_delay_alu instid0(VALU_DEP_1) | instskip(NEXT) | instid1(VALU_DEP_1)
	v_dual_fma_f32 v9, v116, v120, -v9 :: v_dual_fma_f32 v11, v118, v122, -v11
	v_add_f32_e32 v9, 0, v9
	s_delay_alu instid0(VALU_DEP_1) | instskip(SKIP_1) | instid1(VALU_DEP_1)
	v_add_f32_e32 v9, v9, v11
	v_mul_f32_e32 v11, v125, v129
	v_fma_f32 v11, v124, v128, -v11
	s_delay_alu instid0(VALU_DEP_1) | instskip(SKIP_1) | instid1(VALU_DEP_1)
	v_add_f32_e32 v9, v9, v11
	v_mul_f32_e32 v11, v127, v131
	v_fma_f32 v11, v126, v130, -v11
	ds_load_2addr_b64 v[116:119], v7 offset0:107 offset1:108
	ds_load_2addr_b64 v[120:123], v7 offset0:109 offset1:110
	;; [unrolled: 1-line block ×4, first 2 shown]
	v_add_f32_e32 v9, v9, v11
	v_mul_f32_e32 v11, v133, v137
	s_delay_alu instid0(VALU_DEP_1) | instskip(NEXT) | instid1(VALU_DEP_1)
	v_fma_f32 v11, v132, v136, -v11
	v_add_f32_e32 v9, v9, v11
	v_mul_f32_e32 v11, v135, v139
	s_delay_alu instid0(VALU_DEP_1) | instskip(SKIP_2) | instid1(VALU_DEP_2)
	v_fma_f32 v11, v134, v138, -v11
	s_wait_loadcnt_dscnt 0x303
	v_pk_mul_f32 v[134:135], v[116:117], v[244:245] op_sel:[1,1] op_sel_hi:[0,1]
	v_add_f32_e32 v9, v9, v11
	v_mul_f32_e32 v11, v141, v145
	s_delay_alu instid0(VALU_DEP_3) | instskip(SKIP_1) | instid1(VALU_DEP_3)
	v_pk_fma_f32 v[136:137], v[116:117], v[244:245], v[134:135] neg_lo:[0,0,1] neg_hi:[0,0,1]
	v_pk_fma_f32 v[116:117], v[116:117], v[244:245], v[134:135] op_sel_hi:[1,0,1]
	v_dual_mov_b32 v134, v247 :: v_dual_fma_f32 v11, v140, v144, -v11
	s_delay_alu instid0(VALU_DEP_2) | instskip(NEXT) | instid1(VALU_DEP_2)
	v_mov_b32_e32 v137, v117
	v_add_f32_e32 v9, v9, v11
	v_mul_f32_e32 v11, v143, v147
	s_delay_alu instid0(VALU_DEP_1) | instskip(NEXT) | instid1(VALU_DEP_1)
	v_fma_f32 v11, v142, v146, -v11
	v_add_f32_e32 v9, v9, v11
	v_mul_f32_e32 v11, v149, v153
	s_delay_alu instid0(VALU_DEP_1) | instskip(NEXT) | instid1(VALU_DEP_1)
	v_fma_f32 v11, v148, v152, -v11
	v_add_f32_e32 v9, v9, v11
	v_mul_f32_e32 v11, v151, v155
	s_delay_alu instid0(VALU_DEP_1) | instskip(NEXT) | instid1(VALU_DEP_1)
	v_fma_f32 v11, v150, v154, -v11
	v_add_f32_e32 v9, v9, v11
	v_mul_f32_e32 v11, v157, v161
	s_delay_alu instid0(VALU_DEP_1) | instskip(NEXT) | instid1(VALU_DEP_1)
	v_fma_f32 v11, v156, v160, -v11
	v_add_f32_e32 v9, v9, v11
	v_mul_f32_e32 v11, v159, v163
	s_delay_alu instid0(VALU_DEP_1) | instskip(NEXT) | instid1(VALU_DEP_1)
	v_fma_f32 v11, v158, v162, -v11
	v_add_f32_e32 v9, v9, v11
	v_mul_f32_e32 v11, v165, v169
	s_delay_alu instid0(VALU_DEP_1) | instskip(NEXT) | instid1(VALU_DEP_1)
	v_fma_f32 v11, v164, v168, -v11
	v_add_f32_e32 v9, v9, v11
	v_mul_f32_e32 v11, v167, v171
	s_delay_alu instid0(VALU_DEP_1) | instskip(NEXT) | instid1(VALU_DEP_1)
	v_fma_f32 v11, v166, v170, -v11
	v_add_f32_e32 v9, v9, v11
	v_mul_f32_e32 v11, v173, v177
	s_delay_alu instid0(VALU_DEP_1) | instskip(NEXT) | instid1(VALU_DEP_1)
	v_fma_f32 v11, v172, v176, -v11
	v_add_f32_e32 v9, v9, v11
	v_mul_f32_e32 v11, v175, v179
	s_delay_alu instid0(VALU_DEP_1) | instskip(NEXT) | instid1(VALU_DEP_1)
	v_fma_f32 v11, v174, v178, -v11
	v_add_f32_e32 v9, v9, v11
	v_mul_f32_e32 v11, v181, v185
	s_delay_alu instid0(VALU_DEP_1) | instskip(NEXT) | instid1(VALU_DEP_1)
	v_fma_f32 v11, v180, v184, -v11
	v_add_f32_e32 v9, v9, v11
	v_mul_f32_e32 v11, v183, v187
	s_delay_alu instid0(VALU_DEP_1) | instskip(NEXT) | instid1(VALU_DEP_1)
	v_fma_f32 v11, v182, v186, -v11
	v_add_f32_e32 v9, v9, v11
	v_mul_f32_e32 v11, v189, v193
	s_delay_alu instid0(VALU_DEP_1) | instskip(NEXT) | instid1(VALU_DEP_1)
	v_fma_f32 v11, v188, v192, -v11
	v_add_f32_e32 v9, v9, v11
	v_mul_f32_e32 v11, v191, v195
	s_delay_alu instid0(VALU_DEP_1) | instskip(NEXT) | instid1(VALU_DEP_1)
	v_fma_f32 v11, v190, v194, -v11
	v_add_f32_e32 v9, v9, v11
	v_mul_f32_e32 v11, v197, v201
	s_delay_alu instid0(VALU_DEP_1) | instskip(NEXT) | instid1(VALU_DEP_1)
	v_fma_f32 v11, v196, v200, -v11
	v_add_f32_e32 v9, v9, v11
	v_mul_f32_e32 v11, v199, v203
	s_delay_alu instid0(VALU_DEP_1) | instskip(NEXT) | instid1(VALU_DEP_1)
	v_fma_f32 v11, v198, v202, -v11
	v_add_f32_e32 v9, v9, v11
	v_mul_f32_e32 v11, v205, v209
	s_delay_alu instid0(VALU_DEP_1) | instskip(NEXT) | instid1(VALU_DEP_1)
	v_fma_f32 v11, v204, v208, -v11
	v_add_f32_e32 v9, v9, v11
	v_mul_f32_e32 v11, v207, v211
	s_delay_alu instid0(VALU_DEP_1) | instskip(NEXT) | instid1(VALU_DEP_1)
	v_fma_f32 v11, v206, v210, -v11
	v_add_f32_e32 v9, v9, v11
	v_mul_f32_e32 v11, v213, v217
	s_delay_alu instid0(VALU_DEP_1) | instskip(NEXT) | instid1(VALU_DEP_1)
	v_fma_f32 v11, v212, v216, -v11
	v_add_f32_e32 v9, v9, v11
	v_mul_f32_e32 v11, v215, v219
	s_delay_alu instid0(VALU_DEP_1) | instskip(NEXT) | instid1(VALU_DEP_1)
	v_fma_f32 v11, v214, v218, -v11
	v_add_f32_e32 v9, v9, v11
	v_mul_f32_e32 v11, v221, v225
	s_delay_alu instid0(VALU_DEP_1) | instskip(NEXT) | instid1(VALU_DEP_1)
	v_fma_f32 v11, v220, v224, -v11
	v_add_f32_e32 v9, v9, v11
	v_mul_f32_e32 v11, v223, v227
	s_delay_alu instid0(VALU_DEP_1) | instskip(NEXT) | instid1(VALU_DEP_1)
	v_fma_f32 v11, v222, v226, -v11
	v_add_f32_e32 v9, v9, v11
	v_mul_f32_e32 v11, v229, v233
	s_delay_alu instid0(VALU_DEP_1) | instskip(NEXT) | instid1(VALU_DEP_1)
	v_fma_f32 v11, v228, v232, -v11
	v_add_f32_e32 v9, v9, v11
	v_mul_f32_e32 v11, v231, v235
	s_delay_alu instid0(VALU_DEP_1) | instskip(SKIP_1) | instid1(VALU_DEP_1)
	v_fma_f32 v11, v230, v234, -v11
	s_set_vgpr_msb 64                       ;  msbs: dst=1 src0=0 src1=0 src2=0
	v_dual_fmac_f32 v9 /*v265*/, v239, v242 :: v_dual_add_f32 v4 /*v260*/, v9, v11
	s_set_vgpr_msb 0                        ;  msbs: dst=0 src0=0 src1=0 src2=0
	v_mul_f32_e32 v9, v237, v241
	s_set_vgpr_msb 64                       ;  msbs: dst=1 src0=0 src1=0 src2=0
	s_delay_alu instid0(VALU_DEP_1) | instskip(SKIP_3) | instid1(VALU_DEP_1)
	v_fma_f32 v6 /*v262*/, v236, v240, -v9
	s_set_vgpr_msb 0                        ;  msbs: dst=0 src0=0 src1=0 src2=0
	v_mul_f32_e32 v9, v239, v243
	s_set_vgpr_msb 64                       ;  msbs: dst=1 src0=0 src1=0 src2=0
	v_fma_f32 v8 /*v264*/, v238, v242, -v9
	s_set_vgpr_msb 5                        ;  msbs: dst=0 src0=1 src1=1 src2=0
	v_pk_add_f32 v[132:133], v[4:5] /*v[260:261]*/, v[6:7] /*v[262:263]*/
	s_set_vgpr_msb 4                        ;  msbs: dst=0 src0=0 src1=1 src2=0
	s_delay_alu instid0(VALU_DEP_1) | instskip(SKIP_1) | instid1(VALU_DEP_1)
	v_pk_add_f32 v[132:133], v[132:133], v[8:9] /*v[264:265]*/
	s_set_vgpr_msb 0                        ;  msbs: dst=0 src0=0 src1=0 src2=0
	v_pk_add_f32 v[116:117], v[132:133], v[136:137]
	v_dual_mov_b32 v132, v119 :: v_dual_mov_b32 v133, v118
	s_delay_alu instid0(VALU_DEP_1) | instskip(NEXT) | instid1(VALU_DEP_1)
	v_pk_mul_f32 v[132:133], v[132:133], v[134:135] op_sel_hi:[1,0]
	v_pk_fma_f32 v[134:135], v[118:119], v[246:247], v[132:133] neg_lo:[0,0,1] neg_hi:[0,0,1]
	v_pk_fma_f32 v[118:119], v[118:119], v[246:247], v[132:133] op_sel_hi:[1,0,1]
	s_delay_alu instid0(VALU_DEP_1) | instskip(SKIP_2) | instid1(VALU_DEP_2)
	v_mov_b32_e32 v135, v119
	s_wait_loadcnt_dscnt 0x202
	v_pk_mul_f32 v[118:119], v[120:121], v[248:249] op_sel:[1,1] op_sel_hi:[0,1]
	v_pk_add_f32 v[116:117], v[116:117], v[134:135]
	s_delay_alu instid0(VALU_DEP_2) | instskip(SKIP_2) | instid1(VALU_DEP_2)
	v_pk_fma_f32 v[132:133], v[120:121], v[248:249], v[118:119] neg_lo:[0,0,1] neg_hi:[0,0,1]
	v_pk_fma_f32 v[118:119], v[120:121], v[248:249], v[118:119] op_sel_hi:[1,0,1]
	v_dual_mov_b32 v118, v123 :: v_dual_mov_b32 v120, v251
	v_dual_mov_b32 v133, v119 :: v_dual_mov_b32 v119, v122
	s_delay_alu instid0(VALU_DEP_1) | instskip(NEXT) | instid1(VALU_DEP_2)
	v_pk_add_f32 v[116:117], v[116:117], v[132:133]
	v_pk_mul_f32 v[118:119], v[118:119], v[120:121] op_sel_hi:[1,0]
	s_delay_alu instid0(VALU_DEP_1) | instskip(SKIP_1) | instid1(VALU_DEP_1)
	v_pk_fma_f32 v[120:121], v[122:123], v[250:251], v[118:119] neg_lo:[0,0,1] neg_hi:[0,0,1]
	v_pk_fma_f32 v[118:119], v[122:123], v[250:251], v[118:119] op_sel_hi:[1,0,1]
	v_mov_b32_e32 v121, v119
	s_wait_loadcnt_dscnt 0x101
	v_pk_mul_f32 v[118:119], v[124:125], v[252:253] op_sel:[1,1] op_sel_hi:[0,1]
	s_delay_alu instid0(VALU_DEP_2) | instskip(NEXT) | instid1(VALU_DEP_2)
	v_pk_add_f32 v[116:117], v[116:117], v[120:121]
	v_pk_fma_f32 v[120:121], v[124:125], v[252:253], v[118:119] neg_lo:[0,0,1] neg_hi:[0,0,1]
	v_pk_fma_f32 v[118:119], v[124:125], v[252:253], v[118:119] op_sel_hi:[1,0,1]
	s_delay_alu instid0(VALU_DEP_1) | instskip(SKIP_1) | instid1(VALU_DEP_2)
	v_dual_mov_b32 v118, v127 :: v_dual_mov_b32 v121, v119
	v_mov_b32_e32 v119, v126
	v_pk_add_f32 v[116:117], v[116:117], v[120:121]
	v_mov_b32_e32 v120, v255
	s_delay_alu instid0(VALU_DEP_1) | instskip(NEXT) | instid1(VALU_DEP_1)
	v_pk_mul_f32 v[118:119], v[118:119], v[120:121] op_sel_hi:[1,0]
	v_pk_fma_f32 v[120:121], v[126:127], v[254:255], v[118:119] neg_lo:[0,0,1] neg_hi:[0,0,1]
	v_pk_fma_f32 v[118:119], v[126:127], v[254:255], v[118:119] op_sel_hi:[1,0,1]
	s_delay_alu instid0(VALU_DEP_1)
	v_mov_b32_e32 v121, v119
	s_wait_loadcnt_dscnt 0x0
	s_set_vgpr_msb 4                        ;  msbs: dst=0 src0=0 src1=1 src2=0
	v_pk_mul_f32 v[118:119], v[128:129], v[0:1] /*v[256:257]*/ op_sel:[1,1] op_sel_hi:[0,1]
	s_set_vgpr_msb 0                        ;  msbs: dst=0 src0=0 src1=0 src2=0
	v_pk_add_f32 v[116:117], v[116:117], v[120:121]
	s_set_vgpr_msb 4                        ;  msbs: dst=0 src0=0 src1=1 src2=0
	s_delay_alu instid0(VALU_DEP_2) | instskip(SKIP_1) | instid1(VALU_DEP_1)
	v_pk_fma_f32 v[120:121], v[128:129], v[0:1] /*v[256:257]*/, v[118:119] neg_lo:[0,0,1] neg_hi:[0,0,1]
	v_pk_fma_f32 v[118:119], v[128:129], v[0:1] /*v[256:257]*/, v[118:119] op_sel_hi:[1,0,1]
	v_dual_mov_b32 v118, v131 :: v_dual_mov_b32 v121, v119
	v_mov_b32_e32 v119, v130
	s_set_vgpr_msb 0                        ;  msbs: dst=0 src0=0 src1=0 src2=0
	s_delay_alu instid0(VALU_DEP_2) | instskip(SKIP_3) | instid1(VALU_DEP_1)
	v_pk_add_f32 v[116:117], v[116:117], v[120:121]
	s_set_vgpr_msb 1                        ;  msbs: dst=0 src0=1 src1=0 src2=0
	v_mov_b32_e32 v120, v3 /*v259*/
	s_set_vgpr_msb 0                        ;  msbs: dst=0 src0=0 src1=0 src2=0
	v_pk_mul_f32 v[118:119], v[118:119], v[120:121] op_sel_hi:[1,0]
	s_set_vgpr_msb 4                        ;  msbs: dst=0 src0=0 src1=1 src2=0
	s_delay_alu instid0(VALU_DEP_1) | instskip(SKIP_1) | instid1(VALU_DEP_1)
	v_pk_fma_f32 v[120:121], v[130:131], v[2:3] /*v[258:259]*/, v[118:119] neg_lo:[0,0,1] neg_hi:[0,0,1]
	v_pk_fma_f32 v[118:119], v[130:131], v[2:3] /*v[258:259]*/, v[118:119] op_sel_hi:[1,0,1]
	v_mov_b32_e32 v121, v119
	scratch_load_b64 v[118:119], off, off offset:128
	s_set_vgpr_msb 0                        ;  msbs: dst=0 src0=0 src1=0 src2=0
	v_pk_add_f32 v[116:117], v[116:117], v[120:121]
	s_wait_loadcnt 0x0
	s_delay_alu instid0(VALU_DEP_1)
	v_pk_add_f32 v[116:117], v[118:119], v[116:117] neg_lo:[0,1] neg_hi:[0,1]
	scratch_store_b64 off, v[116:117], off offset:128
	s_wait_xcnt 0x0
	v_cmpx_lt_u32_e32 15, v0
	s_cbranch_execz .LBB120_325
; %bb.324:
	scratch_load_b64 v[116:117], off, off offset:120
	v_mov_b64_e32 v[118:119], 0
	scratch_store_b64 off, v[118:119], off offset:120
	s_wait_loadcnt 0x0
	ds_store_b64 v1, v[116:117]
.LBB120_325:
	s_wait_xcnt 0x0
	s_or_b32 exec_lo, exec_lo, s0
	v_mov_b32_e32 v7, 0
	s_wait_storecnt_dscnt 0x0
	s_barrier_signal -1
	s_barrier_wait -1
	ds_load_b128 v[116:119], v7 offset:592
	ds_load_b128 v[120:123], v7 offset:608
	;; [unrolled: 1-line block ×4, first 2 shown]
	s_clause 0x10
	scratch_load_b128 v[132:135], off, off offset:128
	scratch_load_b128 v[136:139], off, off offset:144
	;; [unrolled: 1-line block ×17, first 2 shown]
	s_mov_b32 s0, exec_lo
	s_wait_loadcnt_dscnt 0x1003
	v_mul_f32_e32 v9, v116, v133
	ds_load_b128 v[228:231], v7 offset:816
	ds_load_b128 v[236:239], v7 offset:832
	;; [unrolled: 1-line block ×4, first 2 shown]
	v_dual_fmac_f32 v9, v117, v132 :: v_dual_mul_f32 v11, v118, v135
	ds_load_b128 v[244:247], v7 offset:848
	ds_load_b128 v[164:167], v7 offset:688
	;; [unrolled: 1-line block ×3, first 2 shown]
	v_dual_add_f32 v9, 0, v9 :: v_dual_fmac_f32 v11, v119, v134
	ds_load_b128 v[180:183], v7 offset:720
	ds_load_b128 v[188:191], v7 offset:736
	;; [unrolled: 1-line block ×4, first 2 shown]
	s_wait_loadcnt_dscnt 0xf0d
	v_dual_add_f32 v9, v9, v11 :: v_dual_mul_f32 v11, v120, v137
	ds_load_b128 v[212:215], v7 offset:784
	ds_load_b128 v[220:223], v7 offset:800
	s_clause 0x4
	scratch_load_b128 v[252:255], off, off offset:400
	s_set_vgpr_msb 64                       ;  msbs: dst=1 src0=0 src1=0 src2=0
	scratch_load_b128 v[0:3] /*v[256:259]*/, off, off offset:416
	scratch_load_b128 v[4:7] /*v[260:263]*/, off, off offset:432
	scratch_load_b64 v[14:15] /*v[270:271]*/, off, off offset:448
	s_set_vgpr_msb 0                        ;  msbs: dst=0 src0=0 src1=0 src2=0
	v_fmac_f32_e32 v11, v121, v136
	s_wait_loadcnt_dscnt 0x408
	s_set_vgpr_msb 64                       ;  msbs: dst=1 src0=0 src1=0 src2=0
	v_dual_mul_f32 v11 /*v267*/, v238, v243 :: v_dual_mul_f32 v13 /*v269*/, v244, v249
	s_set_vgpr_msb 0                        ;  msbs: dst=0 src0=0 src1=0 src2=0
	v_add_f32_e32 v9, v9, v11
	v_mul_f32_e32 v11, v122, v139
	s_set_vgpr_msb 64                       ;  msbs: dst=1 src0=0 src1=0 src2=0
	v_dual_fmac_f32 v11 /*v267*/, v239, v242 :: v_dual_fmac_f32 v13 /*v269*/, v245, v248
	s_set_vgpr_msb 0                        ;  msbs: dst=0 src0=0 src1=0 src2=0
	s_delay_alu instid0(VALU_DEP_2) | instskip(NEXT) | instid1(VALU_DEP_1)
	v_fmac_f32_e32 v11, v123, v138
	v_dual_add_f32 v9, v9, v11 :: v_dual_mul_f32 v11, v124, v141
	s_delay_alu instid0(VALU_DEP_1) | instskip(NEXT) | instid1(VALU_DEP_1)
	v_fmac_f32_e32 v11, v125, v140
	v_add_f32_e32 v9, v9, v11
	v_mul_f32_e32 v11, v126, v143
	s_delay_alu instid0(VALU_DEP_1) | instskip(NEXT) | instid1(VALU_DEP_1)
	v_fmac_f32_e32 v11, v127, v142
	v_dual_add_f32 v9, v9, v11 :: v_dual_mul_f32 v11, v128, v145
	s_delay_alu instid0(VALU_DEP_1) | instskip(NEXT) | instid1(VALU_DEP_1)
	v_fmac_f32_e32 v11, v129, v144
	v_add_f32_e32 v9, v9, v11
	v_mul_f32_e32 v11, v130, v147
	s_delay_alu instid0(VALU_DEP_1) | instskip(NEXT) | instid1(VALU_DEP_1)
	;; [unrolled: 7-line block ×3, first 2 shown]
	v_fmac_f32_e32 v11, v151, v154
	v_dual_add_f32 v9, v9, v11 :: v_dual_mul_f32 v11, v156, v161
	s_delay_alu instid0(VALU_DEP_1) | instskip(NEXT) | instid1(VALU_DEP_1)
	v_fmac_f32_e32 v11, v157, v160
	v_add_f32_e32 v9, v9, v11
	v_mul_f32_e32 v11, v158, v163
	s_delay_alu instid0(VALU_DEP_1) | instskip(SKIP_1) | instid1(VALU_DEP_1)
	v_fmac_f32_e32 v11, v159, v162
	s_wait_dscnt 0x7
	v_dual_add_f32 v9, v9, v11 :: v_dual_mul_f32 v11, v164, v169
	s_delay_alu instid0(VALU_DEP_1) | instskip(NEXT) | instid1(VALU_DEP_1)
	v_fmac_f32_e32 v11, v165, v168
	v_add_f32_e32 v9, v9, v11
	v_mul_f32_e32 v11, v166, v171
	s_delay_alu instid0(VALU_DEP_1) | instskip(SKIP_1) | instid1(VALU_DEP_1)
	v_fmac_f32_e32 v11, v167, v170
	s_wait_dscnt 0x6
	;; [unrolled: 8-line block ×8, first 2 shown]
	v_dual_add_f32 v9, v9, v11 :: v_dual_mul_f32 v11, v220, v225
	s_delay_alu instid0(VALU_DEP_1) | instskip(NEXT) | instid1(VALU_DEP_1)
	v_fmac_f32_e32 v11, v221, v224
	v_add_f32_e32 v9, v9, v11
	v_mul_f32_e32 v11, v222, v227
	s_delay_alu instid0(VALU_DEP_1) | instskip(NEXT) | instid1(VALU_DEP_1)
	v_fmac_f32_e32 v11, v223, v226
	v_dual_add_f32 v9, v9, v11 :: v_dual_mul_f32 v11, v228, v233
	s_delay_alu instid0(VALU_DEP_1) | instskip(NEXT) | instid1(VALU_DEP_1)
	v_fmac_f32_e32 v11, v229, v232
	v_add_f32_e32 v9, v9, v11
	v_mul_f32_e32 v11, v230, v235
	s_delay_alu instid0(VALU_DEP_1) | instskip(NEXT) | instid1(VALU_DEP_1)
	v_fmac_f32_e32 v11, v231, v234
	v_dual_add_f32 v9, v9, v11 :: v_dual_mul_f32 v11, v236, v241
	s_delay_alu instid0(VALU_DEP_1) | instskip(SKIP_1) | instid1(VALU_DEP_1)
	v_fmac_f32_e32 v11, v237, v240
	s_set_vgpr_msb 64                       ;  msbs: dst=1 src0=0 src1=0 src2=0
	v_add_f32_e32 v9 /*v265*/, v9, v11
	s_set_vgpr_msb 0                        ;  msbs: dst=0 src0=0 src1=0 src2=0
	v_dual_mul_f32 v9, v117, v133 :: v_dual_mul_f32 v11, v119, v135
	s_delay_alu instid0(VALU_DEP_1) | instskip(NEXT) | instid1(VALU_DEP_2)
	v_dual_mov_b32 v133, v246 :: v_dual_fma_f32 v9, v116, v132, -v9
	v_dual_fma_f32 v11, v118, v134, -v11 :: v_dual_mov_b32 v132, v247
	s_delay_alu instid0(VALU_DEP_2) | instskip(NEXT) | instid1(VALU_DEP_1)
	v_dual_mov_b32 v134, v251 :: v_dual_add_f32 v9, 0, v9
	v_pk_mul_f32 v[132:133], v[132:133], v[134:135] op_sel_hi:[1,0]
	s_delay_alu instid0(VALU_DEP_2) | instskip(SKIP_1) | instid1(VALU_DEP_3)
	v_add_f32_e32 v9, v9, v11
	v_mul_f32_e32 v11, v121, v137
	v_pk_fma_f32 v[134:135], v[246:247], v[250:251], v[132:133] neg_lo:[0,0,1] neg_hi:[0,0,1]
	v_pk_fma_f32 v[132:133], v[246:247], v[250:251], v[132:133] op_sel_hi:[1,0,1]
	s_delay_alu instid0(VALU_DEP_1) | instskip(NEXT) | instid1(VALU_DEP_1)
	v_dual_fma_f32 v11, v120, v136, -v11 :: v_dual_mov_b32 v135, v133
	v_add_f32_e32 v9, v9, v11
	v_mul_f32_e32 v11, v123, v139
	s_delay_alu instid0(VALU_DEP_1) | instskip(NEXT) | instid1(VALU_DEP_1)
	v_fma_f32 v11, v122, v138, -v11
	v_add_f32_e32 v9, v9, v11
	v_mul_f32_e32 v11, v125, v141
	s_delay_alu instid0(VALU_DEP_1) | instskip(NEXT) | instid1(VALU_DEP_1)
	v_fma_f32 v11, v124, v140, -v11
	;; [unrolled: 4-line block ×3, first 2 shown]
	v_add_f32_e32 v9, v9, v11
	v_mul_f32_e32 v11, v129, v145
	s_delay_alu instid0(VALU_DEP_1)
	v_fma_f32 v11, v128, v144, -v11
	ds_load_b128 v[116:119], v7 offset:864
	ds_load_b128 v[120:123], v7 offset:880
	;; [unrolled: 1-line block ×3, first 2 shown]
	ds_load_b64 v[128:129], v7 offset:912
	v_add_f32_e32 v9, v9, v11
	v_mul_f32_e32 v11, v131, v147
	s_delay_alu instid0(VALU_DEP_1) | instskip(NEXT) | instid1(VALU_DEP_1)
	v_fma_f32 v11, v130, v146, -v11
	v_add_f32_e32 v9, v9, v11
	v_mul_f32_e32 v11, v149, v153
	s_wait_loadcnt_dscnt 0x303
	v_pk_mul_f32 v[132:133], v[116:117], v[252:253] op_sel:[1,1] op_sel_hi:[0,1]
	s_delay_alu instid0(VALU_DEP_2) | instskip(NEXT) | instid1(VALU_DEP_1)
	v_fma_f32 v11, v148, v152, -v11
	v_add_f32_e32 v9, v9, v11
	v_mul_f32_e32 v11, v151, v155
	s_delay_alu instid0(VALU_DEP_1) | instskip(NEXT) | instid1(VALU_DEP_1)
	v_fma_f32 v11, v150, v154, -v11
	v_add_f32_e32 v9, v9, v11
	v_mul_f32_e32 v11, v157, v161
	s_delay_alu instid0(VALU_DEP_1) | instskip(NEXT) | instid1(VALU_DEP_1)
	;; [unrolled: 4-line block ×21, first 2 shown]
	v_fma_f32 v11, v230, v234, -v11
	v_add_f32_e32 v9, v9, v11
	v_mul_f32_e32 v11, v237, v241
	s_delay_alu instid0(VALU_DEP_1) | instskip(SKIP_1) | instid1(VALU_DEP_1)
	v_fma_f32 v11, v236, v240, -v11
	s_set_vgpr_msb 64                       ;  msbs: dst=1 src0=0 src1=0 src2=0
	v_add_f32_e32 v8 /*v264*/, v9, v11
	s_set_vgpr_msb 0                        ;  msbs: dst=0 src0=0 src1=0 src2=0
	v_mul_f32_e32 v9, v239, v243
	s_set_vgpr_msb 64                       ;  msbs: dst=1 src0=0 src1=0 src2=0
	s_delay_alu instid0(VALU_DEP_1) | instskip(SKIP_3) | instid1(VALU_DEP_2)
	v_fma_f32 v10 /*v266*/, v238, v242, -v9
	s_set_vgpr_msb 0                        ;  msbs: dst=0 src0=0 src1=0 src2=0
	v_mul_f32_e32 v9, v245, v249
	s_set_vgpr_msb 5                        ;  msbs: dst=0 src0=1 src1=1 src2=0
	v_pk_add_f32 v[130:131], v[8:9] /*v[264:265]*/, v[10:11] /*v[266:267]*/
	s_set_vgpr_msb 64                       ;  msbs: dst=1 src0=0 src1=0 src2=0
	s_delay_alu instid0(VALU_DEP_2) | instskip(SKIP_1) | instid1(VALU_DEP_1)
	v_fma_f32 v12 /*v268*/, v244, v248, -v9
	s_set_vgpr_msb 4                        ;  msbs: dst=0 src0=0 src1=1 src2=0
	v_pk_add_f32 v[130:131], v[130:131], v[12:13] /*v[268:269]*/
	s_set_vgpr_msb 0                        ;  msbs: dst=0 src0=0 src1=0 src2=0
	s_delay_alu instid0(VALU_DEP_1) | instskip(SKIP_2) | instid1(VALU_DEP_1)
	v_pk_add_f32 v[130:131], v[130:131], v[134:135]
	v_pk_fma_f32 v[134:135], v[116:117], v[252:253], v[132:133] neg_lo:[0,0,1] neg_hi:[0,0,1]
	v_pk_fma_f32 v[116:117], v[116:117], v[252:253], v[132:133] op_sel_hi:[1,0,1]
	v_dual_mov_b32 v132, v255 :: v_dual_mov_b32 v135, v117
	s_delay_alu instid0(VALU_DEP_1) | instskip(SKIP_1) | instid1(VALU_DEP_1)
	v_pk_add_f32 v[116:117], v[130:131], v[134:135]
	v_dual_mov_b32 v130, v119 :: v_dual_mov_b32 v131, v118
	v_pk_mul_f32 v[130:131], v[130:131], v[132:133] op_sel_hi:[1,0]
	s_delay_alu instid0(VALU_DEP_1) | instskip(SKIP_1) | instid1(VALU_DEP_1)
	v_pk_fma_f32 v[132:133], v[118:119], v[254:255], v[130:131] neg_lo:[0,0,1] neg_hi:[0,0,1]
	v_pk_fma_f32 v[118:119], v[118:119], v[254:255], v[130:131] op_sel_hi:[1,0,1]
	v_mov_b32_e32 v133, v119
	s_wait_loadcnt_dscnt 0x202
	s_set_vgpr_msb 4                        ;  msbs: dst=0 src0=0 src1=1 src2=0
	v_pk_mul_f32 v[118:119], v[120:121], v[0:1] /*v[256:257]*/ op_sel:[1,1] op_sel_hi:[0,1]
	s_set_vgpr_msb 0                        ;  msbs: dst=0 src0=0 src1=0 src2=0
	v_pk_add_f32 v[116:117], v[116:117], v[132:133]
	s_set_vgpr_msb 4                        ;  msbs: dst=0 src0=0 src1=1 src2=0
	s_delay_alu instid0(VALU_DEP_2)
	v_pk_fma_f32 v[130:131], v[120:121], v[0:1] /*v[256:257]*/, v[118:119] neg_lo:[0,0,1] neg_hi:[0,0,1]
	v_pk_fma_f32 v[118:119], v[120:121], v[0:1] /*v[256:257]*/, v[118:119] op_sel_hi:[1,0,1]
	v_mov_b32_e32 v118, v123
	s_set_vgpr_msb 1                        ;  msbs: dst=0 src0=1 src1=0 src2=0
	v_mov_b32_e32 v120, v3 /*v259*/
	s_set_vgpr_msb 0                        ;  msbs: dst=0 src0=0 src1=0 src2=0
	v_dual_mov_b32 v131, v119 :: v_dual_mov_b32 v119, v122
	s_delay_alu instid0(VALU_DEP_1) | instskip(NEXT) | instid1(VALU_DEP_2)
	v_pk_add_f32 v[116:117], v[116:117], v[130:131]
	v_pk_mul_f32 v[118:119], v[118:119], v[120:121] op_sel_hi:[1,0]
	s_set_vgpr_msb 4                        ;  msbs: dst=0 src0=0 src1=1 src2=0
	s_delay_alu instid0(VALU_DEP_1) | instskip(SKIP_1) | instid1(VALU_DEP_1)
	v_pk_fma_f32 v[120:121], v[122:123], v[2:3] /*v[258:259]*/, v[118:119] neg_lo:[0,0,1] neg_hi:[0,0,1]
	v_pk_fma_f32 v[118:119], v[122:123], v[2:3] /*v[258:259]*/, v[118:119] op_sel_hi:[1,0,1]
	v_mov_b32_e32 v121, v119
	s_wait_loadcnt_dscnt 0x101
	v_pk_mul_f32 v[118:119], v[124:125], v[4:5] /*v[260:261]*/ op_sel:[1,1] op_sel_hi:[0,1]
	s_set_vgpr_msb 0                        ;  msbs: dst=0 src0=0 src1=0 src2=0
	s_delay_alu instid0(VALU_DEP_2) | instskip(SKIP_1) | instid1(VALU_DEP_2)
	v_pk_add_f32 v[116:117], v[116:117], v[120:121]
	s_set_vgpr_msb 4                        ;  msbs: dst=0 src0=0 src1=1 src2=0
	v_pk_fma_f32 v[120:121], v[124:125], v[4:5] /*v[260:261]*/, v[118:119] neg_lo:[0,0,1] neg_hi:[0,0,1]
	v_pk_fma_f32 v[118:119], v[124:125], v[4:5] /*v[260:261]*/, v[118:119] op_sel_hi:[1,0,1]
	s_delay_alu instid0(VALU_DEP_1) | instskip(SKIP_2) | instid1(VALU_DEP_2)
	v_dual_mov_b32 v118, v127 :: v_dual_mov_b32 v121, v119
	v_mov_b32_e32 v119, v126
	s_set_vgpr_msb 0                        ;  msbs: dst=0 src0=0 src1=0 src2=0
	v_pk_add_f32 v[116:117], v[116:117], v[120:121]
	s_set_vgpr_msb 1                        ;  msbs: dst=0 src0=1 src1=0 src2=0
	v_mov_b32_e32 v120, v7 /*v263*/
	s_set_vgpr_msb 0                        ;  msbs: dst=0 src0=0 src1=0 src2=0
	s_delay_alu instid0(VALU_DEP_1) | instskip(SKIP_1) | instid1(VALU_DEP_1)
	v_pk_mul_f32 v[118:119], v[118:119], v[120:121] op_sel_hi:[1,0]
	s_set_vgpr_msb 4                        ;  msbs: dst=0 src0=0 src1=1 src2=0
	v_pk_fma_f32 v[120:121], v[126:127], v[6:7] /*v[262:263]*/, v[118:119] neg_lo:[0,0,1] neg_hi:[0,0,1]
	v_pk_fma_f32 v[118:119], v[126:127], v[6:7] /*v[262:263]*/, v[118:119] op_sel_hi:[1,0,1]
	s_delay_alu instid0(VALU_DEP_1) | instskip(SKIP_3) | instid1(VALU_DEP_2)
	v_mov_b32_e32 v121, v119
	s_wait_loadcnt_dscnt 0x0
	v_pk_mul_f32 v[118:119], v[128:129], v[14:15] /*v[270:271]*/ op_sel:[1,1] op_sel_hi:[0,1]
	s_set_vgpr_msb 0                        ;  msbs: dst=0 src0=0 src1=0 src2=0
	v_pk_add_f32 v[116:117], v[116:117], v[120:121]
	s_set_vgpr_msb 4                        ;  msbs: dst=0 src0=0 src1=1 src2=0
	s_delay_alu instid0(VALU_DEP_2) | instskip(SKIP_1) | instid1(VALU_DEP_1)
	v_pk_fma_f32 v[120:121], v[128:129], v[14:15] /*v[270:271]*/, v[118:119] neg_lo:[0,0,1] neg_hi:[0,0,1]
	v_pk_fma_f32 v[118:119], v[128:129], v[14:15] /*v[270:271]*/, v[118:119] op_sel_hi:[1,0,1]
	v_mov_b32_e32 v121, v119
	scratch_load_b64 v[118:119], off, off offset:120
	s_set_vgpr_msb 0                        ;  msbs: dst=0 src0=0 src1=0 src2=0
	v_pk_add_f32 v[116:117], v[116:117], v[120:121]
	s_wait_loadcnt 0x0
	s_delay_alu instid0(VALU_DEP_1)
	v_pk_add_f32 v[116:117], v[118:119], v[116:117] neg_lo:[0,1] neg_hi:[0,1]
	scratch_store_b64 off, v[116:117], off offset:120
	s_wait_xcnt 0x0
	v_cmpx_lt_u32_e32 14, v0
	s_cbranch_execz .LBB120_327
; %bb.326:
	scratch_load_b64 v[116:117], off, off offset:112
	v_mov_b64_e32 v[118:119], 0
	scratch_store_b64 off, v[118:119], off offset:112
	s_wait_loadcnt 0x0
	ds_store_b64 v1, v[116:117]
.LBB120_327:
	s_wait_xcnt 0x0
	s_or_b32 exec_lo, exec_lo, s0
	s_wait_storecnt_dscnt 0x0
	s_barrier_signal -1
	s_barrier_wait -1
	s_clause 0xf
	scratch_load_b128 v[120:123], off, off offset:120
	scratch_load_b128 v[128:131], off, off offset:136
	;; [unrolled: 1-line block ×16, first 2 shown]
	ds_load_2addr_b64 v[116:119], v7 offset0:73 offset1:74
	ds_load_2addr_b64 v[124:127], v7 offset0:75 offset1:76
	;; [unrolled: 1-line block ×7, first 2 shown]
	scratch_load_b128 v[248:251], off, off offset:376
	ds_load_2addr_b64 v[164:167], v7 offset0:85 offset1:86
	ds_load_2addr_b64 v[172:175], v7 offset0:87 offset1:88
	;; [unrolled: 1-line block ×10, first 2 shown]
	s_clause 0x4
	scratch_load_b128 v[252:255], off, off offset:392
	s_set_vgpr_msb 64                       ;  msbs: dst=1 src0=0 src1=0 src2=0
	scratch_load_b128 v[0:3] /*v[256:259]*/, off, off offset:408
	scratch_load_b128 v[4:7] /*v[260:263]*/, off, off offset:424
	;; [unrolled: 1-line block ×3, first 2 shown]
	s_mov_b32 s0, exec_lo
	s_wait_loadcnt_dscnt 0x1410
	s_set_vgpr_msb 0                        ;  msbs: dst=0 src0=0 src1=0 src2=0
	v_dual_mul_f32 v9, v116, v121 :: v_dual_mul_f32 v11, v118, v123
	s_delay_alu instid0(VALU_DEP_1) | instskip(NEXT) | instid1(VALU_DEP_1)
	v_dual_fmac_f32 v9, v117, v120 :: v_dual_fmac_f32 v11, v119, v122
	v_add_f32_e32 v9, 0, v9
	s_wait_loadcnt_dscnt 0x130f
	s_delay_alu instid0(VALU_DEP_1) | instskip(NEXT) | instid1(VALU_DEP_1)
	v_dual_add_f32 v9, v9, v11 :: v_dual_mul_f32 v11, v124, v129
	v_fmac_f32_e32 v11, v125, v128
	s_wait_loadcnt_dscnt 0x40a
	s_set_vgpr_msb 64                       ;  msbs: dst=1 src0=0 src1=0 src2=0
	v_dual_mul_f32 v15 /*v271*/, v244, v249 :: v_dual_mul_f32 v17 /*v273*/, v246, v251
	s_set_vgpr_msb 0                        ;  msbs: dst=0 src0=0 src1=0 src2=0
	v_add_f32_e32 v9, v9, v11
	v_mul_f32_e32 v11, v126, v131
	s_set_vgpr_msb 64                       ;  msbs: dst=1 src0=0 src1=0 src2=0
	v_fmac_f32_e32 v15 /*v271*/, v245, v248
	s_set_vgpr_msb 0                        ;  msbs: dst=0 src0=0 src1=0 src2=0
	s_delay_alu instid0(VALU_DEP_2) | instskip(NEXT) | instid1(VALU_DEP_1)
	v_fmac_f32_e32 v11, v127, v130
	v_dual_add_f32 v9, v9, v11 :: v_dual_mul_f32 v11, v132, v137
	s_delay_alu instid0(VALU_DEP_1) | instskip(NEXT) | instid1(VALU_DEP_1)
	v_fmac_f32_e32 v11, v133, v136
	v_add_f32_e32 v9, v9, v11
	v_mul_f32_e32 v11, v134, v139
	s_delay_alu instid0(VALU_DEP_1) | instskip(NEXT) | instid1(VALU_DEP_1)
	v_fmac_f32_e32 v11, v135, v138
	v_dual_add_f32 v9, v9, v11 :: v_dual_mul_f32 v11, v140, v145
	s_delay_alu instid0(VALU_DEP_1) | instskip(NEXT) | instid1(VALU_DEP_1)
	v_fmac_f32_e32 v11, v141, v144
	v_add_f32_e32 v9, v9, v11
	v_mul_f32_e32 v11, v142, v147
	s_delay_alu instid0(VALU_DEP_1) | instskip(NEXT) | instid1(VALU_DEP_1)
	;; [unrolled: 7-line block ×3, first 2 shown]
	v_fmac_f32_e32 v11, v151, v154
	v_dual_add_f32 v9, v9, v11 :: v_dual_mul_f32 v11, v156, v161
	s_delay_alu instid0(VALU_DEP_1) | instskip(NEXT) | instid1(VALU_DEP_1)
	v_fmac_f32_e32 v11, v157, v160
	v_add_f32_e32 v9, v9, v11
	v_mul_f32_e32 v11, v158, v163
	s_delay_alu instid0(VALU_DEP_1) | instskip(SKIP_1) | instid1(VALU_DEP_1)
	v_fmac_f32_e32 v11, v159, v162
	s_wait_dscnt 0x9
	v_dual_add_f32 v9, v9, v11 :: v_dual_mul_f32 v11, v164, v169
	s_delay_alu instid0(VALU_DEP_1) | instskip(NEXT) | instid1(VALU_DEP_1)
	v_fmac_f32_e32 v11, v165, v168
	v_add_f32_e32 v9, v9, v11
	v_mul_f32_e32 v11, v166, v171
	s_delay_alu instid0(VALU_DEP_1) | instskip(SKIP_1) | instid1(VALU_DEP_1)
	v_fmac_f32_e32 v11, v167, v170
	s_wait_dscnt 0x8
	;; [unrolled: 8-line block ×10, first 2 shown]
	v_dual_add_f32 v9, v9, v11 :: v_dual_mul_f32 v11, v236, v241
	s_delay_alu instid0(VALU_DEP_1) | instskip(NEXT) | instid1(VALU_DEP_1)
	v_fmac_f32_e32 v11, v237, v240
	v_add_f32_e32 v9, v9, v11
	v_mul_f32_e32 v11, v238, v243
	s_delay_alu instid0(VALU_DEP_1) | instskip(SKIP_1) | instid1(VALU_DEP_1)
	v_fmac_f32_e32 v11, v239, v242
	s_set_vgpr_msb 64                       ;  msbs: dst=1 src0=0 src1=0 src2=0
	v_add_f32_e32 v13 /*v269*/, v9, v11
	s_set_vgpr_msb 0                        ;  msbs: dst=0 src0=0 src1=0 src2=0
	v_dual_mul_f32 v9, v117, v121 :: v_dual_mul_f32 v11, v119, v123
	s_delay_alu instid0(VALU_DEP_1) | instskip(NEXT) | instid1(VALU_DEP_1)
	v_dual_fma_f32 v9, v116, v120, -v9 :: v_dual_fma_f32 v11, v118, v122, -v11
	v_add_f32_e32 v9, 0, v9
	s_delay_alu instid0(VALU_DEP_1) | instskip(SKIP_1) | instid1(VALU_DEP_1)
	v_add_f32_e32 v9, v9, v11
	v_mul_f32_e32 v11, v125, v129
	v_fma_f32 v11, v124, v128, -v11
	s_delay_alu instid0(VALU_DEP_1) | instskip(SKIP_1) | instid1(VALU_DEP_1)
	v_add_f32_e32 v9, v9, v11
	v_mul_f32_e32 v11, v127, v131
	v_fma_f32 v11, v126, v130, -v11
	ds_load_2addr_b64 v[116:119], v7 offset0:107 offset1:108
	ds_load_2addr_b64 v[120:123], v7 offset0:109 offset1:110
	;; [unrolled: 1-line block ×4, first 2 shown]
	v_add_f32_e32 v9, v9, v11
	v_mul_f32_e32 v11, v133, v137
	s_delay_alu instid0(VALU_DEP_1) | instskip(NEXT) | instid1(VALU_DEP_1)
	v_fma_f32 v11, v132, v136, -v11
	v_add_f32_e32 v9, v9, v11
	v_mul_f32_e32 v11, v135, v139
	s_delay_alu instid0(VALU_DEP_1) | instskip(SKIP_2) | instid1(VALU_DEP_2)
	v_fma_f32 v11, v134, v138, -v11
	s_wait_loadcnt_dscnt 0x303
	v_pk_mul_f32 v[134:135], v[116:117], v[252:253] op_sel:[1,1] op_sel_hi:[0,1]
	v_add_f32_e32 v9, v9, v11
	v_mul_f32_e32 v11, v141, v145
	s_delay_alu instid0(VALU_DEP_3) | instskip(SKIP_1) | instid1(VALU_DEP_3)
	v_pk_fma_f32 v[136:137], v[116:117], v[252:253], v[134:135] neg_lo:[0,0,1] neg_hi:[0,0,1]
	v_pk_fma_f32 v[116:117], v[116:117], v[252:253], v[134:135] op_sel_hi:[1,0,1]
	v_dual_mov_b32 v134, v255 :: v_dual_fma_f32 v11, v140, v144, -v11
	s_delay_alu instid0(VALU_DEP_2) | instskip(NEXT) | instid1(VALU_DEP_2)
	v_mov_b32_e32 v137, v117
	v_add_f32_e32 v9, v9, v11
	v_mul_f32_e32 v11, v143, v147
	s_delay_alu instid0(VALU_DEP_1) | instskip(NEXT) | instid1(VALU_DEP_1)
	v_fma_f32 v11, v142, v146, -v11
	v_add_f32_e32 v9, v9, v11
	v_mul_f32_e32 v11, v149, v153
	s_delay_alu instid0(VALU_DEP_1) | instskip(NEXT) | instid1(VALU_DEP_1)
	v_fma_f32 v11, v148, v152, -v11
	;; [unrolled: 4-line block ×24, first 2 shown]
	v_add_f32_e32 v9, v9, v11
	v_mul_f32_e32 v11, v239, v243
	s_delay_alu instid0(VALU_DEP_1) | instskip(SKIP_1) | instid1(VALU_DEP_1)
	v_fma_f32 v11, v238, v242, -v11
	s_set_vgpr_msb 64                       ;  msbs: dst=1 src0=0 src1=0 src2=0
	v_dual_fmac_f32 v17 /*v273*/, v247, v250 :: v_dual_add_f32 v12 /*v268*/, v9, v11
	s_set_vgpr_msb 0                        ;  msbs: dst=0 src0=0 src1=0 src2=0
	v_mul_f32_e32 v9, v245, v249
	s_set_vgpr_msb 64                       ;  msbs: dst=1 src0=0 src1=0 src2=0
	s_delay_alu instid0(VALU_DEP_1) | instskip(SKIP_3) | instid1(VALU_DEP_1)
	v_fma_f32 v14 /*v270*/, v244, v248, -v9
	s_set_vgpr_msb 0                        ;  msbs: dst=0 src0=0 src1=0 src2=0
	v_mul_f32_e32 v9, v247, v251
	s_set_vgpr_msb 64                       ;  msbs: dst=1 src0=0 src1=0 src2=0
	v_fma_f32 v16 /*v272*/, v246, v250, -v9
	s_set_vgpr_msb 5                        ;  msbs: dst=0 src0=1 src1=1 src2=0
	v_pk_add_f32 v[132:133], v[12:13] /*v[268:269]*/, v[14:15] /*v[270:271]*/
	s_set_vgpr_msb 4                        ;  msbs: dst=0 src0=0 src1=1 src2=0
	s_delay_alu instid0(VALU_DEP_1) | instskip(SKIP_1) | instid1(VALU_DEP_1)
	v_pk_add_f32 v[132:133], v[132:133], v[16:17] /*v[272:273]*/
	s_set_vgpr_msb 0                        ;  msbs: dst=0 src0=0 src1=0 src2=0
	v_pk_add_f32 v[116:117], v[132:133], v[136:137]
	v_dual_mov_b32 v132, v119 :: v_dual_mov_b32 v133, v118
	s_delay_alu instid0(VALU_DEP_1) | instskip(NEXT) | instid1(VALU_DEP_1)
	v_pk_mul_f32 v[132:133], v[132:133], v[134:135] op_sel_hi:[1,0]
	v_pk_fma_f32 v[134:135], v[118:119], v[254:255], v[132:133] neg_lo:[0,0,1] neg_hi:[0,0,1]
	v_pk_fma_f32 v[118:119], v[118:119], v[254:255], v[132:133] op_sel_hi:[1,0,1]
	s_delay_alu instid0(VALU_DEP_1)
	v_mov_b32_e32 v135, v119
	s_wait_loadcnt_dscnt 0x202
	s_set_vgpr_msb 4                        ;  msbs: dst=0 src0=0 src1=1 src2=0
	v_pk_mul_f32 v[118:119], v[120:121], v[0:1] /*v[256:257]*/ op_sel:[1,1] op_sel_hi:[0,1]
	s_set_vgpr_msb 0                        ;  msbs: dst=0 src0=0 src1=0 src2=0
	v_pk_add_f32 v[116:117], v[116:117], v[134:135]
	s_set_vgpr_msb 4                        ;  msbs: dst=0 src0=0 src1=1 src2=0
	s_delay_alu instid0(VALU_DEP_2)
	v_pk_fma_f32 v[132:133], v[120:121], v[0:1] /*v[256:257]*/, v[118:119] neg_lo:[0,0,1] neg_hi:[0,0,1]
	v_pk_fma_f32 v[118:119], v[120:121], v[0:1] /*v[256:257]*/, v[118:119] op_sel_hi:[1,0,1]
	v_mov_b32_e32 v118, v123
	s_set_vgpr_msb 1                        ;  msbs: dst=0 src0=1 src1=0 src2=0
	v_mov_b32_e32 v120, v3 /*v259*/
	s_set_vgpr_msb 0                        ;  msbs: dst=0 src0=0 src1=0 src2=0
	v_dual_mov_b32 v133, v119 :: v_dual_mov_b32 v119, v122
	s_delay_alu instid0(VALU_DEP_1) | instskip(NEXT) | instid1(VALU_DEP_2)
	v_pk_add_f32 v[116:117], v[116:117], v[132:133]
	v_pk_mul_f32 v[118:119], v[118:119], v[120:121] op_sel_hi:[1,0]
	s_set_vgpr_msb 4                        ;  msbs: dst=0 src0=0 src1=1 src2=0
	s_delay_alu instid0(VALU_DEP_1) | instskip(SKIP_1) | instid1(VALU_DEP_1)
	v_pk_fma_f32 v[120:121], v[122:123], v[2:3] /*v[258:259]*/, v[118:119] neg_lo:[0,0,1] neg_hi:[0,0,1]
	v_pk_fma_f32 v[118:119], v[122:123], v[2:3] /*v[258:259]*/, v[118:119] op_sel_hi:[1,0,1]
	v_mov_b32_e32 v121, v119
	s_wait_loadcnt_dscnt 0x101
	v_pk_mul_f32 v[118:119], v[124:125], v[4:5] /*v[260:261]*/ op_sel:[1,1] op_sel_hi:[0,1]
	s_set_vgpr_msb 0                        ;  msbs: dst=0 src0=0 src1=0 src2=0
	s_delay_alu instid0(VALU_DEP_2) | instskip(SKIP_1) | instid1(VALU_DEP_2)
	v_pk_add_f32 v[116:117], v[116:117], v[120:121]
	s_set_vgpr_msb 4                        ;  msbs: dst=0 src0=0 src1=1 src2=0
	v_pk_fma_f32 v[120:121], v[124:125], v[4:5] /*v[260:261]*/, v[118:119] neg_lo:[0,0,1] neg_hi:[0,0,1]
	v_pk_fma_f32 v[118:119], v[124:125], v[4:5] /*v[260:261]*/, v[118:119] op_sel_hi:[1,0,1]
	s_delay_alu instid0(VALU_DEP_1) | instskip(SKIP_2) | instid1(VALU_DEP_2)
	v_dual_mov_b32 v118, v127 :: v_dual_mov_b32 v121, v119
	v_mov_b32_e32 v119, v126
	s_set_vgpr_msb 0                        ;  msbs: dst=0 src0=0 src1=0 src2=0
	v_pk_add_f32 v[116:117], v[116:117], v[120:121]
	s_set_vgpr_msb 1                        ;  msbs: dst=0 src0=1 src1=0 src2=0
	v_mov_b32_e32 v120, v7 /*v263*/
	s_set_vgpr_msb 0                        ;  msbs: dst=0 src0=0 src1=0 src2=0
	s_delay_alu instid0(VALU_DEP_1) | instskip(SKIP_1) | instid1(VALU_DEP_1)
	v_pk_mul_f32 v[118:119], v[118:119], v[120:121] op_sel_hi:[1,0]
	s_set_vgpr_msb 4                        ;  msbs: dst=0 src0=0 src1=1 src2=0
	v_pk_fma_f32 v[120:121], v[126:127], v[6:7] /*v[262:263]*/, v[118:119] neg_lo:[0,0,1] neg_hi:[0,0,1]
	v_pk_fma_f32 v[118:119], v[126:127], v[6:7] /*v[262:263]*/, v[118:119] op_sel_hi:[1,0,1]
	s_delay_alu instid0(VALU_DEP_1) | instskip(SKIP_3) | instid1(VALU_DEP_2)
	v_mov_b32_e32 v121, v119
	s_wait_loadcnt_dscnt 0x0
	v_pk_mul_f32 v[118:119], v[128:129], v[8:9] /*v[264:265]*/ op_sel:[1,1] op_sel_hi:[0,1]
	s_set_vgpr_msb 0                        ;  msbs: dst=0 src0=0 src1=0 src2=0
	v_pk_add_f32 v[116:117], v[116:117], v[120:121]
	s_set_vgpr_msb 4                        ;  msbs: dst=0 src0=0 src1=1 src2=0
	s_delay_alu instid0(VALU_DEP_2) | instskip(SKIP_1) | instid1(VALU_DEP_1)
	v_pk_fma_f32 v[120:121], v[128:129], v[8:9] /*v[264:265]*/, v[118:119] neg_lo:[0,0,1] neg_hi:[0,0,1]
	v_pk_fma_f32 v[118:119], v[128:129], v[8:9] /*v[264:265]*/, v[118:119] op_sel_hi:[1,0,1]
	v_dual_mov_b32 v118, v131 :: v_dual_mov_b32 v121, v119
	v_mov_b32_e32 v119, v130
	s_set_vgpr_msb 0                        ;  msbs: dst=0 src0=0 src1=0 src2=0
	s_delay_alu instid0(VALU_DEP_2) | instskip(SKIP_3) | instid1(VALU_DEP_1)
	v_pk_add_f32 v[116:117], v[116:117], v[120:121]
	s_set_vgpr_msb 1                        ;  msbs: dst=0 src0=1 src1=0 src2=0
	v_mov_b32_e32 v120, v11 /*v267*/
	s_set_vgpr_msb 0                        ;  msbs: dst=0 src0=0 src1=0 src2=0
	v_pk_mul_f32 v[118:119], v[118:119], v[120:121] op_sel_hi:[1,0]
	s_set_vgpr_msb 4                        ;  msbs: dst=0 src0=0 src1=1 src2=0
	s_delay_alu instid0(VALU_DEP_1) | instskip(SKIP_1) | instid1(VALU_DEP_1)
	v_pk_fma_f32 v[120:121], v[130:131], v[10:11] /*v[266:267]*/, v[118:119] neg_lo:[0,0,1] neg_hi:[0,0,1]
	v_pk_fma_f32 v[118:119], v[130:131], v[10:11] /*v[266:267]*/, v[118:119] op_sel_hi:[1,0,1]
	v_mov_b32_e32 v121, v119
	scratch_load_b64 v[118:119], off, off offset:112
	s_set_vgpr_msb 0                        ;  msbs: dst=0 src0=0 src1=0 src2=0
	v_pk_add_f32 v[116:117], v[116:117], v[120:121]
	s_wait_loadcnt 0x0
	s_delay_alu instid0(VALU_DEP_1)
	v_pk_add_f32 v[116:117], v[118:119], v[116:117] neg_lo:[0,1] neg_hi:[0,1]
	scratch_store_b64 off, v[116:117], off offset:112
	s_wait_xcnt 0x0
	v_cmpx_lt_u32_e32 13, v0
	s_cbranch_execz .LBB120_329
; %bb.328:
	scratch_load_b64 v[116:117], off, off offset:104
	v_mov_b64_e32 v[118:119], 0
	scratch_store_b64 off, v[118:119], off offset:104
	s_wait_loadcnt 0x0
	ds_store_b64 v1, v[116:117]
.LBB120_329:
	s_wait_xcnt 0x0
	s_or_b32 exec_lo, exec_lo, s0
	v_mov_b32_e32 v7, 0
	s_wait_storecnt_dscnt 0x0
	s_barrier_signal -1
	s_barrier_wait -1
	ds_load_b128 v[116:119], v7 offset:576
	ds_load_b128 v[120:123], v7 offset:592
	;; [unrolled: 1-line block ×4, first 2 shown]
	s_clause 0x12
	scratch_load_b128 v[132:135], off, off offset:112
	scratch_load_b128 v[136:139], off, off offset:128
	;; [unrolled: 1-line block ×17, first 2 shown]
	s_set_vgpr_msb 64                       ;  msbs: dst=1 src0=0 src1=0 src2=0
	scratch_load_b128 v[0:3] /*v[256:259]*/, off, off offset:384
	s_mov_b32 s0, exec_lo
	s_wait_loadcnt_dscnt 0x1103
	s_set_vgpr_msb 0                        ;  msbs: dst=0 src0=0 src1=0 src2=0
	v_mul_f32_e32 v9, v116, v133
	ds_load_b128 v[244:247], v7 offset:832
	ds_load_b128 v[252:255], v7 offset:848
	;; [unrolled: 1-line block ×4, first 2 shown]
	v_dual_fmac_f32 v9, v117, v132 :: v_dual_mul_f32 v11, v118, v135
	ds_load_b128 v[164:167], v7 offset:672
	ds_load_b128 v[172:175], v7 offset:688
	;; [unrolled: 1-line block ×4, first 2 shown]
	v_dual_add_f32 v9, 0, v9 :: v_dual_fmac_f32 v11, v119, v134
	ds_load_b128 v[196:199], v7 offset:736
	ds_load_b128 v[204:207], v7 offset:752
	;; [unrolled: 1-line block ×4, first 2 shown]
	s_wait_loadcnt_dscnt 0x100e
	v_dual_add_f32 v9, v9, v11 :: v_dual_mul_f32 v11, v120, v137
	ds_load_b128 v[228:231], v7 offset:800
	ds_load_b128 v[236:239], v7 offset:816
	s_wait_loadcnt_dscnt 0x10d
	s_set_vgpr_msb 64                       ;  msbs: dst=1 src0=0 src1=0 src2=0
	v_mul_f32_e32 v19 /*v275*/, v246, v251
	s_clause 0x3
	scratch_load_b128 v[4:7] /*v[260:263]*/, off, off offset:400
	scratch_load_b128 v[8:11] /*v[264:267]*/, off, off offset:416
	;; [unrolled: 1-line block ×3, first 2 shown]
	scratch_load_b64 v[22:23] /*v[278:279]*/, off, off offset:448
	s_set_vgpr_msb 0                        ;  msbs: dst=0 src0=0 src1=0 src2=0
	v_fmac_f32_e32 v11, v121, v136
	s_delay_alu instid0(VALU_DEP_1) | instskip(SKIP_1) | instid1(VALU_DEP_1)
	v_add_f32_e32 v9, v9, v11
	v_mul_f32_e32 v11, v122, v139
	v_fmac_f32_e32 v11, v123, v138
	s_delay_alu instid0(VALU_DEP_1) | instskip(NEXT) | instid1(VALU_DEP_1)
	v_dual_add_f32 v9, v9, v11 :: v_dual_mul_f32 v11, v124, v141
	v_fmac_f32_e32 v11, v125, v140
	s_delay_alu instid0(VALU_DEP_1) | instskip(SKIP_1) | instid1(VALU_DEP_1)
	v_add_f32_e32 v9, v9, v11
	v_mul_f32_e32 v11, v126, v143
	v_fmac_f32_e32 v11, v127, v142
	s_delay_alu instid0(VALU_DEP_1) | instskip(NEXT) | instid1(VALU_DEP_1)
	v_dual_add_f32 v9, v9, v11 :: v_dual_mul_f32 v11, v128, v145
	v_fmac_f32_e32 v11, v129, v144
	s_delay_alu instid0(VALU_DEP_1) | instskip(SKIP_1) | instid1(VALU_DEP_1)
	v_add_f32_e32 v9, v9, v11
	v_mul_f32_e32 v11, v130, v147
	v_fmac_f32_e32 v11, v131, v146
	s_wait_dscnt 0xb
	s_delay_alu instid0(VALU_DEP_1) | instskip(NEXT) | instid1(VALU_DEP_1)
	v_dual_add_f32 v9, v9, v11 :: v_dual_mul_f32 v11, v148, v153
	v_fmac_f32_e32 v11, v149, v152
	s_delay_alu instid0(VALU_DEP_1) | instskip(SKIP_1) | instid1(VALU_DEP_1)
	v_add_f32_e32 v9, v9, v11
	v_mul_f32_e32 v11, v150, v155
	v_fmac_f32_e32 v11, v151, v154
	s_wait_dscnt 0xa
	;; [unrolled: 8-line block ×12, first 2 shown]
	s_delay_alu instid0(VALU_DEP_1) | instskip(NEXT) | instid1(VALU_DEP_1)
	v_dual_add_f32 v9, v9, v11 :: v_dual_mul_f32 v11, v236, v241
	v_fmac_f32_e32 v11, v237, v240
	s_delay_alu instid0(VALU_DEP_1) | instskip(SKIP_1) | instid1(VALU_DEP_1)
	v_add_f32_e32 v9, v9, v11
	v_mul_f32_e32 v11, v238, v243
	v_fmac_f32_e32 v11, v239, v242
	s_delay_alu instid0(VALU_DEP_1) | instskip(NEXT) | instid1(VALU_DEP_1)
	v_dual_add_f32 v9, v9, v11 :: v_dual_mul_f32 v11, v244, v249
	v_fmac_f32_e32 v11, v245, v248
	s_set_vgpr_msb 64                       ;  msbs: dst=1 src0=0 src1=0 src2=0
	s_delay_alu instid0(VALU_DEP_1) | instskip(SKIP_2) | instid1(VALU_DEP_1)
	v_add_f32_e32 v17 /*v273*/, v9, v11
	s_set_vgpr_msb 0                        ;  msbs: dst=0 src0=0 src1=0 src2=0
	v_dual_mul_f32 v9, v117, v133 :: v_dual_mul_f32 v11, v119, v135
	v_dual_mov_b32 v133, v254 :: v_dual_fma_f32 v9, v116, v132, -v9
	s_delay_alu instid0(VALU_DEP_2) | instskip(SKIP_2) | instid1(VALU_DEP_2)
	v_dual_fma_f32 v11, v118, v134, -v11 :: v_dual_mov_b32 v132, v255
	s_wait_loadcnt 0x4
	s_set_vgpr_msb 1                        ;  msbs: dst=0 src0=1 src1=0 src2=0
	v_dual_mov_b32 v134, v3 /*v259*/ :: v_dual_add_f32 v9, 0, v9
	s_set_vgpr_msb 0                        ;  msbs: dst=0 src0=0 src1=0 src2=0
	s_delay_alu instid0(VALU_DEP_1) | instskip(NEXT) | instid1(VALU_DEP_2)
	v_pk_mul_f32 v[132:133], v[132:133], v[134:135] op_sel_hi:[1,0]
	v_add_f32_e32 v9, v9, v11
	v_mul_f32_e32 v11, v121, v137
	s_set_vgpr_msb 4                        ;  msbs: dst=0 src0=0 src1=1 src2=0
	s_delay_alu instid0(VALU_DEP_3) | instskip(SKIP_2) | instid1(VALU_DEP_1)
	v_pk_fma_f32 v[134:135], v[254:255], v[2:3] /*v[258:259]*/, v[132:133] neg_lo:[0,0,1] neg_hi:[0,0,1]
	v_pk_fma_f32 v[132:133], v[254:255], v[2:3] /*v[258:259]*/, v[132:133] op_sel_hi:[1,0,1]
	s_set_vgpr_msb 0                        ;  msbs: dst=0 src0=0 src1=0 src2=0
	v_dual_fma_f32 v11, v120, v136, -v11 :: v_dual_mov_b32 v135, v133
	s_delay_alu instid0(VALU_DEP_1) | instskip(SKIP_1) | instid1(VALU_DEP_1)
	v_add_f32_e32 v9, v9, v11
	v_mul_f32_e32 v11, v123, v139
	v_fma_f32 v11, v122, v138, -v11
	s_delay_alu instid0(VALU_DEP_1) | instskip(SKIP_1) | instid1(VALU_DEP_1)
	v_add_f32_e32 v9, v9, v11
	v_mul_f32_e32 v11, v125, v141
	v_fma_f32 v11, v124, v140, -v11
	;; [unrolled: 4-line block ×4, first 2 shown]
	ds_load_b128 v[116:119], v7 offset:864
	ds_load_b128 v[120:123], v7 offset:880
	;; [unrolled: 1-line block ×3, first 2 shown]
	ds_load_b64 v[128:129], v7 offset:912
	v_add_f32_e32 v9, v9, v11
	v_mul_f32_e32 v11, v131, v147
	s_delay_alu instid0(VALU_DEP_1) | instskip(NEXT) | instid1(VALU_DEP_1)
	v_fma_f32 v11, v130, v146, -v11
	v_add_f32_e32 v9, v9, v11
	v_mul_f32_e32 v11, v149, v153
	s_wait_loadcnt_dscnt 0x303
	s_set_vgpr_msb 4                        ;  msbs: dst=0 src0=0 src1=1 src2=0
	v_pk_mul_f32 v[132:133], v[116:117], v[4:5] /*v[260:261]*/ op_sel:[1,1] op_sel_hi:[0,1]
	s_set_vgpr_msb 0                        ;  msbs: dst=0 src0=0 src1=0 src2=0
	v_fma_f32 v11, v148, v152, -v11
	s_delay_alu instid0(VALU_DEP_1) | instskip(SKIP_1) | instid1(VALU_DEP_1)
	v_add_f32_e32 v9, v9, v11
	v_mul_f32_e32 v11, v151, v155
	v_fma_f32 v11, v150, v154, -v11
	s_delay_alu instid0(VALU_DEP_1) | instskip(SKIP_1) | instid1(VALU_DEP_1)
	v_add_f32_e32 v9, v9, v11
	v_mul_f32_e32 v11, v157, v161
	;; [unrolled: 4-line block ×24, first 2 shown]
	v_fma_f32 v11, v244, v248, -v11
	s_set_vgpr_msb 64                       ;  msbs: dst=1 src0=0 src1=0 src2=0
	s_delay_alu instid0(VALU_DEP_1) | instskip(SKIP_3) | instid1(VALU_DEP_1)
	v_add_f32_e32 v16 /*v272*/, v9, v11
	s_set_vgpr_msb 0                        ;  msbs: dst=0 src0=0 src1=0 src2=0
	v_mul_f32_e32 v9, v247, v251
	s_set_vgpr_msb 64                       ;  msbs: dst=1 src0=0 src1=0 src2=0
	v_fma_f32 v18 /*v274*/, v246, v250, -v9
	v_fmac_f32_e32 v19 /*v275*/, v247, v250
	s_set_vgpr_msb 4                        ;  msbs: dst=0 src0=0 src1=1 src2=0
	v_mul_f32_e32 v9, v253, v1 /*v257*/
	s_set_vgpr_msb 0x44                     ;  msbs: dst=1 src0=0 src1=1 src2=0
	v_mul_f32_e32 v21 /*v277*/, v252, v1 /*v257*/
	s_set_vgpr_msb 5                        ;  msbs: dst=0 src0=1 src1=1 src2=0
	v_pk_add_f32 v[130:131], v[16:17] /*v[272:273]*/, v[18:19] /*v[274:275]*/
	s_set_vgpr_msb 0x44                     ;  msbs: dst=1 src0=0 src1=1 src2=0
	v_fma_f32 v20 /*v276*/, v252, v0 /*v256*/, -v9
	v_fmac_f32_e32 v21 /*v277*/, v253, v0 /*v256*/
	s_set_vgpr_msb 4                        ;  msbs: dst=0 src0=0 src1=1 src2=0
	s_delay_alu instid0(VALU_DEP_1) | instskip(SKIP_1) | instid1(VALU_DEP_1)
	v_pk_add_f32 v[130:131], v[130:131], v[20:21] /*v[276:277]*/
	s_set_vgpr_msb 0                        ;  msbs: dst=0 src0=0 src1=0 src2=0
	v_pk_add_f32 v[130:131], v[130:131], v[134:135]
	s_set_vgpr_msb 4                        ;  msbs: dst=0 src0=0 src1=1 src2=0
	v_pk_fma_f32 v[134:135], v[116:117], v[4:5] /*v[260:261]*/, v[132:133] neg_lo:[0,0,1] neg_hi:[0,0,1]
	v_pk_fma_f32 v[116:117], v[116:117], v[4:5] /*v[260:261]*/, v[132:133] op_sel_hi:[1,0,1]
	s_set_vgpr_msb 1                        ;  msbs: dst=0 src0=1 src1=0 src2=0
	v_mov_b32_e32 v132, v7 /*v263*/
	s_set_vgpr_msb 0                        ;  msbs: dst=0 src0=0 src1=0 src2=0
	s_delay_alu instid0(VALU_DEP_2) | instskip(NEXT) | instid1(VALU_DEP_1)
	v_mov_b32_e32 v135, v117
	v_pk_add_f32 v[116:117], v[130:131], v[134:135]
	v_dual_mov_b32 v130, v119 :: v_dual_mov_b32 v131, v118
	s_delay_alu instid0(VALU_DEP_1) | instskip(SKIP_1) | instid1(VALU_DEP_1)
	v_pk_mul_f32 v[130:131], v[130:131], v[132:133] op_sel_hi:[1,0]
	s_set_vgpr_msb 4                        ;  msbs: dst=0 src0=0 src1=1 src2=0
	v_pk_fma_f32 v[132:133], v[118:119], v[6:7] /*v[262:263]*/, v[130:131] neg_lo:[0,0,1] neg_hi:[0,0,1]
	v_pk_fma_f32 v[118:119], v[118:119], v[6:7] /*v[262:263]*/, v[130:131] op_sel_hi:[1,0,1]
	s_delay_alu instid0(VALU_DEP_1) | instskip(SKIP_3) | instid1(VALU_DEP_2)
	v_mov_b32_e32 v133, v119
	s_wait_loadcnt_dscnt 0x202
	v_pk_mul_f32 v[118:119], v[120:121], v[8:9] /*v[264:265]*/ op_sel:[1,1] op_sel_hi:[0,1]
	s_set_vgpr_msb 0                        ;  msbs: dst=0 src0=0 src1=0 src2=0
	v_pk_add_f32 v[116:117], v[116:117], v[132:133]
	s_set_vgpr_msb 4                        ;  msbs: dst=0 src0=0 src1=1 src2=0
	s_delay_alu instid0(VALU_DEP_2)
	v_pk_fma_f32 v[130:131], v[120:121], v[8:9] /*v[264:265]*/, v[118:119] neg_lo:[0,0,1] neg_hi:[0,0,1]
	v_pk_fma_f32 v[118:119], v[120:121], v[8:9] /*v[264:265]*/, v[118:119] op_sel_hi:[1,0,1]
	v_mov_b32_e32 v118, v123
	s_set_vgpr_msb 1                        ;  msbs: dst=0 src0=1 src1=0 src2=0
	v_mov_b32_e32 v120, v11 /*v267*/
	s_set_vgpr_msb 0                        ;  msbs: dst=0 src0=0 src1=0 src2=0
	v_dual_mov_b32 v131, v119 :: v_dual_mov_b32 v119, v122
	s_delay_alu instid0(VALU_DEP_1) | instskip(NEXT) | instid1(VALU_DEP_2)
	v_pk_add_f32 v[116:117], v[116:117], v[130:131]
	v_pk_mul_f32 v[118:119], v[118:119], v[120:121] op_sel_hi:[1,0]
	s_set_vgpr_msb 4                        ;  msbs: dst=0 src0=0 src1=1 src2=0
	s_delay_alu instid0(VALU_DEP_1) | instskip(SKIP_1) | instid1(VALU_DEP_1)
	v_pk_fma_f32 v[120:121], v[122:123], v[10:11] /*v[266:267]*/, v[118:119] neg_lo:[0,0,1] neg_hi:[0,0,1]
	v_pk_fma_f32 v[118:119], v[122:123], v[10:11] /*v[266:267]*/, v[118:119] op_sel_hi:[1,0,1]
	v_mov_b32_e32 v121, v119
	s_wait_loadcnt_dscnt 0x101
	v_pk_mul_f32 v[118:119], v[124:125], v[12:13] /*v[268:269]*/ op_sel:[1,1] op_sel_hi:[0,1]
	s_set_vgpr_msb 0                        ;  msbs: dst=0 src0=0 src1=0 src2=0
	s_delay_alu instid0(VALU_DEP_2) | instskip(SKIP_1) | instid1(VALU_DEP_2)
	v_pk_add_f32 v[116:117], v[116:117], v[120:121]
	s_set_vgpr_msb 4                        ;  msbs: dst=0 src0=0 src1=1 src2=0
	v_pk_fma_f32 v[120:121], v[124:125], v[12:13] /*v[268:269]*/, v[118:119] neg_lo:[0,0,1] neg_hi:[0,0,1]
	v_pk_fma_f32 v[118:119], v[124:125], v[12:13] /*v[268:269]*/, v[118:119] op_sel_hi:[1,0,1]
	s_delay_alu instid0(VALU_DEP_1) | instskip(SKIP_2) | instid1(VALU_DEP_2)
	v_dual_mov_b32 v118, v127 :: v_dual_mov_b32 v121, v119
	v_mov_b32_e32 v119, v126
	s_set_vgpr_msb 0                        ;  msbs: dst=0 src0=0 src1=0 src2=0
	v_pk_add_f32 v[116:117], v[116:117], v[120:121]
	s_set_vgpr_msb 1                        ;  msbs: dst=0 src0=1 src1=0 src2=0
	v_mov_b32_e32 v120, v15 /*v271*/
	s_set_vgpr_msb 0                        ;  msbs: dst=0 src0=0 src1=0 src2=0
	s_delay_alu instid0(VALU_DEP_1) | instskip(SKIP_1) | instid1(VALU_DEP_1)
	v_pk_mul_f32 v[118:119], v[118:119], v[120:121] op_sel_hi:[1,0]
	s_set_vgpr_msb 4                        ;  msbs: dst=0 src0=0 src1=1 src2=0
	v_pk_fma_f32 v[120:121], v[126:127], v[14:15] /*v[270:271]*/, v[118:119] neg_lo:[0,0,1] neg_hi:[0,0,1]
	v_pk_fma_f32 v[118:119], v[126:127], v[14:15] /*v[270:271]*/, v[118:119] op_sel_hi:[1,0,1]
	s_delay_alu instid0(VALU_DEP_1) | instskip(SKIP_3) | instid1(VALU_DEP_2)
	v_mov_b32_e32 v121, v119
	s_wait_loadcnt_dscnt 0x0
	v_pk_mul_f32 v[118:119], v[128:129], v[22:23] /*v[278:279]*/ op_sel:[1,1] op_sel_hi:[0,1]
	s_set_vgpr_msb 0                        ;  msbs: dst=0 src0=0 src1=0 src2=0
	v_pk_add_f32 v[116:117], v[116:117], v[120:121]
	s_set_vgpr_msb 4                        ;  msbs: dst=0 src0=0 src1=1 src2=0
	s_delay_alu instid0(VALU_DEP_2) | instskip(SKIP_1) | instid1(VALU_DEP_1)
	v_pk_fma_f32 v[120:121], v[128:129], v[22:23] /*v[278:279]*/, v[118:119] neg_lo:[0,0,1] neg_hi:[0,0,1]
	v_pk_fma_f32 v[118:119], v[128:129], v[22:23] /*v[278:279]*/, v[118:119] op_sel_hi:[1,0,1]
	v_mov_b32_e32 v121, v119
	scratch_load_b64 v[118:119], off, off offset:104
	s_set_vgpr_msb 0                        ;  msbs: dst=0 src0=0 src1=0 src2=0
	v_pk_add_f32 v[116:117], v[116:117], v[120:121]
	s_wait_loadcnt 0x0
	s_delay_alu instid0(VALU_DEP_1)
	v_pk_add_f32 v[116:117], v[118:119], v[116:117] neg_lo:[0,1] neg_hi:[0,1]
	scratch_store_b64 off, v[116:117], off offset:104
	s_wait_xcnt 0x0
	v_cmpx_lt_u32_e32 12, v0
	s_cbranch_execz .LBB120_331
; %bb.330:
	scratch_load_b64 v[116:117], off, off offset:96
	v_mov_b64_e32 v[118:119], 0
	scratch_store_b64 off, v[118:119], off offset:96
	s_wait_loadcnt 0x0
	ds_store_b64 v1, v[116:117]
.LBB120_331:
	s_wait_xcnt 0x0
	s_or_b32 exec_lo, exec_lo, s0
	s_wait_storecnt_dscnt 0x0
	s_barrier_signal -1
	s_barrier_wait -1
	s_clause 0xf
	scratch_load_b128 v[120:123], off, off offset:104
	scratch_load_b128 v[128:131], off, off offset:120
	;; [unrolled: 1-line block ×16, first 2 shown]
	ds_load_2addr_b64 v[116:119], v7 offset0:71 offset1:72
	ds_load_2addr_b64 v[124:127], v7 offset0:73 offset1:74
	s_clause 0x2
	scratch_load_b128 v[248:251], off, off offset:360
	s_set_vgpr_msb 64                       ;  msbs: dst=1 src0=0 src1=0 src2=0
	scratch_load_b128 v[0:3] /*v[256:259]*/, off, off offset:376
	s_set_vgpr_msb 0                        ;  msbs: dst=0 src0=0 src1=0 src2=0
	ds_load_2addr_b64 v[132:135], v7 offset0:75 offset1:76
	ds_load_2addr_b64 v[140:143], v7 offset0:77 offset1:78
	;; [unrolled: 1-line block ×16, first 2 shown]
	s_set_vgpr_msb 64                       ;  msbs: dst=1 src0=0 src1=0 src2=0
	s_clause 0x3
	scratch_load_b128 v[4:7] /*v[260:263]*/, off, off offset:392
	scratch_load_b128 v[8:11] /*v[264:267]*/, off, off offset:408
	;; [unrolled: 1-line block ×4, first 2 shown]
	s_mov_b32 s0, exec_lo
	s_wait_loadcnt_dscnt 0x1511
	s_set_vgpr_msb 0                        ;  msbs: dst=0 src0=0 src1=0 src2=0
	v_dual_mul_f32 v9, v116, v121 :: v_dual_mul_f32 v11, v118, v123
	s_delay_alu instid0(VALU_DEP_1) | instskip(NEXT) | instid1(VALU_DEP_1)
	v_dual_fmac_f32 v9, v117, v120 :: v_dual_fmac_f32 v11, v119, v122
	v_add_f32_e32 v9, 0, v9
	s_wait_loadcnt_dscnt 0x1410
	s_delay_alu instid0(VALU_DEP_1)
	v_dual_add_f32 v9, v9, v11 :: v_dual_mul_f32 v11, v124, v129
	s_wait_loadcnt_dscnt 0x400
	s_set_vgpr_msb 0x44                     ;  msbs: dst=1 src0=0 src1=1 src2=0
	v_dual_mul_f32 v23 /*v279*/, v252, v1 /*v257*/ :: v_dual_mul_f32 v25 /*v281*/, v254, v3 /*v259*/
	s_set_vgpr_msb 0                        ;  msbs: dst=0 src0=0 src1=0 src2=0
	v_fmac_f32_e32 v11, v125, v128
	s_set_vgpr_msb 0x44                     ;  msbs: dst=1 src0=0 src1=1 src2=0
	s_delay_alu instid0(VALU_DEP_2) | instskip(SKIP_1) | instid1(VALU_DEP_2)
	v_dual_fmac_f32 v23 /*v279*/, v253, v0 /*v256*/ :: v_dual_fmac_f32 v25 /*v281*/, v255, v2 /*v258*/
	s_set_vgpr_msb 0                        ;  msbs: dst=0 src0=0 src1=0 src2=0
	v_add_f32_e32 v9, v9, v11
	v_mul_f32_e32 v11, v126, v131
	s_delay_alu instid0(VALU_DEP_1) | instskip(NEXT) | instid1(VALU_DEP_1)
	v_fmac_f32_e32 v11, v127, v130
	v_dual_add_f32 v9, v9, v11 :: v_dual_mul_f32 v11, v132, v137
	s_delay_alu instid0(VALU_DEP_1) | instskip(NEXT) | instid1(VALU_DEP_1)
	v_fmac_f32_e32 v11, v133, v136
	v_add_f32_e32 v9, v9, v11
	v_mul_f32_e32 v11, v134, v139
	s_delay_alu instid0(VALU_DEP_1) | instskip(NEXT) | instid1(VALU_DEP_1)
	v_fmac_f32_e32 v11, v135, v138
	v_dual_add_f32 v9, v9, v11 :: v_dual_mul_f32 v11, v140, v145
	s_delay_alu instid0(VALU_DEP_1) | instskip(NEXT) | instid1(VALU_DEP_1)
	v_fmac_f32_e32 v11, v141, v144
	v_add_f32_e32 v9, v9, v11
	v_mul_f32_e32 v11, v142, v147
	s_delay_alu instid0(VALU_DEP_1) | instskip(NEXT) | instid1(VALU_DEP_1)
	v_fmac_f32_e32 v11, v143, v146
	v_dual_add_f32 v9, v9, v11 :: v_dual_mul_f32 v11, v148, v153
	s_delay_alu instid0(VALU_DEP_1) | instskip(NEXT) | instid1(VALU_DEP_1)
	v_fmac_f32_e32 v11, v149, v152
	v_add_f32_e32 v9, v9, v11
	v_mul_f32_e32 v11, v150, v155
	s_delay_alu instid0(VALU_DEP_1) | instskip(NEXT) | instid1(VALU_DEP_1)
	v_fmac_f32_e32 v11, v151, v154
	v_dual_add_f32 v9, v9, v11 :: v_dual_mul_f32 v11, v156, v161
	s_delay_alu instid0(VALU_DEP_1) | instskip(NEXT) | instid1(VALU_DEP_1)
	v_fmac_f32_e32 v11, v157, v160
	v_add_f32_e32 v9, v9, v11
	v_mul_f32_e32 v11, v158, v163
	s_delay_alu instid0(VALU_DEP_1) | instskip(NEXT) | instid1(VALU_DEP_1)
	v_fmac_f32_e32 v11, v159, v162
	v_dual_add_f32 v9, v9, v11 :: v_dual_mul_f32 v11, v164, v169
	s_delay_alu instid0(VALU_DEP_1) | instskip(NEXT) | instid1(VALU_DEP_1)
	v_fmac_f32_e32 v11, v165, v168
	v_add_f32_e32 v9, v9, v11
	v_mul_f32_e32 v11, v166, v171
	s_delay_alu instid0(VALU_DEP_1) | instskip(NEXT) | instid1(VALU_DEP_1)
	v_fmac_f32_e32 v11, v167, v170
	v_dual_add_f32 v9, v9, v11 :: v_dual_mul_f32 v11, v172, v177
	s_delay_alu instid0(VALU_DEP_1) | instskip(NEXT) | instid1(VALU_DEP_1)
	v_fmac_f32_e32 v11, v173, v176
	v_add_f32_e32 v9, v9, v11
	v_mul_f32_e32 v11, v174, v179
	s_delay_alu instid0(VALU_DEP_1) | instskip(NEXT) | instid1(VALU_DEP_1)
	v_fmac_f32_e32 v11, v175, v178
	v_dual_add_f32 v9, v9, v11 :: v_dual_mul_f32 v11, v180, v185
	s_delay_alu instid0(VALU_DEP_1) | instskip(NEXT) | instid1(VALU_DEP_1)
	v_fmac_f32_e32 v11, v181, v184
	v_add_f32_e32 v9, v9, v11
	v_mul_f32_e32 v11, v182, v187
	s_delay_alu instid0(VALU_DEP_1) | instskip(NEXT) | instid1(VALU_DEP_1)
	v_fmac_f32_e32 v11, v183, v186
	v_dual_add_f32 v9, v9, v11 :: v_dual_mul_f32 v11, v188, v193
	s_delay_alu instid0(VALU_DEP_1) | instskip(NEXT) | instid1(VALU_DEP_1)
	v_fmac_f32_e32 v11, v189, v192
	v_add_f32_e32 v9, v9, v11
	v_mul_f32_e32 v11, v190, v195
	s_delay_alu instid0(VALU_DEP_1) | instskip(NEXT) | instid1(VALU_DEP_1)
	v_fmac_f32_e32 v11, v191, v194
	v_dual_add_f32 v9, v9, v11 :: v_dual_mul_f32 v11, v196, v201
	s_delay_alu instid0(VALU_DEP_1) | instskip(NEXT) | instid1(VALU_DEP_1)
	v_fmac_f32_e32 v11, v197, v200
	v_add_f32_e32 v9, v9, v11
	v_mul_f32_e32 v11, v198, v203
	s_delay_alu instid0(VALU_DEP_1) | instskip(NEXT) | instid1(VALU_DEP_1)
	v_fmac_f32_e32 v11, v199, v202
	v_dual_add_f32 v9, v9, v11 :: v_dual_mul_f32 v11, v204, v209
	s_delay_alu instid0(VALU_DEP_1) | instskip(NEXT) | instid1(VALU_DEP_1)
	v_fmac_f32_e32 v11, v205, v208
	v_add_f32_e32 v9, v9, v11
	v_mul_f32_e32 v11, v206, v211
	s_delay_alu instid0(VALU_DEP_1) | instskip(NEXT) | instid1(VALU_DEP_1)
	v_fmac_f32_e32 v11, v207, v210
	v_dual_add_f32 v9, v9, v11 :: v_dual_mul_f32 v11, v212, v217
	s_delay_alu instid0(VALU_DEP_1) | instskip(NEXT) | instid1(VALU_DEP_1)
	v_fmac_f32_e32 v11, v213, v216
	v_add_f32_e32 v9, v9, v11
	v_mul_f32_e32 v11, v214, v219
	s_delay_alu instid0(VALU_DEP_1) | instskip(NEXT) | instid1(VALU_DEP_1)
	v_fmac_f32_e32 v11, v215, v218
	v_dual_add_f32 v9, v9, v11 :: v_dual_mul_f32 v11, v220, v225
	s_delay_alu instid0(VALU_DEP_1) | instskip(NEXT) | instid1(VALU_DEP_1)
	v_fmac_f32_e32 v11, v221, v224
	v_add_f32_e32 v9, v9, v11
	v_mul_f32_e32 v11, v222, v227
	s_delay_alu instid0(VALU_DEP_1) | instskip(NEXT) | instid1(VALU_DEP_1)
	v_fmac_f32_e32 v11, v223, v226
	v_dual_add_f32 v9, v9, v11 :: v_dual_mul_f32 v11, v228, v233
	s_delay_alu instid0(VALU_DEP_1) | instskip(NEXT) | instid1(VALU_DEP_1)
	v_fmac_f32_e32 v11, v229, v232
	v_add_f32_e32 v9, v9, v11
	v_mul_f32_e32 v11, v230, v235
	s_delay_alu instid0(VALU_DEP_1) | instskip(NEXT) | instid1(VALU_DEP_1)
	v_fmac_f32_e32 v11, v231, v234
	v_dual_add_f32 v9, v9, v11 :: v_dual_mul_f32 v11, v236, v241
	s_delay_alu instid0(VALU_DEP_1) | instskip(NEXT) | instid1(VALU_DEP_1)
	v_fmac_f32_e32 v11, v237, v240
	v_add_f32_e32 v9, v9, v11
	v_mul_f32_e32 v11, v238, v243
	s_delay_alu instid0(VALU_DEP_1) | instskip(NEXT) | instid1(VALU_DEP_1)
	v_fmac_f32_e32 v11, v239, v242
	v_dual_add_f32 v9, v9, v11 :: v_dual_mul_f32 v11, v244, v249
	s_delay_alu instid0(VALU_DEP_1) | instskip(NEXT) | instid1(VALU_DEP_1)
	v_fmac_f32_e32 v11, v245, v248
	v_add_f32_e32 v9, v9, v11
	v_mul_f32_e32 v11, v246, v251
	s_delay_alu instid0(VALU_DEP_1) | instskip(SKIP_1) | instid1(VALU_DEP_1)
	v_fmac_f32_e32 v11, v247, v250
	s_set_vgpr_msb 64                       ;  msbs: dst=1 src0=0 src1=0 src2=0
	v_add_f32_e32 v21 /*v277*/, v9, v11
	s_set_vgpr_msb 0                        ;  msbs: dst=0 src0=0 src1=0 src2=0
	v_dual_mul_f32 v9, v117, v121 :: v_dual_mul_f32 v11, v119, v123
	s_delay_alu instid0(VALU_DEP_1) | instskip(NEXT) | instid1(VALU_DEP_1)
	v_dual_fma_f32 v9, v116, v120, -v9 :: v_dual_fma_f32 v11, v118, v122, -v11
	v_add_f32_e32 v9, 0, v9
	s_delay_alu instid0(VALU_DEP_1) | instskip(SKIP_1) | instid1(VALU_DEP_1)
	v_add_f32_e32 v9, v9, v11
	v_mul_f32_e32 v11, v125, v129
	v_fma_f32 v11, v124, v128, -v11
	s_delay_alu instid0(VALU_DEP_1) | instskip(SKIP_1) | instid1(VALU_DEP_1)
	v_add_f32_e32 v9, v9, v11
	v_mul_f32_e32 v11, v127, v131
	v_fma_f32 v11, v126, v130, -v11
	ds_load_2addr_b64 v[116:119], v7 offset0:107 offset1:108
	ds_load_2addr_b64 v[120:123], v7 offset0:109 offset1:110
	;; [unrolled: 1-line block ×4, first 2 shown]
	v_add_f32_e32 v9, v9, v11
	v_mul_f32_e32 v11, v133, v137
	s_delay_alu instid0(VALU_DEP_1) | instskip(NEXT) | instid1(VALU_DEP_1)
	v_fma_f32 v11, v132, v136, -v11
	v_add_f32_e32 v9, v9, v11
	v_mul_f32_e32 v11, v135, v139
	s_delay_alu instid0(VALU_DEP_1)
	v_fma_f32 v11, v134, v138, -v11
	s_wait_loadcnt_dscnt 0x303
	s_set_vgpr_msb 4                        ;  msbs: dst=0 src0=0 src1=1 src2=0
	v_pk_mul_f32 v[134:135], v[116:117], v[4:5] /*v[260:261]*/ op_sel:[1,1] op_sel_hi:[0,1]
	s_set_vgpr_msb 0                        ;  msbs: dst=0 src0=0 src1=0 src2=0
	v_add_f32_e32 v9, v9, v11
	v_mul_f32_e32 v11, v141, v145
	s_set_vgpr_msb 4                        ;  msbs: dst=0 src0=0 src1=1 src2=0
	v_pk_fma_f32 v[136:137], v[116:117], v[4:5] /*v[260:261]*/, v[134:135] neg_lo:[0,0,1] neg_hi:[0,0,1]
	v_pk_fma_f32 v[116:117], v[116:117], v[4:5] /*v[260:261]*/, v[134:135] op_sel_hi:[1,0,1]
	s_set_vgpr_msb 1                        ;  msbs: dst=0 src0=1 src1=0 src2=0
	v_mov_b32_e32 v134, v7 /*v263*/
	s_set_vgpr_msb 0                        ;  msbs: dst=0 src0=0 src1=0 src2=0
	s_delay_alu instid0(VALU_DEP_2) | instskip(NEXT) | instid1(VALU_DEP_1)
	v_dual_fma_f32 v11, v140, v144, -v11 :: v_dual_mov_b32 v137, v117
	v_add_f32_e32 v9, v9, v11
	v_mul_f32_e32 v11, v143, v147
	s_delay_alu instid0(VALU_DEP_1) | instskip(NEXT) | instid1(VALU_DEP_1)
	v_fma_f32 v11, v142, v146, -v11
	v_add_f32_e32 v9, v9, v11
	v_mul_f32_e32 v11, v149, v153
	s_delay_alu instid0(VALU_DEP_1) | instskip(NEXT) | instid1(VALU_DEP_1)
	v_fma_f32 v11, v148, v152, -v11
	;; [unrolled: 4-line block ×26, first 2 shown]
	v_add_f32_e32 v9, v9, v11
	v_mul_f32_e32 v11, v247, v251
	s_delay_alu instid0(VALU_DEP_1) | instskip(SKIP_1) | instid1(VALU_DEP_1)
	v_fma_f32 v11, v246, v250, -v11
	s_set_vgpr_msb 64                       ;  msbs: dst=1 src0=0 src1=0 src2=0
	v_add_f32_e32 v20 /*v276*/, v9, v11
	s_set_vgpr_msb 4                        ;  msbs: dst=0 src0=0 src1=1 src2=0
	v_mul_f32_e32 v9, v253, v1 /*v257*/
	s_set_vgpr_msb 0x44                     ;  msbs: dst=1 src0=0 src1=1 src2=0
	s_delay_alu instid0(VALU_DEP_1) | instskip(SKIP_3) | instid1(VALU_DEP_1)
	v_fma_f32 v22 /*v278*/, v252, v0 /*v256*/, -v9
	s_set_vgpr_msb 4                        ;  msbs: dst=0 src0=0 src1=1 src2=0
	v_mul_f32_e32 v9, v255, v3 /*v259*/
	s_set_vgpr_msb 0x44                     ;  msbs: dst=1 src0=0 src1=1 src2=0
	v_fma_f32 v24 /*v280*/, v254, v2 /*v258*/, -v9
	s_set_vgpr_msb 5                        ;  msbs: dst=0 src0=1 src1=1 src2=0
	v_pk_add_f32 v[132:133], v[20:21] /*v[276:277]*/, v[22:23] /*v[278:279]*/
	s_set_vgpr_msb 4                        ;  msbs: dst=0 src0=0 src1=1 src2=0
	s_delay_alu instid0(VALU_DEP_1) | instskip(SKIP_1) | instid1(VALU_DEP_1)
	v_pk_add_f32 v[132:133], v[132:133], v[24:25] /*v[280:281]*/
	s_set_vgpr_msb 0                        ;  msbs: dst=0 src0=0 src1=0 src2=0
	v_pk_add_f32 v[116:117], v[132:133], v[136:137]
	v_dual_mov_b32 v132, v119 :: v_dual_mov_b32 v133, v118
	s_delay_alu instid0(VALU_DEP_1) | instskip(SKIP_1) | instid1(VALU_DEP_1)
	v_pk_mul_f32 v[132:133], v[132:133], v[134:135] op_sel_hi:[1,0]
	s_set_vgpr_msb 4                        ;  msbs: dst=0 src0=0 src1=1 src2=0
	v_pk_fma_f32 v[134:135], v[118:119], v[6:7] /*v[262:263]*/, v[132:133] neg_lo:[0,0,1] neg_hi:[0,0,1]
	v_pk_fma_f32 v[118:119], v[118:119], v[6:7] /*v[262:263]*/, v[132:133] op_sel_hi:[1,0,1]
	s_delay_alu instid0(VALU_DEP_1) | instskip(SKIP_3) | instid1(VALU_DEP_2)
	v_mov_b32_e32 v135, v119
	s_wait_loadcnt_dscnt 0x202
	v_pk_mul_f32 v[118:119], v[120:121], v[8:9] /*v[264:265]*/ op_sel:[1,1] op_sel_hi:[0,1]
	s_set_vgpr_msb 0                        ;  msbs: dst=0 src0=0 src1=0 src2=0
	v_pk_add_f32 v[116:117], v[116:117], v[134:135]
	s_set_vgpr_msb 4                        ;  msbs: dst=0 src0=0 src1=1 src2=0
	s_delay_alu instid0(VALU_DEP_2)
	v_pk_fma_f32 v[132:133], v[120:121], v[8:9] /*v[264:265]*/, v[118:119] neg_lo:[0,0,1] neg_hi:[0,0,1]
	v_pk_fma_f32 v[118:119], v[120:121], v[8:9] /*v[264:265]*/, v[118:119] op_sel_hi:[1,0,1]
	v_mov_b32_e32 v118, v123
	s_set_vgpr_msb 1                        ;  msbs: dst=0 src0=1 src1=0 src2=0
	v_mov_b32_e32 v120, v11 /*v267*/
	s_set_vgpr_msb 0                        ;  msbs: dst=0 src0=0 src1=0 src2=0
	v_dual_mov_b32 v133, v119 :: v_dual_mov_b32 v119, v122
	s_delay_alu instid0(VALU_DEP_1) | instskip(NEXT) | instid1(VALU_DEP_2)
	v_pk_add_f32 v[116:117], v[116:117], v[132:133]
	v_pk_mul_f32 v[118:119], v[118:119], v[120:121] op_sel_hi:[1,0]
	s_set_vgpr_msb 4                        ;  msbs: dst=0 src0=0 src1=1 src2=0
	s_delay_alu instid0(VALU_DEP_1) | instskip(SKIP_1) | instid1(VALU_DEP_1)
	v_pk_fma_f32 v[120:121], v[122:123], v[10:11] /*v[266:267]*/, v[118:119] neg_lo:[0,0,1] neg_hi:[0,0,1]
	v_pk_fma_f32 v[118:119], v[122:123], v[10:11] /*v[266:267]*/, v[118:119] op_sel_hi:[1,0,1]
	v_mov_b32_e32 v121, v119
	s_wait_loadcnt_dscnt 0x101
	v_pk_mul_f32 v[118:119], v[124:125], v[12:13] /*v[268:269]*/ op_sel:[1,1] op_sel_hi:[0,1]
	s_set_vgpr_msb 0                        ;  msbs: dst=0 src0=0 src1=0 src2=0
	s_delay_alu instid0(VALU_DEP_2) | instskip(SKIP_1) | instid1(VALU_DEP_2)
	v_pk_add_f32 v[116:117], v[116:117], v[120:121]
	s_set_vgpr_msb 4                        ;  msbs: dst=0 src0=0 src1=1 src2=0
	v_pk_fma_f32 v[120:121], v[124:125], v[12:13] /*v[268:269]*/, v[118:119] neg_lo:[0,0,1] neg_hi:[0,0,1]
	v_pk_fma_f32 v[118:119], v[124:125], v[12:13] /*v[268:269]*/, v[118:119] op_sel_hi:[1,0,1]
	s_delay_alu instid0(VALU_DEP_1) | instskip(SKIP_2) | instid1(VALU_DEP_2)
	v_dual_mov_b32 v118, v127 :: v_dual_mov_b32 v121, v119
	v_mov_b32_e32 v119, v126
	s_set_vgpr_msb 0                        ;  msbs: dst=0 src0=0 src1=0 src2=0
	v_pk_add_f32 v[116:117], v[116:117], v[120:121]
	s_set_vgpr_msb 1                        ;  msbs: dst=0 src0=1 src1=0 src2=0
	v_mov_b32_e32 v120, v15 /*v271*/
	s_set_vgpr_msb 0                        ;  msbs: dst=0 src0=0 src1=0 src2=0
	s_delay_alu instid0(VALU_DEP_1) | instskip(SKIP_1) | instid1(VALU_DEP_1)
	v_pk_mul_f32 v[118:119], v[118:119], v[120:121] op_sel_hi:[1,0]
	s_set_vgpr_msb 4                        ;  msbs: dst=0 src0=0 src1=1 src2=0
	v_pk_fma_f32 v[120:121], v[126:127], v[14:15] /*v[270:271]*/, v[118:119] neg_lo:[0,0,1] neg_hi:[0,0,1]
	v_pk_fma_f32 v[118:119], v[126:127], v[14:15] /*v[270:271]*/, v[118:119] op_sel_hi:[1,0,1]
	s_delay_alu instid0(VALU_DEP_1) | instskip(SKIP_3) | instid1(VALU_DEP_2)
	v_mov_b32_e32 v121, v119
	s_wait_loadcnt_dscnt 0x0
	v_pk_mul_f32 v[118:119], v[128:129], v[16:17] /*v[272:273]*/ op_sel:[1,1] op_sel_hi:[0,1]
	s_set_vgpr_msb 0                        ;  msbs: dst=0 src0=0 src1=0 src2=0
	v_pk_add_f32 v[116:117], v[116:117], v[120:121]
	s_set_vgpr_msb 4                        ;  msbs: dst=0 src0=0 src1=1 src2=0
	s_delay_alu instid0(VALU_DEP_2) | instskip(SKIP_1) | instid1(VALU_DEP_1)
	v_pk_fma_f32 v[120:121], v[128:129], v[16:17] /*v[272:273]*/, v[118:119] neg_lo:[0,0,1] neg_hi:[0,0,1]
	v_pk_fma_f32 v[118:119], v[128:129], v[16:17] /*v[272:273]*/, v[118:119] op_sel_hi:[1,0,1]
	v_dual_mov_b32 v118, v131 :: v_dual_mov_b32 v121, v119
	v_mov_b32_e32 v119, v130
	s_set_vgpr_msb 0                        ;  msbs: dst=0 src0=0 src1=0 src2=0
	s_delay_alu instid0(VALU_DEP_2) | instskip(SKIP_3) | instid1(VALU_DEP_1)
	v_pk_add_f32 v[116:117], v[116:117], v[120:121]
	s_set_vgpr_msb 1                        ;  msbs: dst=0 src0=1 src1=0 src2=0
	v_mov_b32_e32 v120, v19 /*v275*/
	s_set_vgpr_msb 0                        ;  msbs: dst=0 src0=0 src1=0 src2=0
	v_pk_mul_f32 v[118:119], v[118:119], v[120:121] op_sel_hi:[1,0]
	s_set_vgpr_msb 4                        ;  msbs: dst=0 src0=0 src1=1 src2=0
	s_delay_alu instid0(VALU_DEP_1) | instskip(SKIP_1) | instid1(VALU_DEP_1)
	v_pk_fma_f32 v[120:121], v[130:131], v[18:19] /*v[274:275]*/, v[118:119] neg_lo:[0,0,1] neg_hi:[0,0,1]
	v_pk_fma_f32 v[118:119], v[130:131], v[18:19] /*v[274:275]*/, v[118:119] op_sel_hi:[1,0,1]
	v_mov_b32_e32 v121, v119
	scratch_load_b64 v[118:119], off, off offset:96
	s_set_vgpr_msb 0                        ;  msbs: dst=0 src0=0 src1=0 src2=0
	v_pk_add_f32 v[116:117], v[116:117], v[120:121]
	s_wait_loadcnt 0x0
	s_delay_alu instid0(VALU_DEP_1)
	v_pk_add_f32 v[116:117], v[118:119], v[116:117] neg_lo:[0,1] neg_hi:[0,1]
	scratch_store_b64 off, v[116:117], off offset:96
	s_wait_xcnt 0x0
	v_cmpx_lt_u32_e32 11, v0
	s_cbranch_execz .LBB120_333
; %bb.332:
	scratch_load_b64 v[116:117], off, off offset:88
	v_mov_b64_e32 v[118:119], 0
	scratch_store_b64 off, v[118:119], off offset:88
	s_wait_loadcnt 0x0
	ds_store_b64 v1, v[116:117]
.LBB120_333:
	s_wait_xcnt 0x0
	s_or_b32 exec_lo, exec_lo, s0
	v_mov_b32_e32 v7, 0
	s_wait_storecnt_dscnt 0x0
	s_barrier_signal -1
	s_barrier_wait -1
	ds_load_b128 v[116:119], v7 offset:560
	ds_load_b128 v[120:123], v7 offset:576
	;; [unrolled: 1-line block ×4, first 2 shown]
	s_clause 0x13
	scratch_load_b128 v[132:135], off, off offset:96
	scratch_load_b128 v[136:139], off, off offset:112
	;; [unrolled: 1-line block ×17, first 2 shown]
	s_set_vgpr_msb 64                       ;  msbs: dst=1 src0=0 src1=0 src2=0
	scratch_load_b128 v[0:3] /*v[256:259]*/, off, off offset:368
	scratch_load_b128 v[8:11] /*v[264:267]*/, off, off offset:384
	s_mov_b32 s0, exec_lo
	s_wait_loadcnt_dscnt 0x1203
	s_set_vgpr_msb 0                        ;  msbs: dst=0 src0=0 src1=0 src2=0
	v_mul_f32_e32 v9, v116, v133
	ds_load_b128 v[148:151], v7 offset:624
	ds_load_b128 v[156:159], v7 offset:640
	;; [unrolled: 1-line block ×4, first 2 shown]
	v_dual_fmac_f32 v9, v117, v132 :: v_dual_mul_f32 v11, v118, v135
	ds_load_b128 v[180:183], v7 offset:688
	ds_load_b128 v[188:191], v7 offset:704
	;; [unrolled: 1-line block ×4, first 2 shown]
	v_dual_add_f32 v9, 0, v9 :: v_dual_fmac_f32 v11, v119, v134
	ds_load_b128 v[212:215], v7 offset:752
	ds_load_b128 v[220:223], v7 offset:768
	;; [unrolled: 1-line block ×4, first 2 shown]
	s_wait_loadcnt_dscnt 0x110e
	v_dual_add_f32 v9, v9, v11 :: v_dual_mul_f32 v11, v120, v137
	ds_load_b128 v[244:247], v7 offset:816
	ds_load_b128 v[252:255], v7 offset:832
	s_set_vgpr_msb 64                       ;  msbs: dst=1 src0=0 src1=0 src2=0
	ds_load_b128 v[4:7] /*v[260:263]*/, v7 offset:848
	s_clause 0x3
	scratch_load_b128 v[12:15] /*v[268:271]*/, off, off offset:400
	scratch_load_b128 v[16:19] /*v[272:275]*/, off, off offset:416
	scratch_load_b128 v[20:23] /*v[276:279]*/, off, off offset:432
	scratch_load_b64 v[30:31] /*v[286:287]*/, off, off offset:448
	s_set_vgpr_msb 0                        ;  msbs: dst=0 src0=0 src1=0 src2=0
	v_fmac_f32_e32 v11, v121, v136
	s_delay_alu instid0(VALU_DEP_1) | instskip(SKIP_1) | instid1(VALU_DEP_1)
	v_add_f32_e32 v9, v9, v11
	v_mul_f32_e32 v11, v122, v139
	v_fmac_f32_e32 v11, v123, v138
	s_wait_loadcnt_dscnt 0x1410
	s_delay_alu instid0(VALU_DEP_1) | instskip(NEXT) | instid1(VALU_DEP_1)
	v_dual_add_f32 v9, v9, v11 :: v_dual_mul_f32 v11, v124, v141
	v_fmac_f32_e32 v11, v125, v140
	s_delay_alu instid0(VALU_DEP_1) | instskip(SKIP_1) | instid1(VALU_DEP_1)
	v_add_f32_e32 v9, v9, v11
	v_mul_f32_e32 v11, v126, v143
	v_fmac_f32_e32 v11, v127, v142
	s_wait_loadcnt_dscnt 0x130f
	s_delay_alu instid0(VALU_DEP_1) | instskip(NEXT) | instid1(VALU_DEP_1)
	v_dual_add_f32 v9, v9, v11 :: v_dual_mul_f32 v11, v128, v145
	;; [unrolled: 8-line block ×15, first 2 shown]
	v_fmac_f32_e32 v11, v245, v248
	s_delay_alu instid0(VALU_DEP_1) | instskip(SKIP_1) | instid1(VALU_DEP_1)
	v_add_f32_e32 v9, v9, v11
	v_mul_f32_e32 v11, v246, v251
	v_fmac_f32_e32 v11, v247, v250
	s_delay_alu instid0(VALU_DEP_1) | instskip(SKIP_3) | instid1(VALU_DEP_1)
	v_add_f32_e32 v9, v9, v11
	s_wait_loadcnt_dscnt 0x501
	s_set_vgpr_msb 4                        ;  msbs: dst=0 src0=0 src1=1 src2=0
	v_mul_f32_e32 v11, v252, v1 /*v257*/
	v_fmac_f32_e32 v11, v253, v0 /*v256*/
	s_set_vgpr_msb 64                       ;  msbs: dst=1 src0=0 src1=0 src2=0
	s_delay_alu instid0(VALU_DEP_1)
	v_add_f32_e32 v25 /*v281*/, v9, v11
	s_set_vgpr_msb 0                        ;  msbs: dst=0 src0=0 src1=0 src2=0
	v_dual_mul_f32 v9, v117, v133 :: v_dual_mul_f32 v11, v119, v135
	s_wait_dscnt 0x0
	s_set_vgpr_msb 1                        ;  msbs: dst=0 src0=1 src1=0 src2=0
	v_mov_b32_e32 v133, v6 /*v262*/
	s_set_vgpr_msb 0                        ;  msbs: dst=0 src0=0 src1=0 src2=0
	v_dual_fma_f32 v9, v116, v132, -v9 :: v_dual_fma_f32 v11, v118, v134, -v11
	s_wait_loadcnt 0x4
	s_set_vgpr_msb 1                        ;  msbs: dst=0 src0=1 src1=0 src2=0
	v_dual_mov_b32 v134, v11 /*v267*/ :: v_dual_mov_b32 v132, v7 /*v263*/
	s_delay_alu instid0(VALU_DEP_2) | instskip(SKIP_1) | instid1(VALU_DEP_2)
	v_add_f32_e32 v9, 0, v9
	s_set_vgpr_msb 0                        ;  msbs: dst=0 src0=0 src1=0 src2=0
	v_pk_mul_f32 v[132:133], v[132:133], v[134:135] op_sel_hi:[1,0]
	s_delay_alu instid0(VALU_DEP_2) | instskip(SKIP_2) | instid1(VALU_DEP_3)
	v_add_f32_e32 v9, v9, v11
	v_mul_f32_e32 v11, v121, v137
	s_set_vgpr_msb 5                        ;  msbs: dst=0 src0=1 src1=1 src2=0
	v_pk_fma_f32 v[134:135], v[6:7] /*v[262:263]*/, v[10:11] /*v[266:267]*/, v[132:133] neg_lo:[0,0,1] neg_hi:[0,0,1]
	v_pk_fma_f32 v[132:133], v[6:7] /*v[262:263]*/, v[10:11] /*v[266:267]*/, v[132:133] op_sel_hi:[1,0,1]
	s_set_vgpr_msb 0                        ;  msbs: dst=0 src0=0 src1=0 src2=0
	s_delay_alu instid0(VALU_DEP_1) | instskip(NEXT) | instid1(VALU_DEP_1)
	v_dual_fma_f32 v11, v120, v136, -v11 :: v_dual_mov_b32 v135, v133
	v_add_f32_e32 v9, v9, v11
	v_mul_f32_e32 v11, v123, v139
	s_delay_alu instid0(VALU_DEP_1) | instskip(NEXT) | instid1(VALU_DEP_1)
	v_fma_f32 v11, v122, v138, -v11
	v_add_f32_e32 v9, v9, v11
	v_mul_f32_e32 v11, v125, v141
	s_delay_alu instid0(VALU_DEP_1) | instskip(NEXT) | instid1(VALU_DEP_1)
	v_fma_f32 v11, v124, v140, -v11
	;; [unrolled: 4-line block ×3, first 2 shown]
	v_add_f32_e32 v9, v9, v11
	v_mul_f32_e32 v11, v129, v145
	s_delay_alu instid0(VALU_DEP_1)
	v_fma_f32 v11, v128, v144, -v11
	ds_load_b128 v[116:119], v7 offset:864
	ds_load_b128 v[120:123], v7 offset:880
	;; [unrolled: 1-line block ×3, first 2 shown]
	ds_load_b64 v[128:129], v7 offset:912
	v_add_f32_e32 v9, v9, v11
	v_mul_f32_e32 v11, v131, v147
	s_delay_alu instid0(VALU_DEP_1) | instskip(NEXT) | instid1(VALU_DEP_1)
	v_fma_f32 v11, v130, v146, -v11
	v_add_f32_e32 v9, v9, v11
	v_mul_f32_e32 v11, v149, v153
	s_wait_loadcnt_dscnt 0x303
	s_set_vgpr_msb 4                        ;  msbs: dst=0 src0=0 src1=1 src2=0
	v_pk_mul_f32 v[132:133], v[116:117], v[12:13] /*v[268:269]*/ op_sel:[1,1] op_sel_hi:[0,1]
	s_set_vgpr_msb 0                        ;  msbs: dst=0 src0=0 src1=0 src2=0
	v_fma_f32 v11, v148, v152, -v11
	s_delay_alu instid0(VALU_DEP_1) | instskip(SKIP_1) | instid1(VALU_DEP_1)
	v_add_f32_e32 v9, v9, v11
	v_mul_f32_e32 v11, v151, v155
	v_fma_f32 v11, v150, v154, -v11
	s_delay_alu instid0(VALU_DEP_1) | instskip(SKIP_1) | instid1(VALU_DEP_1)
	v_add_f32_e32 v9, v9, v11
	v_mul_f32_e32 v11, v157, v161
	v_fma_f32 v11, v156, v160, -v11
	s_delay_alu instid0(VALU_DEP_1) | instskip(SKIP_1) | instid1(VALU_DEP_1)
	v_add_f32_e32 v9, v9, v11
	v_mul_f32_e32 v11, v159, v163
	v_fma_f32 v11, v158, v162, -v11
	s_delay_alu instid0(VALU_DEP_1) | instskip(SKIP_1) | instid1(VALU_DEP_1)
	v_add_f32_e32 v9, v9, v11
	v_mul_f32_e32 v11, v165, v169
	v_fma_f32 v11, v164, v168, -v11
	s_delay_alu instid0(VALU_DEP_1) | instskip(SKIP_1) | instid1(VALU_DEP_1)
	v_add_f32_e32 v9, v9, v11
	v_mul_f32_e32 v11, v167, v171
	v_fma_f32 v11, v166, v170, -v11
	s_delay_alu instid0(VALU_DEP_1) | instskip(SKIP_1) | instid1(VALU_DEP_1)
	v_add_f32_e32 v9, v9, v11
	v_mul_f32_e32 v11, v173, v177
	v_fma_f32 v11, v172, v176, -v11
	s_delay_alu instid0(VALU_DEP_1) | instskip(SKIP_1) | instid1(VALU_DEP_1)
	v_add_f32_e32 v9, v9, v11
	v_mul_f32_e32 v11, v175, v179
	v_fma_f32 v11, v174, v178, -v11
	s_delay_alu instid0(VALU_DEP_1) | instskip(SKIP_1) | instid1(VALU_DEP_1)
	v_add_f32_e32 v9, v9, v11
	v_mul_f32_e32 v11, v181, v185
	v_fma_f32 v11, v180, v184, -v11
	s_delay_alu instid0(VALU_DEP_1) | instskip(SKIP_1) | instid1(VALU_DEP_1)
	v_add_f32_e32 v9, v9, v11
	v_mul_f32_e32 v11, v183, v187
	v_fma_f32 v11, v182, v186, -v11
	s_delay_alu instid0(VALU_DEP_1) | instskip(SKIP_1) | instid1(VALU_DEP_1)
	v_add_f32_e32 v9, v9, v11
	v_mul_f32_e32 v11, v189, v193
	v_fma_f32 v11, v188, v192, -v11
	s_delay_alu instid0(VALU_DEP_1) | instskip(SKIP_1) | instid1(VALU_DEP_1)
	v_add_f32_e32 v9, v9, v11
	v_mul_f32_e32 v11, v191, v195
	v_fma_f32 v11, v190, v194, -v11
	s_delay_alu instid0(VALU_DEP_1) | instskip(SKIP_1) | instid1(VALU_DEP_1)
	v_add_f32_e32 v9, v9, v11
	v_mul_f32_e32 v11, v197, v201
	v_fma_f32 v11, v196, v200, -v11
	s_delay_alu instid0(VALU_DEP_1) | instskip(SKIP_1) | instid1(VALU_DEP_1)
	v_add_f32_e32 v9, v9, v11
	v_mul_f32_e32 v11, v199, v203
	v_fma_f32 v11, v198, v202, -v11
	s_delay_alu instid0(VALU_DEP_1) | instskip(SKIP_1) | instid1(VALU_DEP_1)
	v_add_f32_e32 v9, v9, v11
	v_mul_f32_e32 v11, v205, v209
	v_fma_f32 v11, v204, v208, -v11
	s_delay_alu instid0(VALU_DEP_1) | instskip(SKIP_1) | instid1(VALU_DEP_1)
	v_add_f32_e32 v9, v9, v11
	v_mul_f32_e32 v11, v207, v211
	v_fma_f32 v11, v206, v210, -v11
	s_delay_alu instid0(VALU_DEP_1) | instskip(SKIP_1) | instid1(VALU_DEP_1)
	v_add_f32_e32 v9, v9, v11
	v_mul_f32_e32 v11, v213, v217
	v_fma_f32 v11, v212, v216, -v11
	s_delay_alu instid0(VALU_DEP_1) | instskip(SKIP_1) | instid1(VALU_DEP_1)
	v_add_f32_e32 v9, v9, v11
	v_mul_f32_e32 v11, v215, v219
	v_fma_f32 v11, v214, v218, -v11
	s_delay_alu instid0(VALU_DEP_1) | instskip(SKIP_1) | instid1(VALU_DEP_1)
	v_add_f32_e32 v9, v9, v11
	v_mul_f32_e32 v11, v221, v225
	v_fma_f32 v11, v220, v224, -v11
	s_delay_alu instid0(VALU_DEP_1) | instskip(SKIP_1) | instid1(VALU_DEP_1)
	v_add_f32_e32 v9, v9, v11
	v_mul_f32_e32 v11, v223, v227
	v_fma_f32 v11, v222, v226, -v11
	s_delay_alu instid0(VALU_DEP_1) | instskip(SKIP_1) | instid1(VALU_DEP_1)
	v_add_f32_e32 v9, v9, v11
	v_mul_f32_e32 v11, v229, v233
	v_fma_f32 v11, v228, v232, -v11
	s_delay_alu instid0(VALU_DEP_1) | instskip(SKIP_1) | instid1(VALU_DEP_1)
	v_add_f32_e32 v9, v9, v11
	v_mul_f32_e32 v11, v231, v235
	v_fma_f32 v11, v230, v234, -v11
	s_delay_alu instid0(VALU_DEP_1) | instskip(SKIP_1) | instid1(VALU_DEP_1)
	v_add_f32_e32 v9, v9, v11
	v_mul_f32_e32 v11, v237, v241
	v_fma_f32 v11, v236, v240, -v11
	s_delay_alu instid0(VALU_DEP_1) | instskip(SKIP_1) | instid1(VALU_DEP_1)
	v_add_f32_e32 v9, v9, v11
	v_mul_f32_e32 v11, v239, v243
	v_fma_f32 v11, v238, v242, -v11
	s_delay_alu instid0(VALU_DEP_1) | instskip(SKIP_1) | instid1(VALU_DEP_1)
	v_add_f32_e32 v9, v9, v11
	v_mul_f32_e32 v11, v245, v249
	v_fma_f32 v11, v244, v248, -v11
	s_delay_alu instid0(VALU_DEP_1) | instskip(SKIP_1) | instid1(VALU_DEP_1)
	v_add_f32_e32 v9, v9, v11
	v_mul_f32_e32 v11, v247, v251
	v_fma_f32 v11, v246, v250, -v11
	s_delay_alu instid0(VALU_DEP_1) | instskip(SKIP_2) | instid1(VALU_DEP_1)
	v_add_f32_e32 v9, v9, v11
	s_set_vgpr_msb 4                        ;  msbs: dst=0 src0=0 src1=1 src2=0
	v_mul_f32_e32 v11, v253, v1 /*v257*/
	v_fma_f32 v11, v252, v0 /*v256*/, -v11
	s_set_vgpr_msb 64                       ;  msbs: dst=1 src0=0 src1=0 src2=0
	s_delay_alu instid0(VALU_DEP_1) | instskip(SKIP_3) | instid1(VALU_DEP_1)
	v_add_f32_e32 v24 /*v280*/, v9, v11
	s_set_vgpr_msb 4                        ;  msbs: dst=0 src0=0 src1=1 src2=0
	v_mul_f32_e32 v9, v255, v3 /*v259*/
	s_set_vgpr_msb 0x44                     ;  msbs: dst=1 src0=0 src1=1 src2=0
	v_dual_mul_f32 v27 /*v283*/, v254, v3 /*v259*/ :: v_dual_fma_f32 v26 /*v282*/, v254, v2 /*v258*/, -v9
	s_set_vgpr_msb 5                        ;  msbs: dst=0 src0=1 src1=1 src2=0
	v_mul_f32_e32 v9, v5 /*v261*/, v9 /*v265*/
	s_set_vgpr_msb 0x44                     ;  msbs: dst=1 src0=0 src1=1 src2=0
	s_delay_alu instid0(VALU_DEP_2) | instskip(SKIP_1) | instid1(VALU_DEP_2)
	v_fmac_f32_e32 v27 /*v283*/, v255, v2 /*v258*/
	s_set_vgpr_msb 0x45                     ;  msbs: dst=1 src0=1 src1=1 src2=0
	v_dual_mul_f32 v29 /*v285*/, v4 /*v260*/, v9 /*v265*/ :: v_dual_fma_f32 v28 /*v284*/, v4 /*v260*/, v8 /*v264*/, -v9
	s_set_vgpr_msb 5                        ;  msbs: dst=0 src0=1 src1=1 src2=0
	s_delay_alu instid0(VALU_DEP_2) | instskip(SKIP_1) | instid1(VALU_DEP_2)
	v_pk_add_f32 v[130:131], v[24:25] /*v[280:281]*/, v[26:27] /*v[282:283]*/
	s_set_vgpr_msb 0x45                     ;  msbs: dst=1 src0=1 src1=1 src2=0
	v_fmac_f32_e32 v29 /*v285*/, v5 /*v261*/, v8 /*v264*/
	s_set_vgpr_msb 4                        ;  msbs: dst=0 src0=0 src1=1 src2=0
	s_delay_alu instid0(VALU_DEP_1) | instskip(SKIP_1) | instid1(VALU_DEP_1)
	v_pk_add_f32 v[130:131], v[130:131], v[28:29] /*v[284:285]*/
	s_set_vgpr_msb 0                        ;  msbs: dst=0 src0=0 src1=0 src2=0
	v_pk_add_f32 v[130:131], v[130:131], v[134:135]
	s_set_vgpr_msb 4                        ;  msbs: dst=0 src0=0 src1=1 src2=0
	v_pk_fma_f32 v[134:135], v[116:117], v[12:13] /*v[268:269]*/, v[132:133] neg_lo:[0,0,1] neg_hi:[0,0,1]
	v_pk_fma_f32 v[116:117], v[116:117], v[12:13] /*v[268:269]*/, v[132:133] op_sel_hi:[1,0,1]
	s_set_vgpr_msb 1                        ;  msbs: dst=0 src0=1 src1=0 src2=0
	v_mov_b32_e32 v132, v15 /*v271*/
	s_set_vgpr_msb 0                        ;  msbs: dst=0 src0=0 src1=0 src2=0
	s_delay_alu instid0(VALU_DEP_2) | instskip(NEXT) | instid1(VALU_DEP_1)
	v_mov_b32_e32 v135, v117
	v_pk_add_f32 v[116:117], v[130:131], v[134:135]
	v_dual_mov_b32 v130, v119 :: v_dual_mov_b32 v131, v118
	s_delay_alu instid0(VALU_DEP_1) | instskip(SKIP_1) | instid1(VALU_DEP_1)
	v_pk_mul_f32 v[130:131], v[130:131], v[132:133] op_sel_hi:[1,0]
	s_set_vgpr_msb 4                        ;  msbs: dst=0 src0=0 src1=1 src2=0
	v_pk_fma_f32 v[132:133], v[118:119], v[14:15] /*v[270:271]*/, v[130:131] neg_lo:[0,0,1] neg_hi:[0,0,1]
	v_pk_fma_f32 v[118:119], v[118:119], v[14:15] /*v[270:271]*/, v[130:131] op_sel_hi:[1,0,1]
	s_delay_alu instid0(VALU_DEP_1) | instskip(SKIP_3) | instid1(VALU_DEP_2)
	v_mov_b32_e32 v133, v119
	s_wait_loadcnt_dscnt 0x202
	v_pk_mul_f32 v[118:119], v[120:121], v[16:17] /*v[272:273]*/ op_sel:[1,1] op_sel_hi:[0,1]
	s_set_vgpr_msb 0                        ;  msbs: dst=0 src0=0 src1=0 src2=0
	v_pk_add_f32 v[116:117], v[116:117], v[132:133]
	s_set_vgpr_msb 4                        ;  msbs: dst=0 src0=0 src1=1 src2=0
	s_delay_alu instid0(VALU_DEP_2)
	v_pk_fma_f32 v[130:131], v[120:121], v[16:17] /*v[272:273]*/, v[118:119] neg_lo:[0,0,1] neg_hi:[0,0,1]
	v_pk_fma_f32 v[118:119], v[120:121], v[16:17] /*v[272:273]*/, v[118:119] op_sel_hi:[1,0,1]
	v_mov_b32_e32 v118, v123
	s_set_vgpr_msb 1                        ;  msbs: dst=0 src0=1 src1=0 src2=0
	v_mov_b32_e32 v120, v19 /*v275*/
	s_set_vgpr_msb 0                        ;  msbs: dst=0 src0=0 src1=0 src2=0
	v_dual_mov_b32 v131, v119 :: v_dual_mov_b32 v119, v122
	s_delay_alu instid0(VALU_DEP_1) | instskip(NEXT) | instid1(VALU_DEP_2)
	v_pk_add_f32 v[116:117], v[116:117], v[130:131]
	v_pk_mul_f32 v[118:119], v[118:119], v[120:121] op_sel_hi:[1,0]
	s_set_vgpr_msb 4                        ;  msbs: dst=0 src0=0 src1=1 src2=0
	s_delay_alu instid0(VALU_DEP_1) | instskip(SKIP_1) | instid1(VALU_DEP_1)
	v_pk_fma_f32 v[120:121], v[122:123], v[18:19] /*v[274:275]*/, v[118:119] neg_lo:[0,0,1] neg_hi:[0,0,1]
	v_pk_fma_f32 v[118:119], v[122:123], v[18:19] /*v[274:275]*/, v[118:119] op_sel_hi:[1,0,1]
	v_mov_b32_e32 v121, v119
	s_wait_loadcnt_dscnt 0x101
	v_pk_mul_f32 v[118:119], v[124:125], v[20:21] /*v[276:277]*/ op_sel:[1,1] op_sel_hi:[0,1]
	s_set_vgpr_msb 0                        ;  msbs: dst=0 src0=0 src1=0 src2=0
	s_delay_alu instid0(VALU_DEP_2) | instskip(SKIP_1) | instid1(VALU_DEP_2)
	v_pk_add_f32 v[116:117], v[116:117], v[120:121]
	s_set_vgpr_msb 4                        ;  msbs: dst=0 src0=0 src1=1 src2=0
	v_pk_fma_f32 v[120:121], v[124:125], v[20:21] /*v[276:277]*/, v[118:119] neg_lo:[0,0,1] neg_hi:[0,0,1]
	v_pk_fma_f32 v[118:119], v[124:125], v[20:21] /*v[276:277]*/, v[118:119] op_sel_hi:[1,0,1]
	s_delay_alu instid0(VALU_DEP_1) | instskip(SKIP_2) | instid1(VALU_DEP_2)
	v_dual_mov_b32 v118, v127 :: v_dual_mov_b32 v121, v119
	v_mov_b32_e32 v119, v126
	s_set_vgpr_msb 0                        ;  msbs: dst=0 src0=0 src1=0 src2=0
	v_pk_add_f32 v[116:117], v[116:117], v[120:121]
	s_set_vgpr_msb 1                        ;  msbs: dst=0 src0=1 src1=0 src2=0
	v_mov_b32_e32 v120, v23 /*v279*/
	s_set_vgpr_msb 0                        ;  msbs: dst=0 src0=0 src1=0 src2=0
	s_delay_alu instid0(VALU_DEP_1) | instskip(SKIP_1) | instid1(VALU_DEP_1)
	v_pk_mul_f32 v[118:119], v[118:119], v[120:121] op_sel_hi:[1,0]
	s_set_vgpr_msb 4                        ;  msbs: dst=0 src0=0 src1=1 src2=0
	v_pk_fma_f32 v[120:121], v[126:127], v[22:23] /*v[278:279]*/, v[118:119] neg_lo:[0,0,1] neg_hi:[0,0,1]
	v_pk_fma_f32 v[118:119], v[126:127], v[22:23] /*v[278:279]*/, v[118:119] op_sel_hi:[1,0,1]
	s_delay_alu instid0(VALU_DEP_1) | instskip(SKIP_3) | instid1(VALU_DEP_2)
	v_mov_b32_e32 v121, v119
	s_wait_loadcnt_dscnt 0x0
	v_pk_mul_f32 v[118:119], v[128:129], v[30:31] /*v[286:287]*/ op_sel:[1,1] op_sel_hi:[0,1]
	s_set_vgpr_msb 0                        ;  msbs: dst=0 src0=0 src1=0 src2=0
	v_pk_add_f32 v[116:117], v[116:117], v[120:121]
	s_set_vgpr_msb 4                        ;  msbs: dst=0 src0=0 src1=1 src2=0
	s_delay_alu instid0(VALU_DEP_2) | instskip(SKIP_1) | instid1(VALU_DEP_1)
	v_pk_fma_f32 v[120:121], v[128:129], v[30:31] /*v[286:287]*/, v[118:119] neg_lo:[0,0,1] neg_hi:[0,0,1]
	v_pk_fma_f32 v[118:119], v[128:129], v[30:31] /*v[286:287]*/, v[118:119] op_sel_hi:[1,0,1]
	v_mov_b32_e32 v121, v119
	scratch_load_b64 v[118:119], off, off offset:88
	s_set_vgpr_msb 0                        ;  msbs: dst=0 src0=0 src1=0 src2=0
	v_pk_add_f32 v[116:117], v[116:117], v[120:121]
	s_wait_loadcnt 0x0
	s_delay_alu instid0(VALU_DEP_1)
	v_pk_add_f32 v[116:117], v[118:119], v[116:117] neg_lo:[0,1] neg_hi:[0,1]
	scratch_store_b64 off, v[116:117], off offset:88
	s_wait_xcnt 0x0
	v_cmpx_lt_u32_e32 10, v0
	s_cbranch_execz .LBB120_335
; %bb.334:
	scratch_load_b64 v[116:117], off, off offset:80
	v_mov_b64_e32 v[118:119], 0
	scratch_store_b64 off, v[118:119], off offset:80
	s_wait_loadcnt 0x0
	ds_store_b64 v1, v[116:117]
.LBB120_335:
	s_wait_xcnt 0x0
	s_or_b32 exec_lo, exec_lo, s0
	s_wait_storecnt_dscnt 0x0
	s_barrier_signal -1
	s_barrier_wait -1
	s_clause 0xf
	scratch_load_b128 v[120:123], off, off offset:88
	scratch_load_b128 v[128:131], off, off offset:104
	;; [unrolled: 1-line block ×16, first 2 shown]
	ds_load_2addr_b64 v[116:119], v7 offset0:69 offset1:70
	ds_load_2addr_b64 v[124:127], v7 offset0:71 offset1:72
	s_clause 0x2
	scratch_load_b128 v[248:251], off, off offset:344
	s_set_vgpr_msb 64                       ;  msbs: dst=1 src0=0 src1=0 src2=0
	scratch_load_b128 v[0:3] /*v[256:259]*/, off, off offset:360
	s_set_vgpr_msb 0                        ;  msbs: dst=0 src0=0 src1=0 src2=0
	ds_load_2addr_b64 v[132:135], v7 offset0:73 offset1:74
	ds_load_2addr_b64 v[140:143], v7 offset0:75 offset1:76
	;; [unrolled: 1-line block ×16, first 2 shown]
	s_set_vgpr_msb 64                       ;  msbs: dst=1 src0=0 src1=0 src2=0
	scratch_load_b128 v[8:11] /*v[264:267]*/, off, off offset:376
	ds_load_2addr_b64 v[4:7] /*v[260:263]*/, v7 offset0:105 offset1:106
	s_clause 0x3
	scratch_load_b128 v[12:15] /*v[268:271]*/, off, off offset:392
	scratch_load_b128 v[16:19] /*v[272:275]*/, off, off offset:408
	;; [unrolled: 1-line block ×4, first 2 shown]
	s_mov_b32 s0, exec_lo
	s_wait_loadcnt_dscnt 0x1612
	s_set_vgpr_msb 0                        ;  msbs: dst=0 src0=0 src1=0 src2=0
	v_dual_mul_f32 v9, v116, v121 :: v_dual_mul_f32 v11, v118, v123
	s_delay_alu instid0(VALU_DEP_1) | instskip(NEXT) | instid1(VALU_DEP_1)
	v_dual_fmac_f32 v9, v117, v120 :: v_dual_fmac_f32 v11, v119, v122
	v_add_f32_e32 v9, 0, v9
	s_wait_loadcnt_dscnt 0x1511
	s_delay_alu instid0(VALU_DEP_1) | instskip(NEXT) | instid1(VALU_DEP_1)
	v_dual_add_f32 v9, v9, v11 :: v_dual_mul_f32 v11, v124, v129
	v_fmac_f32_e32 v11, v125, v128
	s_delay_alu instid0(VALU_DEP_1) | instskip(SKIP_1) | instid1(VALU_DEP_1)
	v_add_f32_e32 v9, v9, v11
	v_mul_f32_e32 v11, v126, v131
	v_fmac_f32_e32 v11, v127, v130
	s_wait_loadcnt_dscnt 0x400
	s_set_vgpr_msb 0x45                     ;  msbs: dst=1 src0=1 src1=1 src2=0
	v_dual_mul_f32 v31 /*v287*/, v4 /*v260*/, v9 /*v265*/ :: v_dual_mul_f32 v33 /*v289*/, v6 /*v262*/, v11 /*v267*/
	s_set_vgpr_msb 0                        ;  msbs: dst=0 src0=0 src1=0 src2=0
	v_dual_add_f32 v9, v9, v11 :: v_dual_mul_f32 v11, v132, v137
	s_set_vgpr_msb 0x45                     ;  msbs: dst=1 src0=1 src1=1 src2=0
	s_delay_alu instid0(VALU_DEP_2) | instskip(SKIP_1) | instid1(VALU_DEP_2)
	v_dual_fmac_f32 v31 /*v287*/, v5 /*v261*/, v8 /*v264*/ :: v_dual_fmac_f32 v33 /*v289*/, v7 /*v263*/, v10 /*v266*/
	s_set_vgpr_msb 0                        ;  msbs: dst=0 src0=0 src1=0 src2=0
	v_fmac_f32_e32 v11, v133, v136
	s_delay_alu instid0(VALU_DEP_1) | instskip(SKIP_1) | instid1(VALU_DEP_1)
	v_add_f32_e32 v9, v9, v11
	v_mul_f32_e32 v11, v134, v139
	v_fmac_f32_e32 v11, v135, v138
	s_delay_alu instid0(VALU_DEP_1) | instskip(NEXT) | instid1(VALU_DEP_1)
	v_dual_add_f32 v9, v9, v11 :: v_dual_mul_f32 v11, v140, v145
	v_fmac_f32_e32 v11, v141, v144
	s_delay_alu instid0(VALU_DEP_1) | instskip(SKIP_1) | instid1(VALU_DEP_1)
	v_add_f32_e32 v9, v9, v11
	v_mul_f32_e32 v11, v142, v147
	v_fmac_f32_e32 v11, v143, v146
	s_delay_alu instid0(VALU_DEP_1) | instskip(NEXT) | instid1(VALU_DEP_1)
	v_dual_add_f32 v9, v9, v11 :: v_dual_mul_f32 v11, v148, v153
	v_fmac_f32_e32 v11, v149, v152
	s_delay_alu instid0(VALU_DEP_1) | instskip(SKIP_1) | instid1(VALU_DEP_1)
	v_add_f32_e32 v9, v9, v11
	v_mul_f32_e32 v11, v150, v155
	v_fmac_f32_e32 v11, v151, v154
	s_delay_alu instid0(VALU_DEP_1) | instskip(NEXT) | instid1(VALU_DEP_1)
	v_dual_add_f32 v9, v9, v11 :: v_dual_mul_f32 v11, v156, v161
	v_fmac_f32_e32 v11, v157, v160
	s_delay_alu instid0(VALU_DEP_1) | instskip(SKIP_1) | instid1(VALU_DEP_1)
	v_add_f32_e32 v9, v9, v11
	v_mul_f32_e32 v11, v158, v163
	v_fmac_f32_e32 v11, v159, v162
	s_delay_alu instid0(VALU_DEP_1) | instskip(NEXT) | instid1(VALU_DEP_1)
	v_dual_add_f32 v9, v9, v11 :: v_dual_mul_f32 v11, v164, v169
	v_fmac_f32_e32 v11, v165, v168
	s_delay_alu instid0(VALU_DEP_1) | instskip(SKIP_1) | instid1(VALU_DEP_1)
	v_add_f32_e32 v9, v9, v11
	v_mul_f32_e32 v11, v166, v171
	v_fmac_f32_e32 v11, v167, v170
	s_delay_alu instid0(VALU_DEP_1) | instskip(NEXT) | instid1(VALU_DEP_1)
	v_dual_add_f32 v9, v9, v11 :: v_dual_mul_f32 v11, v172, v177
	v_fmac_f32_e32 v11, v173, v176
	s_delay_alu instid0(VALU_DEP_1) | instskip(SKIP_1) | instid1(VALU_DEP_1)
	v_add_f32_e32 v9, v9, v11
	v_mul_f32_e32 v11, v174, v179
	v_fmac_f32_e32 v11, v175, v178
	s_delay_alu instid0(VALU_DEP_1) | instskip(NEXT) | instid1(VALU_DEP_1)
	v_dual_add_f32 v9, v9, v11 :: v_dual_mul_f32 v11, v180, v185
	v_fmac_f32_e32 v11, v181, v184
	s_delay_alu instid0(VALU_DEP_1) | instskip(SKIP_1) | instid1(VALU_DEP_1)
	v_add_f32_e32 v9, v9, v11
	v_mul_f32_e32 v11, v182, v187
	v_fmac_f32_e32 v11, v183, v186
	s_delay_alu instid0(VALU_DEP_1) | instskip(NEXT) | instid1(VALU_DEP_1)
	v_dual_add_f32 v9, v9, v11 :: v_dual_mul_f32 v11, v188, v193
	v_fmac_f32_e32 v11, v189, v192
	s_delay_alu instid0(VALU_DEP_1) | instskip(SKIP_1) | instid1(VALU_DEP_1)
	v_add_f32_e32 v9, v9, v11
	v_mul_f32_e32 v11, v190, v195
	v_fmac_f32_e32 v11, v191, v194
	s_delay_alu instid0(VALU_DEP_1) | instskip(NEXT) | instid1(VALU_DEP_1)
	v_dual_add_f32 v9, v9, v11 :: v_dual_mul_f32 v11, v196, v201
	v_fmac_f32_e32 v11, v197, v200
	s_delay_alu instid0(VALU_DEP_1) | instskip(SKIP_1) | instid1(VALU_DEP_1)
	v_add_f32_e32 v9, v9, v11
	v_mul_f32_e32 v11, v198, v203
	v_fmac_f32_e32 v11, v199, v202
	s_delay_alu instid0(VALU_DEP_1) | instskip(NEXT) | instid1(VALU_DEP_1)
	v_dual_add_f32 v9, v9, v11 :: v_dual_mul_f32 v11, v204, v209
	v_fmac_f32_e32 v11, v205, v208
	s_delay_alu instid0(VALU_DEP_1) | instskip(SKIP_1) | instid1(VALU_DEP_1)
	v_add_f32_e32 v9, v9, v11
	v_mul_f32_e32 v11, v206, v211
	v_fmac_f32_e32 v11, v207, v210
	s_delay_alu instid0(VALU_DEP_1) | instskip(NEXT) | instid1(VALU_DEP_1)
	v_dual_add_f32 v9, v9, v11 :: v_dual_mul_f32 v11, v212, v217
	v_fmac_f32_e32 v11, v213, v216
	s_delay_alu instid0(VALU_DEP_1) | instskip(SKIP_1) | instid1(VALU_DEP_1)
	v_add_f32_e32 v9, v9, v11
	v_mul_f32_e32 v11, v214, v219
	v_fmac_f32_e32 v11, v215, v218
	s_delay_alu instid0(VALU_DEP_1) | instskip(NEXT) | instid1(VALU_DEP_1)
	v_dual_add_f32 v9, v9, v11 :: v_dual_mul_f32 v11, v220, v225
	v_fmac_f32_e32 v11, v221, v224
	s_delay_alu instid0(VALU_DEP_1) | instskip(SKIP_1) | instid1(VALU_DEP_1)
	v_add_f32_e32 v9, v9, v11
	v_mul_f32_e32 v11, v222, v227
	v_fmac_f32_e32 v11, v223, v226
	s_delay_alu instid0(VALU_DEP_1) | instskip(NEXT) | instid1(VALU_DEP_1)
	v_dual_add_f32 v9, v9, v11 :: v_dual_mul_f32 v11, v228, v233
	v_fmac_f32_e32 v11, v229, v232
	s_delay_alu instid0(VALU_DEP_1) | instskip(SKIP_1) | instid1(VALU_DEP_1)
	v_add_f32_e32 v9, v9, v11
	v_mul_f32_e32 v11, v230, v235
	v_fmac_f32_e32 v11, v231, v234
	s_delay_alu instid0(VALU_DEP_1) | instskip(NEXT) | instid1(VALU_DEP_1)
	v_dual_add_f32 v9, v9, v11 :: v_dual_mul_f32 v11, v236, v241
	v_fmac_f32_e32 v11, v237, v240
	s_delay_alu instid0(VALU_DEP_1) | instskip(SKIP_1) | instid1(VALU_DEP_1)
	v_add_f32_e32 v9, v9, v11
	v_mul_f32_e32 v11, v238, v243
	v_fmac_f32_e32 v11, v239, v242
	s_delay_alu instid0(VALU_DEP_1) | instskip(NEXT) | instid1(VALU_DEP_1)
	v_dual_add_f32 v9, v9, v11 :: v_dual_mul_f32 v11, v244, v249
	v_fmac_f32_e32 v11, v245, v248
	s_delay_alu instid0(VALU_DEP_1) | instskip(SKIP_1) | instid1(VALU_DEP_1)
	v_add_f32_e32 v9, v9, v11
	v_mul_f32_e32 v11, v246, v251
	v_fmac_f32_e32 v11, v247, v250
	s_delay_alu instid0(VALU_DEP_1) | instskip(SKIP_2) | instid1(VALU_DEP_1)
	v_add_f32_e32 v9, v9, v11
	s_set_vgpr_msb 4                        ;  msbs: dst=0 src0=0 src1=1 src2=0
	v_mul_f32_e32 v11, v252, v1 /*v257*/
	v_fmac_f32_e32 v11, v253, v0 /*v256*/
	s_set_vgpr_msb 0                        ;  msbs: dst=0 src0=0 src1=0 src2=0
	s_delay_alu instid0(VALU_DEP_1) | instskip(SKIP_2) | instid1(VALU_DEP_1)
	v_add_f32_e32 v9, v9, v11
	s_set_vgpr_msb 4                        ;  msbs: dst=0 src0=0 src1=1 src2=0
	v_mul_f32_e32 v11, v254, v3 /*v259*/
	v_fmac_f32_e32 v11, v255, v2 /*v258*/
	s_set_vgpr_msb 64                       ;  msbs: dst=1 src0=0 src1=0 src2=0
	s_delay_alu instid0(VALU_DEP_1) | instskip(SKIP_2) | instid1(VALU_DEP_1)
	v_add_f32_e32 v29 /*v285*/, v9, v11
	s_set_vgpr_msb 0                        ;  msbs: dst=0 src0=0 src1=0 src2=0
	v_dual_mul_f32 v9, v117, v121 :: v_dual_mul_f32 v11, v119, v123
	v_dual_fma_f32 v9, v116, v120, -v9 :: v_dual_fma_f32 v11, v118, v122, -v11
	s_delay_alu instid0(VALU_DEP_1) | instskip(NEXT) | instid1(VALU_DEP_1)
	v_add_f32_e32 v9, 0, v9
	v_add_f32_e32 v9, v9, v11
	v_mul_f32_e32 v11, v125, v129
	s_delay_alu instid0(VALU_DEP_1) | instskip(NEXT) | instid1(VALU_DEP_1)
	v_fma_f32 v11, v124, v128, -v11
	v_add_f32_e32 v9, v9, v11
	v_mul_f32_e32 v11, v127, v131
	s_delay_alu instid0(VALU_DEP_1)
	v_fma_f32 v11, v126, v130, -v11
	ds_load_2addr_b64 v[116:119], v7 offset0:107 offset1:108
	ds_load_2addr_b64 v[120:123], v7 offset0:109 offset1:110
	;; [unrolled: 1-line block ×4, first 2 shown]
	v_add_f32_e32 v9, v9, v11
	v_mul_f32_e32 v11, v133, v137
	s_delay_alu instid0(VALU_DEP_1) | instskip(NEXT) | instid1(VALU_DEP_1)
	v_fma_f32 v11, v132, v136, -v11
	v_add_f32_e32 v9, v9, v11
	v_mul_f32_e32 v11, v135, v139
	s_delay_alu instid0(VALU_DEP_1)
	v_fma_f32 v11, v134, v138, -v11
	s_wait_loadcnt_dscnt 0x303
	s_set_vgpr_msb 4                        ;  msbs: dst=0 src0=0 src1=1 src2=0
	v_pk_mul_f32 v[134:135], v[116:117], v[12:13] /*v[268:269]*/ op_sel:[1,1] op_sel_hi:[0,1]
	s_set_vgpr_msb 0                        ;  msbs: dst=0 src0=0 src1=0 src2=0
	v_add_f32_e32 v9, v9, v11
	v_mul_f32_e32 v11, v141, v145
	s_set_vgpr_msb 4                        ;  msbs: dst=0 src0=0 src1=1 src2=0
	v_pk_fma_f32 v[136:137], v[116:117], v[12:13] /*v[268:269]*/, v[134:135] neg_lo:[0,0,1] neg_hi:[0,0,1]
	v_pk_fma_f32 v[116:117], v[116:117], v[12:13] /*v[268:269]*/, v[134:135] op_sel_hi:[1,0,1]
	s_set_vgpr_msb 1                        ;  msbs: dst=0 src0=1 src1=0 src2=0
	v_mov_b32_e32 v134, v15 /*v271*/
	s_set_vgpr_msb 0                        ;  msbs: dst=0 src0=0 src1=0 src2=0
	s_delay_alu instid0(VALU_DEP_2) | instskip(NEXT) | instid1(VALU_DEP_1)
	v_dual_fma_f32 v11, v140, v144, -v11 :: v_dual_mov_b32 v137, v117
	v_add_f32_e32 v9, v9, v11
	v_mul_f32_e32 v11, v143, v147
	s_delay_alu instid0(VALU_DEP_1) | instskip(NEXT) | instid1(VALU_DEP_1)
	v_fma_f32 v11, v142, v146, -v11
	v_add_f32_e32 v9, v9, v11
	v_mul_f32_e32 v11, v149, v153
	s_delay_alu instid0(VALU_DEP_1) | instskip(NEXT) | instid1(VALU_DEP_1)
	v_fma_f32 v11, v148, v152, -v11
	v_add_f32_e32 v9, v9, v11
	v_mul_f32_e32 v11, v151, v155
	s_delay_alu instid0(VALU_DEP_1) | instskip(NEXT) | instid1(VALU_DEP_1)
	v_fma_f32 v11, v150, v154, -v11
	v_add_f32_e32 v9, v9, v11
	v_mul_f32_e32 v11, v157, v161
	s_delay_alu instid0(VALU_DEP_1) | instskip(NEXT) | instid1(VALU_DEP_1)
	v_fma_f32 v11, v156, v160, -v11
	v_add_f32_e32 v9, v9, v11
	v_mul_f32_e32 v11, v159, v163
	s_delay_alu instid0(VALU_DEP_1) | instskip(NEXT) | instid1(VALU_DEP_1)
	v_fma_f32 v11, v158, v162, -v11
	v_add_f32_e32 v9, v9, v11
	v_mul_f32_e32 v11, v165, v169
	s_delay_alu instid0(VALU_DEP_1) | instskip(NEXT) | instid1(VALU_DEP_1)
	v_fma_f32 v11, v164, v168, -v11
	v_add_f32_e32 v9, v9, v11
	v_mul_f32_e32 v11, v167, v171
	s_delay_alu instid0(VALU_DEP_1) | instskip(NEXT) | instid1(VALU_DEP_1)
	v_fma_f32 v11, v166, v170, -v11
	v_add_f32_e32 v9, v9, v11
	v_mul_f32_e32 v11, v173, v177
	s_delay_alu instid0(VALU_DEP_1) | instskip(NEXT) | instid1(VALU_DEP_1)
	v_fma_f32 v11, v172, v176, -v11
	v_add_f32_e32 v9, v9, v11
	v_mul_f32_e32 v11, v175, v179
	s_delay_alu instid0(VALU_DEP_1) | instskip(NEXT) | instid1(VALU_DEP_1)
	v_fma_f32 v11, v174, v178, -v11
	v_add_f32_e32 v9, v9, v11
	v_mul_f32_e32 v11, v181, v185
	s_delay_alu instid0(VALU_DEP_1) | instskip(NEXT) | instid1(VALU_DEP_1)
	v_fma_f32 v11, v180, v184, -v11
	v_add_f32_e32 v9, v9, v11
	v_mul_f32_e32 v11, v183, v187
	s_delay_alu instid0(VALU_DEP_1) | instskip(NEXT) | instid1(VALU_DEP_1)
	v_fma_f32 v11, v182, v186, -v11
	v_add_f32_e32 v9, v9, v11
	v_mul_f32_e32 v11, v189, v193
	s_delay_alu instid0(VALU_DEP_1) | instskip(NEXT) | instid1(VALU_DEP_1)
	v_fma_f32 v11, v188, v192, -v11
	v_add_f32_e32 v9, v9, v11
	v_mul_f32_e32 v11, v191, v195
	s_delay_alu instid0(VALU_DEP_1) | instskip(NEXT) | instid1(VALU_DEP_1)
	v_fma_f32 v11, v190, v194, -v11
	v_add_f32_e32 v9, v9, v11
	v_mul_f32_e32 v11, v197, v201
	s_delay_alu instid0(VALU_DEP_1) | instskip(NEXT) | instid1(VALU_DEP_1)
	v_fma_f32 v11, v196, v200, -v11
	v_add_f32_e32 v9, v9, v11
	v_mul_f32_e32 v11, v199, v203
	s_delay_alu instid0(VALU_DEP_1) | instskip(NEXT) | instid1(VALU_DEP_1)
	v_fma_f32 v11, v198, v202, -v11
	v_add_f32_e32 v9, v9, v11
	v_mul_f32_e32 v11, v205, v209
	s_delay_alu instid0(VALU_DEP_1) | instskip(NEXT) | instid1(VALU_DEP_1)
	v_fma_f32 v11, v204, v208, -v11
	v_add_f32_e32 v9, v9, v11
	v_mul_f32_e32 v11, v207, v211
	s_delay_alu instid0(VALU_DEP_1) | instskip(NEXT) | instid1(VALU_DEP_1)
	v_fma_f32 v11, v206, v210, -v11
	v_add_f32_e32 v9, v9, v11
	v_mul_f32_e32 v11, v213, v217
	s_delay_alu instid0(VALU_DEP_1) | instskip(NEXT) | instid1(VALU_DEP_1)
	v_fma_f32 v11, v212, v216, -v11
	v_add_f32_e32 v9, v9, v11
	v_mul_f32_e32 v11, v215, v219
	s_delay_alu instid0(VALU_DEP_1) | instskip(NEXT) | instid1(VALU_DEP_1)
	v_fma_f32 v11, v214, v218, -v11
	v_add_f32_e32 v9, v9, v11
	v_mul_f32_e32 v11, v221, v225
	s_delay_alu instid0(VALU_DEP_1) | instskip(NEXT) | instid1(VALU_DEP_1)
	v_fma_f32 v11, v220, v224, -v11
	v_add_f32_e32 v9, v9, v11
	v_mul_f32_e32 v11, v223, v227
	s_delay_alu instid0(VALU_DEP_1) | instskip(NEXT) | instid1(VALU_DEP_1)
	v_fma_f32 v11, v222, v226, -v11
	v_add_f32_e32 v9, v9, v11
	v_mul_f32_e32 v11, v229, v233
	s_delay_alu instid0(VALU_DEP_1) | instskip(NEXT) | instid1(VALU_DEP_1)
	v_fma_f32 v11, v228, v232, -v11
	v_add_f32_e32 v9, v9, v11
	v_mul_f32_e32 v11, v231, v235
	s_delay_alu instid0(VALU_DEP_1) | instskip(NEXT) | instid1(VALU_DEP_1)
	v_fma_f32 v11, v230, v234, -v11
	v_add_f32_e32 v9, v9, v11
	v_mul_f32_e32 v11, v237, v241
	s_delay_alu instid0(VALU_DEP_1) | instskip(NEXT) | instid1(VALU_DEP_1)
	v_fma_f32 v11, v236, v240, -v11
	v_add_f32_e32 v9, v9, v11
	v_mul_f32_e32 v11, v239, v243
	s_delay_alu instid0(VALU_DEP_1) | instskip(NEXT) | instid1(VALU_DEP_1)
	v_fma_f32 v11, v238, v242, -v11
	v_add_f32_e32 v9, v9, v11
	v_mul_f32_e32 v11, v245, v249
	s_delay_alu instid0(VALU_DEP_1) | instskip(NEXT) | instid1(VALU_DEP_1)
	v_fma_f32 v11, v244, v248, -v11
	v_add_f32_e32 v9, v9, v11
	v_mul_f32_e32 v11, v247, v251
	s_delay_alu instid0(VALU_DEP_1) | instskip(NEXT) | instid1(VALU_DEP_1)
	v_fma_f32 v11, v246, v250, -v11
	v_add_f32_e32 v9, v9, v11
	s_set_vgpr_msb 4                        ;  msbs: dst=0 src0=0 src1=1 src2=0
	v_mul_f32_e32 v11, v253, v1 /*v257*/
	s_delay_alu instid0(VALU_DEP_1) | instskip(SKIP_1) | instid1(VALU_DEP_1)
	v_fma_f32 v11, v252, v0 /*v256*/, -v11
	s_set_vgpr_msb 0                        ;  msbs: dst=0 src0=0 src1=0 src2=0
	v_add_f32_e32 v9, v9, v11
	s_set_vgpr_msb 4                        ;  msbs: dst=0 src0=0 src1=1 src2=0
	v_mul_f32_e32 v11, v255, v3 /*v259*/
	s_delay_alu instid0(VALU_DEP_1) | instskip(SKIP_1) | instid1(VALU_DEP_1)
	v_fma_f32 v11, v254, v2 /*v258*/, -v11
	s_set_vgpr_msb 64                       ;  msbs: dst=1 src0=0 src1=0 src2=0
	v_add_f32_e32 v28 /*v284*/, v9, v11
	s_set_vgpr_msb 5                        ;  msbs: dst=0 src0=1 src1=1 src2=0
	v_mul_f32_e32 v9, v5 /*v261*/, v9 /*v265*/
	s_set_vgpr_msb 0x45                     ;  msbs: dst=1 src0=1 src1=1 src2=0
	s_delay_alu instid0(VALU_DEP_1) | instskip(SKIP_3) | instid1(VALU_DEP_1)
	v_fma_f32 v30 /*v286*/, v4 /*v260*/, v8 /*v264*/, -v9
	s_set_vgpr_msb 5                        ;  msbs: dst=0 src0=1 src1=1 src2=0
	v_mul_f32_e32 v9, v7 /*v263*/, v11 /*v267*/
	s_set_vgpr_msb 0x45                     ;  msbs: dst=1 src0=1 src1=1 src2=0
	v_fma_f32 v32 /*v288*/, v6 /*v262*/, v10 /*v266*/, -v9
	s_set_vgpr_msb 5                        ;  msbs: dst=0 src0=1 src1=1 src2=0
	v_pk_add_f32 v[132:133], v[28:29] /*v[284:285]*/, v[30:31] /*v[286:287]*/
	s_set_vgpr_msb 4                        ;  msbs: dst=0 src0=0 src1=1 src2=0
	s_delay_alu instid0(VALU_DEP_1) | instskip(SKIP_1) | instid1(VALU_DEP_1)
	v_pk_add_f32 v[132:133], v[132:133], v[32:33] /*v[288:289]*/
	s_set_vgpr_msb 0                        ;  msbs: dst=0 src0=0 src1=0 src2=0
	v_pk_add_f32 v[116:117], v[132:133], v[136:137]
	v_dual_mov_b32 v132, v119 :: v_dual_mov_b32 v133, v118
	s_delay_alu instid0(VALU_DEP_1) | instskip(SKIP_1) | instid1(VALU_DEP_1)
	v_pk_mul_f32 v[132:133], v[132:133], v[134:135] op_sel_hi:[1,0]
	s_set_vgpr_msb 4                        ;  msbs: dst=0 src0=0 src1=1 src2=0
	v_pk_fma_f32 v[134:135], v[118:119], v[14:15] /*v[270:271]*/, v[132:133] neg_lo:[0,0,1] neg_hi:[0,0,1]
	v_pk_fma_f32 v[118:119], v[118:119], v[14:15] /*v[270:271]*/, v[132:133] op_sel_hi:[1,0,1]
	s_delay_alu instid0(VALU_DEP_1) | instskip(SKIP_3) | instid1(VALU_DEP_2)
	v_mov_b32_e32 v135, v119
	s_wait_loadcnt_dscnt 0x202
	v_pk_mul_f32 v[118:119], v[120:121], v[16:17] /*v[272:273]*/ op_sel:[1,1] op_sel_hi:[0,1]
	s_set_vgpr_msb 0                        ;  msbs: dst=0 src0=0 src1=0 src2=0
	v_pk_add_f32 v[116:117], v[116:117], v[134:135]
	s_set_vgpr_msb 4                        ;  msbs: dst=0 src0=0 src1=1 src2=0
	s_delay_alu instid0(VALU_DEP_2)
	v_pk_fma_f32 v[132:133], v[120:121], v[16:17] /*v[272:273]*/, v[118:119] neg_lo:[0,0,1] neg_hi:[0,0,1]
	v_pk_fma_f32 v[118:119], v[120:121], v[16:17] /*v[272:273]*/, v[118:119] op_sel_hi:[1,0,1]
	v_mov_b32_e32 v118, v123
	s_set_vgpr_msb 1                        ;  msbs: dst=0 src0=1 src1=0 src2=0
	v_mov_b32_e32 v120, v19 /*v275*/
	s_set_vgpr_msb 0                        ;  msbs: dst=0 src0=0 src1=0 src2=0
	v_dual_mov_b32 v133, v119 :: v_dual_mov_b32 v119, v122
	s_delay_alu instid0(VALU_DEP_1) | instskip(NEXT) | instid1(VALU_DEP_2)
	v_pk_add_f32 v[116:117], v[116:117], v[132:133]
	v_pk_mul_f32 v[118:119], v[118:119], v[120:121] op_sel_hi:[1,0]
	s_set_vgpr_msb 4                        ;  msbs: dst=0 src0=0 src1=1 src2=0
	s_delay_alu instid0(VALU_DEP_1) | instskip(SKIP_1) | instid1(VALU_DEP_1)
	v_pk_fma_f32 v[120:121], v[122:123], v[18:19] /*v[274:275]*/, v[118:119] neg_lo:[0,0,1] neg_hi:[0,0,1]
	v_pk_fma_f32 v[118:119], v[122:123], v[18:19] /*v[274:275]*/, v[118:119] op_sel_hi:[1,0,1]
	v_mov_b32_e32 v121, v119
	s_wait_loadcnt_dscnt 0x101
	v_pk_mul_f32 v[118:119], v[124:125], v[20:21] /*v[276:277]*/ op_sel:[1,1] op_sel_hi:[0,1]
	s_set_vgpr_msb 0                        ;  msbs: dst=0 src0=0 src1=0 src2=0
	s_delay_alu instid0(VALU_DEP_2) | instskip(SKIP_1) | instid1(VALU_DEP_2)
	v_pk_add_f32 v[116:117], v[116:117], v[120:121]
	s_set_vgpr_msb 4                        ;  msbs: dst=0 src0=0 src1=1 src2=0
	v_pk_fma_f32 v[120:121], v[124:125], v[20:21] /*v[276:277]*/, v[118:119] neg_lo:[0,0,1] neg_hi:[0,0,1]
	v_pk_fma_f32 v[118:119], v[124:125], v[20:21] /*v[276:277]*/, v[118:119] op_sel_hi:[1,0,1]
	s_delay_alu instid0(VALU_DEP_1) | instskip(SKIP_2) | instid1(VALU_DEP_2)
	v_dual_mov_b32 v118, v127 :: v_dual_mov_b32 v121, v119
	v_mov_b32_e32 v119, v126
	s_set_vgpr_msb 0                        ;  msbs: dst=0 src0=0 src1=0 src2=0
	v_pk_add_f32 v[116:117], v[116:117], v[120:121]
	s_set_vgpr_msb 1                        ;  msbs: dst=0 src0=1 src1=0 src2=0
	v_mov_b32_e32 v120, v23 /*v279*/
	s_set_vgpr_msb 0                        ;  msbs: dst=0 src0=0 src1=0 src2=0
	s_delay_alu instid0(VALU_DEP_1) | instskip(SKIP_1) | instid1(VALU_DEP_1)
	v_pk_mul_f32 v[118:119], v[118:119], v[120:121] op_sel_hi:[1,0]
	s_set_vgpr_msb 4                        ;  msbs: dst=0 src0=0 src1=1 src2=0
	v_pk_fma_f32 v[120:121], v[126:127], v[22:23] /*v[278:279]*/, v[118:119] neg_lo:[0,0,1] neg_hi:[0,0,1]
	v_pk_fma_f32 v[118:119], v[126:127], v[22:23] /*v[278:279]*/, v[118:119] op_sel_hi:[1,0,1]
	s_delay_alu instid0(VALU_DEP_1) | instskip(SKIP_3) | instid1(VALU_DEP_2)
	v_mov_b32_e32 v121, v119
	s_wait_loadcnt_dscnt 0x0
	v_pk_mul_f32 v[118:119], v[128:129], v[24:25] /*v[280:281]*/ op_sel:[1,1] op_sel_hi:[0,1]
	s_set_vgpr_msb 0                        ;  msbs: dst=0 src0=0 src1=0 src2=0
	v_pk_add_f32 v[116:117], v[116:117], v[120:121]
	s_set_vgpr_msb 4                        ;  msbs: dst=0 src0=0 src1=1 src2=0
	s_delay_alu instid0(VALU_DEP_2) | instskip(SKIP_1) | instid1(VALU_DEP_1)
	v_pk_fma_f32 v[120:121], v[128:129], v[24:25] /*v[280:281]*/, v[118:119] neg_lo:[0,0,1] neg_hi:[0,0,1]
	v_pk_fma_f32 v[118:119], v[128:129], v[24:25] /*v[280:281]*/, v[118:119] op_sel_hi:[1,0,1]
	v_dual_mov_b32 v118, v131 :: v_dual_mov_b32 v121, v119
	v_mov_b32_e32 v119, v130
	s_set_vgpr_msb 0                        ;  msbs: dst=0 src0=0 src1=0 src2=0
	s_delay_alu instid0(VALU_DEP_2) | instskip(SKIP_3) | instid1(VALU_DEP_1)
	v_pk_add_f32 v[116:117], v[116:117], v[120:121]
	s_set_vgpr_msb 1                        ;  msbs: dst=0 src0=1 src1=0 src2=0
	v_mov_b32_e32 v120, v27 /*v283*/
	s_set_vgpr_msb 0                        ;  msbs: dst=0 src0=0 src1=0 src2=0
	v_pk_mul_f32 v[118:119], v[118:119], v[120:121] op_sel_hi:[1,0]
	s_set_vgpr_msb 4                        ;  msbs: dst=0 src0=0 src1=1 src2=0
	s_delay_alu instid0(VALU_DEP_1) | instskip(SKIP_1) | instid1(VALU_DEP_1)
	v_pk_fma_f32 v[120:121], v[130:131], v[26:27] /*v[282:283]*/, v[118:119] neg_lo:[0,0,1] neg_hi:[0,0,1]
	v_pk_fma_f32 v[118:119], v[130:131], v[26:27] /*v[282:283]*/, v[118:119] op_sel_hi:[1,0,1]
	v_mov_b32_e32 v121, v119
	scratch_load_b64 v[118:119], off, off offset:80
	s_set_vgpr_msb 0                        ;  msbs: dst=0 src0=0 src1=0 src2=0
	v_pk_add_f32 v[116:117], v[116:117], v[120:121]
	s_wait_loadcnt 0x0
	s_delay_alu instid0(VALU_DEP_1)
	v_pk_add_f32 v[116:117], v[118:119], v[116:117] neg_lo:[0,1] neg_hi:[0,1]
	scratch_store_b64 off, v[116:117], off offset:80
	s_wait_xcnt 0x0
	v_cmpx_lt_u32_e32 9, v0
	s_cbranch_execz .LBB120_337
; %bb.336:
	scratch_load_b64 v[116:117], off, off offset:72
	v_mov_b64_e32 v[118:119], 0
	scratch_store_b64 off, v[118:119], off offset:72
	s_wait_loadcnt 0x0
	ds_store_b64 v1, v[116:117]
.LBB120_337:
	s_wait_xcnt 0x0
	s_or_b32 exec_lo, exec_lo, s0
	v_mov_b32_e32 v7, 0
	s_wait_storecnt_dscnt 0x0
	s_barrier_signal -1
	s_barrier_wait -1
	ds_load_b128 v[116:119], v7 offset:544
	ds_load_b128 v[120:123], v7 offset:560
	;; [unrolled: 1-line block ×4, first 2 shown]
	s_clause 0x14
	scratch_load_b128 v[132:135], off, off offset:80
	scratch_load_b128 v[136:139], off, off offset:96
	;; [unrolled: 1-line block ×17, first 2 shown]
	s_set_vgpr_msb 64                       ;  msbs: dst=1 src0=0 src1=0 src2=0
	scratch_load_b128 v[0:3] /*v[256:259]*/, off, off offset:352
	scratch_load_b128 v[8:11] /*v[264:267]*/, off, off offset:368
	;; [unrolled: 1-line block ×3, first 2 shown]
	s_mov_b32 s0, exec_lo
	s_wait_loadcnt_dscnt 0x1303
	s_set_vgpr_msb 0                        ;  msbs: dst=0 src0=0 src1=0 src2=0
	v_mul_f32_e32 v9, v116, v133
	ds_load_b128 v[148:151], v7 offset:608
	ds_load_b128 v[156:159], v7 offset:624
	;; [unrolled: 1-line block ×4, first 2 shown]
	v_dual_fmac_f32 v9, v117, v132 :: v_dual_mul_f32 v11, v118, v135
	ds_load_b128 v[180:183], v7 offset:672
	ds_load_b128 v[188:191], v7 offset:688
	;; [unrolled: 1-line block ×4, first 2 shown]
	v_dual_add_f32 v9, 0, v9 :: v_dual_fmac_f32 v11, v119, v134
	ds_load_b128 v[212:215], v7 offset:736
	ds_load_b128 v[220:223], v7 offset:752
	;; [unrolled: 1-line block ×4, first 2 shown]
	s_wait_loadcnt_dscnt 0x120e
	v_dual_add_f32 v9, v9, v11 :: v_dual_mul_f32 v11, v120, v137
	ds_load_b128 v[244:247], v7 offset:800
	ds_load_b128 v[252:255], v7 offset:816
	s_set_vgpr_msb 64                       ;  msbs: dst=1 src0=0 src1=0 src2=0
	ds_load_b128 v[4:7] /*v[260:263]*/, v7 offset:832
	ds_load_b128 v[12:15] /*v[268:271]*/, v7 offset:848
	s_set_vgpr_msb 0                        ;  msbs: dst=0 src0=0 src1=0 src2=0
	v_fmac_f32_e32 v11, v121, v136
	s_set_vgpr_msb 64                       ;  msbs: dst=1 src0=0 src1=0 src2=0
	s_clause 0x3
	scratch_load_b128 v[20:23] /*v[276:279]*/, off, off offset:400
	scratch_load_b128 v[24:27] /*v[280:283]*/, off, off offset:416
	;; [unrolled: 1-line block ×3, first 2 shown]
	scratch_load_b64 v[38:39] /*v[294:295]*/, off, off offset:448
	s_set_vgpr_msb 0                        ;  msbs: dst=0 src0=0 src1=0 src2=0
	v_add_f32_e32 v9, v9, v11
	v_mul_f32_e32 v11, v122, v139
	s_delay_alu instid0(VALU_DEP_1) | instskip(SKIP_1) | instid1(VALU_DEP_1)
	v_fmac_f32_e32 v11, v123, v138
	s_wait_loadcnt_dscnt 0x1511
	v_dual_add_f32 v9, v9, v11 :: v_dual_mul_f32 v11, v124, v141
	s_wait_loadcnt_dscnt 0x400
	s_set_vgpr_msb 0x45                     ;  msbs: dst=1 src0=1 src1=1 src2=0
	v_dual_mul_f32 v35 /*v291*/, v6 /*v262*/, v11 /*v267*/ :: v_dual_mul_f32 v37 /*v293*/, v12 /*v268*/, v17 /*v273*/
	s_set_vgpr_msb 0                        ;  msbs: dst=0 src0=0 src1=0 src2=0
	v_fmac_f32_e32 v11, v125, v140
	s_set_vgpr_msb 0x45                     ;  msbs: dst=1 src0=1 src1=1 src2=0
	s_delay_alu instid0(VALU_DEP_2) | instskip(SKIP_1) | instid1(VALU_DEP_2)
	v_dual_fmac_f32 v35 /*v291*/, v7 /*v263*/, v10 /*v266*/ :: v_dual_fmac_f32 v37 /*v293*/, v13 /*v269*/, v16 /*v272*/
	s_set_vgpr_msb 0                        ;  msbs: dst=0 src0=0 src1=0 src2=0
	v_add_f32_e32 v9, v9, v11
	v_mul_f32_e32 v11, v126, v143
	s_delay_alu instid0(VALU_DEP_1) | instskip(NEXT) | instid1(VALU_DEP_1)
	v_fmac_f32_e32 v11, v127, v142
	v_dual_add_f32 v9, v9, v11 :: v_dual_mul_f32 v11, v128, v145
	s_delay_alu instid0(VALU_DEP_1) | instskip(NEXT) | instid1(VALU_DEP_1)
	v_fmac_f32_e32 v11, v129, v144
	v_add_f32_e32 v9, v9, v11
	v_mul_f32_e32 v11, v130, v147
	s_delay_alu instid0(VALU_DEP_1) | instskip(NEXT) | instid1(VALU_DEP_1)
	v_fmac_f32_e32 v11, v131, v146
	v_dual_add_f32 v9, v9, v11 :: v_dual_mul_f32 v11, v148, v153
	s_delay_alu instid0(VALU_DEP_1) | instskip(NEXT) | instid1(VALU_DEP_1)
	v_fmac_f32_e32 v11, v149, v152
	;; [unrolled: 7-line block ×14, first 2 shown]
	v_add_f32_e32 v9, v9, v11
	v_mul_f32_e32 v11, v246, v251
	s_delay_alu instid0(VALU_DEP_1) | instskip(NEXT) | instid1(VALU_DEP_1)
	v_fmac_f32_e32 v11, v247, v250
	v_add_f32_e32 v9, v9, v11
	s_set_vgpr_msb 4                        ;  msbs: dst=0 src0=0 src1=1 src2=0
	v_mul_f32_e32 v11, v252, v1 /*v257*/
	s_delay_alu instid0(VALU_DEP_1) | instskip(SKIP_1) | instid1(VALU_DEP_1)
	v_fmac_f32_e32 v11, v253, v0 /*v256*/
	s_set_vgpr_msb 0                        ;  msbs: dst=0 src0=0 src1=0 src2=0
	v_add_f32_e32 v9, v9, v11
	s_set_vgpr_msb 4                        ;  msbs: dst=0 src0=0 src1=1 src2=0
	v_mul_f32_e32 v11, v254, v3 /*v259*/
	s_delay_alu instid0(VALU_DEP_1) | instskip(SKIP_1) | instid1(VALU_DEP_1)
	v_fmac_f32_e32 v11, v255, v2 /*v258*/
	s_set_vgpr_msb 0                        ;  msbs: dst=0 src0=0 src1=0 src2=0
	v_add_f32_e32 v9, v9, v11
	s_set_vgpr_msb 5                        ;  msbs: dst=0 src0=1 src1=1 src2=0
	v_mul_f32_e32 v11, v4 /*v260*/, v9 /*v265*/
	s_delay_alu instid0(VALU_DEP_1) | instskip(SKIP_1) | instid1(VALU_DEP_1)
	v_fmac_f32_e32 v11, v5 /*v261*/, v8 /*v264*/
	s_set_vgpr_msb 64                       ;  msbs: dst=1 src0=0 src1=0 src2=0
	v_add_f32_e32 v33 /*v289*/, v9, v11
	s_set_vgpr_msb 0                        ;  msbs: dst=0 src0=0 src1=0 src2=0
	v_dual_mul_f32 v9, v117, v133 :: v_dual_mul_f32 v11, v119, v135
	s_set_vgpr_msb 1                        ;  msbs: dst=0 src0=1 src1=0 src2=0
	v_mov_b32_e32 v133, v14 /*v270*/
	s_set_vgpr_msb 0                        ;  msbs: dst=0 src0=0 src1=0 src2=0
	s_delay_alu instid0(VALU_DEP_2) | instskip(SKIP_2) | instid1(VALU_DEP_2)
	v_dual_fma_f32 v9, v116, v132, -v9 :: v_dual_fma_f32 v11, v118, v134, -v11
	s_set_vgpr_msb 1                        ;  msbs: dst=0 src0=1 src1=0 src2=0
	v_dual_mov_b32 v132, v15 /*v271*/ :: v_dual_mov_b32 v134, v19 /*v275*/
	v_add_f32_e32 v9, 0, v9
	s_set_vgpr_msb 0                        ;  msbs: dst=0 src0=0 src1=0 src2=0
	s_delay_alu instid0(VALU_DEP_2) | instskip(NEXT) | instid1(VALU_DEP_2)
	v_pk_mul_f32 v[132:133], v[132:133], v[134:135] op_sel_hi:[1,0]
	v_add_f32_e32 v9, v9, v11
	v_mul_f32_e32 v11, v121, v137
	s_set_vgpr_msb 5                        ;  msbs: dst=0 src0=1 src1=1 src2=0
	s_delay_alu instid0(VALU_DEP_3) | instskip(SKIP_2) | instid1(VALU_DEP_1)
	v_pk_fma_f32 v[134:135], v[14:15] /*v[270:271]*/, v[18:19] /*v[274:275]*/, v[132:133] neg_lo:[0,0,1] neg_hi:[0,0,1]
	v_pk_fma_f32 v[132:133], v[14:15] /*v[270:271]*/, v[18:19] /*v[274:275]*/, v[132:133] op_sel_hi:[1,0,1]
	s_set_vgpr_msb 0                        ;  msbs: dst=0 src0=0 src1=0 src2=0
	v_dual_fma_f32 v11, v120, v136, -v11 :: v_dual_mov_b32 v135, v133
	s_delay_alu instid0(VALU_DEP_1) | instskip(SKIP_1) | instid1(VALU_DEP_1)
	v_add_f32_e32 v9, v9, v11
	v_mul_f32_e32 v11, v123, v139
	v_fma_f32 v11, v122, v138, -v11
	s_delay_alu instid0(VALU_DEP_1) | instskip(SKIP_1) | instid1(VALU_DEP_1)
	v_add_f32_e32 v9, v9, v11
	v_mul_f32_e32 v11, v125, v141
	v_fma_f32 v11, v124, v140, -v11
	;; [unrolled: 4-line block ×4, first 2 shown]
	ds_load_b128 v[116:119], v7 offset:864
	ds_load_b128 v[120:123], v7 offset:880
	ds_load_b128 v[124:127], v7 offset:896
	ds_load_b64 v[128:129], v7 offset:912
	v_add_f32_e32 v9, v9, v11
	v_mul_f32_e32 v11, v131, v147
	s_delay_alu instid0(VALU_DEP_1) | instskip(NEXT) | instid1(VALU_DEP_1)
	v_fma_f32 v11, v130, v146, -v11
	v_add_f32_e32 v9, v9, v11
	v_mul_f32_e32 v11, v149, v153
	s_wait_loadcnt_dscnt 0x303
	s_set_vgpr_msb 4                        ;  msbs: dst=0 src0=0 src1=1 src2=0
	v_pk_mul_f32 v[132:133], v[116:117], v[20:21] /*v[276:277]*/ op_sel:[1,1] op_sel_hi:[0,1]
	s_set_vgpr_msb 0                        ;  msbs: dst=0 src0=0 src1=0 src2=0
	v_fma_f32 v11, v148, v152, -v11
	s_delay_alu instid0(VALU_DEP_1) | instskip(SKIP_1) | instid1(VALU_DEP_1)
	v_add_f32_e32 v9, v9, v11
	v_mul_f32_e32 v11, v151, v155
	v_fma_f32 v11, v150, v154, -v11
	s_delay_alu instid0(VALU_DEP_1) | instskip(SKIP_1) | instid1(VALU_DEP_1)
	v_add_f32_e32 v9, v9, v11
	v_mul_f32_e32 v11, v157, v161
	v_fma_f32 v11, v156, v160, -v11
	s_delay_alu instid0(VALU_DEP_1) | instskip(SKIP_1) | instid1(VALU_DEP_1)
	v_add_f32_e32 v9, v9, v11
	v_mul_f32_e32 v11, v159, v163
	v_fma_f32 v11, v158, v162, -v11
	s_delay_alu instid0(VALU_DEP_1) | instskip(SKIP_1) | instid1(VALU_DEP_1)
	v_add_f32_e32 v9, v9, v11
	v_mul_f32_e32 v11, v165, v169
	v_fma_f32 v11, v164, v168, -v11
	s_delay_alu instid0(VALU_DEP_1) | instskip(SKIP_1) | instid1(VALU_DEP_1)
	v_add_f32_e32 v9, v9, v11
	v_mul_f32_e32 v11, v167, v171
	v_fma_f32 v11, v166, v170, -v11
	s_delay_alu instid0(VALU_DEP_1) | instskip(SKIP_1) | instid1(VALU_DEP_1)
	v_add_f32_e32 v9, v9, v11
	v_mul_f32_e32 v11, v173, v177
	v_fma_f32 v11, v172, v176, -v11
	s_delay_alu instid0(VALU_DEP_1) | instskip(SKIP_1) | instid1(VALU_DEP_1)
	v_add_f32_e32 v9, v9, v11
	v_mul_f32_e32 v11, v175, v179
	v_fma_f32 v11, v174, v178, -v11
	s_delay_alu instid0(VALU_DEP_1) | instskip(SKIP_1) | instid1(VALU_DEP_1)
	v_add_f32_e32 v9, v9, v11
	v_mul_f32_e32 v11, v181, v185
	v_fma_f32 v11, v180, v184, -v11
	s_delay_alu instid0(VALU_DEP_1) | instskip(SKIP_1) | instid1(VALU_DEP_1)
	v_add_f32_e32 v9, v9, v11
	v_mul_f32_e32 v11, v183, v187
	v_fma_f32 v11, v182, v186, -v11
	s_delay_alu instid0(VALU_DEP_1) | instskip(SKIP_1) | instid1(VALU_DEP_1)
	v_add_f32_e32 v9, v9, v11
	v_mul_f32_e32 v11, v189, v193
	v_fma_f32 v11, v188, v192, -v11
	s_delay_alu instid0(VALU_DEP_1) | instskip(SKIP_1) | instid1(VALU_DEP_1)
	v_add_f32_e32 v9, v9, v11
	v_mul_f32_e32 v11, v191, v195
	v_fma_f32 v11, v190, v194, -v11
	s_delay_alu instid0(VALU_DEP_1) | instskip(SKIP_1) | instid1(VALU_DEP_1)
	v_add_f32_e32 v9, v9, v11
	v_mul_f32_e32 v11, v197, v201
	v_fma_f32 v11, v196, v200, -v11
	s_delay_alu instid0(VALU_DEP_1) | instskip(SKIP_1) | instid1(VALU_DEP_1)
	v_add_f32_e32 v9, v9, v11
	v_mul_f32_e32 v11, v199, v203
	v_fma_f32 v11, v198, v202, -v11
	s_delay_alu instid0(VALU_DEP_1) | instskip(SKIP_1) | instid1(VALU_DEP_1)
	v_add_f32_e32 v9, v9, v11
	v_mul_f32_e32 v11, v205, v209
	v_fma_f32 v11, v204, v208, -v11
	s_delay_alu instid0(VALU_DEP_1) | instskip(SKIP_1) | instid1(VALU_DEP_1)
	v_add_f32_e32 v9, v9, v11
	v_mul_f32_e32 v11, v207, v211
	v_fma_f32 v11, v206, v210, -v11
	s_delay_alu instid0(VALU_DEP_1) | instskip(SKIP_1) | instid1(VALU_DEP_1)
	v_add_f32_e32 v9, v9, v11
	v_mul_f32_e32 v11, v213, v217
	v_fma_f32 v11, v212, v216, -v11
	s_delay_alu instid0(VALU_DEP_1) | instskip(SKIP_1) | instid1(VALU_DEP_1)
	v_add_f32_e32 v9, v9, v11
	v_mul_f32_e32 v11, v215, v219
	v_fma_f32 v11, v214, v218, -v11
	s_delay_alu instid0(VALU_DEP_1) | instskip(SKIP_1) | instid1(VALU_DEP_1)
	v_add_f32_e32 v9, v9, v11
	v_mul_f32_e32 v11, v221, v225
	v_fma_f32 v11, v220, v224, -v11
	s_delay_alu instid0(VALU_DEP_1) | instskip(SKIP_1) | instid1(VALU_DEP_1)
	v_add_f32_e32 v9, v9, v11
	v_mul_f32_e32 v11, v223, v227
	v_fma_f32 v11, v222, v226, -v11
	s_delay_alu instid0(VALU_DEP_1) | instskip(SKIP_1) | instid1(VALU_DEP_1)
	v_add_f32_e32 v9, v9, v11
	v_mul_f32_e32 v11, v229, v233
	v_fma_f32 v11, v228, v232, -v11
	s_delay_alu instid0(VALU_DEP_1) | instskip(SKIP_1) | instid1(VALU_DEP_1)
	v_add_f32_e32 v9, v9, v11
	v_mul_f32_e32 v11, v231, v235
	v_fma_f32 v11, v230, v234, -v11
	s_delay_alu instid0(VALU_DEP_1) | instskip(SKIP_1) | instid1(VALU_DEP_1)
	v_add_f32_e32 v9, v9, v11
	v_mul_f32_e32 v11, v237, v241
	v_fma_f32 v11, v236, v240, -v11
	s_delay_alu instid0(VALU_DEP_1) | instskip(SKIP_1) | instid1(VALU_DEP_1)
	v_add_f32_e32 v9, v9, v11
	v_mul_f32_e32 v11, v239, v243
	v_fma_f32 v11, v238, v242, -v11
	s_delay_alu instid0(VALU_DEP_1) | instskip(SKIP_1) | instid1(VALU_DEP_1)
	v_add_f32_e32 v9, v9, v11
	v_mul_f32_e32 v11, v245, v249
	v_fma_f32 v11, v244, v248, -v11
	s_delay_alu instid0(VALU_DEP_1) | instskip(SKIP_1) | instid1(VALU_DEP_1)
	v_add_f32_e32 v9, v9, v11
	v_mul_f32_e32 v11, v247, v251
	v_fma_f32 v11, v246, v250, -v11
	s_delay_alu instid0(VALU_DEP_1) | instskip(SKIP_2) | instid1(VALU_DEP_1)
	v_add_f32_e32 v9, v9, v11
	s_set_vgpr_msb 4                        ;  msbs: dst=0 src0=0 src1=1 src2=0
	v_mul_f32_e32 v11, v253, v1 /*v257*/
	v_fma_f32 v11, v252, v0 /*v256*/, -v11
	s_set_vgpr_msb 0                        ;  msbs: dst=0 src0=0 src1=0 src2=0
	s_delay_alu instid0(VALU_DEP_1) | instskip(SKIP_2) | instid1(VALU_DEP_1)
	v_add_f32_e32 v9, v9, v11
	s_set_vgpr_msb 4                        ;  msbs: dst=0 src0=0 src1=1 src2=0
	v_mul_f32_e32 v11, v255, v3 /*v259*/
	v_fma_f32 v11, v254, v2 /*v258*/, -v11
	s_set_vgpr_msb 0                        ;  msbs: dst=0 src0=0 src1=0 src2=0
	s_delay_alu instid0(VALU_DEP_1) | instskip(SKIP_2) | instid1(VALU_DEP_1)
	v_add_f32_e32 v9, v9, v11
	s_set_vgpr_msb 5                        ;  msbs: dst=0 src0=1 src1=1 src2=0
	v_mul_f32_e32 v11, v5 /*v261*/, v9 /*v265*/
	v_fma_f32 v11, v4 /*v260*/, v8 /*v264*/, -v11
	s_set_vgpr_msb 64                       ;  msbs: dst=1 src0=0 src1=0 src2=0
	s_delay_alu instid0(VALU_DEP_1) | instskip(SKIP_3) | instid1(VALU_DEP_1)
	v_add_f32_e32 v32 /*v288*/, v9, v11
	s_set_vgpr_msb 5                        ;  msbs: dst=0 src0=1 src1=1 src2=0
	v_mul_f32_e32 v9, v7 /*v263*/, v11 /*v267*/
	s_set_vgpr_msb 0x45                     ;  msbs: dst=1 src0=1 src1=1 src2=0
	v_fma_f32 v34 /*v290*/, v6 /*v262*/, v10 /*v266*/, -v9
	s_set_vgpr_msb 5                        ;  msbs: dst=0 src0=1 src1=1 src2=0
	v_mul_f32_e32 v9, v13 /*v269*/, v17 /*v273*/
	s_set_vgpr_msb 0x45                     ;  msbs: dst=1 src0=1 src1=1 src2=0
	s_delay_alu instid0(VALU_DEP_1) | instskip(SKIP_3) | instid1(VALU_DEP_1)
	v_fma_f32 v36 /*v292*/, v12 /*v268*/, v16 /*v272*/, -v9
	s_set_vgpr_msb 5                        ;  msbs: dst=0 src0=1 src1=1 src2=0
	v_pk_add_f32 v[130:131], v[32:33] /*v[288:289]*/, v[34:35] /*v[290:291]*/
	s_set_vgpr_msb 4                        ;  msbs: dst=0 src0=0 src1=1 src2=0
	v_pk_add_f32 v[130:131], v[130:131], v[36:37] /*v[292:293]*/
	s_set_vgpr_msb 0                        ;  msbs: dst=0 src0=0 src1=0 src2=0
	s_delay_alu instid0(VALU_DEP_1)
	v_pk_add_f32 v[130:131], v[130:131], v[134:135]
	s_set_vgpr_msb 4                        ;  msbs: dst=0 src0=0 src1=1 src2=0
	v_pk_fma_f32 v[134:135], v[116:117], v[20:21] /*v[276:277]*/, v[132:133] neg_lo:[0,0,1] neg_hi:[0,0,1]
	v_pk_fma_f32 v[116:117], v[116:117], v[20:21] /*v[276:277]*/, v[132:133] op_sel_hi:[1,0,1]
	s_set_vgpr_msb 1                        ;  msbs: dst=0 src0=1 src1=0 src2=0
	v_mov_b32_e32 v132, v23 /*v279*/
	s_set_vgpr_msb 0                        ;  msbs: dst=0 src0=0 src1=0 src2=0
	s_delay_alu instid0(VALU_DEP_2) | instskip(NEXT) | instid1(VALU_DEP_1)
	v_mov_b32_e32 v135, v117
	v_pk_add_f32 v[116:117], v[130:131], v[134:135]
	v_dual_mov_b32 v130, v119 :: v_dual_mov_b32 v131, v118
	s_delay_alu instid0(VALU_DEP_1) | instskip(SKIP_1) | instid1(VALU_DEP_1)
	v_pk_mul_f32 v[130:131], v[130:131], v[132:133] op_sel_hi:[1,0]
	s_set_vgpr_msb 4                        ;  msbs: dst=0 src0=0 src1=1 src2=0
	v_pk_fma_f32 v[132:133], v[118:119], v[22:23] /*v[278:279]*/, v[130:131] neg_lo:[0,0,1] neg_hi:[0,0,1]
	v_pk_fma_f32 v[118:119], v[118:119], v[22:23] /*v[278:279]*/, v[130:131] op_sel_hi:[1,0,1]
	s_delay_alu instid0(VALU_DEP_1) | instskip(SKIP_3) | instid1(VALU_DEP_2)
	v_mov_b32_e32 v133, v119
	s_wait_loadcnt_dscnt 0x202
	v_pk_mul_f32 v[118:119], v[120:121], v[24:25] /*v[280:281]*/ op_sel:[1,1] op_sel_hi:[0,1]
	s_set_vgpr_msb 0                        ;  msbs: dst=0 src0=0 src1=0 src2=0
	v_pk_add_f32 v[116:117], v[116:117], v[132:133]
	s_set_vgpr_msb 4                        ;  msbs: dst=0 src0=0 src1=1 src2=0
	s_delay_alu instid0(VALU_DEP_2)
	v_pk_fma_f32 v[130:131], v[120:121], v[24:25] /*v[280:281]*/, v[118:119] neg_lo:[0,0,1] neg_hi:[0,0,1]
	v_pk_fma_f32 v[118:119], v[120:121], v[24:25] /*v[280:281]*/, v[118:119] op_sel_hi:[1,0,1]
	v_mov_b32_e32 v118, v123
	s_set_vgpr_msb 1                        ;  msbs: dst=0 src0=1 src1=0 src2=0
	v_mov_b32_e32 v120, v27 /*v283*/
	s_set_vgpr_msb 0                        ;  msbs: dst=0 src0=0 src1=0 src2=0
	v_dual_mov_b32 v131, v119 :: v_dual_mov_b32 v119, v122
	s_delay_alu instid0(VALU_DEP_1) | instskip(NEXT) | instid1(VALU_DEP_2)
	v_pk_add_f32 v[116:117], v[116:117], v[130:131]
	v_pk_mul_f32 v[118:119], v[118:119], v[120:121] op_sel_hi:[1,0]
	s_set_vgpr_msb 4                        ;  msbs: dst=0 src0=0 src1=1 src2=0
	s_delay_alu instid0(VALU_DEP_1) | instskip(SKIP_1) | instid1(VALU_DEP_1)
	v_pk_fma_f32 v[120:121], v[122:123], v[26:27] /*v[282:283]*/, v[118:119] neg_lo:[0,0,1] neg_hi:[0,0,1]
	v_pk_fma_f32 v[118:119], v[122:123], v[26:27] /*v[282:283]*/, v[118:119] op_sel_hi:[1,0,1]
	v_mov_b32_e32 v121, v119
	s_wait_loadcnt_dscnt 0x101
	v_pk_mul_f32 v[118:119], v[124:125], v[28:29] /*v[284:285]*/ op_sel:[1,1] op_sel_hi:[0,1]
	s_set_vgpr_msb 0                        ;  msbs: dst=0 src0=0 src1=0 src2=0
	s_delay_alu instid0(VALU_DEP_2) | instskip(SKIP_1) | instid1(VALU_DEP_2)
	v_pk_add_f32 v[116:117], v[116:117], v[120:121]
	s_set_vgpr_msb 4                        ;  msbs: dst=0 src0=0 src1=1 src2=0
	v_pk_fma_f32 v[120:121], v[124:125], v[28:29] /*v[284:285]*/, v[118:119] neg_lo:[0,0,1] neg_hi:[0,0,1]
	v_pk_fma_f32 v[118:119], v[124:125], v[28:29] /*v[284:285]*/, v[118:119] op_sel_hi:[1,0,1]
	s_delay_alu instid0(VALU_DEP_1) | instskip(SKIP_2) | instid1(VALU_DEP_2)
	v_dual_mov_b32 v118, v127 :: v_dual_mov_b32 v121, v119
	v_mov_b32_e32 v119, v126
	s_set_vgpr_msb 0                        ;  msbs: dst=0 src0=0 src1=0 src2=0
	v_pk_add_f32 v[116:117], v[116:117], v[120:121]
	s_set_vgpr_msb 1                        ;  msbs: dst=0 src0=1 src1=0 src2=0
	v_mov_b32_e32 v120, v31 /*v287*/
	s_set_vgpr_msb 0                        ;  msbs: dst=0 src0=0 src1=0 src2=0
	s_delay_alu instid0(VALU_DEP_1) | instskip(SKIP_1) | instid1(VALU_DEP_1)
	v_pk_mul_f32 v[118:119], v[118:119], v[120:121] op_sel_hi:[1,0]
	s_set_vgpr_msb 4                        ;  msbs: dst=0 src0=0 src1=1 src2=0
	v_pk_fma_f32 v[120:121], v[126:127], v[30:31] /*v[286:287]*/, v[118:119] neg_lo:[0,0,1] neg_hi:[0,0,1]
	v_pk_fma_f32 v[118:119], v[126:127], v[30:31] /*v[286:287]*/, v[118:119] op_sel_hi:[1,0,1]
	s_delay_alu instid0(VALU_DEP_1) | instskip(SKIP_3) | instid1(VALU_DEP_2)
	v_mov_b32_e32 v121, v119
	s_wait_loadcnt_dscnt 0x0
	v_pk_mul_f32 v[118:119], v[128:129], v[38:39] /*v[294:295]*/ op_sel:[1,1] op_sel_hi:[0,1]
	s_set_vgpr_msb 0                        ;  msbs: dst=0 src0=0 src1=0 src2=0
	v_pk_add_f32 v[116:117], v[116:117], v[120:121]
	s_set_vgpr_msb 4                        ;  msbs: dst=0 src0=0 src1=1 src2=0
	s_delay_alu instid0(VALU_DEP_2) | instskip(SKIP_1) | instid1(VALU_DEP_1)
	v_pk_fma_f32 v[120:121], v[128:129], v[38:39] /*v[294:295]*/, v[118:119] neg_lo:[0,0,1] neg_hi:[0,0,1]
	v_pk_fma_f32 v[118:119], v[128:129], v[38:39] /*v[294:295]*/, v[118:119] op_sel_hi:[1,0,1]
	v_mov_b32_e32 v121, v119
	scratch_load_b64 v[118:119], off, off offset:72
	s_set_vgpr_msb 0                        ;  msbs: dst=0 src0=0 src1=0 src2=0
	v_pk_add_f32 v[116:117], v[116:117], v[120:121]
	s_wait_loadcnt 0x0
	s_delay_alu instid0(VALU_DEP_1)
	v_pk_add_f32 v[116:117], v[118:119], v[116:117] neg_lo:[0,1] neg_hi:[0,1]
	scratch_store_b64 off, v[116:117], off offset:72
	s_wait_xcnt 0x0
	v_cmpx_lt_u32_e32 8, v0
	s_cbranch_execz .LBB120_339
; %bb.338:
	scratch_load_b64 v[116:117], off, off offset:64
	v_mov_b64_e32 v[118:119], 0
	scratch_store_b64 off, v[118:119], off offset:64
	s_wait_loadcnt 0x0
	ds_store_b64 v1, v[116:117]
.LBB120_339:
	s_wait_xcnt 0x0
	s_or_b32 exec_lo, exec_lo, s0
	s_wait_storecnt_dscnt 0x0
	s_barrier_signal -1
	s_barrier_wait -1
	s_clause 0x17
	scratch_load_b128 v[116:119], off, off offset:72
	scratch_load_b128 v[120:123], off, off offset:88
	;; [unrolled: 1-line block ×24, first 2 shown]
	ds_load_2addr_b64 v[212:215], v7 offset0:67 offset1:68
	ds_load_2addr_b64 v[216:219], v7 offset0:69 offset1:70
	ds_load_2addr_b64 v[220:223], v7 offset0:71 offset1:72
	ds_load_2addr_b64 v[224:227], v7 offset0:73 offset1:74
	ds_load_2addr_b64 v[228:231], v7 offset0:107 offset1:108
	ds_load_2addr_b64 v[232:235], v7 offset0:109 offset1:110
	s_set_vgpr_msb 64                       ;  msbs: dst=1 src0=0 src1=0 src2=0
	scratch_load_b64 v[52:53] /*v[308:309]*/, off, off offset:64
	s_set_vgpr_msb 0                        ;  msbs: dst=0 src0=0 src1=0 src2=0
	ds_load_2addr_b64 v[236:239], v7 offset0:75 offset1:76
	ds_load_2addr_b64 v[240:243], v7 offset0:77 offset1:78
	;; [unrolled: 1-line block ×5, first 2 shown]
	s_set_vgpr_msb 64                       ;  msbs: dst=1 src0=0 src1=0 src2=0
	ds_load_2addr_b64 v[0:3] /*v[256:259]*/, v7 offset0:81 offset1:82
	ds_load_2addr_b64 v[4:7] /*v[260:263]*/, v7 offset0:83 offset1:84
	;; [unrolled: 1-line block ×13, first 2 shown]
	s_mov_b32 s0, exec_lo
	s_wait_dscnt 0xf
	v_dual_mov_b32 v58 /*v314*/, v247 :: v_dual_mov_b32 v59 /*v315*/, v246
	s_wait_dscnt 0xe
	v_dual_mov_b32 v60 /*v316*/, v251 :: v_dual_mov_b32 v61 /*v317*/, v250
	v_dual_mov_b32 v54 /*v310*/, v231 :: v_dual_mov_b32 v55 /*v311*/, v230
	;; [unrolled: 1-line block ×3, first 2 shown]
	s_wait_loadcnt 0x18
	s_set_vgpr_msb 0                        ;  msbs: dst=0 src0=0 src1=0 src2=0
	v_dual_mul_f32 v7, v212, v117 :: v_dual_mul_f32 v9, v214, v119
	v_dual_mul_f32 v83, v213, v117 :: v_dual_mul_f32 v85, v215, v119
	s_wait_loadcnt 0x17
	v_dual_mul_f32 v11, v216, v121 :: v_dual_mul_f32 v13, v218, v123
	s_delay_alu instid0(VALU_DEP_3) | instskip(SKIP_3) | instid1(VALU_DEP_3)
	v_dual_fmac_f32 v7, v213, v116 :: v_dual_fmac_f32 v9, v215, v118
	s_wait_loadcnt 0x15
	v_dual_fma_f32 v83, v212, v116, -v83 :: v_dual_mul_f32 v95, v225, v129
	v_dual_mul_f32 v87, v217, v121 :: v_dual_mul_f32 v89, v219, v123
	v_dual_fma_f32 v85, v214, v118, -v85 :: v_dual_add_f32 v7, 0, v7
	s_delay_alu instid0(VALU_DEP_3) | instskip(SKIP_1) | instid1(VALU_DEP_4)
	v_dual_add_f32 v83, 0, v83 :: v_dual_fmac_f32 v11, v217, v120
	v_dual_mul_f32 v15, v220, v125 :: v_dual_mul_f32 v17, v222, v127
	v_dual_mul_f32 v97, v227, v131 :: v_dual_fma_f32 v87, v216, v120, -v87
	s_delay_alu instid0(VALU_DEP_4) | instskip(NEXT) | instid1(VALU_DEP_3)
	v_add_f32_e32 v7, v7, v9
	v_dual_add_f32 v9, v83, v85 :: v_dual_fmac_f32 v15, v221, v124
	v_dual_mul_f32 v91, v221, v125 :: v_dual_mul_f32 v93, v223, v127
	s_wait_loadcnt 0x14
	v_dual_mul_f32 v83, v237, v133 :: v_dual_fmac_f32 v13, v219, v122
	v_dual_fma_f32 v85, v218, v122, -v89 :: v_dual_add_f32 v7, v7, v11
	s_delay_alu instid0(VALU_DEP_3) | instskip(SKIP_1) | instid1(VALU_DEP_3)
	v_dual_add_f32 v9, v9, v87 :: v_dual_fma_f32 v87, v220, v124, -v91
	v_dual_mul_f32 v19, v224, v129 :: v_dual_mul_f32 v21, v226, v131
	v_add_f32_e32 v7, v7, v13
	s_delay_alu instid0(VALU_DEP_3) | instskip(SKIP_2) | instid1(VALU_DEP_3)
	v_dual_mul_f32 v11, v239, v135 :: v_dual_add_f32 v9, v9, v85
	s_wait_loadcnt 0x13
	v_dual_mul_f32 v13, v241, v137 :: v_dual_fmac_f32 v17, v223, v126
	v_dual_fma_f32 v85, v222, v126, -v93 :: v_dual_add_f32 v7, v7, v15
	s_delay_alu instid0(VALU_DEP_3) | instskip(SKIP_1) | instid1(VALU_DEP_3)
	v_dual_add_f32 v9, v9, v87 :: v_dual_fma_f32 v87, v224, v128, -v95
	v_dual_mul_f32 v15, v243, v139 :: v_dual_fmac_f32 v19, v225, v128
	v_add_f32_e32 v7, v7, v17
	s_delay_alu instid0(VALU_DEP_3)
	v_dual_add_f32 v9, v9, v85 :: v_dual_fmac_f32 v21, v227, v130
	v_dual_mul_f32 v23, v236, v133 :: v_dual_mul_f32 v25, v238, v135
	s_wait_loadcnt_dscnt 0x120d
	v_dual_fma_f32 v85, v226, v130, -v97 :: v_dual_mul_f32 v17, v253, v141
	v_add_f32_e32 v7, v7, v19
	v_dual_add_f32 v9, v9, v87 :: v_dual_fma_f32 v83, v236, v132, -v83
	v_dual_mul_f32 v19, v255, v143 :: v_dual_fmac_f32 v23, v237, v132
	s_delay_alu instid0(VALU_DEP_3) | instskip(NEXT) | instid1(VALU_DEP_3)
	v_dual_add_f32 v7, v7, v21 :: v_dual_fma_f32 v11, v238, v134, -v11
	v_dual_add_f32 v9, v9, v85 :: v_dual_fmac_f32 v25, v239, v134
	v_dual_mul_f32 v27, v240, v137 :: v_dual_mul_f32 v29, v242, v139
	s_delay_alu instid0(VALU_DEP_3) | instskip(NEXT) | instid1(VALU_DEP_3)
	v_add_f32_e32 v7, v7, v23
	v_dual_add_f32 v9, v9, v83 :: v_dual_fma_f32 v13, v240, v136, -v13
	s_delay_alu instid0(VALU_DEP_3) | instskip(NEXT) | instid1(VALU_DEP_3)
	v_dual_fmac_f32 v27, v241, v136 :: v_dual_mul_f32 v31, v252, v141
	v_dual_mul_f32 v33, v254, v143 :: v_dual_add_f32 v7, v7, v25
	s_delay_alu instid0(VALU_DEP_3) | instskip(SKIP_1) | instid1(VALU_DEP_4)
	v_dual_add_f32 v9, v9, v11 :: v_dual_fmac_f32 v29, v243, v138
	v_fma_f32 v15, v242, v138, -v15
	v_dual_fmac_f32 v31, v253, v140 :: v_dual_fma_f32 v17, v252, v140, -v17
	s_delay_alu instid0(VALU_DEP_3)
	v_dual_add_f32 v7, v7, v27 :: v_dual_add_f32 v9, v9, v13
	s_wait_loadcnt_dscnt 0x110c
	s_set_vgpr_msb 1                        ;  msbs: dst=0 src0=1 src1=0 src2=0
	v_dual_mul_f32 v35, v0 /*v256*/, v145 :: v_dual_mul_f32 v37, v2 /*v258*/, v147
	v_dual_mul_f32 v21, v1 /*v257*/, v145 :: v_dual_mul_f32 v23, v3 /*v259*/, v147
	s_set_vgpr_msb 0                        ;  msbs: dst=0 src0=0 src1=0 src2=0
	v_dual_add_f32 v7, v7, v29 :: v_dual_add_f32 v9, v9, v15
	v_dual_fmac_f32 v33, v255, v142 :: v_dual_fma_f32 v19, v254, v142, -v19
	s_set_vgpr_msb 1                        ;  msbs: dst=0 src0=1 src1=0 src2=0
	v_dual_fmac_f32 v35, v1 /*v257*/, v144 :: v_dual_fma_f32 v21, v0 /*v256*/, v144, -v21
	s_set_vgpr_msb 0                        ;  msbs: dst=0 src0=0 src1=0 src2=0
	v_dual_add_f32 v7, v7, v31 :: v_dual_add_f32 v9, v9, v17
	s_wait_loadcnt_dscnt 0x100b
	s_set_vgpr_msb 1                        ;  msbs: dst=0 src0=1 src1=0 src2=0
	v_dual_mul_f32 v11, v5 /*v261*/, v149 :: v_dual_mul_f32 v13, v7 /*v263*/, v151
	v_fmac_f32_e32 v37, v3 /*v259*/, v146
	s_set_vgpr_msb 0                        ;  msbs: dst=0 src0=0 src1=0 src2=0
	v_dual_add_f32 v7, v7, v33 :: v_dual_add_f32 v9, v9, v19
	s_wait_loadcnt_dscnt 0xe09
	s_set_vgpr_msb 1                        ;  msbs: dst=0 src0=1 src1=0 src2=0
	v_dual_mul_f32 v19, v13 /*v269*/, v157 :: v_dual_fma_f32 v23, v2 /*v258*/, v146, -v23
	v_dual_mul_f32 v39, v4 /*v260*/, v149 :: v_dual_mul_f32 v41, v6 /*v262*/, v151
	s_set_vgpr_msb 0                        ;  msbs: dst=0 src0=0 src1=0 src2=0
	v_dual_add_f32 v7, v7, v35 :: v_dual_add_f32 v9, v9, v21
	s_set_vgpr_msb 1                        ;  msbs: dst=0 src0=1 src1=0 src2=0
	v_dual_mul_f32 v21, v15 /*v271*/, v159 :: v_dual_fma_f32 v11, v4 /*v260*/, v148, -v11
	v_dual_mul_f32 v15, v9 /*v265*/, v153 :: v_dual_mul_f32 v17, v11 /*v267*/, v155
	s_set_vgpr_msb 0                        ;  msbs: dst=0 src0=0 src1=0 src2=0
	v_dual_add_f32 v7, v7, v37 :: v_dual_add_f32 v9, v9, v23
	s_set_vgpr_msb 1                        ;  msbs: dst=0 src0=1 src1=0 src2=0
	v_dual_fmac_f32 v39, v5 /*v261*/, v148 :: v_dual_fmac_f32 v41, v7 /*v263*/, v150
	s_wait_loadcnt_dscnt 0xd08
	v_dual_mul_f32 v23, v17 /*v273*/, v161 :: v_dual_fma_f32 v13, v6 /*v262*/, v150, -v13
	s_set_vgpr_msb 0                        ;  msbs: dst=0 src0=0 src1=0 src2=0
	v_add_f32_e32 v9, v9, v11
	s_set_vgpr_msb 1                        ;  msbs: dst=0 src0=1 src1=0 src2=0
	v_dual_mul_f32 v43, v8 /*v264*/, v153 :: v_dual_mul_f32 v45, v10 /*v266*/, v155
	v_mul_f32_e32 v11, v19 /*v275*/, v163
	s_set_vgpr_msb 0                        ;  msbs: dst=0 src0=0 src1=0 src2=0
	v_dual_add_f32 v7, v7, v39 :: v_dual_add_f32 v9, v9, v13
	s_wait_loadcnt_dscnt 0xc07
	s_set_vgpr_msb 1                        ;  msbs: dst=0 src0=1 src1=0 src2=0
	v_dual_fma_f32 v15, v8 /*v264*/, v152, -v15 :: v_dual_mul_f32 v13, v21 /*v277*/, v165
	v_dual_fmac_f32 v43, v9 /*v265*/, v152 :: v_dual_fmac_f32 v45, v11 /*v267*/, v154
	s_set_vgpr_msb 0                        ;  msbs: dst=0 src0=0 src1=0 src2=0
	v_add_f32_e32 v7, v7, v41
	s_set_vgpr_msb 1                        ;  msbs: dst=0 src0=1 src1=0 src2=0
	v_fma_f32 v17, v10 /*v266*/, v154, -v17
	s_set_vgpr_msb 0                        ;  msbs: dst=0 src0=0 src1=0 src2=0
	v_add_f32_e32 v9, v9, v15
	s_set_vgpr_msb 1                        ;  msbs: dst=0 src0=1 src1=0 src2=0
	v_dual_mul_f32 v47, v12 /*v268*/, v157 :: v_dual_mul_f32 v49, v14 /*v270*/, v159
	v_mul_f32_e32 v15, v23 /*v279*/, v167
	s_set_vgpr_msb 0                        ;  msbs: dst=0 src0=0 src1=0 src2=0
	v_dual_add_f32 v7, v7, v43 :: v_dual_add_f32 v9, v9, v17
	s_wait_loadcnt_dscnt 0xb06
	s_set_vgpr_msb 1                        ;  msbs: dst=0 src0=1 src1=0 src2=0
	v_dual_fma_f32 v19, v12 /*v268*/, v156, -v19 :: v_dual_mul_f32 v17, v25 /*v281*/, v169
	v_dual_fmac_f32 v47, v13 /*v269*/, v156 :: v_dual_fmac_f32 v49, v15 /*v271*/, v158
	s_set_vgpr_msb 0                        ;  msbs: dst=0 src0=0 src1=0 src2=0
	v_add_f32_e32 v7, v7, v45
	s_set_vgpr_msb 1                        ;  msbs: dst=0 src0=1 src1=0 src2=0
	v_fma_f32 v21, v14 /*v270*/, v158, -v21
	s_set_vgpr_msb 0                        ;  msbs: dst=0 src0=0 src1=0 src2=0
	v_add_f32_e32 v9, v9, v19
	s_set_vgpr_msb 1                        ;  msbs: dst=0 src0=1 src1=0 src2=0
	v_dual_mul_f32 v51, v16 /*v272*/, v161 :: v_dual_mul_f32 v53, v18 /*v274*/, v163
	v_mul_f32_e32 v19, v27 /*v283*/, v171
	s_set_vgpr_msb 0                        ;  msbs: dst=0 src0=0 src1=0 src2=0
	v_dual_add_f32 v7, v7, v47 :: v_dual_add_f32 v9, v9, v21
	s_wait_loadcnt_dscnt 0xa05
	s_set_vgpr_msb 1                        ;  msbs: dst=0 src0=1 src1=0 src2=0
	v_dual_fma_f32 v23, v16 /*v272*/, v160, -v23 :: v_dual_mul_f32 v21, v29 /*v285*/, v173
	v_dual_mul_f32 v55, v20 /*v276*/, v165 :: v_dual_mul_f32 v57, v22 /*v278*/, v167
	v_dual_mul_f32 v59, v24 /*v280*/, v169 :: v_dual_mul_f32 v61, v26 /*v282*/, v171
	v_dual_fmac_f32 v51, v17 /*v273*/, v160 :: v_dual_fmac_f32 v53, v19 /*v275*/, v162
	v_fma_f32 v11, v18 /*v274*/, v162, -v11
	s_set_vgpr_msb 0                        ;  msbs: dst=0 src0=0 src1=0 src2=0
	v_dual_add_f32 v9, v9, v23 :: v_dual_add_f32 v7, v7, v49
	s_set_vgpr_msb 1                        ;  msbs: dst=0 src0=1 src1=0 src2=0
	v_dual_mul_f32 v23, v31 /*v287*/, v175 :: v_dual_fmac_f32 v55, v21 /*v277*/, v164
	v_fma_f32 v13, v20 /*v276*/, v164, -v13
	v_dual_fmac_f32 v57, v23 /*v279*/, v166 :: v_dual_fmac_f32 v59, v25 /*v281*/, v168
	s_set_vgpr_msb 0                        ;  msbs: dst=0 src0=0 src1=0 src2=0
	v_add_f32_e32 v9, v9, v11
	s_set_vgpr_msb 1                        ;  msbs: dst=0 src0=1 src1=0 src2=0
	v_dual_mul_f32 v63, v28 /*v284*/, v173 :: v_dual_mul_f32 v65, v30 /*v286*/, v175
	s_set_vgpr_msb 0                        ;  msbs: dst=0 src0=0 src1=0 src2=0
	v_add_f32_e32 v7, v7, v51
	s_wait_loadcnt_dscnt 0x904
	s_set_vgpr_msb 1                        ;  msbs: dst=0 src0=1 src1=0 src2=0
	v_dual_mul_f32 v11, v33 /*v289*/, v177 :: v_dual_fma_f32 v15, v22 /*v278*/, v166, -v15
	s_set_vgpr_msb 0                        ;  msbs: dst=0 src0=0 src1=0 src2=0
	v_add_f32_e32 v9, v9, v13
	s_set_vgpr_msb 1                        ;  msbs: dst=0 src0=1 src1=0 src2=0
	v_dual_mul_f32 v13, v35 /*v291*/, v179 :: v_dual_fma_f32 v17, v24 /*v280*/, v168, -v17
	s_set_vgpr_msb 0                        ;  msbs: dst=0 src0=0 src1=0 src2=0
	v_add_f32_e32 v7, v7, v53
	s_set_vgpr_msb 1                        ;  msbs: dst=0 src0=1 src1=0 src2=0
	v_dual_fmac_f32 v61, v27 /*v283*/, v170 :: v_dual_fmac_f32 v63, v29 /*v285*/, v172
	s_set_vgpr_msb 0                        ;  msbs: dst=0 src0=0 src1=0 src2=0
	v_add_f32_e32 v9, v9, v15
	s_set_vgpr_msb 1                        ;  msbs: dst=0 src0=1 src1=0 src2=0
	v_dual_mul_f32 v67, v32 /*v288*/, v177 :: v_dual_mul_f32 v69, v34 /*v290*/, v179
	s_set_vgpr_msb 0                        ;  msbs: dst=0 src0=0 src1=0 src2=0
	v_add_f32_e32 v7, v7, v55
	s_wait_loadcnt_dscnt 0x803
	s_set_vgpr_msb 1                        ;  msbs: dst=0 src0=1 src1=0 src2=0
	v_dual_mul_f32 v15, v37 /*v293*/, v181 :: v_dual_fma_f32 v19, v26 /*v282*/, v170, -v19
	s_set_vgpr_msb 0                        ;  msbs: dst=0 src0=0 src1=0 src2=0
	v_add_f32_e32 v9, v9, v17
	s_set_vgpr_msb 1                        ;  msbs: dst=0 src0=1 src1=0 src2=0
	v_dual_mul_f32 v17, v39 /*v295*/, v183 :: v_dual_fma_f32 v21, v28 /*v284*/, v172, -v21
	s_set_vgpr_msb 0                        ;  msbs: dst=0 src0=0 src1=0 src2=0
	v_add_f32_e32 v7, v7, v57
	s_set_vgpr_msb 1                        ;  msbs: dst=0 src0=1 src1=0 src2=0
	v_dual_fmac_f32 v65, v31 /*v287*/, v174 :: v_dual_fmac_f32 v67, v33 /*v289*/, v176
	s_set_vgpr_msb 0                        ;  msbs: dst=0 src0=0 src1=0 src2=0
	v_add_f32_e32 v9, v9, v19
	s_set_vgpr_msb 1                        ;  msbs: dst=0 src0=1 src1=0 src2=0
	v_dual_mul_f32 v71, v36 /*v292*/, v181 :: v_dual_mul_f32 v73, v38 /*v294*/, v183
	s_set_vgpr_msb 0                        ;  msbs: dst=0 src0=0 src1=0 src2=0
	v_add_f32_e32 v7, v7, v59
	s_wait_loadcnt_dscnt 0x702
	s_set_vgpr_msb 1                        ;  msbs: dst=0 src0=1 src1=0 src2=0
	v_dual_mul_f32 v19, v41 /*v297*/, v185 :: v_dual_fma_f32 v23, v30 /*v286*/, v174, -v23
	s_set_vgpr_msb 0                        ;  msbs: dst=0 src0=0 src1=0 src2=0
	v_add_f32_e32 v9, v9, v21
	s_set_vgpr_msb 1                        ;  msbs: dst=0 src0=1 src1=0 src2=0
	v_dual_mul_f32 v75, v40 /*v296*/, v185 :: v_dual_mul_f32 v77, v42 /*v298*/, v187
	s_set_vgpr_msb 0                        ;  msbs: dst=0 src0=0 src1=0 src2=0
	v_add_f32_e32 v7, v7, v61
	s_set_vgpr_msb 1                        ;  msbs: dst=0 src0=1 src1=0 src2=0
	v_dual_mul_f32 v21, v43 /*v299*/, v187 :: v_dual_fma_f32 v11, v32 /*v288*/, v176, -v11
	v_dual_fmac_f32 v69, v35 /*v291*/, v178 :: v_dual_fmac_f32 v71, v37 /*v293*/, v180
	s_set_vgpr_msb 0                        ;  msbs: dst=0 src0=0 src1=0 src2=0
	v_add_f32_e32 v9, v9, v23
	s_wait_loadcnt_dscnt 0x601
	s_set_vgpr_msb 1                        ;  msbs: dst=0 src0=1 src1=0 src2=0
	v_dual_mul_f32 v23, v45 /*v301*/, v189 :: v_dual_fma_f32 v13, v34 /*v290*/, v178, -v13
	v_dual_fmac_f32 v73, v39 /*v295*/, v182 :: v_dual_fmac_f32 v75, v41 /*v297*/, v184
	s_set_vgpr_msb 0                        ;  msbs: dst=0 src0=0 src1=0 src2=0
	v_add_f32_e32 v9, v9, v11
	v_add_f32_e32 v7, v7, v63
	s_set_vgpr_msb 1                        ;  msbs: dst=0 src0=1 src1=0 src2=0
	v_dual_mul_f32 v11, v47 /*v303*/, v191 :: v_dual_fma_f32 v15, v36 /*v292*/, v180, -v15
	v_fma_f32 v17, v38 /*v294*/, v182, -v17
	s_set_vgpr_msb 0                        ;  msbs: dst=0 src0=0 src1=0 src2=0
	v_add_f32_e32 v9, v9, v13
	v_add_f32_e32 v7, v7, v65
	s_wait_loadcnt_dscnt 0x500
	s_set_vgpr_msb 1                        ;  msbs: dst=0 src0=1 src1=0 src2=0
	v_mul_f32_e32 v13, v49 /*v305*/, v193
	s_wait_loadcnt 0x4
	s_set_vgpr_msb 0                        ;  msbs: dst=0 src0=0 src1=0 src2=0
	v_mov_b32_e32 v118, v199
	s_set_vgpr_msb 1                        ;  msbs: dst=0 src0=1 src1=0 src2=0
	v_dual_mul_f32 v79, v44 /*v300*/, v189 :: v_dual_mul_f32 v81, v46 /*v302*/, v191
	s_set_vgpr_msb 0                        ;  msbs: dst=0 src0=0 src1=0 src2=0
	v_add_f32_e32 v9, v9, v15
	v_add_f32_e32 v7, v7, v67
	s_set_vgpr_msb 1                        ;  msbs: dst=0 src0=1 src1=0 src2=0
	v_dual_mul_f32 v15, v51 /*v307*/, v195 :: v_dual_fma_f32 v19, v40 /*v296*/, v184, -v19
	v_dual_fmac_f32 v77, v43 /*v299*/, v186 :: v_dual_fmac_f32 v79, v45 /*v301*/, v188
	s_set_vgpr_msb 0                        ;  msbs: dst=0 src0=0 src1=0 src2=0
	v_add_f32_e32 v9, v9, v17
	v_add_f32_e32 v7, v7, v69
	s_set_vgpr_msb 1                        ;  msbs: dst=0 src0=1 src1=0 src2=0
	v_fma_f32 v17, v42 /*v298*/, v186, -v21
	s_set_vgpr_msb 0x41                     ;  msbs: dst=1 src0=1 src1=0 src2=0
	v_dual_mul_f32 v63 /*v319*/, v48 /*v304*/, v193 :: v_dual_mul_f32 v65 /*v321*/, v50 /*v306*/, v195
	s_set_vgpr_msb 0                        ;  msbs: dst=0 src0=0 src1=0 src2=0
	v_add_f32_e32 v9, v9, v19
	s_set_vgpr_msb 1                        ;  msbs: dst=0 src0=1 src1=0 src2=0
	v_fma_f32 v19, v44 /*v300*/, v188, -v23
	s_set_vgpr_msb 0                        ;  msbs: dst=0 src0=0 src1=0 src2=0
	v_add_f32_e32 v7, v7, v71
	s_set_vgpr_msb 1                        ;  msbs: dst=0 src0=1 src1=0 src2=0
	v_dual_fmac_f32 v81, v47 /*v303*/, v190 :: v_dual_fma_f32 v11, v46 /*v302*/, v190, -v11
	s_set_vgpr_msb 0                        ;  msbs: dst=0 src0=0 src1=0 src2=0
	v_add_f32_e32 v9, v9, v17
	v_pk_mul_f32 v[116:117], v[228:229], v[196:197] op_sel:[1,1] op_sel_hi:[0,1]
	v_add_f32_e32 v7, v7, v73
	s_wait_loadcnt 0x3
	v_mov_b32_e32 v122, v203
	s_set_vgpr_msb 0x41                     ;  msbs: dst=1 src0=1 src1=0 src2=0
	v_dual_fmac_f32 v63 /*v319*/, v49 /*v305*/, v192 :: v_dual_fmac_f32 v65 /*v321*/, v51 /*v307*/, v194
	s_set_vgpr_msb 0                        ;  msbs: dst=0 src0=0 src1=0 src2=0
	v_add_f32_e32 v9, v9, v19
	v_add_f32_e32 v7, v7, v75
	s_set_vgpr_msb 0x41                     ;  msbs: dst=1 src0=1 src1=0 src2=0
	v_dual_fma_f32 v62 /*v318*/, v48 /*v304*/, v192, -v13 :: v_dual_fma_f32 v64 /*v320*/, v50 /*v306*/, v194, -v15
	s_set_vgpr_msb 0                        ;  msbs: dst=0 src0=0 src1=0 src2=0
	v_pk_fma_f32 v[126:127], v[228:229], v[196:197], v[116:117] op_sel_hi:[1,0,1]
	v_dual_add_f32 v124, v9, v11 :: v_dual_add_f32 v7, v7, v77
	s_set_vgpr_msb 1                        ;  msbs: dst=0 src0=1 src1=0 src2=0
	v_pk_mul_f32 v[118:119], v[54:55] /*v[310:311]*/, v[118:119] op_sel_hi:[1,0]
	s_set_vgpr_msb 0                        ;  msbs: dst=0 src0=0 src1=0 src2=0
	v_pk_fma_f32 v[116:117], v[228:229], v[196:197], v[116:117] neg_lo:[0,0,1] neg_hi:[0,0,1]
	v_pk_mul_f32 v[120:121], v[232:233], v[200:201] op_sel:[1,1] op_sel_hi:[0,1]
	v_mov_b32_e32 v117, v127
	v_add_f32_e32 v7, v7, v79
	v_pk_fma_f32 v[126:127], v[230:231], v[198:199], v[118:119] op_sel_hi:[1,0,1]
	v_pk_fma_f32 v[118:119], v[230:231], v[198:199], v[118:119] neg_lo:[0,0,1] neg_hi:[0,0,1]
	v_pk_fma_f32 v[130:131], v[232:233], v[200:201], v[120:121] op_sel_hi:[1,0,1]
	s_set_vgpr_msb 1                        ;  msbs: dst=0 src0=1 src1=0 src2=0
	v_pk_mul_f32 v[122:123], v[56:57] /*v[312:313]*/, v[122:123] op_sel_hi:[1,0]
	s_set_vgpr_msb 0                        ;  msbs: dst=0 src0=0 src1=0 src2=0
	v_add_f32_e32 v125, v7, v81
	v_mov_b32_e32 v119, v127
	s_wait_loadcnt 0x2
	v_pk_mul_f32 v[128:129], v[244:245], v[204:205] op_sel:[1,1] op_sel_hi:[0,1]
	v_pk_fma_f32 v[120:121], v[232:233], v[200:201], v[120:121] neg_lo:[0,0,1] neg_hi:[0,0,1]
	v_mov_b32_e32 v121, v131
	s_set_vgpr_msb 4                        ;  msbs: dst=0 src0=0 src1=1 src2=0
	v_pk_add_f32 v[124:125], v[124:125], v[62:63] /*v[318:319]*/
	s_set_vgpr_msb 0                        ;  msbs: dst=0 src0=0 src1=0 src2=0
	v_pk_fma_f32 v[126:127], v[234:235], v[202:203], v[122:123] op_sel_hi:[1,0,1]
	v_pk_fma_f32 v[122:123], v[234:235], v[202:203], v[122:123] neg_lo:[0,0,1] neg_hi:[0,0,1]
	s_set_vgpr_msb 4                        ;  msbs: dst=0 src0=0 src1=1 src2=0
	v_pk_add_f32 v[124:125], v[124:125], v[64:65] /*v[320:321]*/
	s_set_vgpr_msb 0                        ;  msbs: dst=0 src0=0 src1=0 src2=0
	s_delay_alu instid0(VALU_DEP_1) | instskip(SKIP_1) | instid1(VALU_DEP_2)
	v_pk_add_f32 v[116:117], v[124:125], v[116:117]
	v_mov_b32_e32 v124, v207
	v_pk_add_f32 v[116:117], v[116:117], v[118:119]
	v_pk_fma_f32 v[118:119], v[244:245], v[204:205], v[128:129] op_sel_hi:[1,0,1]
	s_set_vgpr_msb 1                        ;  msbs: dst=0 src0=1 src1=0 src2=0
	s_delay_alu instid0(VALU_DEP_3)
	v_pk_mul_f32 v[124:125], v[58:59] /*v[314:315]*/, v[124:125] op_sel_hi:[1,0]
	s_set_vgpr_msb 0                        ;  msbs: dst=0 src0=0 src1=0 src2=0
	v_mov_b32_e32 v123, v127
	v_pk_fma_f32 v[126:127], v[244:245], v[204:205], v[128:129] neg_lo:[0,0,1] neg_hi:[0,0,1]
	v_pk_add_f32 v[116:117], v[116:117], v[120:121]
	v_mov_b32_e32 v127, v119
	v_pk_fma_f32 v[118:119], v[246:247], v[206:207], v[124:125] op_sel_hi:[1,0,1]
	s_wait_loadcnt 0x1
	v_pk_mul_f32 v[120:121], v[248:249], v[208:209] op_sel:[1,1] op_sel_hi:[0,1]
	v_mov_b32_e32 v118, v211
	v_pk_add_f32 v[116:117], v[116:117], v[122:123]
	v_pk_fma_f32 v[124:125], v[246:247], v[206:207], v[124:125] neg_lo:[0,0,1] neg_hi:[0,0,1]
	v_mov_b32_e32 v125, v119
	v_pk_fma_f32 v[122:123], v[248:249], v[208:209], v[120:121] op_sel_hi:[1,0,1]
	s_set_vgpr_msb 1                        ;  msbs: dst=0 src0=1 src1=0 src2=0
	v_pk_mul_f32 v[118:119], v[60:61] /*v[316:317]*/, v[118:119] op_sel_hi:[1,0]
	s_set_vgpr_msb 0                        ;  msbs: dst=0 src0=0 src1=0 src2=0
	v_pk_add_f32 v[116:117], v[116:117], v[126:127]
	v_pk_fma_f32 v[120:121], v[248:249], v[208:209], v[120:121] neg_lo:[0,0,1] neg_hi:[0,0,1]
	v_mov_b32_e32 v121, v123
	v_pk_fma_f32 v[122:123], v[250:251], v[210:211], v[118:119] op_sel_hi:[1,0,1]
	s_delay_alu instid0(VALU_DEP_4) | instskip(SKIP_1) | instid1(VALU_DEP_3)
	v_pk_add_f32 v[116:117], v[116:117], v[124:125]
	v_pk_fma_f32 v[118:119], v[250:251], v[210:211], v[118:119] neg_lo:[0,0,1] neg_hi:[0,0,1]
	v_mov_b32_e32 v119, v123
	s_delay_alu instid0(VALU_DEP_3) | instskip(NEXT) | instid1(VALU_DEP_1)
	v_pk_add_f32 v[116:117], v[116:117], v[120:121]
	v_pk_add_f32 v[116:117], v[116:117], v[118:119]
	s_wait_loadcnt 0x0
	s_set_vgpr_msb 1                        ;  msbs: dst=0 src0=1 src1=0 src2=0
	s_delay_alu instid0(VALU_DEP_1)
	v_pk_add_f32 v[116:117], v[52:53] /*v[308:309]*/, v[116:117] neg_lo:[0,1] neg_hi:[0,1]
	scratch_store_b64 off, v[116:117], off offset:64
	s_wait_xcnt 0x0
	v_cmpx_lt_u32_e32 7, v0
	s_set_vgpr_msb 0                        ;  msbs: dst=0 src0=0 src1=0 src2=0
	s_cbranch_execz .LBB120_341
; %bb.340:
	scratch_load_b64 v[116:117], off, off offset:56
	v_mov_b64_e32 v[118:119], 0
	scratch_store_b64 off, v[118:119], off offset:56
	s_wait_loadcnt 0x0
	ds_store_b64 v1, v[116:117]
.LBB120_341:
	s_wait_xcnt 0x0
	s_or_b32 exec_lo, exec_lo, s0
	s_wait_storecnt_dscnt 0x0
	s_barrier_signal -1
	s_barrier_wait -1
	s_clause 0x1a
	scratch_load_b128 v[116:119], off, off offset:64
	scratch_load_b128 v[120:123], off, off offset:80
	;; [unrolled: 1-line block ×24, first 2 shown]
	s_set_vgpr_msb 64                       ;  msbs: dst=1 src0=0 src1=0 src2=0
	scratch_load_b64 v[52:53] /*v[308:309]*/, off, off offset:448
	scratch_load_b64 v[54:55] /*v[310:311]*/, off, off offset:56
	s_set_vgpr_msb 0                        ;  msbs: dst=0 src0=0 src1=0 src2=0
	v_mov_b32_e32 v7, 0
	ds_load_b128 v[212:215], v7 offset:528
	ds_load_b128 v[216:219], v7 offset:544
	;; [unrolled: 1-line block ×11, first 2 shown]
	s_set_vgpr_msb 64                       ;  msbs: dst=1 src0=0 src1=0 src2=0
	ds_load_b128 v[0:3] /*v[256:259]*/, v7 offset:896
	ds_load_b128 v[4:7] /*v[260:263]*/, v7 offset:656
	;; [unrolled: 1-line block ×13, first 2 shown]
	ds_load_b64 v[56:57] /*v[312:313]*/, v7 offset:912
	s_wait_dscnt 0x14
	v_dual_mov_b32 v58 /*v314*/, v231 :: v_dual_mov_b32 v59 /*v315*/, v230
	s_wait_dscnt 0x11
	v_dual_mov_b32 v60 /*v316*/, v243 :: v_dual_mov_b32 v61 /*v317*/, v242
	;; [unrolled: 2-line block ×3, first 2 shown]
	s_wait_dscnt 0xd
	s_set_vgpr_msb 0x41                     ;  msbs: dst=1 src0=1 src1=0 src2=0
	v_dual_mov_b32 v64 /*v320*/, v3 /*v259*/ :: v_dual_mov_b32 v65 /*v321*/, v2 /*v258*/
	s_mov_b32 s0, exec_lo
	s_wait_loadcnt 0x19
	s_set_vgpr_msb 0                        ;  msbs: dst=0 src0=0 src1=0 src2=0
	v_dual_mul_f32 v9, v212, v117 :: v_dual_mul_f32 v11, v214, v119
	s_wait_loadcnt 0x18
	v_mul_f32_e32 v13, v216, v121
	v_dual_mul_f32 v87, v213, v117 :: v_dual_mul_f32 v89, v215, v119
	v_mul_f32_e32 v91, v217, v121
	s_wait_loadcnt 0x12
	v_dual_fmac_f32 v9, v213, v116 :: v_dual_mul_f32 v39, v254, v147
	s_delay_alu instid0(VALU_DEP_3) | instskip(SKIP_1) | instid1(VALU_DEP_3)
	v_dual_fma_f32 v87, v212, v116, -v87 :: v_dual_mul_f32 v101, v227, v131
	v_dual_fma_f32 v89, v214, v118, -v89 :: v_dual_fmac_f32 v11, v215, v118
	v_dual_add_f32 v9, 0, v9 :: v_dual_mul_f32 v15, v218, v123
	s_delay_alu instid0(VALU_DEP_3)
	v_dual_mul_f32 v17, v220, v125 :: v_dual_add_f32 v87, 0, v87
	v_dual_mul_f32 v93, v219, v123 :: v_dual_mul_f32 v95, v221, v125
	v_dual_mul_f32 v103, v233, v133 :: v_dual_fma_f32 v91, v216, v120, -v91
	s_wait_loadcnt_dscnt 0x601
	s_set_vgpr_msb 1                        ;  msbs: dst=0 src0=1 src1=0 src2=0
	v_mul_f32_e32 v85, v48 /*v304*/, v193
	s_set_vgpr_msb 0                        ;  msbs: dst=0 src0=0 src1=0 src2=0
	v_fmac_f32_e32 v13, v217, v120
	v_dual_add_f32 v9, v9, v11 :: v_dual_fmac_f32 v15, v219, v122
	v_add_f32_e32 v11, v87, v89
	v_dual_mul_f32 v87, v235, v135 :: v_dual_fma_f32 v89, v218, v122, -v93
	s_delay_alu instid0(VALU_DEP_3) | instskip(NEXT) | instid1(VALU_DEP_3)
	v_dual_add_f32 v9, v9, v13 :: v_dual_mul_f32 v19, v222, v127
	v_dual_mul_f32 v21, v224, v129 :: v_dual_add_f32 v11, v11, v91
	v_dual_mul_f32 v97, v223, v127 :: v_dual_mul_f32 v99, v225, v129
	v_dual_mul_f32 v13, v237, v137 :: v_dual_fma_f32 v91, v220, v124, -v95
	s_delay_alu instid0(VALU_DEP_3) | instskip(SKIP_1) | instid1(VALU_DEP_4)
	v_dual_fmac_f32 v17, v221, v124 :: v_dual_add_f32 v11, v11, v89
	v_dual_add_f32 v9, v9, v15 :: v_dual_fmac_f32 v19, v223, v126
	v_dual_mul_f32 v15, v239, v139 :: v_dual_fma_f32 v89, v222, v126, -v97
	s_delay_alu instid0(VALU_DEP_2) | instskip(SKIP_2) | instid1(VALU_DEP_3)
	v_dual_add_f32 v11, v11, v91 :: v_dual_add_f32 v9, v9, v17
	v_dual_mul_f32 v23, v226, v131 :: v_dual_mul_f32 v25, v232, v133
	v_dual_mul_f32 v17, v249, v141 :: v_dual_fma_f32 v91, v224, v128, -v99
	v_dual_fmac_f32 v21, v225, v128 :: v_dual_add_f32 v11, v11, v89
	s_delay_alu instid0(VALU_DEP_3) | instskip(SKIP_1) | instid1(VALU_DEP_2)
	v_dual_add_f32 v9, v9, v19 :: v_dual_fmac_f32 v23, v227, v130
	v_dual_mul_f32 v19, v251, v143 :: v_dual_fma_f32 v89, v226, v130, -v101
	v_dual_add_f32 v11, v11, v91 :: v_dual_add_f32 v9, v9, v21
	v_dual_mul_f32 v27, v234, v135 :: v_dual_mul_f32 v29, v236, v137
	v_dual_mul_f32 v21, v253, v145 :: v_dual_fma_f32 v91, v232, v132, -v103
	s_delay_alu instid0(VALU_DEP_3) | instskip(NEXT) | instid1(VALU_DEP_3)
	v_dual_fmac_f32 v25, v233, v132 :: v_dual_add_f32 v11, v11, v89
	v_dual_add_f32 v9, v9, v23 :: v_dual_fmac_f32 v27, v235, v134
	v_dual_mul_f32 v23, v255, v147 :: v_dual_fma_f32 v87, v234, v134, -v87
	s_delay_alu instid0(VALU_DEP_2) | instskip(SKIP_1) | instid1(VALU_DEP_2)
	v_dual_add_f32 v11, v11, v91 :: v_dual_add_f32 v9, v9, v25
	v_dual_mul_f32 v31, v238, v139 :: v_dual_mul_f32 v33, v248, v141
	v_dual_fmac_f32 v29, v237, v136 :: v_dual_add_f32 v11, v11, v87
	s_delay_alu instid0(VALU_DEP_3) | instskip(NEXT) | instid1(VALU_DEP_3)
	v_dual_fma_f32 v13, v236, v136, -v13 :: v_dual_add_f32 v9, v9, v27
	v_fmac_f32_e32 v31, v239, v138
	v_fma_f32 v15, v238, v138, -v15
	v_dual_mul_f32 v35, v250, v143 :: v_dual_mul_f32 v37, v252, v145
	s_delay_alu instid0(VALU_DEP_4)
	v_add_f32_e32 v9, v9, v29
	v_dual_add_f32 v11, v11, v13 :: v_dual_fmac_f32 v33, v249, v140
	v_fma_f32 v17, v248, v140, -v17
	s_set_vgpr_msb 1                        ;  msbs: dst=0 src0=1 src1=0 src2=0
	v_dual_mul_f32 v41, v4 /*v260*/, v149 :: v_dual_mul_f32 v43, v6 /*v262*/, v151
	s_set_vgpr_msb 0                        ;  msbs: dst=0 src0=0 src1=0 src2=0
	v_add_f32_e32 v9, v9, v31
	v_add_f32_e32 v11, v11, v15
	v_fmac_f32_e32 v35, v251, v142
	v_fma_f32 v19, v250, v142, -v19
	s_set_vgpr_msb 1                        ;  msbs: dst=0 src0=1 src1=0 src2=0
	v_dual_mul_f32 v25, v5 /*v261*/, v149 :: v_dual_mul_f32 v27, v7 /*v263*/, v151
	s_set_vgpr_msb 0                        ;  msbs: dst=0 src0=0 src1=0 src2=0
	v_add_f32_e32 v9, v9, v33
	v_dual_add_f32 v11, v11, v17 :: v_dual_fmac_f32 v37, v253, v144
	v_fma_f32 v21, v252, v144, -v21
	s_set_vgpr_msb 1                        ;  msbs: dst=0 src0=1 src1=0 src2=0
	v_fmac_f32_e32 v41, v5 /*v261*/, v148
	s_set_vgpr_msb 0                        ;  msbs: dst=0 src0=0 src1=0 src2=0
	v_add_f32_e32 v9, v9, v35
	v_add_f32_e32 v11, v11, v19
	v_fmac_f32_e32 v39, v255, v146
	v_fma_f32 v23, v254, v146, -v23
	s_set_vgpr_msb 1                        ;  msbs: dst=0 src0=1 src1=0 src2=0
	v_fma_f32 v25, v4 /*v260*/, v148, -v25
	s_set_vgpr_msb 0                        ;  msbs: dst=0 src0=0 src1=0 src2=0
	v_add_f32_e32 v9, v9, v37
	v_add_f32_e32 v11, v11, v21
	s_set_vgpr_msb 1                        ;  msbs: dst=0 src0=1 src1=0 src2=0
	v_mul_f32_e32 v21, v17 /*v273*/, v161
	v_dual_mul_f32 v45, v8 /*v264*/, v153 :: v_dual_mul_f32 v47, v10 /*v266*/, v155
	v_dual_mul_f32 v13, v9 /*v265*/, v153 :: v_dual_mul_f32 v15, v11 /*v267*/, v155
	s_set_vgpr_msb 0                        ;  msbs: dst=0 src0=0 src1=0 src2=0
	v_add_f32_e32 v11, v11, v23
	v_add_f32_e32 v9, v9, v39
	s_set_vgpr_msb 1                        ;  msbs: dst=0 src0=1 src1=0 src2=0
	v_mul_f32_e32 v23, v19 /*v275*/, v163
	v_fmac_f32_e32 v43, v7 /*v263*/, v150
	v_dual_fma_f32 v27, v6 /*v262*/, v150, -v27 :: v_dual_fmac_f32 v45, v9 /*v265*/, v152
	s_set_vgpr_msb 0                        ;  msbs: dst=0 src0=0 src1=0 src2=0
	v_add_f32_e32 v11, v11, v25
	v_add_f32_e32 v9, v9, v41
	s_set_vgpr_msb 1                        ;  msbs: dst=0 src0=1 src1=0 src2=0
	v_dual_mul_f32 v25, v21 /*v277*/, v165 :: v_dual_fma_f32 v13, v8 /*v264*/, v152, -v13
	v_dual_mul_f32 v49, v12 /*v268*/, v157 :: v_dual_mul_f32 v51, v14 /*v270*/, v159
	s_set_vgpr_msb 0                        ;  msbs: dst=0 src0=0 src1=0 src2=0
	v_add_f32_e32 v11, v11, v27
	s_set_vgpr_msb 1                        ;  msbs: dst=0 src0=1 src1=0 src2=0
	v_mul_f32_e32 v27, v23 /*v279*/, v167
	s_set_vgpr_msb 0                        ;  msbs: dst=0 src0=0 src1=0 src2=0
	v_add_f32_e32 v9, v9, v43
	s_set_vgpr_msb 1                        ;  msbs: dst=0 src0=1 src1=0 src2=0
	v_dual_mul_f32 v17, v13 /*v269*/, v157 :: v_dual_mul_f32 v19, v15 /*v271*/, v159
	v_fmac_f32_e32 v47, v11 /*v267*/, v154
	v_dual_fma_f32 v15, v10 /*v266*/, v154, -v15 :: v_dual_fmac_f32 v49, v13 /*v269*/, v156
	s_set_vgpr_msb 0                        ;  msbs: dst=0 src0=0 src1=0 src2=0
	v_add_f32_e32 v11, v11, v13
	v_add_f32_e32 v9, v9, v45
	s_set_vgpr_msb 1                        ;  msbs: dst=0 src0=1 src1=0 src2=0
	v_dual_mul_f32 v13, v25 /*v281*/, v169 :: v_dual_fma_f32 v17, v12 /*v268*/, v156, -v17
	v_dual_mul_f32 v53, v16 /*v272*/, v161 :: v_dual_mul_f32 v55, v18 /*v274*/, v163
	s_set_vgpr_msb 0                        ;  msbs: dst=0 src0=0 src1=0 src2=0
	v_add_f32_e32 v11, v11, v15
	s_set_vgpr_msb 1                        ;  msbs: dst=0 src0=1 src1=0 src2=0
	v_mul_f32_e32 v15, v27 /*v283*/, v171
	s_set_vgpr_msb 0                        ;  msbs: dst=0 src0=0 src1=0 src2=0
	v_add_f32_e32 v9, v9, v47
	s_set_vgpr_msb 1                        ;  msbs: dst=0 src0=1 src1=0 src2=0
	v_fmac_f32_e32 v51, v15 /*v271*/, v158
	v_dual_fma_f32 v19, v14 /*v270*/, v158, -v19 :: v_dual_fmac_f32 v53, v17 /*v273*/, v160
	s_set_vgpr_msb 0                        ;  msbs: dst=0 src0=0 src1=0 src2=0
	v_add_f32_e32 v11, v11, v17
	v_add_f32_e32 v9, v9, v49
	s_set_vgpr_msb 1                        ;  msbs: dst=0 src0=1 src1=0 src2=0
	v_dual_mul_f32 v17, v29 /*v285*/, v173 :: v_dual_fma_f32 v21, v16 /*v272*/, v160, -v21
	v_dual_mul_f32 v57, v20 /*v276*/, v165 :: v_dual_mul_f32 v59, v22 /*v278*/, v167
	s_set_vgpr_msb 0                        ;  msbs: dst=0 src0=0 src1=0 src2=0
	v_add_f32_e32 v11, v11, v19
	s_set_vgpr_msb 1                        ;  msbs: dst=0 src0=1 src1=0 src2=0
	v_mul_f32_e32 v19, v31 /*v287*/, v175
	s_set_vgpr_msb 0                        ;  msbs: dst=0 src0=0 src1=0 src2=0
	v_add_f32_e32 v9, v9, v51
	s_set_vgpr_msb 1                        ;  msbs: dst=0 src0=1 src1=0 src2=0
	;; [unrolled: 15-line block ×7, first 2 shown]
	v_dual_fmac_f32 v75, v39 /*v295*/, v182 :: v_dual_fmac_f32 v77, v41 /*v297*/, v184
	v_dual_fma_f32 v27, v38 /*v294*/, v182, -v27 :: v_dual_fma_f32 v13, v40 /*v296*/, v184, -v13
	s_set_vgpr_msb 0                        ;  msbs: dst=0 src0=0 src1=0 src2=0
	v_add_f32_e32 v11, v11, v25
	v_add_f32_e32 v9, v9, v73
	s_set_vgpr_msb 1                        ;  msbs: dst=0 src0=1 src1=0 src2=0
	v_dual_mul_f32 v81, v44 /*v300*/, v189 :: v_dual_mul_f32 v83, v46 /*v302*/, v191
	s_wait_loadcnt 0x5
	s_set_vgpr_msb 0                        ;  msbs: dst=0 src0=0 src1=0 src2=0
	v_dual_mul_f32 v25, v229, v197 :: v_dual_add_f32 v11, v11, v27
	v_dual_add_f32 v9, v9, v75 :: v_dual_mov_b32 v116, v199
	s_set_vgpr_msb 1                        ;  msbs: dst=0 src0=1 src1=0 src2=0
	v_dual_fmac_f32 v79, v43 /*v299*/, v186 :: v_dual_fmac_f32 v81, v45 /*v301*/, v188
	v_fma_f32 v15, v42 /*v298*/, v186, -v15
	s_set_vgpr_msb 0                        ;  msbs: dst=0 src0=0 src1=0 src2=0
	v_add_f32_e32 v11, v11, v13
	s_set_vgpr_msb 1                        ;  msbs: dst=0 src0=1 src1=0 src2=0
	v_fma_f32 v13, v44 /*v300*/, v188, -v17
	s_set_vgpr_msb 0                        ;  msbs: dst=0 src0=0 src1=0 src2=0
	v_add_f32_e32 v9, v9, v77
	s_set_vgpr_msb 1                        ;  msbs: dst=0 src0=1 src1=0 src2=0
	v_dual_fmac_f32 v83, v47 /*v303*/, v190 :: v_dual_fmac_f32 v85, v49 /*v305*/, v192
	s_set_vgpr_msb 0                        ;  msbs: dst=0 src0=0 src1=0 src2=0
	v_add_f32_e32 v11, v11, v15
	s_set_vgpr_msb 1                        ;  msbs: dst=0 src0=1 src1=0 src2=0
	v_fma_f32 v15, v46 /*v302*/, v190, -v19
	s_wait_loadcnt 0x4
	s_set_vgpr_msb 0                        ;  msbs: dst=0 src0=0 src1=0 src2=0
	v_dual_add_f32 v9, v9, v79 :: v_dual_mov_b32 v120, v203
	s_set_vgpr_msb 0x41                     ;  msbs: dst=1 src0=1 src1=0 src2=0
	v_dual_mul_f32 v67 /*v323*/, v50 /*v306*/, v195 :: v_dual_fma_f32 v66 /*v322*/, v50 /*v306*/, v194, -v23
	s_set_vgpr_msb 1                        ;  msbs: dst=0 src0=1 src1=0 src2=0
	v_pk_mul_f32 v[116:117], v[58:59] /*v[314:315]*/, v[116:117] op_sel_hi:[1,0]
	s_set_vgpr_msb 0                        ;  msbs: dst=0 src0=0 src1=0 src2=0
	v_add_f32_e32 v9, v9, v81
	v_add_f32_e32 v11, v11, v13
	s_set_vgpr_msb 1                        ;  msbs: dst=0 src0=1 src1=0 src2=0
	v_fma_f32 v13, v48 /*v304*/, v192, -v21
	s_set_vgpr_msb 64                       ;  msbs: dst=1 src0=0 src1=0 src2=0
	v_dual_mul_f32 v69 /*v325*/, v228, v197 :: v_dual_fma_f32 v68 /*v324*/, v228, v196, -v25
	s_set_vgpr_msb 0                        ;  msbs: dst=0 src0=0 src1=0 src2=0
	v_add_f32_e32 v9, v9, v83
	v_add_f32_e32 v11, v11, v15
	s_set_vgpr_msb 0x41                     ;  msbs: dst=1 src0=1 src1=0 src2=0
	v_fmac_f32_e32 v67 /*v323*/, v51 /*v307*/, v194
	s_set_vgpr_msb 0                        ;  msbs: dst=0 src0=0 src1=0 src2=0
	v_pk_fma_f32 v[128:129], v[230:231], v[198:199], v[116:117] op_sel_hi:[1,0,1]
	v_pk_fma_f32 v[116:117], v[230:231], v[198:199], v[116:117] neg_lo:[0,0,1] neg_hi:[0,0,1]
	v_add_f32_e32 v125, v9, v85
	v_add_f32_e32 v124, v11, v13
	v_pk_mul_f32 v[118:119], v[240:241], v[200:201] op_sel:[1,1] op_sel_hi:[0,1]
	s_set_vgpr_msb 64                       ;  msbs: dst=1 src0=0 src1=0 src2=0
	v_fmac_f32_e32 v69 /*v325*/, v229, v196
	s_set_vgpr_msb 0                        ;  msbs: dst=0 src0=0 src1=0 src2=0
	v_mov_b32_e32 v117, v129
	s_set_vgpr_msb 1                        ;  msbs: dst=0 src0=1 src1=0 src2=0
	v_pk_mul_f32 v[120:121], v[60:61] /*v[316:317]*/, v[120:121] op_sel_hi:[1,0]
	s_set_vgpr_msb 4                        ;  msbs: dst=0 src0=0 src1=1 src2=0
	v_pk_add_f32 v[124:125], v[124:125], v[66:67] /*v[322:323]*/
	s_set_vgpr_msb 0                        ;  msbs: dst=0 src0=0 src1=0 src2=0
	v_pk_fma_f32 v[130:131], v[240:241], v[200:201], v[118:119] op_sel_hi:[1,0,1]
	v_pk_fma_f32 v[118:119], v[240:241], v[200:201], v[118:119] neg_lo:[0,0,1] neg_hi:[0,0,1]
	s_wait_loadcnt 0x3
	v_pk_mul_f32 v[122:123], v[244:245], v[204:205] op_sel:[1,1] op_sel_hi:[0,1]
	v_mov_b32_e32 v126, v207
	s_set_vgpr_msb 4                        ;  msbs: dst=0 src0=0 src1=1 src2=0
	v_pk_add_f32 v[124:125], v[124:125], v[68:69] /*v[324:325]*/
	v_mov_b32_e32 v119, v131
	s_set_vgpr_msb 0                        ;  msbs: dst=0 src0=0 src1=0 src2=0
	v_pk_fma_f32 v[130:131], v[242:243], v[202:203], v[120:121] op_sel_hi:[1,0,1]
	v_pk_fma_f32 v[120:121], v[242:243], v[202:203], v[120:121] neg_lo:[0,0,1] neg_hi:[0,0,1]
	s_set_vgpr_msb 1                        ;  msbs: dst=0 src0=1 src1=0 src2=0
	v_pk_mul_f32 v[126:127], v[62:63] /*v[318:319]*/, v[126:127] op_sel_hi:[1,0]
	s_set_vgpr_msb 0                        ;  msbs: dst=0 src0=0 src1=0 src2=0
	v_pk_add_f32 v[116:117], v[124:125], v[116:117]
	v_pk_fma_f32 v[124:125], v[244:245], v[204:205], v[122:123] op_sel_hi:[1,0,1]
	v_mov_b32_e32 v121, v131
	v_pk_fma_f32 v[122:123], v[244:245], v[204:205], v[122:123] neg_lo:[0,0,1] neg_hi:[0,0,1]
	s_wait_loadcnt 0x2
	s_set_vgpr_msb 1                        ;  msbs: dst=0 src0=1 src1=0 src2=0
	v_pk_mul_f32 v[128:129], v[0:1] /*v[256:257]*/, v[208:209] op_sel:[1,1] op_sel_hi:[0,1]
	s_set_vgpr_msb 0                        ;  msbs: dst=0 src0=0 src1=0 src2=0
	v_pk_add_f32 v[116:117], v[116:117], v[118:119]
	v_dual_mov_b32 v118, v211 :: v_dual_mov_b32 v123, v125
	v_pk_fma_f32 v[124:125], v[246:247], v[206:207], v[126:127] op_sel_hi:[1,0,1]
	v_pk_fma_f32 v[126:127], v[246:247], v[206:207], v[126:127] neg_lo:[0,0,1] neg_hi:[0,0,1]
	s_delay_alu instid0(VALU_DEP_4)
	v_pk_add_f32 v[116:117], v[116:117], v[120:121]
	s_set_vgpr_msb 1                        ;  msbs: dst=0 src0=1 src1=0 src2=0
	v_pk_fma_f32 v[120:121], v[0:1] /*v[256:257]*/, v[208:209], v[128:129] op_sel_hi:[1,0,1]
	v_pk_mul_f32 v[118:119], v[64:65] /*v[320:321]*/, v[118:119] op_sel_hi:[1,0]
	s_set_vgpr_msb 0                        ;  msbs: dst=0 src0=0 src1=0 src2=0
	v_mov_b32_e32 v127, v125
	s_wait_loadcnt_dscnt 0x100
	s_set_vgpr_msb 5                        ;  msbs: dst=0 src0=1 src1=1 src2=0
	v_pk_mul_f32 v[124:125], v[56:57] /*v[312:313]*/, v[52:53] /*v[308:309]*/ op_sel:[1,1] op_sel_hi:[0,1]
	s_set_vgpr_msb 0                        ;  msbs: dst=0 src0=0 src1=0 src2=0
	v_pk_add_f32 v[116:117], v[116:117], v[122:123]
	s_set_vgpr_msb 1                        ;  msbs: dst=0 src0=1 src1=0 src2=0
	v_pk_fma_f32 v[122:123], v[0:1] /*v[256:257]*/, v[208:209], v[128:129] neg_lo:[0,0,1] neg_hi:[0,0,1]
	s_set_vgpr_msb 0                        ;  msbs: dst=0 src0=0 src1=0 src2=0
	v_mov_b32_e32 v123, v121
	s_set_vgpr_msb 1                        ;  msbs: dst=0 src0=1 src1=0 src2=0
	v_pk_fma_f32 v[120:121], v[2:3] /*v[258:259]*/, v[210:211], v[118:119] op_sel_hi:[1,0,1]
	v_pk_fma_f32 v[118:119], v[2:3] /*v[258:259]*/, v[210:211], v[118:119] neg_lo:[0,0,1] neg_hi:[0,0,1]
	s_set_vgpr_msb 0                        ;  msbs: dst=0 src0=0 src1=0 src2=0
	v_pk_add_f32 v[116:117], v[116:117], v[126:127]
	s_delay_alu instid0(VALU_DEP_3)
	v_mov_b32_e32 v119, v121
	s_set_vgpr_msb 5                        ;  msbs: dst=0 src0=1 src1=1 src2=0
	v_pk_fma_f32 v[120:121], v[56:57] /*v[312:313]*/, v[52:53] /*v[308:309]*/, v[124:125] op_sel_hi:[1,0,1]
	s_set_vgpr_msb 0                        ;  msbs: dst=0 src0=0 src1=0 src2=0
	v_pk_add_f32 v[116:117], v[116:117], v[122:123]
	s_set_vgpr_msb 5                        ;  msbs: dst=0 src0=1 src1=1 src2=0
	v_pk_fma_f32 v[122:123], v[56:57] /*v[312:313]*/, v[52:53] /*v[308:309]*/, v[124:125] neg_lo:[0,0,1] neg_hi:[0,0,1]
	s_set_vgpr_msb 0                        ;  msbs: dst=0 src0=0 src1=0 src2=0
	v_mov_b32_e32 v123, v121
	v_pk_add_f32 v[116:117], v[116:117], v[118:119]
	s_delay_alu instid0(VALU_DEP_1) | instskip(SKIP_2) | instid1(VALU_DEP_1)
	v_pk_add_f32 v[116:117], v[116:117], v[122:123]
	s_wait_loadcnt 0x0
	s_set_vgpr_msb 1                        ;  msbs: dst=0 src0=1 src1=0 src2=0
	v_pk_add_f32 v[116:117], v[54:55] /*v[310:311]*/, v[116:117] neg_lo:[0,1] neg_hi:[0,1]
	scratch_store_b64 off, v[116:117], off offset:56
	s_wait_xcnt 0x0
	v_cmpx_lt_u32_e32 6, v0
	s_set_vgpr_msb 0                        ;  msbs: dst=0 src0=0 src1=0 src2=0
	s_cbranch_execz .LBB120_343
; %bb.342:
	scratch_load_b64 v[116:117], off, off offset:48
	v_mov_b64_e32 v[118:119], 0
	scratch_store_b64 off, v[118:119], off offset:48
	s_wait_loadcnt 0x0
	ds_store_b64 v1, v[116:117]
.LBB120_343:
	s_wait_xcnt 0x0
	s_or_b32 exec_lo, exec_lo, s0
	s_wait_storecnt_dscnt 0x0
	s_barrier_signal -1
	s_barrier_wait -1
	s_clause 0x18
	scratch_load_b128 v[116:119], off, off offset:56
	scratch_load_b128 v[120:123], off, off offset:72
	;; [unrolled: 1-line block ×25, first 2 shown]
	ds_load_2addr_b64 v[216:219], v7 offset0:65 offset1:66
	ds_load_2addr_b64 v[220:223], v7 offset0:67 offset1:68
	;; [unrolled: 1-line block ×10, first 2 shown]
	s_set_vgpr_msb 64                       ;  msbs: dst=1 src0=0 src1=0 src2=0
	ds_load_2addr_b64 v[0:3] /*v[256:259]*/, v7 offset0:77 offset1:78
	ds_load_2addr_b64 v[4:7] /*v[260:263]*/, v7 offset0:79 offset1:80
	;; [unrolled: 1-line block ×9, first 2 shown]
	scratch_load_b64 v[60:61] /*v[316:317]*/, off, off offset:48
	ds_load_2addr_b64 v[36:39] /*v[292:295]*/, v7 offset0:93 offset1:94
	ds_load_2addr_b64 v[40:43] /*v[296:299]*/, v7 offset0:95 offset1:96
	;; [unrolled: 1-line block ×6, first 2 shown]
	s_mov_b32 s0, exec_lo
	s_wait_dscnt 0x13
	v_dual_mov_b32 v62 /*v318*/, v239 :: v_dual_mov_b32 v63 /*v319*/, v238
	s_wait_dscnt 0x10
	v_dual_mov_b32 v64 /*v320*/, v251 :: v_dual_mov_b32 v65 /*v321*/, v250
	;; [unrolled: 2-line block ×3, first 2 shown]
	s_wait_dscnt 0xc
	s_set_vgpr_msb 0x41                     ;  msbs: dst=1 src0=1 src1=0 src2=0
	v_dual_mov_b32 v68 /*v324*/, v11 /*v267*/ :: v_dual_mov_b32 v69 /*v325*/, v10 /*v266*/
	s_wait_loadcnt 0x19
	s_set_vgpr_msb 0                        ;  msbs: dst=0 src0=0 src1=0 src2=0
	v_dual_mul_f32 v7, v216, v117 :: v_dual_mul_f32 v9, v218, v119
	v_dual_mul_f32 v87, v217, v117 :: v_dual_mul_f32 v89, v219, v119
	s_wait_loadcnt 0x18
	v_dual_mul_f32 v11, v220, v121 :: v_dual_mul_f32 v13, v222, v123
	s_delay_alu instid0(VALU_DEP_3) | instskip(SKIP_3) | instid1(VALU_DEP_3)
	v_dual_fmac_f32 v7, v217, v116 :: v_dual_fmac_f32 v9, v219, v118
	s_wait_loadcnt 0x16
	v_dual_fma_f32 v87, v216, v116, -v87 :: v_dual_mul_f32 v99, v229, v129
	v_dual_mul_f32 v91, v221, v121 :: v_dual_mul_f32 v93, v223, v123
	v_dual_fma_f32 v89, v218, v118, -v89 :: v_dual_add_f32 v7, 0, v7
	s_delay_alu instid0(VALU_DEP_3) | instskip(SKIP_1) | instid1(VALU_DEP_4)
	v_dual_add_f32 v87, 0, v87 :: v_dual_fmac_f32 v11, v221, v120
	v_dual_mul_f32 v15, v224, v125 :: v_dual_mul_f32 v17, v226, v127
	v_dual_mul_f32 v101, v231, v131 :: v_dual_fma_f32 v91, v220, v120, -v91
	s_delay_alu instid0(VALU_DEP_4) | instskip(NEXT) | instid1(VALU_DEP_3)
	v_add_f32_e32 v7, v7, v9
	v_dual_add_f32 v9, v87, v89 :: v_dual_fmac_f32 v15, v225, v124
	v_dual_mul_f32 v95, v225, v125 :: v_dual_mul_f32 v97, v227, v127
	s_wait_loadcnt 0x15
	v_dual_mul_f32 v87, v241, v133 :: v_dual_fmac_f32 v13, v223, v122
	v_dual_fma_f32 v89, v222, v122, -v93 :: v_dual_add_f32 v7, v7, v11
	s_delay_alu instid0(VALU_DEP_3) | instskip(SKIP_1) | instid1(VALU_DEP_3)
	v_dual_add_f32 v9, v9, v91 :: v_dual_fma_f32 v91, v224, v124, -v95
	v_dual_mul_f32 v19, v228, v129 :: v_dual_mul_f32 v21, v230, v131
	v_add_f32_e32 v7, v7, v13
	s_delay_alu instid0(VALU_DEP_3) | instskip(SKIP_2) | instid1(VALU_DEP_3)
	v_dual_mul_f32 v11, v243, v135 :: v_dual_add_f32 v9, v9, v89
	s_wait_loadcnt 0x14
	v_dual_mul_f32 v13, v245, v137 :: v_dual_fmac_f32 v17, v227, v126
	v_dual_fma_f32 v89, v226, v126, -v97 :: v_dual_add_f32 v7, v7, v15
	s_delay_alu instid0(VALU_DEP_3) | instskip(SKIP_1) | instid1(VALU_DEP_3)
	v_dual_add_f32 v9, v9, v91 :: v_dual_fma_f32 v91, v228, v128, -v99
	v_dual_mul_f32 v15, v247, v139 :: v_dual_fmac_f32 v19, v229, v128
	v_add_f32_e32 v7, v7, v17
	s_delay_alu instid0(VALU_DEP_3) | instskip(SKIP_1) | instid1(VALU_DEP_3)
	v_dual_add_f32 v9, v9, v89 :: v_dual_fmac_f32 v21, v231, v130
	v_dual_mul_f32 v23, v240, v133 :: v_dual_mul_f32 v25, v242, v135
	v_dual_fma_f32 v89, v230, v130, -v101 :: v_dual_add_f32 v7, v7, v19
	s_delay_alu instid0(VALU_DEP_3) | instskip(NEXT) | instid1(VALU_DEP_3)
	v_dual_add_f32 v9, v9, v91 :: v_dual_fma_f32 v87, v240, v132, -v87
	v_dual_fmac_f32 v23, v241, v132 :: v_dual_mul_f32 v27, v244, v137
	s_delay_alu instid0(VALU_DEP_3) | instskip(NEXT) | instid1(VALU_DEP_3)
	v_dual_mul_f32 v29, v246, v139 :: v_dual_add_f32 v7, v7, v21
	v_dual_fma_f32 v11, v242, v134, -v11 :: v_dual_add_f32 v9, v9, v89
	s_delay_alu instid0(VALU_DEP_3) | instskip(NEXT) | instid1(VALU_DEP_3)
	v_dual_fmac_f32 v25, v243, v134 :: v_dual_fmac_f32 v27, v245, v136
	v_dual_add_f32 v7, v7, v23 :: v_dual_fma_f32 v13, v244, v136, -v13
	s_delay_alu instid0(VALU_DEP_3)
	v_add_f32_e32 v9, v9, v87
	s_wait_loadcnt 0x13
	s_set_vgpr_msb 1                        ;  msbs: dst=0 src0=1 src1=0 src2=0
	v_dual_mul_f32 v31, v0 /*v256*/, v141 :: v_dual_mul_f32 v33, v2 /*v258*/, v143
	s_set_vgpr_msb 0                        ;  msbs: dst=0 src0=0 src1=0 src2=0
	v_add_f32_e32 v7, v7, v25
	s_set_vgpr_msb 1                        ;  msbs: dst=0 src0=1 src1=0 src2=0
	v_dual_mul_f32 v17, v1 /*v257*/, v141 :: v_dual_mul_f32 v19, v3 /*v259*/, v143
	s_set_vgpr_msb 0                        ;  msbs: dst=0 src0=0 src1=0 src2=0
	v_dual_add_f32 v9, v9, v11 :: v_dual_fmac_f32 v29, v247, v138
	v_dual_fma_f32 v15, v246, v138, -v15 :: v_dual_add_f32 v7, v7, v27
	s_set_vgpr_msb 1                        ;  msbs: dst=0 src0=1 src1=0 src2=0
	v_dual_fmac_f32 v31, v1 /*v257*/, v140 :: v_dual_fma_f32 v17, v0 /*v256*/, v140, -v17
	s_set_vgpr_msb 0                        ;  msbs: dst=0 src0=0 src1=0 src2=0
	v_add_f32_e32 v9, v9, v13
	s_wait_loadcnt 0x12
	s_set_vgpr_msb 1                        ;  msbs: dst=0 src0=1 src1=0 src2=0
	v_dual_mul_f32 v35, v4 /*v260*/, v145 :: v_dual_mul_f32 v37, v6 /*v262*/, v147
	s_set_vgpr_msb 0                        ;  msbs: dst=0 src0=0 src1=0 src2=0
	v_add_f32_e32 v7, v7, v29
	s_set_vgpr_msb 1                        ;  msbs: dst=0 src0=1 src1=0 src2=0
	v_dual_mul_f32 v21, v5 /*v261*/, v145 :: v_dual_mul_f32 v23, v7 /*v263*/, v147
	s_set_vgpr_msb 0                        ;  msbs: dst=0 src0=0 src1=0 src2=0
	v_add_f32_e32 v9, v9, v15
	s_wait_loadcnt_dscnt 0x100a
	s_set_vgpr_msb 1                        ;  msbs: dst=0 src0=1 src1=0 src2=0
	v_dual_mul_f32 v15, v17 /*v273*/, v153 :: v_dual_fmac_f32 v33, v3 /*v259*/, v142
	v_fma_f32 v19, v2 /*v258*/, v142, -v19
	s_set_vgpr_msb 0                        ;  msbs: dst=0 src0=0 src1=0 src2=0
	v_dual_add_f32 v7, v7, v31 :: v_dual_add_f32 v9, v9, v17
	s_set_vgpr_msb 1                        ;  msbs: dst=0 src0=1 src1=0 src2=0
	v_dual_mul_f32 v17, v19 /*v275*/, v155 :: v_dual_fmac_f32 v35, v5 /*v261*/, v144
	v_fma_f32 v21, v4 /*v260*/, v144, -v21
	s_set_vgpr_msb 0                        ;  msbs: dst=0 src0=0 src1=0 src2=0
	v_dual_add_f32 v7, v7, v33 :: v_dual_add_f32 v9, v9, v19
	s_set_vgpr_msb 1                        ;  msbs: dst=0 src0=1 src1=0 src2=0
	v_dual_mul_f32 v11, v13 /*v269*/, v149 :: v_dual_mul_f32 v13, v15 /*v271*/, v151
	s_wait_loadcnt_dscnt 0xf09
	v_dual_mul_f32 v19, v21 /*v277*/, v157 :: v_dual_fmac_f32 v37, v7 /*v263*/, v146
	v_fma_f32 v23, v6 /*v262*/, v146, -v23
	s_set_vgpr_msb 0                        ;  msbs: dst=0 src0=0 src1=0 src2=0
	v_dual_add_f32 v7, v7, v35 :: v_dual_add_f32 v9, v9, v21
	s_set_vgpr_msb 1                        ;  msbs: dst=0 src0=1 src1=0 src2=0
	v_dual_mul_f32 v39, v12 /*v268*/, v149 :: v_dual_mul_f32 v41, v14 /*v270*/, v151
	v_dual_mul_f32 v21, v23 /*v279*/, v159 :: v_dual_fma_f32 v11, v12 /*v268*/, v148, -v11
	s_set_vgpr_msb 0                        ;  msbs: dst=0 src0=0 src1=0 src2=0
	v_dual_add_f32 v7, v7, v37 :: v_dual_add_f32 v9, v9, v23
	s_set_vgpr_msb 1                        ;  msbs: dst=0 src0=1 src1=0 src2=0
	v_dual_fmac_f32 v39, v13 /*v269*/, v148 :: v_dual_fmac_f32 v41, v15 /*v271*/, v150
	s_wait_loadcnt_dscnt 0xe08
	v_dual_mul_f32 v23, v25 /*v281*/, v161 :: v_dual_fma_f32 v13, v14 /*v270*/, v150, -v13
	s_set_vgpr_msb 0                        ;  msbs: dst=0 src0=0 src1=0 src2=0
	v_add_f32_e32 v9, v9, v11
	s_set_vgpr_msb 1                        ;  msbs: dst=0 src0=1 src1=0 src2=0
	v_dual_mul_f32 v43, v16 /*v272*/, v153 :: v_dual_mul_f32 v45, v18 /*v274*/, v155
	v_mul_f32_e32 v11, v27 /*v283*/, v163
	s_set_vgpr_msb 0                        ;  msbs: dst=0 src0=0 src1=0 src2=0
	v_dual_add_f32 v7, v7, v39 :: v_dual_add_f32 v9, v9, v13
	s_wait_loadcnt_dscnt 0xd07
	s_set_vgpr_msb 1                        ;  msbs: dst=0 src0=1 src1=0 src2=0
	v_dual_fma_f32 v15, v16 /*v272*/, v152, -v15 :: v_dual_mul_f32 v13, v29 /*v285*/, v165
	v_dual_fmac_f32 v43, v17 /*v273*/, v152 :: v_dual_fmac_f32 v45, v19 /*v275*/, v154
	s_set_vgpr_msb 0                        ;  msbs: dst=0 src0=0 src1=0 src2=0
	v_add_f32_e32 v7, v7, v41
	s_set_vgpr_msb 1                        ;  msbs: dst=0 src0=1 src1=0 src2=0
	v_fma_f32 v17, v18 /*v274*/, v154, -v17
	s_set_vgpr_msb 0                        ;  msbs: dst=0 src0=0 src1=0 src2=0
	v_add_f32_e32 v9, v9, v15
	s_set_vgpr_msb 1                        ;  msbs: dst=0 src0=1 src1=0 src2=0
	v_dual_mul_f32 v47, v20 /*v276*/, v157 :: v_dual_mul_f32 v49, v22 /*v278*/, v159
	v_mul_f32_e32 v15, v31 /*v287*/, v167
	s_set_vgpr_msb 0                        ;  msbs: dst=0 src0=0 src1=0 src2=0
	v_dual_add_f32 v7, v7, v43 :: v_dual_add_f32 v9, v9, v17
	s_wait_loadcnt_dscnt 0xc06
	s_set_vgpr_msb 1                        ;  msbs: dst=0 src0=1 src1=0 src2=0
	v_dual_fma_f32 v19, v20 /*v276*/, v156, -v19 :: v_dual_mul_f32 v17, v33 /*v289*/, v169
	v_dual_fmac_f32 v47, v21 /*v277*/, v156 :: v_dual_fmac_f32 v49, v23 /*v279*/, v158
	s_set_vgpr_msb 0                        ;  msbs: dst=0 src0=0 src1=0 src2=0
	v_add_f32_e32 v7, v7, v45
	s_set_vgpr_msb 1                        ;  msbs: dst=0 src0=1 src1=0 src2=0
	v_fma_f32 v21, v22 /*v278*/, v158, -v21
	s_set_vgpr_msb 0                        ;  msbs: dst=0 src0=0 src1=0 src2=0
	v_add_f32_e32 v9, v9, v19
	s_set_vgpr_msb 1                        ;  msbs: dst=0 src0=1 src1=0 src2=0
	v_dual_mul_f32 v51, v24 /*v280*/, v161 :: v_dual_mul_f32 v53, v26 /*v282*/, v163
	v_mul_f32_e32 v19, v35 /*v291*/, v171
	s_set_vgpr_msb 0                        ;  msbs: dst=0 src0=0 src1=0 src2=0
	v_dual_add_f32 v7, v7, v47 :: v_dual_add_f32 v9, v9, v21
	s_wait_loadcnt_dscnt 0xb05
	s_set_vgpr_msb 1                        ;  msbs: dst=0 src0=1 src1=0 src2=0
	v_dual_fma_f32 v23, v24 /*v280*/, v160, -v23 :: v_dual_mul_f32 v21, v37 /*v293*/, v173
	v_dual_mul_f32 v55, v28 /*v284*/, v165 :: v_dual_mul_f32 v57, v30 /*v286*/, v167
	v_dual_mul_f32 v59, v32 /*v288*/, v169 :: v_dual_mul_f32 v61, v34 /*v290*/, v171
	v_dual_fmac_f32 v51, v25 /*v281*/, v160 :: v_dual_fmac_f32 v53, v27 /*v283*/, v162
	v_fma_f32 v11, v26 /*v282*/, v162, -v11
	s_set_vgpr_msb 0                        ;  msbs: dst=0 src0=0 src1=0 src2=0
	v_dual_add_f32 v9, v9, v23 :: v_dual_add_f32 v7, v7, v49
	s_set_vgpr_msb 1                        ;  msbs: dst=0 src0=1 src1=0 src2=0
	v_dual_mul_f32 v23, v39 /*v295*/, v175 :: v_dual_fmac_f32 v55, v29 /*v285*/, v164
	v_fma_f32 v13, v28 /*v284*/, v164, -v13
	v_dual_fmac_f32 v57, v31 /*v287*/, v166 :: v_dual_fmac_f32 v59, v33 /*v289*/, v168
	s_set_vgpr_msb 0                        ;  msbs: dst=0 src0=0 src1=0 src2=0
	v_add_f32_e32 v9, v9, v11
	s_set_vgpr_msb 1                        ;  msbs: dst=0 src0=1 src1=0 src2=0
	v_dual_mul_f32 v63, v36 /*v292*/, v173 :: v_dual_mul_f32 v65, v38 /*v294*/, v175
	s_set_vgpr_msb 0                        ;  msbs: dst=0 src0=0 src1=0 src2=0
	v_add_f32_e32 v7, v7, v51
	s_wait_loadcnt_dscnt 0xa04
	s_set_vgpr_msb 1                        ;  msbs: dst=0 src0=1 src1=0 src2=0
	v_dual_mul_f32 v11, v41 /*v297*/, v177 :: v_dual_fma_f32 v15, v30 /*v286*/, v166, -v15
	s_set_vgpr_msb 0                        ;  msbs: dst=0 src0=0 src1=0 src2=0
	v_add_f32_e32 v9, v9, v13
	s_set_vgpr_msb 1                        ;  msbs: dst=0 src0=1 src1=0 src2=0
	v_dual_mul_f32 v13, v43 /*v299*/, v179 :: v_dual_fma_f32 v17, v32 /*v288*/, v168, -v17
	s_set_vgpr_msb 0                        ;  msbs: dst=0 src0=0 src1=0 src2=0
	v_add_f32_e32 v7, v7, v53
	s_set_vgpr_msb 1                        ;  msbs: dst=0 src0=1 src1=0 src2=0
	v_dual_fmac_f32 v61, v35 /*v291*/, v170 :: v_dual_fmac_f32 v63, v37 /*v293*/, v172
	s_set_vgpr_msb 0                        ;  msbs: dst=0 src0=0 src1=0 src2=0
	v_add_f32_e32 v9, v9, v15
	s_set_vgpr_msb 1                        ;  msbs: dst=0 src0=1 src1=0 src2=0
	v_dual_mul_f32 v67, v40 /*v296*/, v177 :: v_dual_mul_f32 v69, v42 /*v298*/, v179
	s_set_vgpr_msb 0                        ;  msbs: dst=0 src0=0 src1=0 src2=0
	v_add_f32_e32 v7, v7, v55
	s_wait_loadcnt_dscnt 0x903
	s_set_vgpr_msb 1                        ;  msbs: dst=0 src0=1 src1=0 src2=0
	v_dual_mul_f32 v15, v45 /*v301*/, v181 :: v_dual_fma_f32 v19, v34 /*v290*/, v170, -v19
	s_set_vgpr_msb 0                        ;  msbs: dst=0 src0=0 src1=0 src2=0
	v_add_f32_e32 v9, v9, v17
	s_set_vgpr_msb 1                        ;  msbs: dst=0 src0=1 src1=0 src2=0
	v_dual_mul_f32 v17, v47 /*v303*/, v183 :: v_dual_fma_f32 v21, v36 /*v292*/, v172, -v21
	s_set_vgpr_msb 0                        ;  msbs: dst=0 src0=0 src1=0 src2=0
	v_add_f32_e32 v7, v7, v57
	s_set_vgpr_msb 1                        ;  msbs: dst=0 src0=1 src1=0 src2=0
	v_dual_fmac_f32 v65, v39 /*v295*/, v174 :: v_dual_fmac_f32 v67, v41 /*v297*/, v176
	s_set_vgpr_msb 0                        ;  msbs: dst=0 src0=0 src1=0 src2=0
	v_add_f32_e32 v9, v9, v19
	s_set_vgpr_msb 1                        ;  msbs: dst=0 src0=1 src1=0 src2=0
	v_dual_mul_f32 v71, v44 /*v300*/, v181 :: v_dual_mul_f32 v73, v46 /*v302*/, v183
	s_set_vgpr_msb 0                        ;  msbs: dst=0 src0=0 src1=0 src2=0
	v_add_f32_e32 v7, v7, v59
	s_wait_loadcnt_dscnt 0x802
	s_set_vgpr_msb 1                        ;  msbs: dst=0 src0=1 src1=0 src2=0
	v_dual_mul_f32 v19, v49 /*v305*/, v185 :: v_dual_fma_f32 v23, v38 /*v294*/, v174, -v23
	s_set_vgpr_msb 0                        ;  msbs: dst=0 src0=0 src1=0 src2=0
	v_add_f32_e32 v9, v9, v21
	s_set_vgpr_msb 1                        ;  msbs: dst=0 src0=1 src1=0 src2=0
	v_dual_mul_f32 v75, v48 /*v304*/, v185 :: v_dual_mul_f32 v77, v50 /*v306*/, v187
	s_set_vgpr_msb 0                        ;  msbs: dst=0 src0=0 src1=0 src2=0
	v_add_f32_e32 v7, v7, v61
	s_set_vgpr_msb 1                        ;  msbs: dst=0 src0=1 src1=0 src2=0
	v_dual_mul_f32 v21, v51 /*v307*/, v187 :: v_dual_fma_f32 v11, v40 /*v296*/, v176, -v11
	v_dual_fmac_f32 v69, v43 /*v299*/, v178 :: v_dual_fmac_f32 v71, v45 /*v301*/, v180
	s_set_vgpr_msb 0                        ;  msbs: dst=0 src0=0 src1=0 src2=0
	v_add_f32_e32 v9, v9, v23
	s_wait_loadcnt_dscnt 0x701
	s_set_vgpr_msb 1                        ;  msbs: dst=0 src0=1 src1=0 src2=0
	v_dual_mul_f32 v23, v53 /*v309*/, v189 :: v_dual_fma_f32 v13, v42 /*v298*/, v178, -v13
	v_dual_fmac_f32 v73, v47 /*v303*/, v182 :: v_dual_fmac_f32 v75, v49 /*v305*/, v184
	s_set_vgpr_msb 0                        ;  msbs: dst=0 src0=0 src1=0 src2=0
	v_add_f32_e32 v9, v9, v11
	v_add_f32_e32 v7, v7, v63
	s_set_vgpr_msb 1                        ;  msbs: dst=0 src0=1 src1=0 src2=0
	v_dual_mul_f32 v79, v52 /*v308*/, v189 :: v_dual_mul_f32 v81, v54 /*v310*/, v191
	v_dual_mul_f32 v11, v55 /*v311*/, v191 :: v_dual_fma_f32 v15, v44 /*v300*/, v180, -v15
	s_set_vgpr_msb 0                        ;  msbs: dst=0 src0=0 src1=0 src2=0
	v_add_f32_e32 v9, v9, v13
	v_add_f32_e32 v7, v7, v65
	s_wait_loadcnt_dscnt 0x600
	s_set_vgpr_msb 1                        ;  msbs: dst=0 src0=1 src1=0 src2=0
	v_dual_mul_f32 v13, v57 /*v313*/, v193 :: v_dual_fma_f32 v17, v46 /*v302*/, v182, -v17
	v_dual_fmac_f32 v77, v51 /*v307*/, v186 :: v_dual_fmac_f32 v79, v53 /*v309*/, v188
	s_set_vgpr_msb 0                        ;  msbs: dst=0 src0=0 src1=0 src2=0
	v_add_f32_e32 v9, v9, v15
	v_add_f32_e32 v7, v7, v67
	s_set_vgpr_msb 1                        ;  msbs: dst=0 src0=1 src1=0 src2=0
	v_dual_mul_f32 v15, v59 /*v315*/, v195 :: v_dual_fma_f32 v19, v48 /*v304*/, v184, -v19
	v_dual_fma_f32 v21, v50 /*v306*/, v186, -v21 :: v_dual_fma_f32 v23, v52 /*v308*/, v188, -v23
	s_set_vgpr_msb 0                        ;  msbs: dst=0 src0=0 src1=0 src2=0
	v_add_f32_e32 v9, v9, v17
	v_add_f32_e32 v7, v7, v69
	s_wait_loadcnt 0x4
	v_dual_mul_f32 v17, v233, v197 :: v_dual_mov_b32 v118, v203
	s_set_vgpr_msb 1                        ;  msbs: dst=0 src0=1 src1=0 src2=0
	v_dual_mul_f32 v83, v56 /*v312*/, v193 :: v_dual_mul_f32 v85, v58 /*v314*/, v195
	s_set_vgpr_msb 0                        ;  msbs: dst=0 src0=0 src1=0 src2=0
	v_add_f32_e32 v7, v7, v71
	v_add_f32_e32 v9, v9, v19
	s_set_vgpr_msb 1                        ;  msbs: dst=0 src0=1 src1=0 src2=0
	v_dual_fmac_f32 v81, v55 /*v311*/, v190 :: v_dual_fma_f32 v11, v54 /*v310*/, v190, -v11
	v_dual_fmac_f32 v83, v57 /*v313*/, v192 :: v_dual_fma_f32 v13, v56 /*v312*/, v192, -v13
	s_set_vgpr_msb 0                        ;  msbs: dst=0 src0=0 src1=0 src2=0
	v_add_f32_e32 v7, v7, v73
	v_add_f32_e32 v9, v9, v21
	s_set_vgpr_msb 64                       ;  msbs: dst=1 src0=0 src1=0 src2=0
	v_dual_mul_f32 v71 /*v327*/, v232, v197 :: v_dual_mul_f32 v73 /*v329*/, v234, v199
	s_set_vgpr_msb 1                        ;  msbs: dst=0 src0=1 src1=0 src2=0
	v_fmac_f32_e32 v85, v59 /*v315*/, v194
	s_set_vgpr_msb 0                        ;  msbs: dst=0 src0=0 src1=0 src2=0
	v_add_f32_e32 v7, v7, v75
	s_wait_loadcnt 0x3
	v_mov_b32_e32 v122, v207
	v_pk_mul_f32 v[116:117], v[236:237], v[200:201] op_sel:[1,1] op_sel_hi:[0,1]
	s_set_vgpr_msb 64                       ;  msbs: dst=1 src0=0 src1=0 src2=0
	v_dual_fmac_f32 v71 /*v327*/, v233, v196 :: v_dual_fmac_f32 v73 /*v329*/, v235, v198
	s_set_vgpr_msb 0                        ;  msbs: dst=0 src0=0 src1=0 src2=0
	v_add_f32_e32 v7, v7, v77
	s_set_vgpr_msb 1                        ;  msbs: dst=0 src0=1 src1=0 src2=0
	v_pk_mul_f32 v[118:119], v[62:63] /*v[318:319]*/, v[118:119] op_sel_hi:[1,0]
	s_set_vgpr_msb 0                        ;  msbs: dst=0 src0=0 src1=0 src2=0
	v_pk_fma_f32 v[126:127], v[236:237], v[200:201], v[116:117] op_sel_hi:[1,0,1]
	v_pk_fma_f32 v[116:117], v[236:237], v[200:201], v[116:117] neg_lo:[0,0,1] neg_hi:[0,0,1]
	v_pk_mul_f32 v[120:121], v[248:249], v[204:205] op_sel:[1,1] op_sel_hi:[0,1]
	v_add_f32_e32 v7, v7, v79
	s_delay_alu instid0(VALU_DEP_4) | instskip(SKIP_2) | instid1(VALU_DEP_3)
	v_dual_add_f32 v9, v9, v23 :: v_dual_mov_b32 v117, v127
	v_pk_fma_f32 v[126:127], v[238:239], v[202:203], v[118:119] op_sel_hi:[1,0,1]
	v_pk_fma_f32 v[118:119], v[238:239], v[202:203], v[118:119] neg_lo:[0,0,1] neg_hi:[0,0,1]
	v_dual_add_f32 v7, v7, v81 :: v_dual_add_f32 v9, v9, v11
	v_mul_f32_e32 v19, v235, v199
	s_set_vgpr_msb 1                        ;  msbs: dst=0 src0=1 src1=0 src2=0
	v_fma_f32 v11, v58 /*v314*/, v194, -v15
	s_set_vgpr_msb 0                        ;  msbs: dst=0 src0=0 src1=0 src2=0
	v_pk_fma_f32 v[130:131], v[248:249], v[204:205], v[120:121] op_sel_hi:[1,0,1]
	v_dual_add_f32 v7, v7, v83 :: v_dual_add_f32 v9, v9, v13
	s_set_vgpr_msb 64                       ;  msbs: dst=1 src0=0 src1=0 src2=0
	v_dual_fma_f32 v70 /*v326*/, v232, v196, -v17 :: v_dual_fma_f32 v72 /*v328*/, v234, v198, -v19
	s_set_vgpr_msb 1                        ;  msbs: dst=0 src0=1 src1=0 src2=0
	v_pk_mul_f32 v[122:123], v[64:65] /*v[320:321]*/, v[122:123] op_sel_hi:[1,0]
	s_set_vgpr_msb 0                        ;  msbs: dst=0 src0=0 src1=0 src2=0
	v_dual_add_f32 v125, v7, v85 :: v_dual_add_f32 v124, v9, v11
	v_mov_b32_e32 v119, v127
	s_wait_loadcnt 0x2
	v_pk_mul_f32 v[128:129], v[252:253], v[208:209] op_sel:[1,1] op_sel_hi:[0,1]
	v_pk_fma_f32 v[120:121], v[248:249], v[204:205], v[120:121] neg_lo:[0,0,1] neg_hi:[0,0,1]
	v_mov_b32_e32 v121, v131
	s_set_vgpr_msb 4                        ;  msbs: dst=0 src0=0 src1=1 src2=0
	v_pk_add_f32 v[124:125], v[124:125], v[70:71] /*v[326:327]*/
	s_set_vgpr_msb 0                        ;  msbs: dst=0 src0=0 src1=0 src2=0
	v_pk_fma_f32 v[126:127], v[250:251], v[206:207], v[122:123] op_sel_hi:[1,0,1]
	v_pk_fma_f32 v[122:123], v[250:251], v[206:207], v[122:123] neg_lo:[0,0,1] neg_hi:[0,0,1]
	s_set_vgpr_msb 4                        ;  msbs: dst=0 src0=0 src1=1 src2=0
	v_pk_add_f32 v[124:125], v[124:125], v[72:73] /*v[328:329]*/
	s_set_vgpr_msb 0                        ;  msbs: dst=0 src0=0 src1=0 src2=0
	s_delay_alu instid0(VALU_DEP_1) | instskip(SKIP_1) | instid1(VALU_DEP_2)
	v_pk_add_f32 v[116:117], v[124:125], v[116:117]
	v_mov_b32_e32 v124, v211
	v_pk_add_f32 v[116:117], v[116:117], v[118:119]
	v_pk_fma_f32 v[118:119], v[252:253], v[208:209], v[128:129] op_sel_hi:[1,0,1]
	s_set_vgpr_msb 1                        ;  msbs: dst=0 src0=1 src1=0 src2=0
	s_delay_alu instid0(VALU_DEP_3)
	v_pk_mul_f32 v[124:125], v[66:67] /*v[322:323]*/, v[124:125] op_sel_hi:[1,0]
	s_set_vgpr_msb 0                        ;  msbs: dst=0 src0=0 src1=0 src2=0
	v_mov_b32_e32 v123, v127
	v_pk_fma_f32 v[126:127], v[252:253], v[208:209], v[128:129] neg_lo:[0,0,1] neg_hi:[0,0,1]
	v_pk_add_f32 v[116:117], v[116:117], v[120:121]
	v_mov_b32_e32 v127, v119
	v_pk_fma_f32 v[118:119], v[254:255], v[210:211], v[124:125] op_sel_hi:[1,0,1]
	s_wait_loadcnt 0x1
	s_set_vgpr_msb 1                        ;  msbs: dst=0 src0=1 src1=0 src2=0
	v_pk_mul_f32 v[120:121], v[8:9] /*v[264:265]*/, v[212:213] op_sel:[1,1] op_sel_hi:[0,1]
	s_set_vgpr_msb 0                        ;  msbs: dst=0 src0=0 src1=0 src2=0
	v_mov_b32_e32 v118, v215
	v_pk_add_f32 v[116:117], v[116:117], v[122:123]
	v_pk_fma_f32 v[124:125], v[254:255], v[210:211], v[124:125] neg_lo:[0,0,1] neg_hi:[0,0,1]
	v_mov_b32_e32 v125, v119
	s_set_vgpr_msb 1                        ;  msbs: dst=0 src0=1 src1=0 src2=0
	v_pk_fma_f32 v[122:123], v[8:9] /*v[264:265]*/, v[212:213], v[120:121] op_sel_hi:[1,0,1]
	v_pk_mul_f32 v[118:119], v[68:69] /*v[324:325]*/, v[118:119] op_sel_hi:[1,0]
	s_set_vgpr_msb 0                        ;  msbs: dst=0 src0=0 src1=0 src2=0
	v_pk_add_f32 v[116:117], v[116:117], v[126:127]
	s_set_vgpr_msb 1                        ;  msbs: dst=0 src0=1 src1=0 src2=0
	v_pk_fma_f32 v[120:121], v[8:9] /*v[264:265]*/, v[212:213], v[120:121] neg_lo:[0,0,1] neg_hi:[0,0,1]
	s_set_vgpr_msb 0                        ;  msbs: dst=0 src0=0 src1=0 src2=0
	v_mov_b32_e32 v121, v123
	s_set_vgpr_msb 1                        ;  msbs: dst=0 src0=1 src1=0 src2=0
	v_pk_fma_f32 v[122:123], v[10:11] /*v[266:267]*/, v[214:215], v[118:119] op_sel_hi:[1,0,1]
	s_set_vgpr_msb 0                        ;  msbs: dst=0 src0=0 src1=0 src2=0
	v_pk_add_f32 v[116:117], v[116:117], v[124:125]
	s_set_vgpr_msb 1                        ;  msbs: dst=0 src0=1 src1=0 src2=0
	v_pk_fma_f32 v[118:119], v[10:11] /*v[266:267]*/, v[214:215], v[118:119] neg_lo:[0,0,1] neg_hi:[0,0,1]
	s_set_vgpr_msb 0                        ;  msbs: dst=0 src0=0 src1=0 src2=0
	v_mov_b32_e32 v119, v123
	v_pk_add_f32 v[116:117], v[116:117], v[120:121]
	s_delay_alu instid0(VALU_DEP_1) | instskip(SKIP_2) | instid1(VALU_DEP_1)
	v_pk_add_f32 v[116:117], v[116:117], v[118:119]
	s_wait_loadcnt 0x0
	s_set_vgpr_msb 1                        ;  msbs: dst=0 src0=1 src1=0 src2=0
	v_pk_add_f32 v[116:117], v[60:61] /*v[316:317]*/, v[116:117] neg_lo:[0,1] neg_hi:[0,1]
	scratch_store_b64 off, v[116:117], off offset:48
	s_wait_xcnt 0x0
	v_cmpx_lt_u32_e32 5, v0
	s_set_vgpr_msb 0                        ;  msbs: dst=0 src0=0 src1=0 src2=0
	s_cbranch_execz .LBB120_345
; %bb.344:
	scratch_load_b64 v[116:117], off, off offset:40
	v_mov_b64_e32 v[118:119], 0
	scratch_store_b64 off, v[118:119], off offset:40
	s_wait_loadcnt 0x0
	ds_store_b64 v1, v[116:117]
.LBB120_345:
	s_wait_xcnt 0x0
	s_or_b32 exec_lo, exec_lo, s0
	s_wait_storecnt_dscnt 0x0
	s_barrier_signal -1
	s_barrier_wait -1
	s_clause 0x1b
	scratch_load_b128 v[116:119], off, off offset:48
	scratch_load_b128 v[120:123], off, off offset:64
	;; [unrolled: 1-line block ×25, first 2 shown]
	s_set_vgpr_msb 64                       ;  msbs: dst=1 src0=0 src1=0 src2=0
	scratch_load_b64 v[60:61] /*v[316:317]*/, off, off offset:448
	scratch_load_b64 v[62:63] /*v[318:319]*/, off, off offset:40
	s_set_vgpr_msb 0                        ;  msbs: dst=0 src0=0 src1=0 src2=0
	v_mov_b32_e32 v7, 0
	ds_load_b128 v[216:219], v7 offset:512
	ds_load_b128 v[220:223], v7 offset:528
	;; [unrolled: 1-line block ×10, first 2 shown]
	s_set_vgpr_msb 64                       ;  msbs: dst=1 src0=0 src1=0 src2=0
	ds_load_b128 v[0:3] /*v[256:259]*/, v7 offset:608
	ds_load_b128 v[4:7] /*v[260:263]*/, v7 offset:624
	;; [unrolled: 1-line block ×15, first 2 shown]
	ds_load_b64 v[64:65] /*v[320:321]*/, v7 offset:912
	s_wait_dscnt 0x14
	v_dual_mov_b32 v66 /*v322*/, v239 :: v_dual_mov_b32 v67 /*v323*/, v238
	s_wait_dscnt 0x11
	v_dual_mov_b32 v68 /*v324*/, v251 :: v_dual_mov_b32 v69 /*v325*/, v250
	;; [unrolled: 2-line block ×3, first 2 shown]
	s_wait_dscnt 0xd
	s_set_vgpr_msb 0x41                     ;  msbs: dst=1 src0=1 src1=0 src2=0
	v_dual_mov_b32 v72 /*v328*/, v11 /*v267*/ :: v_dual_mov_b32 v73 /*v329*/, v10 /*v266*/
	s_mov_b32 s0, exec_lo
	s_wait_loadcnt 0x1a
	s_set_vgpr_msb 0                        ;  msbs: dst=0 src0=0 src1=0 src2=0
	v_dual_mul_f32 v9, v216, v117 :: v_dual_mul_f32 v91, v217, v117
	v_dual_mul_f32 v93, v219, v119 :: v_dual_mul_f32 v11, v218, v119
	s_wait_loadcnt 0x19
	v_mul_f32_e32 v13, v220, v121
	s_wait_loadcnt 0x17
	v_dual_mul_f32 v103, v229, v129 :: v_dual_fma_f32 v91, v216, v116, -v91
	v_dual_fmac_f32 v9, v217, v116 :: v_dual_mul_f32 v105, v231, v131
	v_dual_mul_f32 v95, v221, v121 :: v_dual_mul_f32 v97, v223, v123
	v_dual_fmac_f32 v11, v219, v118 :: v_dual_fma_f32 v93, v218, v118, -v93
	s_delay_alu instid0(VALU_DEP_3) | instskip(SKIP_4) | instid1(VALU_DEP_3)
	v_dual_add_f32 v9, 0, v9 :: v_dual_add_f32 v91, 0, v91
	v_dual_mul_f32 v15, v222, v123 :: v_dual_mul_f32 v17, v224, v125
	s_wait_loadcnt 0x16
	v_dual_mul_f32 v107, v241, v133 :: v_dual_fma_f32 v95, v220, v120, -v95
	v_fmac_f32_e32 v13, v221, v120
	v_dual_add_f32 v9, v9, v11 :: v_dual_fmac_f32 v15, v223, v122
	v_add_f32_e32 v11, v91, v93
	v_dual_mul_f32 v99, v225, v125 :: v_dual_mul_f32 v101, v227, v127
	v_dual_mul_f32 v91, v243, v135 :: v_dual_fma_f32 v93, v222, v122, -v97
	s_delay_alu instid0(VALU_DEP_3) | instskip(SKIP_3) | instid1(VALU_DEP_3)
	v_dual_add_f32 v9, v9, v13 :: v_dual_add_f32 v11, v11, v95
	v_dual_mul_f32 v19, v226, v127 :: v_dual_mul_f32 v21, v228, v129
	s_wait_loadcnt 0x15
	v_dual_mul_f32 v13, v245, v137 :: v_dual_fma_f32 v95, v224, v124, -v99
	v_dual_fmac_f32 v17, v225, v124 :: v_dual_add_f32 v11, v11, v93
	s_delay_alu instid0(VALU_DEP_3) | instskip(SKIP_1) | instid1(VALU_DEP_2)
	v_dual_add_f32 v9, v9, v15 :: v_dual_fmac_f32 v19, v227, v126
	v_dual_mul_f32 v15, v247, v139 :: v_dual_fma_f32 v93, v226, v126, -v101
	v_dual_add_f32 v11, v11, v95 :: v_dual_add_f32 v9, v9, v17
	v_dual_mul_f32 v23, v230, v131 :: v_dual_mul_f32 v25, v240, v133
	v_dual_fmac_f32 v21, v229, v128 :: v_dual_fma_f32 v95, v228, v128, -v103
	s_delay_alu instid0(VALU_DEP_3) | instskip(NEXT) | instid1(VALU_DEP_3)
	v_dual_add_f32 v9, v9, v19 :: v_dual_add_f32 v11, v11, v93
	v_dual_fmac_f32 v23, v231, v130 :: v_dual_fma_f32 v93, v230, v130, -v105
	v_dual_mul_f32 v27, v242, v135 :: v_dual_mul_f32 v29, v244, v137
	s_delay_alu instid0(VALU_DEP_3) | instskip(SKIP_3) | instid1(VALU_DEP_3)
	v_dual_add_f32 v9, v9, v21 :: v_dual_add_f32 v11, v11, v95
	v_dual_fmac_f32 v25, v241, v132 :: v_dual_fma_f32 v95, v240, v132, -v107
	s_wait_loadcnt 0x6
	v_dual_mul_f32 v31, v246, v139 :: v_dual_mul_f32 v89, v232, v197
	v_dual_add_f32 v9, v9, v23 :: v_dual_add_f32 v11, v11, v93
	v_fmac_f32_e32 v27, v243, v134
	v_fma_f32 v91, v242, v134, -v91
	s_set_vgpr_msb 1                        ;  msbs: dst=0 src0=1 src1=0 src2=0
	v_dual_mul_f32 v33, v0 /*v256*/, v141 :: v_dual_mul_f32 v35, v2 /*v258*/, v143
	s_set_vgpr_msb 0                        ;  msbs: dst=0 src0=0 src1=0 src2=0
	v_dual_add_f32 v9, v9, v25 :: v_dual_add_f32 v11, v11, v95
	v_fmac_f32_e32 v29, v245, v136
	v_fma_f32 v13, v244, v136, -v13
	s_set_vgpr_msb 1                        ;  msbs: dst=0 src0=1 src1=0 src2=0
	v_dual_mul_f32 v17, v1 /*v257*/, v141 :: v_dual_mul_f32 v19, v3 /*v259*/, v143
	s_set_vgpr_msb 0                        ;  msbs: dst=0 src0=0 src1=0 src2=0
	v_add_f32_e32 v9, v9, v27
	v_add_f32_e32 v11, v11, v91
	v_fmac_f32_e32 v31, v247, v138
	v_fma_f32 v15, v246, v138, -v15
	s_set_vgpr_msb 1                        ;  msbs: dst=0 src0=1 src1=0 src2=0
	v_fmac_f32_e32 v33, v1 /*v257*/, v140
	s_set_vgpr_msb 0                        ;  msbs: dst=0 src0=0 src1=0 src2=0
	v_add_f32_e32 v9, v9, v29
	v_add_f32_e32 v11, v11, v13
	s_wait_dscnt 0xb
	s_set_vgpr_msb 1                        ;  msbs: dst=0 src0=1 src1=0 src2=0
	v_dual_mul_f32 v13, v17 /*v273*/, v153 :: v_dual_fma_f32 v17, v0 /*v256*/, v140, -v17
	v_dual_mul_f32 v37, v4 /*v260*/, v145 :: v_dual_mul_f32 v39, v6 /*v262*/, v147
	s_set_vgpr_msb 0                        ;  msbs: dst=0 src0=0 src1=0 src2=0
	v_add_f32_e32 v11, v11, v15
	v_add_f32_e32 v9, v9, v31
	s_set_vgpr_msb 1                        ;  msbs: dst=0 src0=1 src1=0 src2=0
	v_dual_mul_f32 v21, v5 /*v261*/, v145 :: v_dual_mul_f32 v23, v7 /*v263*/, v147
	v_mul_f32_e32 v15, v19 /*v275*/, v155
	v_fmac_f32_e32 v35, v3 /*v259*/, v142
	v_dual_fma_f32 v19, v2 /*v258*/, v142, -v19 :: v_dual_fmac_f32 v37, v5 /*v261*/, v144
	s_set_vgpr_msb 0                        ;  msbs: dst=0 src0=0 src1=0 src2=0
	v_add_f32_e32 v11, v11, v17
	v_add_f32_e32 v9, v9, v33
	s_wait_dscnt 0xa
	s_set_vgpr_msb 1                        ;  msbs: dst=0 src0=1 src1=0 src2=0
	v_dual_mul_f32 v17, v21 /*v277*/, v157 :: v_dual_fma_f32 v21, v4 /*v260*/, v144, -v21
	v_dual_mul_f32 v41, v12 /*v268*/, v149 :: v_dual_mul_f32 v43, v14 /*v270*/, v151
	s_set_vgpr_msb 0                        ;  msbs: dst=0 src0=0 src1=0 src2=0
	v_add_f32_e32 v11, v11, v19
	s_set_vgpr_msb 1                        ;  msbs: dst=0 src0=1 src1=0 src2=0
	v_mul_f32_e32 v19, v23 /*v279*/, v159
	s_set_vgpr_msb 0                        ;  msbs: dst=0 src0=0 src1=0 src2=0
	v_add_f32_e32 v9, v9, v35
	s_set_vgpr_msb 1                        ;  msbs: dst=0 src0=1 src1=0 src2=0
	v_dual_mul_f32 v25, v13 /*v269*/, v149 :: v_dual_mul_f32 v27, v15 /*v271*/, v151
	v_fmac_f32_e32 v39, v7 /*v263*/, v146
	v_dual_fma_f32 v23, v6 /*v262*/, v146, -v23 :: v_dual_fmac_f32 v41, v13 /*v269*/, v148
	s_set_vgpr_msb 0                        ;  msbs: dst=0 src0=0 src1=0 src2=0
	v_add_f32_e32 v11, v11, v21
	v_add_f32_e32 v9, v9, v37
	s_wait_dscnt 0x9
	s_set_vgpr_msb 1                        ;  msbs: dst=0 src0=1 src1=0 src2=0
	v_dual_mul_f32 v21, v25 /*v281*/, v161 :: v_dual_fma_f32 v25, v12 /*v268*/, v148, -v25
	v_dual_mul_f32 v45, v16 /*v272*/, v153 :: v_dual_mul_f32 v47, v18 /*v274*/, v155
	s_set_vgpr_msb 0                        ;  msbs: dst=0 src0=0 src1=0 src2=0
	v_add_f32_e32 v11, v11, v23
	s_set_vgpr_msb 1                        ;  msbs: dst=0 src0=1 src1=0 src2=0
	v_mul_f32_e32 v23, v27 /*v283*/, v163
	s_set_vgpr_msb 0                        ;  msbs: dst=0 src0=0 src1=0 src2=0
	v_add_f32_e32 v9, v9, v39
	s_set_vgpr_msb 1                        ;  msbs: dst=0 src0=1 src1=0 src2=0
	v_fmac_f32_e32 v43, v15 /*v271*/, v150
	v_dual_fma_f32 v27, v14 /*v270*/, v150, -v27 :: v_dual_fmac_f32 v45, v17 /*v273*/, v152
	s_set_vgpr_msb 0                        ;  msbs: dst=0 src0=0 src1=0 src2=0
	v_add_f32_e32 v11, v11, v25
	v_add_f32_e32 v9, v9, v41
	s_wait_dscnt 0x8
	s_set_vgpr_msb 1                        ;  msbs: dst=0 src0=1 src1=0 src2=0
	v_dual_mul_f32 v25, v29 /*v285*/, v165 :: v_dual_fma_f32 v13, v16 /*v272*/, v152, -v13
	v_dual_mul_f32 v49, v20 /*v276*/, v157 :: v_dual_mul_f32 v51, v22 /*v278*/, v159
	s_set_vgpr_msb 0                        ;  msbs: dst=0 src0=0 src1=0 src2=0
	v_add_f32_e32 v11, v11, v27
	s_set_vgpr_msb 1                        ;  msbs: dst=0 src0=1 src1=0 src2=0
	v_mul_f32_e32 v27, v31 /*v287*/, v167
	s_set_vgpr_msb 0                        ;  msbs: dst=0 src0=0 src1=0 src2=0
	v_add_f32_e32 v9, v9, v43
	s_set_vgpr_msb 1                        ;  msbs: dst=0 src0=1 src1=0 src2=0
	;; [unrolled: 16-line block ×9, first 2 shown]
	v_dual_fmac_f32 v75, v47 /*v303*/, v182 :: v_dual_fmac_f32 v77, v49 /*v305*/, v184
	v_dual_fma_f32 v27, v46 /*v302*/, v182, -v27 :: v_dual_fma_f32 v13, v48 /*v304*/, v184, -v13
	s_set_vgpr_msb 0                        ;  msbs: dst=0 src0=0 src1=0 src2=0
	v_add_f32_e32 v11, v11, v25
	v_add_f32_e32 v9, v9, v73
	v_mul_f32_e32 v25, v233, v197
	s_set_vgpr_msb 1                        ;  msbs: dst=0 src0=1 src1=0 src2=0
	v_dual_mul_f32 v81, v52 /*v308*/, v189 :: v_dual_mul_f32 v83, v54 /*v310*/, v191
	s_set_vgpr_msb 0                        ;  msbs: dst=0 src0=0 src1=0 src2=0
	v_add_f32_e32 v11, v11, v27
	v_add_f32_e32 v9, v9, v75
	s_set_vgpr_msb 1                        ;  msbs: dst=0 src0=1 src1=0 src2=0
	v_dual_fmac_f32 v79, v51 /*v307*/, v186 :: v_dual_fmac_f32 v81, v53 /*v309*/, v188
	v_dual_fma_f32 v15, v50 /*v306*/, v186, -v15 :: v_dual_fma_f32 v17, v52 /*v308*/, v188, -v17
	s_set_vgpr_msb 0                        ;  msbs: dst=0 src0=0 src1=0 src2=0
	v_add_f32_e32 v11, v11, v13
	v_dual_mul_f32 v27, v235, v199 :: v_dual_add_f32 v9, v9, v77
	s_set_vgpr_msb 1                        ;  msbs: dst=0 src0=1 src1=0 src2=0
	v_dual_mul_f32 v85, v56 /*v312*/, v193 :: v_dual_mul_f32 v87, v58 /*v314*/, v195
	s_wait_loadcnt 0x5
	s_set_vgpr_msb 0                        ;  msbs: dst=0 src0=0 src1=0 src2=0
	v_dual_mul_f32 v13, v237, v201 :: v_dual_add_f32 v11, v11, v15
	v_dual_add_f32 v9, v9, v79 :: v_dual_mov_b32 v116, v203
	s_set_vgpr_msb 1                        ;  msbs: dst=0 src0=1 src1=0 src2=0
	v_dual_fmac_f32 v83, v55 /*v311*/, v190 :: v_dual_fmac_f32 v85, v57 /*v313*/, v192
	v_fma_f32 v15, v54 /*v310*/, v190, -v19
	s_set_vgpr_msb 0                        ;  msbs: dst=0 src0=0 src1=0 src2=0
	v_add_f32_e32 v11, v11, v17
	s_set_vgpr_msb 1                        ;  msbs: dst=0 src0=1 src1=0 src2=0
	v_fma_f32 v17, v56 /*v312*/, v192, -v21
	s_set_vgpr_msb 0                        ;  msbs: dst=0 src0=0 src1=0 src2=0
	v_add_f32_e32 v9, v9, v81
	s_set_vgpr_msb 1                        ;  msbs: dst=0 src0=1 src1=0 src2=0
	v_fmac_f32_e32 v87, v59 /*v315*/, v194
	s_set_vgpr_msb 64                       ;  msbs: dst=1 src0=0 src1=0 src2=0
	v_dual_mul_f32 v75 /*v331*/, v234, v199 :: v_dual_mul_f32 v77 /*v333*/, v236, v201
	s_set_vgpr_msb 0                        ;  msbs: dst=0 src0=0 src1=0 src2=0
	v_add_f32_e32 v11, v11, v15
	s_wait_loadcnt 0x4
	v_dual_add_f32 v9, v9, v83 :: v_dual_mov_b32 v120, v207
	s_set_vgpr_msb 1                        ;  msbs: dst=0 src0=1 src1=0 src2=0
	v_fma_f32 v15, v58 /*v314*/, v194, -v23
	s_set_vgpr_msb 0                        ;  msbs: dst=0 src0=0 src1=0 src2=0
	v_dual_fmac_f32 v89, v233, v196 :: v_dual_add_f32 v11, v11, v17
	v_dual_add_f32 v9, v9, v85 :: v_dual_fma_f32 v17, v232, v196, -v25
	s_set_vgpr_msb 1                        ;  msbs: dst=0 src0=1 src1=0 src2=0
	v_pk_mul_f32 v[116:117], v[66:67] /*v[322:323]*/, v[116:117] op_sel_hi:[1,0]
	s_set_vgpr_msb 64                       ;  msbs: dst=1 src0=0 src1=0 src2=0
	v_dual_fmac_f32 v75 /*v331*/, v235, v198 :: v_dual_fmac_f32 v77 /*v333*/, v237, v200
	s_set_vgpr_msb 0                        ;  msbs: dst=0 src0=0 src1=0 src2=0
	v_add_f32_e32 v9, v9, v87
	v_add_f32_e32 v11, v11, v15
	s_set_vgpr_msb 64                       ;  msbs: dst=1 src0=0 src1=0 src2=0
	v_dual_fma_f32 v74 /*v330*/, v234, v198, -v27 :: v_dual_fma_f32 v76 /*v332*/, v236, v200, -v13
	s_set_vgpr_msb 0                        ;  msbs: dst=0 src0=0 src1=0 src2=0
	v_pk_fma_f32 v[128:129], v[238:239], v[202:203], v[116:117] op_sel_hi:[1,0,1]
	v_add_f32_e32 v125, v9, v89
	v_add_f32_e32 v124, v11, v17
	v_pk_fma_f32 v[116:117], v[238:239], v[202:203], v[116:117] neg_lo:[0,0,1] neg_hi:[0,0,1]
	v_pk_mul_f32 v[118:119], v[248:249], v[204:205] op_sel:[1,1] op_sel_hi:[0,1]
	v_mov_b32_e32 v117, v129
	s_set_vgpr_msb 1                        ;  msbs: dst=0 src0=1 src1=0 src2=0
	v_pk_mul_f32 v[120:121], v[68:69] /*v[324:325]*/, v[120:121] op_sel_hi:[1,0]
	s_set_vgpr_msb 4                        ;  msbs: dst=0 src0=0 src1=1 src2=0
	v_pk_add_f32 v[124:125], v[124:125], v[74:75] /*v[330:331]*/
	s_wait_loadcnt 0x3
	s_set_vgpr_msb 0                        ;  msbs: dst=0 src0=0 src1=0 src2=0
	v_pk_mul_f32 v[122:123], v[252:253], v[208:209] op_sel:[1,1] op_sel_hi:[0,1]
	v_pk_fma_f32 v[130:131], v[248:249], v[204:205], v[118:119] op_sel_hi:[1,0,1]
	v_pk_fma_f32 v[118:119], v[248:249], v[204:205], v[118:119] neg_lo:[0,0,1] neg_hi:[0,0,1]
	v_mov_b32_e32 v126, v211
	s_set_vgpr_msb 4                        ;  msbs: dst=0 src0=0 src1=1 src2=0
	v_pk_add_f32 v[124:125], v[124:125], v[76:77] /*v[332:333]*/
	s_wait_loadcnt 0x2
	s_set_vgpr_msb 1                        ;  msbs: dst=0 src0=1 src1=0 src2=0
	v_pk_mul_f32 v[128:129], v[8:9] /*v[264:265]*/, v[212:213] op_sel:[1,1] op_sel_hi:[0,1]
	s_set_vgpr_msb 0                        ;  msbs: dst=0 src0=0 src1=0 src2=0
	v_mov_b32_e32 v119, v131
	v_pk_fma_f32 v[130:131], v[250:251], v[206:207], v[120:121] op_sel_hi:[1,0,1]
	v_pk_fma_f32 v[120:121], v[250:251], v[206:207], v[120:121] neg_lo:[0,0,1] neg_hi:[0,0,1]
	v_pk_add_f32 v[116:117], v[124:125], v[116:117]
	v_pk_fma_f32 v[124:125], v[252:253], v[208:209], v[122:123] op_sel_hi:[1,0,1]
	s_set_vgpr_msb 1                        ;  msbs: dst=0 src0=1 src1=0 src2=0
	v_pk_mul_f32 v[126:127], v[70:71] /*v[326:327]*/, v[126:127] op_sel_hi:[1,0]
	s_set_vgpr_msb 0                        ;  msbs: dst=0 src0=0 src1=0 src2=0
	v_mov_b32_e32 v121, v131
	v_pk_fma_f32 v[122:123], v[252:253], v[208:209], v[122:123] neg_lo:[0,0,1] neg_hi:[0,0,1]
	v_pk_add_f32 v[116:117], v[116:117], v[118:119]
	v_dual_mov_b32 v118, v215 :: v_dual_mov_b32 v123, v125
	v_pk_fma_f32 v[124:125], v[254:255], v[210:211], v[126:127] op_sel_hi:[1,0,1]
	v_pk_fma_f32 v[126:127], v[254:255], v[210:211], v[126:127] neg_lo:[0,0,1] neg_hi:[0,0,1]
	s_delay_alu instid0(VALU_DEP_4)
	v_pk_add_f32 v[116:117], v[116:117], v[120:121]
	s_set_vgpr_msb 1                        ;  msbs: dst=0 src0=1 src1=0 src2=0
	v_pk_fma_f32 v[120:121], v[8:9] /*v[264:265]*/, v[212:213], v[128:129] op_sel_hi:[1,0,1]
	v_pk_mul_f32 v[118:119], v[72:73] /*v[328:329]*/, v[118:119] op_sel_hi:[1,0]
	s_set_vgpr_msb 0                        ;  msbs: dst=0 src0=0 src1=0 src2=0
	v_mov_b32_e32 v127, v125
	s_wait_loadcnt_dscnt 0x100
	s_set_vgpr_msb 5                        ;  msbs: dst=0 src0=1 src1=1 src2=0
	v_pk_mul_f32 v[124:125], v[64:65] /*v[320:321]*/, v[60:61] /*v[316:317]*/ op_sel:[1,1] op_sel_hi:[0,1]
	s_set_vgpr_msb 0                        ;  msbs: dst=0 src0=0 src1=0 src2=0
	v_pk_add_f32 v[116:117], v[116:117], v[122:123]
	s_set_vgpr_msb 1                        ;  msbs: dst=0 src0=1 src1=0 src2=0
	v_pk_fma_f32 v[122:123], v[8:9] /*v[264:265]*/, v[212:213], v[128:129] neg_lo:[0,0,1] neg_hi:[0,0,1]
	s_set_vgpr_msb 0                        ;  msbs: dst=0 src0=0 src1=0 src2=0
	v_mov_b32_e32 v123, v121
	s_set_vgpr_msb 1                        ;  msbs: dst=0 src0=1 src1=0 src2=0
	v_pk_fma_f32 v[120:121], v[10:11] /*v[266:267]*/, v[214:215], v[118:119] op_sel_hi:[1,0,1]
	v_pk_fma_f32 v[118:119], v[10:11] /*v[266:267]*/, v[214:215], v[118:119] neg_lo:[0,0,1] neg_hi:[0,0,1]
	s_set_vgpr_msb 0                        ;  msbs: dst=0 src0=0 src1=0 src2=0
	v_pk_add_f32 v[116:117], v[116:117], v[126:127]
	s_delay_alu instid0(VALU_DEP_3)
	v_mov_b32_e32 v119, v121
	s_set_vgpr_msb 5                        ;  msbs: dst=0 src0=1 src1=1 src2=0
	v_pk_fma_f32 v[120:121], v[64:65] /*v[320:321]*/, v[60:61] /*v[316:317]*/, v[124:125] op_sel_hi:[1,0,1]
	s_set_vgpr_msb 0                        ;  msbs: dst=0 src0=0 src1=0 src2=0
	v_pk_add_f32 v[116:117], v[116:117], v[122:123]
	s_set_vgpr_msb 5                        ;  msbs: dst=0 src0=1 src1=1 src2=0
	v_pk_fma_f32 v[122:123], v[64:65] /*v[320:321]*/, v[60:61] /*v[316:317]*/, v[124:125] neg_lo:[0,0,1] neg_hi:[0,0,1]
	s_set_vgpr_msb 0                        ;  msbs: dst=0 src0=0 src1=0 src2=0
	v_mov_b32_e32 v123, v121
	v_pk_add_f32 v[116:117], v[116:117], v[118:119]
	s_delay_alu instid0(VALU_DEP_1) | instskip(SKIP_2) | instid1(VALU_DEP_1)
	v_pk_add_f32 v[116:117], v[116:117], v[122:123]
	s_wait_loadcnt 0x0
	s_set_vgpr_msb 1                        ;  msbs: dst=0 src0=1 src1=0 src2=0
	v_pk_add_f32 v[116:117], v[62:63] /*v[318:319]*/, v[116:117] neg_lo:[0,1] neg_hi:[0,1]
	scratch_store_b64 off, v[116:117], off offset:40
	s_wait_xcnt 0x0
	v_cmpx_lt_u32_e32 4, v0
	s_set_vgpr_msb 0                        ;  msbs: dst=0 src0=0 src1=0 src2=0
	s_cbranch_execz .LBB120_347
; %bb.346:
	scratch_load_b64 v[116:117], off, off offset:32
	v_mov_b64_e32 v[118:119], 0
	scratch_store_b64 off, v[118:119], off offset:32
	s_wait_loadcnt 0x0
	ds_store_b64 v1, v[116:117]
.LBB120_347:
	s_wait_xcnt 0x0
	s_or_b32 exec_lo, exec_lo, s0
	s_wait_storecnt_dscnt 0x0
	s_barrier_signal -1
	s_barrier_wait -1
	s_clause 0x18
	scratch_load_b128 v[116:119], off, off offset:40
	scratch_load_b128 v[120:123], off, off offset:56
	;; [unrolled: 1-line block ×25, first 2 shown]
	ds_load_2addr_b64 v[216:219], v7 offset0:63 offset1:64
	ds_load_2addr_b64 v[220:223], v7 offset0:65 offset1:66
	scratch_load_b128 v[224:227], off, off offset:440
	ds_load_2addr_b64 v[228:231], v7 offset0:67 offset1:68
	ds_load_2addr_b64 v[232:235], v7 offset0:69 offset1:70
	;; [unrolled: 1-line block ×7, first 2 shown]
	s_set_vgpr_msb 64                       ;  msbs: dst=1 src0=0 src1=0 src2=0
	ds_load_2addr_b64 v[0:3] /*v[256:259]*/, v7 offset0:109 offset1:110
	ds_load_2addr_b64 v[4:7] /*v[260:263]*/, v7 offset0:111 offset1:112
	;; [unrolled: 1-line block ×17, first 2 shown]
	scratch_load_b64 v[68:69] /*v[324:325]*/, off, off offset:32
	s_wait_dscnt 0x13
	v_dual_mov_b32 v70 /*v326*/, v247 :: v_dual_mov_b32 v71 /*v327*/, v246
	s_wait_dscnt 0x10
	s_set_vgpr_msb 0x41                     ;  msbs: dst=1 src0=1 src1=0 src2=0
	v_dual_mov_b32 v72 /*v328*/, v3 /*v259*/ :: v_dual_mov_b32 v73 /*v329*/, v2 /*v258*/
	s_wait_dscnt 0xf
	v_dual_mov_b32 v74 /*v330*/, v7 /*v263*/ :: v_dual_mov_b32 v75 /*v331*/, v6 /*v262*/
	s_wait_dscnt 0xc
	v_dual_mov_b32 v76 /*v332*/, v19 /*v275*/ :: v_dual_mov_b32 v77 /*v333*/, v18 /*v274*/
	s_mov_b32 s0, exec_lo
	s_wait_loadcnt 0x1a
	s_set_vgpr_msb 0                        ;  msbs: dst=0 src0=0 src1=0 src2=0
	v_dual_mul_f32 v7, v216, v117 :: v_dual_mul_f32 v9, v218, v119
	v_dual_mul_f32 v53, v217, v117 :: v_dual_mul_f32 v55, v219, v119
	s_wait_loadcnt 0x19
	v_dual_mul_f32 v11, v220, v121 :: v_dual_mul_f32 v13, v222, v123
	s_delay_alu instid0(VALU_DEP_2) | instskip(SKIP_3) | instid1(VALU_DEP_3)
	v_dual_fmac_f32 v7, v217, v116 :: v_dual_fma_f32 v53, v216, v116, -v53
	v_dual_mul_f32 v69, v221, v121 :: v_dual_mul_f32 v71, v223, v123
	s_wait_loadcnt 0x17
	v_dual_mul_f32 v103, v233, v129 :: v_dual_fmac_f32 v9, v219, v118
	v_dual_fma_f32 v55, v218, v118, -v55 :: v_dual_add_f32 v7, 0, v7
	v_dual_add_f32 v53, 0, v53 :: v_dual_mul_f32 v105, v235, v131
	v_dual_fmac_f32 v11, v221, v120 :: v_dual_fma_f32 v69, v220, v120, -v69
	s_delay_alu instid0(VALU_DEP_2)
	v_dual_add_f32 v7, v7, v9 :: v_dual_add_f32 v9, v53, v55
	v_dual_mul_f32 v15, v228, v125 :: v_dual_mul_f32 v17, v230, v127
	v_dual_mul_f32 v85, v229, v125 :: v_dual_mul_f32 v87, v231, v127
	s_wait_loadcnt 0x16
	v_dual_mul_f32 v53, v237, v133 :: v_dual_fmac_f32 v13, v223, v122
	v_dual_fma_f32 v55, v222, v122, -v71 :: v_dual_add_f32 v7, v7, v11
	v_dual_add_f32 v9, v9, v69 :: v_dual_mul_f32 v11, v239, v135
	v_dual_fmac_f32 v15, v229, v124 :: v_dual_fma_f32 v69, v228, v124, -v85
	s_delay_alu instid0(VALU_DEP_2) | instskip(SKIP_3) | instid1(VALU_DEP_3)
	v_dual_add_f32 v7, v7, v13 :: v_dual_add_f32 v9, v9, v55
	v_dual_mul_f32 v19, v232, v129 :: v_dual_mul_f32 v21, v234, v131
	s_wait_loadcnt 0x15
	v_dual_mul_f32 v13, v241, v137 :: v_dual_fmac_f32 v17, v231, v126
	v_dual_fma_f32 v55, v230, v126, -v87 :: v_dual_add_f32 v7, v7, v15
	v_dual_add_f32 v9, v9, v69 :: v_dual_mul_f32 v15, v243, v139
	v_fmac_f32_e32 v19, v233, v128
	s_delay_alu instid0(VALU_DEP_3) | instskip(NEXT) | instid1(VALU_DEP_3)
	v_dual_fma_f32 v69, v232, v128, -v103 :: v_dual_add_f32 v7, v7, v17
	v_dual_add_f32 v9, v9, v55 :: v_dual_mul_f32 v23, v236, v133
	s_wait_loadcnt 0x14
	v_dual_mul_f32 v25, v238, v135 :: v_dual_mul_f32 v17, v249, v141
	v_fmac_f32_e32 v21, v235, v130
	v_dual_fma_f32 v55, v234, v130, -v105 :: v_dual_add_f32 v7, v7, v19
	v_dual_add_f32 v9, v9, v69 :: v_dual_mul_f32 v19, v251, v143
	v_dual_fmac_f32 v23, v237, v132 :: v_dual_fma_f32 v53, v236, v132, -v53
	s_delay_alu instid0(VALU_DEP_2) | instskip(SKIP_3) | instid1(VALU_DEP_3)
	v_dual_add_f32 v7, v7, v21 :: v_dual_add_f32 v9, v9, v55
	v_dual_mul_f32 v27, v240, v137 :: v_dual_mul_f32 v29, v242, v139
	s_wait_loadcnt 0x13
	v_dual_mul_f32 v21, v253, v145 :: v_dual_fmac_f32 v25, v239, v134
	v_dual_fma_f32 v11, v238, v134, -v11 :: v_dual_add_f32 v7, v7, v23
	v_dual_add_f32 v9, v9, v53 :: v_dual_mul_f32 v23, v255, v147
	v_dual_fmac_f32 v27, v241, v136 :: v_dual_fma_f32 v13, v240, v136, -v13
	s_delay_alu instid0(VALU_DEP_2) | instskip(SKIP_2) | instid1(VALU_DEP_3)
	v_dual_add_f32 v7, v7, v25 :: v_dual_add_f32 v9, v9, v11
	v_dual_mul_f32 v31, v248, v141 :: v_dual_mul_f32 v33, v250, v143
	v_dual_fmac_f32 v29, v243, v138 :: v_dual_fma_f32 v15, v242, v138, -v15
	v_dual_add_f32 v7, v7, v27 :: v_dual_add_f32 v9, v9, v13
	s_delay_alu instid0(VALU_DEP_3) | instskip(SKIP_1) | instid1(VALU_DEP_3)
	v_dual_fmac_f32 v31, v249, v140 :: v_dual_fma_f32 v17, v248, v140, -v17
	v_dual_mul_f32 v35, v252, v145 :: v_dual_mul_f32 v37, v254, v147
	v_dual_add_f32 v7, v7, v29 :: v_dual_add_f32 v9, v9, v15
	v_dual_fmac_f32 v33, v251, v142 :: v_dual_fma_f32 v19, v250, v142, -v19
	s_delay_alu instid0(VALU_DEP_3) | instskip(NEXT) | instid1(VALU_DEP_3)
	v_dual_fmac_f32 v35, v253, v144 :: v_dual_fma_f32 v21, v252, v144, -v21
	v_dual_add_f32 v7, v7, v31 :: v_dual_add_f32 v9, v9, v17
	s_wait_loadcnt 0x12
	s_set_vgpr_msb 1                        ;  msbs: dst=0 src0=1 src1=0 src2=0
	v_dual_mul_f32 v11, v9 /*v265*/, v149 :: v_dual_mul_f32 v13, v11 /*v267*/, v151
	s_set_vgpr_msb 0                        ;  msbs: dst=0 src0=0 src1=0 src2=0
	v_dual_fmac_f32 v37, v255, v146 :: v_dual_fma_f32 v23, v254, v146, -v23
	v_dual_add_f32 v7, v7, v33 :: v_dual_add_f32 v9, v9, v19
	s_set_vgpr_msb 1                        ;  msbs: dst=0 src0=1 src1=0 src2=0
	v_dual_mul_f32 v39, v8 /*v264*/, v149 :: v_dual_mul_f32 v41, v10 /*v266*/, v151
	v_fma_f32 v11, v8 /*v264*/, v148, -v11
	s_set_vgpr_msb 0                        ;  msbs: dst=0 src0=0 src1=0 src2=0
	v_dual_add_f32 v7, v7, v35 :: v_dual_add_f32 v9, v9, v21
	s_wait_loadcnt 0x11
	s_set_vgpr_msb 1                        ;  msbs: dst=0 src0=1 src1=0 src2=0
	v_dual_mul_f32 v15, v13 /*v269*/, v153 :: v_dual_mul_f32 v17, v15 /*v271*/, v155
	v_dual_fmac_f32 v39, v9 /*v265*/, v148 :: v_dual_fmac_f32 v41, v11 /*v267*/, v150
	s_set_vgpr_msb 0                        ;  msbs: dst=0 src0=0 src1=0 src2=0
	v_dual_add_f32 v7, v7, v37 :: v_dual_add_f32 v9, v9, v23
	s_wait_loadcnt_dscnt 0xf0a
	s_set_vgpr_msb 1                        ;  msbs: dst=0 src0=1 src1=0 src2=0
	v_dual_mul_f32 v23, v25 /*v281*/, v161 :: v_dual_fma_f32 v13, v10 /*v266*/, v150, -v13
	v_dual_mul_f32 v43, v12 /*v268*/, v153 :: v_dual_mul_f32 v45, v14 /*v270*/, v155
	s_set_vgpr_msb 0                        ;  msbs: dst=0 src0=0 src1=0 src2=0
	v_add_f32_e32 v9, v9, v11
	s_set_vgpr_msb 1                        ;  msbs: dst=0 src0=1 src1=0 src2=0
	v_mul_f32_e32 v11, v27 /*v283*/, v163
	s_set_vgpr_msb 0                        ;  msbs: dst=0 src0=0 src1=0 src2=0
	v_add_f32_e32 v7, v7, v39
	s_set_vgpr_msb 1                        ;  msbs: dst=0 src0=1 src1=0 src2=0
	v_dual_fma_f32 v15, v12 /*v268*/, v152, -v15 :: v_dual_mul_f32 v19, v21 /*v277*/, v157
	v_mul_f32_e32 v21, v23 /*v279*/, v159
	s_set_vgpr_msb 0                        ;  msbs: dst=0 src0=0 src1=0 src2=0
	v_add_f32_e32 v9, v9, v13
	s_set_vgpr_msb 1                        ;  msbs: dst=0 src0=1 src1=0 src2=0
	v_dual_fmac_f32 v43, v13 /*v269*/, v152 :: v_dual_fmac_f32 v45, v15 /*v271*/, v154
	s_set_vgpr_msb 0                        ;  msbs: dst=0 src0=0 src1=0 src2=0
	v_add_f32_e32 v7, v7, v41
	s_wait_loadcnt_dscnt 0xe09
	s_set_vgpr_msb 1                        ;  msbs: dst=0 src0=1 src1=0 src2=0
	v_dual_mul_f32 v13, v29 /*v285*/, v165 :: v_dual_fma_f32 v17, v14 /*v270*/, v154, -v17
	s_set_vgpr_msb 0                        ;  msbs: dst=0 src0=0 src1=0 src2=0
	v_add_f32_e32 v9, v9, v15
	s_set_vgpr_msb 1                        ;  msbs: dst=0 src0=1 src1=0 src2=0
	v_dual_mul_f32 v47, v20 /*v276*/, v157 :: v_dual_mul_f32 v49, v22 /*v278*/, v159
	v_mul_f32_e32 v15, v31 /*v287*/, v167
	s_set_vgpr_msb 0                        ;  msbs: dst=0 src0=0 src1=0 src2=0
	v_dual_add_f32 v7, v7, v43 :: v_dual_add_f32 v9, v9, v17
	s_wait_loadcnt_dscnt 0xd08
	s_set_vgpr_msb 1                        ;  msbs: dst=0 src0=1 src1=0 src2=0
	v_dual_fma_f32 v19, v20 /*v276*/, v156, -v19 :: v_dual_mul_f32 v17, v33 /*v289*/, v169
	v_dual_fmac_f32 v47, v21 /*v277*/, v156 :: v_dual_fmac_f32 v49, v23 /*v279*/, v158
	s_set_vgpr_msb 0                        ;  msbs: dst=0 src0=0 src1=0 src2=0
	v_add_f32_e32 v7, v7, v45
	s_set_vgpr_msb 1                        ;  msbs: dst=0 src0=1 src1=0 src2=0
	v_fma_f32 v21, v22 /*v278*/, v158, -v21
	s_set_vgpr_msb 0                        ;  msbs: dst=0 src0=0 src1=0 src2=0
	v_add_f32_e32 v9, v9, v19
	s_set_vgpr_msb 1                        ;  msbs: dst=0 src0=1 src1=0 src2=0
	v_dual_mul_f32 v51, v24 /*v280*/, v161 :: v_dual_mul_f32 v57, v26 /*v282*/, v163
	v_mul_f32_e32 v19, v35 /*v291*/, v171
	s_set_vgpr_msb 0                        ;  msbs: dst=0 src0=0 src1=0 src2=0
	v_dual_add_f32 v7, v7, v47 :: v_dual_add_f32 v9, v9, v21
	s_wait_loadcnt_dscnt 0xc07
	s_set_vgpr_msb 1                        ;  msbs: dst=0 src0=1 src1=0 src2=0
	v_dual_fma_f32 v23, v24 /*v280*/, v160, -v23 :: v_dual_mul_f32 v21, v37 /*v293*/, v173
	v_dual_mul_f32 v59, v28 /*v284*/, v165 :: v_dual_mul_f32 v61, v30 /*v286*/, v167
	v_dual_mul_f32 v63, v32 /*v288*/, v169 :: v_dual_mul_f32 v65, v34 /*v290*/, v171
	v_dual_fmac_f32 v51, v25 /*v281*/, v160 :: v_dual_fmac_f32 v57, v27 /*v283*/, v162
	v_fma_f32 v11, v26 /*v282*/, v162, -v11
	s_set_vgpr_msb 0                        ;  msbs: dst=0 src0=0 src1=0 src2=0
	v_dual_add_f32 v9, v9, v23 :: v_dual_add_f32 v7, v7, v49
	s_set_vgpr_msb 1                        ;  msbs: dst=0 src0=1 src1=0 src2=0
	v_dual_mul_f32 v23, v39 /*v295*/, v175 :: v_dual_fmac_f32 v59, v29 /*v285*/, v164
	v_fma_f32 v13, v28 /*v284*/, v164, -v13
	v_dual_fmac_f32 v61, v31 /*v287*/, v166 :: v_dual_fmac_f32 v63, v33 /*v289*/, v168
	s_set_vgpr_msb 0                        ;  msbs: dst=0 src0=0 src1=0 src2=0
	v_add_f32_e32 v9, v9, v11
	s_set_vgpr_msb 1                        ;  msbs: dst=0 src0=1 src1=0 src2=0
	v_dual_mul_f32 v67, v36 /*v292*/, v173 :: v_dual_mul_f32 v73, v38 /*v294*/, v175
	s_set_vgpr_msb 0                        ;  msbs: dst=0 src0=0 src1=0 src2=0
	v_add_f32_e32 v7, v7, v51
	s_wait_loadcnt_dscnt 0xb06
	s_set_vgpr_msb 1                        ;  msbs: dst=0 src0=1 src1=0 src2=0
	v_dual_mul_f32 v11, v41 /*v297*/, v177 :: v_dual_fma_f32 v15, v30 /*v286*/, v166, -v15
	s_set_vgpr_msb 0                        ;  msbs: dst=0 src0=0 src1=0 src2=0
	v_add_f32_e32 v9, v9, v13
	s_set_vgpr_msb 1                        ;  msbs: dst=0 src0=1 src1=0 src2=0
	v_dual_mul_f32 v13, v43 /*v299*/, v179 :: v_dual_fma_f32 v17, v32 /*v288*/, v168, -v17
	s_set_vgpr_msb 0                        ;  msbs: dst=0 src0=0 src1=0 src2=0
	v_add_f32_e32 v7, v7, v57
	s_set_vgpr_msb 1                        ;  msbs: dst=0 src0=1 src1=0 src2=0
	v_dual_fmac_f32 v65, v35 /*v291*/, v170 :: v_dual_fmac_f32 v67, v37 /*v293*/, v172
	s_set_vgpr_msb 0                        ;  msbs: dst=0 src0=0 src1=0 src2=0
	v_add_f32_e32 v9, v9, v15
	s_set_vgpr_msb 1                        ;  msbs: dst=0 src0=1 src1=0 src2=0
	v_dual_mul_f32 v75, v40 /*v296*/, v177 :: v_dual_mul_f32 v77, v42 /*v298*/, v179
	s_set_vgpr_msb 0                        ;  msbs: dst=0 src0=0 src1=0 src2=0
	v_add_f32_e32 v7, v7, v59
	s_wait_loadcnt_dscnt 0xa05
	s_set_vgpr_msb 1                        ;  msbs: dst=0 src0=1 src1=0 src2=0
	v_dual_mul_f32 v15, v45 /*v301*/, v181 :: v_dual_fma_f32 v19, v34 /*v290*/, v170, -v19
	s_set_vgpr_msb 0                        ;  msbs: dst=0 src0=0 src1=0 src2=0
	v_add_f32_e32 v9, v9, v17
	s_set_vgpr_msb 1                        ;  msbs: dst=0 src0=1 src1=0 src2=0
	v_dual_mul_f32 v17, v47 /*v303*/, v183 :: v_dual_fma_f32 v21, v36 /*v292*/, v172, -v21
	s_set_vgpr_msb 0                        ;  msbs: dst=0 src0=0 src1=0 src2=0
	v_add_f32_e32 v7, v7, v61
	s_set_vgpr_msb 1                        ;  msbs: dst=0 src0=1 src1=0 src2=0
	v_dual_fmac_f32 v73, v39 /*v295*/, v174 :: v_dual_fmac_f32 v75, v41 /*v297*/, v176
	s_set_vgpr_msb 0                        ;  msbs: dst=0 src0=0 src1=0 src2=0
	v_add_f32_e32 v9, v9, v19
	s_set_vgpr_msb 1                        ;  msbs: dst=0 src0=1 src1=0 src2=0
	v_dual_mul_f32 v79, v44 /*v300*/, v181 :: v_dual_mul_f32 v81, v46 /*v302*/, v183
	s_set_vgpr_msb 0                        ;  msbs: dst=0 src0=0 src1=0 src2=0
	v_add_f32_e32 v7, v7, v63
	s_wait_loadcnt_dscnt 0x904
	s_set_vgpr_msb 1                        ;  msbs: dst=0 src0=1 src1=0 src2=0
	v_dual_mul_f32 v19, v49 /*v305*/, v185 :: v_dual_fma_f32 v23, v38 /*v294*/, v174, -v23
	s_set_vgpr_msb 0                        ;  msbs: dst=0 src0=0 src1=0 src2=0
	v_add_f32_e32 v9, v9, v21
	s_set_vgpr_msb 1                        ;  msbs: dst=0 src0=1 src1=0 src2=0
	v_dual_mul_f32 v83, v48 /*v304*/, v185 :: v_dual_mul_f32 v89, v50 /*v306*/, v187
	v_dual_mul_f32 v21, v51 /*v307*/, v187 :: v_dual_fma_f32 v11, v40 /*v296*/, v176, -v11
	v_dual_fmac_f32 v77, v43 /*v299*/, v178 :: v_dual_fmac_f32 v79, v45 /*v301*/, v180
	s_set_vgpr_msb 0                        ;  msbs: dst=0 src0=0 src1=0 src2=0
	v_dual_add_f32 v9, v9, v23 :: v_dual_add_f32 v7, v7, v65
	s_wait_loadcnt_dscnt 0x803
	s_set_vgpr_msb 1                        ;  msbs: dst=0 src0=1 src1=0 src2=0
	v_dual_mul_f32 v23, v53 /*v309*/, v189 :: v_dual_fma_f32 v13, v42 /*v298*/, v178, -v13
	v_dual_fmac_f32 v81, v47 /*v303*/, v182 :: v_dual_fmac_f32 v83, v49 /*v305*/, v184
	s_set_vgpr_msb 0                        ;  msbs: dst=0 src0=0 src1=0 src2=0
	v_add_f32_e32 v9, v9, v11
	s_set_vgpr_msb 1                        ;  msbs: dst=0 src0=1 src1=0 src2=0
	v_dual_mul_f32 v91, v52 /*v308*/, v189 :: v_dual_mul_f32 v93, v54 /*v310*/, v191
	s_set_vgpr_msb 0                        ;  msbs: dst=0 src0=0 src1=0 src2=0
	v_add_f32_e32 v7, v7, v67
	s_set_vgpr_msb 1                        ;  msbs: dst=0 src0=1 src1=0 src2=0
	v_dual_mul_f32 v11, v55 /*v311*/, v191 :: v_dual_fma_f32 v15, v44 /*v300*/, v180, -v15
	s_set_vgpr_msb 0                        ;  msbs: dst=0 src0=0 src1=0 src2=0
	v_add_f32_e32 v9, v9, v13
	s_wait_loadcnt_dscnt 0x702
	s_set_vgpr_msb 1                        ;  msbs: dst=0 src0=1 src1=0 src2=0
	v_dual_mul_f32 v13, v57 /*v313*/, v193 :: v_dual_fma_f32 v17, v46 /*v302*/, v182, -v17
	s_set_vgpr_msb 0                        ;  msbs: dst=0 src0=0 src1=0 src2=0
	v_add_f32_e32 v7, v7, v73
	s_set_vgpr_msb 1                        ;  msbs: dst=0 src0=1 src1=0 src2=0
	v_dual_fmac_f32 v89, v51 /*v307*/, v186 :: v_dual_fmac_f32 v91, v53 /*v309*/, v188
	s_set_vgpr_msb 0                        ;  msbs: dst=0 src0=0 src1=0 src2=0
	v_add_f32_e32 v9, v9, v15
	s_set_vgpr_msb 1                        ;  msbs: dst=0 src0=1 src1=0 src2=0
	v_dual_mul_f32 v95, v56 /*v312*/, v193 :: v_dual_mul_f32 v97, v58 /*v314*/, v195
	s_set_vgpr_msb 0                        ;  msbs: dst=0 src0=0 src1=0 src2=0
	v_add_f32_e32 v7, v7, v75
	s_set_vgpr_msb 1                        ;  msbs: dst=0 src0=1 src1=0 src2=0
	v_dual_mul_f32 v15, v59 /*v315*/, v195 :: v_dual_fma_f32 v19, v48 /*v304*/, v184, -v19
	s_set_vgpr_msb 0                        ;  msbs: dst=0 src0=0 src1=0 src2=0
	v_add_f32_e32 v9, v9, v17
	s_wait_loadcnt_dscnt 0x601
	s_set_vgpr_msb 1                        ;  msbs: dst=0 src0=1 src1=0 src2=0
	v_dual_mul_f32 v17, v61 /*v317*/, v197 :: v_dual_fma_f32 v21, v50 /*v306*/, v186, -v21
	s_set_vgpr_msb 0                        ;  msbs: dst=0 src0=0 src1=0 src2=0
	v_add_f32_e32 v7, v7, v77
	s_set_vgpr_msb 1                        ;  msbs: dst=0 src0=1 src1=0 src2=0
	v_dual_fmac_f32 v93, v55 /*v311*/, v190 :: v_dual_fmac_f32 v95, v57 /*v313*/, v192
	s_set_vgpr_msb 0                        ;  msbs: dst=0 src0=0 src1=0 src2=0
	v_add_f32_e32 v9, v9, v19
	s_set_vgpr_msb 1                        ;  msbs: dst=0 src0=1 src1=0 src2=0
	v_dual_mul_f32 v19, v63 /*v319*/, v199 :: v_dual_fma_f32 v23, v52 /*v308*/, v188, -v23
	s_set_vgpr_msb 0                        ;  msbs: dst=0 src0=0 src1=0 src2=0
	v_add_f32_e32 v7, v7, v79
	s_set_vgpr_msb 1                        ;  msbs: dst=0 src0=1 src1=0 src2=0
	v_fma_f32 v11, v54 /*v310*/, v190, -v11
	s_set_vgpr_msb 0                        ;  msbs: dst=0 src0=0 src1=0 src2=0
	v_add_f32_e32 v9, v9, v21
	s_wait_loadcnt_dscnt 0x500
	s_set_vgpr_msb 1                        ;  msbs: dst=0 src0=1 src1=0 src2=0
	v_dual_mul_f32 v21, v65 /*v321*/, v201 :: v_dual_fma_f32 v13, v56 /*v312*/, v192, -v13
	s_set_vgpr_msb 0                        ;  msbs: dst=0 src0=0 src1=0 src2=0
	v_add_f32_e32 v7, v7, v81
	s_set_vgpr_msb 1                        ;  msbs: dst=0 src0=1 src1=0 src2=0
	v_fmac_f32_e32 v97, v59 /*v315*/, v194
	s_wait_loadcnt 0x4
	s_set_vgpr_msb 0                        ;  msbs: dst=0 src0=0 src1=0 src2=0
	v_dual_add_f32 v9, v9, v23 :: v_dual_mov_b32 v122, v207
	s_set_vgpr_msb 1                        ;  msbs: dst=0 src0=1 src1=0 src2=0
	v_dual_mul_f32 v23, v67 /*v323*/, v203 :: v_dual_mul_f32 v99, v60 /*v316*/, v197
	v_mul_f32_e32 v101, v62 /*v318*/, v199
	s_set_vgpr_msb 0                        ;  msbs: dst=0 src0=0 src1=0 src2=0
	v_add_f32_e32 v9, v9, v11
	v_add_f32_e32 v7, v7, v83
	s_set_vgpr_msb 1                        ;  msbs: dst=0 src0=1 src1=0 src2=0
	v_fma_f32 v11, v58 /*v314*/, v194, -v15
	v_fmac_f32_e32 v99, v61 /*v317*/, v196
	s_wait_loadcnt 0x3
	s_set_vgpr_msb 0                        ;  msbs: dst=0 src0=0 src1=0 src2=0
	v_dual_mov_b32 v126, v211 :: v_dual_add_f32 v9, v9, v13
	v_add_f32_e32 v7, v7, v89
	s_set_vgpr_msb 1                        ;  msbs: dst=0 src0=1 src1=0 src2=0
	v_fma_f32 v13, v60 /*v316*/, v196, -v17
	v_dual_mul_f32 v117, v64 /*v320*/, v201 :: v_dual_mul_f32 v119, v66 /*v322*/, v203
	s_set_vgpr_msb 0                        ;  msbs: dst=0 src0=0 src1=0 src2=0
	v_add_f32_e32 v9, v9, v11
	v_add_f32_e32 v7, v7, v91
	s_set_vgpr_msb 1                        ;  msbs: dst=0 src0=1 src1=0 src2=0
	v_dual_fmac_f32 v101, v63 /*v319*/, v198 :: v_dual_fma_f32 v11, v62 /*v318*/, v198, -v19
	s_set_vgpr_msb 0                        ;  msbs: dst=0 src0=0 src1=0 src2=0
	v_pk_mul_f32 v[120:121], v[244:245], v[204:205] op_sel:[1,1] op_sel_hi:[0,1]
	v_add_f32_e32 v9, v9, v13
	v_add_f32_e32 v7, v7, v93
	s_set_vgpr_msb 1                        ;  msbs: dst=0 src0=1 src1=0 src2=0
	v_dual_fmac_f32 v117, v65 /*v321*/, v200 :: v_dual_fmac_f32 v119, v67 /*v323*/, v202
	v_dual_fma_f32 v116, v64 /*v320*/, v200, -v21 :: v_dual_fma_f32 v118, v66 /*v322*/, v202, -v23
	s_set_vgpr_msb 0                        ;  msbs: dst=0 src0=0 src1=0 src2=0
	v_add_f32_e32 v7, v7, v95
	v_add_f32_e32 v128, v9, v11
	v_pk_fma_f32 v[130:131], v[244:245], v[204:205], v[120:121] op_sel_hi:[1,0,1]
	s_set_vgpr_msb 1                        ;  msbs: dst=0 src0=1 src1=0 src2=0
	v_pk_mul_f32 v[122:123], v[70:71] /*v[326:327]*/, v[122:123] op_sel_hi:[1,0]
	s_set_vgpr_msb 0                        ;  msbs: dst=0 src0=0 src1=0 src2=0
	v_pk_fma_f32 v[120:121], v[244:245], v[204:205], v[120:121] neg_lo:[0,0,1] neg_hi:[0,0,1]
	v_add_f32_e32 v7, v7, v97
	s_set_vgpr_msb 1                        ;  msbs: dst=0 src0=1 src1=0 src2=0
	v_pk_mul_f32 v[124:125], v[0:1] /*v[256:257]*/, v[208:209] op_sel:[1,1] op_sel_hi:[0,1]
	s_set_vgpr_msb 0                        ;  msbs: dst=0 src0=0 src1=0 src2=0
	v_mov_b32_e32 v121, v131
	v_pk_fma_f32 v[130:131], v[246:247], v[206:207], v[122:123] op_sel_hi:[1,0,1]
	v_pk_fma_f32 v[122:123], v[246:247], v[206:207], v[122:123] neg_lo:[0,0,1] neg_hi:[0,0,1]
	v_add_f32_e32 v7, v7, v99
	s_set_vgpr_msb 1                        ;  msbs: dst=0 src0=1 src1=0 src2=0
	v_pk_mul_f32 v[126:127], v[72:73] /*v[328:329]*/, v[126:127] op_sel_hi:[1,0]
	s_set_vgpr_msb 0                        ;  msbs: dst=0 src0=0 src1=0 src2=0
	v_mov_b32_e32 v123, v131
	v_add_f32_e32 v129, v7, v101
	s_delay_alu instid0(VALU_DEP_1)
	v_pk_add_f32 v[116:117], v[128:129], v[116:117]
	s_wait_loadcnt 0x2
	s_set_vgpr_msb 1                        ;  msbs: dst=0 src0=1 src1=0 src2=0
	v_pk_mul_f32 v[128:129], v[4:5] /*v[260:261]*/, v[212:213] op_sel:[1,1] op_sel_hi:[0,1]
	s_set_vgpr_msb 0                        ;  msbs: dst=0 src0=0 src1=0 src2=0
	v_pk_add_f32 v[116:117], v[116:117], v[118:119]
	s_set_vgpr_msb 1                        ;  msbs: dst=0 src0=1 src1=0 src2=0
	v_pk_fma_f32 v[118:119], v[0:1] /*v[256:257]*/, v[208:209], v[124:125] op_sel_hi:[1,0,1]
	s_set_vgpr_msb 0                        ;  msbs: dst=0 src0=0 src1=0 src2=0
	v_mov_b32_e32 v118, v215
	v_pk_add_f32 v[116:117], v[116:117], v[120:121]
	s_set_vgpr_msb 1                        ;  msbs: dst=0 src0=1 src1=0 src2=0
	v_pk_fma_f32 v[120:121], v[0:1] /*v[256:257]*/, v[208:209], v[124:125] neg_lo:[0,0,1] neg_hi:[0,0,1]
	s_set_vgpr_msb 0                        ;  msbs: dst=0 src0=0 src1=0 src2=0
	v_mov_b32_e32 v121, v119
	s_set_vgpr_msb 1                        ;  msbs: dst=0 src0=1 src1=0 src2=0
	v_pk_fma_f32 v[124:125], v[2:3] /*v[258:259]*/, v[210:211], v[126:127] op_sel_hi:[1,0,1]
	v_pk_mul_f32 v[118:119], v[74:75] /*v[330:331]*/, v[118:119] op_sel_hi:[1,0]
	s_set_vgpr_msb 0                        ;  msbs: dst=0 src0=0 src1=0 src2=0
	v_pk_add_f32 v[116:117], v[116:117], v[122:123]
	s_set_vgpr_msb 1                        ;  msbs: dst=0 src0=1 src1=0 src2=0
	v_pk_fma_f32 v[122:123], v[4:5] /*v[260:261]*/, v[212:213], v[128:129] op_sel_hi:[1,0,1]
	v_pk_fma_f32 v[126:127], v[2:3] /*v[258:259]*/, v[210:211], v[126:127] neg_lo:[0,0,1] neg_hi:[0,0,1]
	s_set_vgpr_msb 0                        ;  msbs: dst=0 src0=0 src1=0 src2=0
	v_mov_b32_e32 v127, v125
	s_set_vgpr_msb 1                        ;  msbs: dst=0 src0=1 src1=0 src2=0
	v_pk_fma_f32 v[124:125], v[4:5] /*v[260:261]*/, v[212:213], v[128:129] neg_lo:[0,0,1] neg_hi:[0,0,1]
	s_set_vgpr_msb 0                        ;  msbs: dst=0 src0=0 src1=0 src2=0
	v_pk_add_f32 v[116:117], v[116:117], v[120:121]
	v_mov_b32_e32 v125, v123
	s_set_vgpr_msb 1                        ;  msbs: dst=0 src0=1 src1=0 src2=0
	v_pk_fma_f32 v[122:123], v[6:7] /*v[262:263]*/, v[214:215], v[118:119] op_sel_hi:[1,0,1]
	s_wait_loadcnt 0x1
	v_pk_mul_f32 v[120:121], v[16:17] /*v[272:273]*/, v[224:225] op_sel:[1,1] op_sel_hi:[0,1]
	s_set_vgpr_msb 0                        ;  msbs: dst=0 src0=0 src1=0 src2=0
	v_mov_b32_e32 v122, v227
	v_pk_add_f32 v[116:117], v[116:117], v[126:127]
	s_set_vgpr_msb 1                        ;  msbs: dst=0 src0=1 src1=0 src2=0
	v_pk_fma_f32 v[118:119], v[6:7] /*v[262:263]*/, v[214:215], v[118:119] neg_lo:[0,0,1] neg_hi:[0,0,1]
	v_pk_fma_f32 v[126:127], v[16:17] /*v[272:273]*/, v[224:225], v[120:121] op_sel_hi:[1,0,1]
	s_set_vgpr_msb 0                        ;  msbs: dst=0 src0=0 src1=0 src2=0
	v_mov_b32_e32 v119, v123
	v_pk_add_f32 v[116:117], v[116:117], v[124:125]
	s_set_vgpr_msb 1                        ;  msbs: dst=0 src0=1 src1=0 src2=0
	v_pk_mul_f32 v[122:123], v[76:77] /*v[332:333]*/, v[122:123] op_sel_hi:[1,0]
	v_pk_fma_f32 v[120:121], v[16:17] /*v[272:273]*/, v[224:225], v[120:121] neg_lo:[0,0,1] neg_hi:[0,0,1]
	s_set_vgpr_msb 0                        ;  msbs: dst=0 src0=0 src1=0 src2=0
	v_mov_b32_e32 v121, v127
	v_pk_add_f32 v[116:117], v[116:117], v[118:119]
	s_set_vgpr_msb 1                        ;  msbs: dst=0 src0=1 src1=0 src2=0
	v_pk_fma_f32 v[118:119], v[18:19] /*v[274:275]*/, v[226:227], v[122:123] op_sel_hi:[1,0,1]
	v_pk_fma_f32 v[122:123], v[18:19] /*v[274:275]*/, v[226:227], v[122:123] neg_lo:[0,0,1] neg_hi:[0,0,1]
	s_set_vgpr_msb 0                        ;  msbs: dst=0 src0=0 src1=0 src2=0
	v_pk_add_f32 v[116:117], v[116:117], v[120:121]
	s_delay_alu instid0(VALU_DEP_3) | instskip(NEXT) | instid1(VALU_DEP_1)
	v_mov_b32_e32 v123, v119
	v_pk_add_f32 v[116:117], v[116:117], v[122:123]
	s_wait_loadcnt 0x0
	s_set_vgpr_msb 1                        ;  msbs: dst=0 src0=1 src1=0 src2=0
	s_delay_alu instid0(VALU_DEP_1)
	v_pk_add_f32 v[116:117], v[68:69] /*v[324:325]*/, v[116:117] neg_lo:[0,1] neg_hi:[0,1]
	scratch_store_b64 off, v[116:117], off offset:32
	s_wait_xcnt 0x0
	v_cmpx_lt_u32_e32 3, v0
	s_set_vgpr_msb 0                        ;  msbs: dst=0 src0=0 src1=0 src2=0
	s_cbranch_execz .LBB120_349
; %bb.348:
	scratch_load_b64 v[116:117], off, off offset:24
	v_mov_b64_e32 v[118:119], 0
	scratch_store_b64 off, v[118:119], off offset:24
	s_wait_loadcnt 0x0
	ds_store_b64 v1, v[116:117]
.LBB120_349:
	s_wait_xcnt 0x0
	s_or_b32 exec_lo, exec_lo, s0
	s_wait_storecnt_dscnt 0x0
	s_barrier_signal -1
	s_barrier_wait -1
	s_clause 0x1c
	scratch_load_b128 v[116:119], off, off offset:32
	scratch_load_b128 v[120:123], off, off offset:48
	;; [unrolled: 1-line block ×26, first 2 shown]
	s_set_vgpr_msb 64                       ;  msbs: dst=1 src0=0 src1=0 src2=0
	scratch_load_b64 v[68:69] /*v[324:325]*/, off, off offset:448
	scratch_load_b64 v[70:71] /*v[326:327]*/, off, off offset:24
	s_set_vgpr_msb 0                        ;  msbs: dst=0 src0=0 src1=0 src2=0
	v_mov_b32_e32 v7, 0
	ds_load_b128 v[220:223], v7 offset:496
	ds_load_b128 v[224:227], v7 offset:512
	;; [unrolled: 1-line block ×9, first 2 shown]
	s_set_vgpr_msb 64                       ;  msbs: dst=1 src0=0 src1=0 src2=0
	ds_load_b128 v[0:3] /*v[256:259]*/, v7 offset:864
	ds_load_b128 v[4:7] /*v[260:263]*/, v7 offset:880
	;; [unrolled: 1-line block ×17, first 2 shown]
	ds_load_b64 v[72:73] /*v[328:329]*/, v7 offset:912
	s_wait_dscnt 0x14
	v_dual_mov_b32 v74 /*v330*/, v247 :: v_dual_mov_b32 v75 /*v331*/, v246
	s_wait_dscnt 0x11
	s_set_vgpr_msb 0x41                     ;  msbs: dst=1 src0=1 src1=0 src2=0
	v_dual_mov_b32 v76 /*v332*/, v3 /*v259*/ :: v_dual_mov_b32 v77 /*v333*/, v2 /*v258*/
	s_wait_dscnt 0x10
	v_dual_mov_b32 v78 /*v334*/, v7 /*v263*/ :: v_dual_mov_b32 v79 /*v335*/, v6 /*v262*/
	s_wait_dscnt 0xd
	v_dual_mov_b32 v80 /*v336*/, v19 /*v275*/ :: v_dual_mov_b32 v81 /*v337*/, v18 /*v274*/
	s_mov_b32 s0, exec_lo
	s_wait_loadcnt 0x1b
	s_set_vgpr_msb 0                        ;  msbs: dst=0 src0=0 src1=0 src2=0
	v_dual_mul_f32 v9, v220, v117 :: v_dual_mul_f32 v11, v222, v119
	s_wait_loadcnt 0x1a
	v_mul_f32_e32 v13, v224, v121
	v_dual_mul_f32 v95, v221, v117 :: v_dual_mul_f32 v97, v223, v119
	v_mul_f32_e32 v99, v225, v121
	s_wait_loadcnt 0x14
	v_dual_fmac_f32 v9, v221, v116 :: v_dual_mul_f32 v39, v254, v147
	s_delay_alu instid0(VALU_DEP_3) | instskip(SKIP_1) | instid1(VALU_DEP_3)
	v_dual_fma_f32 v95, v220, v116, -v95 :: v_dual_mul_f32 v109, v235, v131
	v_dual_fma_f32 v97, v222, v118, -v97 :: v_dual_fmac_f32 v11, v223, v118
	v_dual_add_f32 v9, 0, v9 :: v_dual_mul_f32 v15, v226, v123
	v_dual_mul_f32 v17, v228, v125 :: v_dual_mul_f32 v101, v227, v123
	s_delay_alu instid0(VALU_DEP_4)
	v_dual_mul_f32 v103, v229, v125 :: v_dual_add_f32 v95, 0, v95
	v_dual_mul_f32 v111, v237, v133 :: v_dual_fma_f32 v99, v224, v120, -v99
	v_fmac_f32_e32 v13, v225, v120
	s_wait_loadcnt_dscnt 0x601
	s_set_vgpr_msb 1                        ;  msbs: dst=0 src0=1 src1=0 src2=0
	v_mul_f32_e32 v93, v64 /*v320*/, v201
	s_set_vgpr_msb 0                        ;  msbs: dst=0 src0=0 src1=0 src2=0
	v_dual_add_f32 v9, v9, v11 :: v_dual_fmac_f32 v15, v227, v122
	v_add_f32_e32 v11, v95, v97
	v_dual_mul_f32 v95, v239, v135 :: v_dual_fma_f32 v97, v226, v122, -v101
	s_delay_alu instid0(VALU_DEP_3) | instskip(NEXT) | instid1(VALU_DEP_3)
	v_dual_add_f32 v9, v9, v13 :: v_dual_mul_f32 v19, v230, v127
	v_dual_mul_f32 v21, v232, v129 :: v_dual_add_f32 v11, v11, v99
	v_dual_mul_f32 v105, v231, v127 :: v_dual_mul_f32 v107, v233, v129
	v_dual_mul_f32 v13, v241, v137 :: v_dual_fma_f32 v99, v228, v124, -v103
	s_delay_alu instid0(VALU_DEP_3) | instskip(SKIP_1) | instid1(VALU_DEP_4)
	v_dual_fmac_f32 v17, v229, v124 :: v_dual_add_f32 v11, v11, v97
	v_dual_add_f32 v9, v9, v15 :: v_dual_fmac_f32 v19, v231, v126
	v_dual_mul_f32 v15, v243, v139 :: v_dual_fma_f32 v97, v230, v126, -v105
	s_delay_alu instid0(VALU_DEP_2) | instskip(SKIP_2) | instid1(VALU_DEP_3)
	v_dual_add_f32 v11, v11, v99 :: v_dual_add_f32 v9, v9, v17
	v_dual_mul_f32 v23, v234, v131 :: v_dual_mul_f32 v25, v236, v133
	v_dual_mul_f32 v17, v249, v141 :: v_dual_fma_f32 v99, v232, v128, -v107
	v_dual_fmac_f32 v21, v233, v128 :: v_dual_add_f32 v11, v11, v97
	s_delay_alu instid0(VALU_DEP_3) | instskip(SKIP_1) | instid1(VALU_DEP_2)
	v_dual_add_f32 v9, v9, v19 :: v_dual_fmac_f32 v23, v235, v130
	v_dual_mul_f32 v19, v251, v143 :: v_dual_fma_f32 v97, v234, v130, -v109
	v_dual_add_f32 v11, v11, v99 :: v_dual_add_f32 v9, v9, v21
	v_dual_mul_f32 v27, v238, v135 :: v_dual_mul_f32 v29, v240, v137
	v_dual_mul_f32 v21, v253, v145 :: v_dual_fma_f32 v99, v236, v132, -v111
	s_delay_alu instid0(VALU_DEP_3) | instskip(NEXT) | instid1(VALU_DEP_3)
	v_dual_fmac_f32 v25, v237, v132 :: v_dual_add_f32 v11, v11, v97
	v_dual_add_f32 v9, v9, v23 :: v_dual_fmac_f32 v27, v239, v134
	v_dual_mul_f32 v23, v255, v147 :: v_dual_fma_f32 v95, v238, v134, -v95
	s_delay_alu instid0(VALU_DEP_2) | instskip(SKIP_1) | instid1(VALU_DEP_2)
	v_dual_add_f32 v11, v11, v99 :: v_dual_add_f32 v9, v9, v25
	v_dual_mul_f32 v31, v242, v139 :: v_dual_mul_f32 v33, v248, v141
	v_dual_fmac_f32 v29, v241, v136 :: v_dual_add_f32 v11, v11, v95
	s_delay_alu instid0(VALU_DEP_3) | instskip(NEXT) | instid1(VALU_DEP_3)
	v_dual_fma_f32 v13, v240, v136, -v13 :: v_dual_add_f32 v9, v9, v27
	v_fmac_f32_e32 v31, v243, v138
	v_fma_f32 v15, v242, v138, -v15
	v_dual_mul_f32 v35, v250, v143 :: v_dual_mul_f32 v37, v252, v145
	s_delay_alu instid0(VALU_DEP_4)
	v_add_f32_e32 v9, v9, v29
	v_dual_add_f32 v11, v11, v13 :: v_dual_fmac_f32 v33, v249, v140
	v_fma_f32 v17, v248, v140, -v17
	s_set_vgpr_msb 1                        ;  msbs: dst=0 src0=1 src1=0 src2=0
	v_dual_mul_f32 v41, v8 /*v264*/, v149 :: v_dual_mul_f32 v43, v10 /*v266*/, v151
	s_set_vgpr_msb 0                        ;  msbs: dst=0 src0=0 src1=0 src2=0
	v_add_f32_e32 v9, v9, v31
	v_add_f32_e32 v11, v11, v15
	v_fmac_f32_e32 v35, v251, v142
	v_fma_f32 v19, v250, v142, -v19
	s_set_vgpr_msb 1                        ;  msbs: dst=0 src0=1 src1=0 src2=0
	v_dual_mul_f32 v25, v9 /*v265*/, v149 :: v_dual_mul_f32 v27, v11 /*v267*/, v151
	s_set_vgpr_msb 0                        ;  msbs: dst=0 src0=0 src1=0 src2=0
	v_add_f32_e32 v9, v9, v33
	v_dual_add_f32 v11, v11, v17 :: v_dual_fmac_f32 v37, v253, v144
	v_fma_f32 v21, v252, v144, -v21
	s_set_vgpr_msb 1                        ;  msbs: dst=0 src0=1 src1=0 src2=0
	v_fmac_f32_e32 v41, v9 /*v265*/, v148
	s_set_vgpr_msb 0                        ;  msbs: dst=0 src0=0 src1=0 src2=0
	v_add_f32_e32 v9, v9, v35
	v_add_f32_e32 v11, v11, v19
	v_fmac_f32_e32 v39, v255, v146
	v_fma_f32 v23, v254, v146, -v23
	s_set_vgpr_msb 1                        ;  msbs: dst=0 src0=1 src1=0 src2=0
	v_fma_f32 v25, v8 /*v264*/, v148, -v25
	s_set_vgpr_msb 0                        ;  msbs: dst=0 src0=0 src1=0 src2=0
	v_add_f32_e32 v9, v9, v37
	v_add_f32_e32 v11, v11, v21
	s_set_vgpr_msb 1                        ;  msbs: dst=0 src0=1 src1=0 src2=0
	v_mul_f32_e32 v21, v25 /*v281*/, v161
	v_dual_mul_f32 v45, v12 /*v268*/, v153 :: v_dual_mul_f32 v47, v14 /*v270*/, v155
	v_dual_mul_f32 v13, v13 /*v269*/, v153 :: v_dual_mul_f32 v15, v15 /*v271*/, v155
	s_set_vgpr_msb 0                        ;  msbs: dst=0 src0=0 src1=0 src2=0
	v_add_f32_e32 v11, v11, v23
	v_add_f32_e32 v9, v9, v39
	s_set_vgpr_msb 1                        ;  msbs: dst=0 src0=1 src1=0 src2=0
	v_mul_f32_e32 v23, v27 /*v283*/, v163
	v_fmac_f32_e32 v43, v11 /*v267*/, v150
	v_dual_fma_f32 v27, v10 /*v266*/, v150, -v27 :: v_dual_fmac_f32 v45, v13 /*v269*/, v152
	s_set_vgpr_msb 0                        ;  msbs: dst=0 src0=0 src1=0 src2=0
	v_add_f32_e32 v11, v11, v25
	v_add_f32_e32 v9, v9, v41
	s_set_vgpr_msb 1                        ;  msbs: dst=0 src0=1 src1=0 src2=0
	v_dual_mul_f32 v25, v29 /*v285*/, v165 :: v_dual_fma_f32 v13, v12 /*v268*/, v152, -v13
	v_dual_mul_f32 v49, v20 /*v276*/, v157 :: v_dual_mul_f32 v51, v22 /*v278*/, v159
	s_set_vgpr_msb 0                        ;  msbs: dst=0 src0=0 src1=0 src2=0
	v_add_f32_e32 v11, v11, v27
	s_set_vgpr_msb 1                        ;  msbs: dst=0 src0=1 src1=0 src2=0
	v_mul_f32_e32 v27, v31 /*v287*/, v167
	s_set_vgpr_msb 0                        ;  msbs: dst=0 src0=0 src1=0 src2=0
	v_add_f32_e32 v9, v9, v43
	s_set_vgpr_msb 1                        ;  msbs: dst=0 src0=1 src1=0 src2=0
	v_dual_mul_f32 v17, v21 /*v277*/, v157 :: v_dual_mul_f32 v19, v23 /*v279*/, v159
	v_fmac_f32_e32 v47, v15 /*v271*/, v154
	v_dual_fma_f32 v15, v14 /*v270*/, v154, -v15 :: v_dual_fmac_f32 v49, v21 /*v277*/, v156
	s_set_vgpr_msb 0                        ;  msbs: dst=0 src0=0 src1=0 src2=0
	v_add_f32_e32 v11, v11, v13
	v_add_f32_e32 v9, v9, v45
	s_set_vgpr_msb 1                        ;  msbs: dst=0 src0=1 src1=0 src2=0
	v_dual_mul_f32 v13, v33 /*v289*/, v169 :: v_dual_fma_f32 v17, v20 /*v276*/, v156, -v17
	v_dual_mul_f32 v53, v24 /*v280*/, v161 :: v_dual_mul_f32 v55, v26 /*v282*/, v163
	s_set_vgpr_msb 0                        ;  msbs: dst=0 src0=0 src1=0 src2=0
	v_add_f32_e32 v11, v11, v15
	s_set_vgpr_msb 1                        ;  msbs: dst=0 src0=1 src1=0 src2=0
	v_mul_f32_e32 v15, v35 /*v291*/, v171
	s_set_vgpr_msb 0                        ;  msbs: dst=0 src0=0 src1=0 src2=0
	v_add_f32_e32 v9, v9, v47
	s_set_vgpr_msb 1                        ;  msbs: dst=0 src0=1 src1=0 src2=0
	v_fmac_f32_e32 v51, v23 /*v279*/, v158
	v_dual_fma_f32 v19, v22 /*v278*/, v158, -v19 :: v_dual_fmac_f32 v53, v25 /*v281*/, v160
	s_set_vgpr_msb 0                        ;  msbs: dst=0 src0=0 src1=0 src2=0
	v_add_f32_e32 v11, v11, v17
	v_add_f32_e32 v9, v9, v49
	s_set_vgpr_msb 1                        ;  msbs: dst=0 src0=1 src1=0 src2=0
	v_dual_mul_f32 v17, v37 /*v293*/, v173 :: v_dual_fma_f32 v21, v24 /*v280*/, v160, -v21
	v_dual_mul_f32 v57, v28 /*v284*/, v165 :: v_dual_mul_f32 v59, v30 /*v286*/, v167
	s_set_vgpr_msb 0                        ;  msbs: dst=0 src0=0 src1=0 src2=0
	v_add_f32_e32 v11, v11, v19
	s_set_vgpr_msb 1                        ;  msbs: dst=0 src0=1 src1=0 src2=0
	v_mul_f32_e32 v19, v39 /*v295*/, v175
	s_set_vgpr_msb 0                        ;  msbs: dst=0 src0=0 src1=0 src2=0
	v_add_f32_e32 v9, v9, v51
	s_set_vgpr_msb 1                        ;  msbs: dst=0 src0=1 src1=0 src2=0
	;; [unrolled: 15-line block ×9, first 2 shown]
	v_dual_fmac_f32 v83, v55 /*v311*/, v190 :: v_dual_fmac_f32 v85, v57 /*v313*/, v192
	v_dual_fma_f32 v19, v54 /*v310*/, v190, -v19 :: v_dual_fma_f32 v21, v56 /*v312*/, v192, -v21
	s_set_vgpr_msb 0                        ;  msbs: dst=0 src0=0 src1=0 src2=0
	v_add_f32_e32 v11, v11, v17
	v_add_f32_e32 v9, v9, v81
	s_set_vgpr_msb 1                        ;  msbs: dst=0 src0=1 src1=0 src2=0
	v_dual_mul_f32 v89, v60 /*v316*/, v197 :: v_dual_mul_f32 v91, v62 /*v318*/, v199
	s_wait_loadcnt 0x5
	s_set_vgpr_msb 0                        ;  msbs: dst=0 src0=0 src1=0 src2=0
	v_dual_mul_f32 v17, v245, v205 :: v_dual_add_f32 v11, v11, v19
	v_dual_add_f32 v9, v9, v83 :: v_dual_mov_b32 v116, v207
	s_set_vgpr_msb 1                        ;  msbs: dst=0 src0=1 src1=0 src2=0
	v_dual_fmac_f32 v87, v59 /*v315*/, v194 :: v_dual_fmac_f32 v89, v61 /*v317*/, v196
	v_fma_f32 v19, v58 /*v314*/, v194, -v23
	s_set_vgpr_msb 0                        ;  msbs: dst=0 src0=0 src1=0 src2=0
	v_add_f32_e32 v11, v11, v21
	s_set_vgpr_msb 1                        ;  msbs: dst=0 src0=1 src1=0 src2=0
	v_fma_f32 v21, v60 /*v316*/, v196, -v25
	s_set_vgpr_msb 0                        ;  msbs: dst=0 src0=0 src1=0 src2=0
	v_add_f32_e32 v9, v9, v85
	s_set_vgpr_msb 1                        ;  msbs: dst=0 src0=1 src1=0 src2=0
	v_dual_fmac_f32 v91, v63 /*v319*/, v198 :: v_dual_fmac_f32 v93, v65 /*v321*/, v200
	s_set_vgpr_msb 0                        ;  msbs: dst=0 src0=0 src1=0 src2=0
	v_add_f32_e32 v11, v11, v19
	s_set_vgpr_msb 1                        ;  msbs: dst=0 src0=1 src1=0 src2=0
	v_dual_fma_f32 v19, v62 /*v318*/, v198, -v27 :: v_dual_fma_f32 v13, v64 /*v320*/, v200, -v13
	s_wait_loadcnt 0x4
	s_set_vgpr_msb 0                        ;  msbs: dst=0 src0=0 src1=0 src2=0
	v_dual_add_f32 v9, v9, v87 :: v_dual_mov_b32 v120, v211
	s_set_vgpr_msb 0x41                     ;  msbs: dst=1 src0=1 src1=0 src2=0
	v_dual_mul_f32 v83 /*v339*/, v66 /*v322*/, v203 :: v_dual_fma_f32 v82 /*v338*/, v66 /*v322*/, v202, -v15
	s_set_vgpr_msb 1                        ;  msbs: dst=0 src0=1 src1=0 src2=0
	v_pk_mul_f32 v[116:117], v[74:75] /*v[330:331]*/, v[116:117] op_sel_hi:[1,0]
	s_set_vgpr_msb 0                        ;  msbs: dst=0 src0=0 src1=0 src2=0
	v_add_f32_e32 v9, v9, v89
	v_add_f32_e32 v11, v11, v21
	s_set_vgpr_msb 64                       ;  msbs: dst=1 src0=0 src1=0 src2=0
	v_dual_mul_f32 v85 /*v341*/, v244, v205 :: v_dual_fma_f32 v84 /*v340*/, v244, v204, -v17
	s_set_vgpr_msb 0x41                     ;  msbs: dst=1 src0=1 src1=0 src2=0
	v_fmac_f32_e32 v83 /*v339*/, v67 /*v323*/, v202
	s_set_vgpr_msb 0                        ;  msbs: dst=0 src0=0 src1=0 src2=0
	v_add_f32_e32 v9, v9, v91
	v_add_f32_e32 v11, v11, v19
	v_pk_fma_f32 v[128:129], v[246:247], v[206:207], v[116:117] op_sel_hi:[1,0,1]
	v_pk_fma_f32 v[116:117], v[246:247], v[206:207], v[116:117] neg_lo:[0,0,1] neg_hi:[0,0,1]
	s_set_vgpr_msb 1                        ;  msbs: dst=0 src0=1 src1=0 src2=0
	v_pk_mul_f32 v[118:119], v[0:1] /*v[256:257]*/, v[208:209] op_sel:[1,1] op_sel_hi:[0,1]
	s_set_vgpr_msb 0                        ;  msbs: dst=0 src0=0 src1=0 src2=0
	v_add_f32_e32 v125, v9, v93
	v_dual_add_f32 v124, v11, v13 :: v_dual_mov_b32 v117, v129
	s_set_vgpr_msb 64                       ;  msbs: dst=1 src0=0 src1=0 src2=0
	v_fmac_f32_e32 v85 /*v341*/, v245, v204
	s_set_vgpr_msb 1                        ;  msbs: dst=0 src0=1 src1=0 src2=0
	v_pk_fma_f32 v[130:131], v[0:1] /*v[256:257]*/, v[208:209], v[118:119] op_sel_hi:[1,0,1]
	v_pk_mul_f32 v[120:121], v[76:77] /*v[332:333]*/, v[120:121] op_sel_hi:[1,0]
	s_set_vgpr_msb 4                        ;  msbs: dst=0 src0=0 src1=1 src2=0
	v_pk_add_f32 v[124:125], v[124:125], v[82:83] /*v[338:339]*/
	s_set_vgpr_msb 1                        ;  msbs: dst=0 src0=1 src1=0 src2=0
	v_pk_fma_f32 v[118:119], v[0:1] /*v[256:257]*/, v[208:209], v[118:119] neg_lo:[0,0,1] neg_hi:[0,0,1]
	s_wait_loadcnt 0x3
	v_pk_mul_f32 v[122:123], v[4:5] /*v[260:261]*/, v[212:213] op_sel:[1,1] op_sel_hi:[0,1]
	s_set_vgpr_msb 4                        ;  msbs: dst=0 src0=0 src1=1 src2=0
	v_dual_mov_b32 v126, v215 :: v_dual_mov_b32 v119, v131
	v_pk_add_f32 v[124:125], v[124:125], v[84:85] /*v[340:341]*/
	s_set_vgpr_msb 1                        ;  msbs: dst=0 src0=1 src1=0 src2=0
	v_pk_fma_f32 v[130:131], v[2:3] /*v[258:259]*/, v[210:211], v[120:121] op_sel_hi:[1,0,1]
	v_pk_fma_f32 v[120:121], v[2:3] /*v[258:259]*/, v[210:211], v[120:121] neg_lo:[0,0,1] neg_hi:[0,0,1]
	v_pk_mul_f32 v[126:127], v[78:79] /*v[334:335]*/, v[126:127] op_sel_hi:[1,0]
	s_wait_loadcnt 0x2
	v_pk_mul_f32 v[128:129], v[16:17] /*v[272:273]*/, v[216:217] op_sel:[1,1] op_sel_hi:[0,1]
	s_set_vgpr_msb 0                        ;  msbs: dst=0 src0=0 src1=0 src2=0
	v_pk_add_f32 v[116:117], v[124:125], v[116:117]
	s_set_vgpr_msb 1                        ;  msbs: dst=0 src0=1 src1=0 src2=0
	v_pk_fma_f32 v[124:125], v[4:5] /*v[260:261]*/, v[212:213], v[122:123] op_sel_hi:[1,0,1]
	s_set_vgpr_msb 0                        ;  msbs: dst=0 src0=0 src1=0 src2=0
	v_mov_b32_e32 v121, v131
	s_set_vgpr_msb 1                        ;  msbs: dst=0 src0=1 src1=0 src2=0
	v_pk_fma_f32 v[122:123], v[4:5] /*v[260:261]*/, v[212:213], v[122:123] neg_lo:[0,0,1] neg_hi:[0,0,1]
	s_set_vgpr_msb 0                        ;  msbs: dst=0 src0=0 src1=0 src2=0
	v_pk_add_f32 v[116:117], v[116:117], v[118:119]
	v_dual_mov_b32 v118, v219 :: v_dual_mov_b32 v123, v125
	s_set_vgpr_msb 1                        ;  msbs: dst=0 src0=1 src1=0 src2=0
	v_pk_fma_f32 v[124:125], v[6:7] /*v[262:263]*/, v[214:215], v[126:127] op_sel_hi:[1,0,1]
	v_pk_fma_f32 v[126:127], v[6:7] /*v[262:263]*/, v[214:215], v[126:127] neg_lo:[0,0,1] neg_hi:[0,0,1]
	s_set_vgpr_msb 0                        ;  msbs: dst=0 src0=0 src1=0 src2=0
	v_pk_add_f32 v[116:117], v[116:117], v[120:121]
	s_set_vgpr_msb 1                        ;  msbs: dst=0 src0=1 src1=0 src2=0
	v_pk_fma_f32 v[120:121], v[16:17] /*v[272:273]*/, v[216:217], v[128:129] op_sel_hi:[1,0,1]
	v_pk_mul_f32 v[118:119], v[80:81] /*v[336:337]*/, v[118:119] op_sel_hi:[1,0]
	s_set_vgpr_msb 0                        ;  msbs: dst=0 src0=0 src1=0 src2=0
	v_mov_b32_e32 v127, v125
	s_wait_loadcnt_dscnt 0x100
	s_set_vgpr_msb 5                        ;  msbs: dst=0 src0=1 src1=1 src2=0
	v_pk_mul_f32 v[124:125], v[72:73] /*v[328:329]*/, v[68:69] /*v[324:325]*/ op_sel:[1,1] op_sel_hi:[0,1]
	s_set_vgpr_msb 0                        ;  msbs: dst=0 src0=0 src1=0 src2=0
	v_pk_add_f32 v[116:117], v[116:117], v[122:123]
	s_set_vgpr_msb 1                        ;  msbs: dst=0 src0=1 src1=0 src2=0
	v_pk_fma_f32 v[122:123], v[16:17] /*v[272:273]*/, v[216:217], v[128:129] neg_lo:[0,0,1] neg_hi:[0,0,1]
	s_set_vgpr_msb 0                        ;  msbs: dst=0 src0=0 src1=0 src2=0
	v_mov_b32_e32 v123, v121
	s_set_vgpr_msb 1                        ;  msbs: dst=0 src0=1 src1=0 src2=0
	v_pk_fma_f32 v[120:121], v[18:19] /*v[274:275]*/, v[218:219], v[118:119] op_sel_hi:[1,0,1]
	v_pk_fma_f32 v[118:119], v[18:19] /*v[274:275]*/, v[218:219], v[118:119] neg_lo:[0,0,1] neg_hi:[0,0,1]
	s_set_vgpr_msb 0                        ;  msbs: dst=0 src0=0 src1=0 src2=0
	v_pk_add_f32 v[116:117], v[116:117], v[126:127]
	s_delay_alu instid0(VALU_DEP_3)
	v_mov_b32_e32 v119, v121
	s_set_vgpr_msb 5                        ;  msbs: dst=0 src0=1 src1=1 src2=0
	v_pk_fma_f32 v[120:121], v[72:73] /*v[328:329]*/, v[68:69] /*v[324:325]*/, v[124:125] op_sel_hi:[1,0,1]
	s_set_vgpr_msb 0                        ;  msbs: dst=0 src0=0 src1=0 src2=0
	v_pk_add_f32 v[116:117], v[116:117], v[122:123]
	s_set_vgpr_msb 5                        ;  msbs: dst=0 src0=1 src1=1 src2=0
	v_pk_fma_f32 v[122:123], v[72:73] /*v[328:329]*/, v[68:69] /*v[324:325]*/, v[124:125] neg_lo:[0,0,1] neg_hi:[0,0,1]
	s_set_vgpr_msb 0                        ;  msbs: dst=0 src0=0 src1=0 src2=0
	v_mov_b32_e32 v123, v121
	v_pk_add_f32 v[116:117], v[116:117], v[118:119]
	s_delay_alu instid0(VALU_DEP_1) | instskip(SKIP_2) | instid1(VALU_DEP_1)
	v_pk_add_f32 v[116:117], v[116:117], v[122:123]
	s_wait_loadcnt 0x0
	s_set_vgpr_msb 1                        ;  msbs: dst=0 src0=1 src1=0 src2=0
	v_pk_add_f32 v[116:117], v[70:71] /*v[326:327]*/, v[116:117] neg_lo:[0,1] neg_hi:[0,1]
	scratch_store_b64 off, v[116:117], off offset:24
	s_wait_xcnt 0x0
	v_cmpx_lt_u32_e32 2, v0
	s_set_vgpr_msb 0                        ;  msbs: dst=0 src0=0 src1=0 src2=0
	s_cbranch_execz .LBB120_351
; %bb.350:
	scratch_load_b64 v[116:117], off, off offset:16
	v_mov_b64_e32 v[118:119], 0
	scratch_store_b64 off, v[118:119], off offset:16
	s_wait_loadcnt 0x0
	ds_store_b64 v1, v[116:117]
.LBB120_351:
	s_wait_xcnt 0x0
	s_or_b32 exec_lo, exec_lo, s0
	s_wait_storecnt_dscnt 0x0
	s_barrier_signal -1
	s_barrier_wait -1
	s_clause 0x19
	scratch_load_b128 v[116:119], off, off offset:24
	scratch_load_b128 v[120:123], off, off offset:40
	;; [unrolled: 1-line block ×26, first 2 shown]
	ds_load_2addr_b64 v[220:223], v7 offset0:61 offset1:62
	ds_load_2addr_b64 v[224:227], v7 offset0:63 offset1:64
	;; [unrolled: 1-line block ×9, first 2 shown]
	s_set_vgpr_msb 64                       ;  msbs: dst=1 src0=0 src1=0 src2=0
	ds_load_2addr_b64 v[0:3] /*v[256:259]*/, v7 offset0:107 offset1:108
	ds_load_2addr_b64 v[4:7] /*v[260:263]*/, v7 offset0:109 offset1:110
	;; [unrolled: 1-line block ×5, first 2 shown]
	scratch_load_b128 v[20:23] /*v[276:279]*/, off, off offset:440
	ds_load_2addr_b64 v[24:27] /*v[280:283]*/, v7 offset0:113 offset1:114
	ds_load_2addr_b64 v[28:31] /*v[284:287]*/, v7 offset0:81 offset1:82
	ds_load_2addr_b64 v[32:35] /*v[288:291]*/, v7 offset0:83 offset1:84
	ds_load_2addr_b64 v[36:39] /*v[292:295]*/, v7 offset0:85 offset1:86
	ds_load_2addr_b64 v[40:43] /*v[296:299]*/, v7 offset0:87 offset1:88
	ds_load_2addr_b64 v[44:47] /*v[300:303]*/, v7 offset0:89 offset1:90
	ds_load_2addr_b64 v[48:51] /*v[304:307]*/, v7 offset0:91 offset1:92
	ds_load_2addr_b64 v[52:55] /*v[308:311]*/, v7 offset0:93 offset1:94
	ds_load_2addr_b64 v[56:59] /*v[312:315]*/, v7 offset0:95 offset1:96
	ds_load_2addr_b64 v[60:63] /*v[316:319]*/, v7 offset0:97 offset1:98
	ds_load_2addr_b64 v[64:67] /*v[320:323]*/, v7 offset0:99 offset1:100
	ds_load_2addr_b64 v[68:71] /*v[324:327]*/, v7 offset0:101 offset1:102
	ds_load_2addr_b64 v[72:75] /*v[328:331]*/, v7 offset0:103 offset1:104
	scratch_load_b64 v[76:77] /*v[332:333]*/, off, off offset:16
	s_mov_b32 s0, exec_lo
	s_wait_dscnt 0xc
	s_set_vgpr_msb 0x41                     ;  msbs: dst=1 src0=1 src1=0 src2=0
	v_dual_mov_b32 v84 /*v340*/, v27 /*v283*/ :: v_dual_mov_b32 v85 /*v341*/, v26 /*v282*/
	v_dual_mov_b32 v78 /*v334*/, v3 /*v259*/ :: v_dual_mov_b32 v79 /*v335*/, v2 /*v258*/
	v_dual_mov_b32 v80 /*v336*/, v7 /*v263*/ :: v_dual_mov_b32 v81 /*v337*/, v6 /*v262*/
	v_dual_mov_b32 v82 /*v338*/, v19 /*v275*/ :: v_dual_mov_b32 v83 /*v339*/, v18 /*v274*/
	s_wait_loadcnt 0x1b
	s_set_vgpr_msb 0                        ;  msbs: dst=0 src0=0 src1=0 src2=0
	v_dual_mul_f32 v7, v220, v117 :: v_dual_mul_f32 v9, v222, v119
	v_dual_mul_f32 v95, v221, v117 :: v_dual_mul_f32 v97, v223, v119
	s_wait_loadcnt 0x1a
	v_dual_mul_f32 v11, v224, v121 :: v_dual_mul_f32 v13, v226, v123
	s_delay_alu instid0(VALU_DEP_3) | instskip(SKIP_3) | instid1(VALU_DEP_3)
	v_dual_fmac_f32 v7, v221, v116 :: v_dual_fmac_f32 v9, v223, v118
	s_wait_loadcnt 0x18
	v_dual_fma_f32 v95, v220, v116, -v95 :: v_dual_mul_f32 v107, v233, v129
	v_dual_mul_f32 v99, v225, v121 :: v_dual_mul_f32 v101, v227, v123
	v_dual_fma_f32 v97, v222, v118, -v97 :: v_dual_add_f32 v7, 0, v7
	s_delay_alu instid0(VALU_DEP_3) | instskip(SKIP_1) | instid1(VALU_DEP_4)
	v_dual_add_f32 v95, 0, v95 :: v_dual_fmac_f32 v11, v225, v120
	v_dual_mul_f32 v15, v228, v125 :: v_dual_mul_f32 v17, v230, v127
	v_dual_mul_f32 v109, v235, v131 :: v_dual_fma_f32 v99, v224, v120, -v99
	s_delay_alu instid0(VALU_DEP_4) | instskip(NEXT) | instid1(VALU_DEP_3)
	v_add_f32_e32 v7, v7, v9
	v_dual_add_f32 v9, v95, v97 :: v_dual_fmac_f32 v15, v229, v124
	v_dual_mul_f32 v103, v229, v125 :: v_dual_mul_f32 v105, v231, v127
	s_wait_loadcnt 0x17
	v_dual_mul_f32 v95, v237, v133 :: v_dual_fmac_f32 v13, v227, v122
	v_dual_fma_f32 v97, v226, v122, -v101 :: v_dual_add_f32 v7, v7, v11
	s_delay_alu instid0(VALU_DEP_3) | instskip(SKIP_1) | instid1(VALU_DEP_3)
	v_dual_add_f32 v9, v9, v99 :: v_dual_fma_f32 v99, v228, v124, -v103
	v_dual_mul_f32 v19, v232, v129 :: v_dual_mul_f32 v21, v234, v131
	v_add_f32_e32 v7, v7, v13
	s_delay_alu instid0(VALU_DEP_3) | instskip(SKIP_2) | instid1(VALU_DEP_3)
	v_dual_mul_f32 v11, v239, v135 :: v_dual_add_f32 v9, v9, v97
	s_wait_loadcnt 0x16
	v_dual_mul_f32 v13, v241, v137 :: v_dual_fmac_f32 v17, v231, v126
	v_dual_fma_f32 v97, v230, v126, -v105 :: v_dual_add_f32 v7, v7, v15
	s_delay_alu instid0(VALU_DEP_3) | instskip(SKIP_1) | instid1(VALU_DEP_3)
	v_dual_add_f32 v9, v9, v99 :: v_dual_fma_f32 v99, v232, v128, -v107
	v_dual_mul_f32 v15, v243, v139 :: v_dual_fmac_f32 v19, v233, v128
	v_add_f32_e32 v7, v7, v17
	s_delay_alu instid0(VALU_DEP_3)
	v_dual_add_f32 v9, v9, v97 :: v_dual_fmac_f32 v21, v235, v130
	v_dual_mul_f32 v23, v236, v133 :: v_dual_mul_f32 v25, v238, v135
	s_wait_loadcnt 0x15
	v_dual_fma_f32 v97, v234, v130, -v109 :: v_dual_mul_f32 v17, v245, v141
	v_add_f32_e32 v7, v7, v19
	v_dual_add_f32 v9, v9, v99 :: v_dual_fma_f32 v95, v236, v132, -v95
	v_dual_mul_f32 v19, v247, v143 :: v_dual_fmac_f32 v23, v237, v132
	s_delay_alu instid0(VALU_DEP_3) | instskip(NEXT) | instid1(VALU_DEP_3)
	v_dual_add_f32 v7, v7, v21 :: v_dual_fma_f32 v11, v238, v134, -v11
	v_dual_add_f32 v9, v9, v97 :: v_dual_fmac_f32 v25, v239, v134
	v_dual_mul_f32 v27, v240, v137 :: v_dual_mul_f32 v29, v242, v139
	s_wait_loadcnt 0x14
	s_delay_alu instid0(VALU_DEP_3) | instskip(NEXT) | instid1(VALU_DEP_3)
	v_dual_mul_f32 v21, v249, v145 :: v_dual_add_f32 v7, v7, v23
	v_dual_add_f32 v9, v9, v95 :: v_dual_fma_f32 v13, v240, v136, -v13
	s_delay_alu instid0(VALU_DEP_3) | instskip(NEXT) | instid1(VALU_DEP_2)
	v_dual_mul_f32 v23, v251, v147 :: v_dual_fmac_f32 v27, v241, v136
	v_dual_add_f32 v7, v7, v25 :: v_dual_add_f32 v9, v9, v11
	v_dual_mul_f32 v31, v244, v141 :: v_dual_mul_f32 v33, v246, v143
	v_dual_fmac_f32 v29, v243, v138 :: v_dual_fma_f32 v15, v242, v138, -v15
	s_delay_alu instid0(VALU_DEP_3) | instskip(NEXT) | instid1(VALU_DEP_3)
	v_dual_add_f32 v7, v7, v27 :: v_dual_add_f32 v9, v9, v13
	v_dual_fmac_f32 v31, v245, v140 :: v_dual_fma_f32 v17, v244, v140, -v17
	v_dual_mul_f32 v35, v248, v145 :: v_dual_mul_f32 v37, v250, v147
	s_delay_alu instid0(VALU_DEP_3) | instskip(SKIP_1) | instid1(VALU_DEP_3)
	v_dual_add_f32 v7, v7, v29 :: v_dual_add_f32 v9, v9, v15
	v_dual_fmac_f32 v33, v247, v142 :: v_dual_fma_f32 v19, v246, v142, -v19
	v_dual_fmac_f32 v35, v249, v144 :: v_dual_fma_f32 v21, v248, v144, -v21
	s_delay_alu instid0(VALU_DEP_3)
	v_dual_add_f32 v7, v7, v31 :: v_dual_add_f32 v9, v9, v17
	s_wait_loadcnt 0x13
	s_set_vgpr_msb 1                        ;  msbs: dst=0 src0=1 src1=0 src2=0
	v_dual_mul_f32 v11, v9 /*v265*/, v149 :: v_dual_mul_f32 v13, v11 /*v267*/, v151
	s_set_vgpr_msb 0                        ;  msbs: dst=0 src0=0 src1=0 src2=0
	v_dual_fmac_f32 v37, v251, v146 :: v_dual_fma_f32 v23, v250, v146, -v23
	v_dual_add_f32 v7, v7, v33 :: v_dual_add_f32 v9, v9, v19
	s_set_vgpr_msb 1                        ;  msbs: dst=0 src0=1 src1=0 src2=0
	v_dual_mul_f32 v39, v8 /*v264*/, v149 :: v_dual_mul_f32 v41, v10 /*v266*/, v151
	v_fma_f32 v11, v8 /*v264*/, v148, -v11
	s_set_vgpr_msb 0                        ;  msbs: dst=0 src0=0 src1=0 src2=0
	v_dual_add_f32 v7, v7, v35 :: v_dual_add_f32 v9, v9, v21
	s_wait_loadcnt 0x12
	s_set_vgpr_msb 1                        ;  msbs: dst=0 src0=1 src1=0 src2=0
	v_dual_mul_f32 v15, v13 /*v269*/, v153 :: v_dual_mul_f32 v17, v15 /*v271*/, v155
	v_dual_fmac_f32 v39, v9 /*v265*/, v148 :: v_dual_fmac_f32 v41, v11 /*v267*/, v150
	s_set_vgpr_msb 0                        ;  msbs: dst=0 src0=0 src1=0 src2=0
	v_dual_add_f32 v7, v7, v37 :: v_dual_add_f32 v9, v9, v23
	s_wait_loadcnt_dscnt 0x100a
	s_set_vgpr_msb 1                        ;  msbs: dst=0 src0=1 src1=0 src2=0
	v_dual_mul_f32 v23, v33 /*v289*/, v161 :: v_dual_fma_f32 v13, v10 /*v266*/, v150, -v13
	v_dual_mul_f32 v43, v12 /*v268*/, v153 :: v_dual_mul_f32 v45, v14 /*v270*/, v155
	s_set_vgpr_msb 0                        ;  msbs: dst=0 src0=0 src1=0 src2=0
	v_add_f32_e32 v9, v9, v11
	s_set_vgpr_msb 1                        ;  msbs: dst=0 src0=1 src1=0 src2=0
	v_mul_f32_e32 v11, v35 /*v291*/, v163
	s_set_vgpr_msb 0                        ;  msbs: dst=0 src0=0 src1=0 src2=0
	v_add_f32_e32 v7, v7, v39
	s_set_vgpr_msb 1                        ;  msbs: dst=0 src0=1 src1=0 src2=0
	v_dual_fma_f32 v15, v12 /*v268*/, v152, -v15 :: v_dual_mul_f32 v19, v29 /*v285*/, v157
	v_mul_f32_e32 v21, v31 /*v287*/, v159
	s_set_vgpr_msb 0                        ;  msbs: dst=0 src0=0 src1=0 src2=0
	v_add_f32_e32 v9, v9, v13
	s_set_vgpr_msb 1                        ;  msbs: dst=0 src0=1 src1=0 src2=0
	v_dual_fmac_f32 v43, v13 /*v269*/, v152 :: v_dual_fmac_f32 v45, v15 /*v271*/, v154
	s_set_vgpr_msb 0                        ;  msbs: dst=0 src0=0 src1=0 src2=0
	v_add_f32_e32 v7, v7, v41
	s_wait_loadcnt_dscnt 0xf09
	s_set_vgpr_msb 1                        ;  msbs: dst=0 src0=1 src1=0 src2=0
	v_dual_mul_f32 v13, v37 /*v293*/, v165 :: v_dual_fma_f32 v17, v14 /*v270*/, v154, -v17
	s_set_vgpr_msb 0                        ;  msbs: dst=0 src0=0 src1=0 src2=0
	v_add_f32_e32 v9, v9, v15
	s_set_vgpr_msb 1                        ;  msbs: dst=0 src0=1 src1=0 src2=0
	v_dual_mul_f32 v47, v28 /*v284*/, v157 :: v_dual_mul_f32 v49, v30 /*v286*/, v159
	v_mul_f32_e32 v15, v39 /*v295*/, v167
	s_set_vgpr_msb 0                        ;  msbs: dst=0 src0=0 src1=0 src2=0
	v_dual_add_f32 v7, v7, v43 :: v_dual_add_f32 v9, v9, v17
	s_wait_loadcnt_dscnt 0xe08
	s_set_vgpr_msb 1                        ;  msbs: dst=0 src0=1 src1=0 src2=0
	v_dual_fma_f32 v19, v28 /*v284*/, v156, -v19 :: v_dual_mul_f32 v17, v41 /*v297*/, v169
	v_dual_fmac_f32 v47, v29 /*v285*/, v156 :: v_dual_fmac_f32 v49, v31 /*v287*/, v158
	s_set_vgpr_msb 0                        ;  msbs: dst=0 src0=0 src1=0 src2=0
	v_add_f32_e32 v7, v7, v45
	s_set_vgpr_msb 1                        ;  msbs: dst=0 src0=1 src1=0 src2=0
	v_fma_f32 v21, v30 /*v286*/, v158, -v21
	s_set_vgpr_msb 0                        ;  msbs: dst=0 src0=0 src1=0 src2=0
	v_add_f32_e32 v9, v9, v19
	s_set_vgpr_msb 1                        ;  msbs: dst=0 src0=1 src1=0 src2=0
	v_dual_mul_f32 v51, v32 /*v288*/, v161 :: v_dual_mul_f32 v53, v34 /*v290*/, v163
	v_mul_f32_e32 v19, v43 /*v299*/, v171
	s_set_vgpr_msb 0                        ;  msbs: dst=0 src0=0 src1=0 src2=0
	v_dual_add_f32 v7, v7, v47 :: v_dual_add_f32 v9, v9, v21
	s_wait_loadcnt_dscnt 0xd07
	s_set_vgpr_msb 1                        ;  msbs: dst=0 src0=1 src1=0 src2=0
	v_dual_fma_f32 v23, v32 /*v288*/, v160, -v23 :: v_dual_mul_f32 v21, v45 /*v301*/, v173
	v_dual_mul_f32 v55, v36 /*v292*/, v165 :: v_dual_mul_f32 v57, v38 /*v294*/, v167
	v_dual_mul_f32 v59, v40 /*v296*/, v169 :: v_dual_mul_f32 v61, v42 /*v298*/, v171
	v_dual_fmac_f32 v51, v33 /*v289*/, v160 :: v_dual_fmac_f32 v53, v35 /*v291*/, v162
	v_fma_f32 v11, v34 /*v290*/, v162, -v11
	s_set_vgpr_msb 0                        ;  msbs: dst=0 src0=0 src1=0 src2=0
	v_dual_add_f32 v9, v9, v23 :: v_dual_add_f32 v7, v7, v49
	s_set_vgpr_msb 1                        ;  msbs: dst=0 src0=1 src1=0 src2=0
	v_dual_mul_f32 v23, v47 /*v303*/, v175 :: v_dual_fmac_f32 v55, v37 /*v293*/, v164
	v_fma_f32 v13, v36 /*v292*/, v164, -v13
	v_dual_fmac_f32 v57, v39 /*v295*/, v166 :: v_dual_fmac_f32 v59, v41 /*v297*/, v168
	s_set_vgpr_msb 0                        ;  msbs: dst=0 src0=0 src1=0 src2=0
	v_add_f32_e32 v9, v9, v11
	s_set_vgpr_msb 1                        ;  msbs: dst=0 src0=1 src1=0 src2=0
	v_dual_mul_f32 v63, v44 /*v300*/, v173 :: v_dual_mul_f32 v65, v46 /*v302*/, v175
	s_set_vgpr_msb 0                        ;  msbs: dst=0 src0=0 src1=0 src2=0
	v_add_f32_e32 v7, v7, v51
	s_wait_loadcnt_dscnt 0xc06
	s_set_vgpr_msb 1                        ;  msbs: dst=0 src0=1 src1=0 src2=0
	v_dual_mul_f32 v11, v49 /*v305*/, v177 :: v_dual_fma_f32 v15, v38 /*v294*/, v166, -v15
	s_set_vgpr_msb 0                        ;  msbs: dst=0 src0=0 src1=0 src2=0
	v_add_f32_e32 v9, v9, v13
	s_set_vgpr_msb 1                        ;  msbs: dst=0 src0=1 src1=0 src2=0
	v_dual_mul_f32 v13, v51 /*v307*/, v179 :: v_dual_fma_f32 v17, v40 /*v296*/, v168, -v17
	s_set_vgpr_msb 0                        ;  msbs: dst=0 src0=0 src1=0 src2=0
	v_add_f32_e32 v7, v7, v53
	s_set_vgpr_msb 1                        ;  msbs: dst=0 src0=1 src1=0 src2=0
	v_dual_fmac_f32 v61, v43 /*v299*/, v170 :: v_dual_fmac_f32 v63, v45 /*v301*/, v172
	s_set_vgpr_msb 0                        ;  msbs: dst=0 src0=0 src1=0 src2=0
	v_add_f32_e32 v9, v9, v15
	s_set_vgpr_msb 1                        ;  msbs: dst=0 src0=1 src1=0 src2=0
	v_dual_mul_f32 v67, v48 /*v304*/, v177 :: v_dual_mul_f32 v69, v50 /*v306*/, v179
	s_set_vgpr_msb 0                        ;  msbs: dst=0 src0=0 src1=0 src2=0
	v_add_f32_e32 v7, v7, v55
	s_wait_loadcnt_dscnt 0xb05
	s_set_vgpr_msb 1                        ;  msbs: dst=0 src0=1 src1=0 src2=0
	v_dual_mul_f32 v15, v53 /*v309*/, v181 :: v_dual_fma_f32 v19, v42 /*v298*/, v170, -v19
	s_set_vgpr_msb 0                        ;  msbs: dst=0 src0=0 src1=0 src2=0
	v_add_f32_e32 v9, v9, v17
	s_set_vgpr_msb 1                        ;  msbs: dst=0 src0=1 src1=0 src2=0
	v_dual_mul_f32 v17, v55 /*v311*/, v183 :: v_dual_fma_f32 v21, v44 /*v300*/, v172, -v21
	s_set_vgpr_msb 0                        ;  msbs: dst=0 src0=0 src1=0 src2=0
	v_add_f32_e32 v7, v7, v57
	s_set_vgpr_msb 1                        ;  msbs: dst=0 src0=1 src1=0 src2=0
	v_dual_fmac_f32 v65, v47 /*v303*/, v174 :: v_dual_fmac_f32 v67, v49 /*v305*/, v176
	s_set_vgpr_msb 0                        ;  msbs: dst=0 src0=0 src1=0 src2=0
	v_add_f32_e32 v9, v9, v19
	s_set_vgpr_msb 1                        ;  msbs: dst=0 src0=1 src1=0 src2=0
	v_dual_mul_f32 v71, v52 /*v308*/, v181 :: v_dual_mul_f32 v73, v54 /*v310*/, v183
	s_set_vgpr_msb 0                        ;  msbs: dst=0 src0=0 src1=0 src2=0
	v_add_f32_e32 v7, v7, v59
	s_wait_loadcnt_dscnt 0xa04
	s_set_vgpr_msb 1                        ;  msbs: dst=0 src0=1 src1=0 src2=0
	v_dual_mul_f32 v19, v57 /*v313*/, v185 :: v_dual_fma_f32 v23, v46 /*v302*/, v174, -v23
	s_set_vgpr_msb 0                        ;  msbs: dst=0 src0=0 src1=0 src2=0
	v_add_f32_e32 v9, v9, v21
	s_set_vgpr_msb 1                        ;  msbs: dst=0 src0=1 src1=0 src2=0
	v_dual_mul_f32 v75, v56 /*v312*/, v185 :: v_dual_mul_f32 v77, v58 /*v314*/, v187
	s_set_vgpr_msb 0                        ;  msbs: dst=0 src0=0 src1=0 src2=0
	v_add_f32_e32 v7, v7, v61
	s_set_vgpr_msb 1                        ;  msbs: dst=0 src0=1 src1=0 src2=0
	v_dual_mul_f32 v21, v59 /*v315*/, v187 :: v_dual_fma_f32 v11, v48 /*v304*/, v176, -v11
	v_dual_fmac_f32 v69, v51 /*v307*/, v178 :: v_dual_fmac_f32 v71, v53 /*v309*/, v180
	s_set_vgpr_msb 0                        ;  msbs: dst=0 src0=0 src1=0 src2=0
	v_add_f32_e32 v9, v9, v23
	s_wait_loadcnt_dscnt 0x903
	s_set_vgpr_msb 1                        ;  msbs: dst=0 src0=1 src1=0 src2=0
	v_dual_mul_f32 v23, v61 /*v317*/, v189 :: v_dual_fma_f32 v13, v50 /*v306*/, v178, -v13
	v_dual_fmac_f32 v73, v55 /*v311*/, v182 :: v_dual_fmac_f32 v75, v57 /*v313*/, v184
	s_set_vgpr_msb 0                        ;  msbs: dst=0 src0=0 src1=0 src2=0
	v_add_f32_e32 v9, v9, v11
	v_add_f32_e32 v7, v7, v63
	s_set_vgpr_msb 1                        ;  msbs: dst=0 src0=1 src1=0 src2=0
	v_dual_mul_f32 v79, v60 /*v316*/, v189 :: v_dual_mul_f32 v81, v62 /*v318*/, v191
	v_dual_mul_f32 v11, v63 /*v319*/, v191 :: v_dual_fma_f32 v15, v52 /*v308*/, v180, -v15
	s_set_vgpr_msb 0                        ;  msbs: dst=0 src0=0 src1=0 src2=0
	v_add_f32_e32 v9, v9, v13
	v_add_f32_e32 v7, v7, v65
	s_wait_loadcnt_dscnt 0x802
	s_set_vgpr_msb 1                        ;  msbs: dst=0 src0=1 src1=0 src2=0
	v_dual_mul_f32 v13, v65 /*v321*/, v193 :: v_dual_fma_f32 v17, v54 /*v310*/, v182, -v17
	v_dual_fmac_f32 v77, v59 /*v315*/, v186 :: v_dual_fmac_f32 v79, v61 /*v317*/, v188
	s_set_vgpr_msb 0                        ;  msbs: dst=0 src0=0 src1=0 src2=0
	v_add_f32_e32 v9, v9, v15
	v_add_f32_e32 v7, v7, v67
	s_set_vgpr_msb 1                        ;  msbs: dst=0 src0=1 src1=0 src2=0
	v_dual_mul_f32 v83, v64 /*v320*/, v193 :: v_dual_mul_f32 v85, v66 /*v322*/, v195
	v_dual_mul_f32 v15, v67 /*v323*/, v195 :: v_dual_fma_f32 v19, v56 /*v312*/, v184, -v19
	s_set_vgpr_msb 0                        ;  msbs: dst=0 src0=0 src1=0 src2=0
	v_add_f32_e32 v9, v9, v17
	v_add_f32_e32 v7, v7, v69
	s_wait_loadcnt_dscnt 0x701
	s_set_vgpr_msb 1                        ;  msbs: dst=0 src0=1 src1=0 src2=0
	v_dual_mul_f32 v17, v69 /*v325*/, v197 :: v_dual_fma_f32 v21, v58 /*v314*/, v186, -v21
	v_dual_fmac_f32 v81, v63 /*v319*/, v190 :: v_dual_fmac_f32 v83, v65 /*v321*/, v192
	s_set_vgpr_msb 0                        ;  msbs: dst=0 src0=0 src1=0 src2=0
	v_add_f32_e32 v9, v9, v19
	v_add_f32_e32 v7, v7, v71
	s_set_vgpr_msb 1                        ;  msbs: dst=0 src0=1 src1=0 src2=0
	v_dual_mul_f32 v19, v71 /*v327*/, v199 :: v_dual_fma_f32 v23, v60 /*v316*/, v188, -v23
	v_fma_f32 v11, v62 /*v318*/, v190, -v11
	s_set_vgpr_msb 0                        ;  msbs: dst=0 src0=0 src1=0 src2=0
	v_add_f32_e32 v9, v9, v21
	v_add_f32_e32 v7, v7, v73
	s_wait_loadcnt_dscnt 0x600
	s_set_vgpr_msb 1                        ;  msbs: dst=0 src0=1 src1=0 src2=0
	v_dual_mul_f32 v21, v73 /*v329*/, v201 :: v_dual_fmac_f32 v85, v67 /*v323*/, v194
	v_fma_f32 v15, v66 /*v322*/, v194, -v15
	s_set_vgpr_msb 0                        ;  msbs: dst=0 src0=0 src1=0 src2=0
	v_add_f32_e32 v9, v9, v23
	v_add_f32_e32 v7, v7, v75
	s_set_vgpr_msb 1                        ;  msbs: dst=0 src0=1 src1=0 src2=0
	v_dual_mul_f32 v23, v75 /*v331*/, v203 :: v_dual_fma_f32 v13, v64 /*v320*/, v192, -v13
	s_wait_loadcnt 0x4
	s_set_vgpr_msb 0                        ;  msbs: dst=0 src0=0 src1=0 src2=0
	v_dual_mov_b32 v118, v211 :: v_dual_add_f32 v9, v9, v11
	v_mul_f32_e32 v11, v253, v205
	v_add_f32_e32 v7, v7, v77
	s_set_vgpr_msb 1                        ;  msbs: dst=0 src0=1 src1=0 src2=0
	v_dual_mul_f32 v87, v68 /*v324*/, v197 :: v_dual_mul_f32 v89, v70 /*v326*/, v199
	s_set_vgpr_msb 0                        ;  msbs: dst=0 src0=0 src1=0 src2=0
	v_add_f32_e32 v9, v9, v13
	s_set_vgpr_msb 1                        ;  msbs: dst=0 src0=1 src1=0 src2=0
	v_fma_f32 v17, v68 /*v324*/, v196, -v17
	s_set_vgpr_msb 0                        ;  msbs: dst=0 src0=0 src1=0 src2=0
	v_add_f32_e32 v7, v7, v79
	s_set_vgpr_msb 1                        ;  msbs: dst=0 src0=1 src1=0 src2=0
	v_dual_fmac_f32 v87, v69 /*v325*/, v196 :: v_dual_fmac_f32 v89, v71 /*v327*/, v198
	s_set_vgpr_msb 0                        ;  msbs: dst=0 src0=0 src1=0 src2=0
	v_add_f32_e32 v9, v9, v15
	s_set_vgpr_msb 1                        ;  msbs: dst=0 src0=1 src1=0 src2=0
	v_dual_mul_f32 v91, v72 /*v328*/, v201 :: v_dual_mul_f32 v93, v74 /*v330*/, v203
	s_set_vgpr_msb 0                        ;  msbs: dst=0 src0=0 src1=0 src2=0
	v_add_f32_e32 v7, v7, v81
	s_set_vgpr_msb 1                        ;  msbs: dst=0 src0=1 src1=0 src2=0
	v_fma_f32 v15, v70 /*v326*/, v198, -v19
	s_set_vgpr_msb 0                        ;  msbs: dst=0 src0=0 src1=0 src2=0
	v_add_f32_e32 v9, v9, v17
	s_set_vgpr_msb 1                        ;  msbs: dst=0 src0=1 src1=0 src2=0
	v_dual_fmac_f32 v91, v73 /*v329*/, v200 :: v_dual_fma_f32 v17, v72 /*v328*/, v200, -v21
	s_set_vgpr_msb 0                        ;  msbs: dst=0 src0=0 src1=0 src2=0
	v_add_f32_e32 v7, v7, v83
	s_set_vgpr_msb 64                       ;  msbs: dst=1 src0=0 src1=0 src2=0
	v_dual_mul_f32 v87 /*v343*/, v252, v205 :: v_dual_mul_f32 v89 /*v345*/, v254, v207
	s_wait_loadcnt 0x3
	s_set_vgpr_msb 0                        ;  msbs: dst=0 src0=0 src1=0 src2=0
	v_dual_add_f32 v9, v9, v15 :: v_dual_mov_b32 v122, v215
	v_add_f32_e32 v7, v7, v85
	v_mul_f32_e32 v13, v255, v207
	s_set_vgpr_msb 1                        ;  msbs: dst=0 src0=1 src1=0 src2=0
	v_dual_fmac_f32 v93, v75 /*v331*/, v202 :: v_dual_fma_f32 v15, v74 /*v330*/, v202, -v23
	s_set_vgpr_msb 0                        ;  msbs: dst=0 src0=0 src1=0 src2=0
	v_dual_add_f32 v9, v9, v17 :: v_dual_add_f32 v7, v7, v87
	s_set_vgpr_msb 1                        ;  msbs: dst=0 src0=1 src1=0 src2=0
	v_pk_mul_f32 v[116:117], v[0:1] /*v[256:257]*/, v[208:209] op_sel:[1,1] op_sel_hi:[0,1]
	s_set_vgpr_msb 64                       ;  msbs: dst=1 src0=0 src1=0 src2=0
	v_dual_fmac_f32 v87 /*v343*/, v253, v204 :: v_dual_fmac_f32 v89 /*v345*/, v255, v206
	v_dual_fma_f32 v86 /*v342*/, v252, v204, -v11 :: v_dual_fma_f32 v88 /*v344*/, v254, v206, -v13
	s_set_vgpr_msb 0                        ;  msbs: dst=0 src0=0 src1=0 src2=0
	v_dual_add_f32 v7, v7, v89 :: v_dual_add_f32 v124, v9, v15
	s_set_vgpr_msb 1                        ;  msbs: dst=0 src0=1 src1=0 src2=0
	v_pk_fma_f32 v[126:127], v[0:1] /*v[256:257]*/, v[208:209], v[116:117] op_sel_hi:[1,0,1]
	v_pk_mul_f32 v[118:119], v[78:79] /*v[334:335]*/, v[118:119] op_sel_hi:[1,0]
	v_pk_fma_f32 v[116:117], v[0:1] /*v[256:257]*/, v[208:209], v[116:117] neg_lo:[0,0,1] neg_hi:[0,0,1]
	s_set_vgpr_msb 0                        ;  msbs: dst=0 src0=0 src1=0 src2=0
	v_add_f32_e32 v7, v7, v91
	s_set_vgpr_msb 1                        ;  msbs: dst=0 src0=1 src1=0 src2=0
	v_pk_mul_f32 v[120:121], v[4:5] /*v[260:261]*/, v[212:213] op_sel:[1,1] op_sel_hi:[0,1]
	s_set_vgpr_msb 0                        ;  msbs: dst=0 src0=0 src1=0 src2=0
	v_mov_b32_e32 v117, v127
	s_set_vgpr_msb 1                        ;  msbs: dst=0 src0=1 src1=0 src2=0
	v_pk_fma_f32 v[126:127], v[2:3] /*v[258:259]*/, v[210:211], v[118:119] op_sel_hi:[1,0,1]
	v_pk_fma_f32 v[118:119], v[2:3] /*v[258:259]*/, v[210:211], v[118:119] neg_lo:[0,0,1] neg_hi:[0,0,1]
	s_set_vgpr_msb 0                        ;  msbs: dst=0 src0=0 src1=0 src2=0
	v_add_f32_e32 v125, v7, v93
	s_set_vgpr_msb 1                        ;  msbs: dst=0 src0=1 src1=0 src2=0
	v_pk_fma_f32 v[130:131], v[4:5] /*v[260:261]*/, v[212:213], v[120:121] op_sel_hi:[1,0,1]
	v_pk_mul_f32 v[122:123], v[80:81] /*v[336:337]*/, v[122:123] op_sel_hi:[1,0]
	s_set_vgpr_msb 0                        ;  msbs: dst=0 src0=0 src1=0 src2=0
	v_mov_b32_e32 v119, v127
	s_wait_loadcnt 0x2
	s_set_vgpr_msb 1                        ;  msbs: dst=0 src0=1 src1=0 src2=0
	v_pk_mul_f32 v[128:129], v[16:17] /*v[272:273]*/, v[216:217] op_sel:[1,1] op_sel_hi:[0,1]
	s_set_vgpr_msb 4                        ;  msbs: dst=0 src0=0 src1=1 src2=0
	v_pk_add_f32 v[124:125], v[124:125], v[86:87] /*v[342:343]*/
	s_set_vgpr_msb 1                        ;  msbs: dst=0 src0=1 src1=0 src2=0
	v_pk_fma_f32 v[120:121], v[4:5] /*v[260:261]*/, v[212:213], v[120:121] neg_lo:[0,0,1] neg_hi:[0,0,1]
	s_set_vgpr_msb 0                        ;  msbs: dst=0 src0=0 src1=0 src2=0
	v_mov_b32_e32 v121, v131
	s_set_vgpr_msb 1                        ;  msbs: dst=0 src0=1 src1=0 src2=0
	v_pk_fma_f32 v[126:127], v[6:7] /*v[262:263]*/, v[214:215], v[122:123] op_sel_hi:[1,0,1]
	v_pk_fma_f32 v[122:123], v[6:7] /*v[262:263]*/, v[214:215], v[122:123] neg_lo:[0,0,1] neg_hi:[0,0,1]
	s_set_vgpr_msb 4                        ;  msbs: dst=0 src0=0 src1=1 src2=0
	v_pk_add_f32 v[124:125], v[124:125], v[88:89] /*v[344:345]*/
	s_set_vgpr_msb 0                        ;  msbs: dst=0 src0=0 src1=0 src2=0
	s_delay_alu instid0(VALU_DEP_1) | instskip(SKIP_1) | instid1(VALU_DEP_2)
	v_pk_add_f32 v[116:117], v[124:125], v[116:117]
	v_mov_b32_e32 v124, v219
	v_pk_add_f32 v[116:117], v[116:117], v[118:119]
	s_set_vgpr_msb 1                        ;  msbs: dst=0 src0=1 src1=0 src2=0
	v_pk_fma_f32 v[118:119], v[16:17] /*v[272:273]*/, v[216:217], v[128:129] op_sel_hi:[1,0,1]
	s_delay_alu instid0(VALU_DEP_3)
	v_pk_mul_f32 v[124:125], v[82:83] /*v[338:339]*/, v[124:125] op_sel_hi:[1,0]
	s_set_vgpr_msb 0                        ;  msbs: dst=0 src0=0 src1=0 src2=0
	v_mov_b32_e32 v123, v127
	s_set_vgpr_msb 1                        ;  msbs: dst=0 src0=1 src1=0 src2=0
	v_pk_fma_f32 v[126:127], v[16:17] /*v[272:273]*/, v[216:217], v[128:129] neg_lo:[0,0,1] neg_hi:[0,0,1]
	s_set_vgpr_msb 0                        ;  msbs: dst=0 src0=0 src1=0 src2=0
	v_pk_add_f32 v[116:117], v[116:117], v[120:121]
	v_mov_b32_e32 v127, v119
	s_set_vgpr_msb 1                        ;  msbs: dst=0 src0=1 src1=0 src2=0
	v_pk_fma_f32 v[118:119], v[18:19] /*v[274:275]*/, v[218:219], v[124:125] op_sel_hi:[1,0,1]
	s_wait_loadcnt 0x1
	s_set_vgpr_msb 5                        ;  msbs: dst=0 src0=1 src1=1 src2=0
	v_pk_mul_f32 v[120:121], v[24:25] /*v[280:281]*/, v[20:21] /*v[276:277]*/ op_sel:[1,1] op_sel_hi:[0,1]
	v_mov_b32_e32 v118, v23 /*v279*/
	s_set_vgpr_msb 0                        ;  msbs: dst=0 src0=0 src1=0 src2=0
	v_pk_add_f32 v[116:117], v[116:117], v[122:123]
	s_set_vgpr_msb 1                        ;  msbs: dst=0 src0=1 src1=0 src2=0
	v_pk_fma_f32 v[124:125], v[18:19] /*v[274:275]*/, v[218:219], v[124:125] neg_lo:[0,0,1] neg_hi:[0,0,1]
	s_set_vgpr_msb 5                        ;  msbs: dst=0 src0=1 src1=1 src2=0
	v_pk_fma_f32 v[122:123], v[24:25] /*v[280:281]*/, v[20:21] /*v[276:277]*/, v[120:121] op_sel_hi:[1,0,1]
	s_set_vgpr_msb 0                        ;  msbs: dst=0 src0=0 src1=0 src2=0
	v_mov_b32_e32 v125, v119
	v_pk_add_f32 v[116:117], v[116:117], v[126:127]
	s_set_vgpr_msb 1                        ;  msbs: dst=0 src0=1 src1=0 src2=0
	v_pk_mul_f32 v[118:119], v[84:85] /*v[340:341]*/, v[118:119] op_sel_hi:[1,0]
	s_set_vgpr_msb 5                        ;  msbs: dst=0 src0=1 src1=1 src2=0
	v_pk_fma_f32 v[120:121], v[24:25] /*v[280:281]*/, v[20:21] /*v[276:277]*/, v[120:121] neg_lo:[0,0,1] neg_hi:[0,0,1]
	s_set_vgpr_msb 0                        ;  msbs: dst=0 src0=0 src1=0 src2=0
	v_mov_b32_e32 v121, v123
	v_pk_add_f32 v[116:117], v[116:117], v[124:125]
	s_set_vgpr_msb 5                        ;  msbs: dst=0 src0=1 src1=1 src2=0
	v_pk_fma_f32 v[122:123], v[26:27] /*v[282:283]*/, v[22:23] /*v[278:279]*/, v[118:119] op_sel_hi:[1,0,1]
	v_pk_fma_f32 v[118:119], v[26:27] /*v[282:283]*/, v[22:23] /*v[278:279]*/, v[118:119] neg_lo:[0,0,1] neg_hi:[0,0,1]
	s_set_vgpr_msb 0                        ;  msbs: dst=0 src0=0 src1=0 src2=0
	v_pk_add_f32 v[116:117], v[116:117], v[120:121]
	s_delay_alu instid0(VALU_DEP_3) | instskip(NEXT) | instid1(VALU_DEP_1)
	v_mov_b32_e32 v119, v123
	v_pk_add_f32 v[116:117], v[116:117], v[118:119]
	s_wait_loadcnt 0x0
	s_set_vgpr_msb 1                        ;  msbs: dst=0 src0=1 src1=0 src2=0
	s_delay_alu instid0(VALU_DEP_1)
	v_pk_add_f32 v[116:117], v[76:77] /*v[332:333]*/, v[116:117] neg_lo:[0,1] neg_hi:[0,1]
	scratch_store_b64 off, v[116:117], off offset:16
	s_wait_xcnt 0x0
	v_cmpx_lt_u32_e32 1, v0
	s_set_vgpr_msb 0                        ;  msbs: dst=0 src0=0 src1=0 src2=0
	s_cbranch_execz .LBB120_353
; %bb.352:
	scratch_load_b64 v[116:117], off, off offset:8
	v_mov_b64_e32 v[118:119], 0
	scratch_store_b64 off, v[118:119], off offset:8
	s_wait_loadcnt 0x0
	ds_store_b64 v1, v[116:117]
.LBB120_353:
	s_wait_xcnt 0x0
	s_or_b32 exec_lo, exec_lo, s0
	s_wait_storecnt_dscnt 0x0
	s_barrier_signal -1
	s_barrier_wait -1
	s_clause 0x17
	scratch_load_b128 v[118:121], off, off offset:16
	scratch_load_b128 v[122:125], off, off offset:32
	;; [unrolled: 1-line block ×24, first 2 shown]
	v_dual_mov_b32 v116, 0 :: v_dual_ashrrev_i32 v91, 31, v90
	s_clause 0x5
	scratch_load_b128 v[214:217], off, off offset:400
	scratch_load_b128 v[218:221], off, off offset:416
	;; [unrolled: 1-line block ×3, first 2 shown]
	s_set_vgpr_msb 64                       ;  msbs: dst=1 src0=0 src1=0 src2=0
	scratch_load_b64 v[66:67] /*v[322:323]*/, off, off offset:448
	scratch_load_b64 v[68:69] /*v[324:325]*/, off, off offset:8
	s_set_vgpr_msb 0                        ;  msbs: dst=0 src0=0 src1=0 src2=0
	ds_load_b128 v[226:229], v116 offset:480
	ds_load_b128 v[230:233], v116 offset:496
	;; [unrolled: 1-line block ×8, first 2 shown]
	s_set_vgpr_msb 64                       ;  msbs: dst=1 src0=0 src1=0 src2=0
	ds_load_b128 v[2:5] /*v[258:261]*/, v116 offset:608
	ds_load_b128 v[6:9] /*v[262:265]*/, v116 offset:624
	;; [unrolled: 1-line block ×16, first 2 shown]
	s_set_vgpr_msb 0                        ;  msbs: dst=0 src0=0 src1=0 src2=0
	v_dual_ashrrev_i32 v7, 31, v6 :: v_dual_ashrrev_i32 v9, 31, v8
	v_dual_ashrrev_i32 v11, 31, v10 :: v_dual_ashrrev_i32 v13, 31, v12
	;; [unrolled: 1-line block ×21, first 2 shown]
	s_mov_b32 s0, exec_lo
	s_wait_loadcnt_dscnt 0x1c17
	v_dual_mul_f32 v93, v226, v119 :: v_dual_mul_f32 v95, v228, v121
	s_wait_loadcnt_dscnt 0x1a15
	v_dual_mul_f32 v113, v235, v127 :: v_dual_mul_f32 v115, v237, v129
	v_dual_mul_f32 v109, v234, v127 :: v_dual_mul_f32 v111, v236, v129
	s_wait_loadcnt_dscnt 0x1914
	v_mul_f32_e32 v117, v238, v131
	s_delay_alu instid0(VALU_DEP_3) | instskip(SKIP_4) | instid1(VALU_DEP_4)
	v_dual_fma_f32 v113, v234, v126, -v113 :: v_dual_fma_f32 v115, v236, v128, -v115
	v_dual_mul_f32 v234, v240, v133 :: v_dual_mul_f32 v131, v239, v131
	v_dual_mul_f32 v133, v241, v133 :: v_dual_fmac_f32 v93, v227, v118
	v_dual_fmac_f32 v95, v229, v120 :: v_dual_fmac_f32 v109, v235, v126
	v_dual_fmac_f32 v111, v237, v128 :: v_dual_fmac_f32 v117, v239, v130
	v_dual_fmac_f32 v234, v241, v132 :: v_dual_fma_f32 v235, v238, v130, -v131
	s_wait_loadcnt_dscnt 0x1813
	v_dual_fma_f32 v132, v240, v132, -v133 :: v_dual_mul_f32 v133, v242, v135
	s_wait_loadcnt_dscnt 0x1712
	v_dual_mul_f32 v236, v244, v137 :: v_dual_mul_f32 v237, v246, v139
	v_dual_mul_f32 v137, v245, v137 :: v_dual_mul_f32 v135, v243, v135
	s_wait_loadcnt_dscnt 0x1510
	v_dual_mul_f32 v238, v248, v141 :: v_dual_mul_f32 v239, v254, v147
	v_dual_mul_f32 v141, v249, v141 :: v_dual_mul_f32 v139, v247, v139
	v_dual_fmac_f32 v237, v247, v138 :: v_dual_mul_f32 v97, v230, v123
	s_delay_alu instid0(VALU_DEP_3) | instskip(NEXT) | instid1(VALU_DEP_3)
	v_dual_mul_f32 v99, v232, v125 :: v_dual_fmac_f32 v238, v249, v140
	v_dual_fma_f32 v138, v246, v138, -v139 :: v_dual_fma_f32 v139, v248, v140, -v141
	s_delay_alu instid0(VALU_DEP_3) | instskip(NEXT) | instid1(VALU_DEP_3)
	v_dual_add_f32 v93, 0, v93 :: v_dual_fmac_f32 v97, v231, v122
	v_dual_fmac_f32 v99, v233, v124 :: v_dual_fmac_f32 v133, v243, v134
	v_dual_fmac_f32 v236, v245, v136 :: v_dual_fma_f32 v134, v242, v134, -v135
	v_dual_fma_f32 v135, v244, v136, -v137 :: v_dual_mul_f32 v136, v250, v143
	s_delay_alu instid0(VALU_DEP_4) | instskip(SKIP_1) | instid1(VALU_DEP_3)
	v_dual_mul_f32 v137, v252, v145 :: v_dual_add_f32 v93, v93, v95
	v_dual_mul_f32 v101, v227, v119 :: v_dual_mul_f32 v103, v229, v121
	v_dual_fmac_f32 v136, v251, v142 :: v_dual_mul_f32 v143, v251, v143
	s_delay_alu instid0(VALU_DEP_2) | instskip(NEXT) | instid1(VALU_DEP_3)
	v_dual_add_f32 v93, v93, v97 :: v_dual_fma_f32 v101, v226, v118, -v101
	v_fma_f32 v103, v228, v120, -v103
	ds_load_b128 v[118:121], v116 offset:800
	ds_load_b128 v[226:229], v116 offset:816
	v_dual_fmac_f32 v239, v255, v146 :: v_dual_add_f32 v93, v93, v99
	v_dual_mul_f32 v105, v231, v123 :: v_dual_mul_f32 v107, v233, v125
	s_wait_loadcnt_dscnt 0x120f
	s_set_vgpr_msb 1                        ;  msbs: dst=0 src0=1 src1=0 src2=0
	v_dual_add_f32 v101, 0, v101 :: v_dual_mul_f32 v243, v10 /*v266*/, v159
	s_set_vgpr_msb 0                        ;  msbs: dst=0 src0=0 src1=0 src2=0
	v_dual_add_f32 v93, v93, v109 :: v_dual_fma_f32 v105, v230, v122, -v105
	s_delay_alu instid0(VALU_DEP_2) | instskip(NEXT) | instid1(VALU_DEP_2)
	v_dual_fma_f32 v107, v232, v124, -v107 :: v_dual_add_f32 v101, v101, v103
	v_dual_fma_f32 v142, v250, v142, -v143 :: v_dual_add_f32 v93, v93, v111
	v_fmac_f32_e32 v137, v253, v144
	s_set_vgpr_msb 1                        ;  msbs: dst=0 src0=1 src1=0 src2=0
	v_dual_mul_f32 v240, v0 /*v256*/, v149 :: v_dual_mul_f32 v241, v2 /*v258*/, v151
	v_dual_mul_f32 v242, v4 /*v260*/, v153 :: v_dual_mul_f32 v140, v6 /*v262*/, v155
	s_set_vgpr_msb 0                        ;  msbs: dst=0 src0=0 src1=0 src2=0
	v_add_f32_e32 v93, v93, v117
	v_mul_f32_e32 v117, v253, v145
	s_wait_loadcnt_dscnt 0x700
	v_dual_add_f32 v101, v101, v105 :: v_dual_mul_f32 v248, v226, v203
	s_set_vgpr_msb 1                        ;  msbs: dst=0 src0=1 src1=0 src2=0
	v_dual_fmac_f32 v240, v1 /*v257*/, v148 :: v_dual_fmac_f32 v241, v3 /*v259*/, v150
	s_set_vgpr_msb 0                        ;  msbs: dst=0 src0=0 src1=0 src2=0
	v_dual_add_f32 v93, v93, v234 :: v_dual_fma_f32 v117, v252, v144, -v117
	v_add_f32_e32 v101, v101, v107
	s_set_vgpr_msb 1                        ;  msbs: dst=0 src0=1 src1=0 src2=0
	v_dual_fmac_f32 v242, v5 /*v261*/, v152 :: v_dual_mul_f32 v141, v8 /*v264*/, v157
	v_mul_f32_e32 v103, v14 /*v270*/, v163
	s_set_vgpr_msb 0                        ;  msbs: dst=0 src0=0 src1=0 src2=0
	v_add_f32_e32 v93, v93, v133
	s_wait_loadcnt 0x6
	s_set_vgpr_msb 1                        ;  msbs: dst=0 src0=1 src1=0 src2=0
	v_dual_fmac_f32 v140, v7 /*v263*/, v154 :: v_dual_mul_f32 v133, v52 /*v308*/, v209
	v_dual_mul_f32 v95, v12 /*v268*/, v161 :: v_dual_mul_f32 v97, v18 /*v274*/, v167
	s_set_vgpr_msb 0                        ;  msbs: dst=0 src0=0 src1=0 src2=0
	v_dual_add_f32 v93, v93, v236 :: v_dual_mul_f32 v236, v228, v205
	v_add_f32_e32 v101, v101, v113
	s_set_vgpr_msb 1                        ;  msbs: dst=0 src0=1 src1=0 src2=0
	v_fmac_f32_e32 v243, v11 /*v267*/, v158
	v_fmac_f32_e32 v95, v13 /*v269*/, v160
	s_set_vgpr_msb 0                        ;  msbs: dst=0 src0=0 src1=0 src2=0
	v_add_f32_e32 v93, v93, v237
	s_set_vgpr_msb 1                        ;  msbs: dst=0 src0=1 src1=0 src2=0
	v_dual_mul_f32 v244, v16 /*v272*/, v165 :: v_dual_mul_f32 v245, v22 /*v278*/, v171
	s_set_vgpr_msb 0                        ;  msbs: dst=0 src0=0 src1=0 src2=0
	v_add_f32_e32 v101, v101, v115
	s_set_vgpr_msb 1                        ;  msbs: dst=0 src0=1 src1=0 src2=0
	v_fmac_f32_e32 v103, v15 /*v271*/, v162
	s_set_vgpr_msb 0                        ;  msbs: dst=0 src0=0 src1=0 src2=0
	v_add_f32_e32 v93, v93, v238
	s_set_vgpr_msb 1                        ;  msbs: dst=0 src0=1 src1=0 src2=0
	v_dual_fmac_f32 v244, v17 /*v273*/, v164 :: v_dual_mul_f32 v105, v20 /*v276*/, v169
	v_mul_f32_e32 v107, v26 /*v282*/, v175
	s_set_vgpr_msb 0                        ;  msbs: dst=0 src0=0 src1=0 src2=0
	v_add_f32_e32 v101, v101, v235
	v_dual_add_f32 v93, v93, v136 :: v_dual_mul_f32 v235, v118, v199
	s_set_vgpr_msb 1                        ;  msbs: dst=0 src0=1 src1=0 src2=0
	v_fmac_f32_e32 v97, v19 /*v275*/, v166
	v_fmac_f32_e32 v105, v21 /*v277*/, v168
	s_set_vgpr_msb 0                        ;  msbs: dst=0 src0=0 src1=0 src2=0
	v_add_f32_e32 v101, v101, v132
	v_dual_add_f32 v93, v93, v137 :: v_dual_fmac_f32 v235, v119, v198
	s_set_vgpr_msb 1                        ;  msbs: dst=0 src0=1 src1=0 src2=0
	v_dual_mul_f32 v99, v24 /*v280*/, v173 :: v_dual_mul_f32 v109, v30 /*v286*/, v179
	s_set_vgpr_msb 0                        ;  msbs: dst=0 src0=0 src1=0 src2=0
	v_add_f32_e32 v101, v101, v134
	v_add_f32_e32 v93, v93, v239
	s_set_vgpr_msb 1                        ;  msbs: dst=0 src0=1 src1=0 src2=0
	v_dual_fmac_f32 v245, v23 /*v279*/, v170 :: v_dual_fmac_f32 v99, v25 /*v281*/, v172
	v_dual_mul_f32 v246, v28 /*v284*/, v177 :: v_dual_mul_f32 v247, v34 /*v290*/, v183
	s_set_vgpr_msb 0                        ;  msbs: dst=0 src0=0 src1=0 src2=0
	v_add_f32_e32 v93, v93, v240
	v_add_f32_e32 v101, v101, v135
	s_set_vgpr_msb 1                        ;  msbs: dst=0 src0=1 src1=0 src2=0
	v_dual_fmac_f32 v107, v27 /*v283*/, v174 :: v_dual_fmac_f32 v246, v29 /*v285*/, v176
	v_fmac_f32_e32 v109, v31 /*v287*/, v178
	s_set_vgpr_msb 0                        ;  msbs: dst=0 src0=0 src1=0 src2=0
	v_add_f32_e32 v93, v93, v241
	v_dual_add_f32 v101, v101, v138 :: v_dual_mul_f32 v138, v255, v147
	s_set_vgpr_msb 1                        ;  msbs: dst=0 src0=1 src1=0 src2=0
	v_dual_mul_f32 v147, v1 /*v257*/, v149 :: v_dual_mul_f32 v149, v3 /*v259*/, v151
	s_set_vgpr_msb 0                        ;  msbs: dst=0 src0=0 src1=0 src2=0
	v_add_f32_e32 v93, v93, v242
	s_set_vgpr_msb 1                        ;  msbs: dst=0 src0=1 src1=0 src2=0
	v_dual_mul_f32 v151, v7 /*v263*/, v155 :: v_dual_mul_f32 v136, v9 /*v265*/, v157
	v_fma_f32 v137, v0 /*v256*/, v148, -v147
	v_fmac_f32_e32 v141, v9 /*v265*/, v156
	s_set_vgpr_msb 0                        ;  msbs: dst=0 src0=0 src1=0 src2=0
	v_add_f32_e32 v93, v93, v140
	s_set_vgpr_msb 1                        ;  msbs: dst=0 src0=1 src1=0 src2=0
	v_dual_mul_f32 v111, v36 /*v292*/, v185 :: v_dual_mul_f32 v143, v42 /*v298*/, v191
	v_fma_f32 v136, v8 /*v264*/, v156, -v136
	v_dual_mul_f32 v145, v40 /*v296*/, v189 :: v_dual_mul_f32 v132, v46 /*v302*/, v195
	s_set_vgpr_msb 0                        ;  msbs: dst=0 src0=0 src1=0 src2=0
	v_dual_add_f32 v93, v93, v141 :: v_dual_fma_f32 v138, v254, v146, -v138
	s_wait_loadcnt 0x5
	s_set_vgpr_msb 1                        ;  msbs: dst=0 src0=1 src1=0 src2=0
	v_dual_mul_f32 v234, v48 /*v304*/, v197 :: v_dual_mul_f32 v135, v54 /*v310*/, v211
	v_fma_f32 v146, v2 /*v258*/, v150, -v149
	s_set_vgpr_msb 0                        ;  msbs: dst=0 src0=0 src1=0 src2=0
	v_add_f32_e32 v93, v93, v243
	s_set_vgpr_msb 1                        ;  msbs: dst=0 src0=1 src1=0 src2=0
	v_dual_mul_f32 v113, v32 /*v288*/, v181 :: v_dual_mul_f32 v115, v38 /*v294*/, v187
	s_set_vgpr_msb 0                        ;  msbs: dst=0 src0=0 src1=0 src2=0
	v_mul_f32_e32 v134, v120, v201
	s_set_vgpr_msb 1                        ;  msbs: dst=0 src0=1 src1=0 src2=0
	v_dual_mul_f32 v144, v44 /*v300*/, v193 :: v_dual_mul_f32 v249, v50 /*v306*/, v207
	s_set_vgpr_msb 0                        ;  msbs: dst=0 src0=0 src1=0 src2=0
	v_add_f32_e32 v93, v93, v95
	s_set_vgpr_msb 1                        ;  msbs: dst=0 src0=1 src1=0 src2=0
	v_dual_fmac_f32 v113, v33 /*v289*/, v180 :: v_dual_fmac_f32 v143, v43 /*v299*/, v190
	v_fmac_f32_e32 v144, v45 /*v301*/, v192
	v_fmac_f32_e32 v132, v47 /*v303*/, v194
	s_set_vgpr_msb 0                        ;  msbs: dst=0 src0=0 src1=0 src2=0
	v_add_f32_e32 v93, v93, v103
	s_set_vgpr_msb 1                        ;  msbs: dst=0 src0=1 src1=0 src2=0
	v_dual_mov_b32 v232, v57 /*v313*/ :: v_dual_mov_b32 v233, v56 /*v312*/
	v_fmac_f32_e32 v249, v51 /*v307*/, v206
	v_dual_fmac_f32 v133, v53 /*v309*/, v208 :: v_dual_fmac_f32 v135, v55 /*v311*/, v210
	s_set_vgpr_msb 0                        ;  msbs: dst=0 src0=0 src1=0 src2=0
	v_add_f32_e32 v93, v93, v244
	s_set_vgpr_msb 1                        ;  msbs: dst=0 src0=1 src1=0 src2=0
	v_dual_mov_b32 v126, v61 /*v317*/ :: v_dual_mov_b32 v127, v60 /*v316*/
	s_set_vgpr_msb 0                        ;  msbs: dst=0 src0=0 src1=0 src2=0
	ds_load_b128 v[122:125], v116 offset:896
	ds_load_b64 v[230:231], v116 offset:912
	s_set_vgpr_msb 1                        ;  msbs: dst=0 src0=1 src1=0 src2=0
	v_dual_mov_b32 v128, v65 /*v321*/ :: v_dual_mov_b32 v129, v64 /*v320*/
	s_set_vgpr_msb 0                        ;  msbs: dst=0 src0=0 src1=0 src2=0
	v_add_f32_e32 v93, v93, v97
	s_set_vgpr_msb 1                        ;  msbs: dst=0 src0=1 src1=0 src2=0
	v_dual_mul_f32 v97, v35 /*v291*/, v183 :: v_dual_fma_f32 v147, v6 /*v262*/, v154, -v151
	s_set_vgpr_msb 0                        ;  msbs: dst=0 src0=0 src1=0 src2=0
	v_fmac_f32_e32 v248, v227, v202
	s_set_vgpr_msb 1                        ;  msbs: dst=0 src0=1 src1=0 src2=0
	v_fmac_f32_e32 v247, v35 /*v291*/, v182
	s_set_vgpr_msb 0                        ;  msbs: dst=0 src0=0 src1=0 src2=0
	v_add_f32_e32 v93, v93, v105
	s_set_vgpr_msb 1                        ;  msbs: dst=0 src0=1 src1=0 src2=0
	v_dual_mul_f32 v105, v37 /*v293*/, v185 :: v_dual_fma_f32 v97, v34 /*v290*/, v182, -v97
	v_fmac_f32_e32 v111, v37 /*v293*/, v184
	s_set_vgpr_msb 0                        ;  msbs: dst=0 src0=0 src1=0 src2=0
	v_fmac_f32_e32 v134, v121, v200
	v_add_f32_e32 v93, v93, v245
	s_set_vgpr_msb 1                        ;  msbs: dst=0 src0=1 src1=0 src2=0
	v_fma_f32 v105, v36 /*v292*/, v184, -v105
	s_set_vgpr_msb 0                        ;  msbs: dst=0 src0=0 src1=0 src2=0
	v_fmac_f32_e32 v236, v229, v204
	v_add_f32_e32 v93, v93, v99
	s_set_vgpr_msb 1                        ;  msbs: dst=0 src0=1 src1=0 src2=0
	v_dual_mul_f32 v99, v41 /*v297*/, v189 :: v_dual_fmac_f32 v145, v41 /*v297*/, v188
	s_wait_dscnt 0x1
	s_set_vgpr_msb 0                        ;  msbs: dst=0 src0=0 src1=0 src2=0
	v_dual_mov_b32 v130, v125 :: v_dual_mov_b32 v131, v124
	v_add_f32_e32 v93, v93, v107
	s_set_vgpr_msb 1                        ;  msbs: dst=0 src0=1 src1=0 src2=0
	v_dual_mul_f32 v107, v43 /*v299*/, v191 :: v_dual_fma_f32 v99, v40 /*v296*/, v188, -v99
	s_set_vgpr_msb 0                        ;  msbs: dst=0 src0=0 src1=0 src2=0
	s_delay_alu instid0(VALU_DEP_2) | instskip(SKIP_1) | instid1(VALU_DEP_2)
	v_add_f32_e32 v93, v93, v246
	s_set_vgpr_msb 1                        ;  msbs: dst=0 src0=1 src1=0 src2=0
	v_fma_f32 v107, v42 /*v298*/, v190, -v107
	s_set_vgpr_msb 0                        ;  msbs: dst=0 src0=0 src1=0 src2=0
	s_delay_alu instid0(VALU_DEP_2)
	v_add_f32_e32 v93, v93, v109
	s_set_vgpr_msb 1                        ;  msbs: dst=0 src0=1 src1=0 src2=0
	v_mul_f32_e32 v109, v49 /*v305*/, v197
	s_set_vgpr_msb 0                        ;  msbs: dst=0 src0=0 src1=0 src2=0
	v_add_f32_e32 v101, v101, v139
	s_set_vgpr_msb 1                        ;  msbs: dst=0 src0=1 src1=0 src2=0
	v_mul_f32_e32 v139, v5 /*v261*/, v153
	v_dual_fmac_f32 v234, v49 /*v305*/, v196 :: v_dual_fma_f32 v109, v48 /*v304*/, v196, -v109
	s_set_vgpr_msb 0                        ;  msbs: dst=0 src0=0 src1=0 src2=0
	v_add_f32_e32 v101, v101, v142
	s_set_vgpr_msb 1                        ;  msbs: dst=0 src0=1 src1=0 src2=0
	v_dual_mul_f32 v142, v11 /*v267*/, v159 :: v_dual_fma_f32 v139, v4 /*v260*/, v152, -v139
	v_mul_f32_e32 v140, v23 /*v279*/, v171
	s_set_vgpr_msb 0                        ;  msbs: dst=0 src0=0 src1=0 src2=0
	v_add_f32_e32 v101, v101, v117
	s_set_vgpr_msb 1                        ;  msbs: dst=0 src0=1 src1=0 src2=0
	v_dual_mul_f32 v117, v13 /*v269*/, v161 :: v_dual_fma_f32 v142, v10 /*v266*/, v158, -v142
	s_set_vgpr_msb 0                        ;  msbs: dst=0 src0=0 src1=0 src2=0
	s_delay_alu instid0(VALU_DEP_2) | instskip(SKIP_1) | instid1(VALU_DEP_2)
	v_add_f32_e32 v101, v101, v138
	s_set_vgpr_msb 1                        ;  msbs: dst=0 src0=1 src1=0 src2=0
	v_dual_mul_f32 v138, v15 /*v271*/, v163 :: v_dual_fma_f32 v117, v12 /*v268*/, v160, -v117
	v_mul_f32_e32 v141, v27 /*v283*/, v175
	s_set_vgpr_msb 0                        ;  msbs: dst=0 src0=0 src1=0 src2=0
	v_add_f32_e32 v101, v101, v137
	s_set_vgpr_msb 1                        ;  msbs: dst=0 src0=1 src1=0 src2=0
	v_dual_mul_f32 v137, v17 /*v273*/, v165 :: v_dual_fma_f32 v138, v14 /*v270*/, v162, -v138
	s_set_vgpr_msb 0                        ;  msbs: dst=0 src0=0 src1=0 src2=0
	s_delay_alu instid0(VALU_DEP_2)
	v_add_f32_e32 v101, v101, v146
	s_set_vgpr_msb 1                        ;  msbs: dst=0 src0=1 src1=0 src2=0
	v_mul_f32_e32 v146, v19 /*v275*/, v167
	v_mul_f32_e32 v103, v31 /*v287*/, v179
	s_set_vgpr_msb 0                        ;  msbs: dst=0 src0=0 src1=0 src2=0
	v_add_f32_e32 v101, v101, v139
	s_set_vgpr_msb 1                        ;  msbs: dst=0 src0=1 src1=0 src2=0
	v_mul_f32_e32 v139, v21 /*v277*/, v169
	s_set_vgpr_msb 0                        ;  msbs: dst=0 src0=0 src1=0 src2=0
	s_delay_alu instid0(VALU_DEP_2) | instskip(NEXT) | instid1(VALU_DEP_1)
	v_add_f32_e32 v101, v101, v147
	v_add_f32_e32 v101, v101, v136
	s_set_vgpr_msb 1                        ;  msbs: dst=0 src0=1 src1=0 src2=0
	v_mul_f32_e32 v136, v25 /*v281*/, v173
	s_set_vgpr_msb 0                        ;  msbs: dst=0 src0=0 src1=0 src2=0
	s_delay_alu instid0(VALU_DEP_2) | instskip(SKIP_1) | instid1(VALU_DEP_2)
	v_add_f32_e32 v101, v101, v142
	s_set_vgpr_msb 1                        ;  msbs: dst=0 src0=1 src1=0 src2=0
	v_fma_f32 v136, v24 /*v280*/, v172, -v136
	s_set_vgpr_msb 0                        ;  msbs: dst=0 src0=0 src1=0 src2=0
	s_delay_alu instid0(VALU_DEP_2)
	v_add_f32_e32 v95, v101, v117
	s_set_vgpr_msb 1                        ;  msbs: dst=0 src0=1 src1=0 src2=0
	v_dual_fma_f32 v117, v16 /*v272*/, v164, -v137 :: v_dual_fma_f32 v137, v18 /*v274*/, v166, -v146
	v_dual_mul_f32 v101, v29 /*v285*/, v177 :: v_dual_fma_f32 v103, v30 /*v286*/, v178, -v103
	s_set_vgpr_msb 0                        ;  msbs: dst=0 src0=0 src1=0 src2=0
	v_add_f32_e32 v95, v95, v138
	s_set_vgpr_msb 1                        ;  msbs: dst=0 src0=1 src1=0 src2=0
	v_fma_f32 v138, v20 /*v276*/, v168, -v139
	v_fma_f32 v101, v28 /*v284*/, v176, -v101
	s_set_vgpr_msb 0                        ;  msbs: dst=0 src0=0 src1=0 src2=0
	v_add_f32_e32 v95, v95, v117
	s_set_vgpr_msb 1                        ;  msbs: dst=0 src0=1 src1=0 src2=0
	v_mul_f32_e32 v117, v33 /*v289*/, v181
	s_set_vgpr_msb 0                        ;  msbs: dst=0 src0=0 src1=0 src2=0
	s_delay_alu instid0(VALU_DEP_2) | instskip(SKIP_1) | instid1(VALU_DEP_2)
	v_add_f32_e32 v95, v95, v137
	s_set_vgpr_msb 1                        ;  msbs: dst=0 src0=1 src1=0 src2=0
	v_dual_fma_f32 v137, v22 /*v278*/, v170, -v140 :: v_dual_fma_f32 v117, v32 /*v288*/, v180, -v117
	s_set_vgpr_msb 0                        ;  msbs: dst=0 src0=0 src1=0 src2=0
	s_delay_alu instid0(VALU_DEP_2) | instskip(SKIP_3) | instid1(VALU_DEP_2)
	v_add_f32_e32 v95, v95, v138
	s_set_vgpr_msb 1                        ;  msbs: dst=0 src0=1 src1=0 src2=0
	v_fma_f32 v138, v26 /*v282*/, v174, -v141
	s_set_vgpr_msb 0                        ;  msbs: dst=0 src0=0 src1=0 src2=0
	v_add_f32_e32 v95, v95, v137
	s_set_vgpr_msb 1                        ;  msbs: dst=0 src0=1 src1=0 src2=0
	v_dual_mul_f32 v137, v39 /*v295*/, v187 :: v_dual_fmac_f32 v115, v39 /*v295*/, v186
	s_wait_loadcnt 0x4
	s_set_vgpr_msb 0                        ;  msbs: dst=0 src0=0 src1=0 src2=0
	v_dual_add_f32 v95, v95, v136 :: v_dual_mov_b32 v136, v217
	s_delay_alu instid0(VALU_DEP_1) | instskip(NEXT) | instid1(VALU_DEP_2)
	v_add_f32_e32 v95, v95, v138
	v_pk_mul_f32 v[126:127], v[126:127], v[136:137] op_sel_hi:[1,0]
	s_wait_loadcnt 0x3
	s_set_vgpr_msb 1                        ;  msbs: dst=0 src0=1 src1=0 src2=0
	v_pk_mul_f32 v[138:139], v[62:63] /*v[318:319]*/, v[218:219] op_sel:[1,1] op_sel_hi:[0,1]
	s_set_vgpr_msb 0                        ;  msbs: dst=0 src0=0 src1=0 src2=0
	v_add_f32_e32 v95, v95, v101
	s_set_vgpr_msb 1                        ;  msbs: dst=0 src0=1 src1=0 src2=0
	v_mul_f32_e32 v101, v45 /*v301*/, v193
	s_set_vgpr_msb 0                        ;  msbs: dst=0 src0=0 src1=0 src2=0
	s_delay_alu instid0(VALU_DEP_2)
	v_add_f32_e32 v95, v95, v103
	s_set_vgpr_msb 1                        ;  msbs: dst=0 src0=1 src1=0 src2=0
	v_mul_f32_e32 v103, v47 /*v303*/, v195
	s_set_vgpr_msb 0                        ;  msbs: dst=0 src0=0 src1=0 src2=0
	v_add_f32_e32 v93, v93, v113
	s_set_vgpr_msb 1                        ;  msbs: dst=0 src0=1 src1=0 src2=0
	v_fma_f32 v113, v38 /*v294*/, v186, -v137
	v_fma_f32 v101, v44 /*v300*/, v192, -v101
	s_set_vgpr_msb 0                        ;  msbs: dst=0 src0=0 src1=0 src2=0
	v_add_f32_e32 v95, v95, v117
	s_set_vgpr_msb 1                        ;  msbs: dst=0 src0=1 src1=0 src2=0
	v_fma_f32 v103, v46 /*v302*/, v194, -v103
	v_pk_fma_f32 v[136:137], v[60:61] /*v[316:317]*/, v[216:217], v[126:127] op_sel_hi:[1,0,1]
	v_pk_fma_f32 v[126:127], v[60:61] /*v[316:317]*/, v[216:217], v[126:127] neg_lo:[0,0,1] neg_hi:[0,0,1]
	s_set_vgpr_msb 0                        ;  msbs: dst=0 src0=0 src1=0 src2=0
	v_add_f32_e32 v95, v95, v97
	s_delay_alu instid0(VALU_DEP_3)
	v_dual_mul_f32 v97, v119, v199 :: v_dual_mov_b32 v127, v137
	s_set_vgpr_msb 1                        ;  msbs: dst=0 src0=1 src1=0 src2=0
	v_pk_fma_f32 v[136:137], v[62:63] /*v[318:319]*/, v[218:219], v[138:139] neg_lo:[0,0,1] neg_hi:[0,0,1]
	s_set_vgpr_msb 0                        ;  msbs: dst=0 src0=0 src1=0 src2=0
	v_add_f32_e32 v95, v95, v105
	v_dual_mul_f32 v105, v121, v201 :: v_dual_fma_f32 v97, v118, v198, -v97
	s_delay_alu instid0(VALU_DEP_2) | instskip(NEXT) | instid1(VALU_DEP_2)
	v_dual_mov_b32 v118, v213 :: v_dual_add_f32 v95, v95, v113
	v_fma_f32 v105, v120, v200, -v105
	v_ashrrev_i32_e32 v113, 31, v112
	s_delay_alu instid0(VALU_DEP_3) | instskip(SKIP_4) | instid1(VALU_DEP_1)
	v_pk_mul_f32 v[118:119], v[232:233], v[118:119] op_sel_hi:[1,0]
	s_set_vgpr_msb 1                        ;  msbs: dst=0 src0=1 src1=0 src2=0
	v_pk_mul_f32 v[120:121], v[58:59] /*v[314:315]*/, v[214:215] op_sel:[1,1] op_sel_hi:[0,1]
	s_set_vgpr_msb 0                        ;  msbs: dst=0 src0=0 src1=0 src2=0
	v_dual_add_f32 v95, v95, v99 :: v_dual_mul_f32 v99, v229, v205
	v_add_f32_e32 v95, v95, v107
	s_set_vgpr_msb 1                        ;  msbs: dst=0 src0=1 src1=0 src2=0
	v_mul_f32_e32 v107, v51 /*v307*/, v207
	s_set_vgpr_msb 0                        ;  msbs: dst=0 src0=0 src1=0 src2=0
	s_delay_alu instid0(VALU_DEP_2) | instskip(SKIP_3) | instid1(VALU_DEP_2)
	v_dual_fma_f32 v99, v228, v204, -v99 :: v_dual_add_f32 v95, v95, v101
	s_set_vgpr_msb 1                        ;  msbs: dst=0 src0=1 src1=0 src2=0
	v_mul_f32_e32 v101, v53 /*v309*/, v209
	s_set_vgpr_msb 0                        ;  msbs: dst=0 src0=0 src1=0 src2=0
	v_add_f32_e32 v95, v95, v103
	s_set_vgpr_msb 1                        ;  msbs: dst=0 src0=1 src1=0 src2=0
	v_mul_f32_e32 v103, v55 /*v311*/, v211
	s_set_vgpr_msb 0                        ;  msbs: dst=0 src0=0 src1=0 src2=0
	s_delay_alu instid0(VALU_DEP_2) | instskip(NEXT) | instid1(VALU_DEP_1)
	v_dual_add_f32 v95, v95, v109 :: v_dual_ashrrev_i32 v109, 31, v108
	v_add_f32_e32 v95, v95, v97
	s_delay_alu instid0(VALU_DEP_1) | instskip(SKIP_1) | instid1(VALU_DEP_1)
	v_dual_add_f32 v95, v95, v105 :: v_dual_ashrrev_i32 v105, 31, v104
	v_add_f32_e32 v93, v93, v247
	v_add_f32_e32 v93, v93, v111
	v_mul_f32_e32 v111, v227, v203
	s_delay_alu instid0(VALU_DEP_1) | instskip(SKIP_1) | instid1(VALU_DEP_2)
	v_dual_add_f32 v93, v93, v115 :: v_dual_fma_f32 v97, v226, v202, -v111
	v_ashrrev_i32_e32 v111, 31, v110
	v_dual_ashrrev_i32 v115, 31, v114 :: v_dual_add_f32 v93, v93, v145
	s_delay_alu instid0(VALU_DEP_3)
	v_add_f32_e32 v95, v95, v97
	s_set_vgpr_msb 1                        ;  msbs: dst=0 src0=1 src1=0 src2=0
	v_fma_f32 v97, v50 /*v306*/, v206, -v107
	s_set_vgpr_msb 0                        ;  msbs: dst=0 src0=0 src1=0 src2=0
	v_dual_ashrrev_i32 v107, 31, v106 :: v_dual_add_f32 v93, v93, v143
	v_dual_add_f32 v95, v95, v99 :: v_dual_ashrrev_i32 v99, 31, v98
	s_delay_alu instid0(VALU_DEP_1)
	v_dual_add_f32 v93, v93, v144 :: v_dual_add_f32 v140, v95, v97
	s_set_vgpr_msb 1                        ;  msbs: dst=0 src0=1 src1=0 src2=0
	v_pk_fma_f32 v[144:145], v[56:57] /*v[312:313]*/, v[212:213], v[118:119] op_sel_hi:[1,0,1]
	v_pk_fma_f32 v[118:119], v[56:57] /*v[312:313]*/, v[212:213], v[118:119] neg_lo:[0,0,1] neg_hi:[0,0,1]
	s_set_vgpr_msb 0                        ;  msbs: dst=0 src0=0 src1=0 src2=0
	v_mov_b32_e32 v142, v221
	v_add_f32_e32 v93, v93, v132
	s_set_vgpr_msb 1                        ;  msbs: dst=0 src0=1 src1=0 src2=0
	v_fma_f32 v132, v52 /*v308*/, v208, -v101
	s_set_vgpr_msb 0                        ;  msbs: dst=0 src0=0 src1=0 src2=0
	v_dual_mov_b32 v119, v145 :: v_dual_ashrrev_i32 v95, 31, v94
	v_pk_mul_f32 v[128:129], v[128:129], v[142:143] op_sel_hi:[1,0]
	v_dual_add_f32 v93, v93, v234 :: v_dual_ashrrev_i32 v97, 31, v96
	s_delay_alu instid0(VALU_DEP_1) | instskip(NEXT) | instid1(VALU_DEP_1)
	v_dual_ashrrev_i32 v101, 31, v100 :: v_dual_add_f32 v93, v93, v235
	v_add_f32_e32 v93, v93, v134
	s_set_vgpr_msb 1                        ;  msbs: dst=0 src0=1 src1=0 src2=0
	v_fma_f32 v134, v54 /*v310*/, v210, -v103
	s_set_vgpr_msb 0                        ;  msbs: dst=0 src0=0 src1=0 src2=0
	s_delay_alu instid0(VALU_DEP_2) | instskip(NEXT) | instid1(VALU_DEP_1)
	v_dual_ashrrev_i32 v103, 31, v102 :: v_dual_add_f32 v93, v93, v248
	v_add_f32_e32 v93, v93, v236
	s_delay_alu instid0(VALU_DEP_1) | instskip(NEXT) | instid1(VALU_DEP_1)
	v_dual_add_f32 v141, v93, v249 :: v_dual_ashrrev_i32 v93, 31, v92
	v_pk_add_f32 v[132:133], v[140:141], v[132:133]
	s_set_vgpr_msb 1                        ;  msbs: dst=0 src0=1 src1=0 src2=0
	v_pk_fma_f32 v[140:141], v[58:59] /*v[314:315]*/, v[214:215], v[120:121] op_sel_hi:[1,0,1]
	v_pk_fma_f32 v[120:121], v[58:59] /*v[314:315]*/, v[214:215], v[120:121] neg_lo:[0,0,1] neg_hi:[0,0,1]
	s_set_vgpr_msb 0                        ;  msbs: dst=0 src0=0 src1=0 src2=0
	v_pk_add_f32 v[132:133], v[132:133], v[134:135]
	s_delay_alu instid0(VALU_DEP_3) | instskip(SKIP_2) | instid1(VALU_DEP_3)
	v_mov_b32_e32 v121, v141
	s_wait_loadcnt 0x2
	v_pk_mul_f32 v[134:135], v[122:123], v[222:223] op_sel:[1,1] op_sel_hi:[0,1]
	v_pk_add_f32 v[118:119], v[132:133], v[118:119]
	s_set_vgpr_msb 1                        ;  msbs: dst=0 src0=1 src1=0 src2=0
	v_pk_fma_f32 v[132:133], v[62:63] /*v[318:319]*/, v[218:219], v[138:139] op_sel_hi:[1,0,1]
	s_set_vgpr_msb 0                        ;  msbs: dst=0 src0=0 src1=0 src2=0
	s_delay_alu instid0(VALU_DEP_2) | instskip(NEXT) | instid1(VALU_DEP_2)
	v_pk_add_f32 v[118:119], v[118:119], v[120:121]
	v_dual_mov_b32 v120, v225 :: v_dual_mov_b32 v137, v133
	s_set_vgpr_msb 1                        ;  msbs: dst=0 src0=1 src1=0 src2=0
	v_pk_fma_f32 v[132:133], v[64:65] /*v[320:321]*/, v[220:221], v[128:129] op_sel_hi:[1,0,1]
	v_pk_fma_f32 v[128:129], v[64:65] /*v[320:321]*/, v[220:221], v[128:129] neg_lo:[0,0,1] neg_hi:[0,0,1]
	s_set_vgpr_msb 0                        ;  msbs: dst=0 src0=0 src1=0 src2=0
	v_pk_add_f32 v[118:119], v[118:119], v[126:127]
	v_pk_fma_f32 v[126:127], v[122:123], v[222:223], v[134:135] op_sel_hi:[1,0,1]
	v_pk_mul_f32 v[120:121], v[130:131], v[120:121] op_sel_hi:[1,0]
	v_mov_b32_e32 v129, v133
	v_pk_fma_f32 v[122:123], v[122:123], v[222:223], v[134:135] neg_lo:[0,0,1] neg_hi:[0,0,1]
	v_pk_add_f32 v[118:119], v[118:119], v[136:137]
	v_mov_b32_e32 v123, v127
	v_pk_fma_f32 v[126:127], v[124:125], v[224:225], v[120:121] op_sel_hi:[1,0,1]
	v_pk_fma_f32 v[120:121], v[124:125], v[224:225], v[120:121] neg_lo:[0,0,1] neg_hi:[0,0,1]
	s_delay_alu instid0(VALU_DEP_4)
	v_pk_add_f32 v[118:119], v[118:119], v[128:129]
	s_wait_loadcnt_dscnt 0x100
	s_set_vgpr_msb 4                        ;  msbs: dst=0 src0=0 src1=1 src2=0
	v_pk_mul_f32 v[128:129], v[230:231], v[66:67] /*v[322:323]*/ op_sel:[1,1] op_sel_hi:[0,1]
	v_mov_b32_e32 v121, v127
	s_set_vgpr_msb 0                        ;  msbs: dst=0 src0=0 src1=0 src2=0
	v_pk_add_f32 v[118:119], v[118:119], v[122:123]
	s_set_vgpr_msb 4                        ;  msbs: dst=0 src0=0 src1=1 src2=0
	v_pk_fma_f32 v[122:123], v[230:231], v[66:67] /*v[322:323]*/, v[128:129] op_sel_hi:[1,0,1]
	v_pk_fma_f32 v[124:125], v[230:231], v[66:67] /*v[322:323]*/, v[128:129] neg_lo:[0,0,1] neg_hi:[0,0,1]
	s_set_vgpr_msb 0                        ;  msbs: dst=0 src0=0 src1=0 src2=0
	v_pk_add_f32 v[118:119], v[118:119], v[120:121]
	s_delay_alu instid0(VALU_DEP_3) | instskip(NEXT) | instid1(VALU_DEP_1)
	v_mov_b32_e32 v125, v123
	v_pk_add_f32 v[118:119], v[118:119], v[124:125]
	s_wait_loadcnt 0x0
	s_set_vgpr_msb 1                        ;  msbs: dst=0 src0=1 src1=0 src2=0
	s_delay_alu instid0(VALU_DEP_1)
	v_pk_add_f32 v[118:119], v[68:69] /*v[324:325]*/, v[118:119] neg_lo:[0,1] neg_hi:[0,1]
	scratch_store_b64 off, v[118:119], off offset:8
	s_wait_xcnt 0x0
	v_cmpx_ne_u32_e32 0, v0
	s_set_vgpr_msb 0                        ;  msbs: dst=0 src0=0 src1=0 src2=0
	s_cbranch_execz .LBB120_355
; %bb.354:
	scratch_load_b64 v[118:119], off, off
	v_mov_b64_e32 v[120:121], 0
	scratch_store_b64 off, v[120:121], off
	s_wait_loadcnt 0x0
	ds_store_b64 v1, v[118:119]
.LBB120_355:
	s_wait_xcnt 0x0
	s_or_b32 exec_lo, exec_lo, s0
	s_wait_storecnt_dscnt 0x0
	s_barrier_signal -1
	s_barrier_wait -1
	s_clause 0xf
	scratch_load_b128 v[122:125], off, off offset:8
	scratch_load_b128 v[130:133], off, off offset:24
	;; [unrolled: 1-line block ×16, first 2 shown]
	ds_load_2addr_b64 v[118:121], v116 offset0:59 offset1:60
	ds_load_2addr_b64 v[126:129], v116 offset0:61 offset1:62
	s_clause 0x2
	scratch_load_b128 v[250:253], off, off offset:264
	s_set_vgpr_msb 64                       ;  msbs: dst=1 src0=0 src1=0 src2=0
	scratch_load_b128 v[2:5] /*v[258:261]*/, off, off offset:280
	s_set_vgpr_msb 0                        ;  msbs: dst=0 src0=0 src1=0 src2=0
	ds_load_2addr_b64 v[134:137], v116 offset0:63 offset1:64
	ds_load_2addr_b64 v[142:145], v116 offset0:65 offset1:66
	s_set_vgpr_msb 64                       ;  msbs: dst=1 src0=0 src1=0 src2=0
	s_clause 0x1
	scratch_load_b128 v[10:13] /*v[266:269]*/, off, off offset:296
	scratch_load_b128 v[18:21] /*v[274:277]*/, off, off offset:312
	s_set_vgpr_msb 0                        ;  msbs: dst=0 src0=0 src1=0 src2=0
	ds_load_2addr_b64 v[150:153], v116 offset0:67 offset1:68
	ds_load_2addr_b64 v[158:161], v116 offset0:69 offset1:70
	s_set_vgpr_msb 64                       ;  msbs: dst=1 src0=0 src1=0 src2=0
	s_clause 0x1
	scratch_load_b128 v[26:29] /*v[282:285]*/, off, off offset:328
	;; [unrolled: 7-line block ×3, first 2 shown]
	scratch_load_b128 v[50:53] /*v[306:309]*/, off, off offset:376
	s_set_vgpr_msb 0                        ;  msbs: dst=0 src0=0 src1=0 src2=0
	ds_load_2addr_b64 v[182:185], v116 offset0:75 offset1:76
	ds_load_2addr_b64 v[190:193], v116 offset0:77 offset1:78
	ds_load_2addr_b64 v[198:201], v116 offset0:79 offset1:80
	ds_load_2addr_b64 v[206:209], v116 offset0:81 offset1:82
	ds_load_2addr_b64 v[214:217], v116 offset0:83 offset1:84
	ds_load_2addr_b64 v[222:225], v116 offset0:85 offset1:86
	ds_load_2addr_b64 v[230:233], v116 offset0:87 offset1:88
	ds_load_2addr_b64 v[238:241], v116 offset0:89 offset1:90
	ds_load_2addr_b64 v[246:249], v116 offset0:91 offset1:92
	ds_load_2addr_b64 v[254:257], v116 offset0:93 offset1:94
	s_set_vgpr_msb 64                       ;  msbs: dst=1 src0=0 src1=0 src2=0
	ds_load_2addr_b64 v[6:9] /*v[262:265]*/, v116 offset0:95 offset1:96
	ds_load_2addr_b64 v[14:17] /*v[270:273]*/, v116 offset0:97 offset1:98
	;; [unrolled: 1-line block ×6, first 2 shown]
	s_clause 0x3
	scratch_load_b128 v[54:57] /*v[310:313]*/, off, off offset:392
	scratch_load_b128 v[58:61] /*v[314:317]*/, off, off offset:408
	;; [unrolled: 1-line block ×4, first 2 shown]
	s_and_b32 vcc_lo, exec_lo, s12
	s_wait_loadcnt_dscnt 0x1b17
	s_set_vgpr_msb 0                        ;  msbs: dst=0 src0=0 src1=0 src2=0
	v_dual_mul_f32 v0, v118, v123 :: v_dual_mul_f32 v1, v120, v125
	s_delay_alu instid0(VALU_DEP_1) | instskip(NEXT) | instid1(VALU_DEP_2)
	v_dual_mul_f32 v117, v121, v125 :: v_dual_fmac_f32 v0, v119, v122
	v_fmac_f32_e32 v1, v121, v124
	s_delay_alu instid0(VALU_DEP_2) | instskip(NEXT) | instid1(VALU_DEP_3)
	v_fma_f32 v117, v120, v124, -v117
	v_add_f32_e32 v0, 0, v0
	s_wait_loadcnt_dscnt 0x1a16
	s_delay_alu instid0(VALU_DEP_1) | instskip(NEXT) | instid1(VALU_DEP_1)
	v_dual_add_f32 v0, v0, v1 :: v_dual_mul_f32 v1, v126, v131
	v_fmac_f32_e32 v1, v127, v130
	s_delay_alu instid0(VALU_DEP_1)
	v_add_f32_e32 v0, v0, v1
	v_mul_f32_e32 v1, v128, v133
	s_wait_loadcnt_dscnt 0x400
	s_set_vgpr_msb 0x45                     ;  msbs: dst=1 src0=1 src1=1 src2=0
	v_dual_mul_f32 v71 /*v327*/, v46 /*v302*/, v51 /*v307*/ :: v_dual_mul_f32 v73 /*v329*/, v48 /*v304*/, v53 /*v309*/
	s_set_vgpr_msb 0                        ;  msbs: dst=0 src0=0 src1=0 src2=0
	v_fmac_f32_e32 v1, v129, v132
	s_set_vgpr_msb 0x45                     ;  msbs: dst=1 src0=1 src1=1 src2=0
	s_delay_alu instid0(VALU_DEP_2) | instskip(SKIP_1) | instid1(VALU_DEP_2)
	v_dual_fmac_f32 v71 /*v327*/, v47 /*v303*/, v50 /*v306*/ :: v_dual_fmac_f32 v73 /*v329*/, v49 /*v305*/, v52 /*v308*/
	s_set_vgpr_msb 0                        ;  msbs: dst=0 src0=0 src1=0 src2=0
	v_dual_add_f32 v0, v0, v1 :: v_dual_mul_f32 v1, v134, v139
	s_delay_alu instid0(VALU_DEP_1) | instskip(NEXT) | instid1(VALU_DEP_1)
	v_fmac_f32_e32 v1, v135, v138
	v_add_f32_e32 v0, v0, v1
	v_mul_f32_e32 v1, v136, v141
	s_delay_alu instid0(VALU_DEP_1) | instskip(NEXT) | instid1(VALU_DEP_1)
	v_fmac_f32_e32 v1, v137, v140
	v_dual_add_f32 v0, v0, v1 :: v_dual_mul_f32 v1, v142, v147
	s_delay_alu instid0(VALU_DEP_1) | instskip(NEXT) | instid1(VALU_DEP_1)
	v_fmac_f32_e32 v1, v143, v146
	v_add_f32_e32 v0, v0, v1
	v_mul_f32_e32 v1, v144, v149
	s_delay_alu instid0(VALU_DEP_1) | instskip(NEXT) | instid1(VALU_DEP_1)
	v_fmac_f32_e32 v1, v145, v148
	;; [unrolled: 7-line block ×15, first 2 shown]
	v_add_f32_e32 v0, v0, v1
	s_set_vgpr_msb 4                        ;  msbs: dst=0 src0=0 src1=1 src2=0
	v_mul_f32_e32 v1, v254, v3 /*v259*/
	s_delay_alu instid0(VALU_DEP_1) | instskip(SKIP_1) | instid1(VALU_DEP_1)
	v_fmac_f32_e32 v1, v255, v2 /*v258*/
	s_set_vgpr_msb 0                        ;  msbs: dst=0 src0=0 src1=0 src2=0
	v_add_f32_e32 v0, v0, v1
	s_set_vgpr_msb 5                        ;  msbs: dst=0 src0=1 src1=1 src2=0
	v_mul_f32_e32 v1, v0 /*v256*/, v5 /*v261*/
	s_delay_alu instid0(VALU_DEP_1) | instskip(SKIP_1) | instid1(VALU_DEP_1)
	v_fmac_f32_e32 v1, v1 /*v257*/, v4 /*v260*/
	s_set_vgpr_msb 0                        ;  msbs: dst=0 src0=0 src1=0 src2=0
	v_add_f32_e32 v0, v0, v1
	s_set_vgpr_msb 5                        ;  msbs: dst=0 src0=1 src1=1 src2=0
	v_mul_f32_e32 v1, v6 /*v262*/, v11 /*v267*/
	s_delay_alu instid0(VALU_DEP_1) | instskip(SKIP_1) | instid1(VALU_DEP_1)
	v_fmac_f32_e32 v1, v7 /*v263*/, v10 /*v266*/
	;; [unrolled: 6-line block ×11, first 2 shown]
	s_set_vgpr_msb 0                        ;  msbs: dst=0 src0=0 src1=0 src2=0
	v_dual_add_f32 v1, v0, v1 :: v_dual_mul_f32 v0, v119, v123
	s_delay_alu instid0(VALU_DEP_1) | instskip(NEXT) | instid1(VALU_DEP_1)
	v_fma_f32 v0, v118, v122, -v0
	v_add_f32_e32 v0, 0, v0
	s_delay_alu instid0(VALU_DEP_1) | instskip(NEXT) | instid1(VALU_DEP_1)
	v_dual_add_f32 v0, v0, v117 :: v_dual_mul_f32 v117, v127, v131
	v_fma_f32 v117, v126, v130, -v117
	s_delay_alu instid0(VALU_DEP_1) | instskip(SKIP_1) | instid1(VALU_DEP_1)
	v_add_f32_e32 v0, v0, v117
	v_mul_f32_e32 v117, v129, v133
	v_fma_f32 v117, v128, v132, -v117
	ds_load_2addr_b64 v[118:121], v116 offset0:107 offset1:108
	ds_load_2addr_b64 v[122:125], v116 offset0:109 offset1:110
	ds_load_2addr_b64 v[126:129], v116 offset0:111 offset1:112
	ds_load_2addr_b64 v[130:133], v116 offset0:113 offset1:114
	v_dual_add_f32 v0, v0, v117 :: v_dual_mul_f32 v117, v135, v139
	s_delay_alu instid0(VALU_DEP_1) | instskip(NEXT) | instid1(VALU_DEP_1)
	v_fma_f32 v117, v134, v138, -v117
	v_add_f32_e32 v0, v0, v117
	v_mul_f32_e32 v117, v137, v141
	s_delay_alu instid0(VALU_DEP_1) | instskip(NEXT) | instid1(VALU_DEP_1)
	v_fma_f32 v117, v136, v140, -v117
	v_dual_add_f32 v0, v0, v117 :: v_dual_mul_f32 v117, v143, v147
	s_delay_alu instid0(VALU_DEP_1) | instskip(NEXT) | instid1(VALU_DEP_1)
	v_fma_f32 v117, v142, v146, -v117
	v_add_f32_e32 v0, v0, v117
	v_mul_f32_e32 v117, v145, v149
	s_delay_alu instid0(VALU_DEP_1) | instskip(NEXT) | instid1(VALU_DEP_1)
	v_fma_f32 v117, v144, v148, -v117
	;; [unrolled: 7-line block ×15, first 2 shown]
	v_add_f32_e32 v0, v0, v117
	s_set_vgpr_msb 4                        ;  msbs: dst=0 src0=0 src1=1 src2=0
	v_mul_f32_e32 v117, v255, v3 /*v259*/
	s_delay_alu instid0(VALU_DEP_1) | instskip(SKIP_1) | instid1(VALU_DEP_1)
	v_fma_f32 v117, v254, v2 /*v258*/, -v117
	s_set_vgpr_msb 0                        ;  msbs: dst=0 src0=0 src1=0 src2=0
	v_add_f32_e32 v0, v0, v117
	s_set_vgpr_msb 5                        ;  msbs: dst=0 src0=1 src1=1 src2=0
	v_mul_f32_e32 v117, v1 /*v257*/, v5 /*v261*/
	s_delay_alu instid0(VALU_DEP_1) | instskip(SKIP_1) | instid1(VALU_DEP_1)
	v_fma_f32 v117, v0 /*v256*/, v4 /*v260*/, -v117
	s_set_vgpr_msb 0                        ;  msbs: dst=0 src0=0 src1=0 src2=0
	v_add_f32_e32 v0, v0, v117
	s_set_vgpr_msb 5                        ;  msbs: dst=0 src0=1 src1=1 src2=0
	v_mul_f32_e32 v117, v7 /*v263*/, v11 /*v267*/
	s_delay_alu instid0(VALU_DEP_1) | instskip(SKIP_1) | instid1(VALU_DEP_1)
	v_fma_f32 v117, v6 /*v262*/, v10 /*v266*/, -v117
	;; [unrolled: 6-line block ×11, first 2 shown]
	s_set_vgpr_msb 0                        ;  msbs: dst=0 src0=0 src1=0 src2=0
	v_add_f32_e32 v0, v0, v117
	s_set_vgpr_msb 5                        ;  msbs: dst=0 src0=1 src1=1 src2=0
	v_mul_f32_e32 v117, v47 /*v303*/, v51 /*v307*/
	s_set_vgpr_msb 0x45                     ;  msbs: dst=1 src0=1 src1=1 src2=0
	s_delay_alu instid0(VALU_DEP_1) | instskip(SKIP_3) | instid1(VALU_DEP_1)
	v_fma_f32 v70 /*v326*/, v46 /*v302*/, v50 /*v306*/, -v117
	s_set_vgpr_msb 5                        ;  msbs: dst=0 src0=1 src1=1 src2=0
	v_mul_f32_e32 v117, v49 /*v305*/, v53 /*v309*/
	s_set_vgpr_msb 0x45                     ;  msbs: dst=1 src0=1 src1=1 src2=0
	v_fma_f32 v72 /*v328*/, v48 /*v304*/, v52 /*v308*/, -v117
	s_wait_loadcnt_dscnt 0x303
	s_set_vgpr_msb 4                        ;  msbs: dst=0 src0=0 src1=1 src2=0
	v_pk_mul_f32 v[116:117], v[118:119], v[54:55] /*v[310:311]*/ op_sel:[1,1] op_sel_hi:[0,1]
	v_pk_add_f32 v[0:1], v[0:1], v[70:71] /*v[326:327]*/
	s_delay_alu instid0(VALU_DEP_2)
	v_pk_fma_f32 v[134:135], v[118:119], v[54:55] /*v[310:311]*/, v[116:117] neg_lo:[0,0,1] neg_hi:[0,0,1]
	v_pk_fma_f32 v[116:117], v[118:119], v[54:55] /*v[310:311]*/, v[116:117] op_sel_hi:[1,0,1]
	v_mov_b32_e32 v116, v121
	s_set_vgpr_msb 1                        ;  msbs: dst=0 src0=1 src1=0 src2=0
	v_mov_b32_e32 v118, v57 /*v313*/
	s_set_vgpr_msb 4                        ;  msbs: dst=0 src0=0 src1=1 src2=0
	v_pk_add_f32 v[0:1], v[0:1], v[72:73] /*v[328:329]*/
	v_dual_mov_b32 v135, v117 :: v_dual_mov_b32 v117, v120
	s_set_vgpr_msb 0                        ;  msbs: dst=0 src0=0 src1=0 src2=0
	s_delay_alu instid0(VALU_DEP_1) | instskip(NEXT) | instid1(VALU_DEP_2)
	v_pk_add_f32 v[0:1], v[0:1], v[134:135]
	v_pk_mul_f32 v[116:117], v[116:117], v[118:119] op_sel_hi:[1,0]
	s_set_vgpr_msb 4                        ;  msbs: dst=0 src0=0 src1=1 src2=0
	s_delay_alu instid0(VALU_DEP_1) | instskip(SKIP_1) | instid1(VALU_DEP_1)
	v_pk_fma_f32 v[118:119], v[120:121], v[56:57] /*v[312:313]*/, v[116:117] neg_lo:[0,0,1] neg_hi:[0,0,1]
	v_pk_fma_f32 v[116:117], v[120:121], v[56:57] /*v[312:313]*/, v[116:117] op_sel_hi:[1,0,1]
	v_mov_b32_e32 v119, v117
	s_wait_loadcnt_dscnt 0x202
	v_pk_mul_f32 v[116:117], v[122:123], v[58:59] /*v[314:315]*/ op_sel:[1,1] op_sel_hi:[0,1]
	s_set_vgpr_msb 0                        ;  msbs: dst=0 src0=0 src1=0 src2=0
	s_delay_alu instid0(VALU_DEP_2) | instskip(SKIP_1) | instid1(VALU_DEP_2)
	v_pk_add_f32 v[0:1], v[0:1], v[118:119]
	s_set_vgpr_msb 4                        ;  msbs: dst=0 src0=0 src1=1 src2=0
	v_pk_fma_f32 v[118:119], v[122:123], v[58:59] /*v[314:315]*/, v[116:117] neg_lo:[0,0,1] neg_hi:[0,0,1]
	v_pk_fma_f32 v[116:117], v[122:123], v[58:59] /*v[314:315]*/, v[116:117] op_sel_hi:[1,0,1]
	s_delay_alu instid0(VALU_DEP_1) | instskip(SKIP_2) | instid1(VALU_DEP_2)
	v_dual_mov_b32 v116, v125 :: v_dual_mov_b32 v119, v117
	v_mov_b32_e32 v117, v124
	s_set_vgpr_msb 0                        ;  msbs: dst=0 src0=0 src1=0 src2=0
	v_pk_add_f32 v[0:1], v[0:1], v[118:119]
	s_set_vgpr_msb 1                        ;  msbs: dst=0 src0=1 src1=0 src2=0
	v_mov_b32_e32 v118, v61 /*v317*/
	s_set_vgpr_msb 0                        ;  msbs: dst=0 src0=0 src1=0 src2=0
	s_delay_alu instid0(VALU_DEP_1) | instskip(SKIP_1) | instid1(VALU_DEP_1)
	v_pk_mul_f32 v[116:117], v[116:117], v[118:119] op_sel_hi:[1,0]
	s_set_vgpr_msb 4                        ;  msbs: dst=0 src0=0 src1=1 src2=0
	v_pk_fma_f32 v[118:119], v[124:125], v[60:61] /*v[316:317]*/, v[116:117] neg_lo:[0,0,1] neg_hi:[0,0,1]
	v_pk_fma_f32 v[116:117], v[124:125], v[60:61] /*v[316:317]*/, v[116:117] op_sel_hi:[1,0,1]
	s_delay_alu instid0(VALU_DEP_1) | instskip(SKIP_3) | instid1(VALU_DEP_2)
	v_mov_b32_e32 v119, v117
	s_wait_loadcnt_dscnt 0x101
	v_pk_mul_f32 v[116:117], v[126:127], v[62:63] /*v[318:319]*/ op_sel:[1,1] op_sel_hi:[0,1]
	s_set_vgpr_msb 0                        ;  msbs: dst=0 src0=0 src1=0 src2=0
	v_pk_add_f32 v[0:1], v[0:1], v[118:119]
	s_set_vgpr_msb 4                        ;  msbs: dst=0 src0=0 src1=1 src2=0
	s_delay_alu instid0(VALU_DEP_2) | instskip(SKIP_1) | instid1(VALU_DEP_1)
	v_pk_fma_f32 v[118:119], v[126:127], v[62:63] /*v[318:319]*/, v[116:117] neg_lo:[0,0,1] neg_hi:[0,0,1]
	v_pk_fma_f32 v[116:117], v[126:127], v[62:63] /*v[318:319]*/, v[116:117] op_sel_hi:[1,0,1]
	v_dual_mov_b32 v116, v129 :: v_dual_mov_b32 v119, v117
	v_mov_b32_e32 v117, v128
	s_set_vgpr_msb 0                        ;  msbs: dst=0 src0=0 src1=0 src2=0
	s_delay_alu instid0(VALU_DEP_2) | instskip(SKIP_3) | instid1(VALU_DEP_1)
	v_pk_add_f32 v[0:1], v[0:1], v[118:119]
	s_set_vgpr_msb 1                        ;  msbs: dst=0 src0=1 src1=0 src2=0
	v_mov_b32_e32 v118, v65 /*v321*/
	s_set_vgpr_msb 0                        ;  msbs: dst=0 src0=0 src1=0 src2=0
	v_pk_mul_f32 v[116:117], v[116:117], v[118:119] op_sel_hi:[1,0]
	s_set_vgpr_msb 4                        ;  msbs: dst=0 src0=0 src1=1 src2=0
	s_delay_alu instid0(VALU_DEP_1) | instskip(SKIP_1) | instid1(VALU_DEP_1)
	v_pk_fma_f32 v[118:119], v[128:129], v[64:65] /*v[320:321]*/, v[116:117] neg_lo:[0,0,1] neg_hi:[0,0,1]
	v_pk_fma_f32 v[116:117], v[128:129], v[64:65] /*v[320:321]*/, v[116:117] op_sel_hi:[1,0,1]
	v_mov_b32_e32 v119, v117
	s_wait_loadcnt_dscnt 0x0
	v_pk_mul_f32 v[116:117], v[130:131], v[66:67] /*v[322:323]*/ op_sel:[1,1] op_sel_hi:[0,1]
	s_set_vgpr_msb 0                        ;  msbs: dst=0 src0=0 src1=0 src2=0
	s_delay_alu instid0(VALU_DEP_2) | instskip(SKIP_1) | instid1(VALU_DEP_2)
	v_pk_add_f32 v[0:1], v[0:1], v[118:119]
	s_set_vgpr_msb 4                        ;  msbs: dst=0 src0=0 src1=1 src2=0
	v_pk_fma_f32 v[118:119], v[130:131], v[66:67] /*v[322:323]*/, v[116:117] neg_lo:[0,0,1] neg_hi:[0,0,1]
	v_pk_fma_f32 v[116:117], v[130:131], v[66:67] /*v[322:323]*/, v[116:117] op_sel_hi:[1,0,1]
	s_delay_alu instid0(VALU_DEP_1) | instskip(SKIP_2) | instid1(VALU_DEP_2)
	v_dual_mov_b32 v116, v133 :: v_dual_mov_b32 v119, v117
	v_mov_b32_e32 v117, v132
	s_set_vgpr_msb 0                        ;  msbs: dst=0 src0=0 src1=0 src2=0
	v_pk_add_f32 v[0:1], v[0:1], v[118:119]
	s_set_vgpr_msb 1                        ;  msbs: dst=0 src0=1 src1=0 src2=0
	v_mov_b32_e32 v118, v69 /*v325*/
	s_set_vgpr_msb 0                        ;  msbs: dst=0 src0=0 src1=0 src2=0
	s_delay_alu instid0(VALU_DEP_1) | instskip(SKIP_1) | instid1(VALU_DEP_1)
	v_pk_mul_f32 v[116:117], v[116:117], v[118:119] op_sel_hi:[1,0]
	s_set_vgpr_msb 4                        ;  msbs: dst=0 src0=0 src1=1 src2=0
	v_pk_fma_f32 v[118:119], v[132:133], v[68:69] /*v[324:325]*/, v[116:117] neg_lo:[0,0,1] neg_hi:[0,0,1]
	v_pk_fma_f32 v[116:117], v[132:133], v[68:69] /*v[324:325]*/, v[116:117] op_sel_hi:[1,0,1]
	s_delay_alu instid0(VALU_DEP_1) | instskip(SKIP_4) | instid1(VALU_DEP_1)
	v_mov_b32_e32 v119, v117
	scratch_load_b64 v[116:117], off, off
	s_set_vgpr_msb 0                        ;  msbs: dst=0 src0=0 src1=0 src2=0
	v_pk_add_f32 v[0:1], v[0:1], v[118:119]
	s_wait_loadcnt 0x0
	v_pk_add_f32 v[120:121], v[116:117], v[0:1] neg_lo:[0,1] neg_hi:[0,1]
	scratch_store_b64 off, v[120:121], off
	s_cbranch_vccz .LBB120_468
; %bb.356:
	v_mov_b32_e32 v0, 0
	global_load_b32 v1, v0, s[8:9] offset:220
	s_wait_loadcnt 0x0
	v_cmp_ne_u32_e32 vcc_lo, 56, v1
	s_cbranch_vccz .LBB120_358
; %bb.357:
	v_lshlrev_b32_e32 v1, 3, v1
	scratch_load_b64 v[116:117], v1, off offset:-8
	scratch_load_b64 v[118:119], off, off offset:440
	s_wait_loadcnt 0x1
	scratch_store_b64 off, v[116:117], off offset:440
	s_wait_loadcnt 0x0
	scratch_store_b64 v1, v[118:119], off offset:-8
.LBB120_358:
	global_load_b32 v0, v0, s[8:9] offset:216
	s_wait_loadcnt 0x0
	v_cmp_eq_u32_e32 vcc_lo, 55, v0
	s_cbranch_vccnz .LBB120_360
; %bb.359:
	s_wait_xcnt 0x0
	v_lshlrev_b32_e32 v0, 3, v0
	s_delay_alu instid0(VALU_DEP_1)
	v_mov_b32_e32 v118, v0
	scratch_load_b64 v[0:1], v118, off offset:-8
	scratch_load_b64 v[116:117], off, off offset:432
	s_wait_loadcnt 0x1
	scratch_store_b64 off, v[0:1], off offset:432
	s_wait_loadcnt 0x0
	scratch_store_b64 v118, v[116:117], off offset:-8
.LBB120_360:
	s_wait_xcnt 0x0
	v_mov_b32_e32 v0, 0
	global_load_b32 v1, v0, s[8:9] offset:212
	s_wait_loadcnt 0x0
	v_cmp_eq_u32_e32 vcc_lo, 54, v1
	s_cbranch_vccnz .LBB120_362
; %bb.361:
	v_lshlrev_b32_e32 v1, 3, v1
	scratch_load_b64 v[116:117], v1, off offset:-8
	scratch_load_b64 v[118:119], off, off offset:424
	s_wait_loadcnt 0x1
	scratch_store_b64 off, v[116:117], off offset:424
	s_wait_loadcnt 0x0
	scratch_store_b64 v1, v[118:119], off offset:-8
.LBB120_362:
	global_load_b32 v0, v0, s[8:9] offset:208
	s_wait_loadcnt 0x0
	v_cmp_eq_u32_e32 vcc_lo, 53, v0
	s_cbranch_vccnz .LBB120_364
; %bb.363:
	s_wait_xcnt 0x0
	v_lshlrev_b32_e32 v0, 3, v0
	s_delay_alu instid0(VALU_DEP_1)
	v_mov_b32_e32 v118, v0
	scratch_load_b64 v[0:1], v118, off offset:-8
	scratch_load_b64 v[116:117], off, off offset:416
	s_wait_loadcnt 0x1
	scratch_store_b64 off, v[0:1], off offset:416
	s_wait_loadcnt 0x0
	scratch_store_b64 v118, v[116:117], off offset:-8
.LBB120_364:
	s_wait_xcnt 0x0
	v_mov_b32_e32 v0, 0
	global_load_b32 v1, v0, s[8:9] offset:204
	s_wait_loadcnt 0x0
	v_cmp_eq_u32_e32 vcc_lo, 52, v1
	s_cbranch_vccnz .LBB120_366
; %bb.365:
	v_lshlrev_b32_e32 v1, 3, v1
	scratch_load_b64 v[116:117], v1, off offset:-8
	scratch_load_b64 v[118:119], off, off offset:408
	s_wait_loadcnt 0x1
	scratch_store_b64 off, v[116:117], off offset:408
	s_wait_loadcnt 0x0
	scratch_store_b64 v1, v[118:119], off offset:-8
.LBB120_366:
	;; [unrolled: 31-line block ×27, first 2 shown]
	global_load_b32 v0, v0, s[8:9]
	scratch_load_b64 v[120:121], off, off
	s_wait_loadcnt 0x1
	v_cmp_eq_u32_e32 vcc_lo, 1, v0
	s_cbranch_vccnz .LBB120_468
; %bb.467:
	s_wait_xcnt 0x1
	v_lshlrev_b32_e32 v0, 3, v0
	s_delay_alu instid0(VALU_DEP_1)
	v_mov_b32_e32 v116, v0
	scratch_load_b64 v[0:1], v116, off offset:-8
	s_wait_loadcnt 0x0
	scratch_store_b64 off, v[0:1], off
	scratch_store_b64 v116, v[120:121], off offset:-8
	scratch_load_b64 v[120:121], off, off
.LBB120_468:
	s_wait_loadcnt 0x0
	flat_store_b64 v[2:3], v[120:121]
	scratch_load_b64 v[2:3], off, off offset:8
	v_lshl_add_u64 v[170:171], v[6:7], 3, s[2:3]
	v_lshl_add_u64 v[168:169], v[8:9], 3, s[2:3]
	;; [unrolled: 1-line block ×55, first 2 shown]
	s_wait_loadcnt 0x0
	flat_store_b64 v[4:5], v[2:3]
	scratch_load_b64 v[2:3], off, off offset:16
	s_wait_loadcnt 0x0
	flat_store_b64 v[170:171], v[2:3]
	scratch_load_b64 v[2:3], off, off offset:24
	;; [unrolled: 3-line block ×55, first 2 shown]
	s_wait_loadcnt 0x0
	flat_store_b64 v[0:1], v[2:3]
	s_sendmsg sendmsg(MSG_DEALLOC_VGPRS)
	s_endpgm
	.section	.rodata,"a",@progbits
	.p2align	6, 0x0
	.amdhsa_kernel _ZN9rocsolver6v33100L18getri_kernel_smallILi57E19rocblas_complex_numIfEPKPS3_EEvT1_iilPiilS8_bb
		.amdhsa_group_segment_fixed_size 920
		.amdhsa_private_segment_fixed_size 464
		.amdhsa_kernarg_size 60
		.amdhsa_user_sgpr_count 2
		.amdhsa_user_sgpr_dispatch_ptr 0
		.amdhsa_user_sgpr_queue_ptr 0
		.amdhsa_user_sgpr_kernarg_segment_ptr 1
		.amdhsa_user_sgpr_dispatch_id 0
		.amdhsa_user_sgpr_kernarg_preload_length 0
		.amdhsa_user_sgpr_kernarg_preload_offset 0
		.amdhsa_user_sgpr_private_segment_size 0
		.amdhsa_wavefront_size32 1
		.amdhsa_uses_dynamic_stack 0
		.amdhsa_enable_private_segment 1
		.amdhsa_system_sgpr_workgroup_id_x 1
		.amdhsa_system_sgpr_workgroup_id_y 0
		.amdhsa_system_sgpr_workgroup_id_z 0
		.amdhsa_system_sgpr_workgroup_info 0
		.amdhsa_system_vgpr_workitem_id 0
		.amdhsa_next_free_vgpr 346
		.amdhsa_next_free_sgpr 19
		.amdhsa_named_barrier_count 0
		.amdhsa_reserve_vcc 1
		.amdhsa_float_round_mode_32 0
		.amdhsa_float_round_mode_16_64 0
		.amdhsa_float_denorm_mode_32 3
		.amdhsa_float_denorm_mode_16_64 3
		.amdhsa_fp16_overflow 0
		.amdhsa_memory_ordered 1
		.amdhsa_forward_progress 1
		.amdhsa_inst_pref_size 255
		.amdhsa_round_robin_scheduling 0
		.amdhsa_exception_fp_ieee_invalid_op 0
		.amdhsa_exception_fp_denorm_src 0
		.amdhsa_exception_fp_ieee_div_zero 0
		.amdhsa_exception_fp_ieee_overflow 0
		.amdhsa_exception_fp_ieee_underflow 0
		.amdhsa_exception_fp_ieee_inexact 0
		.amdhsa_exception_int_div_zero 0
	.end_amdhsa_kernel
	.section	.text._ZN9rocsolver6v33100L18getri_kernel_smallILi57E19rocblas_complex_numIfEPKPS3_EEvT1_iilPiilS8_bb,"axG",@progbits,_ZN9rocsolver6v33100L18getri_kernel_smallILi57E19rocblas_complex_numIfEPKPS3_EEvT1_iilPiilS8_bb,comdat
.Lfunc_end120:
	.size	_ZN9rocsolver6v33100L18getri_kernel_smallILi57E19rocblas_complex_numIfEPKPS3_EEvT1_iilPiilS8_bb, .Lfunc_end120-_ZN9rocsolver6v33100L18getri_kernel_smallILi57E19rocblas_complex_numIfEPKPS3_EEvT1_iilPiilS8_bb
                                        ; -- End function
	.set _ZN9rocsolver6v33100L18getri_kernel_smallILi57E19rocblas_complex_numIfEPKPS3_EEvT1_iilPiilS8_bb.num_vgpr, 346
	.set _ZN9rocsolver6v33100L18getri_kernel_smallILi57E19rocblas_complex_numIfEPKPS3_EEvT1_iilPiilS8_bb.num_agpr, 0
	.set _ZN9rocsolver6v33100L18getri_kernel_smallILi57E19rocblas_complex_numIfEPKPS3_EEvT1_iilPiilS8_bb.numbered_sgpr, 19
	.set _ZN9rocsolver6v33100L18getri_kernel_smallILi57E19rocblas_complex_numIfEPKPS3_EEvT1_iilPiilS8_bb.num_named_barrier, 0
	.set _ZN9rocsolver6v33100L18getri_kernel_smallILi57E19rocblas_complex_numIfEPKPS3_EEvT1_iilPiilS8_bb.private_seg_size, 464
	.set _ZN9rocsolver6v33100L18getri_kernel_smallILi57E19rocblas_complex_numIfEPKPS3_EEvT1_iilPiilS8_bb.uses_vcc, 1
	.set _ZN9rocsolver6v33100L18getri_kernel_smallILi57E19rocblas_complex_numIfEPKPS3_EEvT1_iilPiilS8_bb.uses_flat_scratch, 1
	.set _ZN9rocsolver6v33100L18getri_kernel_smallILi57E19rocblas_complex_numIfEPKPS3_EEvT1_iilPiilS8_bb.has_dyn_sized_stack, 0
	.set _ZN9rocsolver6v33100L18getri_kernel_smallILi57E19rocblas_complex_numIfEPKPS3_EEvT1_iilPiilS8_bb.has_recursion, 0
	.set _ZN9rocsolver6v33100L18getri_kernel_smallILi57E19rocblas_complex_numIfEPKPS3_EEvT1_iilPiilS8_bb.has_indirect_call, 0
	.section	.AMDGPU.csdata,"",@progbits
; Kernel info:
; codeLenInByte = 119648
; TotalNumSgprs: 21
; NumVgprs: 346
; ScratchSize: 464
; MemoryBound: 0
; FloatMode: 240
; IeeeMode: 1
; LDSByteSize: 920 bytes/workgroup (compile time only)
; SGPRBlocks: 0
; VGPRBlocks: 21
; NumSGPRsForWavesPerEU: 21
; NumVGPRsForWavesPerEU: 346
; NamedBarCnt: 0
; Occupancy: 2
; WaveLimiterHint : 1
; COMPUTE_PGM_RSRC2:SCRATCH_EN: 1
; COMPUTE_PGM_RSRC2:USER_SGPR: 2
; COMPUTE_PGM_RSRC2:TRAP_HANDLER: 0
; COMPUTE_PGM_RSRC2:TGID_X_EN: 1
; COMPUTE_PGM_RSRC2:TGID_Y_EN: 0
; COMPUTE_PGM_RSRC2:TGID_Z_EN: 0
; COMPUTE_PGM_RSRC2:TIDIG_COMP_CNT: 0
	.section	.text._ZN9rocsolver6v33100L18getri_kernel_smallILi58E19rocblas_complex_numIfEPKPS3_EEvT1_iilPiilS8_bb,"axG",@progbits,_ZN9rocsolver6v33100L18getri_kernel_smallILi58E19rocblas_complex_numIfEPKPS3_EEvT1_iilPiilS8_bb,comdat
	.globl	_ZN9rocsolver6v33100L18getri_kernel_smallILi58E19rocblas_complex_numIfEPKPS3_EEvT1_iilPiilS8_bb ; -- Begin function _ZN9rocsolver6v33100L18getri_kernel_smallILi58E19rocblas_complex_numIfEPKPS3_EEvT1_iilPiilS8_bb
	.p2align	8
	.type	_ZN9rocsolver6v33100L18getri_kernel_smallILi58E19rocblas_complex_numIfEPKPS3_EEvT1_iilPiilS8_bb,@function
_ZN9rocsolver6v33100L18getri_kernel_smallILi58E19rocblas_complex_numIfEPKPS3_EEvT1_iilPiilS8_bb: ; @_ZN9rocsolver6v33100L18getri_kernel_smallILi58E19rocblas_complex_numIfEPKPS3_EEvT1_iilPiilS8_bb
; %bb.0:
	s_mov_b32 s2, exec_lo
	v_cmpx_gt_u32_e32 58, v0
	s_cbranch_execz .LBB121_246
; %bb.1:
	s_clause 0x1
	s_load_b32 s13, s[0:1], 0x38
	s_load_b64 s[2:3], s[0:1], 0x0
	s_getreg_b32 s6, hwreg(HW_REG_IB_STS2, 6, 4)
	s_wait_kmcnt 0x0
	s_bitcmp1_b32 s13, 8
	s_cselect_b32 s12, -1, 0
	s_bfe_u32 s4, ttmp6, 0x4000c
	s_and_b32 s5, ttmp6, 15
	s_add_co_i32 s4, s4, 1
	s_delay_alu instid0(SALU_CYCLE_1) | instskip(NEXT) | instid1(SALU_CYCLE_1)
	s_mul_i32 s4, ttmp9, s4
	s_add_co_i32 s5, s5, s4
	s_cmp_eq_u32 s6, 0
	s_cselect_b32 s10, ttmp9, s5
	s_load_b128 s[4:7], s[0:1], 0x28
	s_ashr_i32 s11, s10, 31
	s_delay_alu instid0(SALU_CYCLE_1) | instskip(NEXT) | instid1(SALU_CYCLE_1)
	s_lshl_b64 s[8:9], s[10:11], 3
	s_add_nc_u64 s[2:3], s[2:3], s[8:9]
	s_bfe_u32 s8, s13, 0x10008
	s_load_b64 s[2:3], s[2:3], 0x0
	s_cmp_eq_u32 s8, 0
                                        ; implicit-def: $sgpr8_sgpr9
	s_cbranch_scc1 .LBB121_3
; %bb.2:
	s_load_b96 s[16:18], s[0:1], 0x18
	s_wait_kmcnt 0x0
	s_mul_u64 s[4:5], s[4:5], s[10:11]
	s_delay_alu instid0(SALU_CYCLE_1) | instskip(SKIP_4) | instid1(SALU_CYCLE_1)
	s_lshl_b64 s[4:5], s[4:5], 2
	s_ashr_i32 s9, s18, 31
	s_mov_b32 s8, s18
	s_add_nc_u64 s[4:5], s[16:17], s[4:5]
	s_lshl_b64 s[8:9], s[8:9], 2
	s_add_nc_u64 s[8:9], s[4:5], s[8:9]
.LBB121_3:
	s_wait_kmcnt 0x0
	s_clause 0x1
	s_load_b64 s[4:5], s[0:1], 0x8
	s_load_b32 s13, s[0:1], 0x38
	v_dual_mov_b32 v119, 0 :: v_dual_lshlrev_b32 v118, 3, v0
	s_wait_kmcnt 0x0
	s_ashr_i32 s1, s4, 31
	s_mov_b32 s0, s4
	s_delay_alu instid0(SALU_CYCLE_1) | instskip(NEXT) | instid1(SALU_CYCLE_1)
	s_lshl_b64 s[0:1], s[0:1], 3
	s_add_nc_u64 s[2:3], s[2:3], s[0:1]
	s_ashr_i32 s1, s5, 31
	flat_load_b64 v[6:7], v0, s[2:3] scale_offset
	v_add_nc_u64_e32 v[2:3], s[2:3], v[118:119]
	s_mov_b32 s0, s5
	s_bitcmp0_b32 s13, 0
	s_delay_alu instid0(VALU_DEP_1)
	v_lshl_add_u64 v[4:5], s[0:1], 3, v[2:3]
	s_mov_b32 s1, -1
	s_wait_loadcnt_dscnt 0x0
	scratch_store_b64 off, v[6:7], off
	flat_load_b64 v[8:9], v[4:5]
	s_wait_xcnt 0x1
	v_add3_u32 v6, s5, s5, v0
	s_wait_loadcnt_dscnt 0x0
	scratch_store_b64 off, v[8:9], off offset:8
	flat_load_b64 v[10:11], v6, s[2:3] scale_offset
	s_wait_xcnt 0x1
	v_add_nc_u32_e32 v8, s5, v6
	s_wait_loadcnt_dscnt 0x0
	scratch_store_b64 off, v[10:11], off offset:16
	flat_load_b64 v[12:13], v8, s[2:3] scale_offset
	s_wait_xcnt 0x1
	v_add_nc_u32_e32 v10, s5, v8
	;; [unrolled: 5-line block ×55, first 2 shown]
	s_wait_loadcnt_dscnt 0x0
	scratch_store_b64 off, v[120:121], off offset:448
	flat_load_b64 v[120:121], v116, s[2:3] scale_offset
	s_wait_loadcnt_dscnt 0x0
	scratch_store_b64 off, v[120:121], off offset:456
	s_cbranch_scc1 .LBB121_244
; %bb.4:
	v_cmp_eq_u32_e64 s0, 0, v0
	s_wait_xcnt 0x0
	s_and_saveexec_b32 s1, s0
; %bb.5:
	v_mov_b32_e32 v1, 0
	ds_store_b32 v1, v1 offset:928
; %bb.6:
	s_or_b32 exec_lo, exec_lo, s1
	s_wait_storecnt_dscnt 0x0
	s_barrier_signal -1
	s_barrier_wait -1
	scratch_load_b64 v[120:121], v0, off scale_offset
	s_wait_loadcnt 0x0
	v_cmp_eq_f32_e32 vcc_lo, 0, v120
	v_cmp_eq_f32_e64 s1, 0, v121
	s_and_b32 s1, vcc_lo, s1
	s_delay_alu instid0(SALU_CYCLE_1)
	s_and_saveexec_b32 s4, s1
	s_cbranch_execz .LBB121_10
; %bb.7:
	v_mov_b32_e32 v1, 0
	s_mov_b32 s5, 0
	ds_load_b32 v7, v1 offset:928
	s_wait_dscnt 0x0
	v_readfirstlane_b32 s1, v7
	v_add_nc_u32_e32 v7, 1, v0
	s_cmp_eq_u32 s1, 0
	s_delay_alu instid0(VALU_DEP_1) | instskip(SKIP_1) | instid1(SALU_CYCLE_1)
	v_cmp_gt_i32_e32 vcc_lo, s1, v7
	s_cselect_b32 s13, -1, 0
	s_or_b32 s13, s13, vcc_lo
	s_delay_alu instid0(SALU_CYCLE_1)
	s_and_b32 exec_lo, exec_lo, s13
	s_cbranch_execz .LBB121_10
; %bb.8:
	v_mov_b32_e32 v9, s1
.LBB121_9:                              ; =>This Inner Loop Header: Depth=1
	ds_cmpstore_rtn_b32 v9, v1, v7, v9 offset:928
	s_wait_dscnt 0x0
	v_cmp_ne_u32_e32 vcc_lo, 0, v9
	v_cmp_le_i32_e64 s1, v9, v7
	s_and_b32 s1, vcc_lo, s1
	s_delay_alu instid0(SALU_CYCLE_1) | instskip(NEXT) | instid1(SALU_CYCLE_1)
	s_and_b32 s1, exec_lo, s1
	s_or_b32 s5, s1, s5
	s_delay_alu instid0(SALU_CYCLE_1)
	s_and_not1_b32 exec_lo, exec_lo, s5
	s_cbranch_execnz .LBB121_9
.LBB121_10:
	s_or_b32 exec_lo, exec_lo, s4
	v_mov_b32_e32 v1, 0
	s_barrier_signal -1
	s_barrier_wait -1
	ds_load_b32 v7, v1 offset:928
	s_and_saveexec_b32 s1, s0
	s_cbranch_execz .LBB121_12
; %bb.11:
	s_lshl_b64 s[4:5], s[10:11], 2
	s_delay_alu instid0(SALU_CYCLE_1)
	s_add_nc_u64 s[4:5], s[6:7], s[4:5]
	s_wait_dscnt 0x0
	global_store_b32 v1, v7, s[4:5]
.LBB121_12:
	s_wait_xcnt 0x0
	s_or_b32 exec_lo, exec_lo, s1
	s_wait_dscnt 0x0
	v_cmp_ne_u32_e32 vcc_lo, 0, v7
	s_mov_b32 s1, 0
	s_cbranch_vccnz .LBB121_244
; %bb.13:
	v_lshl_add_u32 v7, v0, 3, 0
                                        ; implicit-def: $vgpr123
                                        ; implicit-def: $vgpr124
	scratch_load_b64 v[120:121], v7, off
	s_wait_loadcnt 0x0
	v_cmp_ngt_f32_e64 s1, |v120|, |v121|
	s_wait_xcnt 0x0
	s_and_saveexec_b32 s4, s1
	s_delay_alu instid0(SALU_CYCLE_1)
	s_xor_b32 s1, exec_lo, s4
	s_cbranch_execz .LBB121_15
; %bb.14:
	v_div_scale_f32 v1, null, v121, v121, v120
	v_div_scale_f32 v13, vcc_lo, v120, v121, v120
	s_delay_alu instid0(VALU_DEP_2) | instskip(SKIP_1) | instid1(TRANS32_DEP_1)
	v_rcp_f32_e32 v9, v1
	v_nop
	v_fma_f32 v11, -v1, v9, 1.0
	s_delay_alu instid0(VALU_DEP_1) | instskip(NEXT) | instid1(VALU_DEP_1)
	v_fmac_f32_e32 v9, v11, v9
	v_mul_f32_e32 v11, v13, v9
	s_delay_alu instid0(VALU_DEP_1) | instskip(NEXT) | instid1(VALU_DEP_1)
	v_fma_f32 v15, -v1, v11, v13
	v_fmac_f32_e32 v11, v15, v9
	s_delay_alu instid0(VALU_DEP_1) | instskip(NEXT) | instid1(VALU_DEP_1)
	v_fma_f32 v1, -v1, v11, v13
	v_div_fmas_f32 v1, v1, v9, v11
	s_delay_alu instid0(VALU_DEP_1) | instskip(NEXT) | instid1(VALU_DEP_1)
	v_div_fixup_f32 v1, v1, v121, v120
	v_fmac_f32_e32 v121, v120, v1
	s_delay_alu instid0(VALU_DEP_1) | instskip(NEXT) | instid1(VALU_DEP_1)
	v_div_scale_f32 v9, null, v121, v121, -1.0
	v_rcp_f32_e32 v11, v9
	v_nop
	s_delay_alu instid0(TRANS32_DEP_1) | instskip(NEXT) | instid1(VALU_DEP_1)
	v_fma_f32 v13, -v9, v11, 1.0
	v_fmac_f32_e32 v11, v13, v11
	v_div_scale_f32 v13, vcc_lo, -1.0, v121, -1.0
	s_delay_alu instid0(VALU_DEP_1) | instskip(NEXT) | instid1(VALU_DEP_1)
	v_mul_f32_e32 v15, v13, v11
	v_fma_f32 v17, -v9, v15, v13
	s_delay_alu instid0(VALU_DEP_1) | instskip(NEXT) | instid1(VALU_DEP_1)
	v_fmac_f32_e32 v15, v17, v11
	v_fma_f32 v9, -v9, v15, v13
	s_delay_alu instid0(VALU_DEP_1) | instskip(NEXT) | instid1(VALU_DEP_1)
	v_div_fmas_f32 v9, v9, v11, v15
	v_div_fixup_f32 v123, v9, v121, -1.0
                                        ; implicit-def: $vgpr120_vgpr121
	s_delay_alu instid0(VALU_DEP_1) | instskip(NEXT) | instid1(VALU_DEP_1)
	v_mul_f32_e32 v124, v1, v123
	v_xor_b32_e32 v122, 0x80000000, v124
.LBB121_15:
	s_and_not1_saveexec_b32 s1, s1
	s_cbranch_execz .LBB121_17
; %bb.16:
	v_div_scale_f32 v1, null, v120, v120, v121
	v_div_scale_f32 v13, vcc_lo, v121, v120, v121
	s_delay_alu instid0(VALU_DEP_2) | instskip(SKIP_1) | instid1(TRANS32_DEP_1)
	v_rcp_f32_e32 v9, v1
	v_nop
	v_fma_f32 v11, -v1, v9, 1.0
	s_delay_alu instid0(VALU_DEP_1) | instskip(NEXT) | instid1(VALU_DEP_1)
	v_fmac_f32_e32 v9, v11, v9
	v_mul_f32_e32 v11, v13, v9
	s_delay_alu instid0(VALU_DEP_1) | instskip(NEXT) | instid1(VALU_DEP_1)
	v_fma_f32 v15, -v1, v11, v13
	v_fmac_f32_e32 v11, v15, v9
	s_delay_alu instid0(VALU_DEP_1) | instskip(NEXT) | instid1(VALU_DEP_1)
	v_fma_f32 v1, -v1, v11, v13
	v_div_fmas_f32 v1, v1, v9, v11
	s_delay_alu instid0(VALU_DEP_1) | instskip(NEXT) | instid1(VALU_DEP_1)
	v_div_fixup_f32 v1, v1, v120, v121
	v_fmac_f32_e32 v120, v121, v1
	s_delay_alu instid0(VALU_DEP_1) | instskip(SKIP_1) | instid1(VALU_DEP_2)
	v_div_scale_f32 v9, null, v120, v120, 1.0
	v_div_scale_f32 v15, vcc_lo, 1.0, v120, 1.0
	v_rcp_f32_e32 v11, v9
	v_nop
	s_delay_alu instid0(TRANS32_DEP_1) | instskip(NEXT) | instid1(VALU_DEP_1)
	v_fma_f32 v13, -v9, v11, 1.0
	v_fmac_f32_e32 v11, v13, v11
	s_delay_alu instid0(VALU_DEP_1) | instskip(NEXT) | instid1(VALU_DEP_1)
	v_mul_f32_e32 v13, v15, v11
	v_fma_f32 v17, -v9, v13, v15
	s_delay_alu instid0(VALU_DEP_1) | instskip(NEXT) | instid1(VALU_DEP_1)
	v_fmac_f32_e32 v13, v17, v11
	v_fma_f32 v9, -v9, v13, v15
	s_delay_alu instid0(VALU_DEP_1) | instskip(NEXT) | instid1(VALU_DEP_1)
	v_div_fmas_f32 v9, v9, v11, v13
	v_div_fixup_f32 v122, v9, v120, 1.0
	s_delay_alu instid0(VALU_DEP_1)
	v_xor_b32_e32 v124, 0x80000000, v122
	v_mul_f32_e64 v123, v1, -v122
.LBB121_17:
	s_or_b32 exec_lo, exec_lo, s1
	scratch_store_b64 v7, v[122:123], off
	scratch_load_b64 v[120:121], off, off offset:8
	v_xor_b32_e32 v125, 0x80000000, v123
	v_add_nc_u32_e32 v1, 0x1d0, v118
	s_wait_loadcnt 0x0
	ds_store_2addr_b64 v118, v[124:125], v[120:121] offset1:58
	s_wait_storecnt_dscnt 0x0
	s_barrier_signal -1
	s_barrier_wait -1
	s_wait_xcnt 0x0
	s_and_saveexec_b32 s1, s0
	s_cbranch_execz .LBB121_19
; %bb.18:
	scratch_load_b64 v[120:121], v7, off
	ds_load_b64 v[122:123], v1
	s_wait_loadcnt_dscnt 0x0
	v_pk_mul_f32 v[126:127], v[122:123], v[120:121] op_sel:[1,1] op_sel_hi:[0,1]
	s_delay_alu instid0(VALU_DEP_1) | instskip(SKIP_2) | instid1(VALU_DEP_3)
	v_pk_fma_f32 v[128:129], v[122:123], v[120:121], v[126:127] op_sel_hi:[1,0,1]
	v_mov_b32_e32 v9, 0
	v_pk_fma_f32 v[120:121], v[122:123], v[120:121], v[126:127] neg_lo:[0,0,1] neg_hi:[0,0,1]
	v_mov_b32_e32 v121, v129
	ds_load_b64 v[124:125], v9 offset:8
	v_pk_add_f32 v[120:121], v[120:121], 0 op_sel_hi:[1,0]
	s_wait_dscnt 0x0
	s_delay_alu instid0(VALU_DEP_1) | instskip(NEXT) | instid1(VALU_DEP_1)
	v_pk_mul_f32 v[122:123], v[120:121], v[124:125] op_sel:[1,1] op_sel_hi:[0,1]
	v_pk_fma_f32 v[126:127], v[120:121], v[124:125], v[122:123] op_sel_hi:[1,0,1]
	v_pk_fma_f32 v[120:121], v[120:121], v[124:125], v[122:123] neg_lo:[0,0,1] neg_hi:[0,0,1]
	s_delay_alu instid0(VALU_DEP_2)
	v_mov_b32_e32 v121, v127
	scratch_store_b64 off, v[120:121], off offset:8
.LBB121_19:
	s_wait_xcnt 0x0
	s_or_b32 exec_lo, exec_lo, s1
	s_wait_storecnt 0x0
	s_barrier_signal -1
	s_barrier_wait -1
	scratch_load_b64 v[120:121], off, off offset:16
	s_mov_b32 s1, exec_lo
	s_wait_loadcnt 0x0
	ds_store_b64 v1, v[120:121]
	s_wait_dscnt 0x0
	s_barrier_signal -1
	s_barrier_wait -1
	v_cmpx_gt_u32_e32 2, v0
	s_cbranch_execz .LBB121_23
; %bb.20:
	scratch_load_b64 v[120:121], v7, off
	ds_load_b64 v[122:123], v1
	s_wait_loadcnt_dscnt 0x0
	v_pk_mul_f32 v[124:125], v[122:123], v[120:121] op_sel:[1,1] op_sel_hi:[0,1]
	s_delay_alu instid0(VALU_DEP_1) | instskip(SKIP_1) | instid1(VALU_DEP_2)
	v_pk_fma_f32 v[126:127], v[122:123], v[120:121], v[124:125] op_sel_hi:[1,0,1]
	v_pk_fma_f32 v[120:121], v[122:123], v[120:121], v[124:125] neg_lo:[0,0,1] neg_hi:[0,0,1]
	v_mov_b32_e32 v121, v127
	s_delay_alu instid0(VALU_DEP_1)
	v_pk_add_f32 v[120:121], v[120:121], 0 op_sel_hi:[1,0]
	s_and_saveexec_b32 s4, s0
	s_cbranch_execz .LBB121_22
; %bb.21:
	scratch_load_b64 v[122:123], off, off offset:8
	v_mov_b32_e32 v7, 0
	ds_load_b64 v[124:125], v7 offset:472
	s_wait_loadcnt_dscnt 0x0
	v_pk_mul_f32 v[126:127], v[124:125], v[122:123] op_sel:[1,1] op_sel_hi:[0,1]
	s_delay_alu instid0(VALU_DEP_1) | instskip(SKIP_1) | instid1(VALU_DEP_2)
	v_pk_fma_f32 v[128:129], v[124:125], v[122:123], v[126:127] op_sel_hi:[1,0,1]
	v_pk_fma_f32 v[122:123], v[124:125], v[122:123], v[126:127] neg_lo:[0,0,1] neg_hi:[0,0,1]
	v_mov_b32_e32 v123, v129
	s_delay_alu instid0(VALU_DEP_1)
	v_pk_add_f32 v[120:121], v[120:121], v[122:123]
.LBB121_22:
	s_or_b32 exec_lo, exec_lo, s4
	v_mov_b32_e32 v7, 0
	ds_load_b64 v[122:123], v7 offset:16
	s_wait_dscnt 0x0
	v_pk_mul_f32 v[124:125], v[120:121], v[122:123] op_sel:[1,1] op_sel_hi:[0,1]
	s_delay_alu instid0(VALU_DEP_1) | instskip(SKIP_1) | instid1(VALU_DEP_2)
	v_pk_fma_f32 v[126:127], v[120:121], v[122:123], v[124:125] op_sel_hi:[1,0,1]
	v_pk_fma_f32 v[120:121], v[120:121], v[122:123], v[124:125] neg_lo:[0,0,1] neg_hi:[0,0,1]
	v_mov_b32_e32 v121, v127
	scratch_store_b64 off, v[120:121], off offset:16
.LBB121_23:
	s_wait_xcnt 0x0
	s_or_b32 exec_lo, exec_lo, s1
	s_wait_storecnt 0x0
	s_barrier_signal -1
	s_barrier_wait -1
	scratch_load_b64 v[120:121], off, off offset:24
	v_add_nc_u32_e32 v7, -1, v0
	s_mov_b32 s0, exec_lo
	s_wait_loadcnt 0x0
	ds_store_b64 v1, v[120:121]
	s_wait_dscnt 0x0
	s_barrier_signal -1
	s_barrier_wait -1
	v_cmpx_gt_u32_e32 3, v0
	s_cbranch_execz .LBB121_27
; %bb.24:
	v_dual_mov_b32 v120, 0 :: v_dual_add_nc_u32 v9, -1, v0
	v_add_nc_u32_e32 v11, 0x1d0, v118
	v_mov_b32_e32 v13, v118
	s_mov_b32 s1, 0
	s_delay_alu instid0(VALU_DEP_3)
	v_mov_b32_e32 v121, v120
.LBB121_25:                             ; =>This Inner Loop Header: Depth=1
	scratch_load_b64 v[122:123], v13, off
	ds_load_b64 v[124:125], v11
	s_wait_xcnt 0x0
	v_dual_add_nc_u32 v11, 8, v11 :: v_dual_add_nc_u32 v13, 8, v13
	s_wait_loadcnt_dscnt 0x0
	v_pk_mul_f32 v[126:127], v[124:125], v[122:123] op_sel:[1,1] op_sel_hi:[0,1]
	s_delay_alu instid0(VALU_DEP_1) | instskip(SKIP_2) | instid1(VALU_DEP_3)
	v_pk_fma_f32 v[128:129], v[124:125], v[122:123], v[126:127] op_sel_hi:[1,0,1]
	v_add_nc_u32_e32 v9, 1, v9
	v_pk_fma_f32 v[122:123], v[124:125], v[122:123], v[126:127] neg_lo:[0,0,1] neg_hi:[0,0,1]
	v_mov_b32_e32 v123, v129
	s_delay_alu instid0(VALU_DEP_3) | instskip(NEXT) | instid1(VALU_DEP_2)
	v_cmp_lt_u32_e32 vcc_lo, 1, v9
	v_pk_add_f32 v[120:121], v[120:121], v[122:123]
	s_or_b32 s1, vcc_lo, s1
	s_delay_alu instid0(SALU_CYCLE_1)
	s_and_not1_b32 exec_lo, exec_lo, s1
	s_cbranch_execnz .LBB121_25
; %bb.26:
	s_or_b32 exec_lo, exec_lo, s1
	v_mov_b32_e32 v9, 0
	ds_load_b64 v[122:123], v9 offset:24
	s_wait_dscnt 0x0
	v_pk_mul_f32 v[124:125], v[120:121], v[122:123] op_sel:[1,1] op_sel_hi:[0,1]
	s_delay_alu instid0(VALU_DEP_1) | instskip(SKIP_1) | instid1(VALU_DEP_2)
	v_pk_fma_f32 v[126:127], v[120:121], v[122:123], v[124:125] op_sel_hi:[1,0,1]
	v_pk_fma_f32 v[120:121], v[120:121], v[122:123], v[124:125] neg_lo:[0,0,1] neg_hi:[0,0,1]
	v_mov_b32_e32 v121, v127
	scratch_store_b64 off, v[120:121], off offset:24
.LBB121_27:
	s_wait_xcnt 0x0
	s_or_b32 exec_lo, exec_lo, s0
	s_wait_storecnt 0x0
	s_barrier_signal -1
	s_barrier_wait -1
	scratch_load_b64 v[120:121], off, off offset:32
	s_mov_b32 s0, exec_lo
	s_wait_loadcnt 0x0
	ds_store_b64 v1, v[120:121]
	s_wait_dscnt 0x0
	s_barrier_signal -1
	s_barrier_wait -1
	v_cmpx_gt_u32_e32 4, v0
	s_cbranch_execz .LBB121_31
; %bb.28:
	v_dual_mov_b32 v120, 0 :: v_dual_add_nc_u32 v9, -1, v0
	v_add_nc_u32_e32 v11, 0x1d0, v118
	v_mov_b32_e32 v13, v118
	s_mov_b32 s1, 0
	s_delay_alu instid0(VALU_DEP_3)
	v_mov_b32_e32 v121, v120
.LBB121_29:                             ; =>This Inner Loop Header: Depth=1
	scratch_load_b64 v[122:123], v13, off
	ds_load_b64 v[124:125], v11
	s_wait_xcnt 0x0
	v_dual_add_nc_u32 v11, 8, v11 :: v_dual_add_nc_u32 v13, 8, v13
	s_wait_loadcnt_dscnt 0x0
	v_pk_mul_f32 v[126:127], v[124:125], v[122:123] op_sel:[1,1] op_sel_hi:[0,1]
	s_delay_alu instid0(VALU_DEP_1) | instskip(SKIP_2) | instid1(VALU_DEP_3)
	v_pk_fma_f32 v[128:129], v[124:125], v[122:123], v[126:127] op_sel_hi:[1,0,1]
	v_add_nc_u32_e32 v9, 1, v9
	v_pk_fma_f32 v[122:123], v[124:125], v[122:123], v[126:127] neg_lo:[0,0,1] neg_hi:[0,0,1]
	v_mov_b32_e32 v123, v129
	s_delay_alu instid0(VALU_DEP_3) | instskip(NEXT) | instid1(VALU_DEP_2)
	v_cmp_lt_u32_e32 vcc_lo, 2, v9
	v_pk_add_f32 v[120:121], v[120:121], v[122:123]
	s_or_b32 s1, vcc_lo, s1
	s_delay_alu instid0(SALU_CYCLE_1)
	s_and_not1_b32 exec_lo, exec_lo, s1
	s_cbranch_execnz .LBB121_29
; %bb.30:
	s_or_b32 exec_lo, exec_lo, s1
	v_mov_b32_e32 v9, 0
	ds_load_b64 v[122:123], v9 offset:32
	s_wait_dscnt 0x0
	v_pk_mul_f32 v[124:125], v[120:121], v[122:123] op_sel:[1,1] op_sel_hi:[0,1]
	s_delay_alu instid0(VALU_DEP_1) | instskip(SKIP_1) | instid1(VALU_DEP_2)
	v_pk_fma_f32 v[126:127], v[120:121], v[122:123], v[124:125] op_sel_hi:[1,0,1]
	v_pk_fma_f32 v[120:121], v[120:121], v[122:123], v[124:125] neg_lo:[0,0,1] neg_hi:[0,0,1]
	v_mov_b32_e32 v121, v127
	scratch_store_b64 off, v[120:121], off offset:32
.LBB121_31:
	s_wait_xcnt 0x0
	s_or_b32 exec_lo, exec_lo, s0
	s_wait_storecnt 0x0
	s_barrier_signal -1
	s_barrier_wait -1
	scratch_load_b64 v[120:121], off, off offset:40
	;; [unrolled: 52-line block ×19, first 2 shown]
	s_mov_b32 s0, exec_lo
	s_wait_loadcnt 0x0
	ds_store_b64 v1, v[120:121]
	s_wait_dscnt 0x0
	s_barrier_signal -1
	s_barrier_wait -1
	v_cmpx_gt_u32_e32 22, v0
	s_cbranch_execz .LBB121_103
; %bb.100:
	v_dual_mov_b32 v120, 0 :: v_dual_add_nc_u32 v9, -1, v0
	v_add_nc_u32_e32 v11, 0x1d0, v118
	v_mov_b32_e32 v13, v118
	s_mov_b32 s1, 0
	s_delay_alu instid0(VALU_DEP_3)
	v_mov_b32_e32 v121, v120
.LBB121_101:                            ; =>This Inner Loop Header: Depth=1
	scratch_load_b64 v[122:123], v13, off
	ds_load_b64 v[124:125], v11
	s_wait_xcnt 0x0
	v_dual_add_nc_u32 v11, 8, v11 :: v_dual_add_nc_u32 v13, 8, v13
	s_wait_loadcnt_dscnt 0x0
	v_pk_mul_f32 v[126:127], v[124:125], v[122:123] op_sel:[1,1] op_sel_hi:[0,1]
	s_delay_alu instid0(VALU_DEP_1) | instskip(SKIP_2) | instid1(VALU_DEP_3)
	v_pk_fma_f32 v[128:129], v[124:125], v[122:123], v[126:127] op_sel_hi:[1,0,1]
	v_add_nc_u32_e32 v9, 1, v9
	v_pk_fma_f32 v[122:123], v[124:125], v[122:123], v[126:127] neg_lo:[0,0,1] neg_hi:[0,0,1]
	v_mov_b32_e32 v123, v129
	s_delay_alu instid0(VALU_DEP_3) | instskip(NEXT) | instid1(VALU_DEP_2)
	v_cmp_lt_u32_e32 vcc_lo, 20, v9
	v_pk_add_f32 v[120:121], v[120:121], v[122:123]
	s_or_b32 s1, vcc_lo, s1
	s_delay_alu instid0(SALU_CYCLE_1)
	s_and_not1_b32 exec_lo, exec_lo, s1
	s_cbranch_execnz .LBB121_101
; %bb.102:
	s_or_b32 exec_lo, exec_lo, s1
	v_mov_b32_e32 v9, 0
	ds_load_b64 v[122:123], v9 offset:176
	s_wait_dscnt 0x0
	v_pk_mul_f32 v[124:125], v[120:121], v[122:123] op_sel:[1,1] op_sel_hi:[0,1]
	s_delay_alu instid0(VALU_DEP_1) | instskip(SKIP_1) | instid1(VALU_DEP_2)
	v_pk_fma_f32 v[126:127], v[120:121], v[122:123], v[124:125] op_sel_hi:[1,0,1]
	v_pk_fma_f32 v[120:121], v[120:121], v[122:123], v[124:125] neg_lo:[0,0,1] neg_hi:[0,0,1]
	v_mov_b32_e32 v121, v127
	scratch_store_b64 off, v[120:121], off offset:176
.LBB121_103:
	s_wait_xcnt 0x0
	s_or_b32 exec_lo, exec_lo, s0
	s_wait_storecnt 0x0
	s_barrier_signal -1
	s_barrier_wait -1
	scratch_load_b64 v[120:121], off, off offset:184
	s_mov_b32 s0, exec_lo
	s_wait_loadcnt 0x0
	ds_store_b64 v1, v[120:121]
	s_wait_dscnt 0x0
	s_barrier_signal -1
	s_barrier_wait -1
	v_cmpx_gt_u32_e32 23, v0
	s_cbranch_execz .LBB121_107
; %bb.104:
	v_dual_mov_b32 v120, 0 :: v_dual_add_nc_u32 v9, -1, v0
	v_add_nc_u32_e32 v11, 0x1d0, v118
	v_mov_b32_e32 v13, v118
	s_mov_b32 s1, 0
	s_delay_alu instid0(VALU_DEP_3)
	v_mov_b32_e32 v121, v120
.LBB121_105:                            ; =>This Inner Loop Header: Depth=1
	scratch_load_b64 v[122:123], v13, off
	ds_load_b64 v[124:125], v11
	s_wait_xcnt 0x0
	v_dual_add_nc_u32 v11, 8, v11 :: v_dual_add_nc_u32 v13, 8, v13
	s_wait_loadcnt_dscnt 0x0
	v_pk_mul_f32 v[126:127], v[124:125], v[122:123] op_sel:[1,1] op_sel_hi:[0,1]
	s_delay_alu instid0(VALU_DEP_1) | instskip(SKIP_2) | instid1(VALU_DEP_3)
	v_pk_fma_f32 v[128:129], v[124:125], v[122:123], v[126:127] op_sel_hi:[1,0,1]
	v_add_nc_u32_e32 v9, 1, v9
	v_pk_fma_f32 v[122:123], v[124:125], v[122:123], v[126:127] neg_lo:[0,0,1] neg_hi:[0,0,1]
	v_mov_b32_e32 v123, v129
	s_delay_alu instid0(VALU_DEP_3) | instskip(NEXT) | instid1(VALU_DEP_2)
	v_cmp_lt_u32_e32 vcc_lo, 21, v9
	v_pk_add_f32 v[120:121], v[120:121], v[122:123]
	s_or_b32 s1, vcc_lo, s1
	s_delay_alu instid0(SALU_CYCLE_1)
	s_and_not1_b32 exec_lo, exec_lo, s1
	s_cbranch_execnz .LBB121_105
; %bb.106:
	s_or_b32 exec_lo, exec_lo, s1
	v_mov_b32_e32 v9, 0
	ds_load_b64 v[122:123], v9 offset:184
	s_wait_dscnt 0x0
	v_pk_mul_f32 v[124:125], v[120:121], v[122:123] op_sel:[1,1] op_sel_hi:[0,1]
	s_delay_alu instid0(VALU_DEP_1) | instskip(SKIP_1) | instid1(VALU_DEP_2)
	v_pk_fma_f32 v[126:127], v[120:121], v[122:123], v[124:125] op_sel_hi:[1,0,1]
	v_pk_fma_f32 v[120:121], v[120:121], v[122:123], v[124:125] neg_lo:[0,0,1] neg_hi:[0,0,1]
	v_mov_b32_e32 v121, v127
	scratch_store_b64 off, v[120:121], off offset:184
.LBB121_107:
	s_wait_xcnt 0x0
	s_or_b32 exec_lo, exec_lo, s0
	s_wait_storecnt 0x0
	s_barrier_signal -1
	s_barrier_wait -1
	scratch_load_b64 v[120:121], off, off offset:192
	;; [unrolled: 52-line block ×35, first 2 shown]
	s_mov_b32 s0, exec_lo
	s_wait_loadcnt 0x0
	ds_store_b64 v1, v[120:121]
	s_wait_dscnt 0x0
	s_barrier_signal -1
	s_barrier_wait -1
	v_cmpx_ne_u32_e32 57, v0
	s_cbranch_execz .LBB121_243
; %bb.240:
	v_dual_mov_b32 v120, 0 :: v_dual_mov_b32 v9, v118
	s_mov_b32 s1, 0
	s_delay_alu instid0(VALU_DEP_1)
	v_mov_b32_e32 v121, v120
.LBB121_241:                            ; =>This Inner Loop Header: Depth=1
	scratch_load_b64 v[118:119], v9, off
	ds_load_b64 v[122:123], v1
	v_add_nc_u32_e32 v1, 8, v1
	s_wait_xcnt 0x0
	v_add_nc_u32_e32 v9, 8, v9
	s_wait_loadcnt_dscnt 0x0
	v_pk_mul_f32 v[124:125], v[122:123], v[118:119] op_sel:[1,1] op_sel_hi:[0,1]
	s_delay_alu instid0(VALU_DEP_1) | instskip(SKIP_2) | instid1(VALU_DEP_3)
	v_pk_fma_f32 v[126:127], v[122:123], v[118:119], v[124:125] op_sel_hi:[1,0,1]
	v_add_nc_u32_e32 v7, 1, v7
	v_pk_fma_f32 v[118:119], v[122:123], v[118:119], v[124:125] neg_lo:[0,0,1] neg_hi:[0,0,1]
	v_mov_b32_e32 v119, v127
	s_delay_alu instid0(VALU_DEP_3) | instskip(NEXT) | instid1(VALU_DEP_2)
	v_cmp_lt_u32_e32 vcc_lo, 55, v7
	v_pk_add_f32 v[120:121], v[120:121], v[118:119]
	s_or_b32 s1, vcc_lo, s1
	s_delay_alu instid0(SALU_CYCLE_1)
	s_and_not1_b32 exec_lo, exec_lo, s1
	s_cbranch_execnz .LBB121_241
; %bb.242:
	s_or_b32 exec_lo, exec_lo, s1
	v_mov_b32_e32 v1, 0
	ds_load_b64 v[118:119], v1 offset:456
	s_wait_dscnt 0x0
	v_pk_mul_f32 v[122:123], v[120:121], v[118:119] op_sel:[1,1] op_sel_hi:[0,1]
	s_delay_alu instid0(VALU_DEP_1) | instskip(SKIP_1) | instid1(VALU_DEP_2)
	v_pk_fma_f32 v[124:125], v[120:121], v[118:119], v[122:123] op_sel_hi:[1,0,1]
	v_pk_fma_f32 v[118:119], v[120:121], v[118:119], v[122:123] neg_lo:[0,0,1] neg_hi:[0,0,1]
	v_mov_b32_e32 v119, v125
	scratch_store_b64 off, v[118:119], off offset:456
.LBB121_243:
	s_wait_xcnt 0x0
	s_or_b32 exec_lo, exec_lo, s0
	s_mov_b32 s1, -1
	s_wait_storecnt 0x0
	s_barrier_signal -1
	s_barrier_wait -1
.LBB121_244:
	s_and_b32 vcc_lo, exec_lo, s1
	s_cbranch_vccz .LBB121_246
; %bb.245:
	v_mov_b32_e32 v1, 0
	s_lshl_b64 s[0:1], s[10:11], 2
	s_delay_alu instid0(SALU_CYCLE_1)
	s_add_nc_u64 s[0:1], s[6:7], s[0:1]
	global_load_b32 v1, v1, s[0:1]
	s_wait_loadcnt 0x0
	v_cmp_ne_u32_e32 vcc_lo, 0, v1
	s_cbranch_vccz .LBB121_247
.LBB121_246:
	s_sendmsg sendmsg(MSG_DEALLOC_VGPRS)
	s_endpgm
.LBB121_247:
	s_wait_xcnt 0x0
	v_lshl_add_u32 v1, v0, 3, 0x1d0
	s_mov_b32 s0, exec_lo
	v_cmpx_eq_u32_e32 57, v0
	s_cbranch_execz .LBB121_249
; %bb.248:
	scratch_load_b64 v[118:119], off, off offset:448
	v_mov_b64_e32 v[120:121], 0
	scratch_store_b64 off, v[120:121], off offset:448
	s_wait_loadcnt 0x0
	ds_store_b64 v1, v[118:119]
.LBB121_249:
	s_wait_xcnt 0x0
	s_or_b32 exec_lo, exec_lo, s0
	s_wait_storecnt_dscnt 0x0
	s_barrier_signal -1
	s_barrier_wait -1
	s_clause 0x1
	scratch_load_b64 v[118:119], off, off offset:456
	scratch_load_b64 v[120:121], off, off offset:448
	v_mov_b32_e32 v7, 0
	s_mov_b32 s0, exec_lo
	ds_load_b64 v[122:123], v7 offset:920
	s_wait_loadcnt_dscnt 0x100
	v_pk_mul_f32 v[124:125], v[122:123], v[118:119] op_sel:[1,1] op_sel_hi:[0,1]
	s_delay_alu instid0(VALU_DEP_1) | instskip(SKIP_1) | instid1(VALU_DEP_2)
	v_pk_fma_f32 v[126:127], v[122:123], v[118:119], v[124:125] op_sel_hi:[1,0,1]
	v_pk_fma_f32 v[118:119], v[122:123], v[118:119], v[124:125] neg_lo:[0,0,1] neg_hi:[0,0,1]
	v_mov_b32_e32 v119, v127
	s_delay_alu instid0(VALU_DEP_1) | instskip(SKIP_1) | instid1(VALU_DEP_1)
	v_pk_add_f32 v[118:119], v[118:119], 0 op_sel_hi:[1,0]
	s_wait_loadcnt 0x0
	v_pk_add_f32 v[118:119], v[120:121], v[118:119] neg_lo:[0,1] neg_hi:[0,1]
	scratch_store_b64 off, v[118:119], off offset:448
	s_wait_xcnt 0x0
	v_cmpx_lt_u32_e32 55, v0
	s_cbranch_execz .LBB121_251
; %bb.250:
	scratch_load_b64 v[118:119], off, off offset:440
	v_mov_b64_e32 v[120:121], 0
	scratch_store_b64 off, v[120:121], off offset:440
	s_wait_loadcnt 0x0
	ds_store_b64 v1, v[118:119]
.LBB121_251:
	s_wait_xcnt 0x0
	s_or_b32 exec_lo, exec_lo, s0
	s_wait_storecnt_dscnt 0x0
	s_barrier_signal -1
	s_barrier_wait -1
	s_clause 0x1
	scratch_load_b128 v[118:121], off, off offset:448
	scratch_load_b64 v[126:127], off, off offset:440
	ds_load_b128 v[122:125], v7 offset:912
	s_mov_b32 s0, exec_lo
	s_wait_dscnt 0x0
	v_dual_mov_b32 v128, v125 :: v_dual_mov_b32 v129, v124
	s_wait_loadcnt 0x1
	v_pk_mul_f32 v[130:131], v[122:123], v[118:119] op_sel:[1,1] op_sel_hi:[0,1]
	s_delay_alu instid0(VALU_DEP_1) | instskip(SKIP_2) | instid1(VALU_DEP_3)
	v_pk_fma_f32 v[134:135], v[122:123], v[118:119], v[130:131] op_sel_hi:[1,0,1]
	v_mov_b32_e32 v132, v121
	v_pk_fma_f32 v[118:119], v[122:123], v[118:119], v[130:131] neg_lo:[0,0,1] neg_hi:[0,0,1]
	v_mov_b32_e32 v119, v135
	s_delay_alu instid0(VALU_DEP_3) | instskip(NEXT) | instid1(VALU_DEP_2)
	v_pk_mul_f32 v[128:129], v[128:129], v[132:133] op_sel_hi:[1,0]
	v_pk_add_f32 v[118:119], v[118:119], 0 op_sel_hi:[1,0]
	s_delay_alu instid0(VALU_DEP_2) | instskip(SKIP_1) | instid1(VALU_DEP_2)
	v_pk_fma_f32 v[122:123], v[124:125], v[120:121], v[128:129] op_sel_hi:[1,0,1]
	v_pk_fma_f32 v[120:121], v[124:125], v[120:121], v[128:129] neg_lo:[0,0,1] neg_hi:[0,0,1]
	v_mov_b32_e32 v121, v123
	s_delay_alu instid0(VALU_DEP_1) | instskip(SKIP_1) | instid1(VALU_DEP_1)
	v_pk_add_f32 v[118:119], v[118:119], v[120:121]
	s_wait_loadcnt 0x0
	v_pk_add_f32 v[118:119], v[126:127], v[118:119] neg_lo:[0,1] neg_hi:[0,1]
	scratch_store_b64 off, v[118:119], off offset:440
	s_wait_xcnt 0x0
	v_cmpx_lt_u32_e32 54, v0
	s_cbranch_execz .LBB121_253
; %bb.252:
	scratch_load_b64 v[118:119], off, off offset:432
	v_mov_b64_e32 v[120:121], 0
	scratch_store_b64 off, v[120:121], off offset:432
	s_wait_loadcnt 0x0
	ds_store_b64 v1, v[118:119]
.LBB121_253:
	s_wait_xcnt 0x0
	s_or_b32 exec_lo, exec_lo, s0
	s_wait_storecnt_dscnt 0x0
	s_barrier_signal -1
	s_barrier_wait -1
	s_clause 0x2
	scratch_load_b128 v[118:121], off, off offset:440
	scratch_load_b64 v[126:127], off, off offset:456
	scratch_load_b64 v[128:129], off, off offset:432
	v_mov_b32_e32 v7, 0
	ds_load_2addr_b64 v[122:125], v7 offset0:113 offset1:114
	ds_load_b64 v[130:131], v7 offset:920
	s_mov_b32 s0, exec_lo
	s_wait_dscnt 0x1
	v_dual_mov_b32 v132, v125 :: v_dual_mov_b32 v133, v124
	s_wait_loadcnt 0x2
	v_mov_b32_e32 v136, v121
	v_pk_mul_f32 v[134:135], v[122:123], v[118:119] op_sel:[1,1] op_sel_hi:[0,1]
	s_delay_alu instid0(VALU_DEP_2) | instskip(NEXT) | instid1(VALU_DEP_2)
	v_pk_mul_f32 v[132:133], v[132:133], v[136:137] op_sel_hi:[1,0]
	v_pk_fma_f32 v[138:139], v[122:123], v[118:119], v[134:135] op_sel_hi:[1,0,1]
	v_pk_fma_f32 v[118:119], v[122:123], v[118:119], v[134:135] neg_lo:[0,0,1] neg_hi:[0,0,1]
	s_wait_loadcnt_dscnt 0x100
	v_pk_mul_f32 v[134:135], v[130:131], v[126:127] op_sel:[1,1] op_sel_hi:[0,1]
	v_pk_fma_f32 v[122:123], v[124:125], v[120:121], v[132:133] op_sel_hi:[1,0,1]
	v_mov_b32_e32 v119, v139
	v_pk_fma_f32 v[120:121], v[124:125], v[120:121], v[132:133] neg_lo:[0,0,1] neg_hi:[0,0,1]
	s_delay_alu instid0(VALU_DEP_4) | instskip(NEXT) | instid1(VALU_DEP_4)
	v_pk_fma_f32 v[124:125], v[130:131], v[126:127], v[134:135] neg_lo:[0,0,1] neg_hi:[0,0,1]
	v_mov_b32_e32 v121, v123
	s_delay_alu instid0(VALU_DEP_4) | instskip(SKIP_1) | instid1(VALU_DEP_2)
	v_pk_add_f32 v[118:119], v[118:119], 0 op_sel_hi:[1,0]
	v_pk_fma_f32 v[122:123], v[130:131], v[126:127], v[134:135] op_sel_hi:[1,0,1]
	v_pk_add_f32 v[118:119], v[118:119], v[120:121]
	s_delay_alu instid0(VALU_DEP_2) | instskip(NEXT) | instid1(VALU_DEP_1)
	v_mov_b32_e32 v125, v123
	v_pk_add_f32 v[118:119], v[118:119], v[124:125]
	s_wait_loadcnt 0x0
	s_delay_alu instid0(VALU_DEP_1)
	v_pk_add_f32 v[118:119], v[128:129], v[118:119] neg_lo:[0,1] neg_hi:[0,1]
	scratch_store_b64 off, v[118:119], off offset:432
	s_wait_xcnt 0x0
	v_cmpx_lt_u32_e32 53, v0
	s_cbranch_execz .LBB121_255
; %bb.254:
	scratch_load_b64 v[118:119], off, off offset:424
	v_mov_b64_e32 v[120:121], 0
	scratch_store_b64 off, v[120:121], off offset:424
	s_wait_loadcnt 0x0
	ds_store_b64 v1, v[118:119]
.LBB121_255:
	s_wait_xcnt 0x0
	s_or_b32 exec_lo, exec_lo, s0
	s_wait_storecnt_dscnt 0x0
	s_barrier_signal -1
	s_barrier_wait -1
	s_clause 0x2
	scratch_load_b128 v[118:121], off, off offset:432
	scratch_load_b128 v[122:125], off, off offset:448
	scratch_load_b64 v[134:135], off, off offset:424
	ds_load_b128 v[126:129], v7 offset:896
	ds_load_b128 v[130:133], v7 offset:912
	s_mov_b32 s0, exec_lo
	s_wait_dscnt 0x1
	v_dual_mov_b32 v136, v129 :: v_dual_mov_b32 v137, v128
	s_wait_loadcnt_dscnt 0x200
	v_dual_mov_b32 v142, v133 :: v_dual_mov_b32 v140, v121
	v_pk_mul_f32 v[138:139], v[126:127], v[118:119] op_sel:[1,1] op_sel_hi:[0,1]
	s_delay_alu instid0(VALU_DEP_2) | instskip(NEXT) | instid1(VALU_DEP_2)
	v_pk_mul_f32 v[136:137], v[136:137], v[140:141] op_sel_hi:[1,0]
	v_pk_fma_f32 v[144:145], v[126:127], v[118:119], v[138:139] op_sel_hi:[1,0,1]
	v_pk_fma_f32 v[118:119], v[126:127], v[118:119], v[138:139] neg_lo:[0,0,1] neg_hi:[0,0,1]
	v_mov_b32_e32 v143, v132
	s_wait_loadcnt 0x1
	v_pk_mul_f32 v[140:141], v[130:131], v[122:123] op_sel:[1,1] op_sel_hi:[0,1]
	v_pk_fma_f32 v[126:127], v[128:129], v[120:121], v[136:137] op_sel_hi:[1,0,1]
	v_dual_mov_b32 v119, v145 :: v_dual_mov_b32 v126, v125
	v_pk_fma_f32 v[120:121], v[128:129], v[120:121], v[136:137] neg_lo:[0,0,1] neg_hi:[0,0,1]
	s_delay_alu instid0(VALU_DEP_4) | instskip(NEXT) | instid1(VALU_DEP_4)
	v_pk_fma_f32 v[138:139], v[130:131], v[122:123], v[140:141] op_sel_hi:[1,0,1]
	v_mov_b32_e32 v121, v127
	s_delay_alu instid0(VALU_DEP_4) | instskip(SKIP_2) | instid1(VALU_DEP_3)
	v_pk_add_f32 v[118:119], v[118:119], 0 op_sel_hi:[1,0]
	v_pk_mul_f32 v[126:127], v[142:143], v[126:127] op_sel_hi:[1,0]
	v_pk_fma_f32 v[122:123], v[130:131], v[122:123], v[140:141] neg_lo:[0,0,1] neg_hi:[0,0,1]
	v_pk_add_f32 v[118:119], v[118:119], v[120:121]
	s_delay_alu instid0(VALU_DEP_3) | instskip(SKIP_2) | instid1(VALU_DEP_3)
	v_pk_fma_f32 v[120:121], v[132:133], v[124:125], v[126:127] op_sel_hi:[1,0,1]
	v_mov_b32_e32 v123, v139
	v_pk_fma_f32 v[124:125], v[132:133], v[124:125], v[126:127] neg_lo:[0,0,1] neg_hi:[0,0,1]
	v_mov_b32_e32 v125, v121
	s_delay_alu instid0(VALU_DEP_3) | instskip(NEXT) | instid1(VALU_DEP_1)
	v_pk_add_f32 v[118:119], v[118:119], v[122:123]
	v_pk_add_f32 v[118:119], v[118:119], v[124:125]
	s_wait_loadcnt 0x0
	s_delay_alu instid0(VALU_DEP_1)
	v_pk_add_f32 v[118:119], v[134:135], v[118:119] neg_lo:[0,1] neg_hi:[0,1]
	scratch_store_b64 off, v[118:119], off offset:424
	s_wait_xcnt 0x0
	v_cmpx_lt_u32_e32 52, v0
	s_cbranch_execz .LBB121_257
; %bb.256:
	scratch_load_b64 v[118:119], off, off offset:416
	v_mov_b64_e32 v[120:121], 0
	scratch_store_b64 off, v[120:121], off offset:416
	s_wait_loadcnt 0x0
	ds_store_b64 v1, v[118:119]
.LBB121_257:
	s_wait_xcnt 0x0
	s_or_b32 exec_lo, exec_lo, s0
	s_wait_storecnt_dscnt 0x0
	s_barrier_signal -1
	s_barrier_wait -1
	s_clause 0x3
	scratch_load_b128 v[118:121], off, off offset:424
	scratch_load_b128 v[122:125], off, off offset:440
	scratch_load_b64 v[134:135], off, off offset:456
	scratch_load_b64 v[136:137], off, off offset:416
	v_mov_b32_e32 v7, 0
	ds_load_2addr_b64 v[126:129], v7 offset0:111 offset1:112
	ds_load_2addr_b64 v[130:133], v7 offset0:113 offset1:114
	s_mov_b32 s0, exec_lo
	s_wait_dscnt 0x1
	v_dual_mov_b32 v138, v129 :: v_dual_mov_b32 v139, v128
	ds_load_b64 v[144:145], v7 offset:920
	s_wait_dscnt 0x1
	v_dual_mov_b32 v146, v133 :: v_dual_mov_b32 v147, v132
	s_wait_loadcnt 0x3
	v_pk_mul_f32 v[140:141], v[126:127], v[118:119] op_sel:[1,1] op_sel_hi:[0,1]
	v_mov_b32_e32 v142, v121
	s_delay_alu instid0(VALU_DEP_2) | instskip(NEXT) | instid1(VALU_DEP_2)
	v_pk_fma_f32 v[148:149], v[126:127], v[118:119], v[140:141] op_sel_hi:[1,0,1]
	v_pk_mul_f32 v[138:139], v[138:139], v[142:143] op_sel_hi:[1,0]
	v_pk_fma_f32 v[118:119], v[126:127], v[118:119], v[140:141] neg_lo:[0,0,1] neg_hi:[0,0,1]
	s_wait_loadcnt 0x2
	v_pk_mul_f32 v[142:143], v[130:131], v[122:123] op_sel:[1,1] op_sel_hi:[0,1]
	v_dual_mov_b32 v148, v125 :: v_dual_mov_b32 v119, v149
	v_pk_fma_f32 v[126:127], v[128:129], v[120:121], v[138:139] op_sel_hi:[1,0,1]
	v_pk_fma_f32 v[120:121], v[128:129], v[120:121], v[138:139] neg_lo:[0,0,1] neg_hi:[0,0,1]
	s_delay_alu instid0(VALU_DEP_4) | instskip(NEXT) | instid1(VALU_DEP_4)
	v_pk_fma_f32 v[140:141], v[130:131], v[122:123], v[142:143] op_sel_hi:[1,0,1]
	v_pk_mul_f32 v[146:147], v[146:147], v[148:149] op_sel_hi:[1,0]
	v_pk_add_f32 v[118:119], v[118:119], 0 op_sel_hi:[1,0]
	v_mov_b32_e32 v121, v127
	v_pk_fma_f32 v[122:123], v[130:131], v[122:123], v[142:143] neg_lo:[0,0,1] neg_hi:[0,0,1]
	v_mov_b32_e32 v123, v141
	v_pk_fma_f32 v[126:127], v[132:133], v[124:125], v[146:147] op_sel_hi:[1,0,1]
	v_pk_fma_f32 v[124:125], v[132:133], v[124:125], v[146:147] neg_lo:[0,0,1] neg_hi:[0,0,1]
	v_pk_add_f32 v[118:119], v[118:119], v[120:121]
	s_wait_loadcnt_dscnt 0x100
	v_pk_mul_f32 v[120:121], v[144:145], v[134:135] op_sel:[1,1] op_sel_hi:[0,1]
	s_delay_alu instid0(VALU_DEP_2) | instskip(NEXT) | instid1(VALU_DEP_2)
	v_pk_add_f32 v[118:119], v[118:119], v[122:123]
	v_pk_fma_f32 v[122:123], v[144:145], v[134:135], v[120:121] op_sel_hi:[1,0,1]
	v_mov_b32_e32 v125, v127
	v_pk_fma_f32 v[120:121], v[144:145], v[134:135], v[120:121] neg_lo:[0,0,1] neg_hi:[0,0,1]
	s_delay_alu instid0(VALU_DEP_3) | instskip(NEXT) | instid1(VALU_DEP_3)
	v_mov_b32_e32 v121, v123
	v_pk_add_f32 v[118:119], v[118:119], v[124:125]
	s_delay_alu instid0(VALU_DEP_1) | instskip(SKIP_1) | instid1(VALU_DEP_1)
	v_pk_add_f32 v[118:119], v[118:119], v[120:121]
	s_wait_loadcnt 0x0
	v_pk_add_f32 v[118:119], v[136:137], v[118:119] neg_lo:[0,1] neg_hi:[0,1]
	scratch_store_b64 off, v[118:119], off offset:416
	s_wait_xcnt 0x0
	v_cmpx_lt_u32_e32 51, v0
	s_cbranch_execz .LBB121_259
; %bb.258:
	scratch_load_b64 v[118:119], off, off offset:408
	v_mov_b64_e32 v[120:121], 0
	scratch_store_b64 off, v[120:121], off offset:408
	s_wait_loadcnt 0x0
	ds_store_b64 v1, v[118:119]
.LBB121_259:
	s_wait_xcnt 0x0
	s_or_b32 exec_lo, exec_lo, s0
	s_wait_storecnt_dscnt 0x0
	s_barrier_signal -1
	s_barrier_wait -1
	s_clause 0x3
	scratch_load_b128 v[118:121], off, off offset:416
	scratch_load_b128 v[122:125], off, off offset:432
	;; [unrolled: 1-line block ×3, first 2 shown]
	scratch_load_b64 v[142:143], off, off offset:408
	ds_load_b128 v[130:133], v7 offset:880
	ds_load_b128 v[134:137], v7 offset:896
	;; [unrolled: 1-line block ×3, first 2 shown]
	s_mov_b32 s0, exec_lo
	s_wait_dscnt 0x2
	v_dual_mov_b32 v144, v133 :: v_dual_mov_b32 v145, v132
	s_wait_dscnt 0x1
	v_dual_mov_b32 v146, v137 :: v_dual_mov_b32 v147, v136
	;; [unrolled: 2-line block ×3, first 2 shown]
	s_wait_loadcnt 0x3
	v_pk_mul_f32 v[148:149], v[130:131], v[118:119] op_sel:[1,1] op_sel_hi:[0,1]
	v_mov_b32_e32 v150, v121
	s_delay_alu instid0(VALU_DEP_2) | instskip(NEXT) | instid1(VALU_DEP_2)
	v_pk_fma_f32 v[154:155], v[130:131], v[118:119], v[148:149] op_sel_hi:[1,0,1]
	v_pk_mul_f32 v[144:145], v[144:145], v[150:151] op_sel_hi:[1,0]
	v_pk_fma_f32 v[118:119], v[130:131], v[118:119], v[148:149] neg_lo:[0,0,1] neg_hi:[0,0,1]
	s_wait_loadcnt 0x2
	v_pk_mul_f32 v[150:151], v[134:135], v[122:123] op_sel:[1,1] op_sel_hi:[0,1]
	v_mov_b32_e32 v154, v125
	v_pk_fma_f32 v[130:131], v[132:133], v[120:121], v[144:145] op_sel_hi:[1,0,1]
	v_mov_b32_e32 v119, v155
	v_pk_fma_f32 v[120:121], v[132:133], v[120:121], v[144:145] neg_lo:[0,0,1] neg_hi:[0,0,1]
	v_pk_fma_f32 v[148:149], v[134:135], v[122:123], v[150:151] op_sel_hi:[1,0,1]
	v_pk_mul_f32 v[146:147], v[146:147], v[154:155] op_sel_hi:[1,0]
	v_mov_b32_e32 v121, v131
	v_pk_add_f32 v[118:119], v[118:119], 0 op_sel_hi:[1,0]
	v_pk_fma_f32 v[122:123], v[134:135], v[122:123], v[150:151] neg_lo:[0,0,1] neg_hi:[0,0,1]
	s_wait_loadcnt 0x1
	v_pk_mul_f32 v[130:131], v[138:139], v[126:127] op_sel:[1,1] op_sel_hi:[0,1]
	v_mov_b32_e32 v123, v149
	v_pk_fma_f32 v[132:133], v[136:137], v[124:125], v[146:147] op_sel_hi:[1,0,1]
	v_pk_add_f32 v[118:119], v[118:119], v[120:121]
	v_mov_b32_e32 v120, v129
	v_pk_fma_f32 v[124:125], v[136:137], v[124:125], v[146:147] neg_lo:[0,0,1] neg_hi:[0,0,1]
	v_pk_fma_f32 v[134:135], v[138:139], v[126:127], v[130:131] op_sel_hi:[1,0,1]
	v_mov_b32_e32 v125, v133
	v_pk_add_f32 v[118:119], v[118:119], v[122:123]
	v_pk_mul_f32 v[120:121], v[152:153], v[120:121] op_sel_hi:[1,0]
	v_pk_fma_f32 v[122:123], v[138:139], v[126:127], v[130:131] neg_lo:[0,0,1] neg_hi:[0,0,1]
	v_mov_b32_e32 v123, v135
	s_delay_alu instid0(VALU_DEP_4) | instskip(NEXT) | instid1(VALU_DEP_4)
	v_pk_add_f32 v[118:119], v[118:119], v[124:125]
	v_pk_fma_f32 v[124:125], v[140:141], v[128:129], v[120:121] op_sel_hi:[1,0,1]
	v_pk_fma_f32 v[120:121], v[140:141], v[128:129], v[120:121] neg_lo:[0,0,1] neg_hi:[0,0,1]
	s_delay_alu instid0(VALU_DEP_3) | instskip(NEXT) | instid1(VALU_DEP_3)
	v_pk_add_f32 v[118:119], v[118:119], v[122:123]
	v_mov_b32_e32 v121, v125
	s_delay_alu instid0(VALU_DEP_1) | instskip(SKIP_1) | instid1(VALU_DEP_1)
	v_pk_add_f32 v[118:119], v[118:119], v[120:121]
	s_wait_loadcnt 0x0
	v_pk_add_f32 v[118:119], v[142:143], v[118:119] neg_lo:[0,1] neg_hi:[0,1]
	scratch_store_b64 off, v[118:119], off offset:408
	s_wait_xcnt 0x0
	v_cmpx_lt_u32_e32 50, v0
	s_cbranch_execz .LBB121_261
; %bb.260:
	scratch_load_b64 v[118:119], off, off offset:400
	v_mov_b64_e32 v[120:121], 0
	scratch_store_b64 off, v[120:121], off offset:400
	s_wait_loadcnt 0x0
	ds_store_b64 v1, v[118:119]
.LBB121_261:
	s_wait_xcnt 0x0
	s_or_b32 exec_lo, exec_lo, s0
	s_wait_storecnt_dscnt 0x0
	s_barrier_signal -1
	s_barrier_wait -1
	s_clause 0x4
	scratch_load_b128 v[118:121], off, off offset:408
	scratch_load_b128 v[122:125], off, off offset:424
	;; [unrolled: 1-line block ×3, first 2 shown]
	scratch_load_b64 v[142:143], off, off offset:456
	scratch_load_b64 v[144:145], off, off offset:400
	v_mov_b32_e32 v7, 0
	ds_load_2addr_b64 v[130:133], v7 offset0:109 offset1:110
	ds_load_2addr_b64 v[134:137], v7 offset0:111 offset1:112
	;; [unrolled: 1-line block ×3, first 2 shown]
	ds_load_b64 v[146:147], v7 offset:920
	s_mov_b32 s0, exec_lo
	s_wait_dscnt 0x3
	v_dual_mov_b32 v148, v133 :: v_dual_mov_b32 v149, v132
	s_wait_dscnt 0x2
	v_dual_mov_b32 v150, v137 :: v_dual_mov_b32 v151, v136
	s_wait_dscnt 0x1
	v_dual_mov_b32 v156, v141 :: v_dual_mov_b32 v157, v140
	s_wait_loadcnt 0x4
	v_pk_mul_f32 v[152:153], v[130:131], v[118:119] op_sel:[1,1] op_sel_hi:[0,1]
	v_mov_b32_e32 v154, v121
	s_wait_loadcnt 0x3
	v_pk_mul_f32 v[158:159], v[134:135], v[122:123] op_sel:[1,1] op_sel_hi:[0,1]
	s_wait_loadcnt 0x2
	v_pk_mul_f32 v[162:163], v[138:139], v[126:127] op_sel:[1,1] op_sel_hi:[0,1]
	v_pk_fma_f32 v[160:161], v[130:131], v[118:119], v[152:153] op_sel_hi:[1,0,1]
	v_pk_mul_f32 v[148:149], v[148:149], v[154:155] op_sel_hi:[1,0]
	v_pk_fma_f32 v[118:119], v[130:131], v[118:119], v[152:153] neg_lo:[0,0,1] neg_hi:[0,0,1]
	v_mov_b32_e32 v154, v125
	v_pk_fma_f32 v[152:153], v[134:135], v[122:123], v[158:159] op_sel_hi:[1,0,1]
	v_mov_b32_e32 v119, v161
	v_pk_fma_f32 v[130:131], v[132:133], v[120:121], v[148:149] op_sel_hi:[1,0,1]
	v_pk_fma_f32 v[120:121], v[132:133], v[120:121], v[148:149] neg_lo:[0,0,1] neg_hi:[0,0,1]
	v_pk_mul_f32 v[150:151], v[150:151], v[154:155] op_sel_hi:[1,0]
	v_pk_fma_f32 v[122:123], v[134:135], v[122:123], v[158:159] neg_lo:[0,0,1] neg_hi:[0,0,1]
	v_pk_add_f32 v[118:119], v[118:119], 0 op_sel_hi:[1,0]
	v_dual_mov_b32 v121, v131 :: v_dual_mov_b32 v130, v129
	s_delay_alu instid0(VALU_DEP_4) | instskip(SKIP_2) | instid1(VALU_DEP_4)
	v_pk_fma_f32 v[132:133], v[136:137], v[124:125], v[150:151] op_sel_hi:[1,0,1]
	v_mov_b32_e32 v123, v153
	v_pk_fma_f32 v[124:125], v[136:137], v[124:125], v[150:151] neg_lo:[0,0,1] neg_hi:[0,0,1]
	v_pk_add_f32 v[118:119], v[118:119], v[120:121]
	v_pk_fma_f32 v[120:121], v[138:139], v[126:127], v[162:163] op_sel_hi:[1,0,1]
	v_pk_mul_f32 v[130:131], v[156:157], v[130:131] op_sel_hi:[1,0]
	v_mov_b32_e32 v125, v133
	s_delay_alu instid0(VALU_DEP_4)
	v_pk_add_f32 v[118:119], v[118:119], v[122:123]
	v_pk_fma_f32 v[122:123], v[138:139], v[126:127], v[162:163] neg_lo:[0,0,1] neg_hi:[0,0,1]
	v_mov_b32_e32 v123, v121
	v_pk_fma_f32 v[120:121], v[140:141], v[128:129], v[130:131] op_sel_hi:[1,0,1]
	v_pk_fma_f32 v[126:127], v[140:141], v[128:129], v[130:131] neg_lo:[0,0,1] neg_hi:[0,0,1]
	v_pk_add_f32 v[118:119], v[118:119], v[124:125]
	s_wait_loadcnt_dscnt 0x100
	v_pk_mul_f32 v[124:125], v[146:147], v[142:143] op_sel:[1,1] op_sel_hi:[0,1]
	v_mov_b32_e32 v127, v121
	s_delay_alu instid0(VALU_DEP_3) | instskip(NEXT) | instid1(VALU_DEP_3)
	v_pk_add_f32 v[118:119], v[118:119], v[122:123]
	v_pk_fma_f32 v[120:121], v[146:147], v[142:143], v[124:125] op_sel_hi:[1,0,1]
	v_pk_fma_f32 v[122:123], v[146:147], v[142:143], v[124:125] neg_lo:[0,0,1] neg_hi:[0,0,1]
	s_delay_alu instid0(VALU_DEP_3) | instskip(NEXT) | instid1(VALU_DEP_3)
	v_pk_add_f32 v[118:119], v[118:119], v[126:127]
	v_mov_b32_e32 v123, v121
	s_delay_alu instid0(VALU_DEP_1) | instskip(SKIP_1) | instid1(VALU_DEP_1)
	v_pk_add_f32 v[118:119], v[118:119], v[122:123]
	s_wait_loadcnt 0x0
	v_pk_add_f32 v[118:119], v[144:145], v[118:119] neg_lo:[0,1] neg_hi:[0,1]
	scratch_store_b64 off, v[118:119], off offset:400
	s_wait_xcnt 0x0
	v_cmpx_lt_u32_e32 49, v0
	s_cbranch_execz .LBB121_263
; %bb.262:
	scratch_load_b64 v[118:119], off, off offset:392
	v_mov_b64_e32 v[120:121], 0
	scratch_store_b64 off, v[120:121], off offset:392
	s_wait_loadcnt 0x0
	ds_store_b64 v1, v[118:119]
.LBB121_263:
	s_wait_xcnt 0x0
	s_or_b32 exec_lo, exec_lo, s0
	s_wait_storecnt_dscnt 0x0
	s_barrier_signal -1
	s_barrier_wait -1
	s_clause 0x4
	scratch_load_b128 v[118:121], off, off offset:400
	scratch_load_b128 v[122:125], off, off offset:416
	;; [unrolled: 1-line block ×4, first 2 shown]
	scratch_load_b64 v[150:151], off, off offset:392
	ds_load_b128 v[134:137], v7 offset:864
	ds_load_b128 v[138:141], v7 offset:880
	;; [unrolled: 1-line block ×4, first 2 shown]
	s_mov_b32 s0, exec_lo
	s_wait_dscnt 0x3
	v_dual_mov_b32 v152, v137 :: v_dual_mov_b32 v153, v136
	s_wait_dscnt 0x2
	v_dual_mov_b32 v154, v141 :: v_dual_mov_b32 v155, v140
	;; [unrolled: 2-line block ×3, first 2 shown]
	v_dual_mov_b32 v157, v144 :: v_dual_mov_b32 v162, v149
	s_wait_loadcnt 0x4
	v_mov_b32_e32 v160, v121
	v_pk_mul_f32 v[158:159], v[134:135], v[118:119] op_sel:[1,1] op_sel_hi:[0,1]
	s_wait_loadcnt 0x3
	v_pk_mul_f32 v[164:165], v[138:139], v[122:123] op_sel:[1,1] op_sel_hi:[0,1]
	s_wait_loadcnt 0x2
	v_pk_mul_f32 v[168:169], v[142:143], v[126:127] op_sel:[1,1] op_sel_hi:[0,1]
	v_pk_mul_f32 v[152:153], v[152:153], v[160:161] op_sel_hi:[1,0]
	v_pk_fma_f32 v[166:167], v[134:135], v[118:119], v[158:159] op_sel_hi:[1,0,1]
	v_pk_fma_f32 v[118:119], v[134:135], v[118:119], v[158:159] neg_lo:[0,0,1] neg_hi:[0,0,1]
	v_mov_b32_e32 v160, v125
	v_pk_fma_f32 v[158:159], v[138:139], v[122:123], v[164:165] op_sel_hi:[1,0,1]
	v_pk_fma_f32 v[134:135], v[136:137], v[120:121], v[152:153] op_sel_hi:[1,0,1]
	v_mov_b32_e32 v119, v167
	v_pk_fma_f32 v[120:121], v[136:137], v[120:121], v[152:153] neg_lo:[0,0,1] neg_hi:[0,0,1]
	v_pk_mul_f32 v[154:155], v[154:155], v[160:161] op_sel_hi:[1,0]
	s_delay_alu instid0(VALU_DEP_4) | instskip(NEXT) | instid1(VALU_DEP_4)
	v_dual_mov_b32 v134, v129 :: v_dual_mov_b32 v121, v135
	v_pk_add_f32 v[118:119], v[118:119], 0 op_sel_hi:[1,0]
	v_pk_fma_f32 v[122:123], v[138:139], v[122:123], v[164:165] neg_lo:[0,0,1] neg_hi:[0,0,1]
	v_mov_b32_e32 v123, v159
	v_pk_fma_f32 v[136:137], v[140:141], v[124:125], v[154:155] op_sel_hi:[1,0,1]
	v_pk_mul_f32 v[134:135], v[156:157], v[134:135] op_sel_hi:[1,0]
	v_pk_add_f32 v[118:119], v[118:119], v[120:121]
	v_pk_fma_f32 v[120:121], v[142:143], v[126:127], v[168:169] op_sel_hi:[1,0,1]
	v_pk_fma_f32 v[124:125], v[140:141], v[124:125], v[154:155] neg_lo:[0,0,1] neg_hi:[0,0,1]
	v_mov_b32_e32 v125, v137
	v_pk_fma_f32 v[126:127], v[142:143], v[126:127], v[168:169] neg_lo:[0,0,1] neg_hi:[0,0,1]
	v_pk_add_f32 v[118:119], v[118:119], v[122:123]
	v_mov_b32_e32 v127, v121
	v_pk_fma_f32 v[120:121], v[144:145], v[128:129], v[134:135] op_sel_hi:[1,0,1]
	s_wait_loadcnt 0x1
	v_pk_mul_f32 v[122:123], v[146:147], v[130:131] op_sel:[1,1] op_sel_hi:[0,1]
	v_mov_b32_e32 v120, v133
	v_pk_add_f32 v[118:119], v[118:119], v[124:125]
	v_pk_fma_f32 v[128:129], v[144:145], v[128:129], v[134:135] neg_lo:[0,0,1] neg_hi:[0,0,1]
	v_mov_b32_e32 v129, v121
	v_pk_fma_f32 v[124:125], v[146:147], v[130:131], v[122:123] op_sel_hi:[1,0,1]
	v_pk_mul_f32 v[120:121], v[162:163], v[120:121] op_sel_hi:[1,0]
	v_pk_add_f32 v[118:119], v[118:119], v[126:127]
	v_pk_fma_f32 v[122:123], v[146:147], v[130:131], v[122:123] neg_lo:[0,0,1] neg_hi:[0,0,1]
	s_delay_alu instid0(VALU_DEP_4) | instskip(NEXT) | instid1(VALU_DEP_4)
	v_mov_b32_e32 v123, v125
	v_pk_fma_f32 v[124:125], v[148:149], v[132:133], v[120:121] op_sel_hi:[1,0,1]
	s_delay_alu instid0(VALU_DEP_4) | instskip(SKIP_1) | instid1(VALU_DEP_3)
	v_pk_add_f32 v[118:119], v[118:119], v[128:129]
	v_pk_fma_f32 v[120:121], v[148:149], v[132:133], v[120:121] neg_lo:[0,0,1] neg_hi:[0,0,1]
	v_mov_b32_e32 v121, v125
	s_delay_alu instid0(VALU_DEP_3) | instskip(NEXT) | instid1(VALU_DEP_1)
	v_pk_add_f32 v[118:119], v[118:119], v[122:123]
	v_pk_add_f32 v[118:119], v[118:119], v[120:121]
	s_wait_loadcnt 0x0
	s_delay_alu instid0(VALU_DEP_1)
	v_pk_add_f32 v[118:119], v[150:151], v[118:119] neg_lo:[0,1] neg_hi:[0,1]
	scratch_store_b64 off, v[118:119], off offset:392
	s_wait_xcnt 0x0
	v_cmpx_lt_u32_e32 48, v0
	s_cbranch_execz .LBB121_265
; %bb.264:
	scratch_load_b64 v[118:119], off, off offset:384
	v_mov_b64_e32 v[120:121], 0
	scratch_store_b64 off, v[120:121], off offset:384
	s_wait_loadcnt 0x0
	ds_store_b64 v1, v[118:119]
.LBB121_265:
	s_wait_xcnt 0x0
	s_or_b32 exec_lo, exec_lo, s0
	s_wait_storecnt_dscnt 0x0
	s_barrier_signal -1
	s_barrier_wait -1
	s_clause 0x5
	scratch_load_b128 v[118:121], off, off offset:392
	scratch_load_b128 v[122:125], off, off offset:408
	;; [unrolled: 1-line block ×4, first 2 shown]
	scratch_load_b64 v[150:151], off, off offset:456
	scratch_load_b64 v[152:153], off, off offset:384
	v_mov_b32_e32 v7, 0
	ds_load_2addr_b64 v[134:137], v7 offset0:107 offset1:108
	ds_load_2addr_b64 v[138:141], v7 offset0:109 offset1:110
	;; [unrolled: 1-line block ×4, first 2 shown]
	ds_load_b64 v[154:155], v7 offset:920
	s_mov_b32 s0, exec_lo
	s_wait_dscnt 0x4
	v_dual_mov_b32 v156, v137 :: v_dual_mov_b32 v157, v136
	s_wait_dscnt 0x1
	v_dual_mov_b32 v158, v141 :: v_dual_mov_b32 v163, v148
	v_dual_mov_b32 v159, v140 :: v_dual_mov_b32 v160, v145
	;; [unrolled: 1-line block ×3, first 2 shown]
	s_wait_loadcnt 0x5
	v_dual_mov_b32 v164, v121 :: v_dual_mul_f32 v165, v134, v119
	v_mul_f32_e32 v9, v135, v119
	s_wait_loadcnt 0x4
	v_pk_mul_f32 v[166:167], v[138:139], v[122:123] op_sel:[1,1] op_sel_hi:[0,1]
	v_mov_b32_e32 v168, v125
	s_wait_loadcnt 0x3
	v_pk_mul_f32 v[170:171], v[142:143], v[126:127] op_sel:[1,1] op_sel_hi:[0,1]
	v_pk_mul_f32 v[156:157], v[156:157], v[164:165] op_sel_hi:[1,0]
	v_fmac_f32_e32 v165, v135, v118
	v_dual_fma_f32 v164, v134, v118, -v9 :: v_dual_mov_b32 v118, v129
	v_pk_fma_f32 v[172:173], v[138:139], v[122:123], v[166:167] op_sel_hi:[1,0,1]
	s_delay_alu instid0(VALU_DEP_4)
	v_pk_fma_f32 v[134:135], v[136:137], v[120:121], v[156:157] op_sel_hi:[1,0,1]
	v_pk_fma_f32 v[120:121], v[136:137], v[120:121], v[156:157] neg_lo:[0,0,1] neg_hi:[0,0,1]
	v_pk_mul_f32 v[158:159], v[158:159], v[168:169] op_sel_hi:[1,0]
	v_pk_add_f32 v[164:165], v[164:165], 0 op_sel_hi:[1,0]
	v_pk_fma_f32 v[122:123], v[138:139], v[122:123], v[166:167] neg_lo:[0,0,1] neg_hi:[0,0,1]
	v_dual_mov_b32 v121, v135 :: v_dual_mov_b32 v123, v173
	s_delay_alu instid0(VALU_DEP_4) | instskip(SKIP_2) | instid1(VALU_DEP_4)
	v_pk_fma_f32 v[136:137], v[140:141], v[124:125], v[158:159] op_sel_hi:[1,0,1]
	v_pk_fma_f32 v[124:125], v[140:141], v[124:125], v[158:159] neg_lo:[0,0,1] neg_hi:[0,0,1]
	v_pk_fma_f32 v[138:139], v[142:143], v[126:127], v[170:171] op_sel_hi:[1,0,1]
	v_pk_add_f32 v[120:121], v[164:165], v[120:121]
	v_pk_mul_f32 v[118:119], v[160:161], v[118:119] op_sel_hi:[1,0]
	v_mov_b32_e32 v125, v137
	v_pk_fma_f32 v[126:127], v[142:143], v[126:127], v[170:171] neg_lo:[0,0,1] neg_hi:[0,0,1]
	s_wait_loadcnt 0x2
	v_pk_mul_f32 v[134:135], v[146:147], v[130:131] op_sel:[1,1] op_sel_hi:[0,1]
	v_pk_add_f32 v[120:121], v[120:121], v[122:123]
	v_mov_b32_e32 v122, v133
	v_pk_fma_f32 v[136:137], v[144:145], v[128:129], v[118:119] op_sel_hi:[1,0,1]
	v_mov_b32_e32 v127, v139
	v_pk_fma_f32 v[118:119], v[144:145], v[128:129], v[118:119] neg_lo:[0,0,1] neg_hi:[0,0,1]
	v_pk_add_f32 v[120:121], v[120:121], v[124:125]
	v_pk_fma_f32 v[124:125], v[146:147], v[130:131], v[134:135] op_sel_hi:[1,0,1]
	v_pk_mul_f32 v[122:123], v[162:163], v[122:123] op_sel_hi:[1,0]
	v_mov_b32_e32 v119, v137
	s_delay_alu instid0(VALU_DEP_4)
	v_pk_add_f32 v[120:121], v[120:121], v[126:127]
	v_pk_fma_f32 v[126:127], v[146:147], v[130:131], v[134:135] neg_lo:[0,0,1] neg_hi:[0,0,1]
	v_mov_b32_e32 v127, v125
	v_pk_fma_f32 v[124:125], v[148:149], v[132:133], v[122:123] op_sel_hi:[1,0,1]
	v_pk_fma_f32 v[122:123], v[148:149], v[132:133], v[122:123] neg_lo:[0,0,1] neg_hi:[0,0,1]
	v_pk_add_f32 v[118:119], v[120:121], v[118:119]
	s_wait_loadcnt_dscnt 0x100
	v_pk_mul_f32 v[120:121], v[154:155], v[150:151] op_sel:[1,1] op_sel_hi:[0,1]
	v_mov_b32_e32 v123, v125
	s_delay_alu instid0(VALU_DEP_3) | instskip(NEXT) | instid1(VALU_DEP_3)
	v_pk_add_f32 v[118:119], v[118:119], v[126:127]
	v_pk_fma_f32 v[124:125], v[154:155], v[150:151], v[120:121] op_sel_hi:[1,0,1]
	v_pk_fma_f32 v[120:121], v[154:155], v[150:151], v[120:121] neg_lo:[0,0,1] neg_hi:[0,0,1]
	s_delay_alu instid0(VALU_DEP_3) | instskip(NEXT) | instid1(VALU_DEP_3)
	v_pk_add_f32 v[118:119], v[118:119], v[122:123]
	v_mov_b32_e32 v121, v125
	s_delay_alu instid0(VALU_DEP_1) | instskip(SKIP_1) | instid1(VALU_DEP_1)
	v_pk_add_f32 v[118:119], v[118:119], v[120:121]
	s_wait_loadcnt 0x0
	v_pk_add_f32 v[118:119], v[152:153], v[118:119] neg_lo:[0,1] neg_hi:[0,1]
	scratch_store_b64 off, v[118:119], off offset:384
	s_wait_xcnt 0x0
	v_cmpx_lt_u32_e32 47, v0
	s_cbranch_execz .LBB121_267
; %bb.266:
	scratch_load_b64 v[118:119], off, off offset:376
	v_mov_b64_e32 v[120:121], 0
	scratch_store_b64 off, v[120:121], off offset:376
	s_wait_loadcnt 0x0
	ds_store_b64 v1, v[118:119]
.LBB121_267:
	s_wait_xcnt 0x0
	s_or_b32 exec_lo, exec_lo, s0
	s_wait_storecnt_dscnt 0x0
	s_barrier_signal -1
	s_barrier_wait -1
	s_clause 0x5
	scratch_load_b128 v[118:121], off, off offset:384
	scratch_load_b128 v[122:125], off, off offset:400
	;; [unrolled: 1-line block ×5, first 2 shown]
	scratch_load_b64 v[158:159], off, off offset:376
	ds_load_b128 v[138:141], v7 offset:864
	ds_load_b128 v[142:145], v7 offset:880
	;; [unrolled: 1-line block ×5, first 2 shown]
	s_mov_b32 s0, exec_lo
	s_wait_dscnt 0x4
	v_dual_mov_b32 v160, v141 :: v_dual_mov_b32 v161, v140
	s_wait_dscnt 0x3
	v_dual_mov_b32 v162, v145 :: v_dual_mov_b32 v163, v144
	;; [unrolled: 2-line block ×4, first 2 shown]
	s_wait_loadcnt_dscnt 0x500
	v_dual_mul_f32 v169, v154, v119 :: v_dual_mul_f32 v171, v156, v121
	v_dual_mul_f32 v7, v155, v119 :: v_dual_mul_f32 v9, v157, v121
	s_wait_loadcnt 0x4
	v_pk_mul_f32 v[172:173], v[138:139], v[122:123] op_sel:[1,1] op_sel_hi:[0,1]
	s_wait_loadcnt 0x3
	v_dual_mov_b32 v174, v125 :: v_dual_mov_b32 v178, v129
	v_dual_fmac_f32 v169, v155, v118 :: v_dual_fma_f32 v168, v154, v118, -v7
	v_dual_fmac_f32 v171, v157, v120 :: v_dual_fma_f32 v170, v156, v120, -v9
	v_pk_fma_f32 v[118:119], v[138:139], v[122:123], v[172:173] op_sel_hi:[1,0,1]
	s_delay_alu instid0(VALU_DEP_4) | instskip(NEXT) | instid1(VALU_DEP_4)
	v_pk_mul_f32 v[120:121], v[160:161], v[174:175] op_sel_hi:[1,0]
	v_pk_add_f32 v[154:155], v[168:169], 0 op_sel_hi:[1,0]
	v_pk_fma_f32 v[122:123], v[138:139], v[122:123], v[172:173] neg_lo:[0,0,1] neg_hi:[0,0,1]
	v_pk_mul_f32 v[176:177], v[142:143], v[126:127] op_sel:[1,1] op_sel_hi:[0,1]
	v_mov_b32_e32 v123, v119
	v_pk_fma_f32 v[118:119], v[140:141], v[124:125], v[120:121] op_sel_hi:[1,0,1]
	v_pk_add_f32 v[138:139], v[154:155], v[170:171]
	v_pk_fma_f32 v[120:121], v[140:141], v[124:125], v[120:121] neg_lo:[0,0,1] neg_hi:[0,0,1]
	v_pk_fma_f32 v[154:155], v[142:143], v[126:127], v[176:177] op_sel_hi:[1,0,1]
	v_pk_mul_f32 v[160:161], v[162:163], v[178:179] op_sel_hi:[1,0]
	v_mov_b32_e32 v121, v119
	v_pk_add_f32 v[118:119], v[138:139], v[122:123]
	s_wait_loadcnt 0x2
	v_pk_mul_f32 v[156:157], v[146:147], v[130:131] op_sel:[1,1] op_sel_hi:[0,1]
	v_mov_b32_e32 v122, v133
	v_pk_fma_f32 v[124:125], v[142:143], v[126:127], v[176:177] neg_lo:[0,0,1] neg_hi:[0,0,1]
	v_mov_b32_e32 v125, v155
	v_pk_fma_f32 v[126:127], v[144:145], v[128:129], v[160:161] op_sel_hi:[1,0,1]
	v_pk_add_f32 v[118:119], v[118:119], v[120:121]
	v_pk_fma_f32 v[120:121], v[146:147], v[130:131], v[156:157] op_sel_hi:[1,0,1]
	v_pk_mul_f32 v[122:123], v[164:165], v[122:123] op_sel_hi:[1,0]
	v_pk_fma_f32 v[128:129], v[144:145], v[128:129], v[160:161] neg_lo:[0,0,1] neg_hi:[0,0,1]
	v_mov_b32_e32 v129, v127
	v_pk_add_f32 v[118:119], v[118:119], v[124:125]
	v_pk_fma_f32 v[126:127], v[146:147], v[130:131], v[156:157] neg_lo:[0,0,1] neg_hi:[0,0,1]
	v_mov_b32_e32 v127, v121
	v_pk_fma_f32 v[120:121], v[148:149], v[132:133], v[122:123] op_sel_hi:[1,0,1]
	s_wait_loadcnt 0x1
	v_pk_mul_f32 v[124:125], v[150:151], v[134:135] op_sel:[1,1] op_sel_hi:[0,1]
	v_pk_add_f32 v[118:119], v[118:119], v[128:129]
	v_mov_b32_e32 v120, v137
	v_pk_fma_f32 v[122:123], v[148:149], v[132:133], v[122:123] neg_lo:[0,0,1] neg_hi:[0,0,1]
	v_mov_b32_e32 v123, v121
	v_pk_fma_f32 v[128:129], v[150:151], v[134:135], v[124:125] op_sel_hi:[1,0,1]
	v_pk_add_f32 v[118:119], v[118:119], v[126:127]
	v_pk_mul_f32 v[120:121], v[166:167], v[120:121] op_sel_hi:[1,0]
	v_pk_fma_f32 v[124:125], v[150:151], v[134:135], v[124:125] neg_lo:[0,0,1] neg_hi:[0,0,1]
	s_delay_alu instid0(VALU_DEP_3) | instskip(NEXT) | instid1(VALU_DEP_3)
	v_pk_add_f32 v[118:119], v[118:119], v[122:123]
	v_pk_fma_f32 v[122:123], v[152:153], v[136:137], v[120:121] op_sel_hi:[1,0,1]
	v_mov_b32_e32 v125, v129
	v_pk_fma_f32 v[120:121], v[152:153], v[136:137], v[120:121] neg_lo:[0,0,1] neg_hi:[0,0,1]
	s_delay_alu instid0(VALU_DEP_3) | instskip(NEXT) | instid1(VALU_DEP_3)
	v_mov_b32_e32 v121, v123
	v_pk_add_f32 v[118:119], v[118:119], v[124:125]
	s_delay_alu instid0(VALU_DEP_1) | instskip(SKIP_1) | instid1(VALU_DEP_1)
	v_pk_add_f32 v[118:119], v[118:119], v[120:121]
	s_wait_loadcnt 0x0
	v_pk_add_f32 v[118:119], v[158:159], v[118:119] neg_lo:[0,1] neg_hi:[0,1]
	scratch_store_b64 off, v[118:119], off offset:376
	s_wait_xcnt 0x0
	v_cmpx_lt_u32_e32 46, v0
	s_cbranch_execz .LBB121_269
; %bb.268:
	scratch_load_b64 v[118:119], off, off offset:368
	v_mov_b64_e32 v[120:121], 0
	scratch_store_b64 off, v[120:121], off offset:368
	s_wait_loadcnt 0x0
	ds_store_b64 v1, v[118:119]
.LBB121_269:
	s_wait_xcnt 0x0
	s_or_b32 exec_lo, exec_lo, s0
	s_wait_storecnt_dscnt 0x0
	s_barrier_signal -1
	s_barrier_wait -1
	s_clause 0x6
	scratch_load_b128 v[118:121], off, off offset:376
	scratch_load_b128 v[122:125], off, off offset:392
	scratch_load_b128 v[126:129], off, off offset:408
	scratch_load_b128 v[130:133], off, off offset:424
	scratch_load_b128 v[134:137], off, off offset:440
	scratch_load_b64 v[158:159], off, off offset:456
	scratch_load_b64 v[160:161], off, off offset:368
	v_mov_b32_e32 v7, 0
	ds_load_2addr_b64 v[138:141], v7 offset0:107 offset1:108
	ds_load_2addr_b64 v[142:145], v7 offset0:109 offset1:110
	;; [unrolled: 1-line block ×5, first 2 shown]
	ds_load_b64 v[162:163], v7 offset:920
	s_mov_b32 s0, exec_lo
	s_wait_dscnt 0x5
	v_dual_mov_b32 v164, v141 :: v_dual_mov_b32 v165, v140
	s_wait_dscnt 0x2
	v_dual_mov_b32 v166, v145 :: v_dual_mov_b32 v171, v152
	v_dual_mov_b32 v167, v144 :: v_dual_mov_b32 v168, v149
	;; [unrolled: 1-line block ×3, first 2 shown]
	s_wait_loadcnt_dscnt 0x601
	v_dual_mul_f32 v9, v154, v119 :: v_dual_mul_f32 v11, v155, v119
	v_dual_mul_f32 v13, v157, v121 :: v_dual_mul_f32 v173, v156, v121
	s_wait_loadcnt 0x5
	v_dual_mul_f32 v175, v138, v123 :: v_dual_mul_f32 v15, v139, v123
	s_wait_loadcnt 0x4
	v_dual_mov_b32 v174, v125 :: v_dual_mov_b32 v178, v129
	v_dual_fmac_f32 v9, v155, v118 :: v_dual_fma_f32 v11, v154, v118, -v11
	v_fmac_f32_e32 v173, v157, v120
	v_pk_mul_f32 v[176:177], v[142:143], v[126:127] op_sel:[1,1] op_sel_hi:[0,1]
	s_delay_alu instid0(VALU_DEP_3)
	v_dual_fma_f32 v172, v156, v120, -v13 :: v_dual_add_f32 v121, 0, v9
	v_pk_mul_f32 v[118:119], v[164:165], v[174:175] op_sel_hi:[1,0]
	s_wait_loadcnt 0x3
	v_dual_add_f32 v120, 0, v11 :: v_dual_mov_b32 v154, v133
	v_fmac_f32_e32 v175, v139, v122
	v_fma_f32 v174, v138, v122, -v15
	v_pk_fma_f32 v[122:123], v[140:141], v[124:125], v[118:119] op_sel_hi:[1,0,1]
	s_delay_alu instid0(VALU_DEP_4) | instskip(SKIP_4) | instid1(VALU_DEP_4)
	v_pk_add_f32 v[120:121], v[120:121], v[172:173]
	v_pk_fma_f32 v[138:139], v[142:143], v[126:127], v[176:177] op_sel_hi:[1,0,1]
	v_pk_fma_f32 v[118:119], v[140:141], v[124:125], v[118:119] neg_lo:[0,0,1] neg_hi:[0,0,1]
	v_pk_fma_f32 v[124:125], v[142:143], v[126:127], v[176:177] neg_lo:[0,0,1] neg_hi:[0,0,1]
	v_pk_mul_f32 v[156:157], v[166:167], v[178:179] op_sel_hi:[1,0]
	v_dual_mov_b32 v119, v123 :: v_dual_mov_b32 v125, v139
	v_pk_add_f32 v[120:121], v[120:121], v[174:175]
	v_pk_mul_f32 v[180:181], v[146:147], v[130:131] op_sel:[1,1] op_sel_hi:[0,1]
	s_delay_alu instid0(VALU_DEP_4)
	v_pk_fma_f32 v[126:127], v[144:145], v[128:129], v[156:157] op_sel_hi:[1,0,1]
	v_pk_fma_f32 v[128:129], v[144:145], v[128:129], v[156:157] neg_lo:[0,0,1] neg_hi:[0,0,1]
	v_pk_mul_f32 v[138:139], v[168:169], v[154:155] op_sel_hi:[1,0]
	v_pk_add_f32 v[118:119], v[120:121], v[118:119]
	v_pk_fma_f32 v[120:121], v[146:147], v[130:131], v[180:181] op_sel_hi:[1,0,1]
	s_wait_loadcnt 0x2
	v_dual_mov_b32 v129, v127 :: v_dual_mov_b32 v120, v137
	v_pk_mul_f32 v[122:123], v[150:151], v[134:135] op_sel:[1,1] op_sel_hi:[0,1]
	v_pk_add_f32 v[118:119], v[118:119], v[124:125]
	v_pk_fma_f32 v[124:125], v[146:147], v[130:131], v[180:181] neg_lo:[0,0,1] neg_hi:[0,0,1]
	v_pk_fma_f32 v[126:127], v[148:149], v[132:133], v[138:139] op_sel_hi:[1,0,1]
	v_mov_b32_e32 v125, v121
	v_pk_fma_f32 v[130:131], v[148:149], v[132:133], v[138:139] neg_lo:[0,0,1] neg_hi:[0,0,1]
	v_pk_add_f32 v[118:119], v[118:119], v[128:129]
	v_pk_fma_f32 v[128:129], v[150:151], v[134:135], v[122:123] op_sel_hi:[1,0,1]
	v_pk_mul_f32 v[120:121], v[170:171], v[120:121] op_sel_hi:[1,0]
	v_mov_b32_e32 v131, v127
	v_pk_fma_f32 v[122:123], v[150:151], v[134:135], v[122:123] neg_lo:[0,0,1] neg_hi:[0,0,1]
	v_pk_add_f32 v[118:119], v[118:119], v[124:125]
	s_wait_loadcnt_dscnt 0x100
	v_pk_mul_f32 v[126:127], v[162:163], v[158:159] op_sel:[1,1] op_sel_hi:[0,1]
	v_pk_fma_f32 v[124:125], v[152:153], v[136:137], v[120:121] op_sel_hi:[1,0,1]
	v_mov_b32_e32 v123, v129
	v_pk_fma_f32 v[120:121], v[152:153], v[136:137], v[120:121] neg_lo:[0,0,1] neg_hi:[0,0,1]
	v_pk_add_f32 v[118:119], v[118:119], v[130:131]
	s_delay_alu instid0(VALU_DEP_4) | instskip(SKIP_1) | instid1(VALU_DEP_3)
	v_mov_b32_e32 v121, v125
	v_pk_fma_f32 v[124:125], v[162:163], v[158:159], v[126:127] neg_lo:[0,0,1] neg_hi:[0,0,1]
	v_pk_add_f32 v[118:119], v[118:119], v[122:123]
	v_pk_fma_f32 v[122:123], v[162:163], v[158:159], v[126:127] op_sel_hi:[1,0,1]
	s_delay_alu instid0(VALU_DEP_2) | instskip(NEXT) | instid1(VALU_DEP_2)
	v_pk_add_f32 v[118:119], v[118:119], v[120:121]
	v_mov_b32_e32 v125, v123
	s_delay_alu instid0(VALU_DEP_1) | instskip(SKIP_1) | instid1(VALU_DEP_1)
	v_pk_add_f32 v[118:119], v[118:119], v[124:125]
	s_wait_loadcnt 0x0
	v_pk_add_f32 v[118:119], v[160:161], v[118:119] neg_lo:[0,1] neg_hi:[0,1]
	scratch_store_b64 off, v[118:119], off offset:368
	s_wait_xcnt 0x0
	v_cmpx_lt_u32_e32 45, v0
	s_cbranch_execz .LBB121_271
; %bb.270:
	scratch_load_b64 v[118:119], off, off offset:360
	v_mov_b64_e32 v[120:121], 0
	scratch_store_b64 off, v[120:121], off offset:360
	s_wait_loadcnt 0x0
	ds_store_b64 v1, v[118:119]
.LBB121_271:
	s_wait_xcnt 0x0
	s_or_b32 exec_lo, exec_lo, s0
	s_wait_storecnt_dscnt 0x0
	s_barrier_signal -1
	s_barrier_wait -1
	s_clause 0x6
	scratch_load_b128 v[118:121], off, off offset:368
	scratch_load_b128 v[122:125], off, off offset:384
	;; [unrolled: 1-line block ×6, first 2 shown]
	scratch_load_b64 v[166:167], off, off offset:360
	ds_load_b128 v[142:145], v7 offset:864
	ds_load_b128 v[146:149], v7 offset:880
	;; [unrolled: 1-line block ×6, first 2 shown]
	s_mov_b32 s0, exec_lo
	s_wait_dscnt 0x5
	v_dual_mov_b32 v168, v145 :: v_dual_mov_b32 v169, v144
	s_wait_dscnt 0x4
	v_dual_mov_b32 v170, v149 :: v_dual_mov_b32 v171, v148
	;; [unrolled: 2-line block ×4, first 2 shown]
	s_wait_loadcnt_dscnt 0x601
	v_dual_mul_f32 v7, v158, v119 :: v_dual_mul_f32 v9, v160, v121
	v_dual_mul_f32 v11, v159, v119 :: v_dual_mul_f32 v13, v161, v121
	s_wait_loadcnt 0x4
	s_delay_alu instid0(VALU_DEP_2)
	v_dual_mov_b32 v182, v129 :: v_dual_fmac_f32 v7, v159, v118
	s_wait_dscnt 0x0
	v_dual_mul_f32 v177, v162, v123 :: v_dual_mul_f32 v179, v164, v125
	v_dual_fma_f32 v11, v158, v118, -v11 :: v_dual_fmac_f32 v9, v161, v120
	v_dual_mul_f32 v15, v163, v123 :: v_dual_mul_f32 v17, v165, v125
	v_dual_fma_f32 v13, v160, v120, -v13 :: v_dual_add_f32 v7, 0, v7
	s_wait_loadcnt 0x3
	s_delay_alu instid0(VALU_DEP_3) | instskip(SKIP_3) | instid1(VALU_DEP_4)
	v_dual_add_f32 v11, 0, v11 :: v_dual_mov_b32 v120, v133
	v_pk_mul_f32 v[180:181], v[142:143], v[126:127] op_sel:[1,1] op_sel_hi:[0,1]
	v_dual_fmac_f32 v177, v163, v122 :: v_dual_fma_f32 v176, v162, v122, -v15
	v_dual_add_f32 v123, v7, v9 :: v_dual_fmac_f32 v179, v165, v124
	v_dual_add_f32 v122, v11, v13 :: v_dual_fma_f32 v178, v164, v124, -v17
	s_delay_alu instid0(VALU_DEP_4) | instskip(SKIP_2) | instid1(VALU_DEP_4)
	v_pk_fma_f32 v[124:125], v[142:143], v[126:127], v[180:181] op_sel_hi:[1,0,1]
	v_pk_mul_f32 v[158:159], v[168:169], v[182:183] op_sel_hi:[1,0]
	v_pk_fma_f32 v[126:127], v[142:143], v[126:127], v[180:181] neg_lo:[0,0,1] neg_hi:[0,0,1]
	v_pk_add_f32 v[122:123], v[122:123], v[176:177]
	v_pk_mul_f32 v[118:119], v[146:147], v[130:131] op_sel:[1,1] op_sel_hi:[0,1]
	v_mov_b32_e32 v127, v125
	v_pk_fma_f32 v[124:125], v[144:145], v[128:129], v[158:159] op_sel_hi:[1,0,1]
	v_pk_fma_f32 v[128:129], v[144:145], v[128:129], v[158:159] neg_lo:[0,0,1] neg_hi:[0,0,1]
	v_pk_add_f32 v[122:123], v[122:123], v[178:179]
	v_pk_fma_f32 v[142:143], v[146:147], v[130:131], v[118:119] op_sel_hi:[1,0,1]
	v_pk_mul_f32 v[120:121], v[170:171], v[120:121] op_sel_hi:[1,0]
	v_mov_b32_e32 v129, v125
	v_pk_fma_f32 v[118:119], v[146:147], v[130:131], v[118:119] neg_lo:[0,0,1] neg_hi:[0,0,1]
	v_pk_add_f32 v[122:123], v[122:123], v[126:127]
	s_wait_loadcnt 0x2
	v_pk_mul_f32 v[160:161], v[150:151], v[134:135] op_sel:[1,1] op_sel_hi:[0,1]
	v_dual_mov_b32 v124, v137 :: v_dual_mov_b32 v119, v143
	v_pk_fma_f32 v[126:127], v[148:149], v[132:133], v[120:121] op_sel_hi:[1,0,1]
	v_pk_add_f32 v[122:123], v[122:123], v[128:129]
	v_pk_fma_f32 v[120:121], v[148:149], v[132:133], v[120:121] neg_lo:[0,0,1] neg_hi:[0,0,1]
	v_pk_fma_f32 v[128:129], v[150:151], v[134:135], v[160:161] op_sel_hi:[1,0,1]
	v_pk_mul_f32 v[124:125], v[172:173], v[124:125] op_sel_hi:[1,0]
	v_mov_b32_e32 v121, v127
	v_pk_add_f32 v[118:119], v[122:123], v[118:119]
	v_pk_fma_f32 v[126:127], v[150:151], v[134:135], v[160:161] neg_lo:[0,0,1] neg_hi:[0,0,1]
	s_wait_loadcnt 0x1
	v_pk_mul_f32 v[122:123], v[154:155], v[138:139] op_sel:[1,1] op_sel_hi:[0,1]
	v_mov_b32_e32 v127, v129
	v_pk_fma_f32 v[128:129], v[152:153], v[136:137], v[124:125] op_sel_hi:[1,0,1]
	v_pk_add_f32 v[118:119], v[118:119], v[120:121]
	v_mov_b32_e32 v120, v141
	v_pk_fma_f32 v[124:125], v[152:153], v[136:137], v[124:125] neg_lo:[0,0,1] neg_hi:[0,0,1]
	v_pk_fma_f32 v[130:131], v[154:155], v[138:139], v[122:123] op_sel_hi:[1,0,1]
	v_mov_b32_e32 v125, v129
	v_pk_add_f32 v[118:119], v[118:119], v[126:127]
	v_pk_mul_f32 v[120:121], v[174:175], v[120:121] op_sel_hi:[1,0]
	v_pk_fma_f32 v[122:123], v[154:155], v[138:139], v[122:123] neg_lo:[0,0,1] neg_hi:[0,0,1]
	s_delay_alu instid0(VALU_DEP_3) | instskip(NEXT) | instid1(VALU_DEP_3)
	v_pk_add_f32 v[118:119], v[118:119], v[124:125]
	v_pk_fma_f32 v[124:125], v[156:157], v[140:141], v[120:121] op_sel_hi:[1,0,1]
	v_mov_b32_e32 v123, v131
	v_pk_fma_f32 v[120:121], v[156:157], v[140:141], v[120:121] neg_lo:[0,0,1] neg_hi:[0,0,1]
	s_delay_alu instid0(VALU_DEP_3) | instskip(NEXT) | instid1(VALU_DEP_3)
	v_mov_b32_e32 v121, v125
	v_pk_add_f32 v[118:119], v[118:119], v[122:123]
	s_delay_alu instid0(VALU_DEP_1) | instskip(SKIP_1) | instid1(VALU_DEP_1)
	v_pk_add_f32 v[118:119], v[118:119], v[120:121]
	s_wait_loadcnt 0x0
	v_pk_add_f32 v[118:119], v[166:167], v[118:119] neg_lo:[0,1] neg_hi:[0,1]
	scratch_store_b64 off, v[118:119], off offset:360
	s_wait_xcnt 0x0
	v_cmpx_lt_u32_e32 44, v0
	s_cbranch_execz .LBB121_273
; %bb.272:
	scratch_load_b64 v[118:119], off, off offset:352
	v_mov_b64_e32 v[120:121], 0
	scratch_store_b64 off, v[120:121], off offset:352
	s_wait_loadcnt 0x0
	ds_store_b64 v1, v[118:119]
.LBB121_273:
	s_wait_xcnt 0x0
	s_or_b32 exec_lo, exec_lo, s0
	s_wait_storecnt_dscnt 0x0
	s_barrier_signal -1
	s_barrier_wait -1
	s_clause 0x7
	scratch_load_b128 v[118:121], off, off offset:360
	scratch_load_b128 v[122:125], off, off offset:376
	;; [unrolled: 1-line block ×6, first 2 shown]
	scratch_load_b64 v[166:167], off, off offset:456
	scratch_load_b64 v[168:169], off, off offset:352
	v_mov_b32_e32 v7, 0
	ds_load_2addr_b64 v[142:145], v7 offset0:107 offset1:108
	ds_load_2addr_b64 v[146:149], v7 offset0:109 offset1:110
	;; [unrolled: 1-line block ×6, first 2 shown]
	ds_load_b64 v[170:171], v7 offset:920
	s_mov_b32 s0, exec_lo
	s_wait_dscnt 0x6
	v_dual_mov_b32 v172, v145 :: v_dual_mov_b32 v173, v144
	s_wait_dscnt 0x3
	v_dual_mov_b32 v174, v149 :: v_dual_mov_b32 v179, v156
	v_dual_mov_b32 v175, v148 :: v_dual_mov_b32 v176, v153
	;; [unrolled: 1-line block ×3, first 2 shown]
	s_wait_loadcnt_dscnt 0x702
	v_dual_mul_f32 v9, v158, v119 :: v_dual_mul_f32 v15, v159, v119
	v_dual_mul_f32 v17, v161, v121 :: v_dual_mul_f32 v11, v160, v121
	s_wait_loadcnt_dscnt 0x601
	s_delay_alu instid0(VALU_DEP_2) | instskip(NEXT) | instid1(VALU_DEP_3)
	v_dual_mul_f32 v13, v162, v123 :: v_dual_fmac_f32 v9, v159, v118
	v_dual_fma_f32 v15, v158, v118, -v15 :: v_dual_mul_f32 v19, v163, v123
	v_mul_f32_e32 v21, v165, v125
	s_wait_loadcnt 0x4
	v_dual_mov_b32 v118, v133 :: v_dual_fma_f32 v17, v160, v120, -v17
	v_dual_fmac_f32 v11, v161, v120 :: v_dual_add_f32 v9, 0, v9
	v_dual_add_f32 v15, 0, v15 :: v_dual_fmac_f32 v13, v163, v122
	v_dual_mul_f32 v181, v164, v125 :: v_dual_mul_f32 v183, v142, v127
	v_dual_mul_f32 v23, v143, v127 :: v_dual_mov_b32 v182, v129
	s_delay_alu instid0(VALU_DEP_4) | instskip(NEXT) | instid1(VALU_DEP_3)
	v_dual_fma_f32 v19, v162, v122, -v19 :: v_dual_add_f32 v9, v9, v11
	v_dual_add_f32 v11, v15, v17 :: v_dual_fmac_f32 v181, v165, v124
	v_pk_mul_f32 v[184:185], v[146:147], v[130:131] op_sel:[1,1] op_sel_hi:[0,1]
	s_delay_alu instid0(VALU_DEP_3)
	v_dual_fma_f32 v180, v164, v124, -v21 :: v_dual_add_f32 v125, v9, v13
	v_pk_mul_f32 v[122:123], v[172:173], v[182:183] op_sel_hi:[1,0]
	s_wait_loadcnt 0x3
	v_dual_add_f32 v124, v11, v19 :: v_dual_mov_b32 v158, v137
	v_fmac_f32_e32 v183, v143, v126
	v_fma_f32 v182, v142, v126, -v23
	v_pk_fma_f32 v[126:127], v[144:145], v[128:129], v[122:123] op_sel_hi:[1,0,1]
	s_delay_alu instid0(VALU_DEP_4) | instskip(SKIP_4) | instid1(VALU_DEP_4)
	v_pk_add_f32 v[124:125], v[124:125], v[180:181]
	v_pk_fma_f32 v[142:143], v[146:147], v[130:131], v[184:185] op_sel_hi:[1,0,1]
	v_pk_fma_f32 v[122:123], v[144:145], v[128:129], v[122:123] neg_lo:[0,0,1] neg_hi:[0,0,1]
	v_pk_fma_f32 v[128:129], v[146:147], v[130:131], v[184:185] neg_lo:[0,0,1] neg_hi:[0,0,1]
	v_pk_mul_f32 v[118:119], v[174:175], v[118:119] op_sel_hi:[1,0]
	v_dual_mov_b32 v123, v127 :: v_dual_mov_b32 v129, v143
	v_pk_add_f32 v[124:125], v[124:125], v[182:183]
	v_pk_mul_f32 v[120:121], v[150:151], v[134:135] op_sel:[1,1] op_sel_hi:[0,1]
	s_delay_alu instid0(VALU_DEP_4)
	v_pk_fma_f32 v[130:131], v[148:149], v[132:133], v[118:119] op_sel_hi:[1,0,1]
	v_pk_fma_f32 v[118:119], v[148:149], v[132:133], v[118:119] neg_lo:[0,0,1] neg_hi:[0,0,1]
	v_pk_mul_f32 v[142:143], v[176:177], v[158:159] op_sel_hi:[1,0]
	v_pk_add_f32 v[122:123], v[124:125], v[122:123]
	v_pk_fma_f32 v[124:125], v[150:151], v[134:135], v[120:121] op_sel_hi:[1,0,1]
	s_wait_loadcnt 0x2
	v_dual_mov_b32 v119, v131 :: v_dual_mov_b32 v124, v141
	v_pk_fma_f32 v[120:121], v[150:151], v[134:135], v[120:121] neg_lo:[0,0,1] neg_hi:[0,0,1]
	v_pk_add_f32 v[122:123], v[122:123], v[128:129]
	v_pk_mul_f32 v[126:127], v[154:155], v[138:139] op_sel:[1,1] op_sel_hi:[0,1]
	v_pk_fma_f32 v[128:129], v[152:153], v[136:137], v[142:143] op_sel_hi:[1,0,1]
	v_mov_b32_e32 v121, v125
	v_pk_fma_f32 v[130:131], v[152:153], v[136:137], v[142:143] neg_lo:[0,0,1] neg_hi:[0,0,1]
	v_pk_add_f32 v[118:119], v[122:123], v[118:119]
	v_pk_fma_f32 v[122:123], v[154:155], v[138:139], v[126:127] op_sel_hi:[1,0,1]
	v_pk_mul_f32 v[124:125], v[178:179], v[124:125] op_sel_hi:[1,0]
	v_mov_b32_e32 v131, v129
	s_delay_alu instid0(VALU_DEP_4)
	v_pk_add_f32 v[118:119], v[118:119], v[120:121]
	v_pk_fma_f32 v[120:121], v[154:155], v[138:139], v[126:127] neg_lo:[0,0,1] neg_hi:[0,0,1]
	v_mov_b32_e32 v121, v123
	v_pk_fma_f32 v[122:123], v[156:157], v[140:141], v[124:125] op_sel_hi:[1,0,1]
	s_wait_loadcnt_dscnt 0x100
	v_pk_mul_f32 v[126:127], v[170:171], v[166:167] op_sel:[1,1] op_sel_hi:[0,1]
	v_pk_add_f32 v[118:119], v[118:119], v[130:131]
	v_pk_fma_f32 v[124:125], v[156:157], v[140:141], v[124:125] neg_lo:[0,0,1] neg_hi:[0,0,1]
	v_mov_b32_e32 v125, v123
	s_delay_alu instid0(VALU_DEP_4) | instskip(NEXT) | instid1(VALU_DEP_4)
	v_pk_fma_f32 v[122:123], v[170:171], v[166:167], v[126:127] neg_lo:[0,0,1] neg_hi:[0,0,1]
	v_pk_add_f32 v[118:119], v[118:119], v[120:121]
	v_pk_fma_f32 v[120:121], v[170:171], v[166:167], v[126:127] op_sel_hi:[1,0,1]
	s_delay_alu instid0(VALU_DEP_2) | instskip(NEXT) | instid1(VALU_DEP_2)
	v_pk_add_f32 v[118:119], v[118:119], v[124:125]
	v_mov_b32_e32 v123, v121
	s_delay_alu instid0(VALU_DEP_1) | instskip(SKIP_1) | instid1(VALU_DEP_1)
	v_pk_add_f32 v[118:119], v[118:119], v[122:123]
	s_wait_loadcnt 0x0
	v_pk_add_f32 v[118:119], v[168:169], v[118:119] neg_lo:[0,1] neg_hi:[0,1]
	scratch_store_b64 off, v[118:119], off offset:352
	s_wait_xcnt 0x0
	v_cmpx_lt_u32_e32 43, v0
	s_cbranch_execz .LBB121_275
; %bb.274:
	scratch_load_b64 v[118:119], off, off offset:344
	v_mov_b64_e32 v[120:121], 0
	scratch_store_b64 off, v[120:121], off offset:344
	s_wait_loadcnt 0x0
	ds_store_b64 v1, v[118:119]
.LBB121_275:
	s_wait_xcnt 0x0
	s_or_b32 exec_lo, exec_lo, s0
	s_wait_storecnt_dscnt 0x0
	s_barrier_signal -1
	s_barrier_wait -1
	s_clause 0x7
	scratch_load_b128 v[118:121], off, off offset:352
	scratch_load_b128 v[122:125], off, off offset:368
	;; [unrolled: 1-line block ×7, first 2 shown]
	scratch_load_b64 v[174:175], off, off offset:344
	ds_load_b128 v[146:149], v7 offset:864
	ds_load_b128 v[150:153], v7 offset:880
	;; [unrolled: 1-line block ×7, first 2 shown]
	s_mov_b32 s0, exec_lo
	s_wait_dscnt 0x6
	v_dual_mov_b32 v176, v149 :: v_dual_mov_b32 v177, v148
	s_wait_dscnt 0x5
	v_dual_mov_b32 v178, v153 :: v_dual_mov_b32 v179, v152
	;; [unrolled: 2-line block ×4, first 2 shown]
	s_wait_loadcnt_dscnt 0x702
	v_dual_mul_f32 v7, v162, v119 :: v_dual_mul_f32 v9, v164, v121
	v_dual_mul_f32 v15, v163, v119 :: v_dual_mul_f32 v17, v165, v121
	s_wait_loadcnt_dscnt 0x601
	v_dual_mul_f32 v11, v166, v123 :: v_dual_mul_f32 v13, v168, v125
	s_delay_alu instid0(VALU_DEP_3) | instskip(NEXT) | instid1(VALU_DEP_3)
	v_dual_fmac_f32 v7, v163, v118 :: v_dual_fmac_f32 v9, v165, v120
	v_dual_fma_f32 v15, v162, v118, -v15 :: v_dual_fma_f32 v17, v164, v120, -v17
	v_dual_mul_f32 v19, v167, v123 :: v_dual_mul_f32 v21, v169, v125
	s_wait_loadcnt 0x4
	s_delay_alu instid0(VALU_DEP_3) | instskip(NEXT) | instid1(VALU_DEP_3)
	v_dual_add_f32 v7, 0, v7 :: v_dual_mov_b32 v120, v133
	v_dual_add_f32 v15, 0, v15 :: v_dual_fmac_f32 v11, v167, v122
	s_delay_alu instid0(VALU_DEP_2) | instskip(SKIP_2) | instid1(VALU_DEP_3)
	v_dual_fma_f32 v19, v166, v122, -v19 :: v_dual_add_f32 v7, v7, v9
	s_wait_dscnt 0x0
	v_dual_mul_f32 v185, v170, v127 :: v_dual_mul_f32 v187, v172, v129
	v_dual_add_f32 v9, v15, v17 :: v_dual_fmac_f32 v13, v169, v124
	v_dual_mul_f32 v23, v171, v127 :: v_dual_mul_f32 v25, v173, v129
	v_dual_fma_f32 v15, v168, v124, -v21 :: v_dual_add_f32 v7, v7, v11
	s_delay_alu instid0(VALU_DEP_3) | instskip(SKIP_3) | instid1(VALU_DEP_3)
	v_dual_add_f32 v9, v9, v19 :: v_dual_fmac_f32 v185, v171, v126
	v_pk_mul_f32 v[118:119], v[146:147], v[130:131] op_sel:[1,1] op_sel_hi:[0,1]
	s_wait_loadcnt 0x3
	v_dual_mov_b32 v124, v137 :: v_dual_fma_f32 v184, v170, v126, -v23
	v_dual_add_f32 v127, v7, v13 :: v_dual_add_f32 v126, v9, v15
	v_dual_fmac_f32 v187, v173, v128 :: v_dual_fma_f32 v186, v172, v128, -v25
	v_pk_fma_f32 v[128:129], v[146:147], v[130:131], v[118:119] op_sel_hi:[1,0,1]
	v_pk_mul_f32 v[120:121], v[176:177], v[120:121] op_sel_hi:[1,0]
	s_delay_alu instid0(VALU_DEP_4)
	v_pk_add_f32 v[126:127], v[126:127], v[184:185]
	v_pk_fma_f32 v[118:119], v[146:147], v[130:131], v[118:119] neg_lo:[0,0,1] neg_hi:[0,0,1]
	v_pk_mul_f32 v[122:123], v[150:151], v[134:135] op_sel:[1,1] op_sel_hi:[0,1]
	v_mov_b32_e32 v119, v129
	v_pk_fma_f32 v[128:129], v[148:149], v[132:133], v[120:121] op_sel_hi:[1,0,1]
	v_pk_add_f32 v[126:127], v[126:127], v[186:187]
	v_pk_fma_f32 v[120:121], v[148:149], v[132:133], v[120:121] neg_lo:[0,0,1] neg_hi:[0,0,1]
	v_pk_fma_f32 v[130:131], v[150:151], v[134:135], v[122:123] op_sel_hi:[1,0,1]
	v_pk_mul_f32 v[124:125], v[178:179], v[124:125] op_sel_hi:[1,0]
	v_mov_b32_e32 v121, v129
	v_pk_add_f32 v[118:119], v[126:127], v[118:119]
	s_wait_loadcnt 0x2
	v_pk_mul_f32 v[162:163], v[154:155], v[138:139] op_sel:[1,1] op_sel_hi:[0,1]
	v_mov_b32_e32 v126, v141
	v_pk_fma_f32 v[122:123], v[150:151], v[134:135], v[122:123] neg_lo:[0,0,1] neg_hi:[0,0,1]
	v_mov_b32_e32 v123, v131
	v_pk_fma_f32 v[128:129], v[152:153], v[136:137], v[124:125] op_sel_hi:[1,0,1]
	v_pk_add_f32 v[118:119], v[118:119], v[120:121]
	v_pk_fma_f32 v[120:121], v[154:155], v[138:139], v[162:163] op_sel_hi:[1,0,1]
	v_pk_mul_f32 v[126:127], v[180:181], v[126:127] op_sel_hi:[1,0]
	v_pk_fma_f32 v[124:125], v[152:153], v[136:137], v[124:125] neg_lo:[0,0,1] neg_hi:[0,0,1]
	v_mov_b32_e32 v125, v129
	v_pk_add_f32 v[118:119], v[118:119], v[122:123]
	v_pk_fma_f32 v[128:129], v[154:155], v[138:139], v[162:163] neg_lo:[0,0,1] neg_hi:[0,0,1]
	v_mov_b32_e32 v129, v121
	v_pk_fma_f32 v[120:121], v[156:157], v[140:141], v[126:127] op_sel_hi:[1,0,1]
	s_wait_loadcnt 0x1
	v_pk_mul_f32 v[122:123], v[158:159], v[142:143] op_sel:[1,1] op_sel_hi:[0,1]
	v_pk_add_f32 v[118:119], v[118:119], v[124:125]
	v_mov_b32_e32 v120, v145
	v_pk_fma_f32 v[126:127], v[156:157], v[140:141], v[126:127] neg_lo:[0,0,1] neg_hi:[0,0,1]
	v_mov_b32_e32 v127, v121
	v_pk_fma_f32 v[124:125], v[158:159], v[142:143], v[122:123] op_sel_hi:[1,0,1]
	v_pk_add_f32 v[118:119], v[118:119], v[128:129]
	v_pk_mul_f32 v[120:121], v[182:183], v[120:121] op_sel_hi:[1,0]
	v_pk_fma_f32 v[122:123], v[158:159], v[142:143], v[122:123] neg_lo:[0,0,1] neg_hi:[0,0,1]
	s_delay_alu instid0(VALU_DEP_4) | instskip(NEXT) | instid1(VALU_DEP_4)
	v_mov_b32_e32 v123, v125
	v_pk_add_f32 v[118:119], v[118:119], v[126:127]
	s_delay_alu instid0(VALU_DEP_4) | instskip(SKIP_1) | instid1(VALU_DEP_2)
	v_pk_fma_f32 v[124:125], v[160:161], v[144:145], v[120:121] op_sel_hi:[1,0,1]
	v_pk_fma_f32 v[120:121], v[160:161], v[144:145], v[120:121] neg_lo:[0,0,1] neg_hi:[0,0,1]
	v_mov_b32_e32 v121, v125
	s_delay_alu instid0(VALU_DEP_4) | instskip(NEXT) | instid1(VALU_DEP_1)
	v_pk_add_f32 v[118:119], v[118:119], v[122:123]
	v_pk_add_f32 v[118:119], v[118:119], v[120:121]
	s_wait_loadcnt 0x0
	s_delay_alu instid0(VALU_DEP_1)
	v_pk_add_f32 v[118:119], v[174:175], v[118:119] neg_lo:[0,1] neg_hi:[0,1]
	scratch_store_b64 off, v[118:119], off offset:344
	s_wait_xcnt 0x0
	v_cmpx_lt_u32_e32 42, v0
	s_cbranch_execz .LBB121_277
; %bb.276:
	scratch_load_b64 v[118:119], off, off offset:336
	v_mov_b64_e32 v[120:121], 0
	scratch_store_b64 off, v[120:121], off offset:336
	s_wait_loadcnt 0x0
	ds_store_b64 v1, v[118:119]
.LBB121_277:
	s_wait_xcnt 0x0
	s_or_b32 exec_lo, exec_lo, s0
	s_wait_storecnt_dscnt 0x0
	s_barrier_signal -1
	s_barrier_wait -1
	s_clause 0x8
	scratch_load_b128 v[118:121], off, off offset:344
	scratch_load_b128 v[122:125], off, off offset:360
	;; [unrolled: 1-line block ×7, first 2 shown]
	scratch_load_b64 v[174:175], off, off offset:456
	scratch_load_b64 v[176:177], off, off offset:336
	v_mov_b32_e32 v7, 0
	ds_load_2addr_b64 v[146:149], v7 offset0:107 offset1:108
	ds_load_2addr_b64 v[150:153], v7 offset0:109 offset1:110
	;; [unrolled: 1-line block ×7, first 2 shown]
	ds_load_b64 v[178:179], v7 offset:920
	s_mov_b32 s0, exec_lo
	s_wait_dscnt 0x7
	v_dual_mov_b32 v180, v149 :: v_dual_mov_b32 v181, v148
	s_wait_dscnt 0x4
	v_dual_mov_b32 v182, v153 :: v_dual_mov_b32 v187, v160
	v_dual_mov_b32 v183, v152 :: v_dual_mov_b32 v184, v157
	;; [unrolled: 1-line block ×3, first 2 shown]
	s_wait_loadcnt_dscnt 0x803
	v_dual_mul_f32 v9, v162, v119 :: v_dual_mul_f32 v19, v163, v119
	v_dual_mul_f32 v21, v165, v121 :: v_dual_mul_f32 v11, v164, v121
	s_wait_loadcnt_dscnt 0x702
	v_mul_f32_e32 v13, v166, v123
	s_wait_loadcnt 0x5
	v_dual_mul_f32 v31, v147, v131 :: v_dual_fma_f32 v19, v162, v118, -v19
	v_dual_fmac_f32 v9, v163, v118 :: v_dual_mov_b32 v118, v133
	v_dual_mul_f32 v23, v167, v123 :: v_dual_mul_f32 v25, v169, v125
	v_dual_fmac_f32 v11, v165, v120 :: v_dual_fma_f32 v21, v164, v120, -v21
	s_delay_alu instid0(VALU_DEP_3) | instskip(SKIP_3) | instid1(VALU_DEP_3)
	v_dual_add_f32 v9, 0, v9 :: v_dual_add_f32 v19, 0, v19
	s_wait_dscnt 0x1
	v_dual_mul_f32 v15, v168, v125 :: v_dual_mul_f32 v17, v170, v127
	v_dual_fmac_f32 v13, v167, v122 :: v_dual_fma_f32 v23, v166, v122, -v23
	v_dual_add_f32 v9, v9, v11 :: v_dual_add_f32 v11, v19, v21
	v_dual_mul_f32 v27, v171, v127 :: v_dual_mul_f32 v29, v173, v129
	s_wait_loadcnt 0x4
	v_dual_mov_b32 v122, v137 :: v_dual_fma_f32 v19, v168, v124, -v25
	s_delay_alu instid0(VALU_DEP_3) | instskip(SKIP_2) | instid1(VALU_DEP_2)
	v_dual_fmac_f32 v15, v169, v124 :: v_dual_add_f32 v11, v11, v23
	v_dual_add_f32 v9, v9, v13 :: v_dual_fmac_f32 v17, v171, v126
	v_dual_mul_f32 v189, v172, v129 :: v_dual_mul_f32 v191, v146, v131
	v_dual_fma_f32 v13, v170, v126, -v27 :: v_dual_add_f32 v9, v9, v15
	s_delay_alu instid0(VALU_DEP_2) | instskip(SKIP_1) | instid1(VALU_DEP_3)
	v_dual_add_f32 v11, v11, v19 :: v_dual_fmac_f32 v189, v173, v128
	v_pk_mul_f32 v[120:121], v[150:151], v[134:135] op_sel:[1,1] op_sel_hi:[0,1]
	v_dual_fma_f32 v188, v172, v128, -v29 :: v_dual_add_f32 v127, v9, v17
	v_pk_mul_f32 v[118:119], v[180:181], v[118:119] op_sel_hi:[1,0]
	s_wait_loadcnt 0x3
	v_dual_add_f32 v126, v11, v13 :: v_dual_mov_b32 v128, v141
	v_fmac_f32_e32 v191, v147, v130
	v_fma_f32 v190, v146, v130, -v31
	v_pk_fma_f32 v[130:131], v[148:149], v[132:133], v[118:119] op_sel_hi:[1,0,1]
	s_delay_alu instid0(VALU_DEP_4) | instskip(SKIP_4) | instid1(VALU_DEP_4)
	v_pk_add_f32 v[126:127], v[126:127], v[188:189]
	v_pk_fma_f32 v[146:147], v[150:151], v[134:135], v[120:121] op_sel_hi:[1,0,1]
	v_pk_fma_f32 v[118:119], v[148:149], v[132:133], v[118:119] neg_lo:[0,0,1] neg_hi:[0,0,1]
	v_pk_fma_f32 v[120:121], v[150:151], v[134:135], v[120:121] neg_lo:[0,0,1] neg_hi:[0,0,1]
	v_pk_mul_f32 v[122:123], v[182:183], v[122:123] op_sel_hi:[1,0]
	v_dual_mov_b32 v119, v131 :: v_dual_mov_b32 v121, v147
	v_pk_add_f32 v[126:127], v[126:127], v[190:191]
	v_pk_mul_f32 v[124:125], v[154:155], v[138:139] op_sel:[1,1] op_sel_hi:[0,1]
	s_delay_alu instid0(VALU_DEP_4)
	v_pk_fma_f32 v[132:133], v[152:153], v[136:137], v[122:123] op_sel_hi:[1,0,1]
	v_pk_fma_f32 v[122:123], v[152:153], v[136:137], v[122:123] neg_lo:[0,0,1] neg_hi:[0,0,1]
	v_pk_mul_f32 v[128:129], v[184:185], v[128:129] op_sel_hi:[1,0]
	v_pk_add_f32 v[118:119], v[126:127], v[118:119]
	v_pk_fma_f32 v[126:127], v[154:155], v[138:139], v[124:125] op_sel_hi:[1,0,1]
	v_mov_b32_e32 v123, v133
	v_pk_fma_f32 v[124:125], v[154:155], v[138:139], v[124:125] neg_lo:[0,0,1] neg_hi:[0,0,1]
	s_wait_loadcnt 0x2
	v_pk_mul_f32 v[130:131], v[158:159], v[142:143] op_sel:[1,1] op_sel_hi:[0,1]
	v_pk_add_f32 v[118:119], v[118:119], v[120:121]
	v_dual_mov_b32 v120, v145 :: v_dual_mov_b32 v125, v127
	v_pk_fma_f32 v[126:127], v[156:157], v[140:141], v[128:129] op_sel_hi:[1,0,1]
	v_pk_fma_f32 v[128:129], v[156:157], v[140:141], v[128:129] neg_lo:[0,0,1] neg_hi:[0,0,1]
	s_delay_alu instid0(VALU_DEP_4)
	v_pk_add_f32 v[118:119], v[118:119], v[122:123]
	v_pk_fma_f32 v[122:123], v[158:159], v[142:143], v[130:131] op_sel_hi:[1,0,1]
	v_pk_mul_f32 v[120:121], v[186:187], v[120:121] op_sel_hi:[1,0]
	v_mov_b32_e32 v129, v127
	s_wait_loadcnt_dscnt 0x100
	v_pk_mul_f32 v[126:127], v[178:179], v[174:175] op_sel:[1,1] op_sel_hi:[0,1]
	v_pk_add_f32 v[118:119], v[118:119], v[124:125]
	v_pk_fma_f32 v[124:125], v[158:159], v[142:143], v[130:131] neg_lo:[0,0,1] neg_hi:[0,0,1]
	v_mov_b32_e32 v125, v123
	v_pk_fma_f32 v[122:123], v[160:161], v[144:145], v[120:121] op_sel_hi:[1,0,1]
	v_pk_fma_f32 v[120:121], v[160:161], v[144:145], v[120:121] neg_lo:[0,0,1] neg_hi:[0,0,1]
	v_pk_add_f32 v[118:119], v[118:119], v[128:129]
	s_delay_alu instid0(VALU_DEP_3) | instskip(SKIP_1) | instid1(VALU_DEP_3)
	v_mov_b32_e32 v121, v123
	v_pk_fma_f32 v[122:123], v[178:179], v[174:175], v[126:127] op_sel_hi:[1,0,1]
	v_pk_add_f32 v[118:119], v[118:119], v[124:125]
	v_pk_fma_f32 v[124:125], v[178:179], v[174:175], v[126:127] neg_lo:[0,0,1] neg_hi:[0,0,1]
	s_delay_alu instid0(VALU_DEP_3) | instskip(NEXT) | instid1(VALU_DEP_3)
	v_mov_b32_e32 v125, v123
	v_pk_add_f32 v[118:119], v[118:119], v[120:121]
	s_delay_alu instid0(VALU_DEP_1) | instskip(SKIP_1) | instid1(VALU_DEP_1)
	v_pk_add_f32 v[118:119], v[118:119], v[124:125]
	s_wait_loadcnt 0x0
	v_pk_add_f32 v[118:119], v[176:177], v[118:119] neg_lo:[0,1] neg_hi:[0,1]
	scratch_store_b64 off, v[118:119], off offset:336
	s_wait_xcnt 0x0
	v_cmpx_lt_u32_e32 41, v0
	s_cbranch_execz .LBB121_279
; %bb.278:
	scratch_load_b64 v[118:119], off, off offset:328
	v_mov_b64_e32 v[120:121], 0
	scratch_store_b64 off, v[120:121], off offset:328
	s_wait_loadcnt 0x0
	ds_store_b64 v1, v[118:119]
.LBB121_279:
	s_wait_xcnt 0x0
	s_or_b32 exec_lo, exec_lo, s0
	s_wait_storecnt_dscnt 0x0
	s_barrier_signal -1
	s_barrier_wait -1
	s_clause 0x8
	scratch_load_b128 v[118:121], off, off offset:336
	scratch_load_b128 v[122:125], off, off offset:352
	;; [unrolled: 1-line block ×8, first 2 shown]
	scratch_load_b64 v[182:183], off, off offset:328
	ds_load_b128 v[150:153], v7 offset:864
	ds_load_b128 v[154:157], v7 offset:880
	;; [unrolled: 1-line block ×8, first 2 shown]
	s_mov_b32 s0, exec_lo
	s_wait_dscnt 0x7
	v_dual_mov_b32 v184, v153 :: v_dual_mov_b32 v185, v152
	s_wait_dscnt 0x6
	v_dual_mov_b32 v186, v157 :: v_dual_mov_b32 v187, v156
	;; [unrolled: 2-line block ×4, first 2 shown]
	s_wait_loadcnt_dscnt 0x803
	v_dual_mul_f32 v7, v166, v119 :: v_dual_mul_f32 v9, v168, v121
	v_dual_mul_f32 v19, v167, v119 :: v_dual_mul_f32 v21, v169, v121
	s_wait_loadcnt_dscnt 0x702
	v_dual_mul_f32 v11, v170, v123 :: v_dual_mul_f32 v13, v172, v125
	s_delay_alu instid0(VALU_DEP_3) | instskip(SKIP_3) | instid1(VALU_DEP_3)
	v_dual_fmac_f32 v7, v167, v118 :: v_dual_fmac_f32 v9, v169, v120
	s_wait_loadcnt_dscnt 0x500
	v_dual_fma_f32 v19, v166, v118, -v19 :: v_dual_mul_f32 v31, v179, v131
	v_dual_mul_f32 v23, v171, v123 :: v_dual_mul_f32 v25, v173, v125
	v_dual_fma_f32 v21, v168, v120, -v21 :: v_dual_add_f32 v7, 0, v7
	s_delay_alu instid0(VALU_DEP_3) | instskip(SKIP_1) | instid1(VALU_DEP_3)
	v_dual_add_f32 v19, 0, v19 :: v_dual_mul_f32 v33, v181, v133
	v_dual_fmac_f32 v11, v171, v122 :: v_dual_fmac_f32 v13, v173, v124
	v_dual_fma_f32 v23, v170, v122, -v23 :: v_dual_add_f32 v7, v7, v9
	s_delay_alu instid0(VALU_DEP_3) | instskip(SKIP_4) | instid1(VALU_DEP_3)
	v_dual_add_f32 v9, v19, v21 :: v_dual_fma_f32 v19, v172, v124, -v25
	v_dual_mul_f32 v15, v174, v127 :: v_dual_mul_f32 v17, v176, v129
	v_dual_mul_f32 v27, v175, v127 :: v_dual_mul_f32 v29, v177, v129
	s_wait_loadcnt 0x4
	v_dual_add_f32 v7, v7, v11 :: v_dual_mov_b32 v120, v137
	v_dual_add_f32 v9, v9, v23 :: v_dual_fmac_f32 v15, v175, v126
	s_delay_alu instid0(VALU_DEP_2) | instskip(SKIP_1) | instid1(VALU_DEP_3)
	v_dual_fma_f32 v11, v174, v126, -v27 :: v_dual_add_f32 v7, v7, v13
	v_dual_mul_f32 v193, v178, v131 :: v_dual_mul_f32 v195, v180, v133
	v_dual_add_f32 v9, v9, v19 :: v_dual_fma_f32 v13, v176, v128, -v29
	s_delay_alu instid0(VALU_DEP_3) | instskip(SKIP_1) | instid1(VALU_DEP_3)
	v_dual_fmac_f32 v17, v177, v128 :: v_dual_add_f32 v7, v7, v15
	v_pk_mul_f32 v[118:119], v[150:151], v[134:135] op_sel:[1,1] op_sel_hi:[0,1]
	v_dual_add_f32 v9, v9, v11 :: v_dual_fmac_f32 v193, v179, v130
	s_wait_loadcnt 0x3
	v_dual_mov_b32 v124, v141 :: v_dual_fma_f32 v192, v178, v130, -v31
	v_dual_add_f32 v127, v7, v17 :: v_dual_fmac_f32 v195, v181, v132
	s_delay_alu instid0(VALU_DEP_3) | instskip(SKIP_3) | instid1(VALU_DEP_4)
	v_dual_add_f32 v126, v9, v13 :: v_dual_fma_f32 v194, v180, v132, -v33
	v_pk_fma_f32 v[128:129], v[150:151], v[134:135], v[118:119] op_sel_hi:[1,0,1]
	v_pk_mul_f32 v[120:121], v[184:185], v[120:121] op_sel_hi:[1,0]
	v_pk_fma_f32 v[118:119], v[150:151], v[134:135], v[118:119] neg_lo:[0,0,1] neg_hi:[0,0,1]
	v_pk_add_f32 v[126:127], v[126:127], v[192:193]
	v_pk_mul_f32 v[122:123], v[154:155], v[138:139] op_sel:[1,1] op_sel_hi:[0,1]
	v_mov_b32_e32 v119, v129
	v_pk_fma_f32 v[128:129], v[152:153], v[136:137], v[120:121] op_sel_hi:[1,0,1]
	v_pk_fma_f32 v[120:121], v[152:153], v[136:137], v[120:121] neg_lo:[0,0,1] neg_hi:[0,0,1]
	v_pk_add_f32 v[126:127], v[126:127], v[194:195]
	v_pk_fma_f32 v[132:133], v[154:155], v[138:139], v[122:123] op_sel_hi:[1,0,1]
	v_pk_mul_f32 v[124:125], v[186:187], v[124:125] op_sel_hi:[1,0]
	v_mov_b32_e32 v121, v129
	s_wait_loadcnt 0x2
	v_pk_mul_f32 v[130:131], v[158:159], v[142:143] op_sel:[1,1] op_sel_hi:[0,1]
	v_pk_add_f32 v[118:119], v[126:127], v[118:119]
	v_mov_b32_e32 v126, v145
	v_pk_fma_f32 v[122:123], v[154:155], v[138:139], v[122:123] neg_lo:[0,0,1] neg_hi:[0,0,1]
	v_mov_b32_e32 v123, v133
	v_pk_fma_f32 v[128:129], v[156:157], v[140:141], v[124:125] op_sel_hi:[1,0,1]
	v_pk_add_f32 v[118:119], v[118:119], v[120:121]
	v_pk_fma_f32 v[120:121], v[158:159], v[142:143], v[130:131] op_sel_hi:[1,0,1]
	v_pk_mul_f32 v[126:127], v[188:189], v[126:127] op_sel_hi:[1,0]
	v_pk_fma_f32 v[124:125], v[156:157], v[140:141], v[124:125] neg_lo:[0,0,1] neg_hi:[0,0,1]
	v_mov_b32_e32 v125, v129
	v_pk_add_f32 v[118:119], v[118:119], v[122:123]
	v_pk_fma_f32 v[128:129], v[158:159], v[142:143], v[130:131] neg_lo:[0,0,1] neg_hi:[0,0,1]
	v_mov_b32_e32 v129, v121
	v_pk_fma_f32 v[120:121], v[160:161], v[144:145], v[126:127] op_sel_hi:[1,0,1]
	s_wait_loadcnt 0x1
	v_pk_mul_f32 v[122:123], v[162:163], v[146:147] op_sel:[1,1] op_sel_hi:[0,1]
	v_pk_add_f32 v[118:119], v[118:119], v[124:125]
	v_mov_b32_e32 v120, v149
	v_pk_fma_f32 v[126:127], v[160:161], v[144:145], v[126:127] neg_lo:[0,0,1] neg_hi:[0,0,1]
	v_mov_b32_e32 v127, v121
	v_pk_fma_f32 v[124:125], v[162:163], v[146:147], v[122:123] op_sel_hi:[1,0,1]
	v_pk_add_f32 v[118:119], v[118:119], v[128:129]
	v_pk_mul_f32 v[120:121], v[190:191], v[120:121] op_sel_hi:[1,0]
	v_pk_fma_f32 v[122:123], v[162:163], v[146:147], v[122:123] neg_lo:[0,0,1] neg_hi:[0,0,1]
	s_delay_alu instid0(VALU_DEP_4) | instskip(NEXT) | instid1(VALU_DEP_4)
	v_mov_b32_e32 v123, v125
	v_pk_add_f32 v[118:119], v[118:119], v[126:127]
	s_delay_alu instid0(VALU_DEP_4) | instskip(SKIP_1) | instid1(VALU_DEP_2)
	v_pk_fma_f32 v[124:125], v[164:165], v[148:149], v[120:121] op_sel_hi:[1,0,1]
	v_pk_fma_f32 v[120:121], v[164:165], v[148:149], v[120:121] neg_lo:[0,0,1] neg_hi:[0,0,1]
	v_mov_b32_e32 v121, v125
	s_delay_alu instid0(VALU_DEP_4) | instskip(NEXT) | instid1(VALU_DEP_1)
	v_pk_add_f32 v[118:119], v[118:119], v[122:123]
	v_pk_add_f32 v[118:119], v[118:119], v[120:121]
	s_wait_loadcnt 0x0
	s_delay_alu instid0(VALU_DEP_1)
	v_pk_add_f32 v[118:119], v[182:183], v[118:119] neg_lo:[0,1] neg_hi:[0,1]
	scratch_store_b64 off, v[118:119], off offset:328
	s_wait_xcnt 0x0
	v_cmpx_lt_u32_e32 40, v0
	s_cbranch_execz .LBB121_281
; %bb.280:
	scratch_load_b64 v[118:119], off, off offset:320
	v_mov_b64_e32 v[120:121], 0
	scratch_store_b64 off, v[120:121], off offset:320
	s_wait_loadcnt 0x0
	ds_store_b64 v1, v[118:119]
.LBB121_281:
	s_wait_xcnt 0x0
	s_or_b32 exec_lo, exec_lo, s0
	s_wait_storecnt_dscnt 0x0
	s_barrier_signal -1
	s_barrier_wait -1
	s_clause 0x9
	scratch_load_b128 v[118:121], off, off offset:328
	scratch_load_b128 v[122:125], off, off offset:344
	;; [unrolled: 1-line block ×8, first 2 shown]
	scratch_load_b64 v[182:183], off, off offset:456
	scratch_load_b64 v[184:185], off, off offset:320
	v_mov_b32_e32 v7, 0
	ds_load_2addr_b64 v[150:153], v7 offset0:107 offset1:108
	ds_load_2addr_b64 v[154:157], v7 offset0:109 offset1:110
	;; [unrolled: 1-line block ×8, first 2 shown]
	ds_load_b64 v[186:187], v7 offset:920
	s_mov_b32 s0, exec_lo
	s_wait_dscnt 0x8
	v_dual_mov_b32 v188, v153 :: v_dual_mov_b32 v189, v152
	s_wait_dscnt 0x5
	v_dual_mov_b32 v190, v157 :: v_dual_mov_b32 v195, v164
	v_dual_mov_b32 v191, v156 :: v_dual_mov_b32 v192, v161
	;; [unrolled: 1-line block ×3, first 2 shown]
	s_wait_loadcnt_dscnt 0x904
	v_dual_mul_f32 v9, v166, v119 :: v_dual_mul_f32 v23, v167, v119
	v_dual_mul_f32 v25, v169, v121 :: v_dual_mul_f32 v11, v168, v121
	s_wait_loadcnt_dscnt 0x803
	v_mul_f32_e32 v13, v170, v123
	s_wait_loadcnt_dscnt 0x601
	v_dual_mul_f32 v35, v179, v131 :: v_dual_fma_f32 v23, v166, v118, -v23
	v_dual_fmac_f32 v9, v167, v118 :: v_dual_mul_f32 v37, v181, v133
	v_dual_mul_f32 v27, v171, v123 :: v_dual_mul_f32 v29, v173, v125
	v_dual_fmac_f32 v11, v169, v120 :: v_dual_fma_f32 v25, v168, v120, -v25
	s_delay_alu instid0(VALU_DEP_3) | instskip(SKIP_3) | instid1(VALU_DEP_3)
	v_dual_add_f32 v9, 0, v9 :: v_dual_add_f32 v23, 0, v23
	v_dual_mul_f32 v15, v172, v125 :: v_dual_mul_f32 v17, v174, v127
	s_wait_loadcnt 0x5
	v_dual_mul_f32 v39, v151, v135 :: v_dual_fma_f32 v27, v170, v122, -v27
	v_dual_fmac_f32 v13, v171, v122 :: v_dual_add_f32 v9, v9, v11
	v_dual_add_f32 v11, v23, v25 :: v_dual_mov_b32 v118, v137
	v_dual_mul_f32 v31, v175, v127 :: v_dual_mul_f32 v33, v177, v129
	v_dual_fmac_f32 v15, v173, v124 :: v_dual_fma_f32 v23, v172, v124, -v29
	s_delay_alu instid0(VALU_DEP_3) | instskip(SKIP_1) | instid1(VALU_DEP_4)
	v_dual_add_f32 v9, v9, v13 :: v_dual_add_f32 v11, v11, v27
	v_dual_mul_f32 v19, v176, v129 :: v_dual_mul_f32 v21, v178, v131
	v_dual_fmac_f32 v17, v175, v126 :: v_dual_fma_f32 v13, v174, v126, -v31
	s_delay_alu instid0(VALU_DEP_3) | instskip(SKIP_3) | instid1(VALU_DEP_3)
	v_dual_add_f32 v9, v9, v15 :: v_dual_fma_f32 v15, v176, v128, -v33
	s_wait_loadcnt 0x4
	v_dual_add_f32 v11, v11, v23 :: v_dual_mov_b32 v122, v141
	v_fmac_f32_e32 v19, v177, v128
	v_dual_add_f32 v9, v9, v17 :: v_dual_fmac_f32 v21, v179, v130
	s_delay_alu instid0(VALU_DEP_3) | instskip(SKIP_1) | instid1(VALU_DEP_3)
	v_add_f32_e32 v11, v11, v13
	v_dual_mul_f32 v197, v180, v133 :: v_dual_mul_f32 v199, v150, v135
	v_dual_fma_f32 v13, v178, v130, -v35 :: v_dual_add_f32 v9, v9, v19
	s_delay_alu instid0(VALU_DEP_2) | instskip(SKIP_1) | instid1(VALU_DEP_3)
	v_dual_add_f32 v11, v11, v15 :: v_dual_fmac_f32 v197, v181, v132
	v_pk_mul_f32 v[120:121], v[154:155], v[138:139] op_sel:[1,1] op_sel_hi:[0,1]
	v_dual_fma_f32 v196, v180, v132, -v37 :: v_dual_add_f32 v127, v9, v21
	v_pk_mul_f32 v[118:119], v[188:189], v[118:119] op_sel_hi:[1,0]
	s_wait_loadcnt 0x3
	v_dual_add_f32 v126, v11, v13 :: v_dual_mov_b32 v128, v145
	v_pk_fma_f32 v[132:133], v[154:155], v[138:139], v[120:121] op_sel_hi:[1,0,1]
	v_fmac_f32_e32 v199, v151, v134
	v_pk_fma_f32 v[130:131], v[152:153], v[136:137], v[118:119] op_sel_hi:[1,0,1]
	v_fma_f32 v198, v150, v134, -v39
	v_pk_add_f32 v[126:127], v[126:127], v[196:197]
	v_pk_fma_f32 v[118:119], v[152:153], v[136:137], v[118:119] neg_lo:[0,0,1] neg_hi:[0,0,1]
	v_pk_fma_f32 v[120:121], v[154:155], v[138:139], v[120:121] neg_lo:[0,0,1] neg_hi:[0,0,1]
	v_pk_mul_f32 v[122:123], v[190:191], v[122:123] op_sel_hi:[1,0]
	v_dual_mov_b32 v119, v131 :: v_dual_mov_b32 v121, v133
	v_pk_add_f32 v[126:127], v[126:127], v[198:199]
	v_pk_mul_f32 v[124:125], v[158:159], v[142:143] op_sel:[1,1] op_sel_hi:[0,1]
	s_delay_alu instid0(VALU_DEP_4)
	v_pk_fma_f32 v[132:133], v[156:157], v[140:141], v[122:123] op_sel_hi:[1,0,1]
	v_pk_fma_f32 v[122:123], v[156:157], v[140:141], v[122:123] neg_lo:[0,0,1] neg_hi:[0,0,1]
	v_pk_mul_f32 v[128:129], v[192:193], v[128:129] op_sel_hi:[1,0]
	v_pk_add_f32 v[118:119], v[126:127], v[118:119]
	v_pk_fma_f32 v[126:127], v[158:159], v[142:143], v[124:125] op_sel_hi:[1,0,1]
	v_mov_b32_e32 v123, v133
	v_pk_fma_f32 v[124:125], v[158:159], v[142:143], v[124:125] neg_lo:[0,0,1] neg_hi:[0,0,1]
	s_wait_loadcnt 0x2
	v_pk_mul_f32 v[130:131], v[162:163], v[146:147] op_sel:[1,1] op_sel_hi:[0,1]
	v_pk_add_f32 v[118:119], v[118:119], v[120:121]
	v_dual_mov_b32 v120, v149 :: v_dual_mov_b32 v125, v127
	v_pk_fma_f32 v[126:127], v[160:161], v[144:145], v[128:129] op_sel_hi:[1,0,1]
	v_pk_fma_f32 v[128:129], v[160:161], v[144:145], v[128:129] neg_lo:[0,0,1] neg_hi:[0,0,1]
	s_delay_alu instid0(VALU_DEP_4)
	v_pk_add_f32 v[118:119], v[118:119], v[122:123]
	v_pk_fma_f32 v[122:123], v[162:163], v[146:147], v[130:131] op_sel_hi:[1,0,1]
	v_pk_mul_f32 v[120:121], v[194:195], v[120:121] op_sel_hi:[1,0]
	v_mov_b32_e32 v129, v127
	s_wait_loadcnt_dscnt 0x100
	v_pk_mul_f32 v[126:127], v[186:187], v[182:183] op_sel:[1,1] op_sel_hi:[0,1]
	v_pk_add_f32 v[118:119], v[118:119], v[124:125]
	v_pk_fma_f32 v[124:125], v[162:163], v[146:147], v[130:131] neg_lo:[0,0,1] neg_hi:[0,0,1]
	v_mov_b32_e32 v125, v123
	v_pk_fma_f32 v[122:123], v[164:165], v[148:149], v[120:121] op_sel_hi:[1,0,1]
	v_pk_fma_f32 v[120:121], v[164:165], v[148:149], v[120:121] neg_lo:[0,0,1] neg_hi:[0,0,1]
	v_pk_add_f32 v[118:119], v[118:119], v[128:129]
	s_delay_alu instid0(VALU_DEP_3) | instskip(SKIP_1) | instid1(VALU_DEP_3)
	v_mov_b32_e32 v121, v123
	v_pk_fma_f32 v[122:123], v[186:187], v[182:183], v[126:127] op_sel_hi:[1,0,1]
	v_pk_add_f32 v[118:119], v[118:119], v[124:125]
	v_pk_fma_f32 v[124:125], v[186:187], v[182:183], v[126:127] neg_lo:[0,0,1] neg_hi:[0,0,1]
	s_delay_alu instid0(VALU_DEP_3) | instskip(NEXT) | instid1(VALU_DEP_3)
	v_mov_b32_e32 v125, v123
	v_pk_add_f32 v[118:119], v[118:119], v[120:121]
	s_delay_alu instid0(VALU_DEP_1) | instskip(SKIP_1) | instid1(VALU_DEP_1)
	v_pk_add_f32 v[118:119], v[118:119], v[124:125]
	s_wait_loadcnt 0x0
	v_pk_add_f32 v[118:119], v[184:185], v[118:119] neg_lo:[0,1] neg_hi:[0,1]
	scratch_store_b64 off, v[118:119], off offset:320
	s_wait_xcnt 0x0
	v_cmpx_lt_u32_e32 39, v0
	s_cbranch_execz .LBB121_283
; %bb.282:
	scratch_load_b64 v[118:119], off, off offset:312
	v_mov_b64_e32 v[120:121], 0
	scratch_store_b64 off, v[120:121], off offset:312
	s_wait_loadcnt 0x0
	ds_store_b64 v1, v[118:119]
.LBB121_283:
	s_wait_xcnt 0x0
	s_or_b32 exec_lo, exec_lo, s0
	s_wait_storecnt_dscnt 0x0
	s_barrier_signal -1
	s_barrier_wait -1
	s_clause 0x9
	scratch_load_b128 v[118:121], off, off offset:320
	scratch_load_b128 v[122:125], off, off offset:336
	;; [unrolled: 1-line block ×9, first 2 shown]
	scratch_load_b64 v[190:191], off, off offset:312
	ds_load_b128 v[154:157], v7 offset:864
	ds_load_b128 v[158:161], v7 offset:880
	;; [unrolled: 1-line block ×9, first 2 shown]
	s_mov_b32 s0, exec_lo
	s_wait_dscnt 0x8
	v_dual_mov_b32 v192, v157 :: v_dual_mov_b32 v193, v156
	s_wait_dscnt 0x7
	v_dual_mov_b32 v194, v161 :: v_dual_mov_b32 v195, v160
	;; [unrolled: 2-line block ×4, first 2 shown]
	s_wait_loadcnt_dscnt 0x904
	v_dual_mul_f32 v7, v170, v119 :: v_dual_mul_f32 v9, v172, v121
	v_dual_mul_f32 v23, v171, v119 :: v_dual_mul_f32 v25, v173, v121
	s_wait_loadcnt_dscnt 0x803
	v_dual_mul_f32 v11, v174, v123 :: v_dual_mul_f32 v13, v176, v125
	s_delay_alu instid0(VALU_DEP_3) | instskip(SKIP_3) | instid1(VALU_DEP_3)
	v_dual_fmac_f32 v7, v171, v118 :: v_dual_fmac_f32 v9, v173, v120
	s_wait_loadcnt_dscnt 0x601
	v_dual_fma_f32 v23, v170, v118, -v23 :: v_dual_mul_f32 v35, v183, v131
	v_dual_mul_f32 v27, v175, v123 :: v_dual_mul_f32 v29, v177, v125
	v_dual_fma_f32 v25, v172, v120, -v25 :: v_dual_add_f32 v7, 0, v7
	s_delay_alu instid0(VALU_DEP_3) | instskip(SKIP_1) | instid1(VALU_DEP_3)
	v_dual_add_f32 v23, 0, v23 :: v_dual_mul_f32 v37, v185, v133
	v_dual_fmac_f32 v11, v175, v122 :: v_dual_fmac_f32 v13, v177, v124
	v_dual_fma_f32 v27, v174, v122, -v27 :: v_dual_add_f32 v7, v7, v9
	s_delay_alu instid0(VALU_DEP_3) | instskip(SKIP_2) | instid1(VALU_DEP_4)
	v_dual_add_f32 v9, v23, v25 :: v_dual_fma_f32 v25, v176, v124, -v29
	v_dual_mul_f32 v15, v178, v127 :: v_dual_mul_f32 v17, v180, v129
	v_dual_mul_f32 v31, v179, v127 :: v_dual_mul_f32 v33, v181, v129
	v_add_f32_e32 v7, v7, v11
	s_delay_alu instid0(VALU_DEP_3) | instskip(NEXT) | instid1(VALU_DEP_3)
	v_dual_add_f32 v9, v9, v27 :: v_dual_fmac_f32 v15, v179, v126
	v_fma_f32 v27, v178, v126, -v31
	v_dual_mul_f32 v19, v182, v131 :: v_dual_mul_f32 v21, v184, v133
	s_delay_alu instid0(VALU_DEP_4) | instskip(NEXT) | instid1(VALU_DEP_4)
	v_dual_add_f32 v7, v7, v13 :: v_dual_fmac_f32 v17, v181, v128
	v_dual_add_f32 v9, v9, v25 :: v_dual_fma_f32 v13, v180, v128, -v33
	s_wait_loadcnt 0x4
	s_delay_alu instid0(VALU_DEP_2) | instskip(NEXT) | instid1(VALU_DEP_2)
	v_dual_mov_b32 v120, v141 :: v_dual_add_f32 v7, v7, v15
	v_dual_fmac_f32 v19, v183, v130 :: v_dual_add_f32 v9, v9, v27
	v_fma_f32 v15, v182, v130, -v35
	s_wait_dscnt 0x0
	v_dual_mul_f32 v201, v186, v135 :: v_dual_mul_f32 v203, v188, v137
	v_add_f32_e32 v7, v7, v17
	v_dual_add_f32 v9, v9, v13 :: v_dual_fma_f32 v13, v184, v132, -v37
	v_dual_mul_f32 v23, v187, v135 :: v_dual_mul_f32 v11, v189, v137
	s_delay_alu instid0(VALU_DEP_3) | instskip(NEXT) | instid1(VALU_DEP_3)
	v_dual_fmac_f32 v21, v185, v132 :: v_dual_add_f32 v7, v7, v19
	v_dual_add_f32 v9, v9, v15 :: v_dual_fmac_f32 v201, v187, v134
	v_pk_mul_f32 v[118:119], v[154:155], v[138:139] op_sel:[1,1] op_sel_hi:[0,1]
	s_wait_loadcnt 0x3
	v_dual_mov_b32 v124, v145 :: v_dual_fma_f32 v200, v186, v134, -v23
	v_dual_add_f32 v127, v7, v21 :: v_dual_fmac_f32 v203, v189, v136
	v_dual_add_f32 v126, v9, v13 :: v_dual_fma_f32 v202, v188, v136, -v11
	v_pk_fma_f32 v[128:129], v[154:155], v[138:139], v[118:119] op_sel_hi:[1,0,1]
	v_pk_mul_f32 v[120:121], v[192:193], v[120:121] op_sel_hi:[1,0]
	v_pk_fma_f32 v[118:119], v[154:155], v[138:139], v[118:119] neg_lo:[0,0,1] neg_hi:[0,0,1]
	s_delay_alu instid0(VALU_DEP_4)
	v_pk_add_f32 v[126:127], v[126:127], v[200:201]
	v_pk_mul_f32 v[122:123], v[158:159], v[142:143] op_sel:[1,1] op_sel_hi:[0,1]
	v_mov_b32_e32 v119, v129
	v_pk_fma_f32 v[128:129], v[156:157], v[140:141], v[120:121] op_sel_hi:[1,0,1]
	v_pk_fma_f32 v[120:121], v[156:157], v[140:141], v[120:121] neg_lo:[0,0,1] neg_hi:[0,0,1]
	v_pk_add_f32 v[126:127], v[126:127], v[202:203]
	v_pk_fma_f32 v[132:133], v[158:159], v[142:143], v[122:123] op_sel_hi:[1,0,1]
	v_pk_mul_f32 v[124:125], v[194:195], v[124:125] op_sel_hi:[1,0]
	v_mov_b32_e32 v121, v129
	s_wait_loadcnt 0x2
	v_pk_mul_f32 v[130:131], v[162:163], v[146:147] op_sel:[1,1] op_sel_hi:[0,1]
	v_pk_add_f32 v[118:119], v[126:127], v[118:119]
	v_mov_b32_e32 v126, v149
	v_pk_fma_f32 v[122:123], v[158:159], v[142:143], v[122:123] neg_lo:[0,0,1] neg_hi:[0,0,1]
	v_mov_b32_e32 v123, v133
	v_pk_fma_f32 v[128:129], v[160:161], v[144:145], v[124:125] op_sel_hi:[1,0,1]
	v_pk_add_f32 v[118:119], v[118:119], v[120:121]
	v_pk_fma_f32 v[120:121], v[162:163], v[146:147], v[130:131] op_sel_hi:[1,0,1]
	v_pk_mul_f32 v[126:127], v[196:197], v[126:127] op_sel_hi:[1,0]
	v_pk_fma_f32 v[124:125], v[160:161], v[144:145], v[124:125] neg_lo:[0,0,1] neg_hi:[0,0,1]
	v_mov_b32_e32 v125, v129
	v_pk_add_f32 v[118:119], v[118:119], v[122:123]
	v_pk_fma_f32 v[128:129], v[162:163], v[146:147], v[130:131] neg_lo:[0,0,1] neg_hi:[0,0,1]
	v_mov_b32_e32 v129, v121
	v_pk_fma_f32 v[120:121], v[164:165], v[148:149], v[126:127] op_sel_hi:[1,0,1]
	s_wait_loadcnt 0x1
	v_pk_mul_f32 v[122:123], v[166:167], v[150:151] op_sel:[1,1] op_sel_hi:[0,1]
	v_pk_add_f32 v[118:119], v[118:119], v[124:125]
	v_mov_b32_e32 v120, v153
	v_pk_fma_f32 v[126:127], v[164:165], v[148:149], v[126:127] neg_lo:[0,0,1] neg_hi:[0,0,1]
	v_mov_b32_e32 v127, v121
	v_pk_fma_f32 v[124:125], v[166:167], v[150:151], v[122:123] op_sel_hi:[1,0,1]
	v_pk_add_f32 v[118:119], v[118:119], v[128:129]
	v_pk_mul_f32 v[120:121], v[198:199], v[120:121] op_sel_hi:[1,0]
	v_pk_fma_f32 v[122:123], v[166:167], v[150:151], v[122:123] neg_lo:[0,0,1] neg_hi:[0,0,1]
	s_delay_alu instid0(VALU_DEP_4) | instskip(NEXT) | instid1(VALU_DEP_4)
	v_mov_b32_e32 v123, v125
	v_pk_add_f32 v[118:119], v[118:119], v[126:127]
	s_delay_alu instid0(VALU_DEP_4) | instskip(SKIP_1) | instid1(VALU_DEP_2)
	v_pk_fma_f32 v[124:125], v[168:169], v[152:153], v[120:121] op_sel_hi:[1,0,1]
	v_pk_fma_f32 v[120:121], v[168:169], v[152:153], v[120:121] neg_lo:[0,0,1] neg_hi:[0,0,1]
	v_mov_b32_e32 v121, v125
	s_delay_alu instid0(VALU_DEP_4) | instskip(NEXT) | instid1(VALU_DEP_1)
	v_pk_add_f32 v[118:119], v[118:119], v[122:123]
	v_pk_add_f32 v[118:119], v[118:119], v[120:121]
	s_wait_loadcnt 0x0
	s_delay_alu instid0(VALU_DEP_1)
	v_pk_add_f32 v[118:119], v[190:191], v[118:119] neg_lo:[0,1] neg_hi:[0,1]
	scratch_store_b64 off, v[118:119], off offset:312
	s_wait_xcnt 0x0
	v_cmpx_lt_u32_e32 38, v0
	s_cbranch_execz .LBB121_285
; %bb.284:
	scratch_load_b64 v[118:119], off, off offset:304
	v_mov_b64_e32 v[120:121], 0
	scratch_store_b64 off, v[120:121], off offset:304
	s_wait_loadcnt 0x0
	ds_store_b64 v1, v[118:119]
.LBB121_285:
	s_wait_xcnt 0x0
	s_or_b32 exec_lo, exec_lo, s0
	s_wait_storecnt_dscnt 0x0
	s_barrier_signal -1
	s_barrier_wait -1
	s_clause 0xa
	scratch_load_b128 v[118:121], off, off offset:312
	scratch_load_b128 v[122:125], off, off offset:328
	;; [unrolled: 1-line block ×9, first 2 shown]
	scratch_load_b64 v[190:191], off, off offset:456
	scratch_load_b64 v[192:193], off, off offset:304
	v_mov_b32_e32 v7, 0
	ds_load_2addr_b64 v[154:157], v7 offset0:107 offset1:108
	ds_load_2addr_b64 v[158:161], v7 offset0:109 offset1:110
	ds_load_2addr_b64 v[162:165], v7 offset0:111 offset1:112
	ds_load_2addr_b64 v[166:169], v7 offset0:113 offset1:114
	ds_load_2addr_b64 v[170:173], v7 offset0:97 offset1:98
	ds_load_2addr_b64 v[174:177], v7 offset0:99 offset1:100
	ds_load_2addr_b64 v[178:181], v7 offset0:101 offset1:102
	ds_load_2addr_b64 v[182:185], v7 offset0:103 offset1:104
	ds_load_2addr_b64 v[186:189], v7 offset0:105 offset1:106
	ds_load_b64 v[194:195], v7 offset:920
	s_mov_b32 s0, exec_lo
	s_wait_dscnt 0x9
	v_dual_mov_b32 v196, v157 :: v_dual_mov_b32 v197, v156
	s_wait_dscnt 0x6
	v_dual_mov_b32 v198, v161 :: v_dual_mov_b32 v203, v168
	v_dual_mov_b32 v199, v160 :: v_dual_mov_b32 v200, v165
	;; [unrolled: 1-line block ×3, first 2 shown]
	s_wait_loadcnt_dscnt 0xa05
	v_dual_mul_f32 v9, v170, v119 :: v_dual_mul_f32 v27, v171, v119
	v_dual_mul_f32 v29, v173, v121 :: v_dual_mul_f32 v11, v172, v121
	s_wait_loadcnt_dscnt 0x904
	v_mul_f32_e32 v13, v174, v123
	s_wait_loadcnt_dscnt 0x702
	v_dual_mul_f32 v39, v183, v131 :: v_dual_fma_f32 v27, v170, v118, -v27
	v_dual_fmac_f32 v9, v171, v118 :: v_dual_mul_f32 v41, v185, v133
	v_dual_mul_f32 v31, v175, v123 :: v_dual_mul_f32 v33, v177, v125
	v_dual_fmac_f32 v11, v173, v120 :: v_dual_fma_f32 v29, v172, v120, -v29
	s_delay_alu instid0(VALU_DEP_3) | instskip(SKIP_3) | instid1(VALU_DEP_3)
	v_dual_add_f32 v9, 0, v9 :: v_dual_add_f32 v27, 0, v27
	v_dual_mul_f32 v15, v176, v125 :: v_dual_mul_f32 v17, v178, v127
	s_wait_loadcnt_dscnt 0x601
	v_dual_mul_f32 v43, v187, v135 :: v_dual_fma_f32 v31, v174, v122, -v31
	v_dual_fmac_f32 v13, v175, v122 :: v_dual_add_f32 v9, v9, v11
	s_delay_alu instid0(VALU_DEP_3) | instskip(SKIP_2) | instid1(VALU_DEP_3)
	v_dual_add_f32 v11, v27, v29 :: v_dual_fmac_f32 v15, v177, v124
	v_dual_mul_f32 v35, v179, v127 :: v_dual_mul_f32 v37, v181, v129
	v_dual_mul_f32 v27, v189, v137 :: v_dual_fma_f32 v29, v176, v124, -v33
	v_dual_add_f32 v9, v9, v13 :: v_dual_add_f32 v11, v11, v31
	v_dual_mul_f32 v19, v180, v129 :: v_dual_mul_f32 v21, v182, v131
	s_wait_loadcnt 0x5
	v_dual_mul_f32 v13, v155, v139 :: v_dual_fma_f32 v31, v178, v126, -v35
	s_delay_alu instid0(VALU_DEP_3) | instskip(SKIP_2) | instid1(VALU_DEP_2)
	v_dual_fmac_f32 v17, v179, v126 :: v_dual_add_f32 v9, v9, v15
	v_dual_add_f32 v11, v11, v29 :: v_dual_mov_b32 v118, v141
	v_dual_fmac_f32 v19, v181, v128 :: v_dual_fma_f32 v15, v180, v128, -v37
	v_dual_add_f32 v9, v9, v17 :: v_dual_add_f32 v11, v11, v31
	v_dual_mul_f32 v23, v184, v133 :: v_dual_mul_f32 v25, v186, v135
	v_dual_fmac_f32 v21, v183, v130 :: v_dual_fma_f32 v17, v182, v130, -v39
	s_delay_alu instid0(VALU_DEP_3) | instskip(SKIP_3) | instid1(VALU_DEP_3)
	v_add_f32_e32 v9, v9, v19
	s_wait_loadcnt 0x4
	v_dual_add_f32 v11, v11, v15 :: v_dual_mov_b32 v122, v145
	v_dual_fmac_f32 v23, v185, v132 :: v_dual_fma_f32 v15, v184, v132, -v41
	v_dual_add_f32 v9, v9, v21 :: v_dual_fmac_f32 v25, v187, v134
	s_delay_alu instid0(VALU_DEP_3) | instskip(SKIP_1) | instid1(VALU_DEP_3)
	v_add_f32_e32 v11, v11, v17
	v_dual_mul_f32 v205, v188, v137 :: v_dual_mul_f32 v207, v154, v139
	v_dual_fma_f32 v17, v186, v134, -v43 :: v_dual_add_f32 v9, v9, v23
	s_delay_alu instid0(VALU_DEP_2) | instskip(SKIP_2) | instid1(VALU_DEP_4)
	v_dual_add_f32 v11, v11, v15 :: v_dual_fmac_f32 v205, v189, v136
	v_fma_f32 v204, v188, v136, -v27
	v_pk_mul_f32 v[118:119], v[196:197], v[118:119] op_sel_hi:[1,0]
	v_add_f32_e32 v127, v9, v25
	s_wait_loadcnt 0x3
	v_dual_add_f32 v126, v11, v17 :: v_dual_mov_b32 v128, v149
	v_pk_mul_f32 v[120:121], v[158:159], v[142:143] op_sel:[1,1] op_sel_hi:[0,1]
	v_dual_fmac_f32 v207, v155, v138 :: v_dual_fma_f32 v206, v154, v138, -v13
	v_pk_fma_f32 v[130:131], v[156:157], v[140:141], v[118:119] op_sel_hi:[1,0,1]
	s_delay_alu instid0(VALU_DEP_4)
	v_pk_add_f32 v[126:127], v[126:127], v[204:205]
	v_pk_fma_f32 v[118:119], v[156:157], v[140:141], v[118:119] neg_lo:[0,0,1] neg_hi:[0,0,1]
	v_pk_fma_f32 v[132:133], v[158:159], v[142:143], v[120:121] op_sel_hi:[1,0,1]
	v_pk_mul_f32 v[122:123], v[198:199], v[122:123] op_sel_hi:[1,0]
	v_mov_b32_e32 v119, v131
	v_pk_add_f32 v[126:127], v[126:127], v[206:207]
	v_pk_fma_f32 v[120:121], v[158:159], v[142:143], v[120:121] neg_lo:[0,0,1] neg_hi:[0,0,1]
	v_pk_mul_f32 v[124:125], v[162:163], v[146:147] op_sel:[1,1] op_sel_hi:[0,1]
	v_mov_b32_e32 v121, v133
	v_pk_fma_f32 v[132:133], v[160:161], v[144:145], v[122:123] op_sel_hi:[1,0,1]
	v_pk_add_f32 v[118:119], v[126:127], v[118:119]
	v_pk_fma_f32 v[122:123], v[160:161], v[144:145], v[122:123] neg_lo:[0,0,1] neg_hi:[0,0,1]
	v_pk_fma_f32 v[126:127], v[162:163], v[146:147], v[124:125] op_sel_hi:[1,0,1]
	v_pk_mul_f32 v[128:129], v[200:201], v[128:129] op_sel_hi:[1,0]
	v_mov_b32_e32 v123, v133
	v_pk_add_f32 v[118:119], v[118:119], v[120:121]
	v_pk_fma_f32 v[124:125], v[162:163], v[146:147], v[124:125] neg_lo:[0,0,1] neg_hi:[0,0,1]
	s_wait_loadcnt 0x2
	v_pk_mul_f32 v[130:131], v[166:167], v[150:151] op_sel:[1,1] op_sel_hi:[0,1]
	v_dual_mov_b32 v120, v153 :: v_dual_mov_b32 v125, v127
	v_pk_fma_f32 v[126:127], v[164:165], v[148:149], v[128:129] op_sel_hi:[1,0,1]
	v_pk_add_f32 v[118:119], v[118:119], v[122:123]
	v_pk_fma_f32 v[128:129], v[164:165], v[148:149], v[128:129] neg_lo:[0,0,1] neg_hi:[0,0,1]
	v_pk_fma_f32 v[122:123], v[166:167], v[150:151], v[130:131] op_sel_hi:[1,0,1]
	v_pk_mul_f32 v[120:121], v[202:203], v[120:121] op_sel_hi:[1,0]
	v_mov_b32_e32 v129, v127
	v_pk_add_f32 v[118:119], v[118:119], v[124:125]
	v_pk_fma_f32 v[124:125], v[166:167], v[150:151], v[130:131] neg_lo:[0,0,1] neg_hi:[0,0,1]
	v_mov_b32_e32 v125, v123
	v_pk_fma_f32 v[122:123], v[168:169], v[152:153], v[120:121] op_sel_hi:[1,0,1]
	s_wait_loadcnt_dscnt 0x100
	v_pk_mul_f32 v[126:127], v[194:195], v[190:191] op_sel:[1,1] op_sel_hi:[0,1]
	v_pk_add_f32 v[118:119], v[118:119], v[128:129]
	v_pk_fma_f32 v[120:121], v[168:169], v[152:153], v[120:121] neg_lo:[0,0,1] neg_hi:[0,0,1]
	v_mov_b32_e32 v121, v123
	s_delay_alu instid0(VALU_DEP_4) | instskip(NEXT) | instid1(VALU_DEP_4)
	v_pk_fma_f32 v[122:123], v[194:195], v[190:191], v[126:127] op_sel_hi:[1,0,1]
	v_pk_add_f32 v[118:119], v[118:119], v[124:125]
	v_pk_fma_f32 v[124:125], v[194:195], v[190:191], v[126:127] neg_lo:[0,0,1] neg_hi:[0,0,1]
	s_delay_alu instid0(VALU_DEP_3) | instskip(NEXT) | instid1(VALU_DEP_3)
	v_mov_b32_e32 v125, v123
	v_pk_add_f32 v[118:119], v[118:119], v[120:121]
	s_delay_alu instid0(VALU_DEP_1) | instskip(SKIP_1) | instid1(VALU_DEP_1)
	v_pk_add_f32 v[118:119], v[118:119], v[124:125]
	s_wait_loadcnt 0x0
	v_pk_add_f32 v[118:119], v[192:193], v[118:119] neg_lo:[0,1] neg_hi:[0,1]
	scratch_store_b64 off, v[118:119], off offset:304
	s_wait_xcnt 0x0
	v_cmpx_lt_u32_e32 37, v0
	s_cbranch_execz .LBB121_287
; %bb.286:
	scratch_load_b64 v[118:119], off, off offset:296
	v_mov_b64_e32 v[120:121], 0
	scratch_store_b64 off, v[120:121], off offset:296
	s_wait_loadcnt 0x0
	ds_store_b64 v1, v[118:119]
.LBB121_287:
	s_wait_xcnt 0x0
	s_or_b32 exec_lo, exec_lo, s0
	s_wait_storecnt_dscnt 0x0
	s_barrier_signal -1
	s_barrier_wait -1
	s_clause 0xa
	scratch_load_b128 v[118:121], off, off offset:304
	scratch_load_b128 v[122:125], off, off offset:320
	;; [unrolled: 1-line block ×10, first 2 shown]
	scratch_load_b64 v[198:199], off, off offset:296
	ds_load_b128 v[158:161], v7 offset:864
	ds_load_b128 v[162:165], v7 offset:880
	;; [unrolled: 1-line block ×10, first 2 shown]
	s_mov_b32 s0, exec_lo
	s_wait_dscnt 0x9
	v_dual_mov_b32 v200, v161 :: v_dual_mov_b32 v201, v160
	s_wait_dscnt 0x8
	v_dual_mov_b32 v202, v165 :: v_dual_mov_b32 v203, v164
	;; [unrolled: 2-line block ×4, first 2 shown]
	s_wait_loadcnt_dscnt 0xa05
	v_dual_mul_f32 v7, v174, v119 :: v_dual_mul_f32 v9, v176, v121
	v_dual_mul_f32 v27, v175, v119 :: v_dual_mul_f32 v29, v177, v121
	s_wait_loadcnt_dscnt 0x904
	v_dual_mul_f32 v11, v178, v123 :: v_dual_mul_f32 v13, v180, v125
	s_delay_alu instid0(VALU_DEP_3) | instskip(SKIP_3) | instid1(VALU_DEP_3)
	v_dual_fmac_f32 v7, v175, v118 :: v_dual_fmac_f32 v9, v177, v120
	s_wait_loadcnt_dscnt 0x702
	v_dual_fma_f32 v27, v174, v118, -v27 :: v_dual_mul_f32 v39, v187, v131
	v_dual_mul_f32 v31, v179, v123 :: v_dual_mul_f32 v33, v181, v125
	v_dual_fma_f32 v29, v176, v120, -v29 :: v_dual_add_f32 v7, 0, v7
	s_delay_alu instid0(VALU_DEP_3) | instskip(SKIP_1) | instid1(VALU_DEP_3)
	v_dual_add_f32 v27, 0, v27 :: v_dual_mul_f32 v41, v189, v133
	v_dual_fmac_f32 v11, v179, v122 :: v_dual_fmac_f32 v13, v181, v124
	v_dual_fma_f32 v31, v178, v122, -v31 :: v_dual_add_f32 v7, v7, v9
	s_delay_alu instid0(VALU_DEP_3) | instskip(SKIP_2) | instid1(VALU_DEP_4)
	v_dual_add_f32 v9, v27, v29 :: v_dual_fma_f32 v29, v180, v124, -v33
	v_dual_mul_f32 v15, v182, v127 :: v_dual_mul_f32 v17, v184, v129
	v_dual_mul_f32 v35, v183, v127 :: v_dual_mul_f32 v37, v185, v129
	v_add_f32_e32 v7, v7, v11
	s_delay_alu instid0(VALU_DEP_3) | instskip(NEXT) | instid1(VALU_DEP_3)
	v_dual_add_f32 v9, v9, v31 :: v_dual_fmac_f32 v15, v183, v126
	v_fma_f32 v31, v182, v126, -v35
	v_dual_mul_f32 v19, v186, v131 :: v_dual_mul_f32 v21, v188, v133
	s_delay_alu instid0(VALU_DEP_4) | instskip(SKIP_2) | instid1(VALU_DEP_2)
	v_dual_add_f32 v7, v7, v13 :: v_dual_fmac_f32 v17, v185, v128
	s_wait_loadcnt_dscnt 0x500
	v_dual_add_f32 v9, v9, v29 :: v_dual_mul_f32 v13, v195, v139
	v_dual_fma_f32 v29, v184, v128, -v37 :: v_dual_add_f32 v7, v7, v15
	v_mul_f32_e32 v15, v197, v141
	s_delay_alu instid0(VALU_DEP_3) | instskip(NEXT) | instid1(VALU_DEP_3)
	v_dual_add_f32 v9, v9, v31 :: v_dual_fmac_f32 v19, v187, v130
	v_dual_fma_f32 v31, v186, v130, -v39 :: v_dual_add_f32 v7, v7, v17
	v_fmac_f32_e32 v21, v189, v132
	s_delay_alu instid0(VALU_DEP_3) | instskip(SKIP_4) | instid1(VALU_DEP_3)
	v_dual_add_f32 v9, v9, v29 :: v_dual_fma_f32 v17, v188, v132, -v41
	v_dual_mul_f32 v23, v190, v135 :: v_dual_mul_f32 v25, v192, v137
	v_dual_mul_f32 v27, v191, v135 :: v_dual_mul_f32 v11, v193, v137
	s_wait_loadcnt 0x4
	v_dual_add_f32 v7, v7, v19 :: v_dual_mov_b32 v120, v145
	v_dual_add_f32 v9, v9, v31 :: v_dual_fmac_f32 v23, v191, v134
	s_delay_alu instid0(VALU_DEP_2) | instskip(SKIP_1) | instid1(VALU_DEP_3)
	v_dual_fma_f32 v19, v190, v134, -v27 :: v_dual_add_f32 v7, v7, v21
	v_dual_mul_f32 v209, v194, v139 :: v_dual_mul_f32 v211, v196, v141
	v_dual_add_f32 v9, v9, v17 :: v_dual_fma_f32 v11, v192, v136, -v11
	s_delay_alu instid0(VALU_DEP_3) | instskip(SKIP_1) | instid1(VALU_DEP_3)
	v_dual_fmac_f32 v25, v193, v136 :: v_dual_add_f32 v7, v7, v23
	v_pk_mul_f32 v[118:119], v[158:159], v[142:143] op_sel:[1,1] op_sel_hi:[0,1]
	v_dual_add_f32 v9, v9, v19 :: v_dual_fmac_f32 v209, v195, v138
	s_wait_loadcnt 0x3
	v_dual_mov_b32 v124, v149 :: v_dual_fma_f32 v208, v194, v138, -v13
	s_delay_alu instid0(VALU_DEP_2)
	v_dual_add_f32 v127, v7, v25 :: v_dual_add_f32 v126, v9, v11
	v_fmac_f32_e32 v211, v197, v140
	v_pk_fma_f32 v[128:129], v[158:159], v[142:143], v[118:119] op_sel_hi:[1,0,1]
	v_fma_f32 v210, v196, v140, -v15
	v_pk_mul_f32 v[120:121], v[200:201], v[120:121] op_sel_hi:[1,0]
	v_pk_add_f32 v[126:127], v[126:127], v[208:209]
	v_pk_fma_f32 v[118:119], v[158:159], v[142:143], v[118:119] neg_lo:[0,0,1] neg_hi:[0,0,1]
	v_pk_mul_f32 v[122:123], v[162:163], v[146:147] op_sel:[1,1] op_sel_hi:[0,1]
	v_mov_b32_e32 v119, v129
	v_pk_fma_f32 v[128:129], v[160:161], v[144:145], v[120:121] op_sel_hi:[1,0,1]
	v_pk_add_f32 v[126:127], v[126:127], v[210:211]
	v_pk_fma_f32 v[120:121], v[160:161], v[144:145], v[120:121] neg_lo:[0,0,1] neg_hi:[0,0,1]
	v_pk_fma_f32 v[132:133], v[162:163], v[146:147], v[122:123] op_sel_hi:[1,0,1]
	v_pk_mul_f32 v[124:125], v[202:203], v[124:125] op_sel_hi:[1,0]
	v_mov_b32_e32 v121, v129
	v_pk_add_f32 v[118:119], v[126:127], v[118:119]
	s_wait_loadcnt 0x2
	v_pk_mul_f32 v[130:131], v[166:167], v[150:151] op_sel:[1,1] op_sel_hi:[0,1]
	v_mov_b32_e32 v126, v153
	v_pk_fma_f32 v[122:123], v[162:163], v[146:147], v[122:123] neg_lo:[0,0,1] neg_hi:[0,0,1]
	v_pk_fma_f32 v[128:129], v[164:165], v[148:149], v[124:125] op_sel_hi:[1,0,1]
	v_mov_b32_e32 v123, v133
	v_pk_add_f32 v[118:119], v[118:119], v[120:121]
	v_pk_fma_f32 v[120:121], v[166:167], v[150:151], v[130:131] op_sel_hi:[1,0,1]
	v_pk_mul_f32 v[126:127], v[204:205], v[126:127] op_sel_hi:[1,0]
	v_pk_fma_f32 v[124:125], v[164:165], v[148:149], v[124:125] neg_lo:[0,0,1] neg_hi:[0,0,1]
	v_mov_b32_e32 v125, v129
	v_pk_add_f32 v[118:119], v[118:119], v[122:123]
	v_pk_fma_f32 v[128:129], v[166:167], v[150:151], v[130:131] neg_lo:[0,0,1] neg_hi:[0,0,1]
	v_mov_b32_e32 v129, v121
	v_pk_fma_f32 v[120:121], v[168:169], v[152:153], v[126:127] op_sel_hi:[1,0,1]
	s_wait_loadcnt 0x1
	v_pk_mul_f32 v[122:123], v[170:171], v[154:155] op_sel:[1,1] op_sel_hi:[0,1]
	v_pk_add_f32 v[118:119], v[118:119], v[124:125]
	v_mov_b32_e32 v120, v157
	v_pk_fma_f32 v[126:127], v[168:169], v[152:153], v[126:127] neg_lo:[0,0,1] neg_hi:[0,0,1]
	s_delay_alu instid0(VALU_DEP_4)
	v_pk_fma_f32 v[124:125], v[170:171], v[154:155], v[122:123] op_sel_hi:[1,0,1]
	v_mov_b32_e32 v127, v121
	v_pk_add_f32 v[118:119], v[118:119], v[128:129]
	v_pk_mul_f32 v[120:121], v[206:207], v[120:121] op_sel_hi:[1,0]
	v_pk_fma_f32 v[122:123], v[170:171], v[154:155], v[122:123] neg_lo:[0,0,1] neg_hi:[0,0,1]
	v_mov_b32_e32 v123, v125
	s_delay_alu instid0(VALU_DEP_4) | instskip(NEXT) | instid1(VALU_DEP_4)
	v_pk_add_f32 v[118:119], v[118:119], v[126:127]
	v_pk_fma_f32 v[124:125], v[172:173], v[156:157], v[120:121] op_sel_hi:[1,0,1]
	v_pk_fma_f32 v[120:121], v[172:173], v[156:157], v[120:121] neg_lo:[0,0,1] neg_hi:[0,0,1]
	s_delay_alu instid0(VALU_DEP_3) | instskip(NEXT) | instid1(VALU_DEP_3)
	v_pk_add_f32 v[118:119], v[118:119], v[122:123]
	v_mov_b32_e32 v121, v125
	s_delay_alu instid0(VALU_DEP_1) | instskip(SKIP_1) | instid1(VALU_DEP_1)
	v_pk_add_f32 v[118:119], v[118:119], v[120:121]
	s_wait_loadcnt 0x0
	v_pk_add_f32 v[118:119], v[198:199], v[118:119] neg_lo:[0,1] neg_hi:[0,1]
	scratch_store_b64 off, v[118:119], off offset:296
	s_wait_xcnt 0x0
	v_cmpx_lt_u32_e32 36, v0
	s_cbranch_execz .LBB121_289
; %bb.288:
	scratch_load_b64 v[118:119], off, off offset:288
	v_mov_b64_e32 v[120:121], 0
	scratch_store_b64 off, v[120:121], off offset:288
	s_wait_loadcnt 0x0
	ds_store_b64 v1, v[118:119]
.LBB121_289:
	s_wait_xcnt 0x0
	s_or_b32 exec_lo, exec_lo, s0
	s_wait_storecnt_dscnt 0x0
	s_barrier_signal -1
	s_barrier_wait -1
	s_clause 0xb
	scratch_load_b128 v[118:121], off, off offset:296
	scratch_load_b128 v[122:125], off, off offset:312
	;; [unrolled: 1-line block ×10, first 2 shown]
	scratch_load_b64 v[198:199], off, off offset:456
	scratch_load_b64 v[200:201], off, off offset:288
	v_mov_b32_e32 v7, 0
	ds_load_2addr_b64 v[158:161], v7 offset0:107 offset1:108
	ds_load_2addr_b64 v[162:165], v7 offset0:109 offset1:110
	;; [unrolled: 1-line block ×10, first 2 shown]
	ds_load_b64 v[202:203], v7 offset:920
	s_mov_b32 s0, exec_lo
	s_wait_dscnt 0xa
	v_dual_mov_b32 v204, v161 :: v_dual_mov_b32 v205, v160
	s_wait_dscnt 0x7
	v_dual_mov_b32 v206, v165 :: v_dual_mov_b32 v211, v172
	v_dual_mov_b32 v207, v164 :: v_dual_mov_b32 v208, v169
	;; [unrolled: 1-line block ×3, first 2 shown]
	s_wait_loadcnt_dscnt 0xb06
	v_dual_mul_f32 v9, v174, v119 :: v_dual_mul_f32 v31, v175, v119
	v_dual_mul_f32 v33, v177, v121 :: v_dual_mul_f32 v11, v176, v121
	s_wait_loadcnt_dscnt 0xa05
	v_mul_f32_e32 v13, v178, v123
	s_wait_loadcnt_dscnt 0x803
	v_dual_mul_f32 v43, v187, v131 :: v_dual_fma_f32 v31, v174, v118, -v31
	v_dual_fmac_f32 v9, v175, v118 :: v_dual_mul_f32 v45, v189, v133
	v_dual_mul_f32 v35, v179, v123 :: v_dual_mul_f32 v37, v181, v125
	v_dual_fmac_f32 v11, v177, v120 :: v_dual_fma_f32 v33, v176, v120, -v33
	s_delay_alu instid0(VALU_DEP_3) | instskip(SKIP_3) | instid1(VALU_DEP_3)
	v_dual_add_f32 v9, 0, v9 :: v_dual_add_f32 v31, 0, v31
	v_dual_mul_f32 v15, v180, v125 :: v_dual_mul_f32 v17, v182, v127
	s_wait_loadcnt_dscnt 0x702
	v_dual_mul_f32 v47, v191, v135 :: v_dual_fma_f32 v35, v178, v122, -v35
	v_dual_fmac_f32 v13, v179, v122 :: v_dual_add_f32 v9, v9, v11
	s_delay_alu instid0(VALU_DEP_3) | instskip(SKIP_2) | instid1(VALU_DEP_3)
	v_dual_add_f32 v11, v31, v33 :: v_dual_fmac_f32 v15, v181, v124
	v_dual_mul_f32 v39, v183, v127 :: v_dual_mul_f32 v41, v185, v129
	v_dual_mul_f32 v31, v193, v137 :: v_dual_fma_f32 v33, v180, v124, -v37
	v_dual_add_f32 v9, v9, v13 :: v_dual_add_f32 v11, v11, v35
	v_dual_mul_f32 v19, v184, v129 :: v_dual_mul_f32 v21, v186, v131
	s_wait_loadcnt_dscnt 0x601
	v_dual_mul_f32 v13, v195, v139 :: v_dual_fma_f32 v35, v182, v126, -v39
	s_delay_alu instid0(VALU_DEP_3) | instskip(NEXT) | instid1(VALU_DEP_3)
	v_dual_fmac_f32 v17, v183, v126 :: v_dual_add_f32 v9, v9, v15
	v_dual_add_f32 v11, v11, v33 :: v_dual_fmac_f32 v19, v185, v128
	v_dual_mul_f32 v15, v197, v141 :: v_dual_fma_f32 v33, v184, v128, -v41
	s_delay_alu instid0(VALU_DEP_2) | instskip(SKIP_3) | instid1(VALU_DEP_3)
	v_dual_add_f32 v9, v9, v17 :: v_dual_add_f32 v11, v11, v35
	v_dual_mul_f32 v23, v188, v133 :: v_dual_mul_f32 v25, v190, v135
	s_wait_loadcnt 0x5
	v_dual_mul_f32 v17, v159, v143 :: v_dual_fma_f32 v35, v186, v130, -v43
	v_dual_fmac_f32 v21, v187, v130 :: v_dual_add_f32 v9, v9, v19
	v_dual_add_f32 v11, v11, v33 :: v_dual_mov_b32 v118, v145
	v_dual_fmac_f32 v23, v189, v132 :: v_dual_fma_f32 v19, v188, v132, -v45
	s_delay_alu instid0(VALU_DEP_2) | instskip(SKIP_2) | instid1(VALU_DEP_3)
	v_dual_add_f32 v9, v9, v21 :: v_dual_add_f32 v11, v11, v35
	v_dual_mul_f32 v27, v192, v137 :: v_dual_mul_f32 v29, v194, v139
	v_dual_fmac_f32 v25, v191, v134 :: v_dual_fma_f32 v21, v190, v134, -v47
	v_add_f32_e32 v9, v9, v23
	s_wait_loadcnt 0x4
	v_dual_add_f32 v11, v11, v19 :: v_dual_mov_b32 v122, v149
	v_fmac_f32_e32 v27, v193, v136
	s_delay_alu instid0(VALU_DEP_3) | instskip(SKIP_1) | instid1(VALU_DEP_4)
	v_dual_fma_f32 v19, v192, v136, -v31 :: v_dual_add_f32 v9, v9, v25
	v_fmac_f32_e32 v29, v195, v138
	v_add_f32_e32 v11, v11, v21
	v_dual_mul_f32 v213, v196, v141 :: v_dual_mul_f32 v215, v158, v143
	s_delay_alu instid0(VALU_DEP_4) | instskip(NEXT) | instid1(VALU_DEP_2)
	v_dual_fma_f32 v13, v194, v138, -v13 :: v_dual_add_f32 v9, v9, v27
	v_dual_add_f32 v11, v11, v19 :: v_dual_fmac_f32 v213, v197, v140
	v_fma_f32 v212, v196, v140, -v15
	v_pk_mul_f32 v[118:119], v[204:205], v[118:119] op_sel_hi:[1,0]
	s_delay_alu instid0(VALU_DEP_4)
	v_add_f32_e32 v127, v9, v29
	s_wait_loadcnt 0x3
	v_dual_add_f32 v126, v11, v13 :: v_dual_mov_b32 v128, v153
	v_pk_mul_f32 v[120:121], v[162:163], v[146:147] op_sel:[1,1] op_sel_hi:[0,1]
	v_dual_fmac_f32 v215, v159, v142 :: v_dual_fma_f32 v214, v158, v142, -v17
	v_pk_fma_f32 v[130:131], v[160:161], v[144:145], v[118:119] op_sel_hi:[1,0,1]
	s_delay_alu instid0(VALU_DEP_4)
	v_pk_add_f32 v[126:127], v[126:127], v[212:213]
	v_pk_fma_f32 v[118:119], v[160:161], v[144:145], v[118:119] neg_lo:[0,0,1] neg_hi:[0,0,1]
	v_pk_fma_f32 v[132:133], v[162:163], v[146:147], v[120:121] op_sel_hi:[1,0,1]
	v_pk_mul_f32 v[122:123], v[206:207], v[122:123] op_sel_hi:[1,0]
	v_mov_b32_e32 v119, v131
	v_pk_add_f32 v[126:127], v[126:127], v[214:215]
	v_pk_fma_f32 v[120:121], v[162:163], v[146:147], v[120:121] neg_lo:[0,0,1] neg_hi:[0,0,1]
	v_pk_mul_f32 v[124:125], v[166:167], v[150:151] op_sel:[1,1] op_sel_hi:[0,1]
	v_mov_b32_e32 v121, v133
	v_pk_fma_f32 v[132:133], v[164:165], v[148:149], v[122:123] op_sel_hi:[1,0,1]
	v_pk_add_f32 v[118:119], v[126:127], v[118:119]
	v_pk_fma_f32 v[122:123], v[164:165], v[148:149], v[122:123] neg_lo:[0,0,1] neg_hi:[0,0,1]
	v_pk_fma_f32 v[126:127], v[166:167], v[150:151], v[124:125] op_sel_hi:[1,0,1]
	v_pk_mul_f32 v[128:129], v[208:209], v[128:129] op_sel_hi:[1,0]
	v_mov_b32_e32 v123, v133
	v_pk_add_f32 v[118:119], v[118:119], v[120:121]
	v_pk_fma_f32 v[124:125], v[166:167], v[150:151], v[124:125] neg_lo:[0,0,1] neg_hi:[0,0,1]
	s_wait_loadcnt 0x2
	v_pk_mul_f32 v[130:131], v[170:171], v[154:155] op_sel:[1,1] op_sel_hi:[0,1]
	v_dual_mov_b32 v120, v157 :: v_dual_mov_b32 v125, v127
	v_pk_fma_f32 v[126:127], v[168:169], v[152:153], v[128:129] op_sel_hi:[1,0,1]
	v_pk_add_f32 v[118:119], v[118:119], v[122:123]
	v_pk_fma_f32 v[128:129], v[168:169], v[152:153], v[128:129] neg_lo:[0,0,1] neg_hi:[0,0,1]
	v_pk_fma_f32 v[122:123], v[170:171], v[154:155], v[130:131] op_sel_hi:[1,0,1]
	v_pk_mul_f32 v[120:121], v[210:211], v[120:121] op_sel_hi:[1,0]
	v_mov_b32_e32 v129, v127
	v_pk_add_f32 v[118:119], v[118:119], v[124:125]
	v_pk_fma_f32 v[124:125], v[170:171], v[154:155], v[130:131] neg_lo:[0,0,1] neg_hi:[0,0,1]
	v_mov_b32_e32 v125, v123
	v_pk_fma_f32 v[122:123], v[172:173], v[156:157], v[120:121] op_sel_hi:[1,0,1]
	s_wait_loadcnt_dscnt 0x100
	v_pk_mul_f32 v[126:127], v[202:203], v[198:199] op_sel:[1,1] op_sel_hi:[0,1]
	v_pk_add_f32 v[118:119], v[118:119], v[128:129]
	v_pk_fma_f32 v[120:121], v[172:173], v[156:157], v[120:121] neg_lo:[0,0,1] neg_hi:[0,0,1]
	v_mov_b32_e32 v121, v123
	s_delay_alu instid0(VALU_DEP_4) | instskip(NEXT) | instid1(VALU_DEP_4)
	v_pk_fma_f32 v[122:123], v[202:203], v[198:199], v[126:127] op_sel_hi:[1,0,1]
	v_pk_add_f32 v[118:119], v[118:119], v[124:125]
	v_pk_fma_f32 v[124:125], v[202:203], v[198:199], v[126:127] neg_lo:[0,0,1] neg_hi:[0,0,1]
	s_delay_alu instid0(VALU_DEP_3) | instskip(NEXT) | instid1(VALU_DEP_3)
	v_mov_b32_e32 v125, v123
	v_pk_add_f32 v[118:119], v[118:119], v[120:121]
	s_delay_alu instid0(VALU_DEP_1) | instskip(SKIP_1) | instid1(VALU_DEP_1)
	v_pk_add_f32 v[118:119], v[118:119], v[124:125]
	s_wait_loadcnt 0x0
	v_pk_add_f32 v[118:119], v[200:201], v[118:119] neg_lo:[0,1] neg_hi:[0,1]
	scratch_store_b64 off, v[118:119], off offset:288
	s_wait_xcnt 0x0
	v_cmpx_lt_u32_e32 35, v0
	s_cbranch_execz .LBB121_291
; %bb.290:
	scratch_load_b64 v[118:119], off, off offset:280
	v_mov_b64_e32 v[120:121], 0
	scratch_store_b64 off, v[120:121], off offset:280
	s_wait_loadcnt 0x0
	ds_store_b64 v1, v[118:119]
.LBB121_291:
	s_wait_xcnt 0x0
	s_or_b32 exec_lo, exec_lo, s0
	s_wait_storecnt_dscnt 0x0
	s_barrier_signal -1
	s_barrier_wait -1
	s_clause 0xb
	scratch_load_b128 v[118:121], off, off offset:288
	scratch_load_b128 v[122:125], off, off offset:304
	;; [unrolled: 1-line block ×11, first 2 shown]
	scratch_load_b64 v[206:207], off, off offset:280
	ds_load_b128 v[162:165], v7 offset:864
	ds_load_b128 v[166:169], v7 offset:880
	;; [unrolled: 1-line block ×11, first 2 shown]
	s_mov_b32 s0, exec_lo
	s_wait_dscnt 0xa
	v_dual_mov_b32 v208, v165 :: v_dual_mov_b32 v209, v164
	s_wait_dscnt 0x9
	v_dual_mov_b32 v210, v169 :: v_dual_mov_b32 v211, v168
	;; [unrolled: 2-line block ×4, first 2 shown]
	s_wait_loadcnt_dscnt 0xb06
	v_dual_mul_f32 v7, v178, v119 :: v_dual_mul_f32 v9, v180, v121
	v_dual_mul_f32 v31, v179, v119 :: v_dual_mul_f32 v33, v181, v121
	s_wait_loadcnt_dscnt 0xa05
	v_dual_mul_f32 v11, v182, v123 :: v_dual_mul_f32 v13, v184, v125
	s_delay_alu instid0(VALU_DEP_3) | instskip(SKIP_3) | instid1(VALU_DEP_3)
	v_dual_fmac_f32 v7, v179, v118 :: v_dual_fmac_f32 v9, v181, v120
	s_wait_loadcnt_dscnt 0x803
	v_dual_fma_f32 v31, v178, v118, -v31 :: v_dual_mul_f32 v43, v191, v131
	v_dual_mul_f32 v35, v183, v123 :: v_dual_mul_f32 v37, v185, v125
	v_dual_fma_f32 v33, v180, v120, -v33 :: v_dual_add_f32 v7, 0, v7
	s_delay_alu instid0(VALU_DEP_3) | instskip(SKIP_1) | instid1(VALU_DEP_3)
	v_dual_add_f32 v31, 0, v31 :: v_dual_mul_f32 v45, v193, v133
	v_dual_fmac_f32 v11, v183, v122 :: v_dual_fmac_f32 v13, v185, v124
	v_dual_fma_f32 v35, v182, v122, -v35 :: v_dual_add_f32 v7, v7, v9
	s_delay_alu instid0(VALU_DEP_3) | instskip(SKIP_2) | instid1(VALU_DEP_4)
	v_dual_add_f32 v9, v31, v33 :: v_dual_fma_f32 v33, v184, v124, -v37
	v_dual_mul_f32 v15, v186, v127 :: v_dual_mul_f32 v17, v188, v129
	v_dual_mul_f32 v39, v187, v127 :: v_dual_mul_f32 v41, v189, v129
	v_add_f32_e32 v7, v7, v11
	s_delay_alu instid0(VALU_DEP_3) | instskip(NEXT) | instid1(VALU_DEP_3)
	v_dual_add_f32 v9, v9, v35 :: v_dual_fmac_f32 v15, v187, v126
	v_fma_f32 v35, v186, v126, -v39
	v_dual_mul_f32 v19, v190, v131 :: v_dual_mul_f32 v21, v192, v133
	s_delay_alu instid0(VALU_DEP_4) | instskip(SKIP_2) | instid1(VALU_DEP_2)
	v_dual_add_f32 v7, v7, v13 :: v_dual_fmac_f32 v17, v189, v128
	s_wait_loadcnt_dscnt 0x601
	v_dual_add_f32 v9, v9, v33 :: v_dual_mul_f32 v13, v199, v139
	v_dual_fma_f32 v33, v188, v128, -v41 :: v_dual_add_f32 v7, v7, v15
	v_mul_f32_e32 v15, v201, v141
	s_delay_alu instid0(VALU_DEP_3) | instskip(NEXT) | instid1(VALU_DEP_3)
	v_dual_add_f32 v9, v9, v35 :: v_dual_fmac_f32 v19, v191, v130
	v_dual_fma_f32 v35, v190, v130, -v43 :: v_dual_add_f32 v7, v7, v17
	v_fmac_f32_e32 v21, v193, v132
	s_wait_loadcnt_dscnt 0x500
	s_delay_alu instid0(VALU_DEP_3) | instskip(SKIP_3) | instid1(VALU_DEP_3)
	v_dual_add_f32 v9, v9, v33 :: v_dual_mul_f32 v17, v203, v143
	v_dual_mul_f32 v23, v194, v135 :: v_dual_mul_f32 v25, v196, v137
	v_dual_mul_f32 v31, v195, v135 :: v_dual_mul_f32 v11, v197, v137
	v_dual_fma_f32 v33, v192, v132, -v45 :: v_dual_add_f32 v7, v7, v19
	v_dual_add_f32 v9, v9, v35 :: v_dual_fmac_f32 v23, v195, v134
	s_delay_alu instid0(VALU_DEP_3) | instskip(NEXT) | instid1(VALU_DEP_3)
	v_dual_mul_f32 v19, v205, v145 :: v_dual_fma_f32 v31, v194, v134, -v31
	v_dual_add_f32 v7, v7, v21 :: v_dual_fmac_f32 v25, v197, v136
	s_delay_alu instid0(VALU_DEP_3) | instskip(SKIP_2) | instid1(VALU_DEP_3)
	v_dual_add_f32 v9, v9, v33 :: v_dual_fma_f32 v11, v196, v136, -v11
	v_dual_mul_f32 v27, v198, v139 :: v_dual_mul_f32 v29, v200, v141
	s_wait_loadcnt 0x4
	v_dual_add_f32 v7, v7, v23 :: v_dual_mov_b32 v120, v149
	s_delay_alu instid0(VALU_DEP_2) | instskip(NEXT) | instid1(VALU_DEP_2)
	v_dual_add_f32 v9, v9, v31 :: v_dual_fmac_f32 v27, v199, v138
	v_dual_fma_f32 v13, v198, v138, -v13 :: v_dual_add_f32 v7, v7, v25
	v_dual_mul_f32 v217, v202, v143 :: v_dual_mul_f32 v219, v204, v145
	s_delay_alu instid0(VALU_DEP_3) | instskip(NEXT) | instid1(VALU_DEP_3)
	v_dual_add_f32 v9, v9, v11 :: v_dual_fma_f32 v11, v200, v140, -v15
	v_dual_fmac_f32 v29, v201, v140 :: v_dual_add_f32 v7, v7, v27
	v_pk_mul_f32 v[118:119], v[162:163], v[146:147] op_sel:[1,1] op_sel_hi:[0,1]
	s_delay_alu instid0(VALU_DEP_3) | instskip(SKIP_2) | instid1(VALU_DEP_2)
	v_dual_add_f32 v9, v9, v13 :: v_dual_fmac_f32 v217, v203, v142
	s_wait_loadcnt 0x3
	v_dual_mov_b32 v124, v153 :: v_dual_fma_f32 v216, v202, v142, -v17
	v_dual_add_f32 v127, v7, v29 :: v_dual_add_f32 v126, v9, v11
	v_fmac_f32_e32 v219, v205, v144
	v_pk_fma_f32 v[128:129], v[162:163], v[146:147], v[118:119] op_sel_hi:[1,0,1]
	v_fma_f32 v218, v204, v144, -v19
	v_pk_mul_f32 v[120:121], v[208:209], v[120:121] op_sel_hi:[1,0]
	v_pk_add_f32 v[126:127], v[126:127], v[216:217]
	v_pk_fma_f32 v[118:119], v[162:163], v[146:147], v[118:119] neg_lo:[0,0,1] neg_hi:[0,0,1]
	v_pk_mul_f32 v[122:123], v[166:167], v[150:151] op_sel:[1,1] op_sel_hi:[0,1]
	v_mov_b32_e32 v119, v129
	v_pk_fma_f32 v[128:129], v[164:165], v[148:149], v[120:121] op_sel_hi:[1,0,1]
	v_pk_add_f32 v[126:127], v[126:127], v[218:219]
	v_pk_fma_f32 v[120:121], v[164:165], v[148:149], v[120:121] neg_lo:[0,0,1] neg_hi:[0,0,1]
	v_pk_fma_f32 v[132:133], v[166:167], v[150:151], v[122:123] op_sel_hi:[1,0,1]
	v_pk_mul_f32 v[124:125], v[210:211], v[124:125] op_sel_hi:[1,0]
	v_mov_b32_e32 v121, v129
	v_pk_add_f32 v[118:119], v[126:127], v[118:119]
	s_wait_loadcnt 0x2
	v_pk_mul_f32 v[130:131], v[170:171], v[154:155] op_sel:[1,1] op_sel_hi:[0,1]
	v_mov_b32_e32 v126, v157
	v_pk_fma_f32 v[122:123], v[166:167], v[150:151], v[122:123] neg_lo:[0,0,1] neg_hi:[0,0,1]
	v_pk_fma_f32 v[128:129], v[168:169], v[152:153], v[124:125] op_sel_hi:[1,0,1]
	v_mov_b32_e32 v123, v133
	v_pk_add_f32 v[118:119], v[118:119], v[120:121]
	v_pk_fma_f32 v[120:121], v[170:171], v[154:155], v[130:131] op_sel_hi:[1,0,1]
	v_pk_mul_f32 v[126:127], v[212:213], v[126:127] op_sel_hi:[1,0]
	v_pk_fma_f32 v[124:125], v[168:169], v[152:153], v[124:125] neg_lo:[0,0,1] neg_hi:[0,0,1]
	v_mov_b32_e32 v125, v129
	v_pk_add_f32 v[118:119], v[118:119], v[122:123]
	v_pk_fma_f32 v[128:129], v[170:171], v[154:155], v[130:131] neg_lo:[0,0,1] neg_hi:[0,0,1]
	v_mov_b32_e32 v129, v121
	v_pk_fma_f32 v[120:121], v[172:173], v[156:157], v[126:127] op_sel_hi:[1,0,1]
	s_wait_loadcnt 0x1
	v_pk_mul_f32 v[122:123], v[174:175], v[158:159] op_sel:[1,1] op_sel_hi:[0,1]
	v_pk_add_f32 v[118:119], v[118:119], v[124:125]
	v_mov_b32_e32 v120, v161
	v_pk_fma_f32 v[126:127], v[172:173], v[156:157], v[126:127] neg_lo:[0,0,1] neg_hi:[0,0,1]
	s_delay_alu instid0(VALU_DEP_4)
	v_pk_fma_f32 v[124:125], v[174:175], v[158:159], v[122:123] op_sel_hi:[1,0,1]
	v_mov_b32_e32 v127, v121
	v_pk_add_f32 v[118:119], v[118:119], v[128:129]
	v_pk_mul_f32 v[120:121], v[214:215], v[120:121] op_sel_hi:[1,0]
	v_pk_fma_f32 v[122:123], v[174:175], v[158:159], v[122:123] neg_lo:[0,0,1] neg_hi:[0,0,1]
	v_mov_b32_e32 v123, v125
	s_delay_alu instid0(VALU_DEP_4) | instskip(NEXT) | instid1(VALU_DEP_4)
	v_pk_add_f32 v[118:119], v[118:119], v[126:127]
	v_pk_fma_f32 v[124:125], v[176:177], v[160:161], v[120:121] op_sel_hi:[1,0,1]
	v_pk_fma_f32 v[120:121], v[176:177], v[160:161], v[120:121] neg_lo:[0,0,1] neg_hi:[0,0,1]
	s_delay_alu instid0(VALU_DEP_3) | instskip(NEXT) | instid1(VALU_DEP_3)
	v_pk_add_f32 v[118:119], v[118:119], v[122:123]
	v_mov_b32_e32 v121, v125
	s_delay_alu instid0(VALU_DEP_1) | instskip(SKIP_1) | instid1(VALU_DEP_1)
	v_pk_add_f32 v[118:119], v[118:119], v[120:121]
	s_wait_loadcnt 0x0
	v_pk_add_f32 v[118:119], v[206:207], v[118:119] neg_lo:[0,1] neg_hi:[0,1]
	scratch_store_b64 off, v[118:119], off offset:280
	s_wait_xcnt 0x0
	v_cmpx_lt_u32_e32 34, v0
	s_cbranch_execz .LBB121_293
; %bb.292:
	scratch_load_b64 v[118:119], off, off offset:272
	v_mov_b64_e32 v[120:121], 0
	scratch_store_b64 off, v[120:121], off offset:272
	s_wait_loadcnt 0x0
	ds_store_b64 v1, v[118:119]
.LBB121_293:
	s_wait_xcnt 0x0
	s_or_b32 exec_lo, exec_lo, s0
	s_wait_storecnt_dscnt 0x0
	s_barrier_signal -1
	s_barrier_wait -1
	s_clause 0xc
	scratch_load_b128 v[118:121], off, off offset:280
	scratch_load_b128 v[122:125], off, off offset:296
	scratch_load_b128 v[126:129], off, off offset:312
	scratch_load_b128 v[130:133], off, off offset:328
	scratch_load_b128 v[134:137], off, off offset:344
	scratch_load_b128 v[138:141], off, off offset:360
	scratch_load_b128 v[142:145], off, off offset:376
	scratch_load_b128 v[146:149], off, off offset:392
	scratch_load_b128 v[150:153], off, off offset:408
	scratch_load_b128 v[154:157], off, off offset:424
	scratch_load_b128 v[158:161], off, off offset:440
	scratch_load_b64 v[206:207], off, off offset:456
	scratch_load_b64 v[208:209], off, off offset:272
	v_mov_b32_e32 v7, 0
	ds_load_2addr_b64 v[162:165], v7 offset0:107 offset1:108
	ds_load_2addr_b64 v[166:169], v7 offset0:109 offset1:110
	;; [unrolled: 1-line block ×11, first 2 shown]
	ds_load_b64 v[210:211], v7 offset:920
	s_mov_b32 s0, exec_lo
	s_wait_dscnt 0xb
	v_dual_mov_b32 v212, v165 :: v_dual_mov_b32 v213, v164
	s_wait_dscnt 0x8
	v_dual_mov_b32 v214, v169 :: v_dual_mov_b32 v219, v176
	v_dual_mov_b32 v215, v168 :: v_dual_mov_b32 v216, v173
	;; [unrolled: 1-line block ×3, first 2 shown]
	s_wait_loadcnt_dscnt 0xc07
	v_dual_mul_f32 v9, v178, v119 :: v_dual_mul_f32 v35, v179, v119
	v_dual_mul_f32 v37, v181, v121 :: v_dual_mul_f32 v11, v180, v121
	s_wait_loadcnt_dscnt 0xb06
	v_mul_f32_e32 v13, v182, v123
	s_wait_loadcnt_dscnt 0x904
	v_dual_mul_f32 v47, v191, v131 :: v_dual_fma_f32 v35, v178, v118, -v35
	v_dual_fmac_f32 v9, v179, v118 :: v_dual_mul_f32 v49, v193, v133
	v_dual_mul_f32 v39, v183, v123 :: v_dual_mul_f32 v41, v185, v125
	v_dual_fmac_f32 v11, v181, v120 :: v_dual_fma_f32 v37, v180, v120, -v37
	s_delay_alu instid0(VALU_DEP_3) | instskip(SKIP_3) | instid1(VALU_DEP_3)
	v_dual_add_f32 v9, 0, v9 :: v_dual_add_f32 v35, 0, v35
	v_dual_mul_f32 v15, v184, v125 :: v_dual_mul_f32 v17, v186, v127
	s_wait_loadcnt_dscnt 0x803
	v_dual_mul_f32 v51, v195, v135 :: v_dual_fma_f32 v39, v182, v122, -v39
	v_dual_fmac_f32 v13, v183, v122 :: v_dual_add_f32 v9, v9, v11
	s_delay_alu instid0(VALU_DEP_3) | instskip(SKIP_2) | instid1(VALU_DEP_3)
	v_dual_add_f32 v11, v35, v37 :: v_dual_fmac_f32 v15, v185, v124
	v_dual_mul_f32 v43, v187, v127 :: v_dual_mul_f32 v45, v189, v129
	v_dual_mul_f32 v35, v197, v137 :: v_dual_fma_f32 v37, v184, v124, -v41
	v_dual_add_f32 v9, v9, v13 :: v_dual_add_f32 v11, v11, v39
	v_dual_mul_f32 v19, v188, v129 :: v_dual_mul_f32 v21, v190, v131
	s_wait_loadcnt_dscnt 0x701
	v_dual_mul_f32 v13, v203, v139 :: v_dual_fma_f32 v39, v186, v126, -v43
	s_delay_alu instid0(VALU_DEP_3) | instskip(NEXT) | instid1(VALU_DEP_3)
	v_dual_fmac_f32 v17, v187, v126 :: v_dual_add_f32 v9, v9, v15
	v_dual_add_f32 v11, v11, v37 :: v_dual_fmac_f32 v19, v189, v128
	v_dual_mul_f32 v15, v205, v141 :: v_dual_fma_f32 v37, v188, v128, -v45
	s_delay_alu instid0(VALU_DEP_2) | instskip(SKIP_3) | instid1(VALU_DEP_3)
	v_dual_add_f32 v9, v9, v17 :: v_dual_add_f32 v11, v11, v39
	v_dual_mul_f32 v23, v192, v133 :: v_dual_mul_f32 v25, v194, v135
	s_wait_loadcnt 0x6
	v_dual_mul_f32 v17, v199, v143 :: v_dual_fma_f32 v39, v190, v130, -v47
	v_dual_fmac_f32 v21, v191, v130 :: v_dual_add_f32 v9, v9, v19
	s_delay_alu instid0(VALU_DEP_3) | instskip(SKIP_1) | instid1(VALU_DEP_2)
	v_dual_add_f32 v11, v11, v37 :: v_dual_fmac_f32 v23, v193, v132
	v_dual_mul_f32 v19, v201, v145 :: v_dual_fma_f32 v37, v192, v132, -v49
	v_dual_add_f32 v9, v9, v21 :: v_dual_add_f32 v11, v11, v39
	v_dual_mul_f32 v27, v196, v137 :: v_dual_mul_f32 v29, v202, v139
	s_wait_loadcnt 0x5
	v_dual_mul_f32 v21, v163, v147 :: v_dual_fma_f32 v39, v194, v134, -v51
	s_delay_alu instid0(VALU_DEP_3) | instskip(SKIP_2) | instid1(VALU_DEP_3)
	v_dual_fmac_f32 v25, v195, v134 :: v_dual_add_f32 v9, v9, v23
	v_dual_add_f32 v11, v11, v37 :: v_dual_mov_b32 v118, v149
	v_fmac_f32_e32 v27, v197, v136
	v_dual_fma_f32 v23, v196, v136, -v35 :: v_dual_add_f32 v9, v9, v25
	s_delay_alu instid0(VALU_DEP_3) | instskip(SKIP_1) | instid1(VALU_DEP_3)
	v_dual_add_f32 v11, v11, v39 :: v_dual_mul_f32 v31, v204, v141
	v_dual_mul_f32 v33, v198, v143 :: v_dual_fmac_f32 v29, v203, v138
	v_dual_add_f32 v9, v9, v27 :: v_dual_fma_f32 v13, v202, v138, -v13
	s_wait_loadcnt 0x4
	s_delay_alu instid0(VALU_DEP_3) | instskip(SKIP_3) | instid1(VALU_DEP_4)
	v_dual_add_f32 v11, v11, v23 :: v_dual_mov_b32 v122, v153
	v_fma_f32 v15, v204, v140, -v15
	v_fmac_f32_e32 v31, v205, v140
	v_dual_add_f32 v9, v9, v29 :: v_dual_fmac_f32 v33, v199, v142
	v_add_f32_e32 v11, v11, v13
	v_dual_mul_f32 v221, v200, v145 :: v_dual_mul_f32 v223, v162, v147
	s_delay_alu instid0(VALU_DEP_3) | instskip(NEXT) | instid1(VALU_DEP_2)
	v_dual_fma_f32 v13, v198, v142, -v17 :: v_dual_add_f32 v9, v9, v31
	v_dual_add_f32 v11, v11, v15 :: v_dual_fmac_f32 v221, v201, v144
	v_fma_f32 v220, v200, v144, -v19
	v_pk_mul_f32 v[118:119], v[212:213], v[118:119] op_sel_hi:[1,0]
	s_delay_alu instid0(VALU_DEP_4)
	v_add_f32_e32 v127, v9, v33
	s_wait_loadcnt 0x3
	v_dual_add_f32 v126, v11, v13 :: v_dual_mov_b32 v128, v157
	v_pk_mul_f32 v[120:121], v[166:167], v[150:151] op_sel:[1,1] op_sel_hi:[0,1]
	v_dual_fmac_f32 v223, v163, v146 :: v_dual_fma_f32 v222, v162, v146, -v21
	v_pk_fma_f32 v[130:131], v[164:165], v[148:149], v[118:119] op_sel_hi:[1,0,1]
	s_delay_alu instid0(VALU_DEP_4)
	v_pk_add_f32 v[126:127], v[126:127], v[220:221]
	v_pk_fma_f32 v[118:119], v[164:165], v[148:149], v[118:119] neg_lo:[0,0,1] neg_hi:[0,0,1]
	v_pk_fma_f32 v[132:133], v[166:167], v[150:151], v[120:121] op_sel_hi:[1,0,1]
	v_pk_mul_f32 v[122:123], v[214:215], v[122:123] op_sel_hi:[1,0]
	v_mov_b32_e32 v119, v131
	v_pk_add_f32 v[126:127], v[126:127], v[222:223]
	v_pk_fma_f32 v[120:121], v[166:167], v[150:151], v[120:121] neg_lo:[0,0,1] neg_hi:[0,0,1]
	v_pk_mul_f32 v[124:125], v[170:171], v[154:155] op_sel:[1,1] op_sel_hi:[0,1]
	v_mov_b32_e32 v121, v133
	v_pk_fma_f32 v[132:133], v[168:169], v[152:153], v[122:123] op_sel_hi:[1,0,1]
	v_pk_add_f32 v[118:119], v[126:127], v[118:119]
	v_pk_fma_f32 v[122:123], v[168:169], v[152:153], v[122:123] neg_lo:[0,0,1] neg_hi:[0,0,1]
	v_pk_fma_f32 v[126:127], v[170:171], v[154:155], v[124:125] op_sel_hi:[1,0,1]
	v_pk_mul_f32 v[128:129], v[216:217], v[128:129] op_sel_hi:[1,0]
	v_mov_b32_e32 v123, v133
	v_pk_add_f32 v[118:119], v[118:119], v[120:121]
	v_pk_fma_f32 v[124:125], v[170:171], v[154:155], v[124:125] neg_lo:[0,0,1] neg_hi:[0,0,1]
	s_wait_loadcnt 0x2
	v_pk_mul_f32 v[130:131], v[174:175], v[158:159] op_sel:[1,1] op_sel_hi:[0,1]
	v_dual_mov_b32 v120, v161 :: v_dual_mov_b32 v125, v127
	v_pk_fma_f32 v[126:127], v[172:173], v[156:157], v[128:129] op_sel_hi:[1,0,1]
	v_pk_add_f32 v[118:119], v[118:119], v[122:123]
	v_pk_fma_f32 v[128:129], v[172:173], v[156:157], v[128:129] neg_lo:[0,0,1] neg_hi:[0,0,1]
	v_pk_fma_f32 v[122:123], v[174:175], v[158:159], v[130:131] op_sel_hi:[1,0,1]
	v_pk_mul_f32 v[120:121], v[218:219], v[120:121] op_sel_hi:[1,0]
	v_mov_b32_e32 v129, v127
	v_pk_add_f32 v[118:119], v[118:119], v[124:125]
	v_pk_fma_f32 v[124:125], v[174:175], v[158:159], v[130:131] neg_lo:[0,0,1] neg_hi:[0,0,1]
	v_mov_b32_e32 v125, v123
	v_pk_fma_f32 v[122:123], v[176:177], v[160:161], v[120:121] op_sel_hi:[1,0,1]
	s_wait_loadcnt_dscnt 0x100
	v_pk_mul_f32 v[126:127], v[210:211], v[206:207] op_sel:[1,1] op_sel_hi:[0,1]
	v_pk_add_f32 v[118:119], v[118:119], v[128:129]
	v_pk_fma_f32 v[120:121], v[176:177], v[160:161], v[120:121] neg_lo:[0,0,1] neg_hi:[0,0,1]
	v_mov_b32_e32 v121, v123
	s_delay_alu instid0(VALU_DEP_4) | instskip(NEXT) | instid1(VALU_DEP_4)
	v_pk_fma_f32 v[122:123], v[210:211], v[206:207], v[126:127] op_sel_hi:[1,0,1]
	v_pk_add_f32 v[118:119], v[118:119], v[124:125]
	v_pk_fma_f32 v[124:125], v[210:211], v[206:207], v[126:127] neg_lo:[0,0,1] neg_hi:[0,0,1]
	s_delay_alu instid0(VALU_DEP_3) | instskip(NEXT) | instid1(VALU_DEP_3)
	v_mov_b32_e32 v125, v123
	v_pk_add_f32 v[118:119], v[118:119], v[120:121]
	s_delay_alu instid0(VALU_DEP_1) | instskip(SKIP_1) | instid1(VALU_DEP_1)
	v_pk_add_f32 v[118:119], v[118:119], v[124:125]
	s_wait_loadcnt 0x0
	v_pk_add_f32 v[118:119], v[208:209], v[118:119] neg_lo:[0,1] neg_hi:[0,1]
	scratch_store_b64 off, v[118:119], off offset:272
	s_wait_xcnt 0x0
	v_cmpx_lt_u32_e32 33, v0
	s_cbranch_execz .LBB121_295
; %bb.294:
	scratch_load_b64 v[118:119], off, off offset:264
	v_mov_b64_e32 v[120:121], 0
	scratch_store_b64 off, v[120:121], off offset:264
	s_wait_loadcnt 0x0
	ds_store_b64 v1, v[118:119]
.LBB121_295:
	s_wait_xcnt 0x0
	s_or_b32 exec_lo, exec_lo, s0
	s_wait_storecnt_dscnt 0x0
	s_barrier_signal -1
	s_barrier_wait -1
	s_clause 0xc
	scratch_load_b128 v[118:121], off, off offset:272
	scratch_load_b128 v[122:125], off, off offset:288
	;; [unrolled: 1-line block ×12, first 2 shown]
	scratch_load_b64 v[214:215], off, off offset:264
	ds_load_b128 v[166:169], v7 offset:864
	ds_load_b128 v[170:173], v7 offset:880
	;; [unrolled: 1-line block ×12, first 2 shown]
	s_mov_b32 s0, exec_lo
	s_wait_dscnt 0xb
	v_dual_mov_b32 v216, v169 :: v_dual_mov_b32 v217, v168
	s_wait_dscnt 0xa
	v_dual_mov_b32 v218, v173 :: v_dual_mov_b32 v219, v172
	s_wait_dscnt 0x9
	v_dual_mov_b32 v220, v177 :: v_dual_mov_b32 v221, v176
	s_wait_dscnt 0x8
	v_dual_mov_b32 v222, v181 :: v_dual_mov_b32 v223, v180
	s_wait_loadcnt_dscnt 0xc07
	v_dual_mul_f32 v7, v182, v119 :: v_dual_mul_f32 v9, v184, v121
	v_dual_mul_f32 v35, v183, v119 :: v_dual_mul_f32 v37, v185, v121
	s_wait_loadcnt_dscnt 0xb06
	v_dual_mul_f32 v11, v186, v123 :: v_dual_mul_f32 v13, v188, v125
	s_delay_alu instid0(VALU_DEP_3) | instskip(SKIP_3) | instid1(VALU_DEP_3)
	v_dual_fmac_f32 v7, v183, v118 :: v_dual_fmac_f32 v9, v185, v120
	s_wait_loadcnt_dscnt 0x904
	v_dual_fma_f32 v35, v182, v118, -v35 :: v_dual_mul_f32 v47, v195, v131
	v_dual_mul_f32 v39, v187, v123 :: v_dual_mul_f32 v41, v189, v125
	v_dual_fma_f32 v37, v184, v120, -v37 :: v_dual_add_f32 v7, 0, v7
	s_delay_alu instid0(VALU_DEP_3) | instskip(SKIP_1) | instid1(VALU_DEP_3)
	v_dual_add_f32 v35, 0, v35 :: v_dual_mul_f32 v49, v197, v133
	v_dual_fmac_f32 v11, v187, v122 :: v_dual_fmac_f32 v13, v189, v124
	v_dual_fma_f32 v39, v186, v122, -v39 :: v_dual_add_f32 v7, v7, v9
	s_delay_alu instid0(VALU_DEP_3) | instskip(SKIP_2) | instid1(VALU_DEP_4)
	v_dual_add_f32 v9, v35, v37 :: v_dual_fma_f32 v37, v188, v124, -v41
	v_dual_mul_f32 v15, v190, v127 :: v_dual_mul_f32 v17, v192, v129
	v_dual_mul_f32 v43, v191, v127 :: v_dual_mul_f32 v45, v193, v129
	v_add_f32_e32 v7, v7, v11
	s_delay_alu instid0(VALU_DEP_3) | instskip(NEXT) | instid1(VALU_DEP_3)
	v_dual_add_f32 v9, v9, v39 :: v_dual_fmac_f32 v15, v191, v126
	v_fma_f32 v39, v190, v126, -v43
	v_dual_mul_f32 v19, v194, v131 :: v_dual_mul_f32 v21, v196, v133
	s_delay_alu instid0(VALU_DEP_4) | instskip(SKIP_2) | instid1(VALU_DEP_2)
	v_dual_add_f32 v7, v7, v13 :: v_dual_fmac_f32 v17, v193, v128
	s_wait_loadcnt_dscnt 0x702
	v_dual_add_f32 v9, v9, v37 :: v_dual_mul_f32 v13, v203, v139
	v_dual_fma_f32 v37, v192, v128, -v45 :: v_dual_add_f32 v7, v7, v15
	v_mul_f32_e32 v15, v205, v141
	s_delay_alu instid0(VALU_DEP_3) | instskip(NEXT) | instid1(VALU_DEP_3)
	v_dual_add_f32 v9, v9, v39 :: v_dual_fmac_f32 v19, v195, v130
	v_dual_fma_f32 v39, v194, v130, -v47 :: v_dual_add_f32 v7, v7, v17
	v_fmac_f32_e32 v21, v197, v132
	s_wait_loadcnt_dscnt 0x601
	s_delay_alu instid0(VALU_DEP_3) | instskip(SKIP_3) | instid1(VALU_DEP_3)
	v_dual_add_f32 v9, v9, v37 :: v_dual_mul_f32 v17, v207, v143
	v_dual_mul_f32 v23, v198, v135 :: v_dual_mul_f32 v25, v200, v137
	v_dual_mul_f32 v35, v199, v135 :: v_dual_mul_f32 v11, v201, v137
	v_dual_fma_f32 v37, v196, v132, -v49 :: v_dual_add_f32 v7, v7, v19
	v_dual_add_f32 v9, v9, v39 :: v_dual_fmac_f32 v23, v199, v134
	s_delay_alu instid0(VALU_DEP_3) | instskip(NEXT) | instid1(VALU_DEP_3)
	v_dual_mul_f32 v19, v209, v145 :: v_dual_fma_f32 v35, v198, v134, -v35
	v_dual_add_f32 v7, v7, v21 :: v_dual_fmac_f32 v25, v201, v136
	s_wait_loadcnt_dscnt 0x500
	s_delay_alu instid0(VALU_DEP_3) | instskip(SKIP_1) | instid1(VALU_DEP_3)
	v_dual_add_f32 v9, v9, v37 :: v_dual_mul_f32 v21, v211, v147
	v_dual_mul_f32 v27, v202, v139 :: v_dual_mul_f32 v29, v204, v141
	v_dual_fma_f32 v11, v200, v136, -v11 :: v_dual_add_f32 v7, v7, v23
	s_delay_alu instid0(VALU_DEP_2) | instskip(SKIP_1) | instid1(VALU_DEP_2)
	v_dual_add_f32 v9, v9, v35 :: v_dual_fmac_f32 v27, v203, v138
	v_dual_mul_f32 v23, v213, v149 :: v_dual_fma_f32 v13, v202, v138, -v13
	v_dual_add_f32 v7, v7, v25 :: v_dual_add_f32 v9, v9, v11
	v_dual_mul_f32 v31, v206, v143 :: v_dual_mul_f32 v33, v208, v145
	v_dual_fmac_f32 v29, v205, v140 :: v_dual_fma_f32 v11, v204, v140, -v15
	s_delay_alu instid0(VALU_DEP_3) | instskip(SKIP_1) | instid1(VALU_DEP_3)
	v_dual_add_f32 v7, v7, v27 :: v_dual_add_f32 v9, v9, v13
	s_wait_loadcnt 0x4
	v_dual_mov_b32 v120, v153 :: v_dual_fmac_f32 v31, v207, v142
	s_delay_alu instid0(VALU_DEP_2) | instskip(NEXT) | instid1(VALU_DEP_3)
	v_dual_fma_f32 v13, v206, v142, -v17 :: v_dual_add_f32 v7, v7, v29
	v_dual_add_f32 v9, v9, v11 :: v_dual_fma_f32 v11, v208, v144, -v19
	v_dual_mul_f32 v225, v210, v147 :: v_dual_mul_f32 v227, v212, v149
	s_delay_alu instid0(VALU_DEP_3) | instskip(NEXT) | instid1(VALU_DEP_2)
	v_dual_fmac_f32 v33, v209, v144 :: v_dual_add_f32 v7, v7, v31
	v_dual_add_f32 v9, v9, v13 :: v_dual_fmac_f32 v225, v211, v146
	v_pk_mul_f32 v[118:119], v[166:167], v[150:151] op_sel:[1,1] op_sel_hi:[0,1]
	s_wait_loadcnt 0x3
	v_dual_mov_b32 v124, v157 :: v_dual_fma_f32 v224, v210, v146, -v21
	s_delay_alu instid0(VALU_DEP_3)
	v_dual_add_f32 v127, v7, v33 :: v_dual_add_f32 v126, v9, v11
	v_fmac_f32_e32 v227, v213, v148
	v_pk_fma_f32 v[128:129], v[166:167], v[150:151], v[118:119] op_sel_hi:[1,0,1]
	v_fma_f32 v226, v212, v148, -v23
	v_pk_mul_f32 v[120:121], v[216:217], v[120:121] op_sel_hi:[1,0]
	v_pk_add_f32 v[126:127], v[126:127], v[224:225]
	v_pk_fma_f32 v[118:119], v[166:167], v[150:151], v[118:119] neg_lo:[0,0,1] neg_hi:[0,0,1]
	v_pk_mul_f32 v[122:123], v[170:171], v[154:155] op_sel:[1,1] op_sel_hi:[0,1]
	v_mov_b32_e32 v119, v129
	v_pk_fma_f32 v[128:129], v[168:169], v[152:153], v[120:121] op_sel_hi:[1,0,1]
	v_pk_add_f32 v[126:127], v[126:127], v[226:227]
	v_pk_fma_f32 v[120:121], v[168:169], v[152:153], v[120:121] neg_lo:[0,0,1] neg_hi:[0,0,1]
	v_pk_fma_f32 v[132:133], v[170:171], v[154:155], v[122:123] op_sel_hi:[1,0,1]
	v_pk_mul_f32 v[124:125], v[218:219], v[124:125] op_sel_hi:[1,0]
	v_mov_b32_e32 v121, v129
	v_pk_add_f32 v[118:119], v[126:127], v[118:119]
	s_wait_loadcnt 0x2
	v_pk_mul_f32 v[130:131], v[174:175], v[158:159] op_sel:[1,1] op_sel_hi:[0,1]
	v_mov_b32_e32 v126, v161
	v_pk_fma_f32 v[122:123], v[170:171], v[154:155], v[122:123] neg_lo:[0,0,1] neg_hi:[0,0,1]
	v_pk_fma_f32 v[128:129], v[172:173], v[156:157], v[124:125] op_sel_hi:[1,0,1]
	v_mov_b32_e32 v123, v133
	v_pk_add_f32 v[118:119], v[118:119], v[120:121]
	v_pk_fma_f32 v[120:121], v[174:175], v[158:159], v[130:131] op_sel_hi:[1,0,1]
	v_pk_mul_f32 v[126:127], v[220:221], v[126:127] op_sel_hi:[1,0]
	v_pk_fma_f32 v[124:125], v[172:173], v[156:157], v[124:125] neg_lo:[0,0,1] neg_hi:[0,0,1]
	v_mov_b32_e32 v125, v129
	v_pk_add_f32 v[118:119], v[118:119], v[122:123]
	v_pk_fma_f32 v[128:129], v[174:175], v[158:159], v[130:131] neg_lo:[0,0,1] neg_hi:[0,0,1]
	v_mov_b32_e32 v129, v121
	v_pk_fma_f32 v[120:121], v[176:177], v[160:161], v[126:127] op_sel_hi:[1,0,1]
	s_wait_loadcnt 0x1
	v_pk_mul_f32 v[122:123], v[178:179], v[162:163] op_sel:[1,1] op_sel_hi:[0,1]
	v_pk_add_f32 v[118:119], v[118:119], v[124:125]
	v_mov_b32_e32 v120, v165
	v_pk_fma_f32 v[126:127], v[176:177], v[160:161], v[126:127] neg_lo:[0,0,1] neg_hi:[0,0,1]
	s_delay_alu instid0(VALU_DEP_4)
	v_pk_fma_f32 v[124:125], v[178:179], v[162:163], v[122:123] op_sel_hi:[1,0,1]
	v_mov_b32_e32 v127, v121
	v_pk_add_f32 v[118:119], v[118:119], v[128:129]
	v_pk_mul_f32 v[120:121], v[222:223], v[120:121] op_sel_hi:[1,0]
	v_pk_fma_f32 v[122:123], v[178:179], v[162:163], v[122:123] neg_lo:[0,0,1] neg_hi:[0,0,1]
	v_mov_b32_e32 v123, v125
	s_delay_alu instid0(VALU_DEP_4) | instskip(NEXT) | instid1(VALU_DEP_4)
	v_pk_add_f32 v[118:119], v[118:119], v[126:127]
	v_pk_fma_f32 v[124:125], v[180:181], v[164:165], v[120:121] op_sel_hi:[1,0,1]
	v_pk_fma_f32 v[120:121], v[180:181], v[164:165], v[120:121] neg_lo:[0,0,1] neg_hi:[0,0,1]
	s_delay_alu instid0(VALU_DEP_3) | instskip(NEXT) | instid1(VALU_DEP_3)
	v_pk_add_f32 v[118:119], v[118:119], v[122:123]
	v_mov_b32_e32 v121, v125
	s_delay_alu instid0(VALU_DEP_1) | instskip(SKIP_1) | instid1(VALU_DEP_1)
	v_pk_add_f32 v[118:119], v[118:119], v[120:121]
	s_wait_loadcnt 0x0
	v_pk_add_f32 v[118:119], v[214:215], v[118:119] neg_lo:[0,1] neg_hi:[0,1]
	scratch_store_b64 off, v[118:119], off offset:264
	s_wait_xcnt 0x0
	v_cmpx_lt_u32_e32 32, v0
	s_cbranch_execz .LBB121_297
; %bb.296:
	scratch_load_b64 v[118:119], off, off offset:256
	v_mov_b64_e32 v[120:121], 0
	scratch_store_b64 off, v[120:121], off offset:256
	s_wait_loadcnt 0x0
	ds_store_b64 v1, v[118:119]
.LBB121_297:
	s_wait_xcnt 0x0
	s_or_b32 exec_lo, exec_lo, s0
	s_wait_storecnt_dscnt 0x0
	s_barrier_signal -1
	s_barrier_wait -1
	s_clause 0xd
	scratch_load_b128 v[118:121], off, off offset:264
	scratch_load_b128 v[122:125], off, off offset:280
	;; [unrolled: 1-line block ×12, first 2 shown]
	scratch_load_b64 v[214:215], off, off offset:456
	scratch_load_b64 v[216:217], off, off offset:256
	v_mov_b32_e32 v7, 0
	ds_load_2addr_b64 v[166:169], v7 offset0:107 offset1:108
	ds_load_2addr_b64 v[170:173], v7 offset0:109 offset1:110
	;; [unrolled: 1-line block ×12, first 2 shown]
	ds_load_b64 v[218:219], v7 offset:920
	s_mov_b32 s0, exec_lo
	s_wait_dscnt 0xc
	v_dual_mov_b32 v220, v169 :: v_dual_mov_b32 v221, v168
	s_wait_dscnt 0x9
	v_dual_mov_b32 v222, v173 :: v_dual_mov_b32 v227, v180
	v_dual_mov_b32 v223, v172 :: v_dual_mov_b32 v224, v177
	;; [unrolled: 1-line block ×3, first 2 shown]
	s_wait_loadcnt_dscnt 0xd08
	v_dual_mul_f32 v9, v182, v119 :: v_dual_mul_f32 v39, v183, v119
	v_dual_mul_f32 v41, v185, v121 :: v_dual_mul_f32 v11, v184, v121
	s_wait_loadcnt_dscnt 0xc07
	v_mul_f32_e32 v13, v186, v123
	s_wait_loadcnt_dscnt 0xa05
	v_dual_mul_f32 v51, v195, v131 :: v_dual_fma_f32 v39, v182, v118, -v39
	v_dual_fmac_f32 v9, v183, v118 :: v_dual_mul_f32 v53, v197, v133
	v_dual_mul_f32 v43, v187, v123 :: v_dual_mul_f32 v45, v189, v125
	v_dual_fmac_f32 v11, v185, v120 :: v_dual_fma_f32 v41, v184, v120, -v41
	s_delay_alu instid0(VALU_DEP_3) | instskip(SKIP_3) | instid1(VALU_DEP_3)
	v_dual_add_f32 v9, 0, v9 :: v_dual_add_f32 v39, 0, v39
	v_dual_mul_f32 v15, v188, v125 :: v_dual_mul_f32 v17, v190, v127
	s_wait_loadcnt_dscnt 0x904
	v_dual_mul_f32 v55, v199, v135 :: v_dual_fma_f32 v43, v186, v122, -v43
	v_dual_fmac_f32 v13, v187, v122 :: v_dual_add_f32 v9, v9, v11
	s_delay_alu instid0(VALU_DEP_3) | instskip(SKIP_2) | instid1(VALU_DEP_3)
	v_dual_add_f32 v11, v39, v41 :: v_dual_fmac_f32 v15, v189, v124
	v_dual_mul_f32 v47, v191, v127 :: v_dual_mul_f32 v49, v193, v129
	v_dual_mul_f32 v39, v201, v137 :: v_dual_fma_f32 v41, v188, v124, -v45
	v_dual_add_f32 v9, v9, v13 :: v_dual_add_f32 v11, v11, v43
	v_dual_mul_f32 v19, v192, v129 :: v_dual_mul_f32 v21, v194, v131
	s_wait_loadcnt_dscnt 0x803
	v_dual_mul_f32 v13, v203, v139 :: v_dual_fma_f32 v43, v190, v126, -v47
	s_delay_alu instid0(VALU_DEP_3) | instskip(NEXT) | instid1(VALU_DEP_3)
	v_dual_fmac_f32 v17, v191, v126 :: v_dual_add_f32 v9, v9, v15
	v_dual_add_f32 v11, v11, v41 :: v_dual_fmac_f32 v19, v193, v128
	v_dual_mul_f32 v15, v205, v141 :: v_dual_fma_f32 v41, v192, v128, -v49
	s_delay_alu instid0(VALU_DEP_2) | instskip(SKIP_3) | instid1(VALU_DEP_3)
	v_dual_add_f32 v9, v9, v17 :: v_dual_add_f32 v11, v11, v43
	v_dual_mul_f32 v23, v196, v133 :: v_dual_mul_f32 v25, v198, v135
	s_wait_loadcnt_dscnt 0x702
	v_dual_mul_f32 v17, v207, v143 :: v_dual_fma_f32 v43, v194, v130, -v51
	v_dual_fmac_f32 v21, v195, v130 :: v_dual_add_f32 v9, v9, v19
	s_delay_alu instid0(VALU_DEP_3) | instskip(SKIP_1) | instid1(VALU_DEP_2)
	v_dual_add_f32 v11, v11, v41 :: v_dual_fmac_f32 v23, v197, v132
	v_dual_mul_f32 v19, v209, v145 :: v_dual_fma_f32 v41, v196, v132, -v53
	v_dual_add_f32 v9, v9, v21 :: v_dual_add_f32 v11, v11, v43
	v_dual_mul_f32 v27, v200, v137 :: v_dual_mul_f32 v29, v202, v139
	s_wait_loadcnt_dscnt 0x601
	v_dual_mul_f32 v21, v211, v147 :: v_dual_fma_f32 v43, v198, v134, -v55
	s_delay_alu instid0(VALU_DEP_3) | instskip(NEXT) | instid1(VALU_DEP_3)
	v_dual_fmac_f32 v25, v199, v134 :: v_dual_add_f32 v9, v9, v23
	v_dual_add_f32 v11, v11, v41 :: v_dual_fmac_f32 v27, v201, v136
	v_dual_mul_f32 v23, v213, v149 :: v_dual_fma_f32 v39, v200, v136, -v39
	s_delay_alu instid0(VALU_DEP_2) | instskip(SKIP_3) | instid1(VALU_DEP_3)
	v_dual_add_f32 v9, v9, v25 :: v_dual_add_f32 v11, v11, v43
	v_dual_mul_f32 v31, v204, v141 :: v_dual_mul_f32 v33, v206, v143
	s_wait_loadcnt 0x5
	v_dual_mul_f32 v25, v167, v151 :: v_dual_fma_f32 v13, v202, v138, -v13
	v_dual_fmac_f32 v29, v203, v138 :: v_dual_add_f32 v9, v9, v27
	v_dual_add_f32 v11, v11, v39 :: v_dual_mov_b32 v118, v153
	v_fmac_f32_e32 v31, v205, v140
	s_delay_alu instid0(VALU_DEP_3) | instskip(NEXT) | instid1(VALU_DEP_3)
	v_dual_fma_f32 v15, v204, v140, -v15 :: v_dual_add_f32 v9, v9, v29
	v_add_f32_e32 v11, v11, v13
	v_dual_mul_f32 v35, v208, v145 :: v_dual_mul_f32 v37, v210, v147
	s_delay_alu instid0(VALU_DEP_3) | instskip(NEXT) | instid1(VALU_DEP_3)
	v_dual_fmac_f32 v33, v207, v142 :: v_dual_add_f32 v9, v9, v31
	v_dual_fma_f32 v13, v206, v142, -v17 :: v_dual_add_f32 v11, v11, v15
	s_wait_loadcnt 0x4
	v_dual_mov_b32 v122, v157 :: v_dual_fma_f32 v15, v208, v144, -v19
	v_fmac_f32_e32 v35, v209, v144
	v_dual_add_f32 v9, v9, v33 :: v_dual_fmac_f32 v37, v211, v146
	v_add_f32_e32 v11, v11, v13
	v_dual_mul_f32 v229, v212, v149 :: v_dual_mul_f32 v231, v166, v151
	s_delay_alu instid0(VALU_DEP_3) | instskip(NEXT) | instid1(VALU_DEP_2)
	v_dual_fma_f32 v13, v210, v146, -v21 :: v_dual_add_f32 v9, v9, v35
	v_dual_add_f32 v11, v11, v15 :: v_dual_fmac_f32 v229, v213, v148
	v_fma_f32 v228, v212, v148, -v23
	v_pk_mul_f32 v[118:119], v[220:221], v[118:119] op_sel_hi:[1,0]
	s_delay_alu instid0(VALU_DEP_4)
	v_add_f32_e32 v127, v9, v37
	s_wait_loadcnt 0x3
	v_dual_add_f32 v126, v11, v13 :: v_dual_mov_b32 v128, v161
	v_pk_mul_f32 v[120:121], v[170:171], v[154:155] op_sel:[1,1] op_sel_hi:[0,1]
	v_dual_fmac_f32 v231, v167, v150 :: v_dual_fma_f32 v230, v166, v150, -v25
	v_pk_fma_f32 v[130:131], v[168:169], v[152:153], v[118:119] op_sel_hi:[1,0,1]
	s_delay_alu instid0(VALU_DEP_4)
	v_pk_add_f32 v[126:127], v[126:127], v[228:229]
	v_pk_fma_f32 v[118:119], v[168:169], v[152:153], v[118:119] neg_lo:[0,0,1] neg_hi:[0,0,1]
	v_pk_fma_f32 v[132:133], v[170:171], v[154:155], v[120:121] op_sel_hi:[1,0,1]
	v_pk_mul_f32 v[122:123], v[222:223], v[122:123] op_sel_hi:[1,0]
	v_mov_b32_e32 v119, v131
	v_pk_add_f32 v[126:127], v[126:127], v[230:231]
	v_pk_fma_f32 v[120:121], v[170:171], v[154:155], v[120:121] neg_lo:[0,0,1] neg_hi:[0,0,1]
	v_pk_mul_f32 v[124:125], v[174:175], v[158:159] op_sel:[1,1] op_sel_hi:[0,1]
	v_mov_b32_e32 v121, v133
	v_pk_fma_f32 v[132:133], v[172:173], v[156:157], v[122:123] op_sel_hi:[1,0,1]
	v_pk_add_f32 v[118:119], v[126:127], v[118:119]
	v_pk_fma_f32 v[122:123], v[172:173], v[156:157], v[122:123] neg_lo:[0,0,1] neg_hi:[0,0,1]
	v_pk_fma_f32 v[126:127], v[174:175], v[158:159], v[124:125] op_sel_hi:[1,0,1]
	v_pk_mul_f32 v[128:129], v[224:225], v[128:129] op_sel_hi:[1,0]
	v_mov_b32_e32 v123, v133
	v_pk_add_f32 v[118:119], v[118:119], v[120:121]
	v_pk_fma_f32 v[124:125], v[174:175], v[158:159], v[124:125] neg_lo:[0,0,1] neg_hi:[0,0,1]
	s_wait_loadcnt 0x2
	v_pk_mul_f32 v[130:131], v[178:179], v[162:163] op_sel:[1,1] op_sel_hi:[0,1]
	v_dual_mov_b32 v120, v165 :: v_dual_mov_b32 v125, v127
	v_pk_fma_f32 v[126:127], v[176:177], v[160:161], v[128:129] op_sel_hi:[1,0,1]
	v_pk_add_f32 v[118:119], v[118:119], v[122:123]
	v_pk_fma_f32 v[128:129], v[176:177], v[160:161], v[128:129] neg_lo:[0,0,1] neg_hi:[0,0,1]
	v_pk_fma_f32 v[122:123], v[178:179], v[162:163], v[130:131] op_sel_hi:[1,0,1]
	v_pk_mul_f32 v[120:121], v[226:227], v[120:121] op_sel_hi:[1,0]
	v_mov_b32_e32 v129, v127
	v_pk_add_f32 v[118:119], v[118:119], v[124:125]
	v_pk_fma_f32 v[124:125], v[178:179], v[162:163], v[130:131] neg_lo:[0,0,1] neg_hi:[0,0,1]
	v_mov_b32_e32 v125, v123
	v_pk_fma_f32 v[122:123], v[180:181], v[164:165], v[120:121] op_sel_hi:[1,0,1]
	s_wait_loadcnt_dscnt 0x100
	v_pk_mul_f32 v[126:127], v[218:219], v[214:215] op_sel:[1,1] op_sel_hi:[0,1]
	v_pk_add_f32 v[118:119], v[118:119], v[128:129]
	v_pk_fma_f32 v[120:121], v[180:181], v[164:165], v[120:121] neg_lo:[0,0,1] neg_hi:[0,0,1]
	v_mov_b32_e32 v121, v123
	s_delay_alu instid0(VALU_DEP_4) | instskip(NEXT) | instid1(VALU_DEP_4)
	v_pk_fma_f32 v[122:123], v[218:219], v[214:215], v[126:127] op_sel_hi:[1,0,1]
	v_pk_add_f32 v[118:119], v[118:119], v[124:125]
	v_pk_fma_f32 v[124:125], v[218:219], v[214:215], v[126:127] neg_lo:[0,0,1] neg_hi:[0,0,1]
	s_delay_alu instid0(VALU_DEP_3) | instskip(NEXT) | instid1(VALU_DEP_3)
	v_mov_b32_e32 v125, v123
	v_pk_add_f32 v[118:119], v[118:119], v[120:121]
	s_delay_alu instid0(VALU_DEP_1) | instskip(SKIP_1) | instid1(VALU_DEP_1)
	v_pk_add_f32 v[118:119], v[118:119], v[124:125]
	s_wait_loadcnt 0x0
	v_pk_add_f32 v[118:119], v[216:217], v[118:119] neg_lo:[0,1] neg_hi:[0,1]
	scratch_store_b64 off, v[118:119], off offset:256
	s_wait_xcnt 0x0
	v_cmpx_lt_u32_e32 31, v0
	s_cbranch_execz .LBB121_299
; %bb.298:
	scratch_load_b64 v[118:119], off, off offset:248
	v_mov_b64_e32 v[120:121], 0
	scratch_store_b64 off, v[120:121], off offset:248
	s_wait_loadcnt 0x0
	ds_store_b64 v1, v[118:119]
.LBB121_299:
	s_wait_xcnt 0x0
	s_or_b32 exec_lo, exec_lo, s0
	s_wait_storecnt_dscnt 0x0
	s_barrier_signal -1
	s_barrier_wait -1
	s_clause 0xd
	scratch_load_b128 v[118:121], off, off offset:256
	scratch_load_b128 v[122:125], off, off offset:272
	;; [unrolled: 1-line block ×13, first 2 shown]
	scratch_load_b64 v[222:223], off, off offset:248
	ds_load_b128 v[170:173], v7 offset:864
	ds_load_b128 v[174:177], v7 offset:880
	;; [unrolled: 1-line block ×13, first 2 shown]
	s_mov_b32 s0, exec_lo
	s_wait_dscnt 0xc
	v_dual_mov_b32 v224, v173 :: v_dual_mov_b32 v225, v172
	s_wait_dscnt 0xb
	v_dual_mov_b32 v226, v177 :: v_dual_mov_b32 v227, v176
	s_wait_dscnt 0xa
	v_dual_mov_b32 v228, v181 :: v_dual_mov_b32 v229, v180
	s_wait_dscnt 0x9
	v_dual_mov_b32 v230, v185 :: v_dual_mov_b32 v231, v184
	s_wait_loadcnt_dscnt 0xd08
	v_dual_mul_f32 v7, v186, v119 :: v_dual_mul_f32 v9, v188, v121
	v_dual_mul_f32 v39, v187, v119 :: v_dual_mul_f32 v41, v189, v121
	s_wait_loadcnt_dscnt 0xc07
	v_dual_mul_f32 v11, v190, v123 :: v_dual_mul_f32 v13, v192, v125
	s_delay_alu instid0(VALU_DEP_3) | instskip(SKIP_3) | instid1(VALU_DEP_3)
	v_dual_fmac_f32 v7, v187, v118 :: v_dual_fmac_f32 v9, v189, v120
	s_wait_loadcnt_dscnt 0xa05
	v_dual_fma_f32 v39, v186, v118, -v39 :: v_dual_mul_f32 v51, v199, v131
	v_dual_mul_f32 v43, v191, v123 :: v_dual_mul_f32 v45, v193, v125
	v_dual_fma_f32 v41, v188, v120, -v41 :: v_dual_add_f32 v7, 0, v7
	s_delay_alu instid0(VALU_DEP_3) | instskip(SKIP_1) | instid1(VALU_DEP_3)
	v_dual_add_f32 v39, 0, v39 :: v_dual_mul_f32 v53, v201, v133
	v_dual_fmac_f32 v11, v191, v122 :: v_dual_fmac_f32 v13, v193, v124
	v_dual_fma_f32 v43, v190, v122, -v43 :: v_dual_add_f32 v7, v7, v9
	s_delay_alu instid0(VALU_DEP_3) | instskip(SKIP_2) | instid1(VALU_DEP_4)
	v_dual_add_f32 v9, v39, v41 :: v_dual_fma_f32 v41, v192, v124, -v45
	v_dual_mul_f32 v15, v194, v127 :: v_dual_mul_f32 v17, v196, v129
	v_dual_mul_f32 v47, v195, v127 :: v_dual_mul_f32 v49, v197, v129
	v_add_f32_e32 v7, v7, v11
	s_delay_alu instid0(VALU_DEP_3) | instskip(NEXT) | instid1(VALU_DEP_3)
	v_dual_add_f32 v9, v9, v43 :: v_dual_fmac_f32 v15, v195, v126
	v_fma_f32 v43, v194, v126, -v47
	v_dual_mul_f32 v19, v198, v131 :: v_dual_mul_f32 v21, v200, v133
	s_delay_alu instid0(VALU_DEP_4) | instskip(SKIP_2) | instid1(VALU_DEP_2)
	v_dual_add_f32 v7, v7, v13 :: v_dual_fmac_f32 v17, v197, v128
	s_wait_loadcnt_dscnt 0x802
	v_dual_add_f32 v9, v9, v41 :: v_dual_mul_f32 v13, v211, v139
	v_dual_fma_f32 v41, v196, v128, -v49 :: v_dual_add_f32 v7, v7, v15
	v_mul_f32_e32 v15, v213, v141
	s_delay_alu instid0(VALU_DEP_3) | instskip(NEXT) | instid1(VALU_DEP_3)
	v_dual_add_f32 v9, v9, v43 :: v_dual_fmac_f32 v19, v199, v130
	v_dual_fma_f32 v43, v198, v130, -v51 :: v_dual_add_f32 v7, v7, v17
	v_fmac_f32_e32 v21, v201, v132
	s_wait_loadcnt_dscnt 0x701
	s_delay_alu instid0(VALU_DEP_3) | instskip(SKIP_3) | instid1(VALU_DEP_3)
	v_dual_add_f32 v9, v9, v41 :: v_dual_mul_f32 v17, v215, v143
	v_dual_mul_f32 v23, v206, v135 :: v_dual_mul_f32 v25, v208, v137
	v_dual_mul_f32 v39, v207, v135 :: v_dual_mul_f32 v11, v209, v137
	v_dual_fma_f32 v41, v200, v132, -v53 :: v_dual_add_f32 v7, v7, v19
	v_dual_add_f32 v9, v9, v43 :: v_dual_fmac_f32 v23, v207, v134
	s_delay_alu instid0(VALU_DEP_3) | instskip(NEXT) | instid1(VALU_DEP_3)
	v_dual_mul_f32 v19, v217, v145 :: v_dual_fma_f32 v39, v206, v134, -v39
	v_dual_add_f32 v7, v7, v21 :: v_dual_fmac_f32 v25, v209, v136
	s_wait_loadcnt_dscnt 0x600
	s_delay_alu instid0(VALU_DEP_3) | instskip(SKIP_1) | instid1(VALU_DEP_3)
	v_dual_add_f32 v9, v9, v41 :: v_dual_mul_f32 v21, v219, v147
	v_dual_mul_f32 v27, v210, v139 :: v_dual_mul_f32 v29, v212, v141
	v_dual_fma_f32 v11, v208, v136, -v11 :: v_dual_add_f32 v7, v7, v23
	s_delay_alu instid0(VALU_DEP_2) | instskip(SKIP_1) | instid1(VALU_DEP_2)
	v_dual_add_f32 v9, v9, v39 :: v_dual_fmac_f32 v27, v211, v138
	v_dual_mul_f32 v23, v221, v149 :: v_dual_fma_f32 v13, v210, v138, -v13
	v_dual_add_f32 v7, v7, v25 :: v_dual_add_f32 v9, v9, v11
	v_dual_mul_f32 v31, v214, v143 :: v_dual_mul_f32 v33, v216, v145
	s_wait_loadcnt 0x5
	v_dual_mul_f32 v11, v203, v151 :: v_dual_fmac_f32 v29, v213, v140
	s_delay_alu instid0(VALU_DEP_3) | instskip(NEXT) | instid1(VALU_DEP_3)
	v_dual_fma_f32 v15, v212, v140, -v15 :: v_dual_add_f32 v7, v7, v27
	v_dual_add_f32 v9, v9, v13 :: v_dual_fmac_f32 v31, v215, v142
	v_dual_mul_f32 v13, v205, v153 :: v_dual_fma_f32 v17, v214, v142, -v17
	s_delay_alu instid0(VALU_DEP_2) | instskip(SKIP_2) | instid1(VALU_DEP_3)
	v_dual_add_f32 v7, v7, v29 :: v_dual_add_f32 v9, v9, v15
	v_dual_mul_f32 v35, v218, v147 :: v_dual_mul_f32 v37, v220, v149
	v_dual_fmac_f32 v33, v217, v144 :: v_dual_fma_f32 v15, v216, v144, -v19
	v_dual_add_f32 v7, v7, v31 :: v_dual_add_f32 v9, v9, v17
	s_wait_loadcnt 0x4
	s_delay_alu instid0(VALU_DEP_3) | instskip(NEXT) | instid1(VALU_DEP_2)
	v_dual_mov_b32 v120, v157 :: v_dual_fmac_f32 v35, v219, v146
	v_dual_fma_f32 v17, v218, v146, -v21 :: v_dual_add_f32 v7, v7, v33
	s_delay_alu instid0(VALU_DEP_3) | instskip(SKIP_1) | instid1(VALU_DEP_3)
	v_dual_add_f32 v9, v9, v15 :: v_dual_fma_f32 v15, v220, v148, -v23
	v_dual_mul_f32 v233, v202, v151 :: v_dual_mul_f32 v235, v204, v153
	v_dual_fmac_f32 v37, v221, v148 :: v_dual_add_f32 v7, v7, v35
	s_delay_alu instid0(VALU_DEP_2) | instskip(SKIP_3) | instid1(VALU_DEP_3)
	v_dual_add_f32 v9, v9, v17 :: v_dual_fmac_f32 v233, v203, v150
	v_pk_mul_f32 v[118:119], v[170:171], v[154:155] op_sel:[1,1] op_sel_hi:[0,1]
	s_wait_loadcnt 0x3
	v_dual_mov_b32 v124, v161 :: v_dual_fma_f32 v232, v202, v150, -v11
	v_dual_add_f32 v127, v7, v37 :: v_dual_add_f32 v126, v9, v15
	v_dual_fmac_f32 v235, v205, v152 :: v_dual_fma_f32 v234, v204, v152, -v13
	v_pk_fma_f32 v[128:129], v[170:171], v[154:155], v[118:119] op_sel_hi:[1,0,1]
	v_pk_mul_f32 v[120:121], v[224:225], v[120:121] op_sel_hi:[1,0]
	s_delay_alu instid0(VALU_DEP_4)
	v_pk_add_f32 v[126:127], v[126:127], v[232:233]
	v_pk_fma_f32 v[118:119], v[170:171], v[154:155], v[118:119] neg_lo:[0,0,1] neg_hi:[0,0,1]
	v_pk_mul_f32 v[122:123], v[174:175], v[158:159] op_sel:[1,1] op_sel_hi:[0,1]
	v_mov_b32_e32 v119, v129
	v_pk_fma_f32 v[128:129], v[172:173], v[156:157], v[120:121] op_sel_hi:[1,0,1]
	v_pk_add_f32 v[126:127], v[126:127], v[234:235]
	v_pk_fma_f32 v[120:121], v[172:173], v[156:157], v[120:121] neg_lo:[0,0,1] neg_hi:[0,0,1]
	v_pk_fma_f32 v[132:133], v[174:175], v[158:159], v[122:123] op_sel_hi:[1,0,1]
	v_pk_mul_f32 v[124:125], v[226:227], v[124:125] op_sel_hi:[1,0]
	v_mov_b32_e32 v121, v129
	v_pk_add_f32 v[118:119], v[126:127], v[118:119]
	s_wait_loadcnt 0x2
	v_pk_mul_f32 v[130:131], v[178:179], v[162:163] op_sel:[1,1] op_sel_hi:[0,1]
	v_mov_b32_e32 v126, v165
	v_pk_fma_f32 v[122:123], v[174:175], v[158:159], v[122:123] neg_lo:[0,0,1] neg_hi:[0,0,1]
	v_mov_b32_e32 v123, v133
	v_pk_fma_f32 v[128:129], v[176:177], v[160:161], v[124:125] op_sel_hi:[1,0,1]
	v_pk_add_f32 v[118:119], v[118:119], v[120:121]
	v_pk_fma_f32 v[120:121], v[178:179], v[162:163], v[130:131] op_sel_hi:[1,0,1]
	v_pk_mul_f32 v[126:127], v[228:229], v[126:127] op_sel_hi:[1,0]
	v_pk_fma_f32 v[124:125], v[176:177], v[160:161], v[124:125] neg_lo:[0,0,1] neg_hi:[0,0,1]
	v_mov_b32_e32 v125, v129
	v_pk_add_f32 v[118:119], v[118:119], v[122:123]
	v_pk_fma_f32 v[128:129], v[178:179], v[162:163], v[130:131] neg_lo:[0,0,1] neg_hi:[0,0,1]
	v_mov_b32_e32 v129, v121
	v_pk_fma_f32 v[120:121], v[180:181], v[164:165], v[126:127] op_sel_hi:[1,0,1]
	s_wait_loadcnt 0x1
	v_pk_mul_f32 v[122:123], v[182:183], v[166:167] op_sel:[1,1] op_sel_hi:[0,1]
	v_pk_add_f32 v[118:119], v[118:119], v[124:125]
	v_mov_b32_e32 v120, v169
	v_pk_fma_f32 v[126:127], v[180:181], v[164:165], v[126:127] neg_lo:[0,0,1] neg_hi:[0,0,1]
	v_mov_b32_e32 v127, v121
	v_pk_fma_f32 v[124:125], v[182:183], v[166:167], v[122:123] op_sel_hi:[1,0,1]
	v_pk_add_f32 v[118:119], v[118:119], v[128:129]
	v_pk_mul_f32 v[120:121], v[230:231], v[120:121] op_sel_hi:[1,0]
	v_pk_fma_f32 v[122:123], v[182:183], v[166:167], v[122:123] neg_lo:[0,0,1] neg_hi:[0,0,1]
	s_delay_alu instid0(VALU_DEP_4) | instskip(NEXT) | instid1(VALU_DEP_4)
	v_mov_b32_e32 v123, v125
	v_pk_add_f32 v[118:119], v[118:119], v[126:127]
	s_delay_alu instid0(VALU_DEP_4) | instskip(SKIP_1) | instid1(VALU_DEP_2)
	v_pk_fma_f32 v[124:125], v[184:185], v[168:169], v[120:121] op_sel_hi:[1,0,1]
	v_pk_fma_f32 v[120:121], v[184:185], v[168:169], v[120:121] neg_lo:[0,0,1] neg_hi:[0,0,1]
	v_mov_b32_e32 v121, v125
	s_delay_alu instid0(VALU_DEP_4) | instskip(NEXT) | instid1(VALU_DEP_1)
	v_pk_add_f32 v[118:119], v[118:119], v[122:123]
	v_pk_add_f32 v[118:119], v[118:119], v[120:121]
	s_wait_loadcnt 0x0
	s_delay_alu instid0(VALU_DEP_1)
	v_pk_add_f32 v[118:119], v[222:223], v[118:119] neg_lo:[0,1] neg_hi:[0,1]
	scratch_store_b64 off, v[118:119], off offset:248
	s_wait_xcnt 0x0
	v_cmpx_lt_u32_e32 30, v0
	s_cbranch_execz .LBB121_301
; %bb.300:
	scratch_load_b64 v[118:119], off, off offset:240
	v_mov_b64_e32 v[120:121], 0
	scratch_store_b64 off, v[120:121], off offset:240
	s_wait_loadcnt 0x0
	ds_store_b64 v1, v[118:119]
.LBB121_301:
	s_wait_xcnt 0x0
	s_or_b32 exec_lo, exec_lo, s0
	s_wait_storecnt_dscnt 0x0
	s_barrier_signal -1
	s_barrier_wait -1
	s_clause 0xe
	scratch_load_b128 v[118:121], off, off offset:248
	scratch_load_b128 v[122:125], off, off offset:264
	scratch_load_b128 v[126:129], off, off offset:280
	scratch_load_b128 v[130:133], off, off offset:296
	scratch_load_b128 v[134:137], off, off offset:312
	scratch_load_b128 v[138:141], off, off offset:328
	scratch_load_b128 v[142:145], off, off offset:344
	scratch_load_b128 v[146:149], off, off offset:360
	scratch_load_b128 v[150:153], off, off offset:376
	scratch_load_b128 v[154:157], off, off offset:392
	scratch_load_b128 v[158:161], off, off offset:408
	scratch_load_b128 v[162:165], off, off offset:424
	scratch_load_b128 v[166:169], off, off offset:440
	scratch_load_b64 v[222:223], off, off offset:456
	scratch_load_b64 v[224:225], off, off offset:240
	v_mov_b32_e32 v7, 0
	ds_load_2addr_b64 v[170:173], v7 offset0:107 offset1:108
	ds_load_2addr_b64 v[174:177], v7 offset0:109 offset1:110
	;; [unrolled: 1-line block ×13, first 2 shown]
	ds_load_b64 v[226:227], v7 offset:920
	s_mov_b32 s0, exec_lo
	s_wait_dscnt 0xd
	v_dual_mov_b32 v228, v173 :: v_dual_mov_b32 v229, v172
	s_wait_dscnt 0xa
	v_dual_mov_b32 v230, v177 :: v_dual_mov_b32 v235, v184
	v_dual_mov_b32 v231, v176 :: v_dual_mov_b32 v232, v181
	;; [unrolled: 1-line block ×3, first 2 shown]
	s_wait_loadcnt_dscnt 0xe09
	v_dual_mul_f32 v9, v186, v119 :: v_dual_mul_f32 v43, v187, v119
	v_dual_mul_f32 v45, v189, v121 :: v_dual_mul_f32 v11, v188, v121
	s_wait_loadcnt_dscnt 0xd08
	v_mul_f32_e32 v13, v190, v123
	s_wait_loadcnt_dscnt 0xb05
	v_dual_mul_f32 v55, v203, v131 :: v_dual_fma_f32 v43, v186, v118, -v43
	v_dual_fmac_f32 v9, v187, v118 :: v_dual_mul_f32 v57, v205, v133
	v_dual_mul_f32 v47, v191, v123 :: v_dual_mul_f32 v49, v193, v125
	v_dual_fmac_f32 v11, v189, v120 :: v_dual_fma_f32 v45, v188, v120, -v45
	s_delay_alu instid0(VALU_DEP_3) | instskip(SKIP_3) | instid1(VALU_DEP_3)
	v_dual_add_f32 v9, 0, v9 :: v_dual_add_f32 v43, 0, v43
	v_dual_mul_f32 v15, v192, v125 :: v_dual_mul_f32 v17, v194, v127
	s_wait_loadcnt_dscnt 0xa04
	v_dual_mul_f32 v59, v207, v135 :: v_dual_fma_f32 v47, v190, v122, -v47
	v_dual_fmac_f32 v13, v191, v122 :: v_dual_add_f32 v9, v9, v11
	s_delay_alu instid0(VALU_DEP_3) | instskip(SKIP_2) | instid1(VALU_DEP_3)
	v_dual_add_f32 v11, v43, v45 :: v_dual_fmac_f32 v15, v193, v124
	v_dual_mul_f32 v51, v195, v127 :: v_dual_mul_f32 v53, v197, v129
	v_dual_mul_f32 v43, v209, v137 :: v_dual_fma_f32 v45, v192, v124, -v49
	v_dual_add_f32 v9, v9, v13 :: v_dual_add_f32 v11, v11, v47
	v_dual_mul_f32 v19, v196, v129 :: v_dual_mul_f32 v21, v202, v131
	s_wait_loadcnt_dscnt 0x903
	v_dual_mul_f32 v13, v211, v139 :: v_dual_fma_f32 v47, v194, v126, -v51
	s_delay_alu instid0(VALU_DEP_3) | instskip(NEXT) | instid1(VALU_DEP_3)
	v_dual_fmac_f32 v17, v195, v126 :: v_dual_add_f32 v9, v9, v15
	v_dual_add_f32 v11, v11, v45 :: v_dual_fmac_f32 v19, v197, v128
	v_dual_mul_f32 v15, v213, v141 :: v_dual_fma_f32 v45, v196, v128, -v53
	s_delay_alu instid0(VALU_DEP_2) | instskip(SKIP_3) | instid1(VALU_DEP_3)
	v_dual_add_f32 v9, v9, v17 :: v_dual_add_f32 v11, v11, v47
	v_dual_mul_f32 v23, v204, v133 :: v_dual_mul_f32 v25, v206, v135
	s_wait_loadcnt_dscnt 0x802
	v_dual_mul_f32 v17, v215, v143 :: v_dual_fma_f32 v47, v202, v130, -v55
	v_dual_fmac_f32 v21, v203, v130 :: v_dual_add_f32 v9, v9, v19
	s_delay_alu instid0(VALU_DEP_3) | instskip(SKIP_1) | instid1(VALU_DEP_2)
	v_dual_add_f32 v11, v11, v45 :: v_dual_fmac_f32 v23, v205, v132
	v_dual_mul_f32 v19, v217, v145 :: v_dual_fma_f32 v45, v204, v132, -v57
	v_dual_add_f32 v9, v9, v21 :: v_dual_add_f32 v11, v11, v47
	v_dual_mul_f32 v27, v208, v137 :: v_dual_mul_f32 v29, v210, v139
	s_wait_loadcnt_dscnt 0x701
	v_dual_mul_f32 v21, v219, v147 :: v_dual_fma_f32 v47, v206, v134, -v59
	s_delay_alu instid0(VALU_DEP_3) | instskip(NEXT) | instid1(VALU_DEP_3)
	v_dual_fmac_f32 v25, v207, v134 :: v_dual_add_f32 v9, v9, v23
	v_dual_add_f32 v11, v11, v45 :: v_dual_fmac_f32 v27, v209, v136
	v_dual_mul_f32 v23, v221, v149 :: v_dual_fma_f32 v43, v208, v136, -v43
	s_delay_alu instid0(VALU_DEP_2) | instskip(SKIP_3) | instid1(VALU_DEP_3)
	v_dual_add_f32 v9, v9, v25 :: v_dual_add_f32 v11, v11, v47
	v_dual_mul_f32 v31, v212, v141 :: v_dual_mul_f32 v33, v214, v143
	s_wait_loadcnt 0x6
	v_dual_mul_f32 v25, v199, v151 :: v_dual_fma_f32 v13, v210, v138, -v13
	v_dual_fmac_f32 v29, v211, v138 :: v_dual_add_f32 v9, v9, v27
	v_dual_add_f32 v11, v11, v43 :: v_dual_mul_f32 v27, v201, v153
	v_fmac_f32_e32 v31, v213, v140
	s_delay_alu instid0(VALU_DEP_3) | instskip(NEXT) | instid1(VALU_DEP_3)
	v_dual_fma_f32 v15, v212, v140, -v15 :: v_dual_add_f32 v9, v9, v29
	v_add_f32_e32 v11, v11, v13
	v_dual_mul_f32 v35, v216, v145 :: v_dual_mul_f32 v37, v218, v147
	s_wait_loadcnt 0x5
	v_dual_mul_f32 v13, v171, v155 :: v_dual_fma_f32 v17, v214, v142, -v17
	v_dual_fmac_f32 v33, v215, v142 :: v_dual_add_f32 v9, v9, v31
	v_dual_add_f32 v11, v11, v15 :: v_dual_mov_b32 v118, v157
	v_fmac_f32_e32 v35, v217, v144
	s_delay_alu instid0(VALU_DEP_3) | instskip(NEXT) | instid1(VALU_DEP_3)
	v_dual_fma_f32 v15, v216, v144, -v19 :: v_dual_add_f32 v9, v9, v33
	v_add_f32_e32 v11, v11, v17
	v_dual_mul_f32 v39, v220, v149 :: v_dual_mul_f32 v41, v198, v151
	s_delay_alu instid0(VALU_DEP_3) | instskip(NEXT) | instid1(VALU_DEP_3)
	v_dual_fmac_f32 v37, v219, v146 :: v_dual_add_f32 v9, v9, v35
	v_dual_fma_f32 v17, v218, v146, -v21 :: v_dual_add_f32 v11, v11, v15
	s_wait_loadcnt 0x4
	v_dual_mov_b32 v122, v161 :: v_dual_fma_f32 v15, v220, v148, -v23
	v_fmac_f32_e32 v39, v221, v148
	v_dual_add_f32 v9, v9, v37 :: v_dual_fmac_f32 v41, v199, v150
	v_add_f32_e32 v11, v11, v17
	v_dual_mul_f32 v237, v200, v153 :: v_dual_mul_f32 v239, v170, v155
	s_delay_alu instid0(VALU_DEP_3) | instskip(NEXT) | instid1(VALU_DEP_2)
	v_dual_fma_f32 v17, v198, v150, -v25 :: v_dual_add_f32 v9, v9, v39
	v_dual_add_f32 v11, v11, v15 :: v_dual_fmac_f32 v237, v201, v152
	v_fma_f32 v236, v200, v152, -v27
	v_pk_mul_f32 v[118:119], v[228:229], v[118:119] op_sel_hi:[1,0]
	s_delay_alu instid0(VALU_DEP_4)
	v_add_f32_e32 v127, v9, v41
	s_wait_loadcnt 0x3
	v_dual_add_f32 v126, v11, v17 :: v_dual_mov_b32 v128, v165
	v_pk_mul_f32 v[120:121], v[174:175], v[158:159] op_sel:[1,1] op_sel_hi:[0,1]
	v_dual_fmac_f32 v239, v171, v154 :: v_dual_fma_f32 v238, v170, v154, -v13
	v_pk_fma_f32 v[130:131], v[172:173], v[156:157], v[118:119] op_sel_hi:[1,0,1]
	s_delay_alu instid0(VALU_DEP_4)
	v_pk_add_f32 v[126:127], v[126:127], v[236:237]
	v_pk_fma_f32 v[118:119], v[172:173], v[156:157], v[118:119] neg_lo:[0,0,1] neg_hi:[0,0,1]
	v_pk_fma_f32 v[132:133], v[174:175], v[158:159], v[120:121] op_sel_hi:[1,0,1]
	v_pk_mul_f32 v[122:123], v[230:231], v[122:123] op_sel_hi:[1,0]
	v_mov_b32_e32 v119, v131
	v_pk_add_f32 v[126:127], v[126:127], v[238:239]
	v_pk_fma_f32 v[120:121], v[174:175], v[158:159], v[120:121] neg_lo:[0,0,1] neg_hi:[0,0,1]
	v_pk_mul_f32 v[124:125], v[178:179], v[162:163] op_sel:[1,1] op_sel_hi:[0,1]
	v_mov_b32_e32 v121, v133
	v_pk_fma_f32 v[132:133], v[176:177], v[160:161], v[122:123] op_sel_hi:[1,0,1]
	v_pk_add_f32 v[118:119], v[126:127], v[118:119]
	v_pk_fma_f32 v[122:123], v[176:177], v[160:161], v[122:123] neg_lo:[0,0,1] neg_hi:[0,0,1]
	v_pk_fma_f32 v[126:127], v[178:179], v[162:163], v[124:125] op_sel_hi:[1,0,1]
	v_pk_mul_f32 v[128:129], v[232:233], v[128:129] op_sel_hi:[1,0]
	v_mov_b32_e32 v123, v133
	v_pk_add_f32 v[118:119], v[118:119], v[120:121]
	v_pk_fma_f32 v[124:125], v[178:179], v[162:163], v[124:125] neg_lo:[0,0,1] neg_hi:[0,0,1]
	s_wait_loadcnt 0x2
	v_pk_mul_f32 v[130:131], v[182:183], v[166:167] op_sel:[1,1] op_sel_hi:[0,1]
	v_dual_mov_b32 v120, v169 :: v_dual_mov_b32 v125, v127
	v_pk_fma_f32 v[126:127], v[180:181], v[164:165], v[128:129] op_sel_hi:[1,0,1]
	v_pk_add_f32 v[118:119], v[118:119], v[122:123]
	v_pk_fma_f32 v[128:129], v[180:181], v[164:165], v[128:129] neg_lo:[0,0,1] neg_hi:[0,0,1]
	v_pk_fma_f32 v[122:123], v[182:183], v[166:167], v[130:131] op_sel_hi:[1,0,1]
	v_pk_mul_f32 v[120:121], v[234:235], v[120:121] op_sel_hi:[1,0]
	v_mov_b32_e32 v129, v127
	v_pk_add_f32 v[118:119], v[118:119], v[124:125]
	v_pk_fma_f32 v[124:125], v[182:183], v[166:167], v[130:131] neg_lo:[0,0,1] neg_hi:[0,0,1]
	v_mov_b32_e32 v125, v123
	v_pk_fma_f32 v[122:123], v[184:185], v[168:169], v[120:121] op_sel_hi:[1,0,1]
	s_wait_loadcnt_dscnt 0x100
	v_pk_mul_f32 v[126:127], v[226:227], v[222:223] op_sel:[1,1] op_sel_hi:[0,1]
	v_pk_add_f32 v[118:119], v[118:119], v[128:129]
	v_pk_fma_f32 v[120:121], v[184:185], v[168:169], v[120:121] neg_lo:[0,0,1] neg_hi:[0,0,1]
	v_mov_b32_e32 v121, v123
	s_delay_alu instid0(VALU_DEP_4) | instskip(NEXT) | instid1(VALU_DEP_4)
	v_pk_fma_f32 v[122:123], v[226:227], v[222:223], v[126:127] op_sel_hi:[1,0,1]
	v_pk_add_f32 v[118:119], v[118:119], v[124:125]
	v_pk_fma_f32 v[124:125], v[226:227], v[222:223], v[126:127] neg_lo:[0,0,1] neg_hi:[0,0,1]
	s_delay_alu instid0(VALU_DEP_3) | instskip(NEXT) | instid1(VALU_DEP_3)
	v_mov_b32_e32 v125, v123
	v_pk_add_f32 v[118:119], v[118:119], v[120:121]
	s_delay_alu instid0(VALU_DEP_1) | instskip(SKIP_1) | instid1(VALU_DEP_1)
	v_pk_add_f32 v[118:119], v[118:119], v[124:125]
	s_wait_loadcnt 0x0
	v_pk_add_f32 v[118:119], v[224:225], v[118:119] neg_lo:[0,1] neg_hi:[0,1]
	scratch_store_b64 off, v[118:119], off offset:240
	s_wait_xcnt 0x0
	v_cmpx_lt_u32_e32 29, v0
	s_cbranch_execz .LBB121_303
; %bb.302:
	scratch_load_b64 v[118:119], off, off offset:232
	v_mov_b64_e32 v[120:121], 0
	scratch_store_b64 off, v[120:121], off offset:232
	s_wait_loadcnt 0x0
	ds_store_b64 v1, v[118:119]
.LBB121_303:
	s_wait_xcnt 0x0
	s_or_b32 exec_lo, exec_lo, s0
	s_wait_storecnt_dscnt 0x0
	s_barrier_signal -1
	s_barrier_wait -1
	s_clause 0xe
	scratch_load_b128 v[118:121], off, off offset:240
	scratch_load_b128 v[122:125], off, off offset:256
	;; [unrolled: 1-line block ×14, first 2 shown]
	scratch_load_b64 v[230:231], off, off offset:232
	ds_load_b128 v[174:177], v7 offset:864
	ds_load_b128 v[178:181], v7 offset:880
	;; [unrolled: 1-line block ×14, first 2 shown]
	s_mov_b32 s0, exec_lo
	s_wait_dscnt 0xd
	v_dual_mov_b32 v232, v177 :: v_dual_mov_b32 v233, v176
	s_wait_dscnt 0xc
	v_dual_mov_b32 v234, v181 :: v_dual_mov_b32 v235, v180
	;; [unrolled: 2-line block ×4, first 2 shown]
	s_wait_loadcnt_dscnt 0xe09
	v_dual_mul_f32 v7, v190, v119 :: v_dual_mul_f32 v9, v192, v121
	v_dual_mul_f32 v43, v191, v119 :: v_dual_mul_f32 v45, v193, v121
	s_wait_loadcnt_dscnt 0xd08
	v_dual_mul_f32 v11, v194, v123 :: v_dual_mul_f32 v13, v196, v125
	s_delay_alu instid0(VALU_DEP_3) | instskip(SKIP_3) | instid1(VALU_DEP_3)
	v_dual_fmac_f32 v7, v191, v118 :: v_dual_fmac_f32 v9, v193, v120
	s_wait_loadcnt_dscnt 0xb06
	v_dual_fma_f32 v43, v190, v118, -v43 :: v_dual_mul_f32 v55, v203, v131
	v_dual_mul_f32 v47, v195, v123 :: v_dual_mul_f32 v49, v197, v125
	v_dual_fma_f32 v45, v192, v120, -v45 :: v_dual_add_f32 v7, 0, v7
	s_delay_alu instid0(VALU_DEP_3) | instskip(SKIP_1) | instid1(VALU_DEP_3)
	v_dual_add_f32 v43, 0, v43 :: v_dual_mul_f32 v57, v205, v133
	v_dual_fmac_f32 v11, v195, v122 :: v_dual_fmac_f32 v13, v197, v124
	v_dual_fma_f32 v47, v194, v122, -v47 :: v_dual_add_f32 v7, v7, v9
	s_delay_alu instid0(VALU_DEP_3) | instskip(SKIP_2) | instid1(VALU_DEP_4)
	v_dual_add_f32 v9, v43, v45 :: v_dual_fma_f32 v45, v196, v124, -v49
	v_dual_mul_f32 v15, v198, v127 :: v_dual_mul_f32 v17, v200, v129
	v_dual_mul_f32 v51, v199, v127 :: v_dual_mul_f32 v53, v201, v129
	v_add_f32_e32 v7, v7, v11
	s_delay_alu instid0(VALU_DEP_3) | instskip(NEXT) | instid1(VALU_DEP_3)
	v_dual_add_f32 v9, v9, v47 :: v_dual_fmac_f32 v15, v199, v126
	v_fma_f32 v47, v198, v126, -v51
	v_dual_mul_f32 v19, v202, v131 :: v_dual_mul_f32 v21, v204, v133
	s_delay_alu instid0(VALU_DEP_4) | instskip(SKIP_2) | instid1(VALU_DEP_2)
	v_dual_add_f32 v7, v7, v13 :: v_dual_fmac_f32 v17, v201, v128
	s_wait_loadcnt_dscnt 0x904
	v_dual_add_f32 v9, v9, v45 :: v_dual_mul_f32 v13, v211, v139
	v_dual_fma_f32 v45, v200, v128, -v53 :: v_dual_add_f32 v7, v7, v15
	v_mul_f32_e32 v15, v213, v141
	s_delay_alu instid0(VALU_DEP_3) | instskip(NEXT) | instid1(VALU_DEP_3)
	v_dual_add_f32 v9, v9, v47 :: v_dual_fmac_f32 v19, v203, v130
	v_dual_fma_f32 v47, v202, v130, -v55 :: v_dual_add_f32 v7, v7, v17
	v_fmac_f32_e32 v21, v205, v132
	s_wait_loadcnt_dscnt 0x803
	s_delay_alu instid0(VALU_DEP_3) | instskip(SKIP_3) | instid1(VALU_DEP_3)
	v_dual_add_f32 v9, v9, v45 :: v_dual_mul_f32 v17, v215, v143
	v_dual_mul_f32 v23, v206, v135 :: v_dual_mul_f32 v25, v208, v137
	v_dual_mul_f32 v43, v207, v135 :: v_dual_mul_f32 v11, v209, v137
	v_dual_fma_f32 v45, v204, v132, -v57 :: v_dual_add_f32 v7, v7, v19
	v_dual_add_f32 v9, v9, v47 :: v_dual_fmac_f32 v23, v207, v134
	s_delay_alu instid0(VALU_DEP_3) | instskip(NEXT) | instid1(VALU_DEP_3)
	v_dual_mul_f32 v19, v217, v145 :: v_dual_fma_f32 v43, v206, v134, -v43
	v_dual_add_f32 v7, v7, v21 :: v_dual_fmac_f32 v25, v209, v136
	s_wait_loadcnt_dscnt 0x702
	s_delay_alu instid0(VALU_DEP_3) | instskip(SKIP_1) | instid1(VALU_DEP_3)
	v_dual_add_f32 v9, v9, v45 :: v_dual_mul_f32 v21, v219, v147
	v_dual_mul_f32 v27, v210, v139 :: v_dual_mul_f32 v29, v212, v141
	v_dual_fma_f32 v11, v208, v136, -v11 :: v_dual_add_f32 v7, v7, v23
	s_delay_alu instid0(VALU_DEP_2) | instskip(SKIP_1) | instid1(VALU_DEP_2)
	v_dual_add_f32 v9, v9, v43 :: v_dual_fmac_f32 v27, v211, v138
	v_dual_mul_f32 v23, v221, v149 :: v_dual_fma_f32 v13, v210, v138, -v13
	v_dual_add_f32 v7, v7, v25 :: v_dual_add_f32 v9, v9, v11
	v_dual_mul_f32 v31, v214, v143 :: v_dual_mul_f32 v33, v216, v145
	s_wait_loadcnt_dscnt 0x601
	v_dual_mul_f32 v11, v223, v151 :: v_dual_fmac_f32 v29, v213, v140
	s_delay_alu instid0(VALU_DEP_3) | instskip(NEXT) | instid1(VALU_DEP_3)
	v_dual_fma_f32 v15, v212, v140, -v15 :: v_dual_add_f32 v7, v7, v27
	v_dual_add_f32 v9, v9, v13 :: v_dual_fmac_f32 v31, v215, v142
	v_dual_mul_f32 v13, v225, v153 :: v_dual_fma_f32 v17, v214, v142, -v17
	s_delay_alu instid0(VALU_DEP_2) | instskip(SKIP_3) | instid1(VALU_DEP_3)
	v_dual_add_f32 v7, v7, v29 :: v_dual_add_f32 v9, v9, v15
	v_dual_mul_f32 v35, v218, v147 :: v_dual_mul_f32 v37, v220, v149
	s_wait_loadcnt_dscnt 0x500
	v_dual_mul_f32 v15, v227, v155 :: v_dual_fmac_f32 v33, v217, v144
	v_dual_fma_f32 v19, v216, v144, -v19 :: v_dual_add_f32 v7, v7, v31
	s_delay_alu instid0(VALU_DEP_3) | instskip(SKIP_1) | instid1(VALU_DEP_2)
	v_dual_add_f32 v9, v9, v17 :: v_dual_fmac_f32 v35, v219, v146
	v_dual_mul_f32 v17, v229, v157 :: v_dual_fma_f32 v21, v218, v146, -v21
	v_dual_add_f32 v7, v7, v33 :: v_dual_add_f32 v9, v9, v19
	v_dual_mul_f32 v39, v222, v151 :: v_dual_mul_f32 v41, v224, v153
	v_dual_fmac_f32 v37, v221, v148 :: v_dual_fma_f32 v19, v220, v148, -v23
	s_delay_alu instid0(VALU_DEP_3) | instskip(SKIP_1) | instid1(VALU_DEP_3)
	v_dual_add_f32 v7, v7, v35 :: v_dual_add_f32 v9, v9, v21
	s_wait_loadcnt 0x4
	v_dual_mov_b32 v120, v161 :: v_dual_fmac_f32 v39, v223, v150
	s_delay_alu instid0(VALU_DEP_2) | instskip(NEXT) | instid1(VALU_DEP_3)
	v_dual_fma_f32 v11, v222, v150, -v11 :: v_dual_add_f32 v7, v7, v37
	v_dual_add_f32 v9, v9, v19 :: v_dual_fma_f32 v13, v224, v152, -v13
	v_dual_mul_f32 v241, v226, v155 :: v_dual_mul_f32 v243, v228, v157
	s_delay_alu instid0(VALU_DEP_3) | instskip(NEXT) | instid1(VALU_DEP_2)
	v_dual_fmac_f32 v41, v225, v152 :: v_dual_add_f32 v7, v7, v39
	v_dual_add_f32 v9, v9, v11 :: v_dual_fmac_f32 v241, v227, v154
	v_pk_mul_f32 v[118:119], v[174:175], v[158:159] op_sel:[1,1] op_sel_hi:[0,1]
	s_wait_loadcnt 0x3
	v_dual_mov_b32 v124, v165 :: v_dual_fma_f32 v240, v226, v154, -v15
	v_dual_add_f32 v127, v7, v41 :: v_dual_fmac_f32 v243, v229, v156
	v_dual_add_f32 v126, v9, v13 :: v_dual_fma_f32 v242, v228, v156, -v17
	v_pk_fma_f32 v[128:129], v[174:175], v[158:159], v[118:119] op_sel_hi:[1,0,1]
	v_pk_mul_f32 v[120:121], v[232:233], v[120:121] op_sel_hi:[1,0]
	v_pk_fma_f32 v[118:119], v[174:175], v[158:159], v[118:119] neg_lo:[0,0,1] neg_hi:[0,0,1]
	s_delay_alu instid0(VALU_DEP_4)
	v_pk_add_f32 v[126:127], v[126:127], v[240:241]
	v_pk_mul_f32 v[122:123], v[178:179], v[162:163] op_sel:[1,1] op_sel_hi:[0,1]
	v_mov_b32_e32 v119, v129
	v_pk_fma_f32 v[128:129], v[176:177], v[160:161], v[120:121] op_sel_hi:[1,0,1]
	v_pk_fma_f32 v[120:121], v[176:177], v[160:161], v[120:121] neg_lo:[0,0,1] neg_hi:[0,0,1]
	v_pk_add_f32 v[126:127], v[126:127], v[242:243]
	v_pk_fma_f32 v[132:133], v[178:179], v[162:163], v[122:123] op_sel_hi:[1,0,1]
	v_pk_mul_f32 v[124:125], v[234:235], v[124:125] op_sel_hi:[1,0]
	v_mov_b32_e32 v121, v129
	s_wait_loadcnt 0x2
	v_pk_mul_f32 v[130:131], v[182:183], v[166:167] op_sel:[1,1] op_sel_hi:[0,1]
	v_pk_add_f32 v[118:119], v[126:127], v[118:119]
	v_mov_b32_e32 v126, v169
	v_pk_fma_f32 v[122:123], v[178:179], v[162:163], v[122:123] neg_lo:[0,0,1] neg_hi:[0,0,1]
	v_mov_b32_e32 v123, v133
	v_pk_fma_f32 v[128:129], v[180:181], v[164:165], v[124:125] op_sel_hi:[1,0,1]
	v_pk_add_f32 v[118:119], v[118:119], v[120:121]
	v_pk_fma_f32 v[120:121], v[182:183], v[166:167], v[130:131] op_sel_hi:[1,0,1]
	v_pk_mul_f32 v[126:127], v[236:237], v[126:127] op_sel_hi:[1,0]
	v_pk_fma_f32 v[124:125], v[180:181], v[164:165], v[124:125] neg_lo:[0,0,1] neg_hi:[0,0,1]
	v_mov_b32_e32 v125, v129
	v_pk_add_f32 v[118:119], v[118:119], v[122:123]
	v_pk_fma_f32 v[128:129], v[182:183], v[166:167], v[130:131] neg_lo:[0,0,1] neg_hi:[0,0,1]
	v_mov_b32_e32 v129, v121
	v_pk_fma_f32 v[120:121], v[184:185], v[168:169], v[126:127] op_sel_hi:[1,0,1]
	s_wait_loadcnt 0x1
	v_pk_mul_f32 v[122:123], v[186:187], v[170:171] op_sel:[1,1] op_sel_hi:[0,1]
	v_pk_add_f32 v[118:119], v[118:119], v[124:125]
	v_mov_b32_e32 v120, v173
	v_pk_fma_f32 v[126:127], v[184:185], v[168:169], v[126:127] neg_lo:[0,0,1] neg_hi:[0,0,1]
	v_mov_b32_e32 v127, v121
	v_pk_fma_f32 v[124:125], v[186:187], v[170:171], v[122:123] op_sel_hi:[1,0,1]
	v_pk_add_f32 v[118:119], v[118:119], v[128:129]
	v_pk_mul_f32 v[120:121], v[238:239], v[120:121] op_sel_hi:[1,0]
	v_pk_fma_f32 v[122:123], v[186:187], v[170:171], v[122:123] neg_lo:[0,0,1] neg_hi:[0,0,1]
	s_delay_alu instid0(VALU_DEP_4) | instskip(NEXT) | instid1(VALU_DEP_4)
	v_mov_b32_e32 v123, v125
	v_pk_add_f32 v[118:119], v[118:119], v[126:127]
	s_delay_alu instid0(VALU_DEP_4) | instskip(SKIP_1) | instid1(VALU_DEP_2)
	v_pk_fma_f32 v[124:125], v[188:189], v[172:173], v[120:121] op_sel_hi:[1,0,1]
	v_pk_fma_f32 v[120:121], v[188:189], v[172:173], v[120:121] neg_lo:[0,0,1] neg_hi:[0,0,1]
	v_mov_b32_e32 v121, v125
	s_delay_alu instid0(VALU_DEP_4) | instskip(NEXT) | instid1(VALU_DEP_1)
	v_pk_add_f32 v[118:119], v[118:119], v[122:123]
	v_pk_add_f32 v[118:119], v[118:119], v[120:121]
	s_wait_loadcnt 0x0
	s_delay_alu instid0(VALU_DEP_1)
	v_pk_add_f32 v[118:119], v[230:231], v[118:119] neg_lo:[0,1] neg_hi:[0,1]
	scratch_store_b64 off, v[118:119], off offset:232
	s_wait_xcnt 0x0
	v_cmpx_lt_u32_e32 28, v0
	s_cbranch_execz .LBB121_305
; %bb.304:
	scratch_load_b64 v[118:119], off, off offset:224
	v_mov_b64_e32 v[120:121], 0
	scratch_store_b64 off, v[120:121], off offset:224
	s_wait_loadcnt 0x0
	ds_store_b64 v1, v[118:119]
.LBB121_305:
	s_wait_xcnt 0x0
	s_or_b32 exec_lo, exec_lo, s0
	s_wait_storecnt_dscnt 0x0
	s_barrier_signal -1
	s_barrier_wait -1
	s_clause 0xf
	scratch_load_b128 v[118:121], off, off offset:232
	scratch_load_b128 v[122:125], off, off offset:248
	;; [unrolled: 1-line block ×14, first 2 shown]
	scratch_load_b64 v[230:231], off, off offset:456
	scratch_load_b64 v[232:233], off, off offset:224
	v_mov_b32_e32 v7, 0
	ds_load_2addr_b64 v[174:177], v7 offset0:107 offset1:108
	ds_load_2addr_b64 v[178:181], v7 offset0:109 offset1:110
	;; [unrolled: 1-line block ×14, first 2 shown]
	ds_load_b64 v[234:235], v7 offset:920
	s_mov_b32 s0, exec_lo
	s_wait_dscnt 0xe
	v_dual_mov_b32 v236, v177 :: v_dual_mov_b32 v237, v176
	s_wait_dscnt 0xb
	v_dual_mov_b32 v238, v181 :: v_dual_mov_b32 v243, v188
	v_dual_mov_b32 v239, v180 :: v_dual_mov_b32 v240, v185
	;; [unrolled: 1-line block ×3, first 2 shown]
	s_wait_loadcnt_dscnt 0xf0a
	v_dual_mul_f32 v9, v190, v119 :: v_dual_mul_f32 v47, v191, v119
	v_dual_mul_f32 v49, v193, v121 :: v_dual_mul_f32 v11, v192, v121
	s_wait_loadcnt_dscnt 0xe09
	v_mul_f32_e32 v13, v194, v123
	s_wait_loadcnt_dscnt 0xc07
	v_dual_mul_f32 v59, v203, v131 :: v_dual_fma_f32 v47, v190, v118, -v47
	v_dual_fmac_f32 v9, v191, v118 :: v_dual_mul_f32 v61, v205, v133
	v_dual_mul_f32 v51, v195, v123 :: v_dual_mul_f32 v53, v197, v125
	v_dual_fmac_f32 v11, v193, v120 :: v_dual_fma_f32 v49, v192, v120, -v49
	s_delay_alu instid0(VALU_DEP_3) | instskip(SKIP_3) | instid1(VALU_DEP_3)
	v_dual_add_f32 v9, 0, v9 :: v_dual_add_f32 v47, 0, v47
	v_dual_mul_f32 v15, v196, v125 :: v_dual_mul_f32 v17, v198, v127
	s_wait_loadcnt_dscnt 0xb06
	v_dual_mul_f32 v63, v207, v135 :: v_dual_fma_f32 v51, v194, v122, -v51
	v_dual_fmac_f32 v13, v195, v122 :: v_dual_add_f32 v9, v9, v11
	s_delay_alu instid0(VALU_DEP_3) | instskip(SKIP_2) | instid1(VALU_DEP_3)
	v_dual_add_f32 v11, v47, v49 :: v_dual_fmac_f32 v15, v197, v124
	v_dual_mul_f32 v55, v199, v127 :: v_dual_mul_f32 v57, v201, v129
	v_dual_mul_f32 v47, v209, v137 :: v_dual_fma_f32 v49, v196, v124, -v53
	v_dual_add_f32 v9, v9, v13 :: v_dual_add_f32 v11, v11, v51
	v_dual_mul_f32 v19, v200, v129 :: v_dual_mul_f32 v21, v202, v131
	s_wait_loadcnt_dscnt 0xa05
	v_dual_mul_f32 v13, v211, v139 :: v_dual_fma_f32 v51, v198, v126, -v55
	s_delay_alu instid0(VALU_DEP_3) | instskip(NEXT) | instid1(VALU_DEP_3)
	v_dual_fmac_f32 v17, v199, v126 :: v_dual_add_f32 v9, v9, v15
	v_dual_add_f32 v11, v11, v49 :: v_dual_fmac_f32 v19, v201, v128
	v_dual_mul_f32 v15, v213, v141 :: v_dual_fma_f32 v49, v200, v128, -v57
	s_delay_alu instid0(VALU_DEP_2) | instskip(SKIP_3) | instid1(VALU_DEP_3)
	v_dual_add_f32 v9, v9, v17 :: v_dual_add_f32 v11, v11, v51
	v_dual_mul_f32 v23, v204, v133 :: v_dual_mul_f32 v25, v206, v135
	s_wait_loadcnt_dscnt 0x904
	v_dual_mul_f32 v17, v215, v143 :: v_dual_fma_f32 v51, v202, v130, -v59
	v_dual_fmac_f32 v21, v203, v130 :: v_dual_add_f32 v9, v9, v19
	s_delay_alu instid0(VALU_DEP_3) | instskip(SKIP_1) | instid1(VALU_DEP_2)
	v_dual_add_f32 v11, v11, v49 :: v_dual_fmac_f32 v23, v205, v132
	v_dual_mul_f32 v19, v217, v145 :: v_dual_fma_f32 v49, v204, v132, -v61
	v_dual_add_f32 v9, v9, v21 :: v_dual_add_f32 v11, v11, v51
	v_dual_mul_f32 v27, v208, v137 :: v_dual_mul_f32 v29, v210, v139
	s_wait_loadcnt_dscnt 0x803
	v_dual_mul_f32 v21, v219, v147 :: v_dual_fma_f32 v51, v206, v134, -v63
	s_delay_alu instid0(VALU_DEP_3) | instskip(NEXT) | instid1(VALU_DEP_3)
	v_dual_fmac_f32 v25, v207, v134 :: v_dual_add_f32 v9, v9, v23
	v_dual_add_f32 v11, v11, v49 :: v_dual_fmac_f32 v27, v209, v136
	v_dual_mul_f32 v23, v221, v149 :: v_dual_fma_f32 v47, v208, v136, -v47
	s_delay_alu instid0(VALU_DEP_2) | instskip(SKIP_3) | instid1(VALU_DEP_3)
	v_dual_add_f32 v9, v9, v25 :: v_dual_add_f32 v11, v11, v51
	v_dual_mul_f32 v31, v212, v141 :: v_dual_mul_f32 v33, v214, v143
	s_wait_loadcnt_dscnt 0x702
	v_dual_mul_f32 v25, v223, v151 :: v_dual_fma_f32 v13, v210, v138, -v13
	v_dual_fmac_f32 v29, v211, v138 :: v_dual_add_f32 v9, v9, v27
	v_dual_add_f32 v11, v11, v47 :: v_dual_mul_f32 v27, v225, v153
	v_fmac_f32_e32 v31, v213, v140
	s_delay_alu instid0(VALU_DEP_3) | instskip(NEXT) | instid1(VALU_DEP_3)
	v_dual_fma_f32 v15, v212, v140, -v15 :: v_dual_add_f32 v9, v9, v29
	v_add_f32_e32 v11, v11, v13
	v_dual_mul_f32 v35, v216, v145 :: v_dual_mul_f32 v37, v218, v147
	s_wait_loadcnt_dscnt 0x601
	v_dual_mul_f32 v13, v227, v155 :: v_dual_fma_f32 v17, v214, v142, -v17
	v_dual_fmac_f32 v33, v215, v142 :: v_dual_add_f32 v9, v9, v31
	v_dual_add_f32 v11, v11, v15 :: v_dual_mul_f32 v15, v229, v157
	v_fmac_f32_e32 v35, v217, v144
	s_delay_alu instid0(VALU_DEP_3) | instskip(NEXT) | instid1(VALU_DEP_3)
	v_dual_fma_f32 v19, v216, v144, -v19 :: v_dual_add_f32 v9, v9, v33
	v_add_f32_e32 v11, v11, v17
	v_dual_mul_f32 v39, v220, v149 :: v_dual_mul_f32 v41, v222, v151
	s_wait_loadcnt 0x5
	v_dual_mul_f32 v17, v175, v159 :: v_dual_fma_f32 v21, v218, v146, -v21
	v_dual_fmac_f32 v37, v219, v146 :: v_dual_add_f32 v9, v9, v35
	v_dual_add_f32 v11, v11, v19 :: v_dual_mov_b32 v118, v161
	v_fmac_f32_e32 v39, v221, v148
	s_delay_alu instid0(VALU_DEP_3) | instskip(NEXT) | instid1(VALU_DEP_3)
	v_dual_fma_f32 v19, v220, v148, -v23 :: v_dual_add_f32 v9, v9, v37
	v_add_f32_e32 v11, v11, v21
	v_dual_mul_f32 v43, v224, v153 :: v_dual_mul_f32 v45, v226, v155
	s_delay_alu instid0(VALU_DEP_3) | instskip(NEXT) | instid1(VALU_DEP_3)
	v_dual_fmac_f32 v41, v223, v150 :: v_dual_add_f32 v9, v9, v39
	v_dual_fma_f32 v21, v222, v150, -v25 :: v_dual_add_f32 v11, v11, v19
	s_wait_loadcnt 0x4
	v_dual_mov_b32 v122, v165 :: v_dual_fma_f32 v19, v224, v152, -v27
	v_fmac_f32_e32 v43, v225, v152
	v_dual_add_f32 v9, v9, v41 :: v_dual_fmac_f32 v45, v227, v154
	v_add_f32_e32 v11, v11, v21
	v_dual_mul_f32 v245, v228, v157 :: v_dual_mul_f32 v247, v174, v159
	s_delay_alu instid0(VALU_DEP_3) | instskip(NEXT) | instid1(VALU_DEP_2)
	v_dual_fma_f32 v13, v226, v154, -v13 :: v_dual_add_f32 v9, v9, v43
	v_dual_add_f32 v11, v11, v19 :: v_dual_fmac_f32 v245, v229, v156
	v_fma_f32 v244, v228, v156, -v15
	v_pk_mul_f32 v[118:119], v[236:237], v[118:119] op_sel_hi:[1,0]
	s_delay_alu instid0(VALU_DEP_4)
	v_add_f32_e32 v127, v9, v45
	s_wait_loadcnt 0x3
	v_dual_add_f32 v126, v11, v13 :: v_dual_mov_b32 v128, v169
	v_pk_mul_f32 v[120:121], v[178:179], v[162:163] op_sel:[1,1] op_sel_hi:[0,1]
	v_dual_fmac_f32 v247, v175, v158 :: v_dual_fma_f32 v246, v174, v158, -v17
	v_pk_fma_f32 v[130:131], v[176:177], v[160:161], v[118:119] op_sel_hi:[1,0,1]
	s_delay_alu instid0(VALU_DEP_4)
	v_pk_add_f32 v[126:127], v[126:127], v[244:245]
	v_pk_fma_f32 v[118:119], v[176:177], v[160:161], v[118:119] neg_lo:[0,0,1] neg_hi:[0,0,1]
	v_pk_fma_f32 v[132:133], v[178:179], v[162:163], v[120:121] op_sel_hi:[1,0,1]
	v_pk_mul_f32 v[122:123], v[238:239], v[122:123] op_sel_hi:[1,0]
	v_mov_b32_e32 v119, v131
	v_pk_add_f32 v[126:127], v[126:127], v[246:247]
	v_pk_fma_f32 v[120:121], v[178:179], v[162:163], v[120:121] neg_lo:[0,0,1] neg_hi:[0,0,1]
	v_pk_mul_f32 v[124:125], v[182:183], v[166:167] op_sel:[1,1] op_sel_hi:[0,1]
	v_mov_b32_e32 v121, v133
	v_pk_fma_f32 v[132:133], v[180:181], v[164:165], v[122:123] op_sel_hi:[1,0,1]
	v_pk_add_f32 v[118:119], v[126:127], v[118:119]
	v_pk_fma_f32 v[122:123], v[180:181], v[164:165], v[122:123] neg_lo:[0,0,1] neg_hi:[0,0,1]
	v_pk_fma_f32 v[126:127], v[182:183], v[166:167], v[124:125] op_sel_hi:[1,0,1]
	v_pk_mul_f32 v[128:129], v[240:241], v[128:129] op_sel_hi:[1,0]
	v_mov_b32_e32 v123, v133
	v_pk_add_f32 v[118:119], v[118:119], v[120:121]
	v_pk_fma_f32 v[124:125], v[182:183], v[166:167], v[124:125] neg_lo:[0,0,1] neg_hi:[0,0,1]
	s_wait_loadcnt 0x2
	v_pk_mul_f32 v[130:131], v[186:187], v[170:171] op_sel:[1,1] op_sel_hi:[0,1]
	v_dual_mov_b32 v120, v173 :: v_dual_mov_b32 v125, v127
	v_pk_fma_f32 v[126:127], v[184:185], v[168:169], v[128:129] op_sel_hi:[1,0,1]
	v_pk_add_f32 v[118:119], v[118:119], v[122:123]
	v_pk_fma_f32 v[128:129], v[184:185], v[168:169], v[128:129] neg_lo:[0,0,1] neg_hi:[0,0,1]
	v_pk_fma_f32 v[122:123], v[186:187], v[170:171], v[130:131] op_sel_hi:[1,0,1]
	v_pk_mul_f32 v[120:121], v[242:243], v[120:121] op_sel_hi:[1,0]
	v_mov_b32_e32 v129, v127
	v_pk_add_f32 v[118:119], v[118:119], v[124:125]
	v_pk_fma_f32 v[124:125], v[186:187], v[170:171], v[130:131] neg_lo:[0,0,1] neg_hi:[0,0,1]
	v_mov_b32_e32 v125, v123
	v_pk_fma_f32 v[122:123], v[188:189], v[172:173], v[120:121] op_sel_hi:[1,0,1]
	s_wait_loadcnt_dscnt 0x100
	v_pk_mul_f32 v[126:127], v[234:235], v[230:231] op_sel:[1,1] op_sel_hi:[0,1]
	v_pk_add_f32 v[118:119], v[118:119], v[128:129]
	v_pk_fma_f32 v[120:121], v[188:189], v[172:173], v[120:121] neg_lo:[0,0,1] neg_hi:[0,0,1]
	v_mov_b32_e32 v121, v123
	s_delay_alu instid0(VALU_DEP_4) | instskip(NEXT) | instid1(VALU_DEP_4)
	v_pk_fma_f32 v[122:123], v[234:235], v[230:231], v[126:127] op_sel_hi:[1,0,1]
	v_pk_add_f32 v[118:119], v[118:119], v[124:125]
	v_pk_fma_f32 v[124:125], v[234:235], v[230:231], v[126:127] neg_lo:[0,0,1] neg_hi:[0,0,1]
	s_delay_alu instid0(VALU_DEP_3) | instskip(NEXT) | instid1(VALU_DEP_3)
	v_mov_b32_e32 v125, v123
	v_pk_add_f32 v[118:119], v[118:119], v[120:121]
	s_delay_alu instid0(VALU_DEP_1) | instskip(SKIP_1) | instid1(VALU_DEP_1)
	v_pk_add_f32 v[118:119], v[118:119], v[124:125]
	s_wait_loadcnt 0x0
	v_pk_add_f32 v[118:119], v[232:233], v[118:119] neg_lo:[0,1] neg_hi:[0,1]
	scratch_store_b64 off, v[118:119], off offset:224
	s_wait_xcnt 0x0
	v_cmpx_lt_u32_e32 27, v0
	s_cbranch_execz .LBB121_307
; %bb.306:
	scratch_load_b64 v[118:119], off, off offset:216
	v_mov_b64_e32 v[120:121], 0
	scratch_store_b64 off, v[120:121], off offset:216
	s_wait_loadcnt 0x0
	ds_store_b64 v1, v[118:119]
.LBB121_307:
	s_wait_xcnt 0x0
	s_or_b32 exec_lo, exec_lo, s0
	s_wait_storecnt_dscnt 0x0
	s_barrier_signal -1
	s_barrier_wait -1
	s_clause 0xf
	scratch_load_b128 v[118:121], off, off offset:224
	scratch_load_b128 v[122:125], off, off offset:240
	;; [unrolled: 1-line block ×15, first 2 shown]
	scratch_load_b64 v[238:239], off, off offset:216
	ds_load_b128 v[178:181], v7 offset:864
	ds_load_b128 v[182:185], v7 offset:880
	;; [unrolled: 1-line block ×15, first 2 shown]
	s_mov_b32 s0, exec_lo
	s_wait_dscnt 0xe
	v_dual_mov_b32 v240, v181 :: v_dual_mov_b32 v241, v180
	s_wait_dscnt 0xd
	v_dual_mov_b32 v242, v185 :: v_dual_mov_b32 v243, v184
	;; [unrolled: 2-line block ×4, first 2 shown]
	s_wait_loadcnt_dscnt 0xf0a
	v_dual_mul_f32 v7, v194, v119 :: v_dual_mul_f32 v9, v196, v121
	v_dual_mul_f32 v47, v195, v119 :: v_dual_mul_f32 v49, v197, v121
	s_wait_loadcnt_dscnt 0xe09
	v_dual_mul_f32 v11, v198, v123 :: v_dual_mul_f32 v13, v200, v125
	s_delay_alu instid0(VALU_DEP_3) | instskip(SKIP_3) | instid1(VALU_DEP_3)
	v_dual_fmac_f32 v7, v195, v118 :: v_dual_fmac_f32 v9, v197, v120
	s_wait_loadcnt_dscnt 0xc06
	v_dual_fma_f32 v47, v194, v118, -v47 :: v_dual_mul_f32 v59, v211, v131
	v_dual_mul_f32 v51, v199, v123 :: v_dual_mul_f32 v53, v201, v125
	v_dual_fma_f32 v49, v196, v120, -v49 :: v_dual_add_f32 v7, 0, v7
	s_delay_alu instid0(VALU_DEP_3) | instskip(SKIP_1) | instid1(VALU_DEP_3)
	v_dual_add_f32 v47, 0, v47 :: v_dual_mul_f32 v61, v213, v133
	v_dual_fmac_f32 v11, v199, v122 :: v_dual_fmac_f32 v13, v201, v124
	v_dual_fma_f32 v51, v198, v122, -v51 :: v_dual_add_f32 v7, v7, v9
	s_delay_alu instid0(VALU_DEP_3) | instskip(SKIP_2) | instid1(VALU_DEP_4)
	v_dual_add_f32 v9, v47, v49 :: v_dual_fma_f32 v49, v200, v124, -v53
	v_dual_mul_f32 v15, v206, v127 :: v_dual_mul_f32 v17, v208, v129
	v_dual_mul_f32 v55, v207, v127 :: v_dual_mul_f32 v57, v209, v129
	v_add_f32_e32 v7, v7, v11
	s_delay_alu instid0(VALU_DEP_3) | instskip(NEXT) | instid1(VALU_DEP_3)
	v_dual_add_f32 v9, v9, v51 :: v_dual_fmac_f32 v15, v207, v126
	v_fma_f32 v51, v206, v126, -v55
	v_dual_mul_f32 v19, v210, v131 :: v_dual_mul_f32 v21, v212, v133
	s_delay_alu instid0(VALU_DEP_4) | instskip(SKIP_2) | instid1(VALU_DEP_2)
	v_dual_add_f32 v7, v7, v13 :: v_dual_fmac_f32 v17, v209, v128
	s_wait_loadcnt_dscnt 0xa04
	v_dual_add_f32 v9, v9, v49 :: v_dual_mul_f32 v13, v219, v139
	v_dual_fma_f32 v49, v208, v128, -v57 :: v_dual_add_f32 v7, v7, v15
	v_mul_f32_e32 v15, v221, v141
	s_delay_alu instid0(VALU_DEP_3) | instskip(NEXT) | instid1(VALU_DEP_3)
	v_dual_add_f32 v9, v9, v51 :: v_dual_fmac_f32 v19, v211, v130
	v_dual_fma_f32 v51, v210, v130, -v59 :: v_dual_add_f32 v7, v7, v17
	v_fmac_f32_e32 v21, v213, v132
	s_wait_loadcnt_dscnt 0x903
	s_delay_alu instid0(VALU_DEP_3) | instskip(SKIP_3) | instid1(VALU_DEP_3)
	v_dual_add_f32 v9, v9, v49 :: v_dual_mul_f32 v17, v223, v143
	v_dual_mul_f32 v23, v214, v135 :: v_dual_mul_f32 v25, v216, v137
	v_dual_mul_f32 v47, v215, v135 :: v_dual_mul_f32 v11, v217, v137
	v_dual_fma_f32 v49, v212, v132, -v61 :: v_dual_add_f32 v7, v7, v19
	v_dual_add_f32 v9, v9, v51 :: v_dual_fmac_f32 v23, v215, v134
	s_delay_alu instid0(VALU_DEP_3) | instskip(NEXT) | instid1(VALU_DEP_3)
	v_dual_mul_f32 v19, v225, v145 :: v_dual_fma_f32 v47, v214, v134, -v47
	v_dual_add_f32 v7, v7, v21 :: v_dual_fmac_f32 v25, v217, v136
	s_wait_loadcnt_dscnt 0x802
	s_delay_alu instid0(VALU_DEP_3) | instskip(SKIP_1) | instid1(VALU_DEP_3)
	v_dual_add_f32 v9, v9, v49 :: v_dual_mul_f32 v21, v227, v147
	v_dual_mul_f32 v27, v218, v139 :: v_dual_mul_f32 v29, v220, v141
	v_dual_fma_f32 v11, v216, v136, -v11 :: v_dual_add_f32 v7, v7, v23
	s_delay_alu instid0(VALU_DEP_2) | instskip(SKIP_1) | instid1(VALU_DEP_2)
	v_dual_add_f32 v9, v9, v47 :: v_dual_fmac_f32 v27, v219, v138
	v_dual_mul_f32 v23, v229, v149 :: v_dual_fma_f32 v13, v218, v138, -v13
	v_dual_add_f32 v7, v7, v25 :: v_dual_add_f32 v9, v9, v11
	v_dual_mul_f32 v31, v222, v143 :: v_dual_mul_f32 v33, v224, v145
	s_wait_loadcnt_dscnt 0x701
	v_dual_mul_f32 v11, v231, v151 :: v_dual_fmac_f32 v29, v221, v140
	s_delay_alu instid0(VALU_DEP_3) | instskip(NEXT) | instid1(VALU_DEP_3)
	v_dual_fma_f32 v15, v220, v140, -v15 :: v_dual_add_f32 v7, v7, v27
	v_dual_add_f32 v9, v9, v13 :: v_dual_fmac_f32 v31, v223, v142
	v_dual_mul_f32 v13, v233, v153 :: v_dual_fma_f32 v17, v222, v142, -v17
	s_delay_alu instid0(VALU_DEP_2) | instskip(SKIP_3) | instid1(VALU_DEP_3)
	v_dual_add_f32 v7, v7, v29 :: v_dual_add_f32 v9, v9, v15
	v_dual_mul_f32 v35, v226, v147 :: v_dual_mul_f32 v37, v228, v149
	s_wait_loadcnt_dscnt 0x600
	v_dual_mul_f32 v15, v235, v155 :: v_dual_fmac_f32 v33, v225, v144
	v_dual_fma_f32 v19, v224, v144, -v19 :: v_dual_add_f32 v7, v7, v31
	s_delay_alu instid0(VALU_DEP_3) | instskip(SKIP_1) | instid1(VALU_DEP_2)
	v_dual_add_f32 v9, v9, v17 :: v_dual_fmac_f32 v35, v227, v146
	v_dual_mul_f32 v17, v237, v157 :: v_dual_fma_f32 v21, v226, v146, -v21
	v_dual_add_f32 v7, v7, v33 :: v_dual_add_f32 v9, v9, v19
	v_dual_mul_f32 v39, v230, v151 :: v_dual_mul_f32 v41, v232, v153
	s_wait_loadcnt 0x5
	v_dual_mul_f32 v19, v203, v159 :: v_dual_fmac_f32 v37, v229, v148
	s_delay_alu instid0(VALU_DEP_3) | instskip(NEXT) | instid1(VALU_DEP_3)
	v_dual_fma_f32 v23, v228, v148, -v23 :: v_dual_add_f32 v7, v7, v35
	v_dual_add_f32 v9, v9, v21 :: v_dual_fmac_f32 v39, v231, v150
	v_dual_mul_f32 v21, v205, v161 :: v_dual_fma_f32 v11, v230, v150, -v11
	s_delay_alu instid0(VALU_DEP_2) | instskip(SKIP_1) | instid1(VALU_DEP_2)
	v_dual_add_f32 v7, v7, v37 :: v_dual_add_f32 v9, v9, v23
	v_dual_mul_f32 v43, v234, v155 :: v_dual_mul_f32 v45, v236, v157
	v_dual_fmac_f32 v41, v233, v152 :: v_dual_add_f32 v7, v7, v39
	s_delay_alu instid0(VALU_DEP_3) | instskip(SKIP_1) | instid1(VALU_DEP_3)
	v_dual_fma_f32 v13, v232, v152, -v13 :: v_dual_add_f32 v9, v9, v11
	s_wait_loadcnt 0x4
	v_dual_mov_b32 v120, v165 :: v_dual_fmac_f32 v43, v235, v154
	s_delay_alu instid0(VALU_DEP_3) | instskip(NEXT) | instid1(VALU_DEP_3)
	v_dual_fma_f32 v11, v234, v154, -v15 :: v_dual_add_f32 v7, v7, v41
	v_dual_add_f32 v9, v9, v13 :: v_dual_fma_f32 v13, v236, v156, -v17
	v_dual_mul_f32 v249, v202, v159 :: v_dual_mul_f32 v251, v204, v161
	s_delay_alu instid0(VALU_DEP_3) | instskip(NEXT) | instid1(VALU_DEP_2)
	v_dual_fmac_f32 v45, v237, v156 :: v_dual_add_f32 v7, v7, v43
	v_dual_add_f32 v9, v9, v11 :: v_dual_fmac_f32 v249, v203, v158
	v_pk_mul_f32 v[118:119], v[178:179], v[162:163] op_sel:[1,1] op_sel_hi:[0,1]
	s_wait_loadcnt 0x3
	v_dual_mov_b32 v124, v169 :: v_dual_fma_f32 v248, v202, v158, -v19
	v_dual_add_f32 v127, v7, v45 :: v_dual_fmac_f32 v251, v205, v160
	v_dual_add_f32 v126, v9, v13 :: v_dual_fma_f32 v250, v204, v160, -v21
	v_pk_fma_f32 v[128:129], v[178:179], v[162:163], v[118:119] op_sel_hi:[1,0,1]
	v_pk_mul_f32 v[120:121], v[240:241], v[120:121] op_sel_hi:[1,0]
	v_pk_fma_f32 v[118:119], v[178:179], v[162:163], v[118:119] neg_lo:[0,0,1] neg_hi:[0,0,1]
	s_delay_alu instid0(VALU_DEP_4)
	v_pk_add_f32 v[126:127], v[126:127], v[248:249]
	v_pk_mul_f32 v[122:123], v[182:183], v[166:167] op_sel:[1,1] op_sel_hi:[0,1]
	v_mov_b32_e32 v119, v129
	v_pk_fma_f32 v[128:129], v[180:181], v[164:165], v[120:121] op_sel_hi:[1,0,1]
	v_pk_fma_f32 v[120:121], v[180:181], v[164:165], v[120:121] neg_lo:[0,0,1] neg_hi:[0,0,1]
	v_pk_add_f32 v[126:127], v[126:127], v[250:251]
	v_pk_fma_f32 v[132:133], v[182:183], v[166:167], v[122:123] op_sel_hi:[1,0,1]
	v_pk_mul_f32 v[124:125], v[242:243], v[124:125] op_sel_hi:[1,0]
	v_mov_b32_e32 v121, v129
	s_wait_loadcnt 0x2
	v_pk_mul_f32 v[130:131], v[186:187], v[170:171] op_sel:[1,1] op_sel_hi:[0,1]
	v_pk_add_f32 v[118:119], v[126:127], v[118:119]
	v_mov_b32_e32 v126, v173
	v_pk_fma_f32 v[122:123], v[182:183], v[166:167], v[122:123] neg_lo:[0,0,1] neg_hi:[0,0,1]
	v_mov_b32_e32 v123, v133
	v_pk_fma_f32 v[128:129], v[184:185], v[168:169], v[124:125] op_sel_hi:[1,0,1]
	v_pk_add_f32 v[118:119], v[118:119], v[120:121]
	v_pk_fma_f32 v[120:121], v[186:187], v[170:171], v[130:131] op_sel_hi:[1,0,1]
	v_pk_mul_f32 v[126:127], v[244:245], v[126:127] op_sel_hi:[1,0]
	v_pk_fma_f32 v[124:125], v[184:185], v[168:169], v[124:125] neg_lo:[0,0,1] neg_hi:[0,0,1]
	v_mov_b32_e32 v125, v129
	v_pk_add_f32 v[118:119], v[118:119], v[122:123]
	v_pk_fma_f32 v[128:129], v[186:187], v[170:171], v[130:131] neg_lo:[0,0,1] neg_hi:[0,0,1]
	v_mov_b32_e32 v129, v121
	v_pk_fma_f32 v[120:121], v[188:189], v[172:173], v[126:127] op_sel_hi:[1,0,1]
	s_wait_loadcnt 0x1
	v_pk_mul_f32 v[122:123], v[190:191], v[174:175] op_sel:[1,1] op_sel_hi:[0,1]
	v_pk_add_f32 v[118:119], v[118:119], v[124:125]
	v_mov_b32_e32 v120, v177
	v_pk_fma_f32 v[126:127], v[188:189], v[172:173], v[126:127] neg_lo:[0,0,1] neg_hi:[0,0,1]
	v_mov_b32_e32 v127, v121
	v_pk_fma_f32 v[124:125], v[190:191], v[174:175], v[122:123] op_sel_hi:[1,0,1]
	v_pk_add_f32 v[118:119], v[118:119], v[128:129]
	v_pk_mul_f32 v[120:121], v[246:247], v[120:121] op_sel_hi:[1,0]
	v_pk_fma_f32 v[122:123], v[190:191], v[174:175], v[122:123] neg_lo:[0,0,1] neg_hi:[0,0,1]
	s_delay_alu instid0(VALU_DEP_4) | instskip(NEXT) | instid1(VALU_DEP_4)
	v_mov_b32_e32 v123, v125
	v_pk_add_f32 v[118:119], v[118:119], v[126:127]
	s_delay_alu instid0(VALU_DEP_4) | instskip(SKIP_1) | instid1(VALU_DEP_2)
	v_pk_fma_f32 v[124:125], v[192:193], v[176:177], v[120:121] op_sel_hi:[1,0,1]
	v_pk_fma_f32 v[120:121], v[192:193], v[176:177], v[120:121] neg_lo:[0,0,1] neg_hi:[0,0,1]
	v_mov_b32_e32 v121, v125
	s_delay_alu instid0(VALU_DEP_4) | instskip(NEXT) | instid1(VALU_DEP_1)
	v_pk_add_f32 v[118:119], v[118:119], v[122:123]
	v_pk_add_f32 v[118:119], v[118:119], v[120:121]
	s_wait_loadcnt 0x0
	s_delay_alu instid0(VALU_DEP_1)
	v_pk_add_f32 v[118:119], v[238:239], v[118:119] neg_lo:[0,1] neg_hi:[0,1]
	scratch_store_b64 off, v[118:119], off offset:216
	s_wait_xcnt 0x0
	v_cmpx_lt_u32_e32 26, v0
	s_cbranch_execz .LBB121_309
; %bb.308:
	scratch_load_b64 v[118:119], off, off offset:208
	v_mov_b64_e32 v[120:121], 0
	scratch_store_b64 off, v[120:121], off offset:208
	s_wait_loadcnt 0x0
	ds_store_b64 v1, v[118:119]
.LBB121_309:
	s_wait_xcnt 0x0
	s_or_b32 exec_lo, exec_lo, s0
	s_wait_storecnt_dscnt 0x0
	s_barrier_signal -1
	s_barrier_wait -1
	s_clause 0x10
	scratch_load_b128 v[118:121], off, off offset:216
	scratch_load_b128 v[122:125], off, off offset:232
	;; [unrolled: 1-line block ×15, first 2 shown]
	scratch_load_b64 v[238:239], off, off offset:456
	scratch_load_b64 v[240:241], off, off offset:208
	v_mov_b32_e32 v7, 0
	ds_load_2addr_b64 v[178:181], v7 offset0:107 offset1:108
	ds_load_2addr_b64 v[182:185], v7 offset0:109 offset1:110
	;; [unrolled: 1-line block ×15, first 2 shown]
	ds_load_b64 v[242:243], v7 offset:920
	s_mov_b32 s0, exec_lo
	s_wait_dscnt 0xf
	v_dual_mov_b32 v244, v181 :: v_dual_mov_b32 v245, v180
	s_wait_dscnt 0xc
	v_dual_mov_b32 v246, v185 :: v_dual_mov_b32 v251, v192
	v_dual_mov_b32 v247, v184 :: v_dual_mov_b32 v248, v189
	;; [unrolled: 1-line block ×3, first 2 shown]
	s_wait_loadcnt_dscnt 0x100b
	v_dual_mul_f32 v9, v194, v119 :: v_dual_mul_f32 v51, v195, v119
	v_dual_mul_f32 v53, v197, v121 :: v_dual_mul_f32 v11, v196, v121
	s_wait_loadcnt_dscnt 0xf09
	v_mul_f32_e32 v13, v202, v123
	s_wait_loadcnt_dscnt 0xd07
	v_dual_mul_f32 v63, v211, v131 :: v_dual_fma_f32 v51, v194, v118, -v51
	v_dual_fmac_f32 v9, v195, v118 :: v_dual_mul_f32 v65, v213, v133
	v_dual_mul_f32 v55, v203, v123 :: v_dual_mul_f32 v57, v205, v125
	v_dual_fmac_f32 v11, v197, v120 :: v_dual_fma_f32 v53, v196, v120, -v53
	s_delay_alu instid0(VALU_DEP_3) | instskip(SKIP_3) | instid1(VALU_DEP_3)
	v_dual_add_f32 v9, 0, v9 :: v_dual_add_f32 v51, 0, v51
	v_dual_mul_f32 v15, v204, v125 :: v_dual_mul_f32 v17, v206, v127
	s_wait_loadcnt_dscnt 0xc06
	v_dual_mul_f32 v67, v215, v135 :: v_dual_fma_f32 v55, v202, v122, -v55
	v_dual_fmac_f32 v13, v203, v122 :: v_dual_add_f32 v9, v9, v11
	s_delay_alu instid0(VALU_DEP_3) | instskip(SKIP_2) | instid1(VALU_DEP_3)
	v_dual_add_f32 v11, v51, v53 :: v_dual_fmac_f32 v15, v205, v124
	v_dual_mul_f32 v59, v207, v127 :: v_dual_mul_f32 v61, v209, v129
	v_dual_mul_f32 v51, v217, v137 :: v_dual_fma_f32 v53, v204, v124, -v57
	v_dual_add_f32 v9, v9, v13 :: v_dual_add_f32 v11, v11, v55
	v_dual_mul_f32 v19, v208, v129 :: v_dual_mul_f32 v21, v210, v131
	s_wait_loadcnt_dscnt 0xb05
	v_dual_mul_f32 v13, v219, v139 :: v_dual_fma_f32 v55, v206, v126, -v59
	s_delay_alu instid0(VALU_DEP_3) | instskip(NEXT) | instid1(VALU_DEP_3)
	v_dual_fmac_f32 v17, v207, v126 :: v_dual_add_f32 v9, v9, v15
	v_dual_add_f32 v11, v11, v53 :: v_dual_fmac_f32 v19, v209, v128
	v_dual_mul_f32 v15, v221, v141 :: v_dual_fma_f32 v53, v208, v128, -v61
	s_delay_alu instid0(VALU_DEP_2) | instskip(SKIP_3) | instid1(VALU_DEP_3)
	v_dual_add_f32 v9, v9, v17 :: v_dual_add_f32 v11, v11, v55
	v_dual_mul_f32 v23, v212, v133 :: v_dual_mul_f32 v25, v214, v135
	s_wait_loadcnt_dscnt 0xa04
	v_dual_mul_f32 v17, v223, v143 :: v_dual_fma_f32 v55, v210, v130, -v63
	v_dual_fmac_f32 v21, v211, v130 :: v_dual_add_f32 v9, v9, v19
	s_delay_alu instid0(VALU_DEP_3) | instskip(SKIP_1) | instid1(VALU_DEP_2)
	v_dual_add_f32 v11, v11, v53 :: v_dual_fmac_f32 v23, v213, v132
	v_dual_mul_f32 v19, v225, v145 :: v_dual_fma_f32 v53, v212, v132, -v65
	v_dual_add_f32 v9, v9, v21 :: v_dual_add_f32 v11, v11, v55
	v_dual_mul_f32 v27, v216, v137 :: v_dual_mul_f32 v29, v218, v139
	s_wait_loadcnt_dscnt 0x903
	v_dual_mul_f32 v21, v227, v147 :: v_dual_fma_f32 v55, v214, v134, -v67
	s_delay_alu instid0(VALU_DEP_3) | instskip(NEXT) | instid1(VALU_DEP_3)
	v_dual_fmac_f32 v25, v215, v134 :: v_dual_add_f32 v9, v9, v23
	v_dual_add_f32 v11, v11, v53 :: v_dual_fmac_f32 v27, v217, v136
	v_dual_mul_f32 v23, v229, v149 :: v_dual_fma_f32 v51, v216, v136, -v51
	s_delay_alu instid0(VALU_DEP_2) | instskip(SKIP_3) | instid1(VALU_DEP_3)
	v_dual_add_f32 v9, v9, v25 :: v_dual_add_f32 v11, v11, v55
	v_dual_mul_f32 v31, v220, v141 :: v_dual_mul_f32 v33, v222, v143
	s_wait_loadcnt_dscnt 0x802
	v_dual_mul_f32 v25, v231, v151 :: v_dual_fma_f32 v13, v218, v138, -v13
	v_dual_fmac_f32 v29, v219, v138 :: v_dual_add_f32 v9, v9, v27
	v_dual_add_f32 v11, v11, v51 :: v_dual_mul_f32 v27, v233, v153
	v_fmac_f32_e32 v31, v221, v140
	s_delay_alu instid0(VALU_DEP_3) | instskip(NEXT) | instid1(VALU_DEP_3)
	v_dual_fma_f32 v15, v220, v140, -v15 :: v_dual_add_f32 v9, v9, v29
	v_add_f32_e32 v11, v11, v13
	v_dual_mul_f32 v35, v224, v145 :: v_dual_mul_f32 v37, v226, v147
	s_wait_loadcnt_dscnt 0x701
	v_dual_mul_f32 v13, v235, v155 :: v_dual_fma_f32 v17, v222, v142, -v17
	v_dual_fmac_f32 v33, v223, v142 :: v_dual_add_f32 v9, v9, v31
	v_dual_add_f32 v11, v11, v15 :: v_dual_mul_f32 v15, v237, v157
	v_fmac_f32_e32 v35, v225, v144
	s_delay_alu instid0(VALU_DEP_3) | instskip(NEXT) | instid1(VALU_DEP_3)
	v_dual_fma_f32 v19, v224, v144, -v19 :: v_dual_add_f32 v9, v9, v33
	v_add_f32_e32 v11, v11, v17
	v_dual_mul_f32 v39, v228, v149 :: v_dual_mul_f32 v41, v230, v151
	s_wait_loadcnt 0x6
	v_dual_mul_f32 v17, v199, v159 :: v_dual_fma_f32 v21, v226, v146, -v21
	v_dual_fmac_f32 v37, v227, v146 :: v_dual_add_f32 v9, v9, v35
	v_dual_add_f32 v11, v11, v19 :: v_dual_mul_f32 v19, v201, v161
	v_fmac_f32_e32 v39, v229, v148
	s_delay_alu instid0(VALU_DEP_3) | instskip(NEXT) | instid1(VALU_DEP_3)
	v_dual_fma_f32 v23, v228, v148, -v23 :: v_dual_add_f32 v9, v9, v37
	v_add_f32_e32 v11, v11, v21
	v_dual_mul_f32 v43, v232, v153 :: v_dual_mul_f32 v45, v234, v155
	s_wait_loadcnt 0x5
	v_dual_mul_f32 v21, v179, v163 :: v_dual_fma_f32 v25, v230, v150, -v25
	v_dual_fmac_f32 v41, v231, v150 :: v_dual_add_f32 v9, v9, v39
	v_dual_add_f32 v11, v11, v23 :: v_dual_mov_b32 v118, v165
	v_fmac_f32_e32 v43, v233, v152
	s_delay_alu instid0(VALU_DEP_3) | instskip(NEXT) | instid1(VALU_DEP_3)
	v_dual_fma_f32 v23, v232, v152, -v27 :: v_dual_add_f32 v9, v9, v41
	v_add_f32_e32 v11, v11, v25
	v_dual_mul_f32 v47, v236, v157 :: v_dual_mul_f32 v49, v198, v159
	s_delay_alu instid0(VALU_DEP_3) | instskip(NEXT) | instid1(VALU_DEP_3)
	v_dual_fmac_f32 v45, v235, v154 :: v_dual_add_f32 v9, v9, v43
	v_dual_fma_f32 v13, v234, v154, -v13 :: v_dual_add_f32 v11, v11, v23
	s_wait_loadcnt 0x4
	v_dual_mov_b32 v122, v169 :: v_dual_fma_f32 v15, v236, v156, -v15
	v_fmac_f32_e32 v47, v237, v156
	v_dual_add_f32 v9, v9, v45 :: v_dual_fmac_f32 v49, v199, v158
	v_add_f32_e32 v11, v11, v13
	v_dual_mul_f32 v253, v200, v161 :: v_dual_mul_f32 v255, v178, v163
	s_delay_alu instid0(VALU_DEP_3) | instskip(NEXT) | instid1(VALU_DEP_2)
	v_dual_fma_f32 v13, v198, v158, -v17 :: v_dual_add_f32 v9, v9, v47
	v_dual_add_f32 v11, v11, v15 :: v_dual_fmac_f32 v253, v201, v160
	v_fma_f32 v252, v200, v160, -v19
	v_pk_mul_f32 v[118:119], v[244:245], v[118:119] op_sel_hi:[1,0]
	s_delay_alu instid0(VALU_DEP_4)
	v_add_f32_e32 v127, v9, v49
	s_wait_loadcnt 0x3
	v_dual_add_f32 v126, v11, v13 :: v_dual_mov_b32 v128, v173
	v_pk_mul_f32 v[120:121], v[182:183], v[166:167] op_sel:[1,1] op_sel_hi:[0,1]
	v_dual_fmac_f32 v255, v179, v162 :: v_dual_fma_f32 v254, v178, v162, -v21
	v_pk_fma_f32 v[130:131], v[180:181], v[164:165], v[118:119] op_sel_hi:[1,0,1]
	s_delay_alu instid0(VALU_DEP_4)
	v_pk_add_f32 v[126:127], v[126:127], v[252:253]
	v_pk_fma_f32 v[118:119], v[180:181], v[164:165], v[118:119] neg_lo:[0,0,1] neg_hi:[0,0,1]
	v_pk_fma_f32 v[132:133], v[182:183], v[166:167], v[120:121] op_sel_hi:[1,0,1]
	v_pk_mul_f32 v[122:123], v[246:247], v[122:123] op_sel_hi:[1,0]
	v_mov_b32_e32 v119, v131
	v_pk_add_f32 v[126:127], v[126:127], v[254:255]
	v_pk_fma_f32 v[120:121], v[182:183], v[166:167], v[120:121] neg_lo:[0,0,1] neg_hi:[0,0,1]
	v_pk_mul_f32 v[124:125], v[186:187], v[170:171] op_sel:[1,1] op_sel_hi:[0,1]
	v_mov_b32_e32 v121, v133
	v_pk_fma_f32 v[132:133], v[184:185], v[168:169], v[122:123] op_sel_hi:[1,0,1]
	v_pk_add_f32 v[118:119], v[126:127], v[118:119]
	v_pk_fma_f32 v[122:123], v[184:185], v[168:169], v[122:123] neg_lo:[0,0,1] neg_hi:[0,0,1]
	v_pk_fma_f32 v[126:127], v[186:187], v[170:171], v[124:125] op_sel_hi:[1,0,1]
	v_pk_mul_f32 v[128:129], v[248:249], v[128:129] op_sel_hi:[1,0]
	v_mov_b32_e32 v123, v133
	v_pk_add_f32 v[118:119], v[118:119], v[120:121]
	v_pk_fma_f32 v[124:125], v[186:187], v[170:171], v[124:125] neg_lo:[0,0,1] neg_hi:[0,0,1]
	s_wait_loadcnt 0x2
	v_pk_mul_f32 v[130:131], v[190:191], v[174:175] op_sel:[1,1] op_sel_hi:[0,1]
	v_dual_mov_b32 v120, v177 :: v_dual_mov_b32 v125, v127
	v_pk_fma_f32 v[126:127], v[188:189], v[172:173], v[128:129] op_sel_hi:[1,0,1]
	v_pk_add_f32 v[118:119], v[118:119], v[122:123]
	v_pk_fma_f32 v[128:129], v[188:189], v[172:173], v[128:129] neg_lo:[0,0,1] neg_hi:[0,0,1]
	v_pk_fma_f32 v[122:123], v[190:191], v[174:175], v[130:131] op_sel_hi:[1,0,1]
	v_pk_mul_f32 v[120:121], v[250:251], v[120:121] op_sel_hi:[1,0]
	v_mov_b32_e32 v129, v127
	v_pk_add_f32 v[118:119], v[118:119], v[124:125]
	v_pk_fma_f32 v[124:125], v[190:191], v[174:175], v[130:131] neg_lo:[0,0,1] neg_hi:[0,0,1]
	v_mov_b32_e32 v125, v123
	v_pk_fma_f32 v[122:123], v[192:193], v[176:177], v[120:121] op_sel_hi:[1,0,1]
	s_wait_loadcnt_dscnt 0x100
	v_pk_mul_f32 v[126:127], v[242:243], v[238:239] op_sel:[1,1] op_sel_hi:[0,1]
	v_pk_add_f32 v[118:119], v[118:119], v[128:129]
	v_pk_fma_f32 v[120:121], v[192:193], v[176:177], v[120:121] neg_lo:[0,0,1] neg_hi:[0,0,1]
	v_mov_b32_e32 v121, v123
	s_delay_alu instid0(VALU_DEP_4) | instskip(NEXT) | instid1(VALU_DEP_4)
	v_pk_fma_f32 v[122:123], v[242:243], v[238:239], v[126:127] op_sel_hi:[1,0,1]
	v_pk_add_f32 v[118:119], v[118:119], v[124:125]
	v_pk_fma_f32 v[124:125], v[242:243], v[238:239], v[126:127] neg_lo:[0,0,1] neg_hi:[0,0,1]
	s_delay_alu instid0(VALU_DEP_3) | instskip(NEXT) | instid1(VALU_DEP_3)
	v_mov_b32_e32 v125, v123
	v_pk_add_f32 v[118:119], v[118:119], v[120:121]
	s_delay_alu instid0(VALU_DEP_1) | instskip(SKIP_1) | instid1(VALU_DEP_1)
	v_pk_add_f32 v[118:119], v[118:119], v[124:125]
	s_wait_loadcnt 0x0
	v_pk_add_f32 v[118:119], v[240:241], v[118:119] neg_lo:[0,1] neg_hi:[0,1]
	scratch_store_b64 off, v[118:119], off offset:208
	s_wait_xcnt 0x0
	v_cmpx_lt_u32_e32 25, v0
	s_cbranch_execz .LBB121_311
; %bb.310:
	scratch_load_b64 v[118:119], off, off offset:200
	v_mov_b64_e32 v[120:121], 0
	scratch_store_b64 off, v[120:121], off offset:200
	s_wait_loadcnt 0x0
	ds_store_b64 v1, v[118:119]
.LBB121_311:
	s_wait_xcnt 0x0
	s_or_b32 exec_lo, exec_lo, s0
	s_wait_storecnt_dscnt 0x0
	s_barrier_signal -1
	s_barrier_wait -1
	s_clause 0x10
	scratch_load_b128 v[118:121], off, off offset:208
	scratch_load_b128 v[122:125], off, off offset:224
	;; [unrolled: 1-line block ×16, first 2 shown]
	scratch_load_b64 v[246:247], off, off offset:200
	ds_load_b128 v[182:185], v7 offset:864
	ds_load_b128 v[186:189], v7 offset:880
	;; [unrolled: 1-line block ×16, first 2 shown]
	s_mov_b32 s0, exec_lo
	s_wait_dscnt 0xf
	v_dual_mov_b32 v248, v185 :: v_dual_mov_b32 v249, v184
	s_wait_dscnt 0xe
	v_dual_mov_b32 v250, v189 :: v_dual_mov_b32 v251, v188
	;; [unrolled: 2-line block ×4, first 2 shown]
	s_wait_loadcnt_dscnt 0x100b
	v_dual_mul_f32 v7, v198, v119 :: v_dual_mul_f32 v9, v200, v121
	v_dual_mul_f32 v51, v199, v119 :: v_dual_mul_f32 v53, v201, v121
	s_wait_loadcnt_dscnt 0xf0a
	v_dual_mul_f32 v11, v202, v123 :: v_dual_mul_f32 v13, v204, v125
	s_delay_alu instid0(VALU_DEP_3) | instskip(SKIP_3) | instid1(VALU_DEP_3)
	v_dual_fmac_f32 v7, v199, v118 :: v_dual_fmac_f32 v9, v201, v120
	s_wait_loadcnt_dscnt 0xd08
	v_dual_fma_f32 v51, v198, v118, -v51 :: v_dual_mul_f32 v63, v211, v131
	v_dual_mul_f32 v55, v203, v123 :: v_dual_mul_f32 v57, v205, v125
	v_dual_fma_f32 v53, v200, v120, -v53 :: v_dual_add_f32 v7, 0, v7
	s_delay_alu instid0(VALU_DEP_3) | instskip(SKIP_1) | instid1(VALU_DEP_3)
	v_dual_add_f32 v51, 0, v51 :: v_dual_mul_f32 v65, v213, v133
	v_dual_fmac_f32 v11, v203, v122 :: v_dual_fmac_f32 v13, v205, v124
	v_dual_fma_f32 v55, v202, v122, -v55 :: v_dual_add_f32 v7, v7, v9
	s_delay_alu instid0(VALU_DEP_3) | instskip(SKIP_2) | instid1(VALU_DEP_4)
	v_dual_add_f32 v9, v51, v53 :: v_dual_fma_f32 v53, v204, v124, -v57
	v_dual_mul_f32 v15, v206, v127 :: v_dual_mul_f32 v17, v208, v129
	v_dual_mul_f32 v59, v207, v127 :: v_dual_mul_f32 v61, v209, v129
	v_add_f32_e32 v7, v7, v11
	s_delay_alu instid0(VALU_DEP_3) | instskip(NEXT) | instid1(VALU_DEP_3)
	v_dual_add_f32 v9, v9, v55 :: v_dual_fmac_f32 v15, v207, v126
	v_fma_f32 v55, v206, v126, -v59
	v_dual_mul_f32 v19, v210, v131 :: v_dual_mul_f32 v21, v212, v133
	s_delay_alu instid0(VALU_DEP_4) | instskip(SKIP_2) | instid1(VALU_DEP_2)
	v_dual_add_f32 v7, v7, v13 :: v_dual_fmac_f32 v17, v209, v128
	s_wait_loadcnt_dscnt 0xb06
	v_dual_add_f32 v9, v9, v53 :: v_dual_mul_f32 v13, v219, v139
	v_dual_fma_f32 v53, v208, v128, -v61 :: v_dual_add_f32 v7, v7, v15
	v_mul_f32_e32 v15, v221, v141
	s_delay_alu instid0(VALU_DEP_3) | instskip(NEXT) | instid1(VALU_DEP_3)
	v_dual_add_f32 v9, v9, v55 :: v_dual_fmac_f32 v19, v211, v130
	v_dual_fma_f32 v55, v210, v130, -v63 :: v_dual_add_f32 v7, v7, v17
	v_fmac_f32_e32 v21, v213, v132
	s_wait_loadcnt_dscnt 0xa05
	s_delay_alu instid0(VALU_DEP_3) | instskip(SKIP_3) | instid1(VALU_DEP_3)
	v_dual_add_f32 v9, v9, v53 :: v_dual_mul_f32 v17, v223, v143
	v_dual_mul_f32 v23, v214, v135 :: v_dual_mul_f32 v25, v216, v137
	v_dual_mul_f32 v51, v215, v135 :: v_dual_mul_f32 v11, v217, v137
	v_dual_fma_f32 v53, v212, v132, -v65 :: v_dual_add_f32 v7, v7, v19
	v_dual_add_f32 v9, v9, v55 :: v_dual_fmac_f32 v23, v215, v134
	s_delay_alu instid0(VALU_DEP_3) | instskip(NEXT) | instid1(VALU_DEP_3)
	v_dual_mul_f32 v19, v225, v145 :: v_dual_fma_f32 v51, v214, v134, -v51
	v_dual_add_f32 v7, v7, v21 :: v_dual_fmac_f32 v25, v217, v136
	s_wait_loadcnt_dscnt 0x904
	s_delay_alu instid0(VALU_DEP_3) | instskip(SKIP_1) | instid1(VALU_DEP_3)
	v_dual_add_f32 v9, v9, v53 :: v_dual_mul_f32 v21, v227, v147
	v_dual_mul_f32 v27, v218, v139 :: v_dual_mul_f32 v29, v220, v141
	v_dual_fma_f32 v11, v216, v136, -v11 :: v_dual_add_f32 v7, v7, v23
	s_delay_alu instid0(VALU_DEP_2) | instskip(SKIP_1) | instid1(VALU_DEP_2)
	v_dual_add_f32 v9, v9, v51 :: v_dual_fmac_f32 v27, v219, v138
	v_dual_mul_f32 v23, v229, v149 :: v_dual_fma_f32 v13, v218, v138, -v13
	v_dual_add_f32 v7, v7, v25 :: v_dual_add_f32 v9, v9, v11
	v_dual_mul_f32 v31, v222, v143 :: v_dual_mul_f32 v33, v224, v145
	s_wait_loadcnt_dscnt 0x803
	v_dual_mul_f32 v11, v231, v151 :: v_dual_fmac_f32 v29, v221, v140
	s_delay_alu instid0(VALU_DEP_3) | instskip(NEXT) | instid1(VALU_DEP_3)
	v_dual_fma_f32 v15, v220, v140, -v15 :: v_dual_add_f32 v7, v7, v27
	v_dual_add_f32 v9, v9, v13 :: v_dual_fmac_f32 v31, v223, v142
	v_dual_mul_f32 v13, v233, v153 :: v_dual_fma_f32 v17, v222, v142, -v17
	s_delay_alu instid0(VALU_DEP_2) | instskip(SKIP_3) | instid1(VALU_DEP_3)
	v_dual_add_f32 v7, v7, v29 :: v_dual_add_f32 v9, v9, v15
	v_dual_mul_f32 v35, v226, v147 :: v_dual_mul_f32 v37, v228, v149
	s_wait_loadcnt_dscnt 0x702
	v_dual_mul_f32 v15, v235, v155 :: v_dual_fmac_f32 v33, v225, v144
	v_dual_fma_f32 v19, v224, v144, -v19 :: v_dual_add_f32 v7, v7, v31
	s_delay_alu instid0(VALU_DEP_3) | instskip(SKIP_1) | instid1(VALU_DEP_2)
	v_dual_add_f32 v9, v9, v17 :: v_dual_fmac_f32 v35, v227, v146
	v_dual_mul_f32 v17, v237, v157 :: v_dual_fma_f32 v21, v226, v146, -v21
	v_dual_add_f32 v7, v7, v33 :: v_dual_add_f32 v9, v9, v19
	v_dual_mul_f32 v39, v230, v151 :: v_dual_mul_f32 v41, v232, v153
	s_wait_loadcnt_dscnt 0x601
	v_dual_mul_f32 v19, v239, v159 :: v_dual_fmac_f32 v37, v229, v148
	s_delay_alu instid0(VALU_DEP_3) | instskip(NEXT) | instid1(VALU_DEP_3)
	v_dual_fma_f32 v23, v228, v148, -v23 :: v_dual_add_f32 v7, v7, v35
	v_dual_add_f32 v9, v9, v21 :: v_dual_fmac_f32 v39, v231, v150
	v_dual_mul_f32 v21, v241, v161 :: v_dual_fma_f32 v11, v230, v150, -v11
	s_delay_alu instid0(VALU_DEP_2) | instskip(SKIP_3) | instid1(VALU_DEP_3)
	v_dual_add_f32 v7, v7, v37 :: v_dual_add_f32 v9, v9, v23
	v_dual_mul_f32 v43, v234, v155 :: v_dual_mul_f32 v45, v236, v157
	s_wait_loadcnt_dscnt 0x500
	v_dual_mul_f32 v23, v243, v163 :: v_dual_fmac_f32 v41, v233, v152
	v_dual_fma_f32 v13, v232, v152, -v13 :: v_dual_add_f32 v7, v7, v39
	s_delay_alu instid0(VALU_DEP_3) | instskip(SKIP_1) | instid1(VALU_DEP_3)
	v_dual_add_f32 v9, v9, v11 :: v_dual_fmac_f32 v43, v235, v154
	v_dual_mul_f32 v11, v245, v165 :: v_dual_fma_f32 v15, v234, v154, -v15
	v_dual_add_f32 v7, v7, v41 :: v_dual_fmac_f32 v45, v237, v156
	s_delay_alu instid0(VALU_DEP_3) | instskip(SKIP_2) | instid1(VALU_DEP_3)
	v_dual_add_f32 v9, v9, v13 :: v_dual_fma_f32 v13, v236, v156, -v17
	v_dual_mul_f32 v47, v238, v159 :: v_dual_mul_f32 v49, v240, v161
	s_wait_loadcnt 0x4
	v_dual_add_f32 v7, v7, v43 :: v_dual_mov_b32 v120, v169
	s_delay_alu instid0(VALU_DEP_2) | instskip(NEXT) | instid1(VALU_DEP_2)
	v_dual_add_f32 v9, v9, v15 :: v_dual_fmac_f32 v47, v239, v158
	v_dual_fma_f32 v15, v238, v158, -v19 :: v_dual_add_f32 v7, v7, v45
	s_set_vgpr_msb 64                       ;  msbs: dst=1 src0=0 src1=0 src2=0
	v_dual_mul_f32 v1 /*v257*/, v242, v163 :: v_dual_mul_f32 v3 /*v259*/, v244, v165
	s_set_vgpr_msb 0                        ;  msbs: dst=0 src0=0 src1=0 src2=0
	v_dual_add_f32 v9, v9, v13 :: v_dual_fma_f32 v13, v240, v160, -v21
	v_dual_fmac_f32 v49, v241, v160 :: v_dual_add_f32 v7, v7, v47
	v_pk_mul_f32 v[118:119], v[182:183], v[166:167] op_sel:[1,1] op_sel_hi:[0,1]
	s_delay_alu instid0(VALU_DEP_3)
	v_add_f32_e32 v9, v9, v15
	s_set_vgpr_msb 64                       ;  msbs: dst=1 src0=0 src1=0 src2=0
	v_dual_fmac_f32 v1 /*v257*/, v243, v162 :: v_dual_fmac_f32 v3 /*v259*/, v245, v164
	v_fma_f32 v0 /*v256*/, v242, v162, -v23
	s_set_vgpr_msb 0                        ;  msbs: dst=0 src0=0 src1=0 src2=0
	v_add_f32_e32 v127, v7, v49
	v_add_f32_e32 v126, v9, v13
	s_set_vgpr_msb 64                       ;  msbs: dst=1 src0=0 src1=0 src2=0
	v_fma_f32 v2 /*v258*/, v244, v164, -v11
	s_set_vgpr_msb 0                        ;  msbs: dst=0 src0=0 src1=0 src2=0
	v_pk_fma_f32 v[128:129], v[182:183], v[166:167], v[118:119] op_sel_hi:[1,0,1]
	v_pk_mul_f32 v[120:121], v[248:249], v[120:121] op_sel_hi:[1,0]
	v_pk_fma_f32 v[118:119], v[182:183], v[166:167], v[118:119] neg_lo:[0,0,1] neg_hi:[0,0,1]
	s_set_vgpr_msb 4                        ;  msbs: dst=0 src0=0 src1=1 src2=0
	v_pk_add_f32 v[126:127], v[126:127], v[0:1] /*v[256:257]*/
	s_wait_loadcnt 0x3
	s_set_vgpr_msb 0                        ;  msbs: dst=0 src0=0 src1=0 src2=0
	v_pk_mul_f32 v[122:123], v[186:187], v[170:171] op_sel:[1,1] op_sel_hi:[0,1]
	v_dual_mov_b32 v124, v173 :: v_dual_mov_b32 v119, v129
	v_pk_fma_f32 v[128:129], v[184:185], v[168:169], v[120:121] op_sel_hi:[1,0,1]
	s_set_vgpr_msb 4                        ;  msbs: dst=0 src0=0 src1=1 src2=0
	v_pk_add_f32 v[126:127], v[126:127], v[2:3] /*v[258:259]*/
	s_set_vgpr_msb 0                        ;  msbs: dst=0 src0=0 src1=0 src2=0
	v_pk_fma_f32 v[120:121], v[184:185], v[168:169], v[120:121] neg_lo:[0,0,1] neg_hi:[0,0,1]
	v_pk_fma_f32 v[132:133], v[186:187], v[170:171], v[122:123] op_sel_hi:[1,0,1]
	v_pk_mul_f32 v[124:125], v[250:251], v[124:125] op_sel_hi:[1,0]
	v_mov_b32_e32 v121, v129
	v_pk_add_f32 v[118:119], v[126:127], v[118:119]
	s_wait_loadcnt 0x2
	v_pk_mul_f32 v[130:131], v[190:191], v[174:175] op_sel:[1,1] op_sel_hi:[0,1]
	v_mov_b32_e32 v126, v177
	v_pk_fma_f32 v[122:123], v[186:187], v[170:171], v[122:123] neg_lo:[0,0,1] neg_hi:[0,0,1]
	v_pk_fma_f32 v[128:129], v[188:189], v[172:173], v[124:125] op_sel_hi:[1,0,1]
	v_mov_b32_e32 v123, v133
	v_pk_add_f32 v[118:119], v[118:119], v[120:121]
	v_pk_fma_f32 v[120:121], v[190:191], v[174:175], v[130:131] op_sel_hi:[1,0,1]
	v_pk_mul_f32 v[126:127], v[252:253], v[126:127] op_sel_hi:[1,0]
	v_pk_fma_f32 v[124:125], v[188:189], v[172:173], v[124:125] neg_lo:[0,0,1] neg_hi:[0,0,1]
	v_mov_b32_e32 v125, v129
	v_pk_add_f32 v[118:119], v[118:119], v[122:123]
	v_pk_fma_f32 v[128:129], v[190:191], v[174:175], v[130:131] neg_lo:[0,0,1] neg_hi:[0,0,1]
	v_mov_b32_e32 v129, v121
	v_pk_fma_f32 v[120:121], v[192:193], v[176:177], v[126:127] op_sel_hi:[1,0,1]
	s_wait_loadcnt 0x1
	v_pk_mul_f32 v[122:123], v[194:195], v[178:179] op_sel:[1,1] op_sel_hi:[0,1]
	v_pk_add_f32 v[118:119], v[118:119], v[124:125]
	v_mov_b32_e32 v120, v181
	v_pk_fma_f32 v[126:127], v[192:193], v[176:177], v[126:127] neg_lo:[0,0,1] neg_hi:[0,0,1]
	s_delay_alu instid0(VALU_DEP_4)
	v_pk_fma_f32 v[124:125], v[194:195], v[178:179], v[122:123] op_sel_hi:[1,0,1]
	v_mov_b32_e32 v127, v121
	v_pk_add_f32 v[118:119], v[118:119], v[128:129]
	v_pk_mul_f32 v[120:121], v[254:255], v[120:121] op_sel_hi:[1,0]
	v_pk_fma_f32 v[122:123], v[194:195], v[178:179], v[122:123] neg_lo:[0,0,1] neg_hi:[0,0,1]
	v_mov_b32_e32 v123, v125
	s_delay_alu instid0(VALU_DEP_4) | instskip(NEXT) | instid1(VALU_DEP_4)
	v_pk_add_f32 v[118:119], v[118:119], v[126:127]
	v_pk_fma_f32 v[124:125], v[196:197], v[180:181], v[120:121] op_sel_hi:[1,0,1]
	v_pk_fma_f32 v[120:121], v[196:197], v[180:181], v[120:121] neg_lo:[0,0,1] neg_hi:[0,0,1]
	s_delay_alu instid0(VALU_DEP_3) | instskip(NEXT) | instid1(VALU_DEP_3)
	v_pk_add_f32 v[118:119], v[118:119], v[122:123]
	v_mov_b32_e32 v121, v125
	s_delay_alu instid0(VALU_DEP_1) | instskip(SKIP_1) | instid1(VALU_DEP_1)
	v_pk_add_f32 v[118:119], v[118:119], v[120:121]
	s_wait_loadcnt 0x0
	v_pk_add_f32 v[118:119], v[246:247], v[118:119] neg_lo:[0,1] neg_hi:[0,1]
	scratch_store_b64 off, v[118:119], off offset:200
	s_wait_xcnt 0x0
	v_cmpx_lt_u32_e32 24, v0
	s_cbranch_execz .LBB121_313
; %bb.312:
	scratch_load_b64 v[118:119], off, off offset:192
	v_mov_b64_e32 v[120:121], 0
	scratch_store_b64 off, v[120:121], off offset:192
	s_wait_loadcnt 0x0
	ds_store_b64 v1, v[118:119]
.LBB121_313:
	s_wait_xcnt 0x0
	s_or_b32 exec_lo, exec_lo, s0
	s_wait_storecnt_dscnt 0x0
	s_barrier_signal -1
	s_barrier_wait -1
	s_clause 0x11
	scratch_load_b128 v[118:121], off, off offset:200
	scratch_load_b128 v[122:125], off, off offset:216
	;; [unrolled: 1-line block ×16, first 2 shown]
	scratch_load_b64 v[246:247], off, off offset:456
	scratch_load_b64 v[248:249], off, off offset:192
	v_mov_b32_e32 v7, 0
	ds_load_2addr_b64 v[182:185], v7 offset0:107 offset1:108
	ds_load_2addr_b64 v[186:189], v7 offset0:109 offset1:110
	;; [unrolled: 1-line block ×16, first 2 shown]
	ds_load_b64 v[250:251], v7 offset:920
	s_mov_b32 s0, exec_lo
	s_wait_dscnt 0xf
	v_dual_mov_b32 v252, v185 :: v_dual_mov_b32 v255, v188
	v_dual_mov_b32 v253, v184 :: v_dual_mov_b32 v254, v189
	s_wait_dscnt 0xe
	s_set_vgpr_msb 64                       ;  msbs: dst=1 src0=0 src1=0 src2=0
	v_dual_mov_b32 v0 /*v256*/, v193 :: v_dual_mov_b32 v1 /*v257*/, v192
	s_wait_dscnt 0xd
	v_dual_mov_b32 v2 /*v258*/, v197 :: v_dual_mov_b32 v3 /*v259*/, v196
	s_wait_loadcnt_dscnt 0x110c
	s_set_vgpr_msb 0                        ;  msbs: dst=0 src0=0 src1=0 src2=0
	v_dual_mul_f32 v9, v198, v119 :: v_dual_mul_f32 v55, v199, v119
	v_dual_mul_f32 v57, v201, v121 :: v_dual_mul_f32 v11, v200, v121
	s_wait_loadcnt_dscnt 0x100b
	v_mul_f32_e32 v13, v202, v123
	s_wait_loadcnt_dscnt 0xe09
	v_dual_mul_f32 v67, v211, v131 :: v_dual_fma_f32 v55, v198, v118, -v55
	v_dual_fmac_f32 v9, v199, v118 :: v_dual_mul_f32 v69, v213, v133
	v_dual_mul_f32 v59, v203, v123 :: v_dual_mul_f32 v61, v205, v125
	v_dual_fmac_f32 v11, v201, v120 :: v_dual_fma_f32 v57, v200, v120, -v57
	s_delay_alu instid0(VALU_DEP_3) | instskip(SKIP_3) | instid1(VALU_DEP_3)
	v_dual_add_f32 v9, 0, v9 :: v_dual_add_f32 v55, 0, v55
	v_dual_mul_f32 v15, v204, v125 :: v_dual_mul_f32 v17, v206, v127
	s_wait_loadcnt_dscnt 0xd08
	v_dual_mul_f32 v71, v215, v135 :: v_dual_fma_f32 v59, v202, v122, -v59
	v_dual_fmac_f32 v13, v203, v122 :: v_dual_add_f32 v9, v9, v11
	s_delay_alu instid0(VALU_DEP_3) | instskip(SKIP_2) | instid1(VALU_DEP_3)
	v_dual_add_f32 v11, v55, v57 :: v_dual_fmac_f32 v15, v205, v124
	v_dual_mul_f32 v63, v207, v127 :: v_dual_mul_f32 v65, v209, v129
	v_dual_mul_f32 v55, v217, v137 :: v_dual_fma_f32 v57, v204, v124, -v61
	v_dual_add_f32 v9, v9, v13 :: v_dual_add_f32 v11, v11, v59
	v_dual_mul_f32 v19, v208, v129 :: v_dual_mul_f32 v21, v210, v131
	s_wait_loadcnt_dscnt 0xc07
	v_dual_mul_f32 v13, v219, v139 :: v_dual_fma_f32 v59, v206, v126, -v63
	s_delay_alu instid0(VALU_DEP_3) | instskip(NEXT) | instid1(VALU_DEP_3)
	v_dual_fmac_f32 v17, v207, v126 :: v_dual_add_f32 v9, v9, v15
	v_dual_add_f32 v11, v11, v57 :: v_dual_fmac_f32 v19, v209, v128
	v_dual_mul_f32 v15, v221, v141 :: v_dual_fma_f32 v57, v208, v128, -v65
	s_delay_alu instid0(VALU_DEP_2) | instskip(SKIP_3) | instid1(VALU_DEP_3)
	v_dual_add_f32 v9, v9, v17 :: v_dual_add_f32 v11, v11, v59
	v_dual_mul_f32 v23, v212, v133 :: v_dual_mul_f32 v25, v214, v135
	s_wait_loadcnt_dscnt 0xb06
	v_dual_mul_f32 v17, v223, v143 :: v_dual_fma_f32 v59, v210, v130, -v67
	v_dual_fmac_f32 v21, v211, v130 :: v_dual_add_f32 v9, v9, v19
	s_delay_alu instid0(VALU_DEP_3) | instskip(SKIP_1) | instid1(VALU_DEP_2)
	v_dual_add_f32 v11, v11, v57 :: v_dual_fmac_f32 v23, v213, v132
	v_dual_mul_f32 v19, v225, v145 :: v_dual_fma_f32 v57, v212, v132, -v69
	v_dual_add_f32 v9, v9, v21 :: v_dual_add_f32 v11, v11, v59
	v_dual_mul_f32 v27, v216, v137 :: v_dual_mul_f32 v29, v218, v139
	s_wait_loadcnt_dscnt 0xa05
	v_dual_mul_f32 v21, v227, v147 :: v_dual_fma_f32 v59, v214, v134, -v71
	s_delay_alu instid0(VALU_DEP_3) | instskip(NEXT) | instid1(VALU_DEP_3)
	v_dual_fmac_f32 v25, v215, v134 :: v_dual_add_f32 v9, v9, v23
	v_dual_add_f32 v11, v11, v57 :: v_dual_fmac_f32 v27, v217, v136
	v_dual_mul_f32 v23, v229, v149 :: v_dual_fma_f32 v55, v216, v136, -v55
	s_delay_alu instid0(VALU_DEP_2) | instskip(SKIP_3) | instid1(VALU_DEP_3)
	v_dual_add_f32 v9, v9, v25 :: v_dual_add_f32 v11, v11, v59
	v_dual_mul_f32 v31, v220, v141 :: v_dual_mul_f32 v33, v222, v143
	s_wait_loadcnt_dscnt 0x904
	v_dual_mul_f32 v25, v231, v151 :: v_dual_fma_f32 v13, v218, v138, -v13
	v_dual_fmac_f32 v29, v219, v138 :: v_dual_add_f32 v9, v9, v27
	v_dual_add_f32 v11, v11, v55 :: v_dual_mul_f32 v27, v233, v153
	v_fmac_f32_e32 v31, v221, v140
	s_delay_alu instid0(VALU_DEP_3) | instskip(NEXT) | instid1(VALU_DEP_3)
	v_dual_fma_f32 v15, v220, v140, -v15 :: v_dual_add_f32 v9, v9, v29
	v_add_f32_e32 v11, v11, v13
	v_dual_mul_f32 v35, v224, v145 :: v_dual_mul_f32 v37, v226, v147
	s_wait_loadcnt_dscnt 0x803
	v_dual_mul_f32 v13, v235, v155 :: v_dual_fma_f32 v17, v222, v142, -v17
	v_dual_fmac_f32 v33, v223, v142 :: v_dual_add_f32 v9, v9, v31
	v_dual_add_f32 v11, v11, v15 :: v_dual_mul_f32 v15, v237, v157
	v_fmac_f32_e32 v35, v225, v144
	s_delay_alu instid0(VALU_DEP_3) | instskip(NEXT) | instid1(VALU_DEP_3)
	v_dual_fma_f32 v19, v224, v144, -v19 :: v_dual_add_f32 v9, v9, v33
	v_add_f32_e32 v11, v11, v17
	;; [unrolled: 9-line block ×4, first 2 shown]
	v_dual_mul_f32 v47, v236, v157 :: v_dual_mul_f32 v49, v238, v159
	s_wait_loadcnt 0x5
	v_dual_mul_f32 v25, v183, v167 :: v_dual_fma_f32 v13, v234, v154, -v13
	v_dual_fmac_f32 v45, v235, v154 :: v_dual_add_f32 v9, v9, v43
	v_dual_add_f32 v11, v11, v27 :: v_dual_mov_b32 v118, v169
	v_fmac_f32_e32 v47, v237, v156
	s_delay_alu instid0(VALU_DEP_3) | instskip(NEXT) | instid1(VALU_DEP_3)
	v_dual_fma_f32 v15, v236, v156, -v15 :: v_dual_add_f32 v9, v9, v45
	v_add_f32_e32 v11, v11, v13
	v_dual_mul_f32 v51, v240, v161 :: v_dual_mul_f32 v53, v242, v163
	s_delay_alu instid0(VALU_DEP_3) | instskip(NEXT) | instid1(VALU_DEP_3)
	v_dual_fmac_f32 v49, v239, v158 :: v_dual_add_f32 v9, v9, v47
	v_dual_fma_f32 v13, v238, v158, -v17 :: v_dual_add_f32 v11, v11, v15
	s_wait_loadcnt 0x4
	v_dual_mov_b32 v122, v173 :: v_dual_fma_f32 v15, v240, v160, -v19
	v_fmac_f32_e32 v51, v241, v160
	v_dual_add_f32 v9, v9, v49 :: v_dual_fmac_f32 v53, v243, v162
	v_add_f32_e32 v11, v11, v13
	s_set_vgpr_msb 64                       ;  msbs: dst=1 src0=0 src1=0 src2=0
	v_dual_mul_f32 v5 /*v261*/, v244, v165 :: v_dual_mul_f32 v7 /*v263*/, v182, v167
	s_set_vgpr_msb 0                        ;  msbs: dst=0 src0=0 src1=0 src2=0
	v_dual_fma_f32 v13, v242, v162, -v21 :: v_dual_add_f32 v9, v9, v51
	v_add_f32_e32 v11, v11, v15
	s_set_vgpr_msb 64                       ;  msbs: dst=1 src0=0 src1=0 src2=0
	v_dual_fmac_f32 v5 /*v261*/, v245, v164 :: v_dual_fmac_f32 v7 /*v263*/, v183, v166
	v_dual_fma_f32 v4 /*v260*/, v244, v164, -v23 :: v_dual_fma_f32 v6 /*v262*/, v182, v166, -v25
	s_set_vgpr_msb 0                        ;  msbs: dst=0 src0=0 src1=0 src2=0
	v_pk_mul_f32 v[118:119], v[252:253], v[118:119] op_sel_hi:[1,0]
	v_add_f32_e32 v127, v9, v53
	s_wait_loadcnt 0x3
	v_dual_add_f32 v126, v11, v13 :: v_dual_mov_b32 v128, v177
	v_pk_mul_f32 v[120:121], v[186:187], v[170:171] op_sel:[1,1] op_sel_hi:[0,1]
	v_pk_fma_f32 v[130:131], v[184:185], v[168:169], v[118:119] op_sel_hi:[1,0,1]
	v_pk_fma_f32 v[118:119], v[184:185], v[168:169], v[118:119] neg_lo:[0,0,1] neg_hi:[0,0,1]
	s_set_vgpr_msb 4                        ;  msbs: dst=0 src0=0 src1=1 src2=0
	v_pk_add_f32 v[126:127], v[126:127], v[4:5] /*v[260:261]*/
	s_set_vgpr_msb 0                        ;  msbs: dst=0 src0=0 src1=0 src2=0
	v_pk_mul_f32 v[122:123], v[254:255], v[122:123] op_sel_hi:[1,0]
	v_pk_fma_f32 v[132:133], v[186:187], v[170:171], v[120:121] op_sel_hi:[1,0,1]
	v_mov_b32_e32 v119, v131
	v_pk_fma_f32 v[120:121], v[186:187], v[170:171], v[120:121] neg_lo:[0,0,1] neg_hi:[0,0,1]
	s_set_vgpr_msb 4                        ;  msbs: dst=0 src0=0 src1=1 src2=0
	v_pk_add_f32 v[126:127], v[126:127], v[6:7] /*v[262:263]*/
	s_set_vgpr_msb 0                        ;  msbs: dst=0 src0=0 src1=0 src2=0
	v_pk_mul_f32 v[124:125], v[190:191], v[174:175] op_sel:[1,1] op_sel_hi:[0,1]
	v_mov_b32_e32 v121, v133
	v_pk_fma_f32 v[132:133], v[188:189], v[172:173], v[122:123] op_sel_hi:[1,0,1]
	v_pk_fma_f32 v[122:123], v[188:189], v[172:173], v[122:123] neg_lo:[0,0,1] neg_hi:[0,0,1]
	v_pk_add_f32 v[118:119], v[126:127], v[118:119]
	v_pk_fma_f32 v[126:127], v[190:191], v[174:175], v[124:125] op_sel_hi:[1,0,1]
	s_set_vgpr_msb 1                        ;  msbs: dst=0 src0=1 src1=0 src2=0
	v_pk_mul_f32 v[128:129], v[0:1] /*v[256:257]*/, v[128:129] op_sel_hi:[1,0]
	s_set_vgpr_msb 0                        ;  msbs: dst=0 src0=0 src1=0 src2=0
	v_mov_b32_e32 v123, v133
	v_pk_fma_f32 v[124:125], v[190:191], v[174:175], v[124:125] neg_lo:[0,0,1] neg_hi:[0,0,1]
	v_pk_add_f32 v[118:119], v[118:119], v[120:121]
	s_wait_loadcnt 0x2
	v_pk_mul_f32 v[130:131], v[194:195], v[178:179] op_sel:[1,1] op_sel_hi:[0,1]
	v_dual_mov_b32 v120, v181 :: v_dual_mov_b32 v125, v127
	v_pk_fma_f32 v[126:127], v[192:193], v[176:177], v[128:129] op_sel_hi:[1,0,1]
	v_pk_add_f32 v[118:119], v[118:119], v[122:123]
	v_pk_fma_f32 v[128:129], v[192:193], v[176:177], v[128:129] neg_lo:[0,0,1] neg_hi:[0,0,1]
	v_pk_fma_f32 v[122:123], v[194:195], v[178:179], v[130:131] op_sel_hi:[1,0,1]
	s_set_vgpr_msb 1                        ;  msbs: dst=0 src0=1 src1=0 src2=0
	v_pk_mul_f32 v[120:121], v[2:3] /*v[258:259]*/, v[120:121] op_sel_hi:[1,0]
	s_set_vgpr_msb 0                        ;  msbs: dst=0 src0=0 src1=0 src2=0
	v_mov_b32_e32 v129, v127
	v_pk_add_f32 v[118:119], v[118:119], v[124:125]
	v_pk_fma_f32 v[124:125], v[194:195], v[178:179], v[130:131] neg_lo:[0,0,1] neg_hi:[0,0,1]
	v_mov_b32_e32 v125, v123
	v_pk_fma_f32 v[122:123], v[196:197], v[180:181], v[120:121] op_sel_hi:[1,0,1]
	s_wait_loadcnt_dscnt 0x100
	v_pk_mul_f32 v[126:127], v[250:251], v[246:247] op_sel:[1,1] op_sel_hi:[0,1]
	v_pk_add_f32 v[118:119], v[118:119], v[128:129]
	v_pk_fma_f32 v[120:121], v[196:197], v[180:181], v[120:121] neg_lo:[0,0,1] neg_hi:[0,0,1]
	v_mov_b32_e32 v121, v123
	s_delay_alu instid0(VALU_DEP_4) | instskip(NEXT) | instid1(VALU_DEP_4)
	v_pk_fma_f32 v[122:123], v[250:251], v[246:247], v[126:127] op_sel_hi:[1,0,1]
	v_pk_add_f32 v[118:119], v[118:119], v[124:125]
	v_pk_fma_f32 v[124:125], v[250:251], v[246:247], v[126:127] neg_lo:[0,0,1] neg_hi:[0,0,1]
	s_delay_alu instid0(VALU_DEP_3) | instskip(NEXT) | instid1(VALU_DEP_3)
	v_mov_b32_e32 v125, v123
	v_pk_add_f32 v[118:119], v[118:119], v[120:121]
	s_delay_alu instid0(VALU_DEP_1) | instskip(SKIP_1) | instid1(VALU_DEP_1)
	v_pk_add_f32 v[118:119], v[118:119], v[124:125]
	s_wait_loadcnt 0x0
	v_pk_add_f32 v[118:119], v[248:249], v[118:119] neg_lo:[0,1] neg_hi:[0,1]
	scratch_store_b64 off, v[118:119], off offset:192
	s_wait_xcnt 0x0
	v_cmpx_lt_u32_e32 23, v0
	s_cbranch_execz .LBB121_315
; %bb.314:
	scratch_load_b64 v[118:119], off, off offset:184
	v_mov_b64_e32 v[120:121], 0
	scratch_store_b64 off, v[120:121], off offset:184
	s_wait_loadcnt 0x0
	ds_store_b64 v1, v[118:119]
.LBB121_315:
	s_wait_xcnt 0x0
	s_or_b32 exec_lo, exec_lo, s0
	s_wait_storecnt_dscnt 0x0
	s_barrier_signal -1
	s_barrier_wait -1
	s_clause 0x11
	scratch_load_b128 v[118:121], off, off offset:192
	scratch_load_b128 v[122:125], off, off offset:208
	;; [unrolled: 1-line block ×17, first 2 shown]
	scratch_load_b64 v[254:255], off, off offset:184
	ds_load_b128 v[186:189], v7 offset:864
	ds_load_b128 v[190:193], v7 offset:880
	;; [unrolled: 1-line block ×17, first 2 shown]
	s_mov_b32 s0, exec_lo
	s_wait_dscnt 0x10
	s_set_vgpr_msb 64                       ;  msbs: dst=1 src0=0 src1=0 src2=0
	v_dual_mov_b32 v0 /*v256*/, v189 :: v_dual_mov_b32 v1 /*v257*/, v188
	s_wait_dscnt 0xf
	v_dual_mov_b32 v2 /*v258*/, v193 :: v_dual_mov_b32 v3 /*v259*/, v192
	s_wait_dscnt 0xe
	;; [unrolled: 2-line block ×3, first 2 shown]
	v_dual_mov_b32 v6 /*v262*/, v201 :: v_dual_mov_b32 v7 /*v263*/, v200
	s_wait_loadcnt_dscnt 0x110b
	s_set_vgpr_msb 0                        ;  msbs: dst=0 src0=0 src1=0 src2=0
	v_dual_mul_f32 v7, v206, v119 :: v_dual_mul_f32 v9, v208, v121
	v_dual_mul_f32 v55, v207, v119 :: v_dual_mul_f32 v57, v209, v121
	s_wait_loadcnt_dscnt 0x100a
	v_dual_mul_f32 v11, v210, v123 :: v_dual_mul_f32 v13, v212, v125
	s_delay_alu instid0(VALU_DEP_3) | instskip(SKIP_3) | instid1(VALU_DEP_3)
	v_dual_fmac_f32 v7, v207, v118 :: v_dual_fmac_f32 v9, v209, v120
	s_wait_loadcnt_dscnt 0xe08
	v_dual_fma_f32 v55, v206, v118, -v55 :: v_dual_mul_f32 v67, v219, v131
	v_dual_mul_f32 v59, v211, v123 :: v_dual_mul_f32 v61, v213, v125
	v_dual_fma_f32 v57, v208, v120, -v57 :: v_dual_add_f32 v7, 0, v7
	s_delay_alu instid0(VALU_DEP_3) | instskip(SKIP_1) | instid1(VALU_DEP_3)
	v_dual_add_f32 v55, 0, v55 :: v_dual_mul_f32 v69, v221, v133
	v_dual_fmac_f32 v11, v211, v122 :: v_dual_fmac_f32 v13, v213, v124
	v_dual_fma_f32 v59, v210, v122, -v59 :: v_dual_add_f32 v7, v7, v9
	s_delay_alu instid0(VALU_DEP_3) | instskip(SKIP_2) | instid1(VALU_DEP_4)
	v_dual_add_f32 v9, v55, v57 :: v_dual_fma_f32 v57, v212, v124, -v61
	v_dual_mul_f32 v15, v214, v127 :: v_dual_mul_f32 v17, v216, v129
	v_dual_mul_f32 v63, v215, v127 :: v_dual_mul_f32 v65, v217, v129
	v_add_f32_e32 v7, v7, v11
	s_delay_alu instid0(VALU_DEP_3) | instskip(NEXT) | instid1(VALU_DEP_3)
	v_dual_add_f32 v9, v9, v59 :: v_dual_fmac_f32 v15, v215, v126
	v_fma_f32 v59, v214, v126, -v63
	v_dual_mul_f32 v19, v218, v131 :: v_dual_mul_f32 v21, v220, v133
	s_delay_alu instid0(VALU_DEP_4) | instskip(SKIP_2) | instid1(VALU_DEP_2)
	v_dual_add_f32 v7, v7, v13 :: v_dual_fmac_f32 v17, v217, v128
	s_wait_loadcnt_dscnt 0xc06
	v_dual_add_f32 v9, v9, v57 :: v_dual_mul_f32 v13, v227, v139
	v_dual_fma_f32 v57, v216, v128, -v65 :: v_dual_add_f32 v7, v7, v15
	v_mul_f32_e32 v15, v229, v141
	s_delay_alu instid0(VALU_DEP_3) | instskip(NEXT) | instid1(VALU_DEP_3)
	v_dual_add_f32 v9, v9, v59 :: v_dual_fmac_f32 v19, v219, v130
	v_dual_fma_f32 v59, v218, v130, -v67 :: v_dual_add_f32 v7, v7, v17
	v_fmac_f32_e32 v21, v221, v132
	s_wait_loadcnt_dscnt 0xb05
	s_delay_alu instid0(VALU_DEP_3) | instskip(SKIP_3) | instid1(VALU_DEP_3)
	v_dual_add_f32 v9, v9, v57 :: v_dual_mul_f32 v17, v231, v143
	v_dual_mul_f32 v23, v222, v135 :: v_dual_mul_f32 v25, v224, v137
	v_dual_mul_f32 v55, v223, v135 :: v_dual_mul_f32 v11, v225, v137
	v_dual_fma_f32 v57, v220, v132, -v69 :: v_dual_add_f32 v7, v7, v19
	v_dual_add_f32 v9, v9, v59 :: v_dual_fmac_f32 v23, v223, v134
	s_delay_alu instid0(VALU_DEP_3) | instskip(NEXT) | instid1(VALU_DEP_3)
	v_dual_mul_f32 v19, v233, v145 :: v_dual_fma_f32 v55, v222, v134, -v55
	v_dual_add_f32 v7, v7, v21 :: v_dual_fmac_f32 v25, v225, v136
	s_wait_loadcnt_dscnt 0xa04
	s_delay_alu instid0(VALU_DEP_3) | instskip(SKIP_1) | instid1(VALU_DEP_3)
	v_dual_add_f32 v9, v9, v57 :: v_dual_mul_f32 v21, v235, v147
	v_dual_mul_f32 v27, v226, v139 :: v_dual_mul_f32 v29, v228, v141
	v_dual_fma_f32 v11, v224, v136, -v11 :: v_dual_add_f32 v7, v7, v23
	s_delay_alu instid0(VALU_DEP_2) | instskip(SKIP_1) | instid1(VALU_DEP_2)
	v_dual_add_f32 v9, v9, v55 :: v_dual_fmac_f32 v27, v227, v138
	v_dual_mul_f32 v23, v237, v149 :: v_dual_fma_f32 v13, v226, v138, -v13
	v_dual_add_f32 v7, v7, v25 :: v_dual_add_f32 v9, v9, v11
	v_dual_mul_f32 v31, v230, v143 :: v_dual_mul_f32 v33, v232, v145
	s_wait_loadcnt_dscnt 0x903
	v_dual_mul_f32 v11, v239, v151 :: v_dual_fmac_f32 v29, v229, v140
	s_delay_alu instid0(VALU_DEP_3) | instskip(NEXT) | instid1(VALU_DEP_3)
	v_dual_fma_f32 v15, v228, v140, -v15 :: v_dual_add_f32 v7, v7, v27
	v_dual_add_f32 v9, v9, v13 :: v_dual_fmac_f32 v31, v231, v142
	v_dual_mul_f32 v13, v241, v153 :: v_dual_fma_f32 v17, v230, v142, -v17
	s_delay_alu instid0(VALU_DEP_2) | instskip(SKIP_3) | instid1(VALU_DEP_3)
	v_dual_add_f32 v7, v7, v29 :: v_dual_add_f32 v9, v9, v15
	v_dual_mul_f32 v35, v234, v147 :: v_dual_mul_f32 v37, v236, v149
	s_wait_loadcnt_dscnt 0x802
	v_dual_mul_f32 v15, v243, v155 :: v_dual_fmac_f32 v33, v233, v144
	v_dual_fma_f32 v19, v232, v144, -v19 :: v_dual_add_f32 v7, v7, v31
	s_delay_alu instid0(VALU_DEP_3) | instskip(SKIP_1) | instid1(VALU_DEP_2)
	v_dual_add_f32 v9, v9, v17 :: v_dual_fmac_f32 v35, v235, v146
	v_dual_mul_f32 v17, v245, v157 :: v_dual_fma_f32 v21, v234, v146, -v21
	v_dual_add_f32 v7, v7, v33 :: v_dual_add_f32 v9, v9, v19
	v_dual_mul_f32 v39, v238, v151 :: v_dual_mul_f32 v41, v240, v153
	s_wait_loadcnt_dscnt 0x701
	v_dual_mul_f32 v19, v247, v159 :: v_dual_fmac_f32 v37, v237, v148
	s_delay_alu instid0(VALU_DEP_3) | instskip(NEXT) | instid1(VALU_DEP_3)
	v_dual_fma_f32 v23, v236, v148, -v23 :: v_dual_add_f32 v7, v7, v35
	v_dual_add_f32 v9, v9, v21 :: v_dual_fmac_f32 v39, v239, v150
	v_dual_mul_f32 v21, v249, v161 :: v_dual_fma_f32 v11, v238, v150, -v11
	s_delay_alu instid0(VALU_DEP_2) | instskip(SKIP_3) | instid1(VALU_DEP_3)
	v_dual_add_f32 v7, v7, v37 :: v_dual_add_f32 v9, v9, v23
	v_dual_mul_f32 v43, v242, v155 :: v_dual_mul_f32 v45, v244, v157
	s_wait_loadcnt_dscnt 0x600
	v_dual_mul_f32 v23, v251, v163 :: v_dual_fmac_f32 v41, v241, v152
	v_dual_fma_f32 v13, v240, v152, -v13 :: v_dual_add_f32 v7, v7, v39
	s_delay_alu instid0(VALU_DEP_3) | instskip(SKIP_1) | instid1(VALU_DEP_3)
	v_dual_add_f32 v9, v9, v11 :: v_dual_fmac_f32 v43, v243, v154
	v_dual_mul_f32 v11, v253, v165 :: v_dual_fma_f32 v15, v242, v154, -v15
	v_dual_add_f32 v7, v7, v41 :: v_dual_fmac_f32 v45, v245, v156
	s_wait_loadcnt 0x5
	s_delay_alu instid0(VALU_DEP_3) | instskip(SKIP_1) | instid1(VALU_DEP_3)
	v_dual_add_f32 v9, v9, v13 :: v_dual_mul_f32 v13, v203, v167
	v_dual_mul_f32 v47, v246, v159 :: v_dual_mul_f32 v49, v248, v161
	v_dual_fma_f32 v17, v244, v156, -v17 :: v_dual_add_f32 v7, v7, v43
	s_delay_alu instid0(VALU_DEP_2) | instskip(SKIP_1) | instid1(VALU_DEP_3)
	v_dual_add_f32 v9, v9, v15 :: v_dual_fmac_f32 v47, v247, v158
	v_dual_mul_f32 v15, v205, v169 :: v_dual_fma_f32 v19, v246, v158, -v19
	v_dual_add_f32 v7, v7, v45 :: v_dual_fmac_f32 v49, v249, v160
	s_delay_alu instid0(VALU_DEP_3) | instskip(SKIP_2) | instid1(VALU_DEP_3)
	v_dual_add_f32 v9, v9, v17 :: v_dual_fma_f32 v17, v248, v160, -v21
	v_dual_mul_f32 v51, v250, v163 :: v_dual_mul_f32 v53, v252, v165
	s_wait_loadcnt 0x4
	v_dual_add_f32 v7, v7, v47 :: v_dual_mov_b32 v120, v173
	s_delay_alu instid0(VALU_DEP_2) | instskip(NEXT) | instid1(VALU_DEP_2)
	v_dual_add_f32 v9, v9, v19 :: v_dual_fmac_f32 v51, v251, v162
	v_dual_fma_f32 v19, v250, v162, -v23 :: v_dual_add_f32 v7, v7, v49
	s_set_vgpr_msb 64                       ;  msbs: dst=1 src0=0 src1=0 src2=0
	v_dual_mul_f32 v9 /*v265*/, v202, v167 :: v_dual_mul_f32 v11 /*v267*/, v204, v169
	s_set_vgpr_msb 0                        ;  msbs: dst=0 src0=0 src1=0 src2=0
	v_dual_add_f32 v9, v9, v17 :: v_dual_fma_f32 v11, v252, v164, -v11
	v_dual_fmac_f32 v53, v253, v164 :: v_dual_add_f32 v7, v7, v51
	v_pk_mul_f32 v[118:119], v[186:187], v[170:171] op_sel:[1,1] op_sel_hi:[0,1]
	s_delay_alu instid0(VALU_DEP_3)
	v_add_f32_e32 v9, v9, v19
	s_set_vgpr_msb 64                       ;  msbs: dst=1 src0=0 src1=0 src2=0
	v_dual_fmac_f32 v9 /*v265*/, v203, v166 :: v_dual_fmac_f32 v11 /*v267*/, v205, v168
	v_dual_fma_f32 v8 /*v264*/, v202, v166, -v13 :: v_dual_fma_f32 v10 /*v266*/, v204, v168, -v15
	s_set_vgpr_msb 0                        ;  msbs: dst=0 src0=0 src1=0 src2=0
	v_dual_add_f32 v127, v7, v53 :: v_dual_add_f32 v126, v9, v11
	v_pk_fma_f32 v[128:129], v[186:187], v[170:171], v[118:119] op_sel_hi:[1,0,1]
	s_set_vgpr_msb 1                        ;  msbs: dst=0 src0=1 src1=0 src2=0
	v_pk_mul_f32 v[120:121], v[0:1] /*v[256:257]*/, v[120:121] op_sel_hi:[1,0]
	s_set_vgpr_msb 0                        ;  msbs: dst=0 src0=0 src1=0 src2=0
	v_pk_fma_f32 v[118:119], v[186:187], v[170:171], v[118:119] neg_lo:[0,0,1] neg_hi:[0,0,1]
	s_wait_loadcnt 0x3
	v_pk_mul_f32 v[122:123], v[190:191], v[174:175] op_sel:[1,1] op_sel_hi:[0,1]
	s_set_vgpr_msb 4                        ;  msbs: dst=0 src0=0 src1=1 src2=0
	v_pk_add_f32 v[126:127], v[126:127], v[8:9] /*v[264:265]*/
	v_dual_mov_b32 v124, v177 :: v_dual_mov_b32 v119, v129
	s_set_vgpr_msb 0                        ;  msbs: dst=0 src0=0 src1=0 src2=0
	v_pk_fma_f32 v[128:129], v[188:189], v[172:173], v[120:121] op_sel_hi:[1,0,1]
	v_pk_fma_f32 v[120:121], v[188:189], v[172:173], v[120:121] neg_lo:[0,0,1] neg_hi:[0,0,1]
	s_set_vgpr_msb 4                        ;  msbs: dst=0 src0=0 src1=1 src2=0
	v_pk_add_f32 v[126:127], v[126:127], v[10:11] /*v[266:267]*/
	s_set_vgpr_msb 0                        ;  msbs: dst=0 src0=0 src1=0 src2=0
	v_pk_fma_f32 v[132:133], v[190:191], v[174:175], v[122:123] op_sel_hi:[1,0,1]
	s_set_vgpr_msb 1                        ;  msbs: dst=0 src0=1 src1=0 src2=0
	v_pk_mul_f32 v[124:125], v[2:3] /*v[258:259]*/, v[124:125] op_sel_hi:[1,0]
	s_set_vgpr_msb 0                        ;  msbs: dst=0 src0=0 src1=0 src2=0
	v_mov_b32_e32 v121, v129
	s_wait_loadcnt 0x2
	v_pk_mul_f32 v[130:131], v[194:195], v[178:179] op_sel:[1,1] op_sel_hi:[0,1]
	v_pk_add_f32 v[118:119], v[126:127], v[118:119]
	v_mov_b32_e32 v126, v181
	v_pk_fma_f32 v[122:123], v[190:191], v[174:175], v[122:123] neg_lo:[0,0,1] neg_hi:[0,0,1]
	v_pk_fma_f32 v[128:129], v[192:193], v[176:177], v[124:125] op_sel_hi:[1,0,1]
	v_mov_b32_e32 v123, v133
	v_pk_add_f32 v[118:119], v[118:119], v[120:121]
	v_pk_fma_f32 v[120:121], v[194:195], v[178:179], v[130:131] op_sel_hi:[1,0,1]
	s_set_vgpr_msb 1                        ;  msbs: dst=0 src0=1 src1=0 src2=0
	v_pk_mul_f32 v[126:127], v[4:5] /*v[260:261]*/, v[126:127] op_sel_hi:[1,0]
	s_set_vgpr_msb 0                        ;  msbs: dst=0 src0=0 src1=0 src2=0
	v_pk_fma_f32 v[124:125], v[192:193], v[176:177], v[124:125] neg_lo:[0,0,1] neg_hi:[0,0,1]
	v_mov_b32_e32 v125, v129
	v_pk_add_f32 v[118:119], v[118:119], v[122:123]
	v_pk_fma_f32 v[128:129], v[194:195], v[178:179], v[130:131] neg_lo:[0,0,1] neg_hi:[0,0,1]
	v_mov_b32_e32 v129, v121
	v_pk_fma_f32 v[120:121], v[196:197], v[180:181], v[126:127] op_sel_hi:[1,0,1]
	s_wait_loadcnt 0x1
	v_pk_mul_f32 v[122:123], v[198:199], v[182:183] op_sel:[1,1] op_sel_hi:[0,1]
	v_pk_add_f32 v[118:119], v[118:119], v[124:125]
	v_mov_b32_e32 v120, v185
	v_pk_fma_f32 v[126:127], v[196:197], v[180:181], v[126:127] neg_lo:[0,0,1] neg_hi:[0,0,1]
	s_delay_alu instid0(VALU_DEP_4)
	v_pk_fma_f32 v[124:125], v[198:199], v[182:183], v[122:123] op_sel_hi:[1,0,1]
	v_mov_b32_e32 v127, v121
	v_pk_add_f32 v[118:119], v[118:119], v[128:129]
	s_set_vgpr_msb 1                        ;  msbs: dst=0 src0=1 src1=0 src2=0
	v_pk_mul_f32 v[120:121], v[6:7] /*v[262:263]*/, v[120:121] op_sel_hi:[1,0]
	s_set_vgpr_msb 0                        ;  msbs: dst=0 src0=0 src1=0 src2=0
	v_pk_fma_f32 v[122:123], v[198:199], v[182:183], v[122:123] neg_lo:[0,0,1] neg_hi:[0,0,1]
	v_mov_b32_e32 v123, v125
	v_pk_add_f32 v[118:119], v[118:119], v[126:127]
	v_pk_fma_f32 v[124:125], v[200:201], v[184:185], v[120:121] op_sel_hi:[1,0,1]
	v_pk_fma_f32 v[120:121], v[200:201], v[184:185], v[120:121] neg_lo:[0,0,1] neg_hi:[0,0,1]
	s_delay_alu instid0(VALU_DEP_3) | instskip(NEXT) | instid1(VALU_DEP_3)
	v_pk_add_f32 v[118:119], v[118:119], v[122:123]
	v_mov_b32_e32 v121, v125
	s_delay_alu instid0(VALU_DEP_1) | instskip(SKIP_1) | instid1(VALU_DEP_1)
	v_pk_add_f32 v[118:119], v[118:119], v[120:121]
	s_wait_loadcnt 0x0
	v_pk_add_f32 v[118:119], v[254:255], v[118:119] neg_lo:[0,1] neg_hi:[0,1]
	scratch_store_b64 off, v[118:119], off offset:184
	s_wait_xcnt 0x0
	v_cmpx_lt_u32_e32 22, v0
	s_cbranch_execz .LBB121_317
; %bb.316:
	scratch_load_b64 v[118:119], off, off offset:176
	v_mov_b64_e32 v[120:121], 0
	scratch_store_b64 off, v[120:121], off offset:176
	s_wait_loadcnt 0x0
	ds_store_b64 v1, v[118:119]
.LBB121_317:
	s_wait_xcnt 0x0
	s_or_b32 exec_lo, exec_lo, s0
	s_wait_storecnt_dscnt 0x0
	s_barrier_signal -1
	s_barrier_wait -1
	s_clause 0x13
	scratch_load_b128 v[118:121], off, off offset:184
	scratch_load_b128 v[122:125], off, off offset:200
	;; [unrolled: 1-line block ×17, first 2 shown]
	scratch_load_b64 v[254:255], off, off offset:456
	s_set_vgpr_msb 64                       ;  msbs: dst=1 src0=0 src1=0 src2=0
	scratch_load_b64 v[0:1] /*v[256:257]*/, off, off offset:176
	s_set_vgpr_msb 0                        ;  msbs: dst=0 src0=0 src1=0 src2=0
	v_mov_b32_e32 v7, 0
	ds_load_2addr_b64 v[186:189], v7 offset0:107 offset1:108
	ds_load_2addr_b64 v[190:193], v7 offset0:109 offset1:110
	;; [unrolled: 1-line block ×17, first 2 shown]
	s_set_vgpr_msb 64                       ;  msbs: dst=1 src0=0 src1=0 src2=0
	ds_load_b64 v[2:3] /*v[258:259]*/, v7 offset:920
	s_mov_b32 s0, exec_lo
	s_wait_dscnt 0x11
	v_dual_mov_b32 v4 /*v260*/, v189 :: v_dual_mov_b32 v5 /*v261*/, v188
	s_wait_dscnt 0x10
	v_dual_mov_b32 v6 /*v262*/, v193 :: v_dual_mov_b32 v7 /*v263*/, v192
	;; [unrolled: 2-line block ×4, first 2 shown]
	s_wait_loadcnt_dscnt 0x120c
	s_set_vgpr_msb 0                        ;  msbs: dst=0 src0=0 src1=0 src2=0
	v_dual_mul_f32 v9, v206, v119 :: v_dual_mul_f32 v59, v207, v119
	v_dual_mul_f32 v61, v209, v121 :: v_dual_mul_f32 v11, v208, v121
	s_wait_loadcnt_dscnt 0x110b
	v_mul_f32_e32 v13, v210, v123
	s_wait_loadcnt_dscnt 0xf09
	v_dual_mul_f32 v71, v219, v131 :: v_dual_fma_f32 v59, v206, v118, -v59
	v_dual_fmac_f32 v9, v207, v118 :: v_dual_mul_f32 v73, v221, v133
	v_dual_mul_f32 v63, v211, v123 :: v_dual_mul_f32 v65, v213, v125
	v_dual_fmac_f32 v11, v209, v120 :: v_dual_fma_f32 v61, v208, v120, -v61
	s_delay_alu instid0(VALU_DEP_3) | instskip(SKIP_3) | instid1(VALU_DEP_3)
	v_dual_add_f32 v9, 0, v9 :: v_dual_add_f32 v59, 0, v59
	v_dual_mul_f32 v15, v212, v125 :: v_dual_mul_f32 v17, v214, v127
	s_wait_loadcnt_dscnt 0xe08
	v_dual_mul_f32 v75, v223, v135 :: v_dual_fma_f32 v63, v210, v122, -v63
	v_dual_fmac_f32 v13, v211, v122 :: v_dual_add_f32 v9, v9, v11
	s_delay_alu instid0(VALU_DEP_3) | instskip(SKIP_2) | instid1(VALU_DEP_3)
	v_dual_add_f32 v11, v59, v61 :: v_dual_fmac_f32 v15, v213, v124
	v_dual_mul_f32 v67, v215, v127 :: v_dual_mul_f32 v69, v217, v129
	v_dual_mul_f32 v59, v225, v137 :: v_dual_fma_f32 v61, v212, v124, -v65
	v_dual_add_f32 v9, v9, v13 :: v_dual_add_f32 v11, v11, v63
	v_dual_mul_f32 v19, v216, v129 :: v_dual_mul_f32 v21, v218, v131
	s_wait_loadcnt_dscnt 0xd07
	v_dual_mul_f32 v13, v227, v139 :: v_dual_fma_f32 v63, v214, v126, -v67
	s_delay_alu instid0(VALU_DEP_3) | instskip(NEXT) | instid1(VALU_DEP_3)
	v_dual_fmac_f32 v17, v215, v126 :: v_dual_add_f32 v9, v9, v15
	v_dual_add_f32 v11, v11, v61 :: v_dual_fmac_f32 v19, v217, v128
	v_dual_mul_f32 v15, v229, v141 :: v_dual_fma_f32 v61, v216, v128, -v69
	s_delay_alu instid0(VALU_DEP_2) | instskip(SKIP_3) | instid1(VALU_DEP_3)
	v_dual_add_f32 v9, v9, v17 :: v_dual_add_f32 v11, v11, v63
	v_dual_mul_f32 v23, v220, v133 :: v_dual_mul_f32 v25, v222, v135
	s_wait_loadcnt_dscnt 0xc06
	v_dual_mul_f32 v17, v231, v143 :: v_dual_fma_f32 v63, v218, v130, -v71
	v_dual_fmac_f32 v21, v219, v130 :: v_dual_add_f32 v9, v9, v19
	s_delay_alu instid0(VALU_DEP_3) | instskip(SKIP_1) | instid1(VALU_DEP_2)
	v_dual_add_f32 v11, v11, v61 :: v_dual_fmac_f32 v23, v221, v132
	v_dual_mul_f32 v19, v233, v145 :: v_dual_fma_f32 v61, v220, v132, -v73
	v_dual_add_f32 v9, v9, v21 :: v_dual_add_f32 v11, v11, v63
	v_dual_mul_f32 v27, v224, v137 :: v_dual_mul_f32 v29, v226, v139
	s_wait_loadcnt_dscnt 0xb05
	v_dual_mul_f32 v21, v235, v147 :: v_dual_fma_f32 v63, v222, v134, -v75
	s_delay_alu instid0(VALU_DEP_3) | instskip(NEXT) | instid1(VALU_DEP_3)
	v_dual_fmac_f32 v25, v223, v134 :: v_dual_add_f32 v9, v9, v23
	v_dual_add_f32 v11, v11, v61 :: v_dual_fmac_f32 v27, v225, v136
	v_dual_mul_f32 v23, v237, v149 :: v_dual_fma_f32 v59, v224, v136, -v59
	s_delay_alu instid0(VALU_DEP_2) | instskip(SKIP_3) | instid1(VALU_DEP_3)
	v_dual_add_f32 v9, v9, v25 :: v_dual_add_f32 v11, v11, v63
	v_dual_mul_f32 v31, v228, v141 :: v_dual_mul_f32 v33, v230, v143
	s_wait_loadcnt_dscnt 0xa04
	v_dual_mul_f32 v25, v239, v151 :: v_dual_fma_f32 v13, v226, v138, -v13
	v_dual_fmac_f32 v29, v227, v138 :: v_dual_add_f32 v9, v9, v27
	v_dual_add_f32 v11, v11, v59 :: v_dual_mul_f32 v27, v241, v153
	v_fmac_f32_e32 v31, v229, v140
	s_delay_alu instid0(VALU_DEP_3) | instskip(NEXT) | instid1(VALU_DEP_3)
	v_dual_fma_f32 v15, v228, v140, -v15 :: v_dual_add_f32 v9, v9, v29
	v_add_f32_e32 v11, v11, v13
	v_dual_mul_f32 v35, v232, v145 :: v_dual_mul_f32 v37, v234, v147
	s_wait_loadcnt_dscnt 0x903
	v_dual_mul_f32 v13, v243, v155 :: v_dual_fma_f32 v17, v230, v142, -v17
	v_dual_fmac_f32 v33, v231, v142 :: v_dual_add_f32 v9, v9, v31
	v_dual_add_f32 v11, v11, v15 :: v_dual_mul_f32 v15, v245, v157
	v_fmac_f32_e32 v35, v233, v144
	s_delay_alu instid0(VALU_DEP_3) | instskip(NEXT) | instid1(VALU_DEP_3)
	v_dual_fma_f32 v19, v232, v144, -v19 :: v_dual_add_f32 v9, v9, v33
	v_add_f32_e32 v11, v11, v17
	;; [unrolled: 9-line block ×4, first 2 shown]
	v_dual_mul_f32 v47, v244, v157 :: v_dual_mul_f32 v49, v246, v159
	s_wait_loadcnt 0x6
	v_dual_mul_f32 v25, v199, v167 :: v_dual_fma_f32 v13, v242, v154, -v13
	v_dual_fmac_f32 v45, v243, v154 :: v_dual_add_f32 v9, v9, v43
	v_dual_add_f32 v11, v11, v27 :: v_dual_mul_f32 v27, v201, v169
	v_fmac_f32_e32 v47, v245, v156
	s_delay_alu instid0(VALU_DEP_3) | instskip(NEXT) | instid1(VALU_DEP_3)
	v_dual_fma_f32 v15, v244, v156, -v15 :: v_dual_add_f32 v9, v9, v45
	v_add_f32_e32 v11, v11, v13
	v_dual_mul_f32 v51, v248, v161 :: v_dual_mul_f32 v53, v250, v163
	s_wait_loadcnt 0x5
	v_dual_mul_f32 v13, v187, v171 :: v_dual_fma_f32 v17, v246, v158, -v17
	v_dual_fmac_f32 v49, v247, v158 :: v_dual_add_f32 v9, v9, v47
	v_dual_add_f32 v11, v11, v15 :: v_dual_mov_b32 v118, v173
	v_fmac_f32_e32 v51, v249, v160
	s_delay_alu instid0(VALU_DEP_3) | instskip(NEXT) | instid1(VALU_DEP_3)
	v_dual_fma_f32 v15, v248, v160, -v19 :: v_dual_add_f32 v9, v9, v49
	v_add_f32_e32 v11, v11, v17
	v_dual_mul_f32 v55, v252, v165 :: v_dual_mul_f32 v57, v198, v167
	s_delay_alu instid0(VALU_DEP_3) | instskip(NEXT) | instid1(VALU_DEP_3)
	v_dual_fmac_f32 v53, v251, v162 :: v_dual_add_f32 v9, v9, v51
	v_dual_fma_f32 v17, v250, v162, -v21 :: v_dual_add_f32 v11, v11, v15
	s_wait_loadcnt 0x4
	v_dual_mov_b32 v122, v177 :: v_dual_fma_f32 v15, v252, v164, -v23
	v_fmac_f32_e32 v55, v253, v164
	v_dual_add_f32 v9, v9, v53 :: v_dual_fmac_f32 v57, v199, v166
	v_add_f32_e32 v11, v11, v17
	s_set_vgpr_msb 64                       ;  msbs: dst=1 src0=0 src1=0 src2=0
	v_dual_mul_f32 v13 /*v269*/, v200, v169 :: v_dual_mul_f32 v15 /*v271*/, v186, v171
	s_set_vgpr_msb 0                        ;  msbs: dst=0 src0=0 src1=0 src2=0
	v_dual_fma_f32 v17, v198, v166, -v25 :: v_dual_add_f32 v9, v9, v55
	v_add_f32_e32 v11, v11, v15
	s_set_vgpr_msb 64                       ;  msbs: dst=1 src0=0 src1=0 src2=0
	v_dual_fmac_f32 v13 /*v269*/, v201, v168 :: v_dual_fmac_f32 v15 /*v271*/, v187, v170
	v_dual_fma_f32 v12 /*v268*/, v200, v168, -v27 :: v_dual_fma_f32 v14 /*v270*/, v186, v170, -v13
	s_set_vgpr_msb 1                        ;  msbs: dst=0 src0=1 src1=0 src2=0
	v_pk_mul_f32 v[118:119], v[4:5] /*v[260:261]*/, v[118:119] op_sel_hi:[1,0]
	s_set_vgpr_msb 0                        ;  msbs: dst=0 src0=0 src1=0 src2=0
	v_add_f32_e32 v127, v9, v57
	s_wait_loadcnt 0x3
	v_dual_add_f32 v126, v11, v17 :: v_dual_mov_b32 v128, v181
	v_pk_mul_f32 v[120:121], v[190:191], v[174:175] op_sel:[1,1] op_sel_hi:[0,1]
	v_pk_fma_f32 v[130:131], v[188:189], v[172:173], v[118:119] op_sel_hi:[1,0,1]
	v_pk_fma_f32 v[118:119], v[188:189], v[172:173], v[118:119] neg_lo:[0,0,1] neg_hi:[0,0,1]
	s_set_vgpr_msb 4                        ;  msbs: dst=0 src0=0 src1=1 src2=0
	v_pk_add_f32 v[126:127], v[126:127], v[12:13] /*v[268:269]*/
	s_set_vgpr_msb 1                        ;  msbs: dst=0 src0=1 src1=0 src2=0
	v_pk_mul_f32 v[122:123], v[6:7] /*v[262:263]*/, v[122:123] op_sel_hi:[1,0]
	s_set_vgpr_msb 0                        ;  msbs: dst=0 src0=0 src1=0 src2=0
	v_pk_fma_f32 v[132:133], v[190:191], v[174:175], v[120:121] op_sel_hi:[1,0,1]
	v_mov_b32_e32 v119, v131
	v_pk_fma_f32 v[120:121], v[190:191], v[174:175], v[120:121] neg_lo:[0,0,1] neg_hi:[0,0,1]
	s_set_vgpr_msb 4                        ;  msbs: dst=0 src0=0 src1=1 src2=0
	v_pk_add_f32 v[126:127], v[126:127], v[14:15] /*v[270:271]*/
	s_set_vgpr_msb 0                        ;  msbs: dst=0 src0=0 src1=0 src2=0
	v_pk_mul_f32 v[124:125], v[194:195], v[178:179] op_sel:[1,1] op_sel_hi:[0,1]
	v_mov_b32_e32 v121, v133
	v_pk_fma_f32 v[132:133], v[192:193], v[176:177], v[122:123] op_sel_hi:[1,0,1]
	v_pk_fma_f32 v[122:123], v[192:193], v[176:177], v[122:123] neg_lo:[0,0,1] neg_hi:[0,0,1]
	v_pk_add_f32 v[118:119], v[126:127], v[118:119]
	v_pk_fma_f32 v[126:127], v[194:195], v[178:179], v[124:125] op_sel_hi:[1,0,1]
	s_set_vgpr_msb 1                        ;  msbs: dst=0 src0=1 src1=0 src2=0
	v_pk_mul_f32 v[128:129], v[8:9] /*v[264:265]*/, v[128:129] op_sel_hi:[1,0]
	s_set_vgpr_msb 0                        ;  msbs: dst=0 src0=0 src1=0 src2=0
	v_mov_b32_e32 v123, v133
	v_pk_fma_f32 v[124:125], v[194:195], v[178:179], v[124:125] neg_lo:[0,0,1] neg_hi:[0,0,1]
	v_pk_add_f32 v[118:119], v[118:119], v[120:121]
	s_wait_loadcnt 0x2
	v_pk_mul_f32 v[130:131], v[202:203], v[182:183] op_sel:[1,1] op_sel_hi:[0,1]
	v_dual_mov_b32 v120, v185 :: v_dual_mov_b32 v125, v127
	v_pk_fma_f32 v[126:127], v[196:197], v[180:181], v[128:129] op_sel_hi:[1,0,1]
	v_pk_add_f32 v[118:119], v[118:119], v[122:123]
	v_pk_fma_f32 v[128:129], v[196:197], v[180:181], v[128:129] neg_lo:[0,0,1] neg_hi:[0,0,1]
	v_pk_fma_f32 v[122:123], v[202:203], v[182:183], v[130:131] op_sel_hi:[1,0,1]
	s_set_vgpr_msb 1                        ;  msbs: dst=0 src0=1 src1=0 src2=0
	v_pk_mul_f32 v[120:121], v[10:11] /*v[266:267]*/, v[120:121] op_sel_hi:[1,0]
	s_set_vgpr_msb 0                        ;  msbs: dst=0 src0=0 src1=0 src2=0
	v_mov_b32_e32 v129, v127
	v_pk_add_f32 v[118:119], v[118:119], v[124:125]
	v_pk_fma_f32 v[124:125], v[202:203], v[182:183], v[130:131] neg_lo:[0,0,1] neg_hi:[0,0,1]
	v_mov_b32_e32 v125, v123
	v_pk_fma_f32 v[122:123], v[204:205], v[184:185], v[120:121] op_sel_hi:[1,0,1]
	s_wait_loadcnt_dscnt 0x100
	s_set_vgpr_msb 1                        ;  msbs: dst=0 src0=1 src1=0 src2=0
	v_pk_mul_f32 v[126:127], v[2:3] /*v[258:259]*/, v[254:255] op_sel:[1,1] op_sel_hi:[0,1]
	s_set_vgpr_msb 0                        ;  msbs: dst=0 src0=0 src1=0 src2=0
	v_pk_add_f32 v[118:119], v[118:119], v[128:129]
	v_pk_fma_f32 v[120:121], v[204:205], v[184:185], v[120:121] neg_lo:[0,0,1] neg_hi:[0,0,1]
	v_mov_b32_e32 v121, v123
	s_set_vgpr_msb 1                        ;  msbs: dst=0 src0=1 src1=0 src2=0
	v_pk_fma_f32 v[122:123], v[2:3] /*v[258:259]*/, v[254:255], v[126:127] op_sel_hi:[1,0,1]
	s_set_vgpr_msb 0                        ;  msbs: dst=0 src0=0 src1=0 src2=0
	v_pk_add_f32 v[118:119], v[118:119], v[124:125]
	s_set_vgpr_msb 1                        ;  msbs: dst=0 src0=1 src1=0 src2=0
	v_pk_fma_f32 v[124:125], v[2:3] /*v[258:259]*/, v[254:255], v[126:127] neg_lo:[0,0,1] neg_hi:[0,0,1]
	s_set_vgpr_msb 0                        ;  msbs: dst=0 src0=0 src1=0 src2=0
	v_mov_b32_e32 v125, v123
	v_pk_add_f32 v[118:119], v[118:119], v[120:121]
	s_delay_alu instid0(VALU_DEP_1) | instskip(SKIP_2) | instid1(VALU_DEP_1)
	v_pk_add_f32 v[118:119], v[118:119], v[124:125]
	s_wait_loadcnt 0x0
	s_set_vgpr_msb 1                        ;  msbs: dst=0 src0=1 src1=0 src2=0
	v_pk_add_f32 v[118:119], v[0:1] /*v[256:257]*/, v[118:119] neg_lo:[0,1] neg_hi:[0,1]
	scratch_store_b64 off, v[118:119], off offset:176
	s_wait_xcnt 0x0
	v_cmpx_lt_u32_e32 21, v0
	s_set_vgpr_msb 0                        ;  msbs: dst=0 src0=0 src1=0 src2=0
	s_cbranch_execz .LBB121_319
; %bb.318:
	scratch_load_b64 v[118:119], off, off offset:168
	v_mov_b64_e32 v[120:121], 0
	scratch_store_b64 off, v[120:121], off offset:168
	s_wait_loadcnt 0x0
	ds_store_b64 v1, v[118:119]
.LBB121_319:
	s_wait_xcnt 0x0
	s_or_b32 exec_lo, exec_lo, s0
	s_wait_storecnt_dscnt 0x0
	s_barrier_signal -1
	s_barrier_wait -1
	s_clause 0x13
	scratch_load_b128 v[118:121], off, off offset:176
	scratch_load_b128 v[122:125], off, off offset:192
	;; [unrolled: 1-line block ×18, first 2 shown]
	s_set_vgpr_msb 64                       ;  msbs: dst=1 src0=0 src1=0 src2=0
	scratch_load_b64 v[6:7] /*v[262:263]*/, off, off offset:168
	s_set_vgpr_msb 0                        ;  msbs: dst=0 src0=0 src1=0 src2=0
	ds_load_b128 v[190:193], v7 offset:864
	ds_load_b128 v[194:197], v7 offset:880
	;; [unrolled: 1-line block ×17, first 2 shown]
	s_set_vgpr_msb 64                       ;  msbs: dst=1 src0=0 src1=0 src2=0
	ds_load_b128 v[2:5] /*v[258:261]*/, v7 offset:848
	s_mov_b32 s0, exec_lo
	s_wait_dscnt 0x11
	v_dual_mov_b32 v8 /*v264*/, v193 :: v_dual_mov_b32 v9 /*v265*/, v192
	s_wait_dscnt 0x10
	v_dual_mov_b32 v10 /*v266*/, v197 :: v_dual_mov_b32 v11 /*v267*/, v196
	;; [unrolled: 2-line block ×4, first 2 shown]
	s_wait_loadcnt_dscnt 0x120d
	s_set_vgpr_msb 0                        ;  msbs: dst=0 src0=0 src1=0 src2=0
	v_dual_mul_f32 v7, v206, v119 :: v_dual_mul_f32 v9, v208, v121
	s_wait_loadcnt_dscnt 0x110c
	v_dual_mul_f32 v59, v207, v119 :: v_dual_mul_f32 v65, v213, v125
	s_wait_loadcnt_dscnt 0x100b
	v_mul_f32_e32 v67, v215, v127
	v_dual_fmac_f32 v7, v207, v118 :: v_dual_fmac_f32 v9, v209, v120
	s_delay_alu instid0(VALU_DEP_3)
	v_dual_fma_f32 v59, v206, v118, -v59 :: v_dual_mul_f32 v61, v209, v121
	v_dual_mul_f32 v11, v210, v123 :: v_dual_mul_f32 v13, v212, v125
	v_dual_mul_f32 v63, v211, v123 :: v_dual_mul_f32 v69, v217, v129
	s_wait_loadcnt_dscnt 0x601
	v_mul_f32_e32 v55, v254, v167
	s_set_vgpr_msb 1                        ;  msbs: dst=0 src0=1 src1=0 src2=0
	v_dual_mul_f32 v57, v0 /*v256*/, v169 :: v_dual_add_f32 v7, 0, v7
	s_set_vgpr_msb 0                        ;  msbs: dst=0 src0=0 src1=0 src2=0
	v_dual_mul_f32 v71, v219, v131 :: v_dual_fma_f32 v61, v208, v120, -v61
	v_dual_add_f32 v59, 0, v59 :: v_dual_mul_f32 v73, v221, v133
	v_dual_fmac_f32 v11, v211, v122 :: v_dual_fmac_f32 v13, v213, v124
	v_dual_fma_f32 v63, v210, v122, -v63 :: v_dual_add_f32 v7, v7, v9
	s_delay_alu instid0(VALU_DEP_3) | instskip(SKIP_1) | instid1(VALU_DEP_3)
	v_dual_add_f32 v9, v59, v61 :: v_dual_fma_f32 v61, v212, v124, -v65
	v_dual_mul_f32 v15, v214, v127 :: v_dual_mul_f32 v17, v216, v129
	v_add_f32_e32 v7, v7, v11
	s_delay_alu instid0(VALU_DEP_3) | instskip(NEXT) | instid1(VALU_DEP_3)
	v_dual_add_f32 v9, v9, v63 :: v_dual_fma_f32 v63, v214, v126, -v67
	v_dual_fmac_f32 v15, v215, v126 :: v_dual_mul_f32 v19, v218, v131
	v_mul_f32_e32 v21, v220, v133
	s_delay_alu instid0(VALU_DEP_4) | instskip(NEXT) | instid1(VALU_DEP_4)
	v_dual_add_f32 v7, v7, v13 :: v_dual_fmac_f32 v17, v217, v128
	v_dual_add_f32 v9, v9, v61 :: v_dual_mul_f32 v13, v227, v139
	s_delay_alu instid0(VALU_DEP_2) | instskip(SKIP_1) | instid1(VALU_DEP_3)
	v_dual_fma_f32 v61, v216, v128, -v69 :: v_dual_add_f32 v7, v7, v15
	v_mul_f32_e32 v15, v229, v141
	v_dual_add_f32 v9, v9, v63 :: v_dual_fmac_f32 v19, v219, v130
	s_delay_alu instid0(VALU_DEP_3) | instskip(SKIP_1) | instid1(VALU_DEP_3)
	v_dual_fma_f32 v63, v218, v130, -v71 :: v_dual_add_f32 v7, v7, v17
	v_fmac_f32_e32 v21, v221, v132
	v_dual_add_f32 v9, v9, v61 :: v_dual_mul_f32 v17, v231, v143
	v_dual_mul_f32 v23, v222, v135 :: v_dual_mul_f32 v25, v224, v137
	v_dual_mul_f32 v59, v223, v135 :: v_dual_mul_f32 v11, v225, v137
	v_dual_fma_f32 v61, v220, v132, -v73 :: v_dual_add_f32 v7, v7, v19
	s_delay_alu instid0(VALU_DEP_3) | instskip(NEXT) | instid1(VALU_DEP_3)
	v_dual_add_f32 v9, v9, v63 :: v_dual_fmac_f32 v23, v223, v134
	v_dual_mul_f32 v19, v233, v145 :: v_dual_fma_f32 v59, v222, v134, -v59
	s_delay_alu instid0(VALU_DEP_3) | instskip(NEXT) | instid1(VALU_DEP_3)
	v_dual_add_f32 v7, v7, v21 :: v_dual_fmac_f32 v25, v225, v136
	v_dual_add_f32 v9, v9, v61 :: v_dual_mul_f32 v21, v235, v147
	v_dual_mul_f32 v27, v226, v139 :: v_dual_mul_f32 v29, v228, v141
	s_delay_alu instid0(VALU_DEP_3) | instskip(NEXT) | instid1(VALU_DEP_2)
	v_dual_fma_f32 v11, v224, v136, -v11 :: v_dual_add_f32 v7, v7, v23
	v_dual_add_f32 v9, v9, v59 :: v_dual_fmac_f32 v27, v227, v138
	v_dual_mul_f32 v23, v237, v149 :: v_dual_fma_f32 v13, v226, v138, -v13
	s_delay_alu instid0(VALU_DEP_2) | instskip(SKIP_2) | instid1(VALU_DEP_3)
	v_dual_add_f32 v7, v7, v25 :: v_dual_add_f32 v9, v9, v11
	v_dual_mul_f32 v31, v230, v143 :: v_dual_mul_f32 v33, v232, v145
	v_dual_mul_f32 v11, v239, v151 :: v_dual_fmac_f32 v29, v229, v140
	v_dual_fma_f32 v15, v228, v140, -v15 :: v_dual_add_f32 v7, v7, v27
	s_delay_alu instid0(VALU_DEP_3) | instskip(SKIP_1) | instid1(VALU_DEP_2)
	v_dual_add_f32 v9, v9, v13 :: v_dual_fmac_f32 v31, v231, v142
	v_dual_mul_f32 v13, v241, v153 :: v_dual_fma_f32 v17, v230, v142, -v17
	v_dual_add_f32 v7, v7, v29 :: v_dual_add_f32 v9, v9, v15
	v_dual_mul_f32 v35, v234, v147 :: v_dual_mul_f32 v37, v236, v149
	v_dual_mul_f32 v15, v243, v155 :: v_dual_fmac_f32 v33, v233, v144
	s_delay_alu instid0(VALU_DEP_3) | instskip(NEXT) | instid1(VALU_DEP_3)
	v_dual_fma_f32 v19, v232, v144, -v19 :: v_dual_add_f32 v7, v7, v31
	v_dual_add_f32 v9, v9, v17 :: v_dual_fmac_f32 v35, v235, v146
	v_dual_mul_f32 v17, v245, v157 :: v_dual_fma_f32 v21, v234, v146, -v21
	s_delay_alu instid0(VALU_DEP_2) | instskip(SKIP_2) | instid1(VALU_DEP_3)
	v_dual_add_f32 v7, v7, v33 :: v_dual_add_f32 v9, v9, v19
	v_dual_mul_f32 v39, v238, v151 :: v_dual_mul_f32 v41, v240, v153
	v_dual_mul_f32 v19, v247, v159 :: v_dual_fmac_f32 v37, v237, v148
	v_dual_fma_f32 v23, v236, v148, -v23 :: v_dual_add_f32 v7, v7, v35
	s_delay_alu instid0(VALU_DEP_3) | instskip(SKIP_1) | instid1(VALU_DEP_2)
	v_dual_add_f32 v9, v9, v21 :: v_dual_fmac_f32 v39, v239, v150
	v_dual_mul_f32 v21, v249, v161 :: v_dual_fma_f32 v11, v238, v150, -v11
	v_dual_add_f32 v7, v7, v37 :: v_dual_add_f32 v9, v9, v23
	v_dual_mul_f32 v43, v242, v155 :: v_dual_mul_f32 v45, v244, v157
	v_dual_mul_f32 v23, v251, v163 :: v_dual_fmac_f32 v41, v241, v152
	s_delay_alu instid0(VALU_DEP_3) | instskip(NEXT) | instid1(VALU_DEP_3)
	v_dual_fma_f32 v13, v240, v152, -v13 :: v_dual_add_f32 v7, v7, v39
	v_dual_add_f32 v9, v9, v11 :: v_dual_fmac_f32 v43, v243, v154
	v_dual_mul_f32 v11, v253, v165 :: v_dual_fma_f32 v15, v242, v154, -v15
	s_delay_alu instid0(VALU_DEP_3) | instskip(NEXT) | instid1(VALU_DEP_3)
	v_dual_add_f32 v7, v7, v41 :: v_dual_fmac_f32 v45, v245, v156
	v_dual_add_f32 v9, v9, v13 :: v_dual_mul_f32 v13, v255, v167
	v_dual_mul_f32 v47, v246, v159 :: v_dual_mul_f32 v49, v248, v161
	s_delay_alu instid0(VALU_DEP_3) | instskip(NEXT) | instid1(VALU_DEP_2)
	v_dual_fma_f32 v17, v244, v156, -v17 :: v_dual_add_f32 v7, v7, v43
	v_dual_add_f32 v9, v9, v15 :: v_dual_fmac_f32 v47, v247, v158
	v_fma_f32 v19, v246, v158, -v19
	v_dual_mul_f32 v51, v250, v163 :: v_dual_mul_f32 v53, v252, v165
	s_delay_alu instid0(VALU_DEP_4) | instskip(NEXT) | instid1(VALU_DEP_4)
	v_add_f32_e32 v7, v7, v45
	v_dual_add_f32 v9, v9, v17 :: v_dual_fma_f32 v21, v248, v160, -v21
	s_delay_alu instid0(VALU_DEP_3) | instskip(NEXT) | instid1(VALU_DEP_3)
	v_dual_fmac_f32 v49, v249, v160 :: v_dual_fmac_f32 v51, v251, v162
	v_add_f32_e32 v7, v7, v47
	s_delay_alu instid0(VALU_DEP_3)
	v_dual_add_f32 v9, v9, v19 :: v_dual_fma_f32 v23, v250, v162, -v23
	v_fma_f32 v11, v252, v164, -v11
	s_wait_loadcnt_dscnt 0x500
	s_set_vgpr_msb 1                        ;  msbs: dst=0 src0=1 src1=0 src2=0
	v_dual_mul_f32 v15, v1 /*v257*/, v169 :: v_dual_mul_f32 v17, v3 /*v259*/, v171
	s_set_vgpr_msb 0                        ;  msbs: dst=0 src0=0 src1=0 src2=0
	v_add_f32_e32 v7, v7, v49
	v_add_f32_e32 v9, v9, v21
	v_fmac_f32_e32 v53, v253, v164
	s_wait_loadcnt 0x4
	v_dual_mov_b32 v120, v177 :: v_dual_fma_f32 v13, v254, v166, -v13
	v_add_f32_e32 v7, v7, v51
	v_dual_add_f32 v9, v9, v23 :: v_dual_fmac_f32 v55, v255, v166
	s_set_vgpr_msb 0x41                     ;  msbs: dst=1 src0=1 src1=0 src2=0
	v_dual_mul_f32 v17 /*v273*/, v2 /*v258*/, v171 :: v_dual_mul_f32 v19 /*v275*/, v4 /*v260*/, v173
	s_set_vgpr_msb 0                        ;  msbs: dst=0 src0=0 src1=0 src2=0
	s_delay_alu instid0(VALU_DEP_2)
	v_dual_add_f32 v7, v7, v53 :: v_dual_add_f32 v9, v9, v11
	s_set_vgpr_msb 1                        ;  msbs: dst=0 src0=1 src1=0 src2=0
	v_dual_mul_f32 v19, v5 /*v261*/, v173 :: v_dual_fma_f32 v11, v0 /*v256*/, v168, -v15
	v_fmac_f32_e32 v57, v1 /*v257*/, v168
	s_set_vgpr_msb 0                        ;  msbs: dst=0 src0=0 src1=0 src2=0
	v_dual_add_f32 v7, v7, v55 :: v_dual_add_f32 v9, v9, v13
	v_pk_mul_f32 v[118:119], v[190:191], v[174:175] op_sel:[1,1] op_sel_hi:[0,1]
	s_wait_loadcnt 0x3
	v_mov_b32_e32 v124, v181
	s_set_vgpr_msb 0x41                     ;  msbs: dst=1 src0=1 src1=0 src2=0
	v_dual_fmac_f32 v17 /*v273*/, v3 /*v259*/, v170 :: v_dual_fmac_f32 v19 /*v275*/, v5 /*v261*/, v172
	v_dual_fma_f32 v16 /*v272*/, v2 /*v258*/, v170, -v17 :: v_dual_fma_f32 v18 /*v274*/, v4 /*v260*/, v172, -v19
	s_set_vgpr_msb 0                        ;  msbs: dst=0 src0=0 src1=0 src2=0
	v_dual_add_f32 v127, v7, v57 :: v_dual_add_f32 v126, v9, v11
	v_pk_fma_f32 v[128:129], v[190:191], v[174:175], v[118:119] op_sel_hi:[1,0,1]
	s_set_vgpr_msb 1                        ;  msbs: dst=0 src0=1 src1=0 src2=0
	v_pk_mul_f32 v[120:121], v[8:9] /*v[264:265]*/, v[120:121] op_sel_hi:[1,0]
	s_set_vgpr_msb 0                        ;  msbs: dst=0 src0=0 src1=0 src2=0
	v_pk_fma_f32 v[118:119], v[190:191], v[174:175], v[118:119] neg_lo:[0,0,1] neg_hi:[0,0,1]
	v_pk_mul_f32 v[122:123], v[194:195], v[178:179] op_sel:[1,1] op_sel_hi:[0,1]
	s_set_vgpr_msb 4                        ;  msbs: dst=0 src0=0 src1=1 src2=0
	v_pk_add_f32 v[126:127], v[126:127], v[16:17] /*v[272:273]*/
	v_mov_b32_e32 v119, v129
	s_set_vgpr_msb 0                        ;  msbs: dst=0 src0=0 src1=0 src2=0
	v_pk_fma_f32 v[128:129], v[192:193], v[176:177], v[120:121] op_sel_hi:[1,0,1]
	v_pk_fma_f32 v[120:121], v[192:193], v[176:177], v[120:121] neg_lo:[0,0,1] neg_hi:[0,0,1]
	v_pk_fma_f32 v[132:133], v[194:195], v[178:179], v[122:123] op_sel_hi:[1,0,1]
	s_set_vgpr_msb 4                        ;  msbs: dst=0 src0=0 src1=1 src2=0
	v_pk_add_f32 v[126:127], v[126:127], v[18:19] /*v[274:275]*/
	s_set_vgpr_msb 1                        ;  msbs: dst=0 src0=1 src1=0 src2=0
	v_pk_mul_f32 v[124:125], v[10:11] /*v[266:267]*/, v[124:125] op_sel_hi:[1,0]
	s_set_vgpr_msb 0                        ;  msbs: dst=0 src0=0 src1=0 src2=0
	v_mov_b32_e32 v121, v129
	s_wait_loadcnt 0x2
	v_pk_mul_f32 v[130:131], v[198:199], v[182:183] op_sel:[1,1] op_sel_hi:[0,1]
	v_pk_fma_f32 v[122:123], v[194:195], v[178:179], v[122:123] neg_lo:[0,0,1] neg_hi:[0,0,1]
	v_pk_add_f32 v[118:119], v[126:127], v[118:119]
	v_dual_mov_b32 v126, v185 :: v_dual_mov_b32 v123, v133
	v_pk_fma_f32 v[128:129], v[196:197], v[180:181], v[124:125] op_sel_hi:[1,0,1]
	v_pk_fma_f32 v[124:125], v[196:197], v[180:181], v[124:125] neg_lo:[0,0,1] neg_hi:[0,0,1]
	s_delay_alu instid0(VALU_DEP_4)
	v_pk_add_f32 v[118:119], v[118:119], v[120:121]
	v_pk_fma_f32 v[120:121], v[198:199], v[182:183], v[130:131] op_sel_hi:[1,0,1]
	s_set_vgpr_msb 1                        ;  msbs: dst=0 src0=1 src1=0 src2=0
	v_pk_mul_f32 v[126:127], v[12:13] /*v[268:269]*/, v[126:127] op_sel_hi:[1,0]
	s_set_vgpr_msb 0                        ;  msbs: dst=0 src0=0 src1=0 src2=0
	v_mov_b32_e32 v125, v129
	v_pk_fma_f32 v[128:129], v[198:199], v[182:183], v[130:131] neg_lo:[0,0,1] neg_hi:[0,0,1]
	v_pk_add_f32 v[118:119], v[118:119], v[122:123]
	v_mov_b32_e32 v129, v121
	v_pk_fma_f32 v[120:121], v[200:201], v[184:185], v[126:127] op_sel_hi:[1,0,1]
	s_wait_loadcnt 0x1
	v_pk_mul_f32 v[122:123], v[202:203], v[186:187] op_sel:[1,1] op_sel_hi:[0,1]
	v_mov_b32_e32 v120, v189
	v_pk_add_f32 v[118:119], v[118:119], v[124:125]
	v_pk_fma_f32 v[126:127], v[200:201], v[184:185], v[126:127] neg_lo:[0,0,1] neg_hi:[0,0,1]
	v_mov_b32_e32 v127, v121
	v_pk_fma_f32 v[124:125], v[202:203], v[186:187], v[122:123] op_sel_hi:[1,0,1]
	s_set_vgpr_msb 1                        ;  msbs: dst=0 src0=1 src1=0 src2=0
	v_pk_mul_f32 v[120:121], v[14:15] /*v[270:271]*/, v[120:121] op_sel_hi:[1,0]
	s_set_vgpr_msb 0                        ;  msbs: dst=0 src0=0 src1=0 src2=0
	v_pk_add_f32 v[118:119], v[118:119], v[128:129]
	v_pk_fma_f32 v[122:123], v[202:203], v[186:187], v[122:123] neg_lo:[0,0,1] neg_hi:[0,0,1]
	v_mov_b32_e32 v123, v125
	v_pk_fma_f32 v[124:125], v[204:205], v[188:189], v[120:121] op_sel_hi:[1,0,1]
	s_delay_alu instid0(VALU_DEP_4) | instskip(SKIP_1) | instid1(VALU_DEP_3)
	v_pk_add_f32 v[118:119], v[118:119], v[126:127]
	v_pk_fma_f32 v[120:121], v[204:205], v[188:189], v[120:121] neg_lo:[0,0,1] neg_hi:[0,0,1]
	v_mov_b32_e32 v121, v125
	s_delay_alu instid0(VALU_DEP_3) | instskip(NEXT) | instid1(VALU_DEP_1)
	v_pk_add_f32 v[118:119], v[118:119], v[122:123]
	v_pk_add_f32 v[118:119], v[118:119], v[120:121]
	s_wait_loadcnt 0x0
	s_set_vgpr_msb 1                        ;  msbs: dst=0 src0=1 src1=0 src2=0
	s_delay_alu instid0(VALU_DEP_1)
	v_pk_add_f32 v[118:119], v[6:7] /*v[262:263]*/, v[118:119] neg_lo:[0,1] neg_hi:[0,1]
	scratch_store_b64 off, v[118:119], off offset:168
	s_wait_xcnt 0x0
	v_cmpx_lt_u32_e32 20, v0
	s_set_vgpr_msb 0                        ;  msbs: dst=0 src0=0 src1=0 src2=0
	s_cbranch_execz .LBB121_321
; %bb.320:
	scratch_load_b64 v[118:119], off, off offset:160
	v_mov_b64_e32 v[120:121], 0
	scratch_store_b64 off, v[120:121], off offset:160
	s_wait_loadcnt 0x0
	ds_store_b64 v1, v[118:119]
.LBB121_321:
	s_wait_xcnt 0x0
	s_or_b32 exec_lo, exec_lo, s0
	s_wait_storecnt_dscnt 0x0
	s_barrier_signal -1
	s_barrier_wait -1
	s_clause 0x14
	scratch_load_b128 v[118:121], off, off offset:168
	scratch_load_b128 v[122:125], off, off offset:184
	;; [unrolled: 1-line block ×18, first 2 shown]
	s_set_vgpr_msb 64                       ;  msbs: dst=1 src0=0 src1=0 src2=0
	scratch_load_b64 v[6:7] /*v[262:263]*/, off, off offset:456
	scratch_load_b64 v[8:9] /*v[264:265]*/, off, off offset:160
	s_set_vgpr_msb 0                        ;  msbs: dst=0 src0=0 src1=0 src2=0
	v_mov_b32_e32 v7, 0
	ds_load_2addr_b64 v[190:193], v7 offset0:107 offset1:108
	ds_load_2addr_b64 v[194:197], v7 offset0:109 offset1:110
	;; [unrolled: 1-line block ×17, first 2 shown]
	s_set_vgpr_msb 64                       ;  msbs: dst=1 src0=0 src1=0 src2=0
	ds_load_2addr_b64 v[2:5] /*v[258:261]*/, v7 offset0:105 offset1:106
	ds_load_b64 v[10:11] /*v[266:267]*/, v7 offset:920
	s_mov_b32 s0, exec_lo
	s_wait_dscnt 0x12
	v_dual_mov_b32 v12 /*v268*/, v193 :: v_dual_mov_b32 v13 /*v269*/, v192
	s_wait_dscnt 0x11
	v_dual_mov_b32 v14 /*v270*/, v197 :: v_dual_mov_b32 v15 /*v271*/, v196
	;; [unrolled: 2-line block ×4, first 2 shown]
	s_wait_loadcnt 0x13
	s_set_vgpr_msb 0                        ;  msbs: dst=0 src0=0 src1=0 src2=0
	v_dual_mul_f32 v9, v202, v119 :: v_dual_mul_f32 v63, v203, v119
	v_dual_mul_f32 v65, v205, v121 :: v_dual_mul_f32 v11, v204, v121
	s_wait_loadcnt 0x12
	v_mul_f32_e32 v13, v206, v123
	s_wait_loadcnt_dscnt 0x100b
	v_dual_mul_f32 v75, v219, v131 :: v_dual_fma_f32 v63, v202, v118, -v63
	v_dual_fmac_f32 v9, v203, v118 :: v_dual_mul_f32 v77, v221, v133
	v_dual_mul_f32 v67, v207, v123 :: v_dual_mul_f32 v69, v209, v125
	v_dual_fmac_f32 v11, v205, v120 :: v_dual_fma_f32 v65, v204, v120, -v65
	s_delay_alu instid0(VALU_DEP_3) | instskip(SKIP_3) | instid1(VALU_DEP_3)
	v_dual_add_f32 v9, 0, v9 :: v_dual_add_f32 v63, 0, v63
	v_dual_mul_f32 v15, v208, v125 :: v_dual_mul_f32 v17, v214, v127
	s_wait_loadcnt_dscnt 0xf0a
	v_dual_mul_f32 v79, v223, v135 :: v_dual_fma_f32 v67, v206, v122, -v67
	v_dual_fmac_f32 v13, v207, v122 :: v_dual_add_f32 v9, v9, v11
	s_delay_alu instid0(VALU_DEP_3) | instskip(SKIP_2) | instid1(VALU_DEP_3)
	v_dual_add_f32 v11, v63, v65 :: v_dual_fmac_f32 v15, v209, v124
	v_dual_mul_f32 v71, v215, v127 :: v_dual_mul_f32 v73, v217, v129
	v_dual_mul_f32 v63, v225, v137 :: v_dual_fma_f32 v65, v208, v124, -v69
	v_dual_add_f32 v9, v9, v13 :: v_dual_add_f32 v11, v11, v67
	v_dual_mul_f32 v19, v216, v129 :: v_dual_mul_f32 v21, v218, v131
	s_wait_loadcnt_dscnt 0xe09
	v_dual_mul_f32 v13, v227, v139 :: v_dual_fma_f32 v67, v214, v126, -v71
	s_delay_alu instid0(VALU_DEP_3) | instskip(NEXT) | instid1(VALU_DEP_3)
	v_dual_fmac_f32 v17, v215, v126 :: v_dual_add_f32 v9, v9, v15
	v_dual_add_f32 v11, v11, v65 :: v_dual_fmac_f32 v19, v217, v128
	v_dual_mul_f32 v15, v229, v141 :: v_dual_fma_f32 v65, v216, v128, -v73
	s_delay_alu instid0(VALU_DEP_2) | instskip(SKIP_3) | instid1(VALU_DEP_3)
	v_dual_add_f32 v9, v9, v17 :: v_dual_add_f32 v11, v11, v67
	v_dual_mul_f32 v23, v220, v133 :: v_dual_mul_f32 v25, v222, v135
	s_wait_loadcnt_dscnt 0xd08
	v_dual_mul_f32 v17, v231, v143 :: v_dual_fma_f32 v67, v218, v130, -v75
	v_dual_fmac_f32 v21, v219, v130 :: v_dual_add_f32 v9, v9, v19
	s_delay_alu instid0(VALU_DEP_3) | instskip(SKIP_1) | instid1(VALU_DEP_2)
	v_dual_add_f32 v11, v11, v65 :: v_dual_fmac_f32 v23, v221, v132
	v_dual_mul_f32 v19, v233, v145 :: v_dual_fma_f32 v65, v220, v132, -v77
	v_dual_add_f32 v9, v9, v21 :: v_dual_add_f32 v11, v11, v67
	v_dual_mul_f32 v27, v224, v137 :: v_dual_mul_f32 v29, v226, v139
	s_wait_loadcnt_dscnt 0xc07
	v_dual_mul_f32 v21, v235, v147 :: v_dual_fma_f32 v67, v222, v134, -v79
	s_delay_alu instid0(VALU_DEP_3) | instskip(NEXT) | instid1(VALU_DEP_3)
	v_dual_fmac_f32 v25, v223, v134 :: v_dual_add_f32 v9, v9, v23
	v_dual_add_f32 v11, v11, v65 :: v_dual_fmac_f32 v27, v225, v136
	v_dual_mul_f32 v23, v237, v149 :: v_dual_fma_f32 v63, v224, v136, -v63
	s_delay_alu instid0(VALU_DEP_2) | instskip(SKIP_3) | instid1(VALU_DEP_3)
	v_dual_add_f32 v9, v9, v25 :: v_dual_add_f32 v11, v11, v67
	v_dual_mul_f32 v31, v228, v141 :: v_dual_mul_f32 v33, v230, v143
	s_wait_loadcnt_dscnt 0xb06
	v_dual_mul_f32 v25, v239, v151 :: v_dual_fma_f32 v13, v226, v138, -v13
	v_dual_fmac_f32 v29, v227, v138 :: v_dual_add_f32 v9, v9, v27
	v_dual_add_f32 v11, v11, v63 :: v_dual_mul_f32 v27, v241, v153
	v_fmac_f32_e32 v31, v229, v140
	s_delay_alu instid0(VALU_DEP_3) | instskip(NEXT) | instid1(VALU_DEP_3)
	v_dual_fma_f32 v15, v228, v140, -v15 :: v_dual_add_f32 v9, v9, v29
	v_add_f32_e32 v11, v11, v13
	v_dual_mul_f32 v35, v232, v145 :: v_dual_mul_f32 v37, v234, v147
	s_wait_loadcnt_dscnt 0xa05
	v_dual_mul_f32 v13, v243, v155 :: v_dual_fma_f32 v17, v230, v142, -v17
	v_dual_fmac_f32 v33, v231, v142 :: v_dual_add_f32 v9, v9, v31
	v_dual_add_f32 v11, v11, v15 :: v_dual_mul_f32 v15, v245, v157
	v_fmac_f32_e32 v35, v233, v144
	s_delay_alu instid0(VALU_DEP_3) | instskip(NEXT) | instid1(VALU_DEP_3)
	v_dual_fma_f32 v19, v232, v144, -v19 :: v_dual_add_f32 v9, v9, v33
	v_add_f32_e32 v11, v11, v17
	;; [unrolled: 9-line block ×4, first 2 shown]
	v_dual_mul_f32 v47, v244, v157 :: v_dual_mul_f32 v49, v246, v159
	s_wait_loadcnt_dscnt 0x702
	v_dual_mul_f32 v25, v255, v167 :: v_dual_fma_f32 v13, v242, v154, -v13
	v_dual_fmac_f32 v45, v243, v154 :: v_dual_add_f32 v9, v9, v43
	s_delay_alu instid0(VALU_DEP_3) | instskip(SKIP_2) | instid1(VALU_DEP_4)
	v_dual_add_f32 v11, v11, v27 :: v_dual_fmac_f32 v47, v245, v156
	v_fma_f32 v15, v244, v156, -v15
	v_dual_mul_f32 v51, v248, v161 :: v_dual_mul_f32 v53, v250, v163
	v_add_f32_e32 v9, v9, v45
	s_delay_alu instid0(VALU_DEP_4) | instskip(NEXT) | instid1(VALU_DEP_3)
	v_dual_add_f32 v11, v11, v13 :: v_dual_fma_f32 v17, v246, v158, -v17
	v_dual_fmac_f32 v49, v247, v158 :: v_dual_fmac_f32 v51, v249, v160
	s_delay_alu instid0(VALU_DEP_3) | instskip(NEXT) | instid1(VALU_DEP_3)
	v_add_f32_e32 v9, v9, v47
	v_dual_add_f32 v11, v11, v15 :: v_dual_fma_f32 v19, v248, v160, -v19
	v_dual_mul_f32 v55, v252, v165 :: v_dual_mul_f32 v57, v254, v167
	s_delay_alu instid0(VALU_DEP_3) | instskip(NEXT) | instid1(VALU_DEP_3)
	v_add_f32_e32 v9, v9, v49
	v_dual_add_f32 v11, v11, v17 :: v_dual_fma_f32 v21, v250, v162, -v21
	s_delay_alu instid0(VALU_DEP_3) | instskip(NEXT) | instid1(VALU_DEP_3)
	v_dual_fmac_f32 v53, v251, v162 :: v_dual_fmac_f32 v55, v253, v164
	v_add_f32_e32 v9, v9, v51
	s_delay_alu instid0(VALU_DEP_3)
	v_dual_add_f32 v11, v11, v19 :: v_dual_fma_f32 v19, v252, v164, -v23
	s_wait_loadcnt_dscnt 0x601
	s_set_vgpr_msb 1                        ;  msbs: dst=0 src0=1 src1=0 src2=0
	v_dual_mul_f32 v59, v0 /*v256*/, v169 :: v_dual_mul_f32 v61, v2 /*v258*/, v171
	s_set_vgpr_msb 0                        ;  msbs: dst=0 src0=0 src1=0 src2=0
	v_add_f32_e32 v9, v9, v53
	v_dual_add_f32 v11, v11, v21 :: v_dual_fma_f32 v21, v254, v166, -v25
	s_set_vgpr_msb 1                        ;  msbs: dst=0 src0=1 src1=0 src2=0
	v_dual_mul_f32 v27, v1 /*v257*/, v169 :: v_dual_mul_f32 v13, v3 /*v259*/, v171
	s_set_vgpr_msb 0                        ;  msbs: dst=0 src0=0 src1=0 src2=0
	v_dual_fmac_f32 v57, v255, v166 :: v_dual_add_f32 v9, v9, v55
	s_wait_loadcnt 0x4
	v_dual_add_f32 v11, v11, v19 :: v_dual_mov_b32 v122, v181
	s_set_vgpr_msb 1                        ;  msbs: dst=0 src0=1 src1=0 src2=0
	v_dual_mul_f32 v15, v5 /*v261*/, v173 :: v_dual_fma_f32 v19, v0 /*v256*/, v168, -v27
	s_set_vgpr_msb 0                        ;  msbs: dst=0 src0=0 src1=0 src2=0
	v_dual_mul_f32 v17, v191, v175 :: v_dual_mov_b32 v118, v177
	s_set_vgpr_msb 1                        ;  msbs: dst=0 src0=1 src1=0 src2=0
	v_dual_fmac_f32 v59, v1 /*v257*/, v168 :: v_dual_fmac_f32 v61, v3 /*v259*/, v170
	s_set_vgpr_msb 0                        ;  msbs: dst=0 src0=0 src1=0 src2=0
	v_add_f32_e32 v11, v11, v21
	v_add_f32_e32 v9, v9, v57
	s_set_vgpr_msb 0x41                     ;  msbs: dst=1 src0=1 src1=0 src2=0
	v_dual_mul_f32 v21 /*v277*/, v4 /*v260*/, v173 :: v_dual_fma_f32 v20 /*v276*/, v4 /*v260*/, v172, -v15
	s_set_vgpr_msb 1                        ;  msbs: dst=0 src0=1 src1=0 src2=0
	v_fma_f32 v13, v2 /*v258*/, v170, -v13
	s_set_vgpr_msb 0                        ;  msbs: dst=0 src0=0 src1=0 src2=0
	v_add_f32_e32 v11, v11, v19
	v_add_f32_e32 v9, v9, v59
	s_set_vgpr_msb 1                        ;  msbs: dst=0 src0=1 src1=0 src2=0
	v_pk_mul_f32 v[118:119], v[12:13] /*v[268:269]*/, v[118:119] op_sel_hi:[1,0]
	s_set_vgpr_msb 64                       ;  msbs: dst=1 src0=0 src1=0 src2=0
	v_dual_mul_f32 v23 /*v279*/, v190, v175 :: v_dual_fma_f32 v22 /*v278*/, v190, v174, -v17
	s_set_vgpr_msb 0x41                     ;  msbs: dst=1 src0=1 src1=0 src2=0
	v_fmac_f32_e32 v21 /*v277*/, v5 /*v261*/, v172
	s_wait_loadcnt 0x3
	s_set_vgpr_msb 0                        ;  msbs: dst=0 src0=0 src1=0 src2=0
	v_dual_add_f32 v126, v11, v13 :: v_dual_mov_b32 v128, v185
	v_pk_fma_f32 v[130:131], v[192:193], v[176:177], v[118:119] op_sel_hi:[1,0,1]
	v_add_f32_e32 v127, v9, v61
	v_pk_fma_f32 v[118:119], v[192:193], v[176:177], v[118:119] neg_lo:[0,0,1] neg_hi:[0,0,1]
	v_pk_mul_f32 v[120:121], v[194:195], v[178:179] op_sel:[1,1] op_sel_hi:[0,1]
	s_set_vgpr_msb 64                       ;  msbs: dst=1 src0=0 src1=0 src2=0
	v_fmac_f32_e32 v23 /*v279*/, v191, v174
	s_set_vgpr_msb 4                        ;  msbs: dst=0 src0=0 src1=1 src2=0
	v_mov_b32_e32 v119, v131
	v_pk_add_f32 v[126:127], v[126:127], v[20:21] /*v[276:277]*/
	s_set_vgpr_msb 1                        ;  msbs: dst=0 src0=1 src1=0 src2=0
	v_pk_mul_f32 v[122:123], v[14:15] /*v[270:271]*/, v[122:123] op_sel_hi:[1,0]
	s_set_vgpr_msb 0                        ;  msbs: dst=0 src0=0 src1=0 src2=0
	v_pk_fma_f32 v[132:133], v[194:195], v[178:179], v[120:121] op_sel_hi:[1,0,1]
	v_pk_fma_f32 v[120:121], v[194:195], v[178:179], v[120:121] neg_lo:[0,0,1] neg_hi:[0,0,1]
	v_pk_mul_f32 v[124:125], v[198:199], v[182:183] op_sel:[1,1] op_sel_hi:[0,1]
	s_set_vgpr_msb 4                        ;  msbs: dst=0 src0=0 src1=1 src2=0
	v_pk_add_f32 v[126:127], v[126:127], v[22:23] /*v[278:279]*/
	s_set_vgpr_msb 1                        ;  msbs: dst=0 src0=1 src1=0 src2=0
	v_pk_mul_f32 v[128:129], v[16:17] /*v[272:273]*/, v[128:129] op_sel_hi:[1,0]
	s_set_vgpr_msb 0                        ;  msbs: dst=0 src0=0 src1=0 src2=0
	v_mov_b32_e32 v121, v133
	v_pk_fma_f32 v[132:133], v[196:197], v[180:181], v[122:123] op_sel_hi:[1,0,1]
	v_pk_fma_f32 v[122:123], v[196:197], v[180:181], v[122:123] neg_lo:[0,0,1] neg_hi:[0,0,1]
	v_pk_add_f32 v[118:119], v[126:127], v[118:119]
	v_pk_fma_f32 v[126:127], v[198:199], v[182:183], v[124:125] op_sel_hi:[1,0,1]
	v_pk_fma_f32 v[124:125], v[198:199], v[182:183], v[124:125] neg_lo:[0,0,1] neg_hi:[0,0,1]
	v_mov_b32_e32 v123, v133
	s_wait_loadcnt 0x2
	v_pk_mul_f32 v[130:131], v[210:211], v[186:187] op_sel:[1,1] op_sel_hi:[0,1]
	v_pk_add_f32 v[118:119], v[118:119], v[120:121]
	v_dual_mov_b32 v120, v189 :: v_dual_mov_b32 v125, v127
	v_pk_fma_f32 v[126:127], v[200:201], v[184:185], v[128:129] op_sel_hi:[1,0,1]
	v_pk_fma_f32 v[128:129], v[200:201], v[184:185], v[128:129] neg_lo:[0,0,1] neg_hi:[0,0,1]
	s_delay_alu instid0(VALU_DEP_4)
	v_pk_add_f32 v[118:119], v[118:119], v[122:123]
	v_pk_fma_f32 v[122:123], v[210:211], v[186:187], v[130:131] op_sel_hi:[1,0,1]
	s_set_vgpr_msb 1                        ;  msbs: dst=0 src0=1 src1=0 src2=0
	v_pk_mul_f32 v[120:121], v[18:19] /*v[274:275]*/, v[120:121] op_sel_hi:[1,0]
	s_set_vgpr_msb 0                        ;  msbs: dst=0 src0=0 src1=0 src2=0
	v_mov_b32_e32 v129, v127
	s_wait_loadcnt_dscnt 0x100
	s_set_vgpr_msb 5                        ;  msbs: dst=0 src0=1 src1=1 src2=0
	v_pk_mul_f32 v[126:127], v[10:11] /*v[266:267]*/, v[6:7] /*v[262:263]*/ op_sel:[1,1] op_sel_hi:[0,1]
	s_set_vgpr_msb 0                        ;  msbs: dst=0 src0=0 src1=0 src2=0
	v_pk_add_f32 v[118:119], v[118:119], v[124:125]
	v_pk_fma_f32 v[124:125], v[210:211], v[186:187], v[130:131] neg_lo:[0,0,1] neg_hi:[0,0,1]
	v_mov_b32_e32 v125, v123
	v_pk_fma_f32 v[122:123], v[212:213], v[188:189], v[120:121] op_sel_hi:[1,0,1]
	v_pk_fma_f32 v[120:121], v[212:213], v[188:189], v[120:121] neg_lo:[0,0,1] neg_hi:[0,0,1]
	v_pk_add_f32 v[118:119], v[118:119], v[128:129]
	s_delay_alu instid0(VALU_DEP_3)
	v_mov_b32_e32 v121, v123
	s_set_vgpr_msb 5                        ;  msbs: dst=0 src0=1 src1=1 src2=0
	v_pk_fma_f32 v[122:123], v[10:11] /*v[266:267]*/, v[6:7] /*v[262:263]*/, v[126:127] op_sel_hi:[1,0,1]
	s_set_vgpr_msb 0                        ;  msbs: dst=0 src0=0 src1=0 src2=0
	v_pk_add_f32 v[118:119], v[118:119], v[124:125]
	s_set_vgpr_msb 5                        ;  msbs: dst=0 src0=1 src1=1 src2=0
	v_pk_fma_f32 v[124:125], v[10:11] /*v[266:267]*/, v[6:7] /*v[262:263]*/, v[126:127] neg_lo:[0,0,1] neg_hi:[0,0,1]
	s_set_vgpr_msb 0                        ;  msbs: dst=0 src0=0 src1=0 src2=0
	v_mov_b32_e32 v125, v123
	v_pk_add_f32 v[118:119], v[118:119], v[120:121]
	s_delay_alu instid0(VALU_DEP_1) | instskip(SKIP_2) | instid1(VALU_DEP_1)
	v_pk_add_f32 v[118:119], v[118:119], v[124:125]
	s_wait_loadcnt 0x0
	s_set_vgpr_msb 1                        ;  msbs: dst=0 src0=1 src1=0 src2=0
	v_pk_add_f32 v[118:119], v[8:9] /*v[264:265]*/, v[118:119] neg_lo:[0,1] neg_hi:[0,1]
	scratch_store_b64 off, v[118:119], off offset:160
	s_wait_xcnt 0x0
	v_cmpx_lt_u32_e32 19, v0
	s_set_vgpr_msb 0                        ;  msbs: dst=0 src0=0 src1=0 src2=0
	s_cbranch_execz .LBB121_323
; %bb.322:
	scratch_load_b64 v[118:119], off, off offset:152
	v_mov_b64_e32 v[120:121], 0
	scratch_store_b64 off, v[120:121], off offset:152
	s_wait_loadcnt 0x0
	ds_store_b64 v1, v[118:119]
.LBB121_323:
	s_wait_xcnt 0x0
	s_or_b32 exec_lo, exec_lo, s0
	s_wait_storecnt_dscnt 0x0
	s_barrier_signal -1
	s_barrier_wait -1
	s_clause 0x14
	scratch_load_b128 v[118:121], off, off offset:160
	scratch_load_b128 v[122:125], off, off offset:176
	;; [unrolled: 1-line block ×19, first 2 shown]
	s_set_vgpr_msb 64                       ;  msbs: dst=1 src0=0 src1=0 src2=0
	scratch_load_b64 v[14:15] /*v[270:271]*/, off, off offset:152
	s_set_vgpr_msb 0                        ;  msbs: dst=0 src0=0 src1=0 src2=0
	ds_load_b128 v[194:197], v7 offset:864
	ds_load_b128 v[198:201], v7 offset:880
	ds_load_b128 v[202:205], v7 offset:848
	ds_load_b128 v[206:209], v7 offset:896
	ds_load_b128 v[210:213], v7 offset:912
	ds_load_b128 v[214:217], v7 offset:624
	ds_load_b128 v[218:221], v7 offset:640
	ds_load_b128 v[222:225], v7 offset:656
	ds_load_b128 v[226:229], v7 offset:672
	ds_load_b128 v[230:233], v7 offset:688
	ds_load_b128 v[234:237], v7 offset:704
	ds_load_b128 v[238:241], v7 offset:720
	ds_load_b128 v[242:245], v7 offset:736
	ds_load_b128 v[246:249], v7 offset:752
	ds_load_b128 v[250:253], v7 offset:768
	ds_load_b128 v[254:257], v7 offset:784
	s_set_vgpr_msb 64                       ;  msbs: dst=1 src0=0 src1=0 src2=0
	ds_load_b128 v[2:5] /*v[258:261]*/, v7 offset:800
	ds_load_b128 v[6:9] /*v[262:265]*/, v7 offset:816
	;; [unrolled: 1-line block ×3, first 2 shown]
	s_mov_b32 s0, exec_lo
	s_wait_dscnt 0x12
	v_dual_mov_b32 v16 /*v272*/, v197 :: v_dual_mov_b32 v17 /*v273*/, v196
	s_wait_dscnt 0x11
	v_dual_mov_b32 v18 /*v274*/, v201 :: v_dual_mov_b32 v19 /*v275*/, v200
	;; [unrolled: 2-line block ×4, first 2 shown]
	s_wait_loadcnt_dscnt 0x130d
	s_set_vgpr_msb 0                        ;  msbs: dst=0 src0=0 src1=0 src2=0
	v_dual_mul_f32 v7, v214, v119 :: v_dual_mul_f32 v9, v216, v121
	s_wait_loadcnt_dscnt 0x120c
	v_dual_mul_f32 v63, v215, v119 :: v_dual_mul_f32 v69, v221, v125
	v_dual_mul_f32 v11, v218, v123 :: v_dual_mul_f32 v13, v220, v125
	s_delay_alu instid0(VALU_DEP_3)
	v_dual_fmac_f32 v7, v215, v118 :: v_dual_fmac_f32 v9, v217, v120
	v_dual_mul_f32 v65, v217, v121 :: v_dual_mul_f32 v67, v219, v123
	s_wait_loadcnt_dscnt 0x903
	v_dual_mul_f32 v73, v225, v129 :: v_dual_mul_f32 v47, v254, v159
	v_dual_mul_f32 v71, v223, v127 :: v_dual_fma_f32 v63, v214, v118, -v63
	s_wait_loadcnt_dscnt 0x600
	s_set_vgpr_msb 1                        ;  msbs: dst=0 src0=1 src1=0 src2=0
	v_dual_mul_f32 v61, v12 /*v268*/, v173 :: v_dual_add_f32 v7, 0, v7
	s_set_vgpr_msb 0                        ;  msbs: dst=0 src0=0 src1=0 src2=0
	v_dual_mul_f32 v75, v227, v131 :: v_dual_fma_f32 v65, v216, v120, -v65
	v_dual_add_f32 v63, 0, v63 :: v_dual_mul_f32 v77, v229, v133
	v_dual_fmac_f32 v11, v219, v122 :: v_dual_fmac_f32 v13, v221, v124
	v_dual_fma_f32 v67, v218, v122, -v67 :: v_dual_add_f32 v7, v7, v9
	v_dual_mul_f32 v15, v222, v127 :: v_dual_mul_f32 v17, v224, v129
	s_delay_alu instid0(VALU_DEP_4) | instskip(NEXT) | instid1(VALU_DEP_3)
	v_dual_add_f32 v9, v63, v65 :: v_dual_fma_f32 v65, v220, v124, -v69
	v_add_f32_e32 v7, v7, v11
	s_delay_alu instid0(VALU_DEP_3) | instskip(NEXT) | instid1(VALU_DEP_3)
	v_dual_fmac_f32 v15, v223, v126 :: v_dual_mul_f32 v19, v226, v131
	v_dual_mul_f32 v21, v228, v133 :: v_dual_add_f32 v9, v9, v67
	s_delay_alu instid0(VALU_DEP_3) | instskip(SKIP_1) | instid1(VALU_DEP_3)
	v_dual_fma_f32 v67, v222, v126, -v71 :: v_dual_add_f32 v7, v7, v13
	v_dual_fmac_f32 v17, v225, v128 :: v_dual_mul_f32 v13, v235, v139
	v_dual_add_f32 v9, v9, v65 :: v_dual_fma_f32 v65, v224, v128, -v73
	s_delay_alu instid0(VALU_DEP_3) | instskip(SKIP_1) | instid1(VALU_DEP_3)
	v_add_f32_e32 v7, v7, v15
	v_dual_fmac_f32 v19, v227, v130 :: v_dual_mul_f32 v23, v230, v135
	v_dual_mul_f32 v25, v232, v137 :: v_dual_add_f32 v9, v9, v67
	s_delay_alu instid0(VALU_DEP_3) | instskip(SKIP_1) | instid1(VALU_DEP_3)
	v_dual_add_f32 v7, v7, v17 :: v_dual_fmac_f32 v21, v229, v132
	v_dual_mul_f32 v15, v237, v141 :: v_dual_fma_f32 v67, v226, v130, -v75
	v_dual_add_f32 v9, v9, v65 :: v_dual_mul_f32 v17, v239, v143
	s_delay_alu instid0(VALU_DEP_3) | instskip(SKIP_1) | instid1(VALU_DEP_3)
	v_dual_fma_f32 v65, v228, v132, -v77 :: v_dual_add_f32 v7, v7, v19
	v_dual_mul_f32 v63, v231, v135 :: v_dual_mul_f32 v11, v233, v137
	v_dual_add_f32 v9, v9, v67 :: v_dual_fmac_f32 v23, v231, v134
	s_delay_alu instid0(VALU_DEP_3) | instskip(SKIP_1) | instid1(VALU_DEP_4)
	v_dual_add_f32 v7, v7, v21 :: v_dual_fmac_f32 v25, v233, v136
	v_dual_mul_f32 v27, v234, v139 :: v_dual_mul_f32 v29, v236, v141
	v_dual_mul_f32 v19, v241, v145 :: v_dual_fma_f32 v63, v230, v134, -v63
	s_delay_alu instid0(VALU_DEP_4) | instskip(NEXT) | instid1(VALU_DEP_4)
	v_dual_add_f32 v9, v9, v65 :: v_dual_mul_f32 v21, v243, v147
	v_dual_fma_f32 v11, v232, v136, -v11 :: v_dual_add_f32 v7, v7, v23
	s_delay_alu instid0(VALU_DEP_2) | instskip(SKIP_1) | instid1(VALU_DEP_3)
	v_dual_fmac_f32 v27, v235, v138 :: v_dual_add_f32 v9, v9, v63
	v_dual_mul_f32 v31, v238, v143 :: v_dual_mul_f32 v33, v240, v145
	v_add_f32_e32 v7, v7, v25
	v_dual_mul_f32 v23, v245, v149 :: v_dual_fma_f32 v13, v234, v138, -v13
	s_delay_alu instid0(VALU_DEP_4) | instskip(SKIP_1) | instid1(VALU_DEP_4)
	v_add_f32_e32 v9, v9, v11
	v_dual_mul_f32 v11, v247, v151 :: v_dual_fmac_f32 v29, v237, v140
	v_dual_fma_f32 v15, v236, v140, -v15 :: v_dual_add_f32 v7, v7, v27
	s_delay_alu instid0(VALU_DEP_3) | instskip(SKIP_1) | instid1(VALU_DEP_2)
	v_dual_add_f32 v9, v9, v13 :: v_dual_fmac_f32 v31, v239, v142
	v_dual_mul_f32 v35, v242, v147 :: v_dual_mul_f32 v37, v244, v149
	v_dual_add_f32 v7, v7, v29 :: v_dual_add_f32 v9, v9, v15
	v_dual_mul_f32 v13, v249, v153 :: v_dual_fma_f32 v17, v238, v142, -v17
	v_dual_mul_f32 v15, v251, v155 :: v_dual_fmac_f32 v33, v241, v144
	s_delay_alu instid0(VALU_DEP_3) | instskip(NEXT) | instid1(VALU_DEP_3)
	v_dual_fma_f32 v19, v240, v144, -v19 :: v_dual_add_f32 v7, v7, v31
	v_dual_add_f32 v9, v9, v17 :: v_dual_fmac_f32 v35, v243, v146
	v_dual_mul_f32 v39, v246, v151 :: v_dual_mul_f32 v41, v248, v153
	s_delay_alu instid0(VALU_DEP_2) | instskip(SKIP_2) | instid1(VALU_DEP_3)
	v_dual_add_f32 v7, v7, v33 :: v_dual_add_f32 v9, v9, v19
	v_dual_mul_f32 v17, v253, v157 :: v_dual_fma_f32 v21, v242, v146, -v21
	v_dual_mul_f32 v19, v255, v159 :: v_dual_fmac_f32 v37, v245, v148
	v_dual_fma_f32 v23, v244, v148, -v23 :: v_dual_add_f32 v7, v7, v35
	s_delay_alu instid0(VALU_DEP_3) | instskip(SKIP_2) | instid1(VALU_DEP_3)
	v_dual_add_f32 v9, v9, v21 :: v_dual_fmac_f32 v39, v247, v150
	v_fma_f32 v11, v246, v150, -v11
	v_dual_mul_f32 v43, v250, v155 :: v_dual_mul_f32 v45, v252, v157
	v_dual_add_f32 v7, v7, v37 :: v_dual_add_f32 v9, v9, v23
	v_fma_f32 v13, v248, v152, -v13
	s_delay_alu instid0(VALU_DEP_3) | instskip(NEXT) | instid1(VALU_DEP_3)
	v_dual_fmac_f32 v41, v249, v152 :: v_dual_fmac_f32 v43, v251, v154
	v_add_f32_e32 v7, v7, v39
	s_delay_alu instid0(VALU_DEP_4)
	v_dual_add_f32 v9, v9, v11 :: v_dual_fma_f32 v15, v250, v154, -v15
	s_set_vgpr_msb 1                        ;  msbs: dst=0 src0=1 src1=0 src2=0
	v_dual_mul_f32 v49, v0 /*v256*/, v161 :: v_dual_mul_f32 v51, v2 /*v258*/, v163
	s_set_vgpr_msb 0                        ;  msbs: dst=0 src0=0 src1=0 src2=0
	v_add_f32_e32 v7, v7, v41
	v_dual_add_f32 v9, v9, v13 :: v_dual_fma_f32 v17, v252, v156, -v17
	v_dual_fmac_f32 v45, v253, v156 :: v_dual_fmac_f32 v47, v255, v158
	s_delay_alu instid0(VALU_DEP_3) | instskip(NEXT) | instid1(VALU_DEP_3)
	v_add_f32_e32 v7, v7, v43
	v_dual_add_f32 v9, v9, v15 :: v_dual_fma_f32 v19, v254, v158, -v19
	s_set_vgpr_msb 1                        ;  msbs: dst=0 src0=1 src1=0 src2=0
	v_dual_mul_f32 v21, v1 /*v257*/, v161 :: v_dual_mul_f32 v23, v3 /*v259*/, v163
	s_set_vgpr_msb 0                        ;  msbs: dst=0 src0=0 src1=0 src2=0
	v_add_f32_e32 v7, v7, v45
	v_add_f32_e32 v9, v9, v17
	s_set_vgpr_msb 1                        ;  msbs: dst=0 src0=1 src1=0 src2=0
	v_dual_fmac_f32 v49, v1 /*v257*/, v160 :: v_dual_fmac_f32 v51, v3 /*v259*/, v162
	v_dual_mul_f32 v53, v4 /*v260*/, v165 :: v_dual_mul_f32 v55, v6 /*v262*/, v167
	s_set_vgpr_msb 0                        ;  msbs: dst=0 src0=0 src1=0 src2=0
	v_add_f32_e32 v7, v7, v47
	s_set_vgpr_msb 1                        ;  msbs: dst=0 src0=1 src1=0 src2=0
	v_fma_f32 v21, v0 /*v256*/, v160, -v21
	s_set_vgpr_msb 0                        ;  msbs: dst=0 src0=0 src1=0 src2=0
	v_add_f32_e32 v9, v9, v19
	s_set_vgpr_msb 1                        ;  msbs: dst=0 src0=1 src1=0 src2=0
	v_dual_mul_f32 v11, v5 /*v261*/, v165 :: v_dual_mul_f32 v13, v7 /*v263*/, v167
	s_set_vgpr_msb 0                        ;  msbs: dst=0 src0=0 src1=0 src2=0
	v_add_f32_e32 v7, v7, v49
	s_set_vgpr_msb 1                        ;  msbs: dst=0 src0=1 src1=0 src2=0
	v_dual_mul_f32 v19, v13 /*v269*/, v173 :: v_dual_fma_f32 v23, v2 /*v258*/, v162, -v23
	v_fmac_f32_e32 v53, v5 /*v261*/, v164
	s_wait_loadcnt 0x5
	s_set_vgpr_msb 0                        ;  msbs: dst=0 src0=0 src1=0 src2=0
	v_dual_add_f32 v9, v9, v21 :: v_dual_mul_f32 v21, v203, v175
	v_add_f32_e32 v7, v7, v51
	s_set_vgpr_msb 1                        ;  msbs: dst=0 src0=1 src1=0 src2=0
	v_dual_mul_f32 v57, v8 /*v264*/, v169 :: v_dual_mul_f32 v59, v10 /*v266*/, v171
	v_dual_fma_f32 v11, v4 /*v260*/, v164, -v11 :: v_dual_fma_f32 v13, v6 /*v262*/, v166, -v13
	s_set_vgpr_msb 0                        ;  msbs: dst=0 src0=0 src1=0 src2=0
	v_add_f32_e32 v9, v9, v23
	v_mul_f32_e32 v23, v205, v177
	s_set_vgpr_msb 1                        ;  msbs: dst=0 src0=1 src1=0 src2=0
	v_dual_fmac_f32 v55, v7 /*v263*/, v166 :: v_dual_fmac_f32 v57, v9 /*v265*/, v168
	s_set_vgpr_msb 0                        ;  msbs: dst=0 src0=0 src1=0 src2=0
	v_add_f32_e32 v7, v7, v53
	s_set_vgpr_msb 1                        ;  msbs: dst=0 src0=1 src1=0 src2=0
	v_dual_mul_f32 v15, v9 /*v265*/, v169 :: v_dual_mul_f32 v17, v11 /*v267*/, v171
	v_dual_fmac_f32 v59, v11 /*v267*/, v170 :: v_dual_fmac_f32 v61, v13 /*v269*/, v172
	s_set_vgpr_msb 0                        ;  msbs: dst=0 src0=0 src1=0 src2=0
	v_add_f32_e32 v7, v7, v55
	v_add_f32_e32 v9, v9, v11
	s_set_vgpr_msb 1                        ;  msbs: dst=0 src0=1 src1=0 src2=0
	v_fma_f32 v11, v8 /*v264*/, v168, -v15
	s_set_vgpr_msb 64                       ;  msbs: dst=1 src0=0 src1=0 src2=0
	v_dual_mul_f32 v25 /*v281*/, v202, v175 :: v_dual_mul_f32 v27 /*v283*/, v204, v177
	s_set_vgpr_msb 0                        ;  msbs: dst=0 src0=0 src1=0 src2=0
	v_add_f32_e32 v7, v7, v57
	v_add_f32_e32 v9, v9, v13
	s_wait_loadcnt 0x4
	v_mov_b32_e32 v120, v181
	s_set_vgpr_msb 1                        ;  msbs: dst=0 src0=1 src1=0 src2=0
	v_fma_f32 v13, v10 /*v266*/, v170, -v17
	s_set_vgpr_msb 0                        ;  msbs: dst=0 src0=0 src1=0 src2=0
	v_pk_mul_f32 v[118:119], v[194:195], v[178:179] op_sel:[1,1] op_sel_hi:[0,1]
	v_add_f32_e32 v7, v7, v59
	v_add_f32_e32 v9, v9, v11
	s_set_vgpr_msb 1                        ;  msbs: dst=0 src0=1 src1=0 src2=0
	v_fma_f32 v11, v12 /*v268*/, v172, -v19
	s_set_vgpr_msb 64                       ;  msbs: dst=1 src0=0 src1=0 src2=0
	v_dual_fmac_f32 v25 /*v281*/, v203, v174 :: v_dual_fmac_f32 v27 /*v283*/, v205, v176
	s_set_vgpr_msb 0                        ;  msbs: dst=0 src0=0 src1=0 src2=0
	v_add_f32_e32 v127, v7, v61
	v_add_f32_e32 v9, v9, v13
	s_set_vgpr_msb 64                       ;  msbs: dst=1 src0=0 src1=0 src2=0
	v_dual_fma_f32 v24 /*v280*/, v202, v174, -v21 :: v_dual_fma_f32 v26 /*v282*/, v204, v176, -v23
	s_set_vgpr_msb 0                        ;  msbs: dst=0 src0=0 src1=0 src2=0
	v_pk_fma_f32 v[128:129], v[194:195], v[178:179], v[118:119] op_sel_hi:[1,0,1]
	s_set_vgpr_msb 1                        ;  msbs: dst=0 src0=1 src1=0 src2=0
	v_pk_mul_f32 v[120:121], v[16:17] /*v[272:273]*/, v[120:121] op_sel_hi:[1,0]
	s_set_vgpr_msb 0                        ;  msbs: dst=0 src0=0 src1=0 src2=0
	v_add_f32_e32 v126, v9, v11
	v_pk_fma_f32 v[118:119], v[194:195], v[178:179], v[118:119] neg_lo:[0,0,1] neg_hi:[0,0,1]
	s_wait_loadcnt 0x3
	v_pk_mul_f32 v[122:123], v[198:199], v[182:183] op_sel:[1,1] op_sel_hi:[0,1]
	v_dual_mov_b32 v124, v185 :: v_dual_mov_b32 v119, v129
	s_set_vgpr_msb 4                        ;  msbs: dst=0 src0=0 src1=1 src2=0
	v_pk_add_f32 v[126:127], v[126:127], v[24:25] /*v[280:281]*/
	s_set_vgpr_msb 0                        ;  msbs: dst=0 src0=0 src1=0 src2=0
	v_pk_fma_f32 v[128:129], v[196:197], v[180:181], v[120:121] op_sel_hi:[1,0,1]
	v_pk_fma_f32 v[120:121], v[196:197], v[180:181], v[120:121] neg_lo:[0,0,1] neg_hi:[0,0,1]
	v_pk_fma_f32 v[132:133], v[198:199], v[182:183], v[122:123] op_sel_hi:[1,0,1]
	s_set_vgpr_msb 1                        ;  msbs: dst=0 src0=1 src1=0 src2=0
	v_pk_mul_f32 v[124:125], v[18:19] /*v[274:275]*/, v[124:125] op_sel_hi:[1,0]
	s_set_vgpr_msb 4                        ;  msbs: dst=0 src0=0 src1=1 src2=0
	v_pk_add_f32 v[126:127], v[126:127], v[26:27] /*v[282:283]*/
	v_mov_b32_e32 v121, v129
	s_wait_loadcnt 0x2
	s_set_vgpr_msb 0                        ;  msbs: dst=0 src0=0 src1=0 src2=0
	v_pk_mul_f32 v[130:131], v[206:207], v[186:187] op_sel:[1,1] op_sel_hi:[0,1]
	v_pk_fma_f32 v[122:123], v[198:199], v[182:183], v[122:123] neg_lo:[0,0,1] neg_hi:[0,0,1]
	v_pk_fma_f32 v[128:129], v[200:201], v[184:185], v[124:125] op_sel_hi:[1,0,1]
	v_pk_add_f32 v[118:119], v[126:127], v[118:119]
	v_dual_mov_b32 v126, v189 :: v_dual_mov_b32 v123, v133
	v_pk_fma_f32 v[124:125], v[200:201], v[184:185], v[124:125] neg_lo:[0,0,1] neg_hi:[0,0,1]
	s_delay_alu instid0(VALU_DEP_4) | instskip(NEXT) | instid1(VALU_DEP_4)
	v_mov_b32_e32 v125, v129
	v_pk_add_f32 v[118:119], v[118:119], v[120:121]
	v_pk_fma_f32 v[120:121], v[206:207], v[186:187], v[130:131] op_sel_hi:[1,0,1]
	s_set_vgpr_msb 1                        ;  msbs: dst=0 src0=1 src1=0 src2=0
	v_pk_mul_f32 v[126:127], v[20:21] /*v[276:277]*/, v[126:127] op_sel_hi:[1,0]
	s_set_vgpr_msb 0                        ;  msbs: dst=0 src0=0 src1=0 src2=0
	v_pk_fma_f32 v[128:129], v[206:207], v[186:187], v[130:131] neg_lo:[0,0,1] neg_hi:[0,0,1]
	v_pk_add_f32 v[118:119], v[118:119], v[122:123]
	v_mov_b32_e32 v129, v121
	v_pk_fma_f32 v[120:121], v[208:209], v[188:189], v[126:127] op_sel_hi:[1,0,1]
	s_wait_loadcnt 0x1
	v_pk_mul_f32 v[122:123], v[210:211], v[190:191] op_sel:[1,1] op_sel_hi:[0,1]
	v_mov_b32_e32 v120, v193
	v_pk_add_f32 v[118:119], v[118:119], v[124:125]
	v_pk_fma_f32 v[126:127], v[208:209], v[188:189], v[126:127] neg_lo:[0,0,1] neg_hi:[0,0,1]
	s_delay_alu instid0(VALU_DEP_4) | instskip(SKIP_1) | instid1(VALU_DEP_4)
	v_pk_fma_f32 v[124:125], v[210:211], v[190:191], v[122:123] op_sel_hi:[1,0,1]
	v_mov_b32_e32 v127, v121
	v_pk_add_f32 v[118:119], v[118:119], v[128:129]
	s_set_vgpr_msb 1                        ;  msbs: dst=0 src0=1 src1=0 src2=0
	v_pk_mul_f32 v[120:121], v[22:23] /*v[278:279]*/, v[120:121] op_sel_hi:[1,0]
	s_set_vgpr_msb 0                        ;  msbs: dst=0 src0=0 src1=0 src2=0
	v_pk_fma_f32 v[122:123], v[210:211], v[190:191], v[122:123] neg_lo:[0,0,1] neg_hi:[0,0,1]
	v_mov_b32_e32 v123, v125
	v_pk_add_f32 v[118:119], v[118:119], v[126:127]
	v_pk_fma_f32 v[124:125], v[212:213], v[192:193], v[120:121] op_sel_hi:[1,0,1]
	v_pk_fma_f32 v[120:121], v[212:213], v[192:193], v[120:121] neg_lo:[0,0,1] neg_hi:[0,0,1]
	s_delay_alu instid0(VALU_DEP_3) | instskip(NEXT) | instid1(VALU_DEP_3)
	v_pk_add_f32 v[118:119], v[118:119], v[122:123]
	v_mov_b32_e32 v121, v125
	s_delay_alu instid0(VALU_DEP_1) | instskip(SKIP_2) | instid1(VALU_DEP_1)
	v_pk_add_f32 v[118:119], v[118:119], v[120:121]
	s_wait_loadcnt 0x0
	s_set_vgpr_msb 1                        ;  msbs: dst=0 src0=1 src1=0 src2=0
	v_pk_add_f32 v[118:119], v[14:15] /*v[270:271]*/, v[118:119] neg_lo:[0,1] neg_hi:[0,1]
	scratch_store_b64 off, v[118:119], off offset:152
	s_wait_xcnt 0x0
	v_cmpx_lt_u32_e32 18, v0
	s_set_vgpr_msb 0                        ;  msbs: dst=0 src0=0 src1=0 src2=0
	s_cbranch_execz .LBB121_325
; %bb.324:
	scratch_load_b64 v[118:119], off, off offset:144
	v_mov_b64_e32 v[120:121], 0
	scratch_store_b64 off, v[120:121], off offset:144
	s_wait_loadcnt 0x0
	ds_store_b64 v1, v[118:119]
.LBB121_325:
	s_wait_xcnt 0x0
	s_or_b32 exec_lo, exec_lo, s0
	s_wait_storecnt_dscnt 0x0
	s_barrier_signal -1
	s_barrier_wait -1
	s_clause 0xf
	scratch_load_b128 v[122:125], off, off offset:152
	scratch_load_b128 v[130:133], off, off offset:168
	;; [unrolled: 1-line block ×16, first 2 shown]
	v_mov_b32_e32 v7, 0
	s_mov_b32 s0, exec_lo
	ds_load_2addr_b64 v[118:121], v7 offset0:77 offset1:78
	ds_load_2addr_b64 v[126:129], v7 offset0:79 offset1:80
	s_wait_loadcnt_dscnt 0xf01
	v_dual_mul_f32 v9, v118, v123 :: v_dual_mul_f32 v11, v120, v125
	ds_load_2addr_b64 v[134:137], v7 offset0:81 offset1:82
	ds_load_2addr_b64 v[142:145], v7 offset0:83 offset1:84
	;; [unrolled: 1-line block ×4, first 2 shown]
	v_dual_fmac_f32 v9, v119, v122 :: v_dual_fmac_f32 v11, v121, v124
	ds_load_2addr_b64 v[150:153], v7 offset0:85 offset1:86
	ds_load_2addr_b64 v[158:161], v7 offset0:87 offset1:88
	;; [unrolled: 1-line block ×4, first 2 shown]
	v_add_f32_e32 v9, 0, v9
	ds_load_2addr_b64 v[182:185], v7 offset0:93 offset1:94
	ds_load_2addr_b64 v[190:193], v7 offset0:95 offset1:96
	;; [unrolled: 1-line block ×4, first 2 shown]
	v_add_f32_e32 v9, v9, v11
	s_wait_loadcnt_dscnt 0xe0c
	v_mul_f32_e32 v11, v126, v131
	ds_load_2addr_b64 v[214:217], v7 offset0:101 offset1:102
	ds_load_2addr_b64 v[222:225], v7 offset0:103 offset1:104
	s_clause 0x4
	scratch_load_b128 v[246:249], off, off offset:408
	scratch_load_b128 v[250:253], off, off offset:424
	;; [unrolled: 1-line block ×3, first 2 shown]
	s_set_vgpr_msb 64                       ;  msbs: dst=1 src0=0 src1=0 src2=0
	scratch_load_b64 v[8:9] /*v[264:265]*/, off, off offset:456
	s_set_vgpr_msb 0                        ;  msbs: dst=0 src0=0 src1=0 src2=0
	v_fmac_f32_e32 v11, v127, v130
	s_wait_loadcnt_dscnt 0x40a
	s_set_vgpr_msb 64                       ;  msbs: dst=1 src0=0 src1=0 src2=0
	v_dual_mul_f32 v5 /*v261*/, v232, v237 :: v_dual_mul_f32 v7 /*v263*/, v238, v243
	s_set_vgpr_msb 0                        ;  msbs: dst=0 src0=0 src1=0 src2=0
	v_dual_add_f32 v9, v9, v11 :: v_dual_mul_f32 v11, v128, v133
	s_set_vgpr_msb 64                       ;  msbs: dst=1 src0=0 src1=0 src2=0
	s_delay_alu instid0(VALU_DEP_2) | instskip(SKIP_1) | instid1(VALU_DEP_2)
	v_fmac_f32_e32 v5 /*v261*/, v233, v236
	s_set_vgpr_msb 0                        ;  msbs: dst=0 src0=0 src1=0 src2=0
	v_fmac_f32_e32 v11, v129, v132
	s_delay_alu instid0(VALU_DEP_1) | instskip(SKIP_1) | instid1(VALU_DEP_1)
	v_add_f32_e32 v9, v9, v11
	v_mul_f32_e32 v11, v134, v139
	v_fmac_f32_e32 v11, v135, v138
	s_delay_alu instid0(VALU_DEP_1) | instskip(NEXT) | instid1(VALU_DEP_1)
	v_dual_add_f32 v9, v9, v11 :: v_dual_mul_f32 v11, v136, v141
	v_fmac_f32_e32 v11, v137, v140
	s_delay_alu instid0(VALU_DEP_1) | instskip(SKIP_1) | instid1(VALU_DEP_1)
	v_add_f32_e32 v9, v9, v11
	v_mul_f32_e32 v11, v142, v147
	v_fmac_f32_e32 v11, v143, v146
	s_delay_alu instid0(VALU_DEP_1) | instskip(NEXT) | instid1(VALU_DEP_1)
	v_dual_add_f32 v9, v9, v11 :: v_dual_mul_f32 v11, v144, v149
	v_fmac_f32_e32 v11, v145, v148
	s_delay_alu instid0(VALU_DEP_1) | instskip(SKIP_2) | instid1(VALU_DEP_1)
	v_add_f32_e32 v9, v9, v11
	s_wait_dscnt 0x9
	v_mul_f32_e32 v11, v150, v155
	v_fmac_f32_e32 v11, v151, v154
	s_delay_alu instid0(VALU_DEP_1) | instskip(NEXT) | instid1(VALU_DEP_1)
	v_dual_add_f32 v9, v9, v11 :: v_dual_mul_f32 v11, v152, v157
	v_fmac_f32_e32 v11, v153, v156
	s_delay_alu instid0(VALU_DEP_1) | instskip(SKIP_2) | instid1(VALU_DEP_1)
	v_add_f32_e32 v9, v9, v11
	s_wait_dscnt 0x8
	;; [unrolled: 8-line block ×10, first 2 shown]
	v_mul_f32_e32 v11, v222, v227
	v_fmac_f32_e32 v11, v223, v226
	s_delay_alu instid0(VALU_DEP_1) | instskip(NEXT) | instid1(VALU_DEP_1)
	v_dual_add_f32 v9, v9, v11 :: v_dual_mul_f32 v11, v224, v229
	v_fmac_f32_e32 v11, v225, v228
	s_delay_alu instid0(VALU_DEP_1) | instskip(SKIP_1) | instid1(VALU_DEP_1)
	v_add_f32_e32 v9, v9, v11
	v_mul_f32_e32 v11, v230, v235
	v_fmac_f32_e32 v11, v231, v234
	s_set_vgpr_msb 64                       ;  msbs: dst=1 src0=0 src1=0 src2=0
	s_delay_alu instid0(VALU_DEP_1) | instskip(SKIP_2) | instid1(VALU_DEP_1)
	v_add_f32_e32 v3 /*v259*/, v9, v11
	s_set_vgpr_msb 0                        ;  msbs: dst=0 src0=0 src1=0 src2=0
	v_dual_mul_f32 v9, v119, v123 :: v_dual_mul_f32 v11, v121, v125
	v_dual_fma_f32 v9, v118, v122, -v9 :: v_dual_fma_f32 v11, v120, v124, -v11
	s_delay_alu instid0(VALU_DEP_1) | instskip(NEXT) | instid1(VALU_DEP_1)
	v_add_f32_e32 v9, 0, v9
	v_add_f32_e32 v9, v9, v11
	v_mul_f32_e32 v11, v127, v131
	s_delay_alu instid0(VALU_DEP_1) | instskip(NEXT) | instid1(VALU_DEP_1)
	v_fma_f32 v11, v126, v130, -v11
	v_add_f32_e32 v9, v9, v11
	v_mul_f32_e32 v11, v129, v133
	s_delay_alu instid0(VALU_DEP_1)
	v_fma_f32 v11, v128, v132, -v11
	ds_load_2addr_b64 v[118:121], v7 offset0:109 offset1:110
	ds_load_2addr_b64 v[122:125], v7 offset0:111 offset1:112
	ds_load_2addr_b64 v[126:129], v7 offset0:113 offset1:114
	ds_load_b64 v[130:131], v7 offset:920
	v_add_f32_e32 v9, v9, v11
	v_dual_mul_f32 v11, v135, v139 :: v_dual_mov_b32 v135, v240
	s_delay_alu instid0(VALU_DEP_1) | instskip(NEXT) | instid1(VALU_DEP_1)
	v_dual_fma_f32 v11, v134, v138, -v11 :: v_dual_mov_b32 v134, v241
	v_add_f32_e32 v9, v9, v11
	v_mul_f32_e32 v11, v137, v141
	s_delay_alu instid0(VALU_DEP_1) | instskip(NEXT) | instid1(VALU_DEP_1)
	v_dual_fma_f32 v11, v136, v140, -v11 :: v_dual_mov_b32 v136, v245
	v_add_f32_e32 v9, v9, v11
	v_mul_f32_e32 v11, v143, v147
	s_delay_alu instid0(VALU_DEP_3) | instskip(NEXT) | instid1(VALU_DEP_2)
	v_pk_mul_f32 v[134:135], v[134:135], v[136:137] op_sel_hi:[1,0]
	v_fma_f32 v11, v142, v146, -v11
	s_delay_alu instid0(VALU_DEP_2) | instskip(SKIP_1) | instid1(VALU_DEP_3)
	v_pk_fma_f32 v[136:137], v[240:241], v[244:245], v[134:135] neg_lo:[0,0,1] neg_hi:[0,0,1]
	v_pk_fma_f32 v[134:135], v[240:241], v[244:245], v[134:135] op_sel_hi:[1,0,1]
	v_add_f32_e32 v9, v9, v11
	s_delay_alu instid0(VALU_DEP_2) | instskip(SKIP_2) | instid1(VALU_DEP_2)
	v_dual_mul_f32 v11, v145, v149 :: v_dual_mov_b32 v137, v135
	s_wait_loadcnt_dscnt 0x303
	v_pk_mul_f32 v[134:135], v[118:119], v[246:247] op_sel:[1,1] op_sel_hi:[0,1]
	v_fma_f32 v11, v144, v148, -v11
	s_delay_alu instid0(VALU_DEP_1) | instskip(SKIP_1) | instid1(VALU_DEP_1)
	v_add_f32_e32 v9, v9, v11
	v_mul_f32_e32 v11, v151, v155
	v_fma_f32 v11, v150, v154, -v11
	s_delay_alu instid0(VALU_DEP_1) | instskip(SKIP_1) | instid1(VALU_DEP_1)
	v_add_f32_e32 v9, v9, v11
	v_mul_f32_e32 v11, v153, v157
	;; [unrolled: 4-line block ×21, first 2 shown]
	v_fma_f32 v11, v230, v234, -v11
	s_set_vgpr_msb 64                       ;  msbs: dst=1 src0=0 src1=0 src2=0
	s_delay_alu instid0(VALU_DEP_1) | instskip(SKIP_3) | instid1(VALU_DEP_1)
	v_dual_fmac_f32 v7 /*v263*/, v239, v242 :: v_dual_add_f32 v2 /*v258*/, v9, v11
	s_set_vgpr_msb 0                        ;  msbs: dst=0 src0=0 src1=0 src2=0
	v_mul_f32_e32 v9, v233, v237
	s_set_vgpr_msb 64                       ;  msbs: dst=1 src0=0 src1=0 src2=0
	v_fma_f32 v4 /*v260*/, v232, v236, -v9
	s_set_vgpr_msb 0                        ;  msbs: dst=0 src0=0 src1=0 src2=0
	v_mul_f32_e32 v9, v239, v243
	s_set_vgpr_msb 64                       ;  msbs: dst=1 src0=0 src1=0 src2=0
	s_delay_alu instid0(VALU_DEP_1) | instskip(SKIP_3) | instid1(VALU_DEP_1)
	v_fma_f32 v6 /*v262*/, v238, v242, -v9
	s_set_vgpr_msb 5                        ;  msbs: dst=0 src0=1 src1=1 src2=0
	v_pk_add_f32 v[132:133], v[2:3] /*v[258:259]*/, v[4:5] /*v[260:261]*/
	s_set_vgpr_msb 4                        ;  msbs: dst=0 src0=0 src1=1 src2=0
	v_pk_add_f32 v[132:133], v[132:133], v[6:7] /*v[262:263]*/
	s_set_vgpr_msb 0                        ;  msbs: dst=0 src0=0 src1=0 src2=0
	s_delay_alu instid0(VALU_DEP_1) | instskip(SKIP_2) | instid1(VALU_DEP_1)
	v_pk_add_f32 v[132:133], v[132:133], v[136:137]
	v_pk_fma_f32 v[136:137], v[118:119], v[246:247], v[134:135] neg_lo:[0,0,1] neg_hi:[0,0,1]
	v_pk_fma_f32 v[118:119], v[118:119], v[246:247], v[134:135] op_sel_hi:[1,0,1]
	v_dual_mov_b32 v134, v249 :: v_dual_mov_b32 v137, v119
	s_delay_alu instid0(VALU_DEP_1) | instskip(SKIP_1) | instid1(VALU_DEP_1)
	v_pk_add_f32 v[118:119], v[132:133], v[136:137]
	v_dual_mov_b32 v132, v121 :: v_dual_mov_b32 v133, v120
	v_pk_mul_f32 v[132:133], v[132:133], v[134:135] op_sel_hi:[1,0]
	s_delay_alu instid0(VALU_DEP_1) | instskip(SKIP_1) | instid1(VALU_DEP_1)
	v_pk_fma_f32 v[134:135], v[120:121], v[248:249], v[132:133] neg_lo:[0,0,1] neg_hi:[0,0,1]
	v_pk_fma_f32 v[120:121], v[120:121], v[248:249], v[132:133] op_sel_hi:[1,0,1]
	v_mov_b32_e32 v135, v121
	s_wait_loadcnt_dscnt 0x202
	v_pk_mul_f32 v[120:121], v[122:123], v[250:251] op_sel:[1,1] op_sel_hi:[0,1]
	s_delay_alu instid0(VALU_DEP_2) | instskip(NEXT) | instid1(VALU_DEP_2)
	v_pk_add_f32 v[118:119], v[118:119], v[134:135]
	v_pk_fma_f32 v[132:133], v[122:123], v[250:251], v[120:121] neg_lo:[0,0,1] neg_hi:[0,0,1]
	v_pk_fma_f32 v[120:121], v[122:123], v[250:251], v[120:121] op_sel_hi:[1,0,1]
	v_dual_mov_b32 v120, v125 :: v_dual_mov_b32 v122, v253
	s_delay_alu instid0(VALU_DEP_2) | instskip(NEXT) | instid1(VALU_DEP_1)
	v_dual_mov_b32 v133, v121 :: v_dual_mov_b32 v121, v124
	v_pk_add_f32 v[118:119], v[118:119], v[132:133]
	s_delay_alu instid0(VALU_DEP_2) | instskip(NEXT) | instid1(VALU_DEP_1)
	v_pk_mul_f32 v[120:121], v[120:121], v[122:123] op_sel_hi:[1,0]
	v_pk_fma_f32 v[122:123], v[124:125], v[252:253], v[120:121] neg_lo:[0,0,1] neg_hi:[0,0,1]
	v_pk_fma_f32 v[120:121], v[124:125], v[252:253], v[120:121] op_sel_hi:[1,0,1]
	s_delay_alu instid0(VALU_DEP_1) | instskip(SKIP_2) | instid1(VALU_DEP_2)
	v_mov_b32_e32 v123, v121
	s_wait_loadcnt_dscnt 0x101
	v_pk_mul_f32 v[120:121], v[126:127], v[254:255] op_sel:[1,1] op_sel_hi:[0,1]
	v_pk_add_f32 v[118:119], v[118:119], v[122:123]
	s_delay_alu instid0(VALU_DEP_2) | instskip(SKIP_1) | instid1(VALU_DEP_1)
	v_pk_fma_f32 v[122:123], v[126:127], v[254:255], v[120:121] neg_lo:[0,0,1] neg_hi:[0,0,1]
	v_pk_fma_f32 v[120:121], v[126:127], v[254:255], v[120:121] op_sel_hi:[1,0,1]
	v_dual_mov_b32 v120, v129 :: v_dual_mov_b32 v123, v121
	v_mov_b32_e32 v121, v128
	s_delay_alu instid0(VALU_DEP_2) | instskip(SKIP_3) | instid1(VALU_DEP_1)
	v_pk_add_f32 v[118:119], v[118:119], v[122:123]
	s_set_vgpr_msb 1                        ;  msbs: dst=0 src0=1 src1=0 src2=0
	v_mov_b32_e32 v122, v1 /*v257*/
	s_set_vgpr_msb 0                        ;  msbs: dst=0 src0=0 src1=0 src2=0
	v_pk_mul_f32 v[120:121], v[120:121], v[122:123] op_sel_hi:[1,0]
	s_set_vgpr_msb 4                        ;  msbs: dst=0 src0=0 src1=1 src2=0
	s_delay_alu instid0(VALU_DEP_1) | instskip(SKIP_1) | instid1(VALU_DEP_1)
	v_pk_fma_f32 v[122:123], v[128:129], v[0:1] /*v[256:257]*/, v[120:121] neg_lo:[0,0,1] neg_hi:[0,0,1]
	v_pk_fma_f32 v[120:121], v[128:129], v[0:1] /*v[256:257]*/, v[120:121] op_sel_hi:[1,0,1]
	v_mov_b32_e32 v123, v121
	s_wait_loadcnt_dscnt 0x0
	v_pk_mul_f32 v[120:121], v[130:131], v[8:9] /*v[264:265]*/ op_sel:[1,1] op_sel_hi:[0,1]
	s_set_vgpr_msb 0                        ;  msbs: dst=0 src0=0 src1=0 src2=0
	s_delay_alu instid0(VALU_DEP_2) | instskip(SKIP_1) | instid1(VALU_DEP_2)
	v_pk_add_f32 v[118:119], v[118:119], v[122:123]
	s_set_vgpr_msb 4                        ;  msbs: dst=0 src0=0 src1=1 src2=0
	v_pk_fma_f32 v[122:123], v[130:131], v[8:9] /*v[264:265]*/, v[120:121] neg_lo:[0,0,1] neg_hi:[0,0,1]
	v_pk_fma_f32 v[120:121], v[130:131], v[8:9] /*v[264:265]*/, v[120:121] op_sel_hi:[1,0,1]
	s_delay_alu instid0(VALU_DEP_1) | instskip(SKIP_4) | instid1(VALU_DEP_1)
	v_mov_b32_e32 v123, v121
	scratch_load_b64 v[120:121], off, off offset:144
	s_set_vgpr_msb 0                        ;  msbs: dst=0 src0=0 src1=0 src2=0
	v_pk_add_f32 v[118:119], v[118:119], v[122:123]
	s_wait_loadcnt 0x0
	v_pk_add_f32 v[118:119], v[120:121], v[118:119] neg_lo:[0,1] neg_hi:[0,1]
	scratch_store_b64 off, v[118:119], off offset:144
	s_wait_xcnt 0x0
	v_cmpx_lt_u32_e32 17, v0
	s_cbranch_execz .LBB121_327
; %bb.326:
	scratch_load_b64 v[118:119], off, off offset:136
	v_mov_b64_e32 v[120:121], 0
	scratch_store_b64 off, v[120:121], off offset:136
	s_wait_loadcnt 0x0
	ds_store_b64 v1, v[118:119]
.LBB121_327:
	s_wait_xcnt 0x0
	s_or_b32 exec_lo, exec_lo, s0
	s_wait_storecnt_dscnt 0x0
	s_barrier_signal -1
	s_barrier_wait -1
	ds_load_b128 v[118:121], v7 offset:608
	ds_load_b128 v[122:125], v7 offset:624
	;; [unrolled: 1-line block ×4, first 2 shown]
	s_clause 0xf
	scratch_load_b128 v[134:137], off, off offset:144
	scratch_load_b128 v[138:141], off, off offset:160
	;; [unrolled: 1-line block ×16, first 2 shown]
	ds_load_b128 v[150:153], v7 offset:672
	ds_load_b128 v[158:161], v7 offset:688
	ds_load_b128 v[230:233], v7 offset:832
	ds_load_b128 v[238:241], v7 offset:848
	ds_load_b128 v[166:169], v7 offset:704
	ds_load_b128 v[174:177], v7 offset:720
	ds_load_b128 v[182:185], v7 offset:736
	ds_load_b128 v[190:193], v7 offset:752
	ds_load_b128 v[198:201], v7 offset:768
	ds_load_b128 v[206:209], v7 offset:784
	ds_load_b128 v[214:217], v7 offset:800
	ds_load_b128 v[222:225], v7 offset:816
	s_clause 0x4
	scratch_load_b128 v[246:249], off, off offset:400
	scratch_load_b128 v[250:253], off, off offset:416
	;; [unrolled: 1-line block ×3, first 2 shown]
	s_set_vgpr_msb 64                       ;  msbs: dst=1 src0=0 src1=0 src2=0
	scratch_load_b128 v[2:5] /*v[258:261]*/, off, off offset:448
	s_mov_b32 s0, exec_lo
	s_wait_loadcnt_dscnt 0x130f
	s_set_vgpr_msb 0                        ;  msbs: dst=0 src0=0 src1=0 src2=0
	v_dual_mul_f32 v9, v118, v135 :: v_dual_mul_f32 v11, v120, v137
	s_delay_alu instid0(VALU_DEP_1) | instskip(NEXT) | instid1(VALU_DEP_1)
	v_dual_fmac_f32 v9, v119, v134 :: v_dual_fmac_f32 v11, v121, v136
	v_add_f32_e32 v9, 0, v9
	s_delay_alu instid0(VALU_DEP_1)
	v_add_f32_e32 v9, v9, v11
	s_wait_loadcnt_dscnt 0x120e
	v_mul_f32_e32 v11, v122, v139
	s_wait_loadcnt_dscnt 0x408
	s_set_vgpr_msb 64                       ;  msbs: dst=1 src0=0 src1=0 src2=0
	v_dual_mul_f32 v9 /*v265*/, v238, v243 :: v_dual_mul_f32 v11 /*v267*/, v240, v245
	s_set_vgpr_msb 0                        ;  msbs: dst=0 src0=0 src1=0 src2=0
	v_fmac_f32_e32 v11, v123, v138
	s_set_vgpr_msb 64                       ;  msbs: dst=1 src0=0 src1=0 src2=0
	s_delay_alu instid0(VALU_DEP_2) | instskip(SKIP_1) | instid1(VALU_DEP_2)
	v_dual_fmac_f32 v9 /*v265*/, v239, v242 :: v_dual_fmac_f32 v11 /*v267*/, v241, v244
	s_set_vgpr_msb 0                        ;  msbs: dst=0 src0=0 src1=0 src2=0
	v_dual_add_f32 v9, v9, v11 :: v_dual_mul_f32 v11, v124, v141
	s_delay_alu instid0(VALU_DEP_1) | instskip(NEXT) | instid1(VALU_DEP_1)
	v_fmac_f32_e32 v11, v125, v140
	v_add_f32_e32 v9, v9, v11
	v_mul_f32_e32 v11, v126, v143
	s_delay_alu instid0(VALU_DEP_1) | instskip(NEXT) | instid1(VALU_DEP_1)
	v_fmac_f32_e32 v11, v127, v142
	v_dual_add_f32 v9, v9, v11 :: v_dual_mul_f32 v11, v128, v145
	s_delay_alu instid0(VALU_DEP_1) | instskip(NEXT) | instid1(VALU_DEP_1)
	v_fmac_f32_e32 v11, v129, v144
	v_add_f32_e32 v9, v9, v11
	v_mul_f32_e32 v11, v130, v147
	s_delay_alu instid0(VALU_DEP_1) | instskip(NEXT) | instid1(VALU_DEP_1)
	v_fmac_f32_e32 v11, v131, v146
	;; [unrolled: 7-line block ×4, first 2 shown]
	v_dual_add_f32 v9, v9, v11 :: v_dual_mul_f32 v11, v160, v165
	s_delay_alu instid0(VALU_DEP_1) | instskip(NEXT) | instid1(VALU_DEP_1)
	v_fmac_f32_e32 v11, v161, v164
	v_add_f32_e32 v9, v9, v11
	s_wait_dscnt 0x7
	v_mul_f32_e32 v11, v166, v171
	s_delay_alu instid0(VALU_DEP_1) | instskip(NEXT) | instid1(VALU_DEP_1)
	v_fmac_f32_e32 v11, v167, v170
	v_dual_add_f32 v9, v9, v11 :: v_dual_mul_f32 v11, v168, v173
	s_delay_alu instid0(VALU_DEP_1) | instskip(NEXT) | instid1(VALU_DEP_1)
	v_fmac_f32_e32 v11, v169, v172
	v_add_f32_e32 v9, v9, v11
	s_wait_dscnt 0x6
	v_mul_f32_e32 v11, v174, v179
	s_delay_alu instid0(VALU_DEP_1) | instskip(NEXT) | instid1(VALU_DEP_1)
	v_fmac_f32_e32 v11, v175, v178
	;; [unrolled: 8-line block ×8, first 2 shown]
	v_dual_add_f32 v9, v9, v11 :: v_dual_mul_f32 v11, v224, v229
	s_delay_alu instid0(VALU_DEP_1) | instskip(NEXT) | instid1(VALU_DEP_1)
	v_fmac_f32_e32 v11, v225, v228
	v_add_f32_e32 v9, v9, v11
	v_mul_f32_e32 v11, v230, v235
	s_delay_alu instid0(VALU_DEP_1) | instskip(NEXT) | instid1(VALU_DEP_1)
	v_fmac_f32_e32 v11, v231, v234
	v_dual_add_f32 v9, v9, v11 :: v_dual_mul_f32 v11, v232, v237
	s_delay_alu instid0(VALU_DEP_1) | instskip(SKIP_1) | instid1(VALU_DEP_1)
	v_fmac_f32_e32 v11, v233, v236
	s_set_vgpr_msb 64                       ;  msbs: dst=1 src0=0 src1=0 src2=0
	v_add_f32_e32 v7 /*v263*/, v9, v11
	s_set_vgpr_msb 0                        ;  msbs: dst=0 src0=0 src1=0 src2=0
	v_dual_mul_f32 v9, v119, v135 :: v_dual_mul_f32 v11, v121, v137
	s_delay_alu instid0(VALU_DEP_1) | instskip(NEXT) | instid1(VALU_DEP_1)
	v_dual_fma_f32 v9, v118, v134, -v9 :: v_dual_fma_f32 v11, v120, v136, -v11
	v_add_f32_e32 v9, 0, v9
	s_delay_alu instid0(VALU_DEP_1) | instskip(SKIP_1) | instid1(VALU_DEP_1)
	v_add_f32_e32 v9, v9, v11
	v_mul_f32_e32 v11, v123, v139
	v_fma_f32 v11, v122, v138, -v11
	s_delay_alu instid0(VALU_DEP_1) | instskip(SKIP_1) | instid1(VALU_DEP_1)
	v_add_f32_e32 v9, v9, v11
	v_mul_f32_e32 v11, v125, v141
	v_fma_f32 v11, v124, v140, -v11
	;; [unrolled: 4-line block ×6, first 2 shown]
	ds_load_b128 v[118:121], v7 offset:864
	ds_load_b128 v[122:125], v7 offset:880
	;; [unrolled: 1-line block ×4, first 2 shown]
	v_add_f32_e32 v9, v9, v11
	v_mul_f32_e32 v11, v151, v155
	s_delay_alu instid0(VALU_DEP_1) | instskip(NEXT) | instid1(VALU_DEP_1)
	v_fma_f32 v11, v150, v154, -v11
	v_add_f32_e32 v9, v9, v11
	v_mul_f32_e32 v11, v153, v157
	s_wait_loadcnt_dscnt 0x303
	v_pk_mul_f32 v[136:137], v[118:119], v[246:247] op_sel:[1,1] op_sel_hi:[0,1]
	s_delay_alu instid0(VALU_DEP_2) | instskip(NEXT) | instid1(VALU_DEP_2)
	v_fma_f32 v11, v152, v156, -v11
	v_pk_fma_f32 v[138:139], v[118:119], v[246:247], v[136:137] neg_lo:[0,0,1] neg_hi:[0,0,1]
	v_pk_fma_f32 v[118:119], v[118:119], v[246:247], v[136:137] op_sel_hi:[1,0,1]
	v_mov_b32_e32 v136, v249
	s_delay_alu instid0(VALU_DEP_4) | instskip(SKIP_1) | instid1(VALU_DEP_1)
	v_add_f32_e32 v9, v9, v11
	v_mul_f32_e32 v11, v159, v163
	v_dual_mov_b32 v139, v119 :: v_dual_fma_f32 v11, v158, v162, -v11
	s_delay_alu instid0(VALU_DEP_1) | instskip(SKIP_1) | instid1(VALU_DEP_1)
	v_add_f32_e32 v9, v9, v11
	v_mul_f32_e32 v11, v161, v165
	v_fma_f32 v11, v160, v164, -v11
	s_delay_alu instid0(VALU_DEP_1) | instskip(SKIP_1) | instid1(VALU_DEP_1)
	v_add_f32_e32 v9, v9, v11
	v_mul_f32_e32 v11, v167, v171
	v_fma_f32 v11, v166, v170, -v11
	;; [unrolled: 4-line block ×19, first 2 shown]
	s_set_vgpr_msb 64                       ;  msbs: dst=1 src0=0 src1=0 src2=0
	s_delay_alu instid0(VALU_DEP_1) | instskip(SKIP_3) | instid1(VALU_DEP_1)
	v_add_f32_e32 v6 /*v262*/, v9, v11
	s_set_vgpr_msb 0                        ;  msbs: dst=0 src0=0 src1=0 src2=0
	v_mul_f32_e32 v9, v239, v243
	s_set_vgpr_msb 64                       ;  msbs: dst=1 src0=0 src1=0 src2=0
	v_fma_f32 v8 /*v264*/, v238, v242, -v9
	s_set_vgpr_msb 0                        ;  msbs: dst=0 src0=0 src1=0 src2=0
	v_mul_f32_e32 v9, v241, v245
	s_set_vgpr_msb 5                        ;  msbs: dst=0 src0=1 src1=1 src2=0
	s_delay_alu instid0(VALU_DEP_2) | instskip(SKIP_1) | instid1(VALU_DEP_2)
	v_pk_add_f32 v[134:135], v[6:7] /*v[262:263]*/, v[8:9] /*v[264:265]*/
	s_set_vgpr_msb 64                       ;  msbs: dst=1 src0=0 src1=0 src2=0
	v_fma_f32 v10 /*v266*/, v240, v244, -v9
	s_set_vgpr_msb 4                        ;  msbs: dst=0 src0=0 src1=1 src2=0
	s_delay_alu instid0(VALU_DEP_1) | instskip(SKIP_1) | instid1(VALU_DEP_1)
	v_pk_add_f32 v[134:135], v[134:135], v[10:11] /*v[266:267]*/
	s_set_vgpr_msb 0                        ;  msbs: dst=0 src0=0 src1=0 src2=0
	v_pk_add_f32 v[118:119], v[134:135], v[138:139]
	v_dual_mov_b32 v134, v121 :: v_dual_mov_b32 v135, v120
	s_delay_alu instid0(VALU_DEP_1) | instskip(NEXT) | instid1(VALU_DEP_1)
	v_pk_mul_f32 v[134:135], v[134:135], v[136:137] op_sel_hi:[1,0]
	v_pk_fma_f32 v[136:137], v[120:121], v[248:249], v[134:135] neg_lo:[0,0,1] neg_hi:[0,0,1]
	v_pk_fma_f32 v[120:121], v[120:121], v[248:249], v[134:135] op_sel_hi:[1,0,1]
	s_delay_alu instid0(VALU_DEP_1) | instskip(SKIP_2) | instid1(VALU_DEP_2)
	v_mov_b32_e32 v137, v121
	s_wait_loadcnt_dscnt 0x202
	v_pk_mul_f32 v[120:121], v[122:123], v[250:251] op_sel:[1,1] op_sel_hi:[0,1]
	v_pk_add_f32 v[118:119], v[118:119], v[136:137]
	s_delay_alu instid0(VALU_DEP_2) | instskip(SKIP_2) | instid1(VALU_DEP_2)
	v_pk_fma_f32 v[134:135], v[122:123], v[250:251], v[120:121] neg_lo:[0,0,1] neg_hi:[0,0,1]
	v_pk_fma_f32 v[120:121], v[122:123], v[250:251], v[120:121] op_sel_hi:[1,0,1]
	v_dual_mov_b32 v120, v125 :: v_dual_mov_b32 v122, v253
	v_dual_mov_b32 v135, v121 :: v_dual_mov_b32 v121, v124
	s_delay_alu instid0(VALU_DEP_1) | instskip(NEXT) | instid1(VALU_DEP_2)
	v_pk_add_f32 v[118:119], v[118:119], v[134:135]
	v_pk_mul_f32 v[120:121], v[120:121], v[122:123] op_sel_hi:[1,0]
	s_delay_alu instid0(VALU_DEP_1) | instskip(SKIP_1) | instid1(VALU_DEP_1)
	v_pk_fma_f32 v[122:123], v[124:125], v[252:253], v[120:121] neg_lo:[0,0,1] neg_hi:[0,0,1]
	v_pk_fma_f32 v[120:121], v[124:125], v[252:253], v[120:121] op_sel_hi:[1,0,1]
	v_mov_b32_e32 v123, v121
	s_wait_loadcnt_dscnt 0x101
	v_pk_mul_f32 v[120:121], v[126:127], v[254:255] op_sel:[1,1] op_sel_hi:[0,1]
	s_delay_alu instid0(VALU_DEP_2) | instskip(NEXT) | instid1(VALU_DEP_2)
	v_pk_add_f32 v[118:119], v[118:119], v[122:123]
	v_pk_fma_f32 v[122:123], v[126:127], v[254:255], v[120:121] neg_lo:[0,0,1] neg_hi:[0,0,1]
	v_pk_fma_f32 v[120:121], v[126:127], v[254:255], v[120:121] op_sel_hi:[1,0,1]
	s_delay_alu instid0(VALU_DEP_1) | instskip(SKIP_1) | instid1(VALU_DEP_2)
	v_dual_mov_b32 v120, v129 :: v_dual_mov_b32 v123, v121
	v_mov_b32_e32 v121, v128
	v_pk_add_f32 v[118:119], v[118:119], v[122:123]
	s_set_vgpr_msb 1                        ;  msbs: dst=0 src0=1 src1=0 src2=0
	v_mov_b32_e32 v122, v1 /*v257*/
	s_set_vgpr_msb 0                        ;  msbs: dst=0 src0=0 src1=0 src2=0
	s_delay_alu instid0(VALU_DEP_1) | instskip(SKIP_1) | instid1(VALU_DEP_1)
	v_pk_mul_f32 v[120:121], v[120:121], v[122:123] op_sel_hi:[1,0]
	s_set_vgpr_msb 4                        ;  msbs: dst=0 src0=0 src1=1 src2=0
	v_pk_fma_f32 v[122:123], v[128:129], v[0:1] /*v[256:257]*/, v[120:121] neg_lo:[0,0,1] neg_hi:[0,0,1]
	v_pk_fma_f32 v[120:121], v[128:129], v[0:1] /*v[256:257]*/, v[120:121] op_sel_hi:[1,0,1]
	s_delay_alu instid0(VALU_DEP_1) | instskip(SKIP_3) | instid1(VALU_DEP_2)
	v_mov_b32_e32 v123, v121
	s_wait_loadcnt_dscnt 0x0
	v_pk_mul_f32 v[120:121], v[130:131], v[2:3] /*v[258:259]*/ op_sel:[1,1] op_sel_hi:[0,1]
	s_set_vgpr_msb 0                        ;  msbs: dst=0 src0=0 src1=0 src2=0
	v_pk_add_f32 v[118:119], v[118:119], v[122:123]
	s_set_vgpr_msb 4                        ;  msbs: dst=0 src0=0 src1=1 src2=0
	s_delay_alu instid0(VALU_DEP_2) | instskip(SKIP_1) | instid1(VALU_DEP_1)
	v_pk_fma_f32 v[122:123], v[130:131], v[2:3] /*v[258:259]*/, v[120:121] neg_lo:[0,0,1] neg_hi:[0,0,1]
	v_pk_fma_f32 v[120:121], v[130:131], v[2:3] /*v[258:259]*/, v[120:121] op_sel_hi:[1,0,1]
	v_dual_mov_b32 v120, v133 :: v_dual_mov_b32 v123, v121
	v_mov_b32_e32 v121, v132
	s_set_vgpr_msb 0                        ;  msbs: dst=0 src0=0 src1=0 src2=0
	s_delay_alu instid0(VALU_DEP_2) | instskip(SKIP_3) | instid1(VALU_DEP_1)
	v_pk_add_f32 v[118:119], v[118:119], v[122:123]
	s_set_vgpr_msb 1                        ;  msbs: dst=0 src0=1 src1=0 src2=0
	v_mov_b32_e32 v122, v5 /*v261*/
	s_set_vgpr_msb 0                        ;  msbs: dst=0 src0=0 src1=0 src2=0
	v_pk_mul_f32 v[120:121], v[120:121], v[122:123] op_sel_hi:[1,0]
	s_set_vgpr_msb 4                        ;  msbs: dst=0 src0=0 src1=1 src2=0
	s_delay_alu instid0(VALU_DEP_1) | instskip(SKIP_1) | instid1(VALU_DEP_1)
	v_pk_fma_f32 v[122:123], v[132:133], v[4:5] /*v[260:261]*/, v[120:121] neg_lo:[0,0,1] neg_hi:[0,0,1]
	v_pk_fma_f32 v[120:121], v[132:133], v[4:5] /*v[260:261]*/, v[120:121] op_sel_hi:[1,0,1]
	v_mov_b32_e32 v123, v121
	scratch_load_b64 v[120:121], off, off offset:136
	s_set_vgpr_msb 0                        ;  msbs: dst=0 src0=0 src1=0 src2=0
	v_pk_add_f32 v[118:119], v[118:119], v[122:123]
	s_wait_loadcnt 0x0
	s_delay_alu instid0(VALU_DEP_1)
	v_pk_add_f32 v[118:119], v[120:121], v[118:119] neg_lo:[0,1] neg_hi:[0,1]
	scratch_store_b64 off, v[118:119], off offset:136
	s_wait_xcnt 0x0
	v_cmpx_lt_u32_e32 16, v0
	s_cbranch_execz .LBB121_329
; %bb.328:
	scratch_load_b64 v[118:119], off, off offset:128
	v_mov_b64_e32 v[120:121], 0
	scratch_store_b64 off, v[120:121], off offset:128
	s_wait_loadcnt 0x0
	ds_store_b64 v1, v[118:119]
.LBB121_329:
	s_wait_xcnt 0x0
	s_or_b32 exec_lo, exec_lo, s0
	s_wait_storecnt_dscnt 0x0
	s_barrier_signal -1
	s_barrier_wait -1
	s_clause 0xf
	scratch_load_b128 v[122:125], off, off offset:136
	scratch_load_b128 v[130:133], off, off offset:152
	;; [unrolled: 1-line block ×16, first 2 shown]
	v_mov_b32_e32 v7, 0
	scratch_load_b128 v[250:253], off, off offset:392
	s_mov_b32 s0, exec_lo
	ds_load_2addr_b64 v[118:121], v7 offset0:75 offset1:76
	ds_load_2addr_b64 v[126:129], v7 offset0:77 offset1:78
	s_wait_loadcnt_dscnt 0x1001
	v_dual_mul_f32 v9, v118, v123 :: v_dual_mul_f32 v11, v120, v125
	ds_load_2addr_b64 v[134:137], v7 offset0:79 offset1:80
	ds_load_2addr_b64 v[142:145], v7 offset0:81 offset1:82
	;; [unrolled: 1-line block ×4, first 2 shown]
	v_dual_fmac_f32 v9, v119, v122 :: v_dual_fmac_f32 v11, v121, v124
	ds_load_2addr_b64 v[150:153], v7 offset0:83 offset1:84
	ds_load_2addr_b64 v[158:161], v7 offset0:85 offset1:86
	ds_load_2addr_b64 v[246:249], v7 offset0:107 offset1:108
	v_add_f32_e32 v9, 0, v9
	ds_load_2addr_b64 v[166:169], v7 offset0:87 offset1:88
	ds_load_2addr_b64 v[174:177], v7 offset0:89 offset1:90
	;; [unrolled: 1-line block ×4, first 2 shown]
	v_add_f32_e32 v9, v9, v11
	s_wait_loadcnt_dscnt 0xf0b
	v_mul_f32_e32 v11, v126, v131
	ds_load_2addr_b64 v[198:201], v7 offset0:95 offset1:96
	ds_load_2addr_b64 v[206:209], v7 offset0:97 offset1:98
	;; [unrolled: 1-line block ×4, first 2 shown]
	v_fmac_f32_e32 v11, v127, v130
	s_clause 0x4
	scratch_load_b128 v[254:257], off, off offset:408
	s_set_vgpr_msb 64                       ;  msbs: dst=1 src0=0 src1=0 src2=0
	scratch_load_b128 v[2:5] /*v[258:261]*/, off, off offset:424
	scratch_load_b128 v[6:9] /*v[262:265]*/, off, off offset:440
	scratch_load_b64 v[16:17] /*v[272:273]*/, off, off offset:456
	s_wait_loadcnt_dscnt 0x50b
	v_mul_f32_e32 v13 /*v269*/, v240, v245
	s_set_vgpr_msb 0                        ;  msbs: dst=0 src0=0 src1=0 src2=0
	v_dual_add_f32 v9, v9, v11 :: v_dual_mul_f32 v11, v128, v133
	s_wait_loadcnt_dscnt 0x408
	s_set_vgpr_msb 64                       ;  msbs: dst=1 src0=0 src1=0 src2=0
	v_dual_fmac_f32 v13 /*v269*/, v241, v244 :: v_dual_mul_f32 v15 /*v271*/, v246, v251
	s_set_vgpr_msb 0                        ;  msbs: dst=0 src0=0 src1=0 src2=0
	v_fmac_f32_e32 v11, v129, v132
	s_delay_alu instid0(VALU_DEP_1) | instskip(SKIP_1) | instid1(VALU_DEP_1)
	v_add_f32_e32 v9, v9, v11
	v_mul_f32_e32 v11, v134, v139
	v_fmac_f32_e32 v11, v135, v138
	s_delay_alu instid0(VALU_DEP_1) | instskip(NEXT) | instid1(VALU_DEP_1)
	v_dual_add_f32 v9, v9, v11 :: v_dual_mul_f32 v11, v136, v141
	v_fmac_f32_e32 v11, v137, v140
	s_delay_alu instid0(VALU_DEP_1) | instskip(SKIP_1) | instid1(VALU_DEP_1)
	v_add_f32_e32 v9, v9, v11
	v_mul_f32_e32 v11, v142, v147
	v_fmac_f32_e32 v11, v143, v146
	s_delay_alu instid0(VALU_DEP_1) | instskip(NEXT) | instid1(VALU_DEP_1)
	v_dual_add_f32 v9, v9, v11 :: v_dual_mul_f32 v11, v144, v149
	;; [unrolled: 7-line block ×4, first 2 shown]
	v_fmac_f32_e32 v11, v161, v164
	s_delay_alu instid0(VALU_DEP_1) | instskip(SKIP_2) | instid1(VALU_DEP_1)
	v_add_f32_e32 v9, v9, v11
	s_wait_dscnt 0x7
	v_mul_f32_e32 v11, v166, v171
	v_fmac_f32_e32 v11, v167, v170
	s_delay_alu instid0(VALU_DEP_1) | instskip(NEXT) | instid1(VALU_DEP_1)
	v_dual_add_f32 v9, v9, v11 :: v_dual_mul_f32 v11, v168, v173
	v_fmac_f32_e32 v11, v169, v172
	s_delay_alu instid0(VALU_DEP_1) | instskip(SKIP_2) | instid1(VALU_DEP_1)
	v_add_f32_e32 v9, v9, v11
	s_wait_dscnt 0x6
	v_mul_f32_e32 v11, v174, v179
	v_fmac_f32_e32 v11, v175, v178
	s_delay_alu instid0(VALU_DEP_1) | instskip(NEXT) | instid1(VALU_DEP_1)
	v_dual_add_f32 v9, v9, v11 :: v_dual_mul_f32 v11, v176, v181
	;; [unrolled: 8-line block ×8, first 2 shown]
	v_fmac_f32_e32 v11, v225, v228
	s_delay_alu instid0(VALU_DEP_1) | instskip(SKIP_1) | instid1(VALU_DEP_1)
	v_add_f32_e32 v9, v9, v11
	v_mul_f32_e32 v11, v230, v235
	v_fmac_f32_e32 v11, v231, v234
	s_delay_alu instid0(VALU_DEP_1) | instskip(NEXT) | instid1(VALU_DEP_1)
	v_dual_add_f32 v9, v9, v11 :: v_dual_mul_f32 v11, v232, v237
	v_fmac_f32_e32 v11, v233, v236
	s_delay_alu instid0(VALU_DEP_1) | instskip(SKIP_1) | instid1(VALU_DEP_1)
	v_add_f32_e32 v9, v9, v11
	v_mul_f32_e32 v11, v238, v243
	v_fmac_f32_e32 v11, v239, v242
	s_set_vgpr_msb 64                       ;  msbs: dst=1 src0=0 src1=0 src2=0
	s_delay_alu instid0(VALU_DEP_1) | instskip(SKIP_2) | instid1(VALU_DEP_1)
	v_add_f32_e32 v11 /*v267*/, v9, v11
	s_set_vgpr_msb 0                        ;  msbs: dst=0 src0=0 src1=0 src2=0
	v_dual_mul_f32 v9, v119, v123 :: v_dual_mul_f32 v11, v121, v125
	v_dual_fma_f32 v9, v118, v122, -v9 :: v_dual_fma_f32 v11, v120, v124, -v11
	s_delay_alu instid0(VALU_DEP_1) | instskip(NEXT) | instid1(VALU_DEP_1)
	v_add_f32_e32 v9, 0, v9
	v_add_f32_e32 v9, v9, v11
	v_mul_f32_e32 v11, v127, v131
	s_delay_alu instid0(VALU_DEP_1) | instskip(NEXT) | instid1(VALU_DEP_1)
	v_fma_f32 v11, v126, v130, -v11
	v_add_f32_e32 v9, v9, v11
	v_mul_f32_e32 v11, v129, v133
	s_delay_alu instid0(VALU_DEP_1)
	v_fma_f32 v11, v128, v132, -v11
	ds_load_2addr_b64 v[118:121], v7 offset0:109 offset1:110
	ds_load_2addr_b64 v[122:125], v7 offset0:111 offset1:112
	;; [unrolled: 1-line block ×3, first 2 shown]
	ds_load_b64 v[130:131], v7 offset:920
	v_add_f32_e32 v9, v9, v11
	v_dual_mul_f32 v11, v135, v139 :: v_dual_mov_b32 v135, v248
	s_delay_alu instid0(VALU_DEP_1) | instskip(NEXT) | instid1(VALU_DEP_1)
	v_dual_fma_f32 v11, v134, v138, -v11 :: v_dual_mov_b32 v134, v249
	v_add_f32_e32 v9, v9, v11
	v_mul_f32_e32 v11, v137, v141
	s_delay_alu instid0(VALU_DEP_1) | instskip(NEXT) | instid1(VALU_DEP_1)
	v_dual_fma_f32 v11, v136, v140, -v11 :: v_dual_mov_b32 v136, v253
	v_add_f32_e32 v9, v9, v11
	v_mul_f32_e32 v11, v143, v147
	s_delay_alu instid0(VALU_DEP_3) | instskip(NEXT) | instid1(VALU_DEP_2)
	v_pk_mul_f32 v[134:135], v[134:135], v[136:137] op_sel_hi:[1,0]
	v_fma_f32 v11, v142, v146, -v11
	s_delay_alu instid0(VALU_DEP_2) | instskip(SKIP_1) | instid1(VALU_DEP_3)
	v_pk_fma_f32 v[136:137], v[248:249], v[252:253], v[134:135] neg_lo:[0,0,1] neg_hi:[0,0,1]
	v_pk_fma_f32 v[134:135], v[248:249], v[252:253], v[134:135] op_sel_hi:[1,0,1]
	v_add_f32_e32 v9, v9, v11
	s_delay_alu instid0(VALU_DEP_2) | instskip(SKIP_2) | instid1(VALU_DEP_2)
	v_dual_mul_f32 v11, v145, v149 :: v_dual_mov_b32 v137, v135
	s_wait_loadcnt_dscnt 0x303
	v_pk_mul_f32 v[134:135], v[118:119], v[254:255] op_sel:[1,1] op_sel_hi:[0,1]
	v_fma_f32 v11, v144, v148, -v11
	s_delay_alu instid0(VALU_DEP_1) | instskip(SKIP_1) | instid1(VALU_DEP_1)
	v_add_f32_e32 v9, v9, v11
	v_mul_f32_e32 v11, v151, v155
	v_fma_f32 v11, v150, v154, -v11
	s_delay_alu instid0(VALU_DEP_1) | instskip(SKIP_1) | instid1(VALU_DEP_1)
	v_add_f32_e32 v9, v9, v11
	v_mul_f32_e32 v11, v153, v157
	;; [unrolled: 4-line block ×23, first 2 shown]
	v_fma_f32 v11, v238, v242, -v11
	s_set_vgpr_msb 64                       ;  msbs: dst=1 src0=0 src1=0 src2=0
	s_delay_alu instid0(VALU_DEP_1) | instskip(SKIP_3) | instid1(VALU_DEP_1)
	v_dual_fmac_f32 v15 /*v271*/, v247, v250 :: v_dual_add_f32 v10 /*v266*/, v9, v11
	s_set_vgpr_msb 0                        ;  msbs: dst=0 src0=0 src1=0 src2=0
	v_mul_f32_e32 v9, v241, v245
	s_set_vgpr_msb 64                       ;  msbs: dst=1 src0=0 src1=0 src2=0
	v_fma_f32 v12 /*v268*/, v240, v244, -v9
	s_set_vgpr_msb 0                        ;  msbs: dst=0 src0=0 src1=0 src2=0
	v_mul_f32_e32 v9, v247, v251
	s_set_vgpr_msb 64                       ;  msbs: dst=1 src0=0 src1=0 src2=0
	s_delay_alu instid0(VALU_DEP_1) | instskip(SKIP_3) | instid1(VALU_DEP_1)
	v_fma_f32 v14 /*v270*/, v246, v250, -v9
	s_set_vgpr_msb 5                        ;  msbs: dst=0 src0=1 src1=1 src2=0
	v_pk_add_f32 v[132:133], v[10:11] /*v[266:267]*/, v[12:13] /*v[268:269]*/
	s_set_vgpr_msb 4                        ;  msbs: dst=0 src0=0 src1=1 src2=0
	v_pk_add_f32 v[132:133], v[132:133], v[14:15] /*v[270:271]*/
	s_set_vgpr_msb 0                        ;  msbs: dst=0 src0=0 src1=0 src2=0
	s_delay_alu instid0(VALU_DEP_1)
	v_pk_add_f32 v[132:133], v[132:133], v[136:137]
	v_pk_fma_f32 v[136:137], v[118:119], v[254:255], v[134:135] neg_lo:[0,0,1] neg_hi:[0,0,1]
	v_pk_fma_f32 v[118:119], v[118:119], v[254:255], v[134:135] op_sel_hi:[1,0,1]
	s_set_vgpr_msb 1                        ;  msbs: dst=0 src0=1 src1=0 src2=0
	v_mov_b32_e32 v134, v1 /*v257*/
	s_set_vgpr_msb 0                        ;  msbs: dst=0 src0=0 src1=0 src2=0
	s_delay_alu instid0(VALU_DEP_2) | instskip(NEXT) | instid1(VALU_DEP_1)
	v_mov_b32_e32 v137, v119
	v_pk_add_f32 v[118:119], v[132:133], v[136:137]
	v_dual_mov_b32 v132, v121 :: v_dual_mov_b32 v133, v120
	s_delay_alu instid0(VALU_DEP_1) | instskip(SKIP_1) | instid1(VALU_DEP_1)
	v_pk_mul_f32 v[132:133], v[132:133], v[134:135] op_sel_hi:[1,0]
	s_set_vgpr_msb 4                        ;  msbs: dst=0 src0=0 src1=1 src2=0
	v_pk_fma_f32 v[134:135], v[120:121], v[0:1] /*v[256:257]*/, v[132:133] neg_lo:[0,0,1] neg_hi:[0,0,1]
	v_pk_fma_f32 v[120:121], v[120:121], v[0:1] /*v[256:257]*/, v[132:133] op_sel_hi:[1,0,1]
	s_delay_alu instid0(VALU_DEP_1) | instskip(SKIP_3) | instid1(VALU_DEP_2)
	v_mov_b32_e32 v135, v121
	s_wait_loadcnt_dscnt 0x202
	v_pk_mul_f32 v[120:121], v[122:123], v[2:3] /*v[258:259]*/ op_sel:[1,1] op_sel_hi:[0,1]
	s_set_vgpr_msb 0                        ;  msbs: dst=0 src0=0 src1=0 src2=0
	v_pk_add_f32 v[118:119], v[118:119], v[134:135]
	s_set_vgpr_msb 4                        ;  msbs: dst=0 src0=0 src1=1 src2=0
	s_delay_alu instid0(VALU_DEP_2)
	v_pk_fma_f32 v[132:133], v[122:123], v[2:3] /*v[258:259]*/, v[120:121] neg_lo:[0,0,1] neg_hi:[0,0,1]
	v_pk_fma_f32 v[120:121], v[122:123], v[2:3] /*v[258:259]*/, v[120:121] op_sel_hi:[1,0,1]
	v_mov_b32_e32 v120, v125
	s_set_vgpr_msb 1                        ;  msbs: dst=0 src0=1 src1=0 src2=0
	v_mov_b32_e32 v122, v5 /*v261*/
	s_set_vgpr_msb 0                        ;  msbs: dst=0 src0=0 src1=0 src2=0
	v_dual_mov_b32 v133, v121 :: v_dual_mov_b32 v121, v124
	s_delay_alu instid0(VALU_DEP_1) | instskip(NEXT) | instid1(VALU_DEP_2)
	v_pk_add_f32 v[118:119], v[118:119], v[132:133]
	v_pk_mul_f32 v[120:121], v[120:121], v[122:123] op_sel_hi:[1,0]
	s_set_vgpr_msb 4                        ;  msbs: dst=0 src0=0 src1=1 src2=0
	s_delay_alu instid0(VALU_DEP_1) | instskip(SKIP_1) | instid1(VALU_DEP_1)
	v_pk_fma_f32 v[122:123], v[124:125], v[4:5] /*v[260:261]*/, v[120:121] neg_lo:[0,0,1] neg_hi:[0,0,1]
	v_pk_fma_f32 v[120:121], v[124:125], v[4:5] /*v[260:261]*/, v[120:121] op_sel_hi:[1,0,1]
	v_mov_b32_e32 v123, v121
	s_wait_loadcnt_dscnt 0x101
	v_pk_mul_f32 v[120:121], v[126:127], v[6:7] /*v[262:263]*/ op_sel:[1,1] op_sel_hi:[0,1]
	s_set_vgpr_msb 0                        ;  msbs: dst=0 src0=0 src1=0 src2=0
	s_delay_alu instid0(VALU_DEP_2) | instskip(SKIP_1) | instid1(VALU_DEP_2)
	v_pk_add_f32 v[118:119], v[118:119], v[122:123]
	s_set_vgpr_msb 4                        ;  msbs: dst=0 src0=0 src1=1 src2=0
	v_pk_fma_f32 v[122:123], v[126:127], v[6:7] /*v[262:263]*/, v[120:121] neg_lo:[0,0,1] neg_hi:[0,0,1]
	v_pk_fma_f32 v[120:121], v[126:127], v[6:7] /*v[262:263]*/, v[120:121] op_sel_hi:[1,0,1]
	s_delay_alu instid0(VALU_DEP_1) | instskip(SKIP_2) | instid1(VALU_DEP_2)
	v_dual_mov_b32 v120, v129 :: v_dual_mov_b32 v123, v121
	v_mov_b32_e32 v121, v128
	s_set_vgpr_msb 0                        ;  msbs: dst=0 src0=0 src1=0 src2=0
	v_pk_add_f32 v[118:119], v[118:119], v[122:123]
	s_set_vgpr_msb 1                        ;  msbs: dst=0 src0=1 src1=0 src2=0
	v_mov_b32_e32 v122, v9 /*v265*/
	s_set_vgpr_msb 0                        ;  msbs: dst=0 src0=0 src1=0 src2=0
	s_delay_alu instid0(VALU_DEP_1) | instskip(SKIP_1) | instid1(VALU_DEP_1)
	v_pk_mul_f32 v[120:121], v[120:121], v[122:123] op_sel_hi:[1,0]
	s_set_vgpr_msb 4                        ;  msbs: dst=0 src0=0 src1=1 src2=0
	v_pk_fma_f32 v[122:123], v[128:129], v[8:9] /*v[264:265]*/, v[120:121] neg_lo:[0,0,1] neg_hi:[0,0,1]
	v_pk_fma_f32 v[120:121], v[128:129], v[8:9] /*v[264:265]*/, v[120:121] op_sel_hi:[1,0,1]
	s_delay_alu instid0(VALU_DEP_1) | instskip(SKIP_3) | instid1(VALU_DEP_2)
	v_mov_b32_e32 v123, v121
	s_wait_loadcnt_dscnt 0x0
	v_pk_mul_f32 v[120:121], v[130:131], v[16:17] /*v[272:273]*/ op_sel:[1,1] op_sel_hi:[0,1]
	s_set_vgpr_msb 0                        ;  msbs: dst=0 src0=0 src1=0 src2=0
	v_pk_add_f32 v[118:119], v[118:119], v[122:123]
	s_set_vgpr_msb 4                        ;  msbs: dst=0 src0=0 src1=1 src2=0
	s_delay_alu instid0(VALU_DEP_2) | instskip(SKIP_1) | instid1(VALU_DEP_1)
	v_pk_fma_f32 v[122:123], v[130:131], v[16:17] /*v[272:273]*/, v[120:121] neg_lo:[0,0,1] neg_hi:[0,0,1]
	v_pk_fma_f32 v[120:121], v[130:131], v[16:17] /*v[272:273]*/, v[120:121] op_sel_hi:[1,0,1]
	v_mov_b32_e32 v123, v121
	scratch_load_b64 v[120:121], off, off offset:128
	s_set_vgpr_msb 0                        ;  msbs: dst=0 src0=0 src1=0 src2=0
	v_pk_add_f32 v[118:119], v[118:119], v[122:123]
	s_wait_loadcnt 0x0
	s_delay_alu instid0(VALU_DEP_1)
	v_pk_add_f32 v[118:119], v[120:121], v[118:119] neg_lo:[0,1] neg_hi:[0,1]
	scratch_store_b64 off, v[118:119], off offset:128
	s_wait_xcnt 0x0
	v_cmpx_lt_u32_e32 15, v0
	s_cbranch_execz .LBB121_331
; %bb.330:
	scratch_load_b64 v[118:119], off, off offset:120
	v_mov_b64_e32 v[120:121], 0
	scratch_store_b64 off, v[120:121], off offset:120
	s_wait_loadcnt 0x0
	ds_store_b64 v1, v[118:119]
.LBB121_331:
	s_wait_xcnt 0x0
	s_or_b32 exec_lo, exec_lo, s0
	s_wait_storecnt_dscnt 0x0
	s_barrier_signal -1
	s_barrier_wait -1
	ds_load_b128 v[118:121], v7 offset:592
	ds_load_b128 v[122:125], v7 offset:608
	;; [unrolled: 1-line block ×4, first 2 shown]
	s_clause 0x10
	scratch_load_b128 v[134:137], off, off offset:128
	scratch_load_b128 v[138:141], off, off offset:144
	;; [unrolled: 1-line block ×17, first 2 shown]
	ds_load_b128 v[150:153], v7 offset:656
	ds_load_b128 v[158:161], v7 offset:672
	;; [unrolled: 1-line block ×13, first 2 shown]
	s_clause 0x4
	scratch_load_b128 v[254:257], off, off offset:400
	s_set_vgpr_msb 64                       ;  msbs: dst=1 src0=0 src1=0 src2=0
	scratch_load_b128 v[2:5] /*v[258:261]*/, off, off offset:416
	scratch_load_b128 v[6:9] /*v[262:265]*/, off, off offset:432
	;; [unrolled: 1-line block ×3, first 2 shown]
	s_mov_b32 s0, exec_lo
	s_wait_loadcnt_dscnt 0x1410
	s_set_vgpr_msb 0                        ;  msbs: dst=0 src0=0 src1=0 src2=0
	v_dual_mul_f32 v9, v118, v135 :: v_dual_mul_f32 v11, v120, v137
	s_delay_alu instid0(VALU_DEP_1) | instskip(NEXT) | instid1(VALU_DEP_1)
	v_dual_fmac_f32 v9, v119, v134 :: v_dual_fmac_f32 v11, v121, v136
	v_add_f32_e32 v9, 0, v9
	s_delay_alu instid0(VALU_DEP_1)
	v_add_f32_e32 v9, v9, v11
	s_wait_loadcnt_dscnt 0x130f
	v_mul_f32_e32 v11, v122, v139
	s_wait_loadcnt_dscnt 0x40a
	s_set_vgpr_msb 64                       ;  msbs: dst=1 src0=0 src1=0 src2=0
	v_dual_mul_f32 v17 /*v273*/, v246, v251 :: v_dual_mul_f32 v19 /*v275*/, v248, v253
	s_set_vgpr_msb 0                        ;  msbs: dst=0 src0=0 src1=0 src2=0
	v_fmac_f32_e32 v11, v123, v138
	s_set_vgpr_msb 64                       ;  msbs: dst=1 src0=0 src1=0 src2=0
	s_delay_alu instid0(VALU_DEP_2) | instskip(SKIP_1) | instid1(VALU_DEP_2)
	v_dual_fmac_f32 v17 /*v273*/, v247, v250 :: v_dual_fmac_f32 v19 /*v275*/, v249, v252
	s_set_vgpr_msb 0                        ;  msbs: dst=0 src0=0 src1=0 src2=0
	v_dual_add_f32 v9, v9, v11 :: v_dual_mul_f32 v11, v124, v141
	s_delay_alu instid0(VALU_DEP_1) | instskip(NEXT) | instid1(VALU_DEP_1)
	v_fmac_f32_e32 v11, v125, v140
	v_add_f32_e32 v9, v9, v11
	v_mul_f32_e32 v11, v126, v143
	s_delay_alu instid0(VALU_DEP_1) | instskip(NEXT) | instid1(VALU_DEP_1)
	v_fmac_f32_e32 v11, v127, v142
	v_dual_add_f32 v9, v9, v11 :: v_dual_mul_f32 v11, v128, v145
	s_delay_alu instid0(VALU_DEP_1) | instskip(NEXT) | instid1(VALU_DEP_1)
	v_fmac_f32_e32 v11, v129, v144
	v_add_f32_e32 v9, v9, v11
	v_mul_f32_e32 v11, v130, v147
	s_delay_alu instid0(VALU_DEP_1) | instskip(NEXT) | instid1(VALU_DEP_1)
	v_fmac_f32_e32 v11, v131, v146
	;; [unrolled: 7-line block ×4, first 2 shown]
	v_dual_add_f32 v9, v9, v11 :: v_dual_mul_f32 v11, v160, v165
	s_delay_alu instid0(VALU_DEP_1) | instskip(NEXT) | instid1(VALU_DEP_1)
	v_fmac_f32_e32 v11, v161, v164
	v_add_f32_e32 v9, v9, v11
	s_wait_dscnt 0x9
	v_mul_f32_e32 v11, v166, v171
	s_delay_alu instid0(VALU_DEP_1) | instskip(NEXT) | instid1(VALU_DEP_1)
	v_fmac_f32_e32 v11, v167, v170
	v_dual_add_f32 v9, v9, v11 :: v_dual_mul_f32 v11, v168, v173
	s_delay_alu instid0(VALU_DEP_1) | instskip(NEXT) | instid1(VALU_DEP_1)
	v_fmac_f32_e32 v11, v169, v172
	v_add_f32_e32 v9, v9, v11
	s_wait_dscnt 0x8
	v_mul_f32_e32 v11, v174, v179
	s_delay_alu instid0(VALU_DEP_1) | instskip(NEXT) | instid1(VALU_DEP_1)
	v_fmac_f32_e32 v11, v175, v178
	;; [unrolled: 8-line block ×10, first 2 shown]
	v_dual_add_f32 v9, v9, v11 :: v_dual_mul_f32 v11, v240, v245
	s_delay_alu instid0(VALU_DEP_1) | instskip(SKIP_1) | instid1(VALU_DEP_1)
	v_fmac_f32_e32 v11, v241, v244
	s_set_vgpr_msb 64                       ;  msbs: dst=1 src0=0 src1=0 src2=0
	v_add_f32_e32 v15 /*v271*/, v9, v11
	s_set_vgpr_msb 0                        ;  msbs: dst=0 src0=0 src1=0 src2=0
	v_dual_mul_f32 v9, v119, v135 :: v_dual_mul_f32 v11, v121, v137
	s_delay_alu instid0(VALU_DEP_1) | instskip(NEXT) | instid1(VALU_DEP_1)
	v_dual_fma_f32 v9, v118, v134, -v9 :: v_dual_fma_f32 v11, v120, v136, -v11
	v_add_f32_e32 v9, 0, v9
	s_delay_alu instid0(VALU_DEP_1) | instskip(SKIP_1) | instid1(VALU_DEP_1)
	v_add_f32_e32 v9, v9, v11
	v_mul_f32_e32 v11, v123, v139
	v_fma_f32 v11, v122, v138, -v11
	s_delay_alu instid0(VALU_DEP_1) | instskip(SKIP_1) | instid1(VALU_DEP_1)
	v_add_f32_e32 v9, v9, v11
	v_mul_f32_e32 v11, v125, v141
	v_fma_f32 v11, v124, v140, -v11
	s_delay_alu instid0(VALU_DEP_1) | instskip(SKIP_1) | instid1(VALU_DEP_1)
	v_add_f32_e32 v9, v9, v11
	v_mul_f32_e32 v11, v127, v143
	v_fma_f32 v11, v126, v142, -v11
	s_delay_alu instid0(VALU_DEP_1) | instskip(SKIP_1) | instid1(VALU_DEP_1)
	v_add_f32_e32 v9, v9, v11
	v_mul_f32_e32 v11, v129, v145
	v_fma_f32 v11, v128, v144, -v11
	s_delay_alu instid0(VALU_DEP_1) | instskip(SKIP_1) | instid1(VALU_DEP_1)
	v_add_f32_e32 v9, v9, v11
	v_mul_f32_e32 v11, v131, v147
	v_fma_f32 v11, v130, v146, -v11
	s_delay_alu instid0(VALU_DEP_1) | instskip(SKIP_1) | instid1(VALU_DEP_1)
	v_add_f32_e32 v9, v9, v11
	v_mul_f32_e32 v11, v133, v149
	v_fma_f32 v11, v132, v148, -v11
	ds_load_b128 v[118:121], v7 offset:864
	ds_load_b128 v[122:125], v7 offset:880
	;; [unrolled: 1-line block ×4, first 2 shown]
	v_add_f32_e32 v9, v9, v11
	v_mul_f32_e32 v11, v151, v155
	s_delay_alu instid0(VALU_DEP_1) | instskip(NEXT) | instid1(VALU_DEP_1)
	v_fma_f32 v11, v150, v154, -v11
	v_add_f32_e32 v9, v9, v11
	v_mul_f32_e32 v11, v153, v157
	s_wait_loadcnt_dscnt 0x303
	v_pk_mul_f32 v[136:137], v[118:119], v[254:255] op_sel:[1,1] op_sel_hi:[0,1]
	s_delay_alu instid0(VALU_DEP_2) | instskip(NEXT) | instid1(VALU_DEP_2)
	v_fma_f32 v11, v152, v156, -v11
	v_pk_fma_f32 v[138:139], v[118:119], v[254:255], v[136:137] neg_lo:[0,0,1] neg_hi:[0,0,1]
	v_pk_fma_f32 v[118:119], v[118:119], v[254:255], v[136:137] op_sel_hi:[1,0,1]
	s_set_vgpr_msb 1                        ;  msbs: dst=0 src0=1 src1=0 src2=0
	v_mov_b32_e32 v136, v1 /*v257*/
	s_set_vgpr_msb 0                        ;  msbs: dst=0 src0=0 src1=0 src2=0
	v_add_f32_e32 v9, v9, v11
	v_mul_f32_e32 v11, v159, v163
	s_delay_alu instid0(VALU_DEP_1) | instskip(NEXT) | instid1(VALU_DEP_1)
	v_dual_mov_b32 v139, v119 :: v_dual_fma_f32 v11, v158, v162, -v11
	v_add_f32_e32 v9, v9, v11
	v_mul_f32_e32 v11, v161, v165
	s_delay_alu instid0(VALU_DEP_1) | instskip(NEXT) | instid1(VALU_DEP_1)
	v_fma_f32 v11, v160, v164, -v11
	v_add_f32_e32 v9, v9, v11
	v_mul_f32_e32 v11, v167, v171
	s_delay_alu instid0(VALU_DEP_1) | instskip(NEXT) | instid1(VALU_DEP_1)
	v_fma_f32 v11, v166, v170, -v11
	;; [unrolled: 4-line block ×20, first 2 shown]
	v_add_f32_e32 v9, v9, v11
	v_mul_f32_e32 v11, v241, v245
	s_delay_alu instid0(VALU_DEP_1) | instskip(SKIP_1) | instid1(VALU_DEP_1)
	v_fma_f32 v11, v240, v244, -v11
	s_set_vgpr_msb 64                       ;  msbs: dst=1 src0=0 src1=0 src2=0
	v_add_f32_e32 v14 /*v270*/, v9, v11
	s_set_vgpr_msb 0                        ;  msbs: dst=0 src0=0 src1=0 src2=0
	v_mul_f32_e32 v9, v247, v251
	s_set_vgpr_msb 64                       ;  msbs: dst=1 src0=0 src1=0 src2=0
	s_delay_alu instid0(VALU_DEP_1) | instskip(SKIP_3) | instid1(VALU_DEP_2)
	v_fma_f32 v16 /*v272*/, v246, v250, -v9
	s_set_vgpr_msb 0                        ;  msbs: dst=0 src0=0 src1=0 src2=0
	v_mul_f32_e32 v9, v249, v253
	s_set_vgpr_msb 5                        ;  msbs: dst=0 src0=1 src1=1 src2=0
	v_pk_add_f32 v[134:135], v[14:15] /*v[270:271]*/, v[16:17] /*v[272:273]*/
	s_set_vgpr_msb 64                       ;  msbs: dst=1 src0=0 src1=0 src2=0
	s_delay_alu instid0(VALU_DEP_2) | instskip(SKIP_1) | instid1(VALU_DEP_1)
	v_fma_f32 v18 /*v274*/, v248, v252, -v9
	s_set_vgpr_msb 4                        ;  msbs: dst=0 src0=0 src1=1 src2=0
	v_pk_add_f32 v[134:135], v[134:135], v[18:19] /*v[274:275]*/
	s_set_vgpr_msb 0                        ;  msbs: dst=0 src0=0 src1=0 src2=0
	s_delay_alu instid0(VALU_DEP_1) | instskip(SKIP_1) | instid1(VALU_DEP_1)
	v_pk_add_f32 v[118:119], v[134:135], v[138:139]
	v_dual_mov_b32 v134, v121 :: v_dual_mov_b32 v135, v120
	v_pk_mul_f32 v[134:135], v[134:135], v[136:137] op_sel_hi:[1,0]
	s_set_vgpr_msb 4                        ;  msbs: dst=0 src0=0 src1=1 src2=0
	s_delay_alu instid0(VALU_DEP_1) | instskip(SKIP_1) | instid1(VALU_DEP_1)
	v_pk_fma_f32 v[136:137], v[120:121], v[0:1] /*v[256:257]*/, v[134:135] neg_lo:[0,0,1] neg_hi:[0,0,1]
	v_pk_fma_f32 v[120:121], v[120:121], v[0:1] /*v[256:257]*/, v[134:135] op_sel_hi:[1,0,1]
	v_mov_b32_e32 v137, v121
	s_wait_loadcnt_dscnt 0x202
	v_pk_mul_f32 v[120:121], v[122:123], v[2:3] /*v[258:259]*/ op_sel:[1,1] op_sel_hi:[0,1]
	s_set_vgpr_msb 0                        ;  msbs: dst=0 src0=0 src1=0 src2=0
	s_delay_alu instid0(VALU_DEP_2) | instskip(SKIP_1) | instid1(VALU_DEP_2)
	v_pk_add_f32 v[118:119], v[118:119], v[136:137]
	s_set_vgpr_msb 4                        ;  msbs: dst=0 src0=0 src1=1 src2=0
	v_pk_fma_f32 v[134:135], v[122:123], v[2:3] /*v[258:259]*/, v[120:121] neg_lo:[0,0,1] neg_hi:[0,0,1]
	v_pk_fma_f32 v[120:121], v[122:123], v[2:3] /*v[258:259]*/, v[120:121] op_sel_hi:[1,0,1]
	v_mov_b32_e32 v120, v125
	s_set_vgpr_msb 1                        ;  msbs: dst=0 src0=1 src1=0 src2=0
	v_mov_b32_e32 v122, v5 /*v261*/
	s_set_vgpr_msb 0                        ;  msbs: dst=0 src0=0 src1=0 src2=0
	v_dual_mov_b32 v135, v121 :: v_dual_mov_b32 v121, v124
	s_delay_alu instid0(VALU_DEP_1) | instskip(NEXT) | instid1(VALU_DEP_2)
	v_pk_add_f32 v[118:119], v[118:119], v[134:135]
	v_pk_mul_f32 v[120:121], v[120:121], v[122:123] op_sel_hi:[1,0]
	s_set_vgpr_msb 4                        ;  msbs: dst=0 src0=0 src1=1 src2=0
	s_delay_alu instid0(VALU_DEP_1) | instskip(SKIP_1) | instid1(VALU_DEP_1)
	v_pk_fma_f32 v[122:123], v[124:125], v[4:5] /*v[260:261]*/, v[120:121] neg_lo:[0,0,1] neg_hi:[0,0,1]
	v_pk_fma_f32 v[120:121], v[124:125], v[4:5] /*v[260:261]*/, v[120:121] op_sel_hi:[1,0,1]
	v_mov_b32_e32 v123, v121
	s_wait_loadcnt_dscnt 0x101
	v_pk_mul_f32 v[120:121], v[126:127], v[6:7] /*v[262:263]*/ op_sel:[1,1] op_sel_hi:[0,1]
	s_set_vgpr_msb 0                        ;  msbs: dst=0 src0=0 src1=0 src2=0
	s_delay_alu instid0(VALU_DEP_2) | instskip(SKIP_1) | instid1(VALU_DEP_2)
	v_pk_add_f32 v[118:119], v[118:119], v[122:123]
	s_set_vgpr_msb 4                        ;  msbs: dst=0 src0=0 src1=1 src2=0
	v_pk_fma_f32 v[122:123], v[126:127], v[6:7] /*v[262:263]*/, v[120:121] neg_lo:[0,0,1] neg_hi:[0,0,1]
	v_pk_fma_f32 v[120:121], v[126:127], v[6:7] /*v[262:263]*/, v[120:121] op_sel_hi:[1,0,1]
	s_delay_alu instid0(VALU_DEP_1) | instskip(SKIP_2) | instid1(VALU_DEP_2)
	v_dual_mov_b32 v120, v129 :: v_dual_mov_b32 v123, v121
	v_mov_b32_e32 v121, v128
	s_set_vgpr_msb 0                        ;  msbs: dst=0 src0=0 src1=0 src2=0
	v_pk_add_f32 v[118:119], v[118:119], v[122:123]
	s_set_vgpr_msb 1                        ;  msbs: dst=0 src0=1 src1=0 src2=0
	v_mov_b32_e32 v122, v9 /*v265*/
	s_set_vgpr_msb 0                        ;  msbs: dst=0 src0=0 src1=0 src2=0
	s_delay_alu instid0(VALU_DEP_1) | instskip(SKIP_1) | instid1(VALU_DEP_1)
	v_pk_mul_f32 v[120:121], v[120:121], v[122:123] op_sel_hi:[1,0]
	s_set_vgpr_msb 4                        ;  msbs: dst=0 src0=0 src1=1 src2=0
	v_pk_fma_f32 v[122:123], v[128:129], v[8:9] /*v[264:265]*/, v[120:121] neg_lo:[0,0,1] neg_hi:[0,0,1]
	v_pk_fma_f32 v[120:121], v[128:129], v[8:9] /*v[264:265]*/, v[120:121] op_sel_hi:[1,0,1]
	s_delay_alu instid0(VALU_DEP_1) | instskip(SKIP_3) | instid1(VALU_DEP_2)
	v_mov_b32_e32 v123, v121
	s_wait_loadcnt_dscnt 0x0
	v_pk_mul_f32 v[120:121], v[130:131], v[10:11] /*v[266:267]*/ op_sel:[1,1] op_sel_hi:[0,1]
	s_set_vgpr_msb 0                        ;  msbs: dst=0 src0=0 src1=0 src2=0
	v_pk_add_f32 v[118:119], v[118:119], v[122:123]
	s_set_vgpr_msb 4                        ;  msbs: dst=0 src0=0 src1=1 src2=0
	s_delay_alu instid0(VALU_DEP_2) | instskip(SKIP_1) | instid1(VALU_DEP_1)
	v_pk_fma_f32 v[122:123], v[130:131], v[10:11] /*v[266:267]*/, v[120:121] neg_lo:[0,0,1] neg_hi:[0,0,1]
	v_pk_fma_f32 v[120:121], v[130:131], v[10:11] /*v[266:267]*/, v[120:121] op_sel_hi:[1,0,1]
	v_dual_mov_b32 v120, v133 :: v_dual_mov_b32 v123, v121
	v_mov_b32_e32 v121, v132
	s_set_vgpr_msb 0                        ;  msbs: dst=0 src0=0 src1=0 src2=0
	s_delay_alu instid0(VALU_DEP_2) | instskip(SKIP_3) | instid1(VALU_DEP_1)
	v_pk_add_f32 v[118:119], v[118:119], v[122:123]
	s_set_vgpr_msb 1                        ;  msbs: dst=0 src0=1 src1=0 src2=0
	v_mov_b32_e32 v122, v13 /*v269*/
	s_set_vgpr_msb 0                        ;  msbs: dst=0 src0=0 src1=0 src2=0
	v_pk_mul_f32 v[120:121], v[120:121], v[122:123] op_sel_hi:[1,0]
	s_set_vgpr_msb 4                        ;  msbs: dst=0 src0=0 src1=1 src2=0
	s_delay_alu instid0(VALU_DEP_1) | instskip(SKIP_1) | instid1(VALU_DEP_1)
	v_pk_fma_f32 v[122:123], v[132:133], v[12:13] /*v[268:269]*/, v[120:121] neg_lo:[0,0,1] neg_hi:[0,0,1]
	v_pk_fma_f32 v[120:121], v[132:133], v[12:13] /*v[268:269]*/, v[120:121] op_sel_hi:[1,0,1]
	v_mov_b32_e32 v123, v121
	scratch_load_b64 v[120:121], off, off offset:120
	s_set_vgpr_msb 0                        ;  msbs: dst=0 src0=0 src1=0 src2=0
	v_pk_add_f32 v[118:119], v[118:119], v[122:123]
	s_wait_loadcnt 0x0
	s_delay_alu instid0(VALU_DEP_1)
	v_pk_add_f32 v[118:119], v[120:121], v[118:119] neg_lo:[0,1] neg_hi:[0,1]
	scratch_store_b64 off, v[118:119], off offset:120
	s_wait_xcnt 0x0
	v_cmpx_lt_u32_e32 14, v0
	s_cbranch_execz .LBB121_333
; %bb.332:
	scratch_load_b64 v[118:119], off, off offset:112
	v_mov_b64_e32 v[120:121], 0
	scratch_store_b64 off, v[120:121], off offset:112
	s_wait_loadcnt 0x0
	ds_store_b64 v1, v[118:119]
.LBB121_333:
	s_wait_xcnt 0x0
	s_or_b32 exec_lo, exec_lo, s0
	s_wait_storecnt_dscnt 0x0
	s_barrier_signal -1
	s_barrier_wait -1
	s_clause 0xf
	scratch_load_b128 v[122:125], off, off offset:120
	scratch_load_b128 v[130:133], off, off offset:136
	;; [unrolled: 1-line block ×16, first 2 shown]
	v_mov_b32_e32 v7, 0
	s_clause 0x2
	scratch_load_b128 v[250:253], off, off offset:376
	s_set_vgpr_msb 64                       ;  msbs: dst=1 src0=0 src1=0 src2=0
	scratch_load_b128 v[2:5] /*v[258:261]*/, off, off offset:392
	s_mov_b32 s0, exec_lo
	s_set_vgpr_msb 0                        ;  msbs: dst=0 src0=0 src1=0 src2=0
	ds_load_2addr_b64 v[118:121], v7 offset0:73 offset1:74
	ds_load_2addr_b64 v[126:129], v7 offset0:75 offset1:76
	s_wait_loadcnt_dscnt 0x1101
	v_dual_mul_f32 v9, v118, v123 :: v_dual_mul_f32 v11, v120, v125
	ds_load_2addr_b64 v[134:137], v7 offset0:77 offset1:78
	ds_load_2addr_b64 v[142:145], v7 offset0:79 offset1:80
	;; [unrolled: 1-line block ×4, first 2 shown]
	v_dual_fmac_f32 v9, v119, v122 :: v_dual_fmac_f32 v11, v121, v124
	ds_load_2addr_b64 v[150:153], v7 offset0:81 offset1:82
	ds_load_2addr_b64 v[158:161], v7 offset0:83 offset1:84
	;; [unrolled: 1-line block ×4, first 2 shown]
	v_add_f32_e32 v9, 0, v9
	ds_load_2addr_b64 v[182:185], v7 offset0:89 offset1:90
	ds_load_2addr_b64 v[190:193], v7 offset0:91 offset1:92
	;; [unrolled: 1-line block ×4, first 2 shown]
	v_add_f32_e32 v9, v9, v11
	s_wait_loadcnt_dscnt 0x100c
	v_mul_f32_e32 v11, v126, v131
	ds_load_2addr_b64 v[214:217], v7 offset0:97 offset1:98
	ds_load_2addr_b64 v[222:225], v7 offset0:99 offset1:100
	ds_load_2addr_b64 v[230:233], v7 offset0:101 offset1:102
	ds_load_2addr_b64 v[238:241], v7 offset0:103 offset1:104
	v_fmac_f32_e32 v11, v127, v130
	s_set_vgpr_msb 64                       ;  msbs: dst=1 src0=0 src1=0 src2=0
	s_clause 0x3
	scratch_load_b128 v[6:9] /*v[262:265]*/, off, off offset:408
	scratch_load_b128 v[10:13] /*v[266:269]*/, off, off offset:424
	;; [unrolled: 1-line block ×3, first 2 shown]
	scratch_load_b64 v[24:25] /*v[280:281]*/, off, off offset:456
	s_wait_loadcnt_dscnt 0x50d
	v_mul_f32_e32 v21 /*v277*/, v248, v253
	s_set_vgpr_msb 0                        ;  msbs: dst=0 src0=0 src1=0 src2=0
	v_dual_add_f32 v9, v9, v11 :: v_dual_mul_f32 v11, v128, v133
	s_set_vgpr_msb 64                       ;  msbs: dst=1 src0=0 src1=0 src2=0
	s_delay_alu instid0(VALU_DEP_2) | instskip(SKIP_1) | instid1(VALU_DEP_2)
	v_fmac_f32_e32 v21 /*v277*/, v249, v252
	s_set_vgpr_msb 0                        ;  msbs: dst=0 src0=0 src1=0 src2=0
	v_fmac_f32_e32 v11, v129, v132
	s_delay_alu instid0(VALU_DEP_1) | instskip(SKIP_1) | instid1(VALU_DEP_1)
	v_add_f32_e32 v9, v9, v11
	v_mul_f32_e32 v11, v134, v139
	v_fmac_f32_e32 v11, v135, v138
	s_delay_alu instid0(VALU_DEP_1) | instskip(NEXT) | instid1(VALU_DEP_1)
	v_dual_add_f32 v9, v9, v11 :: v_dual_mul_f32 v11, v136, v141
	v_fmac_f32_e32 v11, v137, v140
	s_delay_alu instid0(VALU_DEP_1) | instskip(SKIP_1) | instid1(VALU_DEP_1)
	v_add_f32_e32 v9, v9, v11
	v_mul_f32_e32 v11, v142, v147
	v_fmac_f32_e32 v11, v143, v146
	s_delay_alu instid0(VALU_DEP_1) | instskip(NEXT) | instid1(VALU_DEP_1)
	v_dual_add_f32 v9, v9, v11 :: v_dual_mul_f32 v11, v144, v149
	v_fmac_f32_e32 v11, v145, v148
	s_delay_alu instid0(VALU_DEP_1) | instskip(SKIP_2) | instid1(VALU_DEP_1)
	v_add_f32_e32 v9, v9, v11
	s_wait_dscnt 0xb
	v_mul_f32_e32 v11, v150, v155
	v_fmac_f32_e32 v11, v151, v154
	s_delay_alu instid0(VALU_DEP_1) | instskip(NEXT) | instid1(VALU_DEP_1)
	v_dual_add_f32 v9, v9, v11 :: v_dual_mul_f32 v11, v152, v157
	v_fmac_f32_e32 v11, v153, v156
	s_delay_alu instid0(VALU_DEP_1) | instskip(SKIP_2) | instid1(VALU_DEP_1)
	v_add_f32_e32 v9, v9, v11
	s_wait_dscnt 0xa
	;; [unrolled: 8-line block ×12, first 2 shown]
	v_mul_f32_e32 v11, v238, v243
	v_fmac_f32_e32 v11, v239, v242
	s_delay_alu instid0(VALU_DEP_1) | instskip(NEXT) | instid1(VALU_DEP_1)
	v_dual_add_f32 v9, v9, v11 :: v_dual_mul_f32 v11, v240, v245
	v_fmac_f32_e32 v11, v241, v244
	s_delay_alu instid0(VALU_DEP_1) | instskip(SKIP_1) | instid1(VALU_DEP_1)
	v_add_f32_e32 v9, v9, v11
	v_mul_f32_e32 v11, v246, v251
	v_fmac_f32_e32 v11, v247, v250
	s_set_vgpr_msb 64                       ;  msbs: dst=1 src0=0 src1=0 src2=0
	s_delay_alu instid0(VALU_DEP_1) | instskip(SKIP_2) | instid1(VALU_DEP_1)
	v_add_f32_e32 v19 /*v275*/, v9, v11
	s_set_vgpr_msb 0                        ;  msbs: dst=0 src0=0 src1=0 src2=0
	v_dual_mul_f32 v9, v119, v123 :: v_dual_mul_f32 v11, v121, v125
	v_dual_fma_f32 v9, v118, v122, -v9 :: v_dual_fma_f32 v11, v120, v124, -v11
	s_delay_alu instid0(VALU_DEP_1) | instskip(NEXT) | instid1(VALU_DEP_1)
	v_add_f32_e32 v9, 0, v9
	v_add_f32_e32 v9, v9, v11
	v_mul_f32_e32 v11, v127, v131
	s_delay_alu instid0(VALU_DEP_1) | instskip(NEXT) | instid1(VALU_DEP_1)
	v_fma_f32 v11, v126, v130, -v11
	v_add_f32_e32 v9, v9, v11
	v_mul_f32_e32 v11, v129, v133
	s_delay_alu instid0(VALU_DEP_1)
	v_fma_f32 v11, v128, v132, -v11
	ds_load_2addr_b64 v[118:121], v7 offset0:109 offset1:110
	ds_load_2addr_b64 v[122:125], v7 offset0:111 offset1:112
	;; [unrolled: 1-line block ×3, first 2 shown]
	ds_load_b64 v[130:131], v7 offset:920
	v_add_f32_e32 v9, v9, v11
	v_mul_f32_e32 v11, v135, v139
	s_set_vgpr_msb 1                        ;  msbs: dst=0 src0=1 src1=0 src2=0
	v_mov_b32_e32 v135, v0 /*v256*/
	s_set_vgpr_msb 0                        ;  msbs: dst=0 src0=0 src1=0 src2=0
	s_delay_alu instid0(VALU_DEP_2) | instskip(SKIP_3) | instid1(VALU_DEP_2)
	v_fma_f32 v11, v134, v138, -v11
	s_set_vgpr_msb 1                        ;  msbs: dst=0 src0=1 src1=0 src2=0
	v_mov_b32_e32 v134, v1 /*v257*/
	s_set_vgpr_msb 0                        ;  msbs: dst=0 src0=0 src1=0 src2=0
	v_add_f32_e32 v9, v9, v11
	v_mul_f32_e32 v11, v137, v141
	s_delay_alu instid0(VALU_DEP_1)
	v_fma_f32 v11, v136, v140, -v11
	s_wait_loadcnt 0x4
	s_set_vgpr_msb 1                        ;  msbs: dst=0 src0=1 src1=0 src2=0
	v_mov_b32_e32 v136, v5 /*v261*/
	s_set_vgpr_msb 0                        ;  msbs: dst=0 src0=0 src1=0 src2=0
	v_add_f32_e32 v9, v9, v11
	v_mul_f32_e32 v11, v143, v147
	s_delay_alu instid0(VALU_DEP_3) | instskip(NEXT) | instid1(VALU_DEP_2)
	v_pk_mul_f32 v[134:135], v[134:135], v[136:137] op_sel_hi:[1,0]
	v_fma_f32 v11, v142, v146, -v11
	s_set_vgpr_msb 5                        ;  msbs: dst=0 src0=1 src1=1 src2=0
	s_delay_alu instid0(VALU_DEP_2) | instskip(SKIP_3) | instid1(VALU_DEP_2)
	v_pk_fma_f32 v[136:137], v[0:1] /*v[256:257]*/, v[4:5] /*v[260:261]*/, v[134:135] neg_lo:[0,0,1] neg_hi:[0,0,1]
	v_pk_fma_f32 v[134:135], v[0:1] /*v[256:257]*/, v[4:5] /*v[260:261]*/, v[134:135] op_sel_hi:[1,0,1]
	s_set_vgpr_msb 0                        ;  msbs: dst=0 src0=0 src1=0 src2=0
	v_add_f32_e32 v9, v9, v11
	v_dual_mul_f32 v11, v145, v149 :: v_dual_mov_b32 v137, v135
	s_wait_loadcnt_dscnt 0x303
	s_set_vgpr_msb 4                        ;  msbs: dst=0 src0=0 src1=1 src2=0
	v_pk_mul_f32 v[134:135], v[118:119], v[6:7] /*v[262:263]*/ op_sel:[1,1] op_sel_hi:[0,1]
	s_set_vgpr_msb 0                        ;  msbs: dst=0 src0=0 src1=0 src2=0
	v_fma_f32 v11, v144, v148, -v11
	s_delay_alu instid0(VALU_DEP_1) | instskip(SKIP_1) | instid1(VALU_DEP_1)
	v_add_f32_e32 v9, v9, v11
	v_mul_f32_e32 v11, v151, v155
	v_fma_f32 v11, v150, v154, -v11
	s_delay_alu instid0(VALU_DEP_1) | instskip(SKIP_1) | instid1(VALU_DEP_1)
	v_add_f32_e32 v9, v9, v11
	v_mul_f32_e32 v11, v153, v157
	;; [unrolled: 4-line block ×25, first 2 shown]
	v_fma_f32 v11, v246, v250, -v11
	s_set_vgpr_msb 64                       ;  msbs: dst=1 src0=0 src1=0 src2=0
	s_delay_alu instid0(VALU_DEP_1) | instskip(SKIP_3) | instid1(VALU_DEP_1)
	v_add_f32_e32 v18 /*v274*/, v9, v11
	s_set_vgpr_msb 0                        ;  msbs: dst=0 src0=0 src1=0 src2=0
	v_mul_f32_e32 v9, v249, v253
	s_set_vgpr_msb 64                       ;  msbs: dst=1 src0=0 src1=0 src2=0
	v_fma_f32 v20 /*v276*/, v248, v252, -v9
	s_set_vgpr_msb 4                        ;  msbs: dst=0 src0=0 src1=1 src2=0
	v_mul_f32_e32 v9, v255, v3 /*v259*/
	s_set_vgpr_msb 0x44                     ;  msbs: dst=1 src0=0 src1=1 src2=0
	v_mul_f32_e32 v23 /*v279*/, v254, v3 /*v259*/
	s_set_vgpr_msb 5                        ;  msbs: dst=0 src0=1 src1=1 src2=0
	v_pk_add_f32 v[132:133], v[18:19] /*v[274:275]*/, v[20:21] /*v[276:277]*/
	s_set_vgpr_msb 0x44                     ;  msbs: dst=1 src0=0 src1=1 src2=0
	v_fma_f32 v22 /*v278*/, v254, v2 /*v258*/, -v9
	v_fmac_f32_e32 v23 /*v279*/, v255, v2 /*v258*/
	s_set_vgpr_msb 4                        ;  msbs: dst=0 src0=0 src1=1 src2=0
	s_delay_alu instid0(VALU_DEP_1) | instskip(SKIP_1) | instid1(VALU_DEP_1)
	v_pk_add_f32 v[132:133], v[132:133], v[22:23] /*v[278:279]*/
	s_set_vgpr_msb 0                        ;  msbs: dst=0 src0=0 src1=0 src2=0
	v_pk_add_f32 v[132:133], v[132:133], v[136:137]
	s_set_vgpr_msb 4                        ;  msbs: dst=0 src0=0 src1=1 src2=0
	v_pk_fma_f32 v[136:137], v[118:119], v[6:7] /*v[262:263]*/, v[134:135] neg_lo:[0,0,1] neg_hi:[0,0,1]
	v_pk_fma_f32 v[118:119], v[118:119], v[6:7] /*v[262:263]*/, v[134:135] op_sel_hi:[1,0,1]
	s_set_vgpr_msb 1                        ;  msbs: dst=0 src0=1 src1=0 src2=0
	v_mov_b32_e32 v134, v9 /*v265*/
	s_set_vgpr_msb 0                        ;  msbs: dst=0 src0=0 src1=0 src2=0
	s_delay_alu instid0(VALU_DEP_2) | instskip(NEXT) | instid1(VALU_DEP_1)
	v_mov_b32_e32 v137, v119
	v_pk_add_f32 v[118:119], v[132:133], v[136:137]
	v_dual_mov_b32 v132, v121 :: v_dual_mov_b32 v133, v120
	s_delay_alu instid0(VALU_DEP_1) | instskip(SKIP_1) | instid1(VALU_DEP_1)
	v_pk_mul_f32 v[132:133], v[132:133], v[134:135] op_sel_hi:[1,0]
	s_set_vgpr_msb 4                        ;  msbs: dst=0 src0=0 src1=1 src2=0
	v_pk_fma_f32 v[134:135], v[120:121], v[8:9] /*v[264:265]*/, v[132:133] neg_lo:[0,0,1] neg_hi:[0,0,1]
	v_pk_fma_f32 v[120:121], v[120:121], v[8:9] /*v[264:265]*/, v[132:133] op_sel_hi:[1,0,1]
	s_delay_alu instid0(VALU_DEP_1) | instskip(SKIP_3) | instid1(VALU_DEP_2)
	v_mov_b32_e32 v135, v121
	s_wait_loadcnt_dscnt 0x202
	v_pk_mul_f32 v[120:121], v[122:123], v[10:11] /*v[266:267]*/ op_sel:[1,1] op_sel_hi:[0,1]
	s_set_vgpr_msb 0                        ;  msbs: dst=0 src0=0 src1=0 src2=0
	v_pk_add_f32 v[118:119], v[118:119], v[134:135]
	s_set_vgpr_msb 4                        ;  msbs: dst=0 src0=0 src1=1 src2=0
	s_delay_alu instid0(VALU_DEP_2)
	v_pk_fma_f32 v[132:133], v[122:123], v[10:11] /*v[266:267]*/, v[120:121] neg_lo:[0,0,1] neg_hi:[0,0,1]
	v_pk_fma_f32 v[120:121], v[122:123], v[10:11] /*v[266:267]*/, v[120:121] op_sel_hi:[1,0,1]
	v_mov_b32_e32 v120, v125
	s_set_vgpr_msb 1                        ;  msbs: dst=0 src0=1 src1=0 src2=0
	v_mov_b32_e32 v122, v13 /*v269*/
	s_set_vgpr_msb 0                        ;  msbs: dst=0 src0=0 src1=0 src2=0
	v_dual_mov_b32 v133, v121 :: v_dual_mov_b32 v121, v124
	s_delay_alu instid0(VALU_DEP_1) | instskip(NEXT) | instid1(VALU_DEP_2)
	v_pk_add_f32 v[118:119], v[118:119], v[132:133]
	v_pk_mul_f32 v[120:121], v[120:121], v[122:123] op_sel_hi:[1,0]
	s_set_vgpr_msb 4                        ;  msbs: dst=0 src0=0 src1=1 src2=0
	s_delay_alu instid0(VALU_DEP_1) | instskip(SKIP_1) | instid1(VALU_DEP_1)
	v_pk_fma_f32 v[122:123], v[124:125], v[12:13] /*v[268:269]*/, v[120:121] neg_lo:[0,0,1] neg_hi:[0,0,1]
	v_pk_fma_f32 v[120:121], v[124:125], v[12:13] /*v[268:269]*/, v[120:121] op_sel_hi:[1,0,1]
	v_mov_b32_e32 v123, v121
	s_wait_loadcnt_dscnt 0x101
	v_pk_mul_f32 v[120:121], v[126:127], v[14:15] /*v[270:271]*/ op_sel:[1,1] op_sel_hi:[0,1]
	s_set_vgpr_msb 0                        ;  msbs: dst=0 src0=0 src1=0 src2=0
	s_delay_alu instid0(VALU_DEP_2) | instskip(SKIP_1) | instid1(VALU_DEP_2)
	v_pk_add_f32 v[118:119], v[118:119], v[122:123]
	s_set_vgpr_msb 4                        ;  msbs: dst=0 src0=0 src1=1 src2=0
	v_pk_fma_f32 v[122:123], v[126:127], v[14:15] /*v[270:271]*/, v[120:121] neg_lo:[0,0,1] neg_hi:[0,0,1]
	v_pk_fma_f32 v[120:121], v[126:127], v[14:15] /*v[270:271]*/, v[120:121] op_sel_hi:[1,0,1]
	s_delay_alu instid0(VALU_DEP_1) | instskip(SKIP_2) | instid1(VALU_DEP_2)
	v_dual_mov_b32 v120, v129 :: v_dual_mov_b32 v123, v121
	v_mov_b32_e32 v121, v128
	s_set_vgpr_msb 0                        ;  msbs: dst=0 src0=0 src1=0 src2=0
	v_pk_add_f32 v[118:119], v[118:119], v[122:123]
	s_set_vgpr_msb 1                        ;  msbs: dst=0 src0=1 src1=0 src2=0
	v_mov_b32_e32 v122, v17 /*v273*/
	s_set_vgpr_msb 0                        ;  msbs: dst=0 src0=0 src1=0 src2=0
	s_delay_alu instid0(VALU_DEP_1) | instskip(SKIP_1) | instid1(VALU_DEP_1)
	v_pk_mul_f32 v[120:121], v[120:121], v[122:123] op_sel_hi:[1,0]
	s_set_vgpr_msb 4                        ;  msbs: dst=0 src0=0 src1=1 src2=0
	v_pk_fma_f32 v[122:123], v[128:129], v[16:17] /*v[272:273]*/, v[120:121] neg_lo:[0,0,1] neg_hi:[0,0,1]
	v_pk_fma_f32 v[120:121], v[128:129], v[16:17] /*v[272:273]*/, v[120:121] op_sel_hi:[1,0,1]
	s_delay_alu instid0(VALU_DEP_1) | instskip(SKIP_3) | instid1(VALU_DEP_2)
	v_mov_b32_e32 v123, v121
	s_wait_loadcnt_dscnt 0x0
	v_pk_mul_f32 v[120:121], v[130:131], v[24:25] /*v[280:281]*/ op_sel:[1,1] op_sel_hi:[0,1]
	s_set_vgpr_msb 0                        ;  msbs: dst=0 src0=0 src1=0 src2=0
	v_pk_add_f32 v[118:119], v[118:119], v[122:123]
	s_set_vgpr_msb 4                        ;  msbs: dst=0 src0=0 src1=1 src2=0
	s_delay_alu instid0(VALU_DEP_2) | instskip(SKIP_1) | instid1(VALU_DEP_1)
	v_pk_fma_f32 v[122:123], v[130:131], v[24:25] /*v[280:281]*/, v[120:121] neg_lo:[0,0,1] neg_hi:[0,0,1]
	v_pk_fma_f32 v[120:121], v[130:131], v[24:25] /*v[280:281]*/, v[120:121] op_sel_hi:[1,0,1]
	v_mov_b32_e32 v123, v121
	scratch_load_b64 v[120:121], off, off offset:112
	s_set_vgpr_msb 0                        ;  msbs: dst=0 src0=0 src1=0 src2=0
	v_pk_add_f32 v[118:119], v[118:119], v[122:123]
	s_wait_loadcnt 0x0
	s_delay_alu instid0(VALU_DEP_1)
	v_pk_add_f32 v[118:119], v[120:121], v[118:119] neg_lo:[0,1] neg_hi:[0,1]
	scratch_store_b64 off, v[118:119], off offset:112
	s_wait_xcnt 0x0
	v_cmpx_lt_u32_e32 13, v0
	s_cbranch_execz .LBB121_335
; %bb.334:
	scratch_load_b64 v[118:119], off, off offset:104
	v_mov_b64_e32 v[120:121], 0
	scratch_store_b64 off, v[120:121], off offset:104
	s_wait_loadcnt 0x0
	ds_store_b64 v1, v[118:119]
.LBB121_335:
	s_wait_xcnt 0x0
	s_or_b32 exec_lo, exec_lo, s0
	s_wait_storecnt_dscnt 0x0
	s_barrier_signal -1
	s_barrier_wait -1
	ds_load_b128 v[118:121], v7 offset:576
	ds_load_b128 v[122:125], v7 offset:592
	;; [unrolled: 1-line block ×4, first 2 shown]
	s_clause 0x12
	scratch_load_b128 v[134:137], off, off offset:112
	scratch_load_b128 v[138:141], off, off offset:128
	;; [unrolled: 1-line block ×17, first 2 shown]
	s_set_vgpr_msb 64                       ;  msbs: dst=1 src0=0 src1=0 src2=0
	scratch_load_b128 v[2:5] /*v[258:261]*/, off, off offset:384
	s_set_vgpr_msb 0                        ;  msbs: dst=0 src0=0 src1=0 src2=0
	ds_load_b128 v[150:153], v7 offset:640
	ds_load_b128 v[158:161], v7 offset:656
	;; [unrolled: 1-line block ×14, first 2 shown]
	s_set_vgpr_msb 64                       ;  msbs: dst=1 src0=0 src1=0 src2=0
	s_clause 0x3
	scratch_load_b128 v[6:9] /*v[262:265]*/, off, off offset:400
	scratch_load_b128 v[10:13] /*v[266:269]*/, off, off offset:416
	;; [unrolled: 1-line block ×4, first 2 shown]
	s_mov_b32 s0, exec_lo
	s_wait_loadcnt_dscnt 0x1511
	s_set_vgpr_msb 0                        ;  msbs: dst=0 src0=0 src1=0 src2=0
	v_dual_mul_f32 v9, v118, v135 :: v_dual_mul_f32 v11, v120, v137
	s_delay_alu instid0(VALU_DEP_1) | instskip(NEXT) | instid1(VALU_DEP_1)
	v_dual_fmac_f32 v9, v119, v134 :: v_dual_fmac_f32 v11, v121, v136
	v_add_f32_e32 v9, 0, v9
	s_delay_alu instid0(VALU_DEP_1) | instskip(SKIP_2) | instid1(VALU_DEP_1)
	v_add_f32_e32 v9, v9, v11
	s_wait_loadcnt_dscnt 0x1410
	v_mul_f32_e32 v11, v122, v139
	v_fmac_f32_e32 v11, v123, v138
	s_delay_alu instid0(VALU_DEP_1) | instskip(NEXT) | instid1(VALU_DEP_1)
	v_dual_add_f32 v9, v9, v11 :: v_dual_mul_f32 v11, v124, v141
	v_fmac_f32_e32 v11, v125, v140
	s_delay_alu instid0(VALU_DEP_1) | instskip(SKIP_2) | instid1(VALU_DEP_1)
	v_add_f32_e32 v9, v9, v11
	s_wait_loadcnt_dscnt 0x130f
	v_mul_f32_e32 v11, v126, v143
	v_fmac_f32_e32 v11, v127, v142
	s_delay_alu instid0(VALU_DEP_1) | instskip(NEXT) | instid1(VALU_DEP_1)
	v_dual_add_f32 v9, v9, v11 :: v_dual_mul_f32 v11, v128, v145
	v_fmac_f32_e32 v11, v129, v144
	;; [unrolled: 8-line block ×16, first 2 shown]
	s_set_vgpr_msb 64                       ;  msbs: dst=1 src0=0 src1=0 src2=0
	s_delay_alu instid0(VALU_DEP_1) | instskip(SKIP_2) | instid1(VALU_DEP_1)
	v_add_f32_e32 v23 /*v279*/, v9, v11
	s_set_vgpr_msb 0                        ;  msbs: dst=0 src0=0 src1=0 src2=0
	v_dual_mul_f32 v9, v119, v135 :: v_dual_mul_f32 v11, v121, v137
	v_dual_fma_f32 v9, v118, v134, -v9 :: v_dual_fma_f32 v11, v120, v136, -v11
	s_delay_alu instid0(VALU_DEP_1) | instskip(NEXT) | instid1(VALU_DEP_1)
	v_add_f32_e32 v9, 0, v9
	v_add_f32_e32 v9, v9, v11
	v_mul_f32_e32 v11, v123, v139
	s_delay_alu instid0(VALU_DEP_1) | instskip(NEXT) | instid1(VALU_DEP_1)
	v_fma_f32 v11, v122, v138, -v11
	v_add_f32_e32 v9, v9, v11
	v_mul_f32_e32 v11, v125, v141
	s_delay_alu instid0(VALU_DEP_1) | instskip(NEXT) | instid1(VALU_DEP_1)
	v_fma_f32 v11, v124, v140, -v11
	;; [unrolled: 4-line block ×5, first 2 shown]
	v_add_f32_e32 v9, v9, v11
	v_mul_f32_e32 v11, v133, v149
	s_delay_alu instid0(VALU_DEP_1)
	v_fma_f32 v11, v132, v148, -v11
	ds_load_b128 v[118:121], v7 offset:864
	ds_load_b128 v[122:125], v7 offset:880
	;; [unrolled: 1-line block ×4, first 2 shown]
	v_add_f32_e32 v9, v9, v11
	v_mul_f32_e32 v11, v151, v155
	s_delay_alu instid0(VALU_DEP_1) | instskip(NEXT) | instid1(VALU_DEP_1)
	v_fma_f32 v11, v150, v154, -v11
	v_add_f32_e32 v9, v9, v11
	v_mul_f32_e32 v11, v153, v157
	s_wait_loadcnt_dscnt 0x303
	s_set_vgpr_msb 4                        ;  msbs: dst=0 src0=0 src1=1 src2=0
	v_pk_mul_f32 v[136:137], v[118:119], v[6:7] /*v[262:263]*/ op_sel:[1,1] op_sel_hi:[0,1]
	s_set_vgpr_msb 0                        ;  msbs: dst=0 src0=0 src1=0 src2=0
	v_fma_f32 v11, v152, v156, -v11
	s_set_vgpr_msb 4                        ;  msbs: dst=0 src0=0 src1=1 src2=0
	s_delay_alu instid0(VALU_DEP_2)
	v_pk_fma_f32 v[138:139], v[118:119], v[6:7] /*v[262:263]*/, v[136:137] neg_lo:[0,0,1] neg_hi:[0,0,1]
	v_pk_fma_f32 v[118:119], v[118:119], v[6:7] /*v[262:263]*/, v[136:137] op_sel_hi:[1,0,1]
	s_set_vgpr_msb 1                        ;  msbs: dst=0 src0=1 src1=0 src2=0
	v_mov_b32_e32 v136, v9 /*v265*/
	s_set_vgpr_msb 0                        ;  msbs: dst=0 src0=0 src1=0 src2=0
	v_add_f32_e32 v9, v9, v11
	v_mul_f32_e32 v11, v159, v163
	s_delay_alu instid0(VALU_DEP_1) | instskip(NEXT) | instid1(VALU_DEP_1)
	v_dual_mov_b32 v139, v119 :: v_dual_fma_f32 v11, v158, v162, -v11
	v_add_f32_e32 v9, v9, v11
	v_mul_f32_e32 v11, v161, v165
	s_delay_alu instid0(VALU_DEP_1) | instskip(NEXT) | instid1(VALU_DEP_1)
	v_fma_f32 v11, v160, v164, -v11
	v_add_f32_e32 v9, v9, v11
	v_mul_f32_e32 v11, v167, v171
	s_delay_alu instid0(VALU_DEP_1) | instskip(NEXT) | instid1(VALU_DEP_1)
	v_fma_f32 v11, v166, v170, -v11
	;; [unrolled: 4-line block ×22, first 2 shown]
	v_add_f32_e32 v9, v9, v11
	v_mul_f32_e32 v11, v249, v253
	s_delay_alu instid0(VALU_DEP_1) | instskip(SKIP_1) | instid1(VALU_DEP_1)
	v_fma_f32 v11, v248, v252, -v11
	s_set_vgpr_msb 64                       ;  msbs: dst=1 src0=0 src1=0 src2=0
	v_add_f32_e32 v22 /*v278*/, v9, v11
	s_set_vgpr_msb 4                        ;  msbs: dst=0 src0=0 src1=1 src2=0
	v_mul_f32_e32 v9, v255, v3 /*v259*/
	s_set_vgpr_msb 0x44                     ;  msbs: dst=1 src0=0 src1=1 src2=0
	s_delay_alu instid0(VALU_DEP_1) | instskip(NEXT) | instid1(VALU_DEP_1)
	v_dual_mul_f32 v25 /*v281*/, v254, v3 /*v259*/ :: v_dual_fma_f32 v24 /*v280*/, v254, v2 /*v258*/, -v9
	v_fmac_f32_e32 v25 /*v281*/, v255, v2 /*v258*/
	s_set_vgpr_msb 5                        ;  msbs: dst=0 src0=1 src1=1 src2=0
	v_mul_f32_e32 v9, v1 /*v257*/, v5 /*v261*/
	s_set_vgpr_msb 0x45                     ;  msbs: dst=1 src0=1 src1=1 src2=0
	v_mul_f32_e32 v27 /*v283*/, v0 /*v256*/, v5 /*v261*/
	s_set_vgpr_msb 5                        ;  msbs: dst=0 src0=1 src1=1 src2=0
	v_pk_add_f32 v[134:135], v[22:23] /*v[278:279]*/, v[24:25] /*v[280:281]*/
	s_set_vgpr_msb 0x45                     ;  msbs: dst=1 src0=1 src1=1 src2=0
	v_fma_f32 v26 /*v282*/, v0 /*v256*/, v4 /*v260*/, -v9
	v_fmac_f32_e32 v27 /*v283*/, v1 /*v257*/, v4 /*v260*/
	s_set_vgpr_msb 4                        ;  msbs: dst=0 src0=0 src1=1 src2=0
	s_delay_alu instid0(VALU_DEP_1) | instskip(SKIP_1) | instid1(VALU_DEP_1)
	v_pk_add_f32 v[134:135], v[134:135], v[26:27] /*v[282:283]*/
	s_set_vgpr_msb 0                        ;  msbs: dst=0 src0=0 src1=0 src2=0
	v_pk_add_f32 v[118:119], v[134:135], v[138:139]
	v_dual_mov_b32 v134, v121 :: v_dual_mov_b32 v135, v120
	s_delay_alu instid0(VALU_DEP_1) | instskip(SKIP_1) | instid1(VALU_DEP_1)
	v_pk_mul_f32 v[134:135], v[134:135], v[136:137] op_sel_hi:[1,0]
	s_set_vgpr_msb 4                        ;  msbs: dst=0 src0=0 src1=1 src2=0
	v_pk_fma_f32 v[136:137], v[120:121], v[8:9] /*v[264:265]*/, v[134:135] neg_lo:[0,0,1] neg_hi:[0,0,1]
	v_pk_fma_f32 v[120:121], v[120:121], v[8:9] /*v[264:265]*/, v[134:135] op_sel_hi:[1,0,1]
	s_delay_alu instid0(VALU_DEP_1) | instskip(SKIP_3) | instid1(VALU_DEP_2)
	v_mov_b32_e32 v137, v121
	s_wait_loadcnt_dscnt 0x202
	v_pk_mul_f32 v[120:121], v[122:123], v[10:11] /*v[266:267]*/ op_sel:[1,1] op_sel_hi:[0,1]
	s_set_vgpr_msb 0                        ;  msbs: dst=0 src0=0 src1=0 src2=0
	v_pk_add_f32 v[118:119], v[118:119], v[136:137]
	s_set_vgpr_msb 4                        ;  msbs: dst=0 src0=0 src1=1 src2=0
	s_delay_alu instid0(VALU_DEP_2)
	v_pk_fma_f32 v[134:135], v[122:123], v[10:11] /*v[266:267]*/, v[120:121] neg_lo:[0,0,1] neg_hi:[0,0,1]
	v_pk_fma_f32 v[120:121], v[122:123], v[10:11] /*v[266:267]*/, v[120:121] op_sel_hi:[1,0,1]
	v_mov_b32_e32 v120, v125
	s_set_vgpr_msb 1                        ;  msbs: dst=0 src0=1 src1=0 src2=0
	v_mov_b32_e32 v122, v13 /*v269*/
	s_set_vgpr_msb 0                        ;  msbs: dst=0 src0=0 src1=0 src2=0
	v_dual_mov_b32 v135, v121 :: v_dual_mov_b32 v121, v124
	s_delay_alu instid0(VALU_DEP_1) | instskip(NEXT) | instid1(VALU_DEP_2)
	v_pk_add_f32 v[118:119], v[118:119], v[134:135]
	v_pk_mul_f32 v[120:121], v[120:121], v[122:123] op_sel_hi:[1,0]
	s_set_vgpr_msb 4                        ;  msbs: dst=0 src0=0 src1=1 src2=0
	s_delay_alu instid0(VALU_DEP_1) | instskip(SKIP_1) | instid1(VALU_DEP_1)
	v_pk_fma_f32 v[122:123], v[124:125], v[12:13] /*v[268:269]*/, v[120:121] neg_lo:[0,0,1] neg_hi:[0,0,1]
	v_pk_fma_f32 v[120:121], v[124:125], v[12:13] /*v[268:269]*/, v[120:121] op_sel_hi:[1,0,1]
	v_mov_b32_e32 v123, v121
	s_wait_loadcnt_dscnt 0x101
	v_pk_mul_f32 v[120:121], v[126:127], v[14:15] /*v[270:271]*/ op_sel:[1,1] op_sel_hi:[0,1]
	s_set_vgpr_msb 0                        ;  msbs: dst=0 src0=0 src1=0 src2=0
	s_delay_alu instid0(VALU_DEP_2) | instskip(SKIP_1) | instid1(VALU_DEP_2)
	v_pk_add_f32 v[118:119], v[118:119], v[122:123]
	s_set_vgpr_msb 4                        ;  msbs: dst=0 src0=0 src1=1 src2=0
	v_pk_fma_f32 v[122:123], v[126:127], v[14:15] /*v[270:271]*/, v[120:121] neg_lo:[0,0,1] neg_hi:[0,0,1]
	v_pk_fma_f32 v[120:121], v[126:127], v[14:15] /*v[270:271]*/, v[120:121] op_sel_hi:[1,0,1]
	s_delay_alu instid0(VALU_DEP_1) | instskip(SKIP_2) | instid1(VALU_DEP_2)
	v_dual_mov_b32 v120, v129 :: v_dual_mov_b32 v123, v121
	v_mov_b32_e32 v121, v128
	s_set_vgpr_msb 0                        ;  msbs: dst=0 src0=0 src1=0 src2=0
	v_pk_add_f32 v[118:119], v[118:119], v[122:123]
	s_set_vgpr_msb 1                        ;  msbs: dst=0 src0=1 src1=0 src2=0
	v_mov_b32_e32 v122, v17 /*v273*/
	s_set_vgpr_msb 0                        ;  msbs: dst=0 src0=0 src1=0 src2=0
	s_delay_alu instid0(VALU_DEP_1) | instskip(SKIP_1) | instid1(VALU_DEP_1)
	v_pk_mul_f32 v[120:121], v[120:121], v[122:123] op_sel_hi:[1,0]
	s_set_vgpr_msb 4                        ;  msbs: dst=0 src0=0 src1=1 src2=0
	v_pk_fma_f32 v[122:123], v[128:129], v[16:17] /*v[272:273]*/, v[120:121] neg_lo:[0,0,1] neg_hi:[0,0,1]
	v_pk_fma_f32 v[120:121], v[128:129], v[16:17] /*v[272:273]*/, v[120:121] op_sel_hi:[1,0,1]
	s_delay_alu instid0(VALU_DEP_1) | instskip(SKIP_3) | instid1(VALU_DEP_2)
	v_mov_b32_e32 v123, v121
	s_wait_loadcnt_dscnt 0x0
	v_pk_mul_f32 v[120:121], v[130:131], v[18:19] /*v[274:275]*/ op_sel:[1,1] op_sel_hi:[0,1]
	s_set_vgpr_msb 0                        ;  msbs: dst=0 src0=0 src1=0 src2=0
	v_pk_add_f32 v[118:119], v[118:119], v[122:123]
	s_set_vgpr_msb 4                        ;  msbs: dst=0 src0=0 src1=1 src2=0
	s_delay_alu instid0(VALU_DEP_2) | instskip(SKIP_1) | instid1(VALU_DEP_1)
	v_pk_fma_f32 v[122:123], v[130:131], v[18:19] /*v[274:275]*/, v[120:121] neg_lo:[0,0,1] neg_hi:[0,0,1]
	v_pk_fma_f32 v[120:121], v[130:131], v[18:19] /*v[274:275]*/, v[120:121] op_sel_hi:[1,0,1]
	v_dual_mov_b32 v120, v133 :: v_dual_mov_b32 v123, v121
	v_mov_b32_e32 v121, v132
	s_set_vgpr_msb 0                        ;  msbs: dst=0 src0=0 src1=0 src2=0
	s_delay_alu instid0(VALU_DEP_2) | instskip(SKIP_3) | instid1(VALU_DEP_1)
	v_pk_add_f32 v[118:119], v[118:119], v[122:123]
	s_set_vgpr_msb 1                        ;  msbs: dst=0 src0=1 src1=0 src2=0
	v_mov_b32_e32 v122, v21 /*v277*/
	s_set_vgpr_msb 0                        ;  msbs: dst=0 src0=0 src1=0 src2=0
	v_pk_mul_f32 v[120:121], v[120:121], v[122:123] op_sel_hi:[1,0]
	s_set_vgpr_msb 4                        ;  msbs: dst=0 src0=0 src1=1 src2=0
	s_delay_alu instid0(VALU_DEP_1) | instskip(SKIP_1) | instid1(VALU_DEP_1)
	v_pk_fma_f32 v[122:123], v[132:133], v[20:21] /*v[276:277]*/, v[120:121] neg_lo:[0,0,1] neg_hi:[0,0,1]
	v_pk_fma_f32 v[120:121], v[132:133], v[20:21] /*v[276:277]*/, v[120:121] op_sel_hi:[1,0,1]
	v_mov_b32_e32 v123, v121
	scratch_load_b64 v[120:121], off, off offset:104
	s_set_vgpr_msb 0                        ;  msbs: dst=0 src0=0 src1=0 src2=0
	v_pk_add_f32 v[118:119], v[118:119], v[122:123]
	s_wait_loadcnt 0x0
	s_delay_alu instid0(VALU_DEP_1)
	v_pk_add_f32 v[118:119], v[120:121], v[118:119] neg_lo:[0,1] neg_hi:[0,1]
	scratch_store_b64 off, v[118:119], off offset:104
	s_wait_xcnt 0x0
	v_cmpx_lt_u32_e32 12, v0
	s_cbranch_execz .LBB121_337
; %bb.336:
	scratch_load_b64 v[118:119], off, off offset:96
	v_mov_b64_e32 v[120:121], 0
	scratch_store_b64 off, v[120:121], off offset:96
	s_wait_loadcnt 0x0
	ds_store_b64 v1, v[118:119]
.LBB121_337:
	s_wait_xcnt 0x0
	s_or_b32 exec_lo, exec_lo, s0
	s_wait_storecnt_dscnt 0x0
	s_barrier_signal -1
	s_barrier_wait -1
	s_clause 0xf
	scratch_load_b128 v[122:125], off, off offset:104
	scratch_load_b128 v[130:133], off, off offset:120
	;; [unrolled: 1-line block ×16, first 2 shown]
	v_mov_b32_e32 v7, 0
	s_clause 0x3
	scratch_load_b128 v[250:253], off, off offset:360
	s_set_vgpr_msb 64                       ;  msbs: dst=1 src0=0 src1=0 src2=0
	scratch_load_b128 v[2:5] /*v[258:261]*/, off, off offset:376
	scratch_load_b128 v[10:13] /*v[266:269]*/, off, off offset:392
	s_mov_b32 s0, exec_lo
	s_set_vgpr_msb 0                        ;  msbs: dst=0 src0=0 src1=0 src2=0
	ds_load_2addr_b64 v[118:121], v7 offset0:71 offset1:72
	ds_load_2addr_b64 v[126:129], v7 offset0:73 offset1:74
	s_wait_loadcnt_dscnt 0x1201
	v_dual_mul_f32 v9, v118, v123 :: v_dual_mul_f32 v11, v120, v125
	ds_load_2addr_b64 v[134:137], v7 offset0:75 offset1:76
	ds_load_2addr_b64 v[142:145], v7 offset0:77 offset1:78
	;; [unrolled: 1-line block ×4, first 2 shown]
	v_dual_fmac_f32 v9, v119, v122 :: v_dual_fmac_f32 v11, v121, v124
	ds_load_2addr_b64 v[166:169], v7 offset0:83 offset1:84
	ds_load_2addr_b64 v[174:177], v7 offset0:85 offset1:86
	ds_load_2addr_b64 v[182:185], v7 offset0:87 offset1:88
	ds_load_2addr_b64 v[190:193], v7 offset0:89 offset1:90
	v_add_f32_e32 v9, 0, v9
	ds_load_2addr_b64 v[198:201], v7 offset0:91 offset1:92
	ds_load_2addr_b64 v[206:209], v7 offset0:93 offset1:94
	;; [unrolled: 1-line block ×4, first 2 shown]
	v_add_f32_e32 v9, v9, v11
	s_wait_loadcnt_dscnt 0x110c
	v_mul_f32_e32 v11, v126, v131
	ds_load_2addr_b64 v[230:233], v7 offset0:99 offset1:100
	ds_load_2addr_b64 v[238:241], v7 offset0:101 offset1:102
	;; [unrolled: 1-line block ×4, first 2 shown]
	v_fmac_f32_e32 v11, v127, v130
	s_set_vgpr_msb 64                       ;  msbs: dst=1 src0=0 src1=0 src2=0
	ds_load_2addr_b64 v[6:9] /*v[262:265]*/, v7 offset0:107 offset1:108
	s_clause 0x3
	scratch_load_b128 v[14:17] /*v[270:273]*/, off, off offset:408
	scratch_load_b128 v[18:21] /*v[274:277]*/, off, off offset:424
	;; [unrolled: 1-line block ×3, first 2 shown]
	scratch_load_b64 v[32:33] /*v[288:289]*/, off, off offset:456
	s_set_vgpr_msb 0                        ;  msbs: dst=0 src0=0 src1=0 src2=0
	v_dual_add_f32 v9, v9, v11 :: v_dual_mul_f32 v11, v128, v133
	s_delay_alu instid0(VALU_DEP_1) | instskip(NEXT) | instid1(VALU_DEP_1)
	v_fmac_f32_e32 v11, v129, v132
	v_add_f32_e32 v9, v9, v11
	s_wait_loadcnt_dscnt 0x1410
	v_mul_f32_e32 v11, v134, v139
	s_wait_loadcnt_dscnt 0x400
	s_set_vgpr_msb 0x45                     ;  msbs: dst=1 src0=1 src1=1 src2=0
	v_dual_mul_f32 v29 /*v285*/, v0 /*v256*/, v5 /*v261*/ :: v_dual_mul_f32 v31 /*v287*/, v6 /*v262*/, v11 /*v267*/
	s_set_vgpr_msb 0                        ;  msbs: dst=0 src0=0 src1=0 src2=0
	v_fmac_f32_e32 v11, v135, v138
	s_set_vgpr_msb 0x45                     ;  msbs: dst=1 src0=1 src1=1 src2=0
	s_delay_alu instid0(VALU_DEP_2) | instskip(SKIP_1) | instid1(VALU_DEP_2)
	v_dual_fmac_f32 v29 /*v285*/, v1 /*v257*/, v4 /*v260*/ :: v_dual_fmac_f32 v31 /*v287*/, v7 /*v263*/, v10 /*v266*/
	s_set_vgpr_msb 0                        ;  msbs: dst=0 src0=0 src1=0 src2=0
	v_dual_add_f32 v9, v9, v11 :: v_dual_mul_f32 v11, v136, v141
	s_delay_alu instid0(VALU_DEP_1) | instskip(NEXT) | instid1(VALU_DEP_1)
	v_fmac_f32_e32 v11, v137, v140
	v_add_f32_e32 v9, v9, v11
	v_mul_f32_e32 v11, v142, v147
	s_delay_alu instid0(VALU_DEP_1) | instskip(NEXT) | instid1(VALU_DEP_1)
	v_fmac_f32_e32 v11, v143, v146
	v_dual_add_f32 v9, v9, v11 :: v_dual_mul_f32 v11, v144, v149
	s_delay_alu instid0(VALU_DEP_1) | instskip(NEXT) | instid1(VALU_DEP_1)
	v_fmac_f32_e32 v11, v145, v148
	v_add_f32_e32 v9, v9, v11
	v_mul_f32_e32 v11, v150, v155
	s_delay_alu instid0(VALU_DEP_1) | instskip(NEXT) | instid1(VALU_DEP_1)
	v_fmac_f32_e32 v11, v151, v154
	;; [unrolled: 7-line block ×14, first 2 shown]
	v_dual_add_f32 v9, v9, v11 :: v_dual_mul_f32 v11, v248, v253
	s_delay_alu instid0(VALU_DEP_1) | instskip(NEXT) | instid1(VALU_DEP_1)
	v_fmac_f32_e32 v11, v249, v252
	v_add_f32_e32 v9, v9, v11
	s_set_vgpr_msb 4                        ;  msbs: dst=0 src0=0 src1=1 src2=0
	v_mul_f32_e32 v11, v254, v3 /*v259*/
	s_delay_alu instid0(VALU_DEP_1) | instskip(SKIP_1) | instid1(VALU_DEP_1)
	v_fmac_f32_e32 v11, v255, v2 /*v258*/
	s_set_vgpr_msb 64                       ;  msbs: dst=1 src0=0 src1=0 src2=0
	v_add_f32_e32 v27 /*v283*/, v9, v11
	s_set_vgpr_msb 0                        ;  msbs: dst=0 src0=0 src1=0 src2=0
	v_dual_mul_f32 v9, v119, v123 :: v_dual_mul_f32 v11, v121, v125
	s_delay_alu instid0(VALU_DEP_1) | instskip(NEXT) | instid1(VALU_DEP_1)
	v_dual_fma_f32 v9, v118, v122, -v9 :: v_dual_fma_f32 v11, v120, v124, -v11
	v_add_f32_e32 v9, 0, v9
	s_delay_alu instid0(VALU_DEP_1) | instskip(SKIP_1) | instid1(VALU_DEP_1)
	v_add_f32_e32 v9, v9, v11
	v_mul_f32_e32 v11, v127, v131
	v_fma_f32 v11, v126, v130, -v11
	s_delay_alu instid0(VALU_DEP_1) | instskip(SKIP_1) | instid1(VALU_DEP_1)
	v_add_f32_e32 v9, v9, v11
	v_mul_f32_e32 v11, v129, v133
	v_fma_f32 v11, v128, v132, -v11
	ds_load_2addr_b64 v[118:121], v7 offset0:109 offset1:110
	ds_load_2addr_b64 v[122:125], v7 offset0:111 offset1:112
	;; [unrolled: 1-line block ×3, first 2 shown]
	ds_load_b64 v[130:131], v7 offset:920
	v_add_f32_e32 v9, v9, v11
	v_mul_f32_e32 v11, v135, v139
	s_set_vgpr_msb 1                        ;  msbs: dst=0 src0=1 src1=0 src2=0
	v_mov_b32_e32 v135, v8 /*v264*/
	s_set_vgpr_msb 0                        ;  msbs: dst=0 src0=0 src1=0 src2=0
	s_delay_alu instid0(VALU_DEP_2) | instskip(SKIP_3) | instid1(VALU_DEP_2)
	v_fma_f32 v11, v134, v138, -v11
	s_set_vgpr_msb 1                        ;  msbs: dst=0 src0=1 src1=0 src2=0
	v_mov_b32_e32 v134, v9 /*v265*/
	s_set_vgpr_msb 0                        ;  msbs: dst=0 src0=0 src1=0 src2=0
	v_add_f32_e32 v9, v9, v11
	v_mul_f32_e32 v11, v137, v141
	s_delay_alu instid0(VALU_DEP_1) | instskip(SKIP_3) | instid1(VALU_DEP_2)
	v_fma_f32 v11, v136, v140, -v11
	s_set_vgpr_msb 1                        ;  msbs: dst=0 src0=1 src1=0 src2=0
	v_mov_b32_e32 v136, v13 /*v269*/
	s_set_vgpr_msb 0                        ;  msbs: dst=0 src0=0 src1=0 src2=0
	v_add_f32_e32 v9, v9, v11
	v_mul_f32_e32 v11, v143, v147
	s_delay_alu instid0(VALU_DEP_3) | instskip(NEXT) | instid1(VALU_DEP_2)
	v_pk_mul_f32 v[134:135], v[134:135], v[136:137] op_sel_hi:[1,0]
	v_fma_f32 v11, v142, v146, -v11
	s_set_vgpr_msb 5                        ;  msbs: dst=0 src0=1 src1=1 src2=0
	s_delay_alu instid0(VALU_DEP_2) | instskip(SKIP_3) | instid1(VALU_DEP_2)
	v_pk_fma_f32 v[136:137], v[8:9] /*v[264:265]*/, v[12:13] /*v[268:269]*/, v[134:135] neg_lo:[0,0,1] neg_hi:[0,0,1]
	v_pk_fma_f32 v[134:135], v[8:9] /*v[264:265]*/, v[12:13] /*v[268:269]*/, v[134:135] op_sel_hi:[1,0,1]
	s_set_vgpr_msb 0                        ;  msbs: dst=0 src0=0 src1=0 src2=0
	v_add_f32_e32 v9, v9, v11
	v_dual_mul_f32 v11, v145, v149 :: v_dual_mov_b32 v137, v135
	s_wait_loadcnt_dscnt 0x303
	s_set_vgpr_msb 4                        ;  msbs: dst=0 src0=0 src1=1 src2=0
	v_pk_mul_f32 v[134:135], v[118:119], v[14:15] /*v[270:271]*/ op_sel:[1,1] op_sel_hi:[0,1]
	s_set_vgpr_msb 0                        ;  msbs: dst=0 src0=0 src1=0 src2=0
	v_fma_f32 v11, v144, v148, -v11
	s_delay_alu instid0(VALU_DEP_1) | instskip(SKIP_1) | instid1(VALU_DEP_1)
	v_add_f32_e32 v9, v9, v11
	v_mul_f32_e32 v11, v151, v155
	v_fma_f32 v11, v150, v154, -v11
	s_delay_alu instid0(VALU_DEP_1) | instskip(SKIP_1) | instid1(VALU_DEP_1)
	v_add_f32_e32 v9, v9, v11
	v_mul_f32_e32 v11, v153, v157
	;; [unrolled: 4-line block ×26, first 2 shown]
	v_fma_f32 v11, v248, v252, -v11
	s_delay_alu instid0(VALU_DEP_1) | instskip(SKIP_2) | instid1(VALU_DEP_1)
	v_add_f32_e32 v9, v9, v11
	s_set_vgpr_msb 4                        ;  msbs: dst=0 src0=0 src1=1 src2=0
	v_mul_f32_e32 v11, v255, v3 /*v259*/
	v_fma_f32 v11, v254, v2 /*v258*/, -v11
	s_set_vgpr_msb 64                       ;  msbs: dst=1 src0=0 src1=0 src2=0
	s_delay_alu instid0(VALU_DEP_1) | instskip(SKIP_3) | instid1(VALU_DEP_1)
	v_add_f32_e32 v26 /*v282*/, v9, v11
	s_set_vgpr_msb 5                        ;  msbs: dst=0 src0=1 src1=1 src2=0
	v_mul_f32_e32 v9, v1 /*v257*/, v5 /*v261*/
	s_set_vgpr_msb 0x45                     ;  msbs: dst=1 src0=1 src1=1 src2=0
	v_fma_f32 v28 /*v284*/, v0 /*v256*/, v4 /*v260*/, -v9
	s_set_vgpr_msb 5                        ;  msbs: dst=0 src0=1 src1=1 src2=0
	v_mul_f32_e32 v9, v7 /*v263*/, v11 /*v267*/
	s_set_vgpr_msb 0x45                     ;  msbs: dst=1 src0=1 src1=1 src2=0
	s_delay_alu instid0(VALU_DEP_1) | instskip(SKIP_3) | instid1(VALU_DEP_1)
	v_fma_f32 v30 /*v286*/, v6 /*v262*/, v10 /*v266*/, -v9
	s_set_vgpr_msb 5                        ;  msbs: dst=0 src0=1 src1=1 src2=0
	v_pk_add_f32 v[132:133], v[26:27] /*v[282:283]*/, v[28:29] /*v[284:285]*/
	s_set_vgpr_msb 4                        ;  msbs: dst=0 src0=0 src1=1 src2=0
	v_pk_add_f32 v[132:133], v[132:133], v[30:31] /*v[286:287]*/
	s_set_vgpr_msb 0                        ;  msbs: dst=0 src0=0 src1=0 src2=0
	s_delay_alu instid0(VALU_DEP_1)
	v_pk_add_f32 v[132:133], v[132:133], v[136:137]
	s_set_vgpr_msb 4                        ;  msbs: dst=0 src0=0 src1=1 src2=0
	v_pk_fma_f32 v[136:137], v[118:119], v[14:15] /*v[270:271]*/, v[134:135] neg_lo:[0,0,1] neg_hi:[0,0,1]
	v_pk_fma_f32 v[118:119], v[118:119], v[14:15] /*v[270:271]*/, v[134:135] op_sel_hi:[1,0,1]
	s_set_vgpr_msb 1                        ;  msbs: dst=0 src0=1 src1=0 src2=0
	v_mov_b32_e32 v134, v17 /*v273*/
	s_set_vgpr_msb 0                        ;  msbs: dst=0 src0=0 src1=0 src2=0
	s_delay_alu instid0(VALU_DEP_2) | instskip(NEXT) | instid1(VALU_DEP_1)
	v_mov_b32_e32 v137, v119
	v_pk_add_f32 v[118:119], v[132:133], v[136:137]
	v_dual_mov_b32 v132, v121 :: v_dual_mov_b32 v133, v120
	s_delay_alu instid0(VALU_DEP_1) | instskip(SKIP_1) | instid1(VALU_DEP_1)
	v_pk_mul_f32 v[132:133], v[132:133], v[134:135] op_sel_hi:[1,0]
	s_set_vgpr_msb 4                        ;  msbs: dst=0 src0=0 src1=1 src2=0
	v_pk_fma_f32 v[134:135], v[120:121], v[16:17] /*v[272:273]*/, v[132:133] neg_lo:[0,0,1] neg_hi:[0,0,1]
	v_pk_fma_f32 v[120:121], v[120:121], v[16:17] /*v[272:273]*/, v[132:133] op_sel_hi:[1,0,1]
	s_delay_alu instid0(VALU_DEP_1) | instskip(SKIP_3) | instid1(VALU_DEP_2)
	v_mov_b32_e32 v135, v121
	s_wait_loadcnt_dscnt 0x202
	v_pk_mul_f32 v[120:121], v[122:123], v[18:19] /*v[274:275]*/ op_sel:[1,1] op_sel_hi:[0,1]
	s_set_vgpr_msb 0                        ;  msbs: dst=0 src0=0 src1=0 src2=0
	v_pk_add_f32 v[118:119], v[118:119], v[134:135]
	s_set_vgpr_msb 4                        ;  msbs: dst=0 src0=0 src1=1 src2=0
	s_delay_alu instid0(VALU_DEP_2)
	v_pk_fma_f32 v[132:133], v[122:123], v[18:19] /*v[274:275]*/, v[120:121] neg_lo:[0,0,1] neg_hi:[0,0,1]
	v_pk_fma_f32 v[120:121], v[122:123], v[18:19] /*v[274:275]*/, v[120:121] op_sel_hi:[1,0,1]
	v_mov_b32_e32 v120, v125
	s_set_vgpr_msb 1                        ;  msbs: dst=0 src0=1 src1=0 src2=0
	v_mov_b32_e32 v122, v21 /*v277*/
	s_set_vgpr_msb 0                        ;  msbs: dst=0 src0=0 src1=0 src2=0
	v_dual_mov_b32 v133, v121 :: v_dual_mov_b32 v121, v124
	s_delay_alu instid0(VALU_DEP_1) | instskip(NEXT) | instid1(VALU_DEP_2)
	v_pk_add_f32 v[118:119], v[118:119], v[132:133]
	v_pk_mul_f32 v[120:121], v[120:121], v[122:123] op_sel_hi:[1,0]
	s_set_vgpr_msb 4                        ;  msbs: dst=0 src0=0 src1=1 src2=0
	s_delay_alu instid0(VALU_DEP_1) | instskip(SKIP_1) | instid1(VALU_DEP_1)
	v_pk_fma_f32 v[122:123], v[124:125], v[20:21] /*v[276:277]*/, v[120:121] neg_lo:[0,0,1] neg_hi:[0,0,1]
	v_pk_fma_f32 v[120:121], v[124:125], v[20:21] /*v[276:277]*/, v[120:121] op_sel_hi:[1,0,1]
	v_mov_b32_e32 v123, v121
	s_wait_loadcnt_dscnt 0x101
	v_pk_mul_f32 v[120:121], v[126:127], v[22:23] /*v[278:279]*/ op_sel:[1,1] op_sel_hi:[0,1]
	s_set_vgpr_msb 0                        ;  msbs: dst=0 src0=0 src1=0 src2=0
	s_delay_alu instid0(VALU_DEP_2) | instskip(SKIP_1) | instid1(VALU_DEP_2)
	v_pk_add_f32 v[118:119], v[118:119], v[122:123]
	s_set_vgpr_msb 4                        ;  msbs: dst=0 src0=0 src1=1 src2=0
	v_pk_fma_f32 v[122:123], v[126:127], v[22:23] /*v[278:279]*/, v[120:121] neg_lo:[0,0,1] neg_hi:[0,0,1]
	v_pk_fma_f32 v[120:121], v[126:127], v[22:23] /*v[278:279]*/, v[120:121] op_sel_hi:[1,0,1]
	s_delay_alu instid0(VALU_DEP_1) | instskip(SKIP_2) | instid1(VALU_DEP_2)
	v_dual_mov_b32 v120, v129 :: v_dual_mov_b32 v123, v121
	v_mov_b32_e32 v121, v128
	s_set_vgpr_msb 0                        ;  msbs: dst=0 src0=0 src1=0 src2=0
	v_pk_add_f32 v[118:119], v[118:119], v[122:123]
	s_set_vgpr_msb 1                        ;  msbs: dst=0 src0=1 src1=0 src2=0
	v_mov_b32_e32 v122, v25 /*v281*/
	s_set_vgpr_msb 0                        ;  msbs: dst=0 src0=0 src1=0 src2=0
	s_delay_alu instid0(VALU_DEP_1) | instskip(SKIP_1) | instid1(VALU_DEP_1)
	v_pk_mul_f32 v[120:121], v[120:121], v[122:123] op_sel_hi:[1,0]
	s_set_vgpr_msb 4                        ;  msbs: dst=0 src0=0 src1=1 src2=0
	v_pk_fma_f32 v[122:123], v[128:129], v[24:25] /*v[280:281]*/, v[120:121] neg_lo:[0,0,1] neg_hi:[0,0,1]
	v_pk_fma_f32 v[120:121], v[128:129], v[24:25] /*v[280:281]*/, v[120:121] op_sel_hi:[1,0,1]
	s_delay_alu instid0(VALU_DEP_1) | instskip(SKIP_3) | instid1(VALU_DEP_2)
	v_mov_b32_e32 v123, v121
	s_wait_loadcnt_dscnt 0x0
	v_pk_mul_f32 v[120:121], v[130:131], v[32:33] /*v[288:289]*/ op_sel:[1,1] op_sel_hi:[0,1]
	s_set_vgpr_msb 0                        ;  msbs: dst=0 src0=0 src1=0 src2=0
	v_pk_add_f32 v[118:119], v[118:119], v[122:123]
	s_set_vgpr_msb 4                        ;  msbs: dst=0 src0=0 src1=1 src2=0
	s_delay_alu instid0(VALU_DEP_2) | instskip(SKIP_1) | instid1(VALU_DEP_1)
	v_pk_fma_f32 v[122:123], v[130:131], v[32:33] /*v[288:289]*/, v[120:121] neg_lo:[0,0,1] neg_hi:[0,0,1]
	v_pk_fma_f32 v[120:121], v[130:131], v[32:33] /*v[288:289]*/, v[120:121] op_sel_hi:[1,0,1]
	v_mov_b32_e32 v123, v121
	scratch_load_b64 v[120:121], off, off offset:96
	s_set_vgpr_msb 0                        ;  msbs: dst=0 src0=0 src1=0 src2=0
	v_pk_add_f32 v[118:119], v[118:119], v[122:123]
	s_wait_loadcnt 0x0
	s_delay_alu instid0(VALU_DEP_1)
	v_pk_add_f32 v[118:119], v[120:121], v[118:119] neg_lo:[0,1] neg_hi:[0,1]
	scratch_store_b64 off, v[118:119], off offset:96
	s_wait_xcnt 0x0
	v_cmpx_lt_u32_e32 11, v0
	s_cbranch_execz .LBB121_339
; %bb.338:
	scratch_load_b64 v[118:119], off, off offset:88
	v_mov_b64_e32 v[120:121], 0
	scratch_store_b64 off, v[120:121], off offset:88
	s_wait_loadcnt 0x0
	ds_store_b64 v1, v[118:119]
.LBB121_339:
	s_wait_xcnt 0x0
	s_or_b32 exec_lo, exec_lo, s0
	s_wait_storecnt_dscnt 0x0
	s_barrier_signal -1
	s_barrier_wait -1
	ds_load_b128 v[118:121], v7 offset:560
	ds_load_b128 v[122:125], v7 offset:576
	;; [unrolled: 1-line block ×4, first 2 shown]
	s_clause 0x12
	scratch_load_b128 v[134:137], off, off offset:96
	scratch_load_b128 v[138:141], off, off offset:112
	;; [unrolled: 1-line block ×17, first 2 shown]
	s_set_vgpr_msb 64                       ;  msbs: dst=1 src0=0 src1=0 src2=0
	scratch_load_b128 v[2:5] /*v[258:261]*/, off, off offset:368
	s_set_vgpr_msb 0                        ;  msbs: dst=0 src0=0 src1=0 src2=0
	ds_load_b128 v[150:153], v7 offset:624
	ds_load_b128 v[158:161], v7 offset:640
	;; [unrolled: 1-line block ×14, first 2 shown]
	s_set_vgpr_msb 64                       ;  msbs: dst=1 src0=0 src1=0 src2=0
	ds_load_b128 v[6:9] /*v[262:265]*/, v7 offset:848
	s_clause 0x4
	scratch_load_b128 v[10:13] /*v[266:269]*/, off, off offset:384
	scratch_load_b128 v[14:17] /*v[270:273]*/, off, off offset:400
	;; [unrolled: 1-line block ×5, first 2 shown]
	s_mov_b32 s0, exec_lo
	s_wait_loadcnt_dscnt 0x1612
	s_set_vgpr_msb 0                        ;  msbs: dst=0 src0=0 src1=0 src2=0
	v_dual_mul_f32 v9, v118, v135 :: v_dual_mul_f32 v11, v120, v137
	s_delay_alu instid0(VALU_DEP_1) | instskip(NEXT) | instid1(VALU_DEP_1)
	v_dual_fmac_f32 v9, v119, v134 :: v_dual_fmac_f32 v11, v121, v136
	v_add_f32_e32 v9, 0, v9
	s_delay_alu instid0(VALU_DEP_1) | instskip(SKIP_2) | instid1(VALU_DEP_1)
	v_add_f32_e32 v9, v9, v11
	s_wait_loadcnt_dscnt 0x1511
	v_mul_f32_e32 v11, v122, v139
	v_fmac_f32_e32 v11, v123, v138
	s_delay_alu instid0(VALU_DEP_1) | instskip(NEXT) | instid1(VALU_DEP_1)
	v_dual_add_f32 v9, v9, v11 :: v_dual_mul_f32 v11, v124, v141
	v_fmac_f32_e32 v11, v125, v140
	s_wait_loadcnt_dscnt 0x400
	s_set_vgpr_msb 0x45                     ;  msbs: dst=1 src0=1 src1=1 src2=0
	v_dual_mul_f32 v33 /*v289*/, v6 /*v262*/, v11 /*v267*/ :: v_dual_mul_f32 v35 /*v291*/, v8 /*v264*/, v13 /*v269*/
	s_set_vgpr_msb 0                        ;  msbs: dst=0 src0=0 src1=0 src2=0
	v_add_f32_e32 v9, v9, v11
	v_mul_f32_e32 v11, v126, v143
	s_set_vgpr_msb 0x45                     ;  msbs: dst=1 src0=1 src1=1 src2=0
	v_dual_fmac_f32 v33 /*v289*/, v7 /*v263*/, v10 /*v266*/ :: v_dual_fmac_f32 v35 /*v291*/, v9 /*v265*/, v12 /*v268*/
	s_set_vgpr_msb 0                        ;  msbs: dst=0 src0=0 src1=0 src2=0
	s_delay_alu instid0(VALU_DEP_2) | instskip(NEXT) | instid1(VALU_DEP_1)
	v_fmac_f32_e32 v11, v127, v142
	v_dual_add_f32 v9, v9, v11 :: v_dual_mul_f32 v11, v128, v145
	s_delay_alu instid0(VALU_DEP_1) | instskip(NEXT) | instid1(VALU_DEP_1)
	v_fmac_f32_e32 v11, v129, v144
	v_add_f32_e32 v9, v9, v11
	v_mul_f32_e32 v11, v130, v147
	s_delay_alu instid0(VALU_DEP_1) | instskip(NEXT) | instid1(VALU_DEP_1)
	v_fmac_f32_e32 v11, v131, v146
	v_dual_add_f32 v9, v9, v11 :: v_dual_mul_f32 v11, v132, v149
	s_delay_alu instid0(VALU_DEP_1) | instskip(NEXT) | instid1(VALU_DEP_1)
	v_fmac_f32_e32 v11, v133, v148
	v_add_f32_e32 v9, v9, v11
	v_mul_f32_e32 v11, v150, v155
	s_delay_alu instid0(VALU_DEP_1) | instskip(NEXT) | instid1(VALU_DEP_1)
	;; [unrolled: 7-line block ×14, first 2 shown]
	v_fmac_f32_e32 v11, v247, v250
	v_dual_add_f32 v9, v9, v11 :: v_dual_mul_f32 v11, v248, v253
	s_delay_alu instid0(VALU_DEP_1) | instskip(NEXT) | instid1(VALU_DEP_1)
	v_fmac_f32_e32 v11, v249, v252
	v_add_f32_e32 v9, v9, v11
	s_set_vgpr_msb 4                        ;  msbs: dst=0 src0=0 src1=1 src2=0
	v_mul_f32_e32 v11, v254, v3 /*v259*/
	s_delay_alu instid0(VALU_DEP_1) | instskip(SKIP_1) | instid1(VALU_DEP_1)
	v_fmac_f32_e32 v11, v255, v2 /*v258*/
	s_set_vgpr_msb 0                        ;  msbs: dst=0 src0=0 src1=0 src2=0
	v_add_f32_e32 v9, v9, v11
	s_set_vgpr_msb 5                        ;  msbs: dst=0 src0=1 src1=1 src2=0
	v_mul_f32_e32 v11, v0 /*v256*/, v5 /*v261*/
	s_delay_alu instid0(VALU_DEP_1) | instskip(SKIP_1) | instid1(VALU_DEP_1)
	v_fmac_f32_e32 v11, v1 /*v257*/, v4 /*v260*/
	s_set_vgpr_msb 64                       ;  msbs: dst=1 src0=0 src1=0 src2=0
	v_add_f32_e32 v31 /*v287*/, v9, v11
	s_set_vgpr_msb 0                        ;  msbs: dst=0 src0=0 src1=0 src2=0
	v_dual_mul_f32 v9, v119, v135 :: v_dual_mul_f32 v11, v121, v137
	s_delay_alu instid0(VALU_DEP_1) | instskip(NEXT) | instid1(VALU_DEP_1)
	v_dual_fma_f32 v9, v118, v134, -v9 :: v_dual_fma_f32 v11, v120, v136, -v11
	v_add_f32_e32 v9, 0, v9
	s_delay_alu instid0(VALU_DEP_1) | instskip(SKIP_1) | instid1(VALU_DEP_1)
	v_add_f32_e32 v9, v9, v11
	v_mul_f32_e32 v11, v123, v139
	v_fma_f32 v11, v122, v138, -v11
	s_delay_alu instid0(VALU_DEP_1) | instskip(SKIP_1) | instid1(VALU_DEP_1)
	v_add_f32_e32 v9, v9, v11
	v_mul_f32_e32 v11, v125, v141
	v_fma_f32 v11, v124, v140, -v11
	;; [unrolled: 4-line block ×6, first 2 shown]
	ds_load_b128 v[118:121], v7 offset:864
	ds_load_b128 v[122:125], v7 offset:880
	;; [unrolled: 1-line block ×4, first 2 shown]
	v_add_f32_e32 v9, v9, v11
	v_mul_f32_e32 v11, v151, v155
	s_delay_alu instid0(VALU_DEP_1) | instskip(NEXT) | instid1(VALU_DEP_1)
	v_fma_f32 v11, v150, v154, -v11
	v_add_f32_e32 v9, v9, v11
	v_mul_f32_e32 v11, v153, v157
	s_wait_loadcnt_dscnt 0x303
	s_set_vgpr_msb 4                        ;  msbs: dst=0 src0=0 src1=1 src2=0
	v_pk_mul_f32 v[136:137], v[118:119], v[14:15] /*v[270:271]*/ op_sel:[1,1] op_sel_hi:[0,1]
	s_set_vgpr_msb 0                        ;  msbs: dst=0 src0=0 src1=0 src2=0
	v_fma_f32 v11, v152, v156, -v11
	s_set_vgpr_msb 4                        ;  msbs: dst=0 src0=0 src1=1 src2=0
	s_delay_alu instid0(VALU_DEP_2)
	v_pk_fma_f32 v[138:139], v[118:119], v[14:15] /*v[270:271]*/, v[136:137] neg_lo:[0,0,1] neg_hi:[0,0,1]
	v_pk_fma_f32 v[118:119], v[118:119], v[14:15] /*v[270:271]*/, v[136:137] op_sel_hi:[1,0,1]
	s_set_vgpr_msb 1                        ;  msbs: dst=0 src0=1 src1=0 src2=0
	v_mov_b32_e32 v136, v17 /*v273*/
	s_set_vgpr_msb 0                        ;  msbs: dst=0 src0=0 src1=0 src2=0
	v_add_f32_e32 v9, v9, v11
	v_mul_f32_e32 v11, v159, v163
	s_delay_alu instid0(VALU_DEP_1) | instskip(NEXT) | instid1(VALU_DEP_1)
	v_dual_mov_b32 v139, v119 :: v_dual_fma_f32 v11, v158, v162, -v11
	v_add_f32_e32 v9, v9, v11
	v_mul_f32_e32 v11, v161, v165
	s_delay_alu instid0(VALU_DEP_1) | instskip(NEXT) | instid1(VALU_DEP_1)
	v_fma_f32 v11, v160, v164, -v11
	v_add_f32_e32 v9, v9, v11
	v_mul_f32_e32 v11, v167, v171
	s_delay_alu instid0(VALU_DEP_1) | instskip(NEXT) | instid1(VALU_DEP_1)
	v_fma_f32 v11, v166, v170, -v11
	;; [unrolled: 4-line block ×23, first 2 shown]
	v_add_f32_e32 v9, v9, v11
	s_set_vgpr_msb 4                        ;  msbs: dst=0 src0=0 src1=1 src2=0
	v_mul_f32_e32 v11, v255, v3 /*v259*/
	s_delay_alu instid0(VALU_DEP_1) | instskip(SKIP_1) | instid1(VALU_DEP_1)
	v_fma_f32 v11, v254, v2 /*v258*/, -v11
	s_set_vgpr_msb 0                        ;  msbs: dst=0 src0=0 src1=0 src2=0
	v_add_f32_e32 v9, v9, v11
	s_set_vgpr_msb 5                        ;  msbs: dst=0 src0=1 src1=1 src2=0
	v_mul_f32_e32 v11, v1 /*v257*/, v5 /*v261*/
	s_delay_alu instid0(VALU_DEP_1) | instskip(SKIP_1) | instid1(VALU_DEP_1)
	v_fma_f32 v11, v0 /*v256*/, v4 /*v260*/, -v11
	s_set_vgpr_msb 64                       ;  msbs: dst=1 src0=0 src1=0 src2=0
	v_add_f32_e32 v30 /*v286*/, v9, v11
	s_set_vgpr_msb 5                        ;  msbs: dst=0 src0=1 src1=1 src2=0
	v_mul_f32_e32 v9, v7 /*v263*/, v11 /*v267*/
	s_set_vgpr_msb 0x45                     ;  msbs: dst=1 src0=1 src1=1 src2=0
	s_delay_alu instid0(VALU_DEP_1) | instskip(SKIP_3) | instid1(VALU_DEP_1)
	v_fma_f32 v32 /*v288*/, v6 /*v262*/, v10 /*v266*/, -v9
	s_set_vgpr_msb 5                        ;  msbs: dst=0 src0=1 src1=1 src2=0
	v_mul_f32_e32 v9, v9 /*v265*/, v13 /*v269*/
	s_set_vgpr_msb 0x45                     ;  msbs: dst=1 src0=1 src1=1 src2=0
	v_fma_f32 v34 /*v290*/, v8 /*v264*/, v12 /*v268*/, -v9
	s_set_vgpr_msb 5                        ;  msbs: dst=0 src0=1 src1=1 src2=0
	v_pk_add_f32 v[134:135], v[30:31] /*v[286:287]*/, v[32:33] /*v[288:289]*/
	s_set_vgpr_msb 4                        ;  msbs: dst=0 src0=0 src1=1 src2=0
	s_delay_alu instid0(VALU_DEP_1) | instskip(SKIP_1) | instid1(VALU_DEP_1)
	v_pk_add_f32 v[134:135], v[134:135], v[34:35] /*v[290:291]*/
	s_set_vgpr_msb 0                        ;  msbs: dst=0 src0=0 src1=0 src2=0
	v_pk_add_f32 v[118:119], v[134:135], v[138:139]
	v_dual_mov_b32 v134, v121 :: v_dual_mov_b32 v135, v120
	s_delay_alu instid0(VALU_DEP_1) | instskip(SKIP_1) | instid1(VALU_DEP_1)
	v_pk_mul_f32 v[134:135], v[134:135], v[136:137] op_sel_hi:[1,0]
	s_set_vgpr_msb 4                        ;  msbs: dst=0 src0=0 src1=1 src2=0
	v_pk_fma_f32 v[136:137], v[120:121], v[16:17] /*v[272:273]*/, v[134:135] neg_lo:[0,0,1] neg_hi:[0,0,1]
	v_pk_fma_f32 v[120:121], v[120:121], v[16:17] /*v[272:273]*/, v[134:135] op_sel_hi:[1,0,1]
	s_delay_alu instid0(VALU_DEP_1) | instskip(SKIP_3) | instid1(VALU_DEP_2)
	v_mov_b32_e32 v137, v121
	s_wait_loadcnt_dscnt 0x202
	v_pk_mul_f32 v[120:121], v[122:123], v[18:19] /*v[274:275]*/ op_sel:[1,1] op_sel_hi:[0,1]
	s_set_vgpr_msb 0                        ;  msbs: dst=0 src0=0 src1=0 src2=0
	v_pk_add_f32 v[118:119], v[118:119], v[136:137]
	s_set_vgpr_msb 4                        ;  msbs: dst=0 src0=0 src1=1 src2=0
	s_delay_alu instid0(VALU_DEP_2)
	v_pk_fma_f32 v[134:135], v[122:123], v[18:19] /*v[274:275]*/, v[120:121] neg_lo:[0,0,1] neg_hi:[0,0,1]
	v_pk_fma_f32 v[120:121], v[122:123], v[18:19] /*v[274:275]*/, v[120:121] op_sel_hi:[1,0,1]
	v_mov_b32_e32 v120, v125
	s_set_vgpr_msb 1                        ;  msbs: dst=0 src0=1 src1=0 src2=0
	v_mov_b32_e32 v122, v21 /*v277*/
	s_set_vgpr_msb 0                        ;  msbs: dst=0 src0=0 src1=0 src2=0
	v_dual_mov_b32 v135, v121 :: v_dual_mov_b32 v121, v124
	s_delay_alu instid0(VALU_DEP_1) | instskip(NEXT) | instid1(VALU_DEP_2)
	v_pk_add_f32 v[118:119], v[118:119], v[134:135]
	v_pk_mul_f32 v[120:121], v[120:121], v[122:123] op_sel_hi:[1,0]
	s_set_vgpr_msb 4                        ;  msbs: dst=0 src0=0 src1=1 src2=0
	s_delay_alu instid0(VALU_DEP_1) | instskip(SKIP_1) | instid1(VALU_DEP_1)
	v_pk_fma_f32 v[122:123], v[124:125], v[20:21] /*v[276:277]*/, v[120:121] neg_lo:[0,0,1] neg_hi:[0,0,1]
	v_pk_fma_f32 v[120:121], v[124:125], v[20:21] /*v[276:277]*/, v[120:121] op_sel_hi:[1,0,1]
	v_mov_b32_e32 v123, v121
	s_wait_loadcnt_dscnt 0x101
	v_pk_mul_f32 v[120:121], v[126:127], v[22:23] /*v[278:279]*/ op_sel:[1,1] op_sel_hi:[0,1]
	s_set_vgpr_msb 0                        ;  msbs: dst=0 src0=0 src1=0 src2=0
	s_delay_alu instid0(VALU_DEP_2) | instskip(SKIP_1) | instid1(VALU_DEP_2)
	v_pk_add_f32 v[118:119], v[118:119], v[122:123]
	s_set_vgpr_msb 4                        ;  msbs: dst=0 src0=0 src1=1 src2=0
	v_pk_fma_f32 v[122:123], v[126:127], v[22:23] /*v[278:279]*/, v[120:121] neg_lo:[0,0,1] neg_hi:[0,0,1]
	v_pk_fma_f32 v[120:121], v[126:127], v[22:23] /*v[278:279]*/, v[120:121] op_sel_hi:[1,0,1]
	s_delay_alu instid0(VALU_DEP_1) | instskip(SKIP_2) | instid1(VALU_DEP_2)
	v_dual_mov_b32 v120, v129 :: v_dual_mov_b32 v123, v121
	v_mov_b32_e32 v121, v128
	s_set_vgpr_msb 0                        ;  msbs: dst=0 src0=0 src1=0 src2=0
	v_pk_add_f32 v[118:119], v[118:119], v[122:123]
	s_set_vgpr_msb 1                        ;  msbs: dst=0 src0=1 src1=0 src2=0
	v_mov_b32_e32 v122, v25 /*v281*/
	s_set_vgpr_msb 0                        ;  msbs: dst=0 src0=0 src1=0 src2=0
	s_delay_alu instid0(VALU_DEP_1) | instskip(SKIP_1) | instid1(VALU_DEP_1)
	v_pk_mul_f32 v[120:121], v[120:121], v[122:123] op_sel_hi:[1,0]
	s_set_vgpr_msb 4                        ;  msbs: dst=0 src0=0 src1=1 src2=0
	v_pk_fma_f32 v[122:123], v[128:129], v[24:25] /*v[280:281]*/, v[120:121] neg_lo:[0,0,1] neg_hi:[0,0,1]
	v_pk_fma_f32 v[120:121], v[128:129], v[24:25] /*v[280:281]*/, v[120:121] op_sel_hi:[1,0,1]
	s_delay_alu instid0(VALU_DEP_1) | instskip(SKIP_3) | instid1(VALU_DEP_2)
	v_mov_b32_e32 v123, v121
	s_wait_loadcnt_dscnt 0x0
	v_pk_mul_f32 v[120:121], v[130:131], v[26:27] /*v[282:283]*/ op_sel:[1,1] op_sel_hi:[0,1]
	s_set_vgpr_msb 0                        ;  msbs: dst=0 src0=0 src1=0 src2=0
	v_pk_add_f32 v[118:119], v[118:119], v[122:123]
	s_set_vgpr_msb 4                        ;  msbs: dst=0 src0=0 src1=1 src2=0
	s_delay_alu instid0(VALU_DEP_2) | instskip(SKIP_1) | instid1(VALU_DEP_1)
	v_pk_fma_f32 v[122:123], v[130:131], v[26:27] /*v[282:283]*/, v[120:121] neg_lo:[0,0,1] neg_hi:[0,0,1]
	v_pk_fma_f32 v[120:121], v[130:131], v[26:27] /*v[282:283]*/, v[120:121] op_sel_hi:[1,0,1]
	v_dual_mov_b32 v120, v133 :: v_dual_mov_b32 v123, v121
	v_mov_b32_e32 v121, v132
	s_set_vgpr_msb 0                        ;  msbs: dst=0 src0=0 src1=0 src2=0
	s_delay_alu instid0(VALU_DEP_2) | instskip(SKIP_3) | instid1(VALU_DEP_1)
	v_pk_add_f32 v[118:119], v[118:119], v[122:123]
	s_set_vgpr_msb 1                        ;  msbs: dst=0 src0=1 src1=0 src2=0
	v_mov_b32_e32 v122, v29 /*v285*/
	s_set_vgpr_msb 0                        ;  msbs: dst=0 src0=0 src1=0 src2=0
	v_pk_mul_f32 v[120:121], v[120:121], v[122:123] op_sel_hi:[1,0]
	s_set_vgpr_msb 4                        ;  msbs: dst=0 src0=0 src1=1 src2=0
	s_delay_alu instid0(VALU_DEP_1) | instskip(SKIP_1) | instid1(VALU_DEP_1)
	v_pk_fma_f32 v[122:123], v[132:133], v[28:29] /*v[284:285]*/, v[120:121] neg_lo:[0,0,1] neg_hi:[0,0,1]
	v_pk_fma_f32 v[120:121], v[132:133], v[28:29] /*v[284:285]*/, v[120:121] op_sel_hi:[1,0,1]
	v_mov_b32_e32 v123, v121
	scratch_load_b64 v[120:121], off, off offset:88
	s_set_vgpr_msb 0                        ;  msbs: dst=0 src0=0 src1=0 src2=0
	v_pk_add_f32 v[118:119], v[118:119], v[122:123]
	s_wait_loadcnt 0x0
	s_delay_alu instid0(VALU_DEP_1)
	v_pk_add_f32 v[118:119], v[120:121], v[118:119] neg_lo:[0,1] neg_hi:[0,1]
	scratch_store_b64 off, v[118:119], off offset:88
	s_wait_xcnt 0x0
	v_cmpx_lt_u32_e32 10, v0
	s_cbranch_execz .LBB121_341
; %bb.340:
	scratch_load_b64 v[118:119], off, off offset:80
	v_mov_b64_e32 v[120:121], 0
	scratch_store_b64 off, v[120:121], off offset:80
	s_wait_loadcnt 0x0
	ds_store_b64 v1, v[118:119]
.LBB121_341:
	s_wait_xcnt 0x0
	s_or_b32 exec_lo, exec_lo, s0
	s_wait_storecnt_dscnt 0x0
	s_barrier_signal -1
	s_barrier_wait -1
	s_clause 0xf
	scratch_load_b128 v[122:125], off, off offset:88
	scratch_load_b128 v[130:133], off, off offset:104
	;; [unrolled: 1-line block ×16, first 2 shown]
	v_mov_b32_e32 v7, 0
	s_clause 0x4
	scratch_load_b128 v[250:253], off, off offset:344
	s_set_vgpr_msb 64                       ;  msbs: dst=1 src0=0 src1=0 src2=0
	scratch_load_b128 v[2:5] /*v[258:261]*/, off, off offset:360
	scratch_load_b128 v[10:13] /*v[266:269]*/, off, off offset:376
	;; [unrolled: 1-line block ×3, first 2 shown]
	s_set_vgpr_msb 0                        ;  msbs: dst=0 src0=0 src1=0 src2=0
	ds_load_2addr_b64 v[118:121], v7 offset0:69 offset1:70
	ds_load_2addr_b64 v[126:129], v7 offset0:71 offset1:72
	s_mov_b32 s0, exec_lo
	s_wait_loadcnt_dscnt 0x1301
	v_dual_mul_f32 v9, v118, v123 :: v_dual_mul_f32 v11, v120, v125
	ds_load_2addr_b64 v[134:137], v7 offset0:73 offset1:74
	ds_load_2addr_b64 v[142:145], v7 offset0:75 offset1:76
	;; [unrolled: 1-line block ×4, first 2 shown]
	v_dual_fmac_f32 v9, v119, v122 :: v_dual_fmac_f32 v11, v121, v124
	ds_load_2addr_b64 v[166:169], v7 offset0:81 offset1:82
	ds_load_2addr_b64 v[174:177], v7 offset0:83 offset1:84
	;; [unrolled: 1-line block ×4, first 2 shown]
	v_add_f32_e32 v9, 0, v9
	ds_load_2addr_b64 v[198:201], v7 offset0:89 offset1:90
	ds_load_2addr_b64 v[206:209], v7 offset0:91 offset1:92
	;; [unrolled: 1-line block ×4, first 2 shown]
	v_add_f32_e32 v9, v9, v11
	s_wait_loadcnt_dscnt 0x120c
	v_mul_f32_e32 v11, v126, v131
	ds_load_2addr_b64 v[230:233], v7 offset0:97 offset1:98
	ds_load_2addr_b64 v[238:241], v7 offset0:99 offset1:100
	;; [unrolled: 1-line block ×4, first 2 shown]
	v_fmac_f32_e32 v11, v127, v130
	s_set_vgpr_msb 64                       ;  msbs: dst=1 src0=0 src1=0 src2=0
	ds_load_2addr_b64 v[6:9] /*v[262:265]*/, v7 offset0:105 offset1:106
	ds_load_2addr_b64 v[14:17] /*v[270:273]*/, v7 offset0:107 offset1:108
	s_clause 0x3
	scratch_load_b128 v[22:25] /*v[278:281]*/, off, off offset:408
	scratch_load_b128 v[26:29] /*v[282:285]*/, off, off offset:424
	;; [unrolled: 1-line block ×3, first 2 shown]
	scratch_load_b64 v[40:41] /*v[296:297]*/, off, off offset:456
	s_set_vgpr_msb 0                        ;  msbs: dst=0 src0=0 src1=0 src2=0
	v_dual_add_f32 v9, v9, v11 :: v_dual_mul_f32 v11, v128, v133
	s_delay_alu instid0(VALU_DEP_1) | instskip(NEXT) | instid1(VALU_DEP_1)
	v_fmac_f32_e32 v11, v129, v132
	v_add_f32_e32 v9, v9, v11
	s_wait_loadcnt_dscnt 0x1511
	v_mul_f32_e32 v11, v134, v139
	s_wait_loadcnt_dscnt 0x400
	s_set_vgpr_msb 0x45                     ;  msbs: dst=1 src0=1 src1=1 src2=0
	v_dual_mul_f32 v37 /*v293*/, v8 /*v264*/, v13 /*v269*/ :: v_dual_mul_f32 v39 /*v295*/, v14 /*v270*/, v19 /*v275*/
	s_set_vgpr_msb 0                        ;  msbs: dst=0 src0=0 src1=0 src2=0
	v_fmac_f32_e32 v11, v135, v138
	s_set_vgpr_msb 0x45                     ;  msbs: dst=1 src0=1 src1=1 src2=0
	s_delay_alu instid0(VALU_DEP_2) | instskip(SKIP_1) | instid1(VALU_DEP_2)
	v_dual_fmac_f32 v37 /*v293*/, v9 /*v265*/, v12 /*v268*/ :: v_dual_fmac_f32 v39 /*v295*/, v15 /*v271*/, v18 /*v274*/
	s_set_vgpr_msb 0                        ;  msbs: dst=0 src0=0 src1=0 src2=0
	v_dual_add_f32 v9, v9, v11 :: v_dual_mul_f32 v11, v136, v141
	s_delay_alu instid0(VALU_DEP_1) | instskip(NEXT) | instid1(VALU_DEP_1)
	v_fmac_f32_e32 v11, v137, v140
	v_add_f32_e32 v9, v9, v11
	v_mul_f32_e32 v11, v142, v147
	s_delay_alu instid0(VALU_DEP_1) | instskip(NEXT) | instid1(VALU_DEP_1)
	v_fmac_f32_e32 v11, v143, v146
	v_dual_add_f32 v9, v9, v11 :: v_dual_mul_f32 v11, v144, v149
	s_delay_alu instid0(VALU_DEP_1) | instskip(NEXT) | instid1(VALU_DEP_1)
	v_fmac_f32_e32 v11, v145, v148
	v_add_f32_e32 v9, v9, v11
	v_mul_f32_e32 v11, v150, v155
	s_delay_alu instid0(VALU_DEP_1) | instskip(NEXT) | instid1(VALU_DEP_1)
	v_fmac_f32_e32 v11, v151, v154
	v_dual_add_f32 v9, v9, v11 :: v_dual_mul_f32 v11, v152, v157
	s_delay_alu instid0(VALU_DEP_1) | instskip(NEXT) | instid1(VALU_DEP_1)
	v_fmac_f32_e32 v11, v153, v156
	v_add_f32_e32 v9, v9, v11
	v_mul_f32_e32 v11, v158, v163
	s_delay_alu instid0(VALU_DEP_1) | instskip(NEXT) | instid1(VALU_DEP_1)
	v_fmac_f32_e32 v11, v159, v162
	v_dual_add_f32 v9, v9, v11 :: v_dual_mul_f32 v11, v160, v165
	s_delay_alu instid0(VALU_DEP_1) | instskip(NEXT) | instid1(VALU_DEP_1)
	v_fmac_f32_e32 v11, v161, v164
	v_add_f32_e32 v9, v9, v11
	v_mul_f32_e32 v11, v166, v171
	s_delay_alu instid0(VALU_DEP_1) | instskip(NEXT) | instid1(VALU_DEP_1)
	v_fmac_f32_e32 v11, v167, v170
	v_dual_add_f32 v9, v9, v11 :: v_dual_mul_f32 v11, v168, v173
	s_delay_alu instid0(VALU_DEP_1) | instskip(NEXT) | instid1(VALU_DEP_1)
	v_fmac_f32_e32 v11, v169, v172
	v_add_f32_e32 v9, v9, v11
	v_mul_f32_e32 v11, v174, v179
	s_delay_alu instid0(VALU_DEP_1) | instskip(NEXT) | instid1(VALU_DEP_1)
	v_fmac_f32_e32 v11, v175, v178
	v_dual_add_f32 v9, v9, v11 :: v_dual_mul_f32 v11, v176, v181
	s_delay_alu instid0(VALU_DEP_1) | instskip(NEXT) | instid1(VALU_DEP_1)
	v_fmac_f32_e32 v11, v177, v180
	v_add_f32_e32 v9, v9, v11
	v_mul_f32_e32 v11, v182, v187
	s_delay_alu instid0(VALU_DEP_1) | instskip(NEXT) | instid1(VALU_DEP_1)
	v_fmac_f32_e32 v11, v183, v186
	v_dual_add_f32 v9, v9, v11 :: v_dual_mul_f32 v11, v184, v189
	s_delay_alu instid0(VALU_DEP_1) | instskip(NEXT) | instid1(VALU_DEP_1)
	v_fmac_f32_e32 v11, v185, v188
	v_add_f32_e32 v9, v9, v11
	v_mul_f32_e32 v11, v190, v195
	s_delay_alu instid0(VALU_DEP_1) | instskip(NEXT) | instid1(VALU_DEP_1)
	v_fmac_f32_e32 v11, v191, v194
	v_dual_add_f32 v9, v9, v11 :: v_dual_mul_f32 v11, v192, v197
	s_delay_alu instid0(VALU_DEP_1) | instskip(NEXT) | instid1(VALU_DEP_1)
	v_fmac_f32_e32 v11, v193, v196
	v_add_f32_e32 v9, v9, v11
	v_mul_f32_e32 v11, v198, v203
	s_delay_alu instid0(VALU_DEP_1) | instskip(NEXT) | instid1(VALU_DEP_1)
	v_fmac_f32_e32 v11, v199, v202
	v_dual_add_f32 v9, v9, v11 :: v_dual_mul_f32 v11, v200, v205
	s_delay_alu instid0(VALU_DEP_1) | instskip(NEXT) | instid1(VALU_DEP_1)
	v_fmac_f32_e32 v11, v201, v204
	v_add_f32_e32 v9, v9, v11
	v_mul_f32_e32 v11, v206, v211
	s_delay_alu instid0(VALU_DEP_1) | instskip(NEXT) | instid1(VALU_DEP_1)
	v_fmac_f32_e32 v11, v207, v210
	v_dual_add_f32 v9, v9, v11 :: v_dual_mul_f32 v11, v208, v213
	s_delay_alu instid0(VALU_DEP_1) | instskip(NEXT) | instid1(VALU_DEP_1)
	v_fmac_f32_e32 v11, v209, v212
	v_add_f32_e32 v9, v9, v11
	v_mul_f32_e32 v11, v214, v219
	s_delay_alu instid0(VALU_DEP_1) | instskip(NEXT) | instid1(VALU_DEP_1)
	v_fmac_f32_e32 v11, v215, v218
	v_dual_add_f32 v9, v9, v11 :: v_dual_mul_f32 v11, v216, v221
	s_delay_alu instid0(VALU_DEP_1) | instskip(NEXT) | instid1(VALU_DEP_1)
	v_fmac_f32_e32 v11, v217, v220
	v_add_f32_e32 v9, v9, v11
	v_mul_f32_e32 v11, v222, v227
	s_delay_alu instid0(VALU_DEP_1) | instskip(NEXT) | instid1(VALU_DEP_1)
	v_fmac_f32_e32 v11, v223, v226
	v_dual_add_f32 v9, v9, v11 :: v_dual_mul_f32 v11, v224, v229
	s_delay_alu instid0(VALU_DEP_1) | instskip(NEXT) | instid1(VALU_DEP_1)
	v_fmac_f32_e32 v11, v225, v228
	v_add_f32_e32 v9, v9, v11
	v_mul_f32_e32 v11, v230, v235
	s_delay_alu instid0(VALU_DEP_1) | instskip(NEXT) | instid1(VALU_DEP_1)
	v_fmac_f32_e32 v11, v231, v234
	v_dual_add_f32 v9, v9, v11 :: v_dual_mul_f32 v11, v232, v237
	s_delay_alu instid0(VALU_DEP_1) | instskip(NEXT) | instid1(VALU_DEP_1)
	v_fmac_f32_e32 v11, v233, v236
	v_add_f32_e32 v9, v9, v11
	v_mul_f32_e32 v11, v238, v243
	s_delay_alu instid0(VALU_DEP_1) | instskip(NEXT) | instid1(VALU_DEP_1)
	v_fmac_f32_e32 v11, v239, v242
	v_dual_add_f32 v9, v9, v11 :: v_dual_mul_f32 v11, v240, v245
	s_delay_alu instid0(VALU_DEP_1) | instskip(NEXT) | instid1(VALU_DEP_1)
	v_fmac_f32_e32 v11, v241, v244
	v_add_f32_e32 v9, v9, v11
	v_mul_f32_e32 v11, v246, v251
	s_delay_alu instid0(VALU_DEP_1) | instskip(NEXT) | instid1(VALU_DEP_1)
	v_fmac_f32_e32 v11, v247, v250
	v_dual_add_f32 v9, v9, v11 :: v_dual_mul_f32 v11, v248, v253
	s_delay_alu instid0(VALU_DEP_1) | instskip(NEXT) | instid1(VALU_DEP_1)
	v_fmac_f32_e32 v11, v249, v252
	v_add_f32_e32 v9, v9, v11
	s_set_vgpr_msb 4                        ;  msbs: dst=0 src0=0 src1=1 src2=0
	v_mul_f32_e32 v11, v254, v3 /*v259*/
	s_delay_alu instid0(VALU_DEP_1) | instskip(SKIP_1) | instid1(VALU_DEP_1)
	v_fmac_f32_e32 v11, v255, v2 /*v258*/
	s_set_vgpr_msb 0                        ;  msbs: dst=0 src0=0 src1=0 src2=0
	v_add_f32_e32 v9, v9, v11
	s_set_vgpr_msb 5                        ;  msbs: dst=0 src0=1 src1=1 src2=0
	v_mul_f32_e32 v11, v0 /*v256*/, v5 /*v261*/
	s_delay_alu instid0(VALU_DEP_1) | instskip(SKIP_1) | instid1(VALU_DEP_1)
	v_fmac_f32_e32 v11, v1 /*v257*/, v4 /*v260*/
	s_set_vgpr_msb 0                        ;  msbs: dst=0 src0=0 src1=0 src2=0
	v_add_f32_e32 v9, v9, v11
	s_set_vgpr_msb 5                        ;  msbs: dst=0 src0=1 src1=1 src2=0
	v_mul_f32_e32 v11, v6 /*v262*/, v11 /*v267*/
	s_delay_alu instid0(VALU_DEP_1) | instskip(SKIP_1) | instid1(VALU_DEP_1)
	v_fmac_f32_e32 v11, v7 /*v263*/, v10 /*v266*/
	s_set_vgpr_msb 64                       ;  msbs: dst=1 src0=0 src1=0 src2=0
	v_add_f32_e32 v35 /*v291*/, v9, v11
	s_set_vgpr_msb 0                        ;  msbs: dst=0 src0=0 src1=0 src2=0
	v_dual_mul_f32 v9, v119, v123 :: v_dual_mul_f32 v11, v121, v125
	s_delay_alu instid0(VALU_DEP_1) | instskip(NEXT) | instid1(VALU_DEP_1)
	v_dual_fma_f32 v9, v118, v122, -v9 :: v_dual_fma_f32 v11, v120, v124, -v11
	v_add_f32_e32 v9, 0, v9
	s_delay_alu instid0(VALU_DEP_1) | instskip(SKIP_1) | instid1(VALU_DEP_1)
	v_add_f32_e32 v9, v9, v11
	v_mul_f32_e32 v11, v127, v131
	v_fma_f32 v11, v126, v130, -v11
	s_delay_alu instid0(VALU_DEP_1) | instskip(SKIP_1) | instid1(VALU_DEP_1)
	v_add_f32_e32 v9, v9, v11
	v_mul_f32_e32 v11, v129, v133
	v_fma_f32 v11, v128, v132, -v11
	ds_load_2addr_b64 v[118:121], v7 offset0:109 offset1:110
	ds_load_2addr_b64 v[122:125], v7 offset0:111 offset1:112
	;; [unrolled: 1-line block ×3, first 2 shown]
	ds_load_b64 v[130:131], v7 offset:920
	v_add_f32_e32 v9, v9, v11
	v_mul_f32_e32 v11, v135, v139
	s_set_vgpr_msb 1                        ;  msbs: dst=0 src0=1 src1=0 src2=0
	v_mov_b32_e32 v135, v16 /*v272*/
	s_set_vgpr_msb 0                        ;  msbs: dst=0 src0=0 src1=0 src2=0
	s_delay_alu instid0(VALU_DEP_2) | instskip(SKIP_3) | instid1(VALU_DEP_2)
	v_fma_f32 v11, v134, v138, -v11
	s_set_vgpr_msb 1                        ;  msbs: dst=0 src0=1 src1=0 src2=0
	v_mov_b32_e32 v134, v17 /*v273*/
	s_set_vgpr_msb 0                        ;  msbs: dst=0 src0=0 src1=0 src2=0
	v_add_f32_e32 v9, v9, v11
	v_mul_f32_e32 v11, v137, v141
	s_delay_alu instid0(VALU_DEP_1) | instskip(SKIP_3) | instid1(VALU_DEP_2)
	v_fma_f32 v11, v136, v140, -v11
	s_set_vgpr_msb 1                        ;  msbs: dst=0 src0=1 src1=0 src2=0
	v_mov_b32_e32 v136, v21 /*v277*/
	s_set_vgpr_msb 0                        ;  msbs: dst=0 src0=0 src1=0 src2=0
	v_add_f32_e32 v9, v9, v11
	v_mul_f32_e32 v11, v143, v147
	s_delay_alu instid0(VALU_DEP_3) | instskip(NEXT) | instid1(VALU_DEP_2)
	v_pk_mul_f32 v[134:135], v[134:135], v[136:137] op_sel_hi:[1,0]
	v_fma_f32 v11, v142, v146, -v11
	s_set_vgpr_msb 5                        ;  msbs: dst=0 src0=1 src1=1 src2=0
	s_delay_alu instid0(VALU_DEP_2) | instskip(SKIP_3) | instid1(VALU_DEP_2)
	v_pk_fma_f32 v[136:137], v[16:17] /*v[272:273]*/, v[20:21] /*v[276:277]*/, v[134:135] neg_lo:[0,0,1] neg_hi:[0,0,1]
	v_pk_fma_f32 v[134:135], v[16:17] /*v[272:273]*/, v[20:21] /*v[276:277]*/, v[134:135] op_sel_hi:[1,0,1]
	s_set_vgpr_msb 0                        ;  msbs: dst=0 src0=0 src1=0 src2=0
	v_add_f32_e32 v9, v9, v11
	v_dual_mul_f32 v11, v145, v149 :: v_dual_mov_b32 v137, v135
	s_wait_loadcnt_dscnt 0x303
	s_set_vgpr_msb 4                        ;  msbs: dst=0 src0=0 src1=1 src2=0
	v_pk_mul_f32 v[134:135], v[118:119], v[22:23] /*v[278:279]*/ op_sel:[1,1] op_sel_hi:[0,1]
	s_set_vgpr_msb 0                        ;  msbs: dst=0 src0=0 src1=0 src2=0
	v_fma_f32 v11, v144, v148, -v11
	s_delay_alu instid0(VALU_DEP_1) | instskip(SKIP_1) | instid1(VALU_DEP_1)
	v_add_f32_e32 v9, v9, v11
	v_mul_f32_e32 v11, v151, v155
	v_fma_f32 v11, v150, v154, -v11
	s_delay_alu instid0(VALU_DEP_1) | instskip(SKIP_1) | instid1(VALU_DEP_1)
	v_add_f32_e32 v9, v9, v11
	v_mul_f32_e32 v11, v153, v157
	;; [unrolled: 4-line block ×26, first 2 shown]
	v_fma_f32 v11, v248, v252, -v11
	s_delay_alu instid0(VALU_DEP_1) | instskip(SKIP_2) | instid1(VALU_DEP_1)
	v_add_f32_e32 v9, v9, v11
	s_set_vgpr_msb 4                        ;  msbs: dst=0 src0=0 src1=1 src2=0
	v_mul_f32_e32 v11, v255, v3 /*v259*/
	v_fma_f32 v11, v254, v2 /*v258*/, -v11
	s_set_vgpr_msb 0                        ;  msbs: dst=0 src0=0 src1=0 src2=0
	s_delay_alu instid0(VALU_DEP_1) | instskip(SKIP_2) | instid1(VALU_DEP_1)
	v_add_f32_e32 v9, v9, v11
	s_set_vgpr_msb 5                        ;  msbs: dst=0 src0=1 src1=1 src2=0
	v_mul_f32_e32 v11, v1 /*v257*/, v5 /*v261*/
	v_fma_f32 v11, v0 /*v256*/, v4 /*v260*/, -v11
	s_set_vgpr_msb 0                        ;  msbs: dst=0 src0=0 src1=0 src2=0
	s_delay_alu instid0(VALU_DEP_1) | instskip(SKIP_2) | instid1(VALU_DEP_1)
	v_add_f32_e32 v9, v9, v11
	s_set_vgpr_msb 5                        ;  msbs: dst=0 src0=1 src1=1 src2=0
	v_mul_f32_e32 v11, v7 /*v263*/, v11 /*v267*/
	v_fma_f32 v11, v6 /*v262*/, v10 /*v266*/, -v11
	s_set_vgpr_msb 64                       ;  msbs: dst=1 src0=0 src1=0 src2=0
	s_delay_alu instid0(VALU_DEP_1) | instskip(SKIP_3) | instid1(VALU_DEP_1)
	v_add_f32_e32 v34 /*v290*/, v9, v11
	s_set_vgpr_msb 5                        ;  msbs: dst=0 src0=1 src1=1 src2=0
	v_mul_f32_e32 v9, v9 /*v265*/, v13 /*v269*/
	s_set_vgpr_msb 0x45                     ;  msbs: dst=1 src0=1 src1=1 src2=0
	v_fma_f32 v36 /*v292*/, v8 /*v264*/, v12 /*v268*/, -v9
	s_set_vgpr_msb 5                        ;  msbs: dst=0 src0=1 src1=1 src2=0
	v_mul_f32_e32 v9, v15 /*v271*/, v19 /*v275*/
	s_set_vgpr_msb 0x45                     ;  msbs: dst=1 src0=1 src1=1 src2=0
	s_delay_alu instid0(VALU_DEP_1) | instskip(SKIP_3) | instid1(VALU_DEP_1)
	v_fma_f32 v38 /*v294*/, v14 /*v270*/, v18 /*v274*/, -v9
	s_set_vgpr_msb 5                        ;  msbs: dst=0 src0=1 src1=1 src2=0
	v_pk_add_f32 v[132:133], v[34:35] /*v[290:291]*/, v[36:37] /*v[292:293]*/
	s_set_vgpr_msb 4                        ;  msbs: dst=0 src0=0 src1=1 src2=0
	v_pk_add_f32 v[132:133], v[132:133], v[38:39] /*v[294:295]*/
	s_set_vgpr_msb 0                        ;  msbs: dst=0 src0=0 src1=0 src2=0
	s_delay_alu instid0(VALU_DEP_1)
	v_pk_add_f32 v[132:133], v[132:133], v[136:137]
	s_set_vgpr_msb 4                        ;  msbs: dst=0 src0=0 src1=1 src2=0
	v_pk_fma_f32 v[136:137], v[118:119], v[22:23] /*v[278:279]*/, v[134:135] neg_lo:[0,0,1] neg_hi:[0,0,1]
	v_pk_fma_f32 v[118:119], v[118:119], v[22:23] /*v[278:279]*/, v[134:135] op_sel_hi:[1,0,1]
	s_set_vgpr_msb 1                        ;  msbs: dst=0 src0=1 src1=0 src2=0
	v_mov_b32_e32 v134, v25 /*v281*/
	s_set_vgpr_msb 0                        ;  msbs: dst=0 src0=0 src1=0 src2=0
	s_delay_alu instid0(VALU_DEP_2) | instskip(NEXT) | instid1(VALU_DEP_1)
	v_mov_b32_e32 v137, v119
	v_pk_add_f32 v[118:119], v[132:133], v[136:137]
	v_dual_mov_b32 v132, v121 :: v_dual_mov_b32 v133, v120
	s_delay_alu instid0(VALU_DEP_1) | instskip(SKIP_1) | instid1(VALU_DEP_1)
	v_pk_mul_f32 v[132:133], v[132:133], v[134:135] op_sel_hi:[1,0]
	s_set_vgpr_msb 4                        ;  msbs: dst=0 src0=0 src1=1 src2=0
	v_pk_fma_f32 v[134:135], v[120:121], v[24:25] /*v[280:281]*/, v[132:133] neg_lo:[0,0,1] neg_hi:[0,0,1]
	v_pk_fma_f32 v[120:121], v[120:121], v[24:25] /*v[280:281]*/, v[132:133] op_sel_hi:[1,0,1]
	s_delay_alu instid0(VALU_DEP_1) | instskip(SKIP_3) | instid1(VALU_DEP_2)
	v_mov_b32_e32 v135, v121
	s_wait_loadcnt_dscnt 0x202
	v_pk_mul_f32 v[120:121], v[122:123], v[26:27] /*v[282:283]*/ op_sel:[1,1] op_sel_hi:[0,1]
	s_set_vgpr_msb 0                        ;  msbs: dst=0 src0=0 src1=0 src2=0
	v_pk_add_f32 v[118:119], v[118:119], v[134:135]
	s_set_vgpr_msb 4                        ;  msbs: dst=0 src0=0 src1=1 src2=0
	s_delay_alu instid0(VALU_DEP_2)
	v_pk_fma_f32 v[132:133], v[122:123], v[26:27] /*v[282:283]*/, v[120:121] neg_lo:[0,0,1] neg_hi:[0,0,1]
	v_pk_fma_f32 v[120:121], v[122:123], v[26:27] /*v[282:283]*/, v[120:121] op_sel_hi:[1,0,1]
	v_mov_b32_e32 v120, v125
	s_set_vgpr_msb 1                        ;  msbs: dst=0 src0=1 src1=0 src2=0
	v_mov_b32_e32 v122, v29 /*v285*/
	s_set_vgpr_msb 0                        ;  msbs: dst=0 src0=0 src1=0 src2=0
	v_dual_mov_b32 v133, v121 :: v_dual_mov_b32 v121, v124
	s_delay_alu instid0(VALU_DEP_1) | instskip(NEXT) | instid1(VALU_DEP_2)
	v_pk_add_f32 v[118:119], v[118:119], v[132:133]
	v_pk_mul_f32 v[120:121], v[120:121], v[122:123] op_sel_hi:[1,0]
	s_set_vgpr_msb 4                        ;  msbs: dst=0 src0=0 src1=1 src2=0
	s_delay_alu instid0(VALU_DEP_1) | instskip(SKIP_1) | instid1(VALU_DEP_1)
	v_pk_fma_f32 v[122:123], v[124:125], v[28:29] /*v[284:285]*/, v[120:121] neg_lo:[0,0,1] neg_hi:[0,0,1]
	v_pk_fma_f32 v[120:121], v[124:125], v[28:29] /*v[284:285]*/, v[120:121] op_sel_hi:[1,0,1]
	v_mov_b32_e32 v123, v121
	s_wait_loadcnt_dscnt 0x101
	v_pk_mul_f32 v[120:121], v[126:127], v[30:31] /*v[286:287]*/ op_sel:[1,1] op_sel_hi:[0,1]
	s_set_vgpr_msb 0                        ;  msbs: dst=0 src0=0 src1=0 src2=0
	s_delay_alu instid0(VALU_DEP_2) | instskip(SKIP_1) | instid1(VALU_DEP_2)
	v_pk_add_f32 v[118:119], v[118:119], v[122:123]
	s_set_vgpr_msb 4                        ;  msbs: dst=0 src0=0 src1=1 src2=0
	v_pk_fma_f32 v[122:123], v[126:127], v[30:31] /*v[286:287]*/, v[120:121] neg_lo:[0,0,1] neg_hi:[0,0,1]
	v_pk_fma_f32 v[120:121], v[126:127], v[30:31] /*v[286:287]*/, v[120:121] op_sel_hi:[1,0,1]
	s_delay_alu instid0(VALU_DEP_1) | instskip(SKIP_2) | instid1(VALU_DEP_2)
	v_dual_mov_b32 v120, v129 :: v_dual_mov_b32 v123, v121
	v_mov_b32_e32 v121, v128
	s_set_vgpr_msb 0                        ;  msbs: dst=0 src0=0 src1=0 src2=0
	v_pk_add_f32 v[118:119], v[118:119], v[122:123]
	s_set_vgpr_msb 1                        ;  msbs: dst=0 src0=1 src1=0 src2=0
	v_mov_b32_e32 v122, v33 /*v289*/
	s_set_vgpr_msb 0                        ;  msbs: dst=0 src0=0 src1=0 src2=0
	s_delay_alu instid0(VALU_DEP_1) | instskip(SKIP_1) | instid1(VALU_DEP_1)
	v_pk_mul_f32 v[120:121], v[120:121], v[122:123] op_sel_hi:[1,0]
	s_set_vgpr_msb 4                        ;  msbs: dst=0 src0=0 src1=1 src2=0
	v_pk_fma_f32 v[122:123], v[128:129], v[32:33] /*v[288:289]*/, v[120:121] neg_lo:[0,0,1] neg_hi:[0,0,1]
	v_pk_fma_f32 v[120:121], v[128:129], v[32:33] /*v[288:289]*/, v[120:121] op_sel_hi:[1,0,1]
	s_delay_alu instid0(VALU_DEP_1) | instskip(SKIP_3) | instid1(VALU_DEP_2)
	v_mov_b32_e32 v123, v121
	s_wait_loadcnt_dscnt 0x0
	v_pk_mul_f32 v[120:121], v[130:131], v[40:41] /*v[296:297]*/ op_sel:[1,1] op_sel_hi:[0,1]
	s_set_vgpr_msb 0                        ;  msbs: dst=0 src0=0 src1=0 src2=0
	v_pk_add_f32 v[118:119], v[118:119], v[122:123]
	s_set_vgpr_msb 4                        ;  msbs: dst=0 src0=0 src1=1 src2=0
	s_delay_alu instid0(VALU_DEP_2) | instskip(SKIP_1) | instid1(VALU_DEP_1)
	v_pk_fma_f32 v[122:123], v[130:131], v[40:41] /*v[296:297]*/, v[120:121] neg_lo:[0,0,1] neg_hi:[0,0,1]
	v_pk_fma_f32 v[120:121], v[130:131], v[40:41] /*v[296:297]*/, v[120:121] op_sel_hi:[1,0,1]
	v_mov_b32_e32 v123, v121
	scratch_load_b64 v[120:121], off, off offset:80
	s_set_vgpr_msb 0                        ;  msbs: dst=0 src0=0 src1=0 src2=0
	v_pk_add_f32 v[118:119], v[118:119], v[122:123]
	s_wait_loadcnt 0x0
	s_delay_alu instid0(VALU_DEP_1)
	v_pk_add_f32 v[118:119], v[120:121], v[118:119] neg_lo:[0,1] neg_hi:[0,1]
	scratch_store_b64 off, v[118:119], off offset:80
	s_wait_xcnt 0x0
	v_cmpx_lt_u32_e32 9, v0
	s_cbranch_execz .LBB121_343
; %bb.342:
	scratch_load_b64 v[118:119], off, off offset:72
	v_mov_b64_e32 v[120:121], 0
	scratch_store_b64 off, v[120:121], off offset:72
	s_wait_loadcnt 0x0
	ds_store_b64 v1, v[118:119]
.LBB121_343:
	s_wait_xcnt 0x0
	s_or_b32 exec_lo, exec_lo, s0
	s_wait_storecnt_dscnt 0x0
	s_barrier_signal -1
	s_barrier_wait -1
	s_clause 0x17
	scratch_load_b128 v[118:121], off, off offset:80
	scratch_load_b128 v[122:125], off, off offset:96
	;; [unrolled: 1-line block ×24, first 2 shown]
	ds_load_b128 v[214:217], v7 offset:544
	ds_load_b128 v[218:221], v7 offset:560
	;; [unrolled: 1-line block ×6, first 2 shown]
	s_set_vgpr_msb 64                       ;  msbs: dst=1 src0=0 src1=0 src2=0
	scratch_load_b64 v[54:55] /*v[310:311]*/, off, off offset:72
	s_set_vgpr_msb 0                        ;  msbs: dst=0 src0=0 src1=0 src2=0
	ds_load_b128 v[238:241], v7 offset:608
	ds_load_b128 v[242:245], v7 offset:624
	;; [unrolled: 1-line block ×5, first 2 shown]
	s_set_vgpr_msb 64                       ;  msbs: dst=1 src0=0 src1=0 src2=0
	ds_load_b128 v[2:5] /*v[258:261]*/, v7 offset:656
	ds_load_b128 v[6:9] /*v[262:265]*/, v7 offset:672
	;; [unrolled: 1-line block ×13, first 2 shown]
	s_mov_b32 s0, exec_lo
	s_wait_dscnt 0xf
	v_dual_mov_b32 v60 /*v316*/, v249 :: v_dual_mov_b32 v61 /*v317*/, v248
	s_wait_dscnt 0xe
	v_dual_mov_b32 v62 /*v318*/, v253 :: v_dual_mov_b32 v63 /*v319*/, v252
	v_dual_mov_b32 v56 /*v312*/, v233 :: v_dual_mov_b32 v57 /*v313*/, v232
	;; [unrolled: 1-line block ×3, first 2 shown]
	s_wait_loadcnt 0x18
	s_set_vgpr_msb 0                        ;  msbs: dst=0 src0=0 src1=0 src2=0
	v_dual_mul_f32 v7, v214, v119 :: v_dual_mul_f32 v9, v216, v121
	s_wait_loadcnt 0x17
	v_dual_mul_f32 v83, v215, v119 :: v_dual_mul_f32 v89, v221, v125
	v_dual_mul_f32 v11, v218, v123 :: v_dual_mul_f32 v13, v220, v125
	s_delay_alu instid0(VALU_DEP_3)
	v_dual_fmac_f32 v7, v215, v118 :: v_dual_fmac_f32 v9, v217, v120
	s_wait_loadcnt_dscnt 0x120d
	v_dual_mul_f32 v31, v254, v143 :: v_dual_mul_f32 v85, v217, v121
	v_dual_mul_f32 v87, v219, v123 :: v_dual_mul_f32 v93, v225, v129
	v_dual_mul_f32 v91, v223, v127 :: v_dual_fma_f32 v83, v214, v118, -v83
	v_add_f32_e32 v7, 0, v7
	s_delay_alu instid0(VALU_DEP_4)
	v_dual_mul_f32 v95, v227, v131 :: v_dual_fma_f32 v85, v216, v120, -v85
	v_dual_fmac_f32 v11, v219, v122 :: v_dual_fmac_f32 v13, v221, v124
	s_wait_loadcnt_dscnt 0x601
	s_set_vgpr_msb 1                        ;  msbs: dst=0 src0=1 src1=0 src2=0
	v_dual_mul_f32 v81, v48 /*v304*/, v193 :: v_dual_add_f32 v83, 0, v83
	s_set_vgpr_msb 0                        ;  msbs: dst=0 src0=0 src1=0 src2=0
	v_dual_mul_f32 v97, v229, v133 :: v_dual_fma_f32 v87, v218, v122, -v87
	v_dual_add_f32 v7, v7, v9 :: v_dual_mul_f32 v15, v222, v127
	v_mul_f32_e32 v17, v224, v129
	v_dual_add_f32 v9, v83, v85 :: v_dual_fma_f32 v85, v220, v124, -v89
	s_delay_alu instid0(VALU_DEP_3) | instskip(NEXT) | instid1(VALU_DEP_4)
	v_add_f32_e32 v7, v7, v11
	v_dual_fmac_f32 v15, v223, v126 :: v_dual_mul_f32 v19, v226, v131
	s_delay_alu instid0(VALU_DEP_3) | instskip(NEXT) | instid1(VALU_DEP_3)
	v_dual_mul_f32 v21, v228, v133 :: v_dual_add_f32 v9, v9, v87
	v_dual_fma_f32 v87, v222, v126, -v91 :: v_dual_add_f32 v7, v7, v13
	v_dual_fmac_f32 v17, v225, v128 :: v_dual_mul_f32 v13, v243, v139
	s_delay_alu instid0(VALU_DEP_3) | instskip(NEXT) | instid1(VALU_DEP_3)
	v_dual_add_f32 v9, v9, v85 :: v_dual_fma_f32 v85, v224, v128, -v93
	v_add_f32_e32 v7, v7, v15
	v_dual_fmac_f32 v19, v227, v130 :: v_dual_mul_f32 v23, v238, v135
	s_delay_alu instid0(VALU_DEP_3) | instskip(NEXT) | instid1(VALU_DEP_3)
	v_dual_mul_f32 v25, v240, v137 :: v_dual_add_f32 v9, v9, v87
	v_dual_add_f32 v7, v7, v17 :: v_dual_fmac_f32 v21, v229, v132
	v_dual_mul_f32 v83, v239, v135 :: v_dual_mul_f32 v11, v241, v137
	v_dual_mul_f32 v15, v245, v141 :: v_dual_fma_f32 v87, v226, v130, -v95
	s_delay_alu instid0(VALU_DEP_4) | instskip(NEXT) | instid1(VALU_DEP_4)
	v_dual_add_f32 v9, v9, v85 :: v_dual_mul_f32 v17, v255, v143
	v_dual_fma_f32 v85, v228, v132, -v97 :: v_dual_add_f32 v7, v7, v19
	s_delay_alu instid0(VALU_DEP_2) | instskip(SKIP_2) | instid1(VALU_DEP_4)
	v_dual_fmac_f32 v23, v239, v134 :: v_dual_add_f32 v9, v9, v87
	v_fma_f32 v83, v238, v134, -v83
	v_dual_mul_f32 v27, v242, v139 :: v_dual_mul_f32 v29, v244, v141
	v_add_f32_e32 v7, v7, v21
	s_delay_alu instid0(VALU_DEP_4) | instskip(NEXT) | instid1(VALU_DEP_3)
	v_dual_add_f32 v9, v9, v85 :: v_dual_fma_f32 v11, v240, v136, -v11
	v_dual_fmac_f32 v25, v241, v136 :: v_dual_fmac_f32 v27, v243, v138
	s_delay_alu instid0(VALU_DEP_3) | instskip(NEXT) | instid1(VALU_DEP_3)
	v_add_f32_e32 v7, v7, v23
	v_dual_add_f32 v9, v9, v83 :: v_dual_fma_f32 v13, v242, v138, -v13
	s_set_vgpr_msb 1                        ;  msbs: dst=0 src0=1 src1=0 src2=0
	v_dual_mul_f32 v33, v0 /*v256*/, v145 :: v_dual_mul_f32 v35, v2 /*v258*/, v147
	s_set_vgpr_msb 0                        ;  msbs: dst=0 src0=0 src1=0 src2=0
	s_delay_alu instid0(VALU_DEP_2)
	v_dual_add_f32 v7, v7, v25 :: v_dual_add_f32 v9, v9, v11
	v_dual_fma_f32 v15, v244, v140, -v15 :: v_dual_fmac_f32 v29, v245, v140
	s_set_vgpr_msb 1                        ;  msbs: dst=0 src0=1 src1=0 src2=0
	v_dual_mul_f32 v19, v1 /*v257*/, v145 :: v_dual_mul_f32 v21, v3 /*v259*/, v147
	s_set_vgpr_msb 0                        ;  msbs: dst=0 src0=0 src1=0 src2=0
	v_dual_add_f32 v7, v7, v27 :: v_dual_add_f32 v9, v9, v13
	v_dual_fmac_f32 v31, v255, v142 :: v_dual_fma_f32 v17, v254, v142, -v17
	s_set_vgpr_msb 1                        ;  msbs: dst=0 src0=1 src1=0 src2=0
	v_dual_fmac_f32 v33, v1 /*v257*/, v144 :: v_dual_fma_f32 v19, v0 /*v256*/, v144, -v19
	s_set_vgpr_msb 0                        ;  msbs: dst=0 src0=0 src1=0 src2=0
	v_add_f32_e32 v7, v7, v29
	s_set_vgpr_msb 1                        ;  msbs: dst=0 src0=1 src1=0 src2=0
	v_dual_mul_f32 v37, v4 /*v260*/, v149 :: v_dual_mul_f32 v39, v6 /*v262*/, v151
	v_dual_mul_f32 v23, v5 /*v261*/, v149 :: v_dual_mul_f32 v11, v7 /*v263*/, v151
	s_set_vgpr_msb 0                        ;  msbs: dst=0 src0=0 src1=0 src2=0
	v_add_f32_e32 v7, v7, v31
	v_add_f32_e32 v9, v9, v15
	s_set_vgpr_msb 1                        ;  msbs: dst=0 src0=1 src1=0 src2=0
	v_dual_fmac_f32 v35, v3 /*v259*/, v146 :: v_dual_fma_f32 v21, v2 /*v258*/, v146, -v21
	v_dual_fmac_f32 v37, v5 /*v261*/, v148 :: v_dual_fma_f32 v23, v4 /*v260*/, v148, -v23
	s_set_vgpr_msb 0                        ;  msbs: dst=0 src0=0 src1=0 src2=0
	v_add_f32_e32 v7, v7, v33
	v_add_f32_e32 v9, v9, v17
	s_set_vgpr_msb 1                        ;  msbs: dst=0 src0=1 src1=0 src2=0
	v_mul_f32_e32 v17, v13 /*v269*/, v157
	v_dual_mul_f32 v41, v8 /*v264*/, v153 :: v_dual_mul_f32 v43, v10 /*v266*/, v155
	s_set_vgpr_msb 0                        ;  msbs: dst=0 src0=0 src1=0 src2=0
	v_add_f32_e32 v7, v7, v35
	v_add_f32_e32 v9, v9, v19
	s_set_vgpr_msb 1                        ;  msbs: dst=0 src0=1 src1=0 src2=0
	v_dual_mul_f32 v13, v9 /*v265*/, v153 :: v_dual_mul_f32 v15, v11 /*v267*/, v155
	v_mul_f32_e32 v19, v15 /*v271*/, v159
	v_fmac_f32_e32 v39, v7 /*v263*/, v150
	s_set_vgpr_msb 0                        ;  msbs: dst=0 src0=0 src1=0 src2=0
	v_add_f32_e32 v7, v7, v37
	v_add_f32_e32 v9, v9, v21
	s_set_vgpr_msb 1                        ;  msbs: dst=0 src0=1 src1=0 src2=0
	v_mul_f32_e32 v21, v17 /*v273*/, v161
	v_dual_fmac_f32 v41, v9 /*v265*/, v152 :: v_dual_fmac_f32 v43, v11 /*v267*/, v154
	v_fma_f32 v13, v8 /*v264*/, v152, -v13
	s_set_vgpr_msb 0                        ;  msbs: dst=0 src0=0 src1=0 src2=0
	v_add_f32_e32 v7, v7, v39
	s_set_vgpr_msb 1                        ;  msbs: dst=0 src0=1 src1=0 src2=0
	v_dual_mul_f32 v45, v12 /*v268*/, v157 :: v_dual_mul_f32 v47, v14 /*v270*/, v159
	s_set_vgpr_msb 0                        ;  msbs: dst=0 src0=0 src1=0 src2=0
	v_add_f32_e32 v9, v9, v23
	s_set_vgpr_msb 1                        ;  msbs: dst=0 src0=1 src1=0 src2=0
	v_dual_fma_f32 v11, v6 /*v262*/, v150, -v11 :: v_dual_mul_f32 v23, v19 /*v275*/, v163
	s_set_vgpr_msb 0                        ;  msbs: dst=0 src0=0 src1=0 src2=0
	v_add_f32_e32 v7, v7, v41
	s_set_vgpr_msb 1                        ;  msbs: dst=0 src0=1 src1=0 src2=0
	v_dual_fmac_f32 v45, v13 /*v269*/, v156 :: v_dual_fmac_f32 v47, v15 /*v271*/, v158
	v_fma_f32 v17, v12 /*v268*/, v156, -v17
	v_dual_mul_f32 v49, v16 /*v272*/, v161 :: v_dual_mul_f32 v51, v18 /*v274*/, v163
	s_set_vgpr_msb 0                        ;  msbs: dst=0 src0=0 src1=0 src2=0
	v_add_f32_e32 v7, v7, v43
	v_add_f32_e32 v9, v9, v11
	s_set_vgpr_msb 1                        ;  msbs: dst=0 src0=1 src1=0 src2=0
	v_dual_mul_f32 v11, v21 /*v277*/, v165 :: v_dual_fma_f32 v15, v10 /*v266*/, v154, -v15
	v_dual_fmac_f32 v49, v17 /*v273*/, v160 :: v_dual_fmac_f32 v51, v19 /*v275*/, v162
	s_set_vgpr_msb 0                        ;  msbs: dst=0 src0=0 src1=0 src2=0
	v_add_f32_e32 v7, v7, v45
	v_add_f32_e32 v9, v9, v13
	s_set_vgpr_msb 1                        ;  msbs: dst=0 src0=1 src1=0 src2=0
	v_fma_f32 v21, v16 /*v272*/, v160, -v21
	v_dual_mul_f32 v53, v20 /*v276*/, v165 :: v_dual_mul_f32 v55, v22 /*v278*/, v167
	s_set_vgpr_msb 0                        ;  msbs: dst=0 src0=0 src1=0 src2=0
	v_add_f32_e32 v7, v7, v47
	s_set_vgpr_msb 1                        ;  msbs: dst=0 src0=1 src1=0 src2=0
	v_mul_f32_e32 v13, v23 /*v279*/, v167
	s_set_vgpr_msb 0                        ;  msbs: dst=0 src0=0 src1=0 src2=0
	v_add_f32_e32 v9, v9, v15
	s_set_vgpr_msb 1                        ;  msbs: dst=0 src0=1 src1=0 src2=0
	v_dual_mul_f32 v15, v25 /*v281*/, v169 :: v_dual_fma_f32 v19, v14 /*v270*/, v158, -v19
	s_set_vgpr_msb 0                        ;  msbs: dst=0 src0=0 src1=0 src2=0
	v_add_f32_e32 v7, v7, v49
	s_set_vgpr_msb 1                        ;  msbs: dst=0 src0=1 src1=0 src2=0
	v_dual_fmac_f32 v53, v21 /*v277*/, v164 :: v_dual_fma_f32 v11, v20 /*v276*/, v164, -v11
	s_set_vgpr_msb 0                        ;  msbs: dst=0 src0=0 src1=0 src2=0
	v_add_f32_e32 v9, v9, v17
	s_set_vgpr_msb 1                        ;  msbs: dst=0 src0=1 src1=0 src2=0
	v_dual_fmac_f32 v55, v23 /*v279*/, v166 :: v_dual_fma_f32 v13, v22 /*v278*/, v166, -v13
	s_set_vgpr_msb 0                        ;  msbs: dst=0 src0=0 src1=0 src2=0
	v_add_f32_e32 v7, v7, v51
	s_set_vgpr_msb 1                        ;  msbs: dst=0 src0=1 src1=0 src2=0
	v_dual_mul_f32 v57, v24 /*v280*/, v169 :: v_dual_mul_f32 v59, v26 /*v282*/, v171
	v_mul_f32_e32 v17, v27 /*v283*/, v171
	s_set_vgpr_msb 0                        ;  msbs: dst=0 src0=0 src1=0 src2=0
	v_dual_add_f32 v9, v9, v19 :: v_dual_add_f32 v7, v7, v53
	s_set_vgpr_msb 1                        ;  msbs: dst=0 src0=1 src1=0 src2=0
	v_dual_mul_f32 v19, v29 /*v285*/, v173 :: v_dual_fma_f32 v23, v18 /*v274*/, v162, -v23
	v_dual_fmac_f32 v57, v25 /*v281*/, v168 :: v_dual_fma_f32 v15, v24 /*v280*/, v168, -v15
	s_set_vgpr_msb 0                        ;  msbs: dst=0 src0=0 src1=0 src2=0
	v_add_f32_e32 v9, v9, v21
	s_set_vgpr_msb 1                        ;  msbs: dst=0 src0=1 src1=0 src2=0
	v_dual_fmac_f32 v59, v27 /*v283*/, v170 :: v_dual_fma_f32 v17, v26 /*v282*/, v170, -v17
	s_set_vgpr_msb 0                        ;  msbs: dst=0 src0=0 src1=0 src2=0
	v_add_f32_e32 v7, v7, v55
	s_set_vgpr_msb 1                        ;  msbs: dst=0 src0=1 src1=0 src2=0
	v_dual_mul_f32 v61, v28 /*v284*/, v173 :: v_dual_mul_f32 v63, v30 /*v286*/, v175
	v_mul_f32_e32 v21, v31 /*v287*/, v175
	s_set_vgpr_msb 0                        ;  msbs: dst=0 src0=0 src1=0 src2=0
	v_dual_add_f32 v9, v9, v23 :: v_dual_add_f32 v7, v7, v57
	s_set_vgpr_msb 1                        ;  msbs: dst=0 src0=1 src1=0 src2=0
	v_dual_fmac_f32 v61, v29 /*v285*/, v172 :: v_dual_fma_f32 v19, v28 /*v284*/, v172, -v19
	v_dual_fmac_f32 v63, v31 /*v287*/, v174 :: v_dual_fma_f32 v21, v30 /*v286*/, v174, -v21
	s_set_vgpr_msb 0                        ;  msbs: dst=0 src0=0 src1=0 src2=0
	v_add_f32_e32 v7, v7, v59
	s_set_vgpr_msb 1                        ;  msbs: dst=0 src0=1 src1=0 src2=0
	v_dual_mul_f32 v65, v32 /*v288*/, v177 :: v_dual_mul_f32 v67, v34 /*v290*/, v179
	s_set_vgpr_msb 0                        ;  msbs: dst=0 src0=0 src1=0 src2=0
	v_add_f32_e32 v9, v9, v11
	s_set_vgpr_msb 1                        ;  msbs: dst=0 src0=1 src1=0 src2=0
	v_dual_mul_f32 v23, v33 /*v289*/, v177 :: v_dual_mul_f32 v11, v35 /*v291*/, v179
	s_set_vgpr_msb 0                        ;  msbs: dst=0 src0=0 src1=0 src2=0
	v_add_f32_e32 v7, v7, v61
	s_set_vgpr_msb 1                        ;  msbs: dst=0 src0=1 src1=0 src2=0
	v_fmac_f32_e32 v65, v33 /*v289*/, v176
	s_set_vgpr_msb 0                        ;  msbs: dst=0 src0=0 src1=0 src2=0
	v_add_f32_e32 v9, v9, v13
	s_set_vgpr_msb 1                        ;  msbs: dst=0 src0=1 src1=0 src2=0
	v_dual_mul_f32 v69, v36 /*v292*/, v181 :: v_dual_mul_f32 v71, v38 /*v294*/, v183
	s_set_vgpr_msb 0                        ;  msbs: dst=0 src0=0 src1=0 src2=0
	v_add_f32_e32 v7, v7, v63
	s_set_vgpr_msb 1                        ;  msbs: dst=0 src0=1 src1=0 src2=0
	v_fma_f32 v23, v32 /*v288*/, v176, -v23
	s_set_vgpr_msb 0                        ;  msbs: dst=0 src0=0 src1=0 src2=0
	v_add_f32_e32 v9, v9, v15
	s_set_vgpr_msb 1                        ;  msbs: dst=0 src0=1 src1=0 src2=0
	v_dual_fmac_f32 v67, v35 /*v291*/, v178 :: v_dual_fmac_f32 v69, v37 /*v293*/, v180
	s_set_vgpr_msb 0                        ;  msbs: dst=0 src0=0 src1=0 src2=0
	v_add_f32_e32 v7, v7, v65
	s_set_vgpr_msb 1                        ;  msbs: dst=0 src0=1 src1=0 src2=0
	v_dual_mul_f32 v73, v40 /*v296*/, v185 :: v_dual_mul_f32 v75, v42 /*v298*/, v187
	s_set_vgpr_msb 0                        ;  msbs: dst=0 src0=0 src1=0 src2=0
	v_add_f32_e32 v9, v9, v17
	s_set_vgpr_msb 1                        ;  msbs: dst=0 src0=1 src1=0 src2=0
	v_fmac_f32_e32 v71, v39 /*v295*/, v182
	s_set_vgpr_msb 0                        ;  msbs: dst=0 src0=0 src1=0 src2=0
	v_add_f32_e32 v7, v7, v67
	s_set_vgpr_msb 1                        ;  msbs: dst=0 src0=1 src1=0 src2=0
	v_dual_fmac_f32 v73, v41 /*v297*/, v184 :: v_dual_mul_f32 v77, v44 /*v300*/, v189
	v_mul_f32_e32 v79, v46 /*v302*/, v191
	s_set_vgpr_msb 0                        ;  msbs: dst=0 src0=0 src1=0 src2=0
	v_dual_add_f32 v9, v9, v19 :: v_dual_add_f32 v7, v7, v69
	s_set_vgpr_msb 1                        ;  msbs: dst=0 src0=1 src1=0 src2=0
	v_dual_mul_f32 v13, v37 /*v293*/, v181 :: v_dual_mul_f32 v15, v39 /*v295*/, v183
	v_fma_f32 v11, v34 /*v290*/, v178, -v11
	s_set_vgpr_msb 0                        ;  msbs: dst=0 src0=0 src1=0 src2=0
	v_dual_add_f32 v9, v9, v21 :: v_dual_add_f32 v7, v7, v71
	s_wait_loadcnt 0x4
	v_mov_b32_e32 v120, v201
	s_set_vgpr_msb 1                        ;  msbs: dst=0 src0=1 src1=0 src2=0
	v_dual_mul_f32 v21, v45 /*v301*/, v189 :: v_dual_fmac_f32 v75, v43 /*v299*/, v186
	v_fmac_f32_e32 v77, v45 /*v301*/, v188
	s_set_vgpr_msb 0                        ;  msbs: dst=0 src0=0 src1=0 src2=0
	v_dual_add_f32 v9, v9, v23 :: v_dual_add_f32 v7, v7, v73
	s_set_vgpr_msb 1                        ;  msbs: dst=0 src0=1 src1=0 src2=0
	v_dual_mul_f32 v23, v47 /*v303*/, v191 :: v_dual_fma_f32 v13, v36 /*v292*/, v180, -v13
	v_dual_mul_f32 v17, v41 /*v297*/, v185 :: v_dual_mul_f32 v19, v43 /*v299*/, v187
	s_set_vgpr_msb 0                        ;  msbs: dst=0 src0=0 src1=0 src2=0
	v_add_f32_e32 v7, v7, v75
	v_add_f32_e32 v9, v9, v11
	s_set_vgpr_msb 1                        ;  msbs: dst=0 src0=1 src1=0 src2=0
	v_dual_mul_f32 v11, v49 /*v305*/, v193 :: v_dual_fma_f32 v15, v38 /*v294*/, v182, -v15
	v_dual_fmac_f32 v79, v47 /*v303*/, v190 :: v_dual_fmac_f32 v81, v49 /*v305*/, v192
	s_set_vgpr_msb 0                        ;  msbs: dst=0 src0=0 src1=0 src2=0
	v_add_f32_e32 v7, v7, v77
	v_add_f32_e32 v9, v9, v13
	s_wait_dscnt 0x0
	s_set_vgpr_msb 1                        ;  msbs: dst=0 src0=1 src1=0 src2=0
	v_dual_mul_f32 v13, v51 /*v307*/, v195 :: v_dual_fma_f32 v17, v40 /*v296*/, v184, -v17
	s_wait_loadcnt 0x3
	s_set_vgpr_msb 0                        ;  msbs: dst=0 src0=0 src1=0 src2=0
	v_dual_mov_b32 v124, v205 :: v_dual_add_f32 v7, v7, v79
	v_add_f32_e32 v9, v9, v15
	s_set_vgpr_msb 1                        ;  msbs: dst=0 src0=1 src1=0 src2=0
	v_dual_mul_f32 v15, v53 /*v309*/, v197 :: v_dual_fma_f32 v19, v42 /*v298*/, v186, -v19
	s_set_vgpr_msb 0x41                     ;  msbs: dst=1 src0=1 src1=0 src2=0
	v_dual_mul_f32 v65 /*v321*/, v50 /*v306*/, v195 :: v_dual_mul_f32 v67 /*v323*/, v52 /*v308*/, v197
	s_set_vgpr_msb 0                        ;  msbs: dst=0 src0=0 src1=0 src2=0
	v_add_f32_e32 v127, v7, v81
	v_add_f32_e32 v9, v9, v17
	s_set_vgpr_msb 1                        ;  msbs: dst=0 src0=1 src1=0 src2=0
	v_fma_f32 v17, v44 /*v300*/, v188, -v21
	v_fma_f32 v11, v48 /*v304*/, v192, -v11
	s_set_vgpr_msb 0                        ;  msbs: dst=0 src0=0 src1=0 src2=0
	v_pk_mul_f32 v[118:119], v[230:231], v[198:199] op_sel:[1,1] op_sel_hi:[0,1]
	s_set_vgpr_msb 0x41                     ;  msbs: dst=1 src0=1 src1=0 src2=0
	v_dual_fmac_f32 v65 /*v321*/, v51 /*v307*/, v194 :: v_dual_fmac_f32 v67 /*v323*/, v53 /*v309*/, v196
	s_set_vgpr_msb 0                        ;  msbs: dst=0 src0=0 src1=0 src2=0
	v_add_f32_e32 v9, v9, v19
	s_set_vgpr_msb 1                        ;  msbs: dst=0 src0=1 src1=0 src2=0
	v_fma_f32 v19, v46 /*v302*/, v190, -v23
	s_set_vgpr_msb 0x41                     ;  msbs: dst=1 src0=1 src1=0 src2=0
	v_dual_fma_f32 v64 /*v320*/, v50 /*v306*/, v194, -v13 :: v_dual_fma_f32 v66 /*v322*/, v52 /*v308*/, v196, -v15
	s_set_vgpr_msb 0                        ;  msbs: dst=0 src0=0 src1=0 src2=0
	v_pk_fma_f32 v[128:129], v[230:231], v[198:199], v[118:119] op_sel_hi:[1,0,1]
	v_add_f32_e32 v9, v9, v17
	s_set_vgpr_msb 1                        ;  msbs: dst=0 src0=1 src1=0 src2=0
	v_pk_mul_f32 v[120:121], v[56:57] /*v[312:313]*/, v[120:121] op_sel_hi:[1,0]
	s_set_vgpr_msb 0                        ;  msbs: dst=0 src0=0 src1=0 src2=0
	v_pk_fma_f32 v[118:119], v[230:231], v[198:199], v[118:119] neg_lo:[0,0,1] neg_hi:[0,0,1]
	v_pk_mul_f32 v[122:123], v[234:235], v[202:203] op_sel:[1,1] op_sel_hi:[0,1]
	v_mov_b32_e32 v119, v129
	v_add_f32_e32 v9, v9, v19
	v_pk_fma_f32 v[128:129], v[232:233], v[200:201], v[120:121] op_sel_hi:[1,0,1]
	v_pk_fma_f32 v[120:121], v[232:233], v[200:201], v[120:121] neg_lo:[0,0,1] neg_hi:[0,0,1]
	v_pk_fma_f32 v[132:133], v[234:235], v[202:203], v[122:123] op_sel_hi:[1,0,1]
	s_set_vgpr_msb 1                        ;  msbs: dst=0 src0=1 src1=0 src2=0
	v_pk_mul_f32 v[124:125], v[58:59] /*v[314:315]*/, v[124:125] op_sel_hi:[1,0]
	s_set_vgpr_msb 0                        ;  msbs: dst=0 src0=0 src1=0 src2=0
	v_add_f32_e32 v126, v9, v11
	v_mov_b32_e32 v121, v129
	s_wait_loadcnt 0x2
	v_pk_mul_f32 v[130:131], v[246:247], v[206:207] op_sel:[1,1] op_sel_hi:[0,1]
	v_pk_fma_f32 v[122:123], v[234:235], v[202:203], v[122:123] neg_lo:[0,0,1] neg_hi:[0,0,1]
	v_mov_b32_e32 v123, v133
	s_set_vgpr_msb 4                        ;  msbs: dst=0 src0=0 src1=1 src2=0
	v_pk_add_f32 v[126:127], v[126:127], v[64:65] /*v[320:321]*/
	s_set_vgpr_msb 0                        ;  msbs: dst=0 src0=0 src1=0 src2=0
	v_pk_fma_f32 v[128:129], v[236:237], v[204:205], v[124:125] op_sel_hi:[1,0,1]
	v_pk_fma_f32 v[124:125], v[236:237], v[204:205], v[124:125] neg_lo:[0,0,1] neg_hi:[0,0,1]
	s_set_vgpr_msb 4                        ;  msbs: dst=0 src0=0 src1=1 src2=0
	v_pk_add_f32 v[126:127], v[126:127], v[66:67] /*v[322:323]*/
	s_set_vgpr_msb 0                        ;  msbs: dst=0 src0=0 src1=0 src2=0
	s_delay_alu instid0(VALU_DEP_1) | instskip(SKIP_1) | instid1(VALU_DEP_2)
	v_pk_add_f32 v[118:119], v[126:127], v[118:119]
	v_mov_b32_e32 v126, v209
	v_pk_add_f32 v[118:119], v[118:119], v[120:121]
	v_pk_fma_f32 v[120:121], v[246:247], v[206:207], v[130:131] op_sel_hi:[1,0,1]
	s_set_vgpr_msb 1                        ;  msbs: dst=0 src0=1 src1=0 src2=0
	s_delay_alu instid0(VALU_DEP_3)
	v_pk_mul_f32 v[126:127], v[60:61] /*v[316:317]*/, v[126:127] op_sel_hi:[1,0]
	s_set_vgpr_msb 0                        ;  msbs: dst=0 src0=0 src1=0 src2=0
	v_mov_b32_e32 v125, v129
	v_pk_fma_f32 v[128:129], v[246:247], v[206:207], v[130:131] neg_lo:[0,0,1] neg_hi:[0,0,1]
	v_pk_add_f32 v[118:119], v[118:119], v[122:123]
	v_mov_b32_e32 v129, v121
	v_pk_fma_f32 v[120:121], v[248:249], v[208:209], v[126:127] op_sel_hi:[1,0,1]
	s_wait_loadcnt 0x1
	v_pk_mul_f32 v[122:123], v[250:251], v[210:211] op_sel:[1,1] op_sel_hi:[0,1]
	v_mov_b32_e32 v120, v213
	v_pk_add_f32 v[118:119], v[118:119], v[124:125]
	v_pk_fma_f32 v[126:127], v[248:249], v[208:209], v[126:127] neg_lo:[0,0,1] neg_hi:[0,0,1]
	v_mov_b32_e32 v127, v121
	v_pk_fma_f32 v[124:125], v[250:251], v[210:211], v[122:123] op_sel_hi:[1,0,1]
	s_set_vgpr_msb 1                        ;  msbs: dst=0 src0=1 src1=0 src2=0
	v_pk_mul_f32 v[120:121], v[62:63] /*v[318:319]*/, v[120:121] op_sel_hi:[1,0]
	s_set_vgpr_msb 0                        ;  msbs: dst=0 src0=0 src1=0 src2=0
	v_pk_add_f32 v[118:119], v[118:119], v[128:129]
	v_pk_fma_f32 v[122:123], v[250:251], v[210:211], v[122:123] neg_lo:[0,0,1] neg_hi:[0,0,1]
	v_mov_b32_e32 v123, v125
	v_pk_fma_f32 v[124:125], v[252:253], v[212:213], v[120:121] op_sel_hi:[1,0,1]
	s_delay_alu instid0(VALU_DEP_4) | instskip(SKIP_1) | instid1(VALU_DEP_3)
	v_pk_add_f32 v[118:119], v[118:119], v[126:127]
	v_pk_fma_f32 v[120:121], v[252:253], v[212:213], v[120:121] neg_lo:[0,0,1] neg_hi:[0,0,1]
	v_mov_b32_e32 v121, v125
	s_delay_alu instid0(VALU_DEP_3) | instskip(NEXT) | instid1(VALU_DEP_1)
	v_pk_add_f32 v[118:119], v[118:119], v[122:123]
	v_pk_add_f32 v[118:119], v[118:119], v[120:121]
	s_wait_loadcnt 0x0
	s_set_vgpr_msb 1                        ;  msbs: dst=0 src0=1 src1=0 src2=0
	s_delay_alu instid0(VALU_DEP_1)
	v_pk_add_f32 v[118:119], v[54:55] /*v[310:311]*/, v[118:119] neg_lo:[0,1] neg_hi:[0,1]
	scratch_store_b64 off, v[118:119], off offset:72
	s_wait_xcnt 0x0
	v_cmpx_lt_u32_e32 8, v0
	s_set_vgpr_msb 0                        ;  msbs: dst=0 src0=0 src1=0 src2=0
	s_cbranch_execz .LBB121_345
; %bb.344:
	scratch_load_b64 v[118:119], off, off offset:64
	v_mov_b64_e32 v[120:121], 0
	scratch_store_b64 off, v[120:121], off offset:64
	s_wait_loadcnt 0x0
	ds_store_b64 v1, v[118:119]
.LBB121_345:
	s_wait_xcnt 0x0
	s_or_b32 exec_lo, exec_lo, s0
	s_wait_storecnt_dscnt 0x0
	s_barrier_signal -1
	s_barrier_wait -1
	s_clause 0x1a
	scratch_load_b128 v[118:121], off, off offset:72
	scratch_load_b128 v[122:125], off, off offset:88
	;; [unrolled: 1-line block ×24, first 2 shown]
	s_set_vgpr_msb 64                       ;  msbs: dst=1 src0=0 src1=0 src2=0
	scratch_load_b64 v[54:55] /*v[310:311]*/, off, off offset:456
	scratch_load_b64 v[56:57] /*v[312:313]*/, off, off offset:64
	s_set_vgpr_msb 0                        ;  msbs: dst=0 src0=0 src1=0 src2=0
	v_mov_b32_e32 v7, 0
	ds_load_2addr_b64 v[214:217], v7 offset0:67 offset1:68
	ds_load_2addr_b64 v[218:221], v7 offset0:69 offset1:70
	;; [unrolled: 1-line block ×11, first 2 shown]
	s_set_vgpr_msb 64                       ;  msbs: dst=1 src0=0 src1=0 src2=0
	ds_load_2addr_b64 v[2:5] /*v[258:261]*/, v7 offset0:113 offset1:114
	ds_load_2addr_b64 v[6:9] /*v[262:265]*/, v7 offset0:83 offset1:84
	;; [unrolled: 1-line block ×13, first 2 shown]
	ds_load_b64 v[58:59] /*v[314:315]*/, v7 offset:920
	s_wait_dscnt 0x14
	v_dual_mov_b32 v60 /*v316*/, v233 :: v_dual_mov_b32 v61 /*v317*/, v232
	s_wait_dscnt 0x11
	v_dual_mov_b32 v62 /*v318*/, v245 :: v_dual_mov_b32 v63 /*v319*/, v244
	;; [unrolled: 2-line block ×3, first 2 shown]
	s_wait_dscnt 0xd
	s_set_vgpr_msb 0x41                     ;  msbs: dst=1 src0=1 src1=0 src2=0
	v_dual_mov_b32 v66 /*v322*/, v5 /*v261*/ :: v_dual_mov_b32 v67 /*v323*/, v4 /*v260*/
	s_mov_b32 s0, exec_lo
	s_wait_loadcnt 0x19
	s_set_vgpr_msb 0                        ;  msbs: dst=0 src0=0 src1=0 src2=0
	v_dual_mul_f32 v9, v214, v119 :: v_dual_mul_f32 v87, v215, v119
	v_dual_mul_f32 v89, v217, v121 :: v_dual_mul_f32 v11, v216, v121
	s_wait_loadcnt 0x18
	v_mul_f32_e32 v13, v218, v123
	s_wait_loadcnt 0x16
	v_dual_mul_f32 v99, v227, v131 :: v_dual_fma_f32 v87, v214, v118, -v87
	v_dual_fmac_f32 v9, v215, v118 :: v_dual_mul_f32 v101, v229, v133
	v_dual_mul_f32 v91, v219, v123 :: v_dual_mul_f32 v93, v221, v125
	v_dual_fmac_f32 v11, v217, v120 :: v_dual_fma_f32 v89, v216, v120, -v89
	s_delay_alu instid0(VALU_DEP_3) | instskip(SKIP_3) | instid1(VALU_DEP_3)
	v_dual_add_f32 v9, 0, v9 :: v_dual_add_f32 v87, 0, v87
	v_dual_mul_f32 v15, v220, v125 :: v_dual_mul_f32 v17, v222, v127
	s_wait_loadcnt 0x15
	v_dual_mul_f32 v103, v235, v135 :: v_dual_fma_f32 v91, v218, v122, -v91
	v_dual_fmac_f32 v13, v219, v122 :: v_dual_add_f32 v9, v9, v11
	s_delay_alu instid0(VALU_DEP_3) | instskip(SKIP_2) | instid1(VALU_DEP_3)
	v_dual_add_f32 v11, v87, v89 :: v_dual_fmac_f32 v15, v221, v124
	v_dual_mul_f32 v95, v223, v127 :: v_dual_mul_f32 v97, v225, v129
	v_dual_mul_f32 v87, v237, v137 :: v_dual_fma_f32 v89, v220, v124, -v93
	v_dual_add_f32 v9, v9, v13 :: v_dual_add_f32 v11, v11, v91
	v_dual_mul_f32 v19, v224, v129 :: v_dual_mul_f32 v21, v226, v131
	s_wait_loadcnt 0x14
	v_dual_mul_f32 v13, v239, v139 :: v_dual_fma_f32 v91, v222, v126, -v95
	s_delay_alu instid0(VALU_DEP_3) | instskip(NEXT) | instid1(VALU_DEP_3)
	v_dual_fmac_f32 v17, v223, v126 :: v_dual_add_f32 v9, v9, v15
	v_dual_add_f32 v11, v11, v89 :: v_dual_fmac_f32 v19, v225, v128
	v_dual_mul_f32 v15, v241, v141 :: v_dual_fma_f32 v89, v224, v128, -v97
	s_delay_alu instid0(VALU_DEP_2) | instskip(SKIP_3) | instid1(VALU_DEP_3)
	v_dual_add_f32 v9, v9, v17 :: v_dual_add_f32 v11, v11, v91
	v_dual_mul_f32 v23, v228, v133 :: v_dual_mul_f32 v25, v234, v135
	s_wait_loadcnt 0x13
	v_dual_mul_f32 v17, v251, v143 :: v_dual_fma_f32 v91, v226, v130, -v99
	v_dual_fmac_f32 v21, v227, v130 :: v_dual_add_f32 v9, v9, v19
	s_delay_alu instid0(VALU_DEP_3) | instskip(SKIP_1) | instid1(VALU_DEP_2)
	v_dual_add_f32 v11, v11, v89 :: v_dual_fmac_f32 v23, v229, v132
	v_dual_mul_f32 v19, v253, v145 :: v_dual_fma_f32 v89, v228, v132, -v101
	v_dual_add_f32 v9, v9, v21 :: v_dual_add_f32 v11, v11, v91
	v_dual_mul_f32 v27, v236, v137 :: v_dual_mul_f32 v29, v238, v139
	s_wait_loadcnt 0x12
	v_dual_mul_f32 v21, v255, v147 :: v_dual_fma_f32 v91, v234, v134, -v103
	s_delay_alu instid0(VALU_DEP_3) | instskip(NEXT) | instid1(VALU_DEP_3)
	v_dual_fmac_f32 v25, v235, v134 :: v_dual_add_f32 v9, v9, v23
	v_dual_add_f32 v11, v11, v89 :: v_dual_fmac_f32 v27, v237, v136
	v_fma_f32 v87, v236, v136, -v87
	v_dual_mul_f32 v31, v240, v141 :: v_dual_mul_f32 v33, v250, v143
	s_delay_alu instid0(VALU_DEP_3) | instskip(SKIP_1) | instid1(VALU_DEP_3)
	v_dual_add_f32 v9, v9, v25 :: v_dual_add_f32 v11, v11, v91
	v_fma_f32 v13, v238, v138, -v13
	v_dual_fmac_f32 v29, v239, v138 :: v_dual_fmac_f32 v31, v241, v140
	s_delay_alu instid0(VALU_DEP_3) | instskip(NEXT) | instid1(VALU_DEP_4)
	v_add_f32_e32 v9, v9, v27
	v_dual_add_f32 v11, v11, v87 :: v_dual_fma_f32 v15, v240, v140, -v15
	v_dual_mul_f32 v35, v252, v145 :: v_dual_mul_f32 v37, v254, v147
	s_delay_alu instid0(VALU_DEP_3) | instskip(NEXT) | instid1(VALU_DEP_3)
	v_add_f32_e32 v9, v9, v29
	v_dual_add_f32 v11, v11, v13 :: v_dual_fma_f32 v17, v250, v142, -v17
	s_delay_alu instid0(VALU_DEP_3) | instskip(NEXT) | instid1(VALU_DEP_3)
	v_dual_fmac_f32 v33, v251, v142 :: v_dual_fmac_f32 v35, v253, v144
	v_add_f32_e32 v9, v9, v31
	s_delay_alu instid0(VALU_DEP_3)
	v_dual_add_f32 v11, v11, v15 :: v_dual_fma_f32 v19, v252, v144, -v19
	s_wait_loadcnt_dscnt 0x110c
	s_set_vgpr_msb 1                        ;  msbs: dst=0 src0=1 src1=0 src2=0
	v_dual_mul_f32 v39, v0 /*v256*/, v149 :: v_dual_mul_f32 v41, v6 /*v262*/, v151
	s_set_vgpr_msb 0                        ;  msbs: dst=0 src0=0 src1=0 src2=0
	v_add_f32_e32 v9, v9, v33
	v_dual_add_f32 v11, v11, v17 :: v_dual_fma_f32 v21, v254, v146, -v21
	s_set_vgpr_msb 1                        ;  msbs: dst=0 src0=1 src1=0 src2=0
	v_dual_mul_f32 v23, v1 /*v257*/, v149 :: v_dual_mul_f32 v25, v7 /*v263*/, v151
	s_set_vgpr_msb 0                        ;  msbs: dst=0 src0=0 src1=0 src2=0
	v_dual_fmac_f32 v37, v255, v146 :: v_dual_add_f32 v9, v9, v35
	v_add_f32_e32 v11, v11, v19
	s_wait_loadcnt_dscnt 0xf0a
	s_set_vgpr_msb 1                        ;  msbs: dst=0 src0=1 src1=0 src2=0
	v_dual_mul_f32 v19, v17 /*v273*/, v161 :: v_dual_fma_f32 v23, v0 /*v256*/, v148, -v23
	v_fmac_f32_e32 v39, v1 /*v257*/, v148
	s_set_vgpr_msb 0                        ;  msbs: dst=0 src0=0 src1=0 src2=0
	v_add_f32_e32 v9, v9, v37
	v_add_f32_e32 v11, v11, v21
	s_set_vgpr_msb 1                        ;  msbs: dst=0 src0=1 src1=0 src2=0
	v_dual_mul_f32 v43, v8 /*v264*/, v153 :: v_dual_mul_f32 v45, v10 /*v266*/, v155
	v_dual_mul_f32 v27, v9 /*v265*/, v153 :: v_dual_mul_f32 v13, v11 /*v267*/, v155
	s_wait_loadcnt_dscnt 0xe09
	v_mul_f32_e32 v21, v19 /*v275*/, v163
	v_fmac_f32_e32 v41, v7 /*v263*/, v150
	v_dual_fma_f32 v25, v6 /*v262*/, v150, -v25 :: v_dual_fmac_f32 v43, v9 /*v265*/, v152
	s_set_vgpr_msb 0                        ;  msbs: dst=0 src0=0 src1=0 src2=0
	v_add_f32_e32 v9, v9, v39
	v_add_f32_e32 v11, v11, v23
	s_set_vgpr_msb 1                        ;  msbs: dst=0 src0=1 src1=0 src2=0
	v_dual_mul_f32 v23, v21 /*v277*/, v165 :: v_dual_fma_f32 v27, v8 /*v264*/, v152, -v27
	v_dual_mul_f32 v47, v12 /*v268*/, v157 :: v_dual_mul_f32 v49, v14 /*v270*/, v159
	s_set_vgpr_msb 0                        ;  msbs: dst=0 src0=0 src1=0 src2=0
	v_add_f32_e32 v9, v9, v41
	v_add_f32_e32 v11, v11, v25
	s_set_vgpr_msb 1                        ;  msbs: dst=0 src0=1 src1=0 src2=0
	v_dual_mul_f32 v15, v13 /*v269*/, v157 :: v_dual_mul_f32 v17, v15 /*v271*/, v159
	s_wait_loadcnt_dscnt 0xd08
	v_mul_f32_e32 v25, v23 /*v279*/, v167
	v_fmac_f32_e32 v45, v11 /*v267*/, v154
	v_dual_fma_f32 v13, v10 /*v266*/, v154, -v13 :: v_dual_fmac_f32 v47, v13 /*v269*/, v156
	s_set_vgpr_msb 0                        ;  msbs: dst=0 src0=0 src1=0 src2=0
	v_add_f32_e32 v9, v9, v43
	v_add_f32_e32 v11, v11, v27
	s_set_vgpr_msb 1                        ;  msbs: dst=0 src0=1 src1=0 src2=0
	v_dual_mul_f32 v27, v25 /*v281*/, v169 :: v_dual_fma_f32 v15, v12 /*v268*/, v156, -v15
	v_dual_mul_f32 v51, v16 /*v272*/, v161 :: v_dual_mul_f32 v53, v18 /*v274*/, v163
	s_set_vgpr_msb 0                        ;  msbs: dst=0 src0=0 src1=0 src2=0
	v_add_f32_e32 v9, v9, v45
	v_add_f32_e32 v11, v11, v13
	s_wait_loadcnt_dscnt 0xc07
	s_set_vgpr_msb 1                        ;  msbs: dst=0 src0=1 src1=0 src2=0
	v_mul_f32_e32 v13, v27 /*v283*/, v171
	v_fmac_f32_e32 v49, v15 /*v271*/, v158
	v_dual_fma_f32 v17, v14 /*v270*/, v158, -v17 :: v_dual_fmac_f32 v51, v17 /*v273*/, v160
	s_set_vgpr_msb 0                        ;  msbs: dst=0 src0=0 src1=0 src2=0
	v_add_f32_e32 v9, v9, v47
	v_add_f32_e32 v11, v11, v15
	s_set_vgpr_msb 1                        ;  msbs: dst=0 src0=1 src1=0 src2=0
	v_dual_mul_f32 v15, v29 /*v285*/, v173 :: v_dual_fma_f32 v19, v16 /*v272*/, v160, -v19
	v_dual_mul_f32 v55, v20 /*v276*/, v165 :: v_dual_mul_f32 v57, v22 /*v278*/, v167
	s_set_vgpr_msb 0                        ;  msbs: dst=0 src0=0 src1=0 src2=0
	v_add_f32_e32 v9, v9, v49
	v_add_f32_e32 v11, v11, v17
	s_wait_loadcnt_dscnt 0xb06
	s_set_vgpr_msb 1                        ;  msbs: dst=0 src0=1 src1=0 src2=0
	;; [unrolled: 14-line block ×7, first 2 shown]
	v_mul_f32_e32 v21, v51 /*v307*/, v195
	v_fmac_f32_e32 v73, v39 /*v295*/, v182
	v_dual_fma_f32 v25, v38 /*v294*/, v182, -v25 :: v_dual_fmac_f32 v75, v41 /*v297*/, v184
	s_set_vgpr_msb 0                        ;  msbs: dst=0 src0=0 src1=0 src2=0
	v_add_f32_e32 v9, v9, v71
	v_add_f32_e32 v11, v11, v23
	s_set_vgpr_msb 1                        ;  msbs: dst=0 src0=1 src1=0 src2=0
	v_dual_mul_f32 v23, v53 /*v309*/, v197 :: v_dual_fma_f32 v27, v40 /*v296*/, v184, -v27
	v_fmac_f32_e32 v77, v43 /*v299*/, v186
	s_set_vgpr_msb 0                        ;  msbs: dst=0 src0=0 src1=0 src2=0
	v_add_f32_e32 v9, v9, v73
	v_add_f32_e32 v11, v11, v25
	s_set_vgpr_msb 1                        ;  msbs: dst=0 src0=1 src1=0 src2=0
	v_dual_mul_f32 v79, v44 /*v300*/, v189 :: v_dual_mul_f32 v81, v46 /*v302*/, v191
	v_fma_f32 v13, v42 /*v298*/, v186, -v13
	s_set_vgpr_msb 0                        ;  msbs: dst=0 src0=0 src1=0 src2=0
	v_add_f32_e32 v9, v9, v75
	v_add_f32_e32 v11, v11, v27
	s_set_vgpr_msb 1                        ;  msbs: dst=0 src0=1 src1=0 src2=0
	v_fmac_f32_e32 v79, v45 /*v301*/, v188
	v_dual_fma_f32 v15, v44 /*v300*/, v188, -v15 :: v_dual_fmac_f32 v81, v47 /*v303*/, v190
	s_set_vgpr_msb 0                        ;  msbs: dst=0 src0=0 src1=0 src2=0
	v_add_f32_e32 v9, v9, v77
	v_add_f32_e32 v11, v11, v13
	s_set_vgpr_msb 1                        ;  msbs: dst=0 src0=1 src1=0 src2=0
	v_dual_mul_f32 v83, v48 /*v304*/, v193 :: v_dual_mul_f32 v85, v50 /*v306*/, v195
	v_fma_f32 v13, v46 /*v302*/, v190, -v17
	s_set_vgpr_msb 0                        ;  msbs: dst=0 src0=0 src1=0 src2=0
	v_add_f32_e32 v9, v9, v79
	s_wait_loadcnt 0x4
	v_dual_add_f32 v11, v11, v15 :: v_dual_mov_b32 v122, v205
	v_dual_mul_f32 v25, v231, v199 :: v_dual_mov_b32 v118, v201
	s_set_vgpr_msb 1                        ;  msbs: dst=0 src0=1 src1=0 src2=0
	v_fmac_f32_e32 v83, v49 /*v305*/, v192
	v_dual_fma_f32 v15, v48 /*v304*/, v192, -v19 :: v_dual_fmac_f32 v85, v51 /*v307*/, v194
	s_set_vgpr_msb 0                        ;  msbs: dst=0 src0=0 src1=0 src2=0
	v_add_f32_e32 v11, v11, v13
	v_add_f32_e32 v9, v9, v81
	s_set_vgpr_msb 0x41                     ;  msbs: dst=1 src0=1 src1=0 src2=0
	v_dual_mul_f32 v69 /*v325*/, v52 /*v308*/, v197 :: v_dual_fma_f32 v68 /*v324*/, v52 /*v308*/, v196, -v23
	s_set_vgpr_msb 1                        ;  msbs: dst=0 src0=1 src1=0 src2=0
	v_fma_f32 v13, v50 /*v306*/, v194, -v21
	s_set_vgpr_msb 0                        ;  msbs: dst=0 src0=0 src1=0 src2=0
	v_add_f32_e32 v11, v11, v15
	v_add_f32_e32 v9, v9, v83
	s_set_vgpr_msb 1                        ;  msbs: dst=0 src0=1 src1=0 src2=0
	v_pk_mul_f32 v[118:119], v[60:61] /*v[316:317]*/, v[118:119] op_sel_hi:[1,0]
	s_set_vgpr_msb 64                       ;  msbs: dst=1 src0=0 src1=0 src2=0
	v_dual_mul_f32 v71 /*v327*/, v230, v199 :: v_dual_fma_f32 v70 /*v326*/, v230, v198, -v25
	s_set_vgpr_msb 0x41                     ;  msbs: dst=1 src0=1 src1=0 src2=0
	v_fmac_f32_e32 v69 /*v325*/, v53 /*v309*/, v196
	s_wait_loadcnt 0x3
	s_set_vgpr_msb 0                        ;  msbs: dst=0 src0=0 src1=0 src2=0
	v_dual_add_f32 v126, v11, v13 :: v_dual_mov_b32 v128, v209
	v_pk_fma_f32 v[130:131], v[232:233], v[200:201], v[118:119] op_sel_hi:[1,0,1]
	v_add_f32_e32 v127, v9, v85
	v_pk_fma_f32 v[118:119], v[232:233], v[200:201], v[118:119] neg_lo:[0,0,1] neg_hi:[0,0,1]
	v_pk_mul_f32 v[120:121], v[242:243], v[202:203] op_sel:[1,1] op_sel_hi:[0,1]
	s_set_vgpr_msb 64                       ;  msbs: dst=1 src0=0 src1=0 src2=0
	v_fmac_f32_e32 v71 /*v327*/, v231, v198
	s_set_vgpr_msb 4                        ;  msbs: dst=0 src0=0 src1=1 src2=0
	v_mov_b32_e32 v119, v131
	v_pk_add_f32 v[126:127], v[126:127], v[68:69] /*v[324:325]*/
	s_set_vgpr_msb 1                        ;  msbs: dst=0 src0=1 src1=0 src2=0
	v_pk_mul_f32 v[122:123], v[62:63] /*v[318:319]*/, v[122:123] op_sel_hi:[1,0]
	s_set_vgpr_msb 0                        ;  msbs: dst=0 src0=0 src1=0 src2=0
	v_pk_fma_f32 v[132:133], v[242:243], v[202:203], v[120:121] op_sel_hi:[1,0,1]
	v_pk_fma_f32 v[120:121], v[242:243], v[202:203], v[120:121] neg_lo:[0,0,1] neg_hi:[0,0,1]
	v_pk_mul_f32 v[124:125], v[246:247], v[206:207] op_sel:[1,1] op_sel_hi:[0,1]
	s_set_vgpr_msb 4                        ;  msbs: dst=0 src0=0 src1=1 src2=0
	v_pk_add_f32 v[126:127], v[126:127], v[70:71] /*v[326:327]*/
	s_set_vgpr_msb 1                        ;  msbs: dst=0 src0=1 src1=0 src2=0
	v_pk_mul_f32 v[128:129], v[64:65] /*v[320:321]*/, v[128:129] op_sel_hi:[1,0]
	s_set_vgpr_msb 0                        ;  msbs: dst=0 src0=0 src1=0 src2=0
	v_mov_b32_e32 v121, v133
	v_pk_fma_f32 v[132:133], v[244:245], v[204:205], v[122:123] op_sel_hi:[1,0,1]
	v_pk_fma_f32 v[122:123], v[244:245], v[204:205], v[122:123] neg_lo:[0,0,1] neg_hi:[0,0,1]
	v_pk_add_f32 v[118:119], v[126:127], v[118:119]
	v_pk_fma_f32 v[126:127], v[246:247], v[206:207], v[124:125] op_sel_hi:[1,0,1]
	v_pk_fma_f32 v[124:125], v[246:247], v[206:207], v[124:125] neg_lo:[0,0,1] neg_hi:[0,0,1]
	v_mov_b32_e32 v123, v133
	s_wait_loadcnt 0x2
	s_set_vgpr_msb 1                        ;  msbs: dst=0 src0=1 src1=0 src2=0
	v_pk_mul_f32 v[130:131], v[2:3] /*v[258:259]*/, v[210:211] op_sel:[1,1] op_sel_hi:[0,1]
	s_set_vgpr_msb 0                        ;  msbs: dst=0 src0=0 src1=0 src2=0
	v_pk_add_f32 v[118:119], v[118:119], v[120:121]
	v_dual_mov_b32 v120, v213 :: v_dual_mov_b32 v125, v127
	v_pk_fma_f32 v[126:127], v[248:249], v[208:209], v[128:129] op_sel_hi:[1,0,1]
	v_pk_fma_f32 v[128:129], v[248:249], v[208:209], v[128:129] neg_lo:[0,0,1] neg_hi:[0,0,1]
	s_delay_alu instid0(VALU_DEP_4)
	v_pk_add_f32 v[118:119], v[118:119], v[122:123]
	s_set_vgpr_msb 1                        ;  msbs: dst=0 src0=1 src1=0 src2=0
	v_pk_fma_f32 v[122:123], v[2:3] /*v[258:259]*/, v[210:211], v[130:131] op_sel_hi:[1,0,1]
	v_pk_mul_f32 v[120:121], v[66:67] /*v[322:323]*/, v[120:121] op_sel_hi:[1,0]
	s_set_vgpr_msb 0                        ;  msbs: dst=0 src0=0 src1=0 src2=0
	v_mov_b32_e32 v129, v127
	s_wait_loadcnt_dscnt 0x100
	s_set_vgpr_msb 5                        ;  msbs: dst=0 src0=1 src1=1 src2=0
	v_pk_mul_f32 v[126:127], v[58:59] /*v[314:315]*/, v[54:55] /*v[310:311]*/ op_sel:[1,1] op_sel_hi:[0,1]
	s_set_vgpr_msb 0                        ;  msbs: dst=0 src0=0 src1=0 src2=0
	v_pk_add_f32 v[118:119], v[118:119], v[124:125]
	s_set_vgpr_msb 1                        ;  msbs: dst=0 src0=1 src1=0 src2=0
	v_pk_fma_f32 v[124:125], v[2:3] /*v[258:259]*/, v[210:211], v[130:131] neg_lo:[0,0,1] neg_hi:[0,0,1]
	s_set_vgpr_msb 0                        ;  msbs: dst=0 src0=0 src1=0 src2=0
	v_mov_b32_e32 v125, v123
	s_set_vgpr_msb 1                        ;  msbs: dst=0 src0=1 src1=0 src2=0
	v_pk_fma_f32 v[122:123], v[4:5] /*v[260:261]*/, v[212:213], v[120:121] op_sel_hi:[1,0,1]
	v_pk_fma_f32 v[120:121], v[4:5] /*v[260:261]*/, v[212:213], v[120:121] neg_lo:[0,0,1] neg_hi:[0,0,1]
	s_set_vgpr_msb 0                        ;  msbs: dst=0 src0=0 src1=0 src2=0
	v_pk_add_f32 v[118:119], v[118:119], v[128:129]
	s_delay_alu instid0(VALU_DEP_3)
	v_mov_b32_e32 v121, v123
	s_set_vgpr_msb 5                        ;  msbs: dst=0 src0=1 src1=1 src2=0
	v_pk_fma_f32 v[122:123], v[58:59] /*v[314:315]*/, v[54:55] /*v[310:311]*/, v[126:127] op_sel_hi:[1,0,1]
	s_set_vgpr_msb 0                        ;  msbs: dst=0 src0=0 src1=0 src2=0
	v_pk_add_f32 v[118:119], v[118:119], v[124:125]
	s_set_vgpr_msb 5                        ;  msbs: dst=0 src0=1 src1=1 src2=0
	v_pk_fma_f32 v[124:125], v[58:59] /*v[314:315]*/, v[54:55] /*v[310:311]*/, v[126:127] neg_lo:[0,0,1] neg_hi:[0,0,1]
	s_set_vgpr_msb 0                        ;  msbs: dst=0 src0=0 src1=0 src2=0
	v_mov_b32_e32 v125, v123
	v_pk_add_f32 v[118:119], v[118:119], v[120:121]
	s_delay_alu instid0(VALU_DEP_1) | instskip(SKIP_2) | instid1(VALU_DEP_1)
	v_pk_add_f32 v[118:119], v[118:119], v[124:125]
	s_wait_loadcnt 0x0
	s_set_vgpr_msb 1                        ;  msbs: dst=0 src0=1 src1=0 src2=0
	v_pk_add_f32 v[118:119], v[56:57] /*v[312:313]*/, v[118:119] neg_lo:[0,1] neg_hi:[0,1]
	scratch_store_b64 off, v[118:119], off offset:64
	s_wait_xcnt 0x0
	v_cmpx_lt_u32_e32 7, v0
	s_set_vgpr_msb 0                        ;  msbs: dst=0 src0=0 src1=0 src2=0
	s_cbranch_execz .LBB121_347
; %bb.346:
	scratch_load_b64 v[118:119], off, off offset:56
	v_mov_b64_e32 v[120:121], 0
	scratch_store_b64 off, v[120:121], off offset:56
	s_wait_loadcnt 0x0
	ds_store_b64 v1, v[118:119]
.LBB121_347:
	s_wait_xcnt 0x0
	s_or_b32 exec_lo, exec_lo, s0
	s_wait_storecnt_dscnt 0x0
	s_barrier_signal -1
	s_barrier_wait -1
	s_clause 0x18
	scratch_load_b128 v[118:121], off, off offset:64
	scratch_load_b128 v[122:125], off, off offset:80
	scratch_load_b128 v[126:129], off, off offset:96
	scratch_load_b128 v[130:133], off, off offset:112
	scratch_load_b128 v[134:137], off, off offset:128
	scratch_load_b128 v[138:141], off, off offset:144
	scratch_load_b128 v[142:145], off, off offset:160
	scratch_load_b128 v[146:149], off, off offset:176
	scratch_load_b128 v[150:153], off, off offset:192
	scratch_load_b128 v[154:157], off, off offset:208
	scratch_load_b128 v[158:161], off, off offset:224
	scratch_load_b128 v[162:165], off, off offset:240
	scratch_load_b128 v[166:169], off, off offset:256
	scratch_load_b128 v[170:173], off, off offset:272
	scratch_load_b128 v[174:177], off, off offset:288
	scratch_load_b128 v[178:181], off, off offset:304
	scratch_load_b128 v[182:185], off, off offset:320
	scratch_load_b128 v[186:189], off, off offset:336
	scratch_load_b128 v[190:193], off, off offset:352
	scratch_load_b128 v[194:197], off, off offset:368
	scratch_load_b128 v[198:201], off, off offset:384
	scratch_load_b128 v[202:205], off, off offset:400
	scratch_load_b128 v[206:209], off, off offset:416
	scratch_load_b128 v[210:213], off, off offset:432
	scratch_load_b128 v[214:217], off, off offset:448
	ds_load_b128 v[218:221], v7 offset:528
	ds_load_b128 v[222:225], v7 offset:544
	ds_load_b128 v[226:229], v7 offset:560
	ds_load_b128 v[230:233], v7 offset:576
	ds_load_b128 v[234:237], v7 offset:848
	ds_load_b128 v[238:241], v7 offset:864
	ds_load_b128 v[242:245], v7 offset:592
	ds_load_b128 v[246:249], v7 offset:608
	ds_load_b128 v[250:253], v7 offset:880
	ds_load_b128 v[254:257], v7 offset:896
	s_set_vgpr_msb 64                       ;  msbs: dst=1 src0=0 src1=0 src2=0
	ds_load_b128 v[2:5] /*v[258:261]*/, v7 offset:624
	ds_load_b128 v[6:9] /*v[262:265]*/, v7 offset:640
	;; [unrolled: 1-line block ×9, first 2 shown]
	scratch_load_b64 v[62:63] /*v[318:319]*/, off, off offset:56
	ds_load_b128 v[38:41] /*v[294:297]*/, v7 offset:752
	ds_load_b128 v[42:45] /*v[298:301]*/, v7 offset:768
	;; [unrolled: 1-line block ×6, first 2 shown]
	s_mov_b32 s0, exec_lo
	s_wait_dscnt 0x13
	v_dual_mov_b32 v64 /*v320*/, v241 :: v_dual_mov_b32 v65 /*v321*/, v240
	s_wait_dscnt 0x10
	v_dual_mov_b32 v66 /*v322*/, v253 :: v_dual_mov_b32 v67 /*v323*/, v252
	s_wait_dscnt 0xf
	s_set_vgpr_msb 0x41                     ;  msbs: dst=1 src0=1 src1=0 src2=0
	v_dual_mov_b32 v68 /*v324*/, v1 /*v257*/ :: v_dual_mov_b32 v69 /*v325*/, v0 /*v256*/
	s_wait_dscnt 0xc
	v_dual_mov_b32 v70 /*v326*/, v13 /*v269*/ :: v_dual_mov_b32 v71 /*v327*/, v12 /*v268*/
	s_wait_loadcnt 0x19
	s_set_vgpr_msb 0                        ;  msbs: dst=0 src0=0 src1=0 src2=0
	v_dual_mul_f32 v7, v218, v119 :: v_dual_mul_f32 v9, v220, v121
	v_dual_mul_f32 v87, v219, v119 :: v_dual_mul_f32 v89, v221, v121
	s_wait_loadcnt 0x18
	v_dual_mul_f32 v11, v222, v123 :: v_dual_mul_f32 v13, v224, v125
	s_delay_alu instid0(VALU_DEP_3) | instskip(SKIP_3) | instid1(VALU_DEP_3)
	v_dual_fmac_f32 v7, v219, v118 :: v_dual_fmac_f32 v9, v221, v120
	s_wait_loadcnt 0x16
	v_dual_fma_f32 v87, v218, v118, -v87 :: v_dual_mul_f32 v99, v231, v131
	v_dual_mul_f32 v91, v223, v123 :: v_dual_mul_f32 v93, v225, v125
	v_dual_fma_f32 v89, v220, v120, -v89 :: v_dual_add_f32 v7, 0, v7
	s_delay_alu instid0(VALU_DEP_3) | instskip(SKIP_1) | instid1(VALU_DEP_3)
	v_dual_add_f32 v87, 0, v87 :: v_dual_mul_f32 v101, v233, v133
	v_dual_fmac_f32 v11, v223, v122 :: v_dual_fmac_f32 v13, v225, v124
	v_dual_fma_f32 v91, v222, v122, -v91 :: v_dual_add_f32 v7, v7, v9
	s_delay_alu instid0(VALU_DEP_3) | instskip(SKIP_2) | instid1(VALU_DEP_4)
	v_dual_add_f32 v9, v87, v89 :: v_dual_fma_f32 v89, v224, v124, -v93
	v_dual_mul_f32 v15, v226, v127 :: v_dual_mul_f32 v17, v228, v129
	v_dual_mul_f32 v95, v227, v127 :: v_dual_mul_f32 v97, v229, v129
	v_add_f32_e32 v7, v7, v11
	s_delay_alu instid0(VALU_DEP_3) | instskip(NEXT) | instid1(VALU_DEP_3)
	v_dual_add_f32 v9, v9, v91 :: v_dual_fmac_f32 v15, v227, v126
	v_fma_f32 v91, v226, v126, -v95
	v_dual_mul_f32 v19, v230, v131 :: v_dual_mul_f32 v21, v232, v133
	s_delay_alu instid0(VALU_DEP_4) | instskip(SKIP_2) | instid1(VALU_DEP_2)
	v_dual_add_f32 v7, v7, v13 :: v_dual_fmac_f32 v17, v229, v128
	s_wait_loadcnt 0x14
	v_dual_add_f32 v9, v9, v89 :: v_dual_mul_f32 v13, v247, v139
	v_dual_fma_f32 v89, v228, v128, -v97 :: v_dual_add_f32 v7, v7, v15
	v_mul_f32_e32 v15, v249, v141
	s_delay_alu instid0(VALU_DEP_3) | instskip(NEXT) | instid1(VALU_DEP_3)
	v_dual_add_f32 v9, v9, v91 :: v_dual_fmac_f32 v19, v231, v130
	v_dual_fma_f32 v91, v230, v130, -v99 :: v_dual_add_f32 v7, v7, v17
	v_fmac_f32_e32 v21, v233, v132
	s_delay_alu instid0(VALU_DEP_3) | instskip(SKIP_3) | instid1(VALU_DEP_3)
	v_dual_add_f32 v9, v9, v89 :: v_dual_fma_f32 v89, v232, v132, -v101
	v_dual_mul_f32 v23, v242, v135 :: v_dual_mul_f32 v25, v244, v137
	v_dual_mul_f32 v87, v243, v135 :: v_dual_mul_f32 v11, v245, v137
	v_add_f32_e32 v7, v7, v19
	v_dual_add_f32 v9, v9, v91 :: v_dual_fmac_f32 v23, v243, v134
	s_delay_alu instid0(VALU_DEP_3) | instskip(SKIP_1) | instid1(VALU_DEP_4)
	v_fma_f32 v87, v242, v134, -v87
	v_dual_mul_f32 v27, v246, v139 :: v_dual_mul_f32 v29, v248, v141
	v_dual_add_f32 v7, v7, v21 :: v_dual_fmac_f32 v25, v245, v136
	s_delay_alu instid0(VALU_DEP_4) | instskip(NEXT) | instid1(VALU_DEP_3)
	v_dual_add_f32 v9, v9, v89 :: v_dual_fma_f32 v11, v244, v136, -v11
	v_fmac_f32_e32 v27, v247, v138
	s_delay_alu instid0(VALU_DEP_3) | instskip(NEXT) | instid1(VALU_DEP_3)
	v_dual_add_f32 v7, v7, v23 :: v_dual_fma_f32 v13, v246, v138, -v13
	v_add_f32_e32 v9, v9, v87
	s_wait_loadcnt 0x13
	s_set_vgpr_msb 1                        ;  msbs: dst=0 src0=1 src1=0 src2=0
	v_dual_mul_f32 v31, v2 /*v258*/, v143 :: v_dual_mul_f32 v33, v4 /*v260*/, v145
	s_set_vgpr_msb 0                        ;  msbs: dst=0 src0=0 src1=0 src2=0
	v_add_f32_e32 v7, v7, v25
	s_set_vgpr_msb 1                        ;  msbs: dst=0 src0=1 src1=0 src2=0
	v_dual_mul_f32 v17, v3 /*v259*/, v143 :: v_dual_mul_f32 v19, v5 /*v261*/, v145
	s_set_vgpr_msb 0                        ;  msbs: dst=0 src0=0 src1=0 src2=0
	v_add_f32_e32 v9, v9, v11
	v_dual_fmac_f32 v29, v249, v140 :: v_dual_fma_f32 v15, v248, v140, -v15
	v_add_f32_e32 v7, v7, v27
	s_set_vgpr_msb 1                        ;  msbs: dst=0 src0=1 src1=0 src2=0
	v_dual_fmac_f32 v31, v3 /*v259*/, v142 :: v_dual_fma_f32 v17, v2 /*v258*/, v142, -v17
	s_set_vgpr_msb 0                        ;  msbs: dst=0 src0=0 src1=0 src2=0
	v_add_f32_e32 v9, v9, v13
	s_wait_loadcnt 0x12
	s_set_vgpr_msb 1                        ;  msbs: dst=0 src0=1 src1=0 src2=0
	v_dual_mul_f32 v35, v6 /*v262*/, v147 :: v_dual_mul_f32 v37, v8 /*v264*/, v149
	s_set_vgpr_msb 0                        ;  msbs: dst=0 src0=0 src1=0 src2=0
	v_add_f32_e32 v7, v7, v29
	s_set_vgpr_msb 1                        ;  msbs: dst=0 src0=1 src1=0 src2=0
	v_dual_mul_f32 v21, v7 /*v263*/, v147 :: v_dual_mul_f32 v23, v9 /*v265*/, v149
	s_set_vgpr_msb 0                        ;  msbs: dst=0 src0=0 src1=0 src2=0
	v_add_f32_e32 v9, v9, v15
	s_wait_loadcnt_dscnt 0x100a
	s_set_vgpr_msb 1                        ;  msbs: dst=0 src0=1 src1=0 src2=0
	v_dual_mul_f32 v15, v19 /*v275*/, v155 :: v_dual_fmac_f32 v33, v5 /*v261*/, v144
	v_fma_f32 v19, v4 /*v260*/, v144, -v19
	s_set_vgpr_msb 0                        ;  msbs: dst=0 src0=0 src1=0 src2=0
	v_dual_add_f32 v7, v7, v31 :: v_dual_add_f32 v9, v9, v17
	s_set_vgpr_msb 1                        ;  msbs: dst=0 src0=1 src1=0 src2=0
	v_dual_mul_f32 v17, v21 /*v277*/, v157 :: v_dual_fmac_f32 v35, v7 /*v263*/, v146
	v_fma_f32 v21, v6 /*v262*/, v146, -v21
	s_set_vgpr_msb 0                        ;  msbs: dst=0 src0=0 src1=0 src2=0
	v_dual_add_f32 v7, v7, v33 :: v_dual_add_f32 v9, v9, v19
	s_set_vgpr_msb 1                        ;  msbs: dst=0 src0=1 src1=0 src2=0
	v_dual_mul_f32 v11, v15 /*v271*/, v151 :: v_dual_mul_f32 v13, v17 /*v273*/, v153
	s_wait_loadcnt_dscnt 0xf09
	v_dual_mul_f32 v19, v23 /*v279*/, v159 :: v_dual_fmac_f32 v37, v9 /*v265*/, v148
	v_fma_f32 v23, v8 /*v264*/, v148, -v23
	s_set_vgpr_msb 0                        ;  msbs: dst=0 src0=0 src1=0 src2=0
	v_dual_add_f32 v7, v7, v35 :: v_dual_add_f32 v9, v9, v21
	s_set_vgpr_msb 1                        ;  msbs: dst=0 src0=1 src1=0 src2=0
	v_dual_mul_f32 v39, v14 /*v270*/, v151 :: v_dual_mul_f32 v41, v16 /*v272*/, v153
	v_dual_mul_f32 v21, v25 /*v281*/, v161 :: v_dual_fma_f32 v11, v14 /*v270*/, v150, -v11
	s_set_vgpr_msb 0                        ;  msbs: dst=0 src0=0 src1=0 src2=0
	v_dual_add_f32 v7, v7, v37 :: v_dual_add_f32 v9, v9, v23
	s_set_vgpr_msb 1                        ;  msbs: dst=0 src0=1 src1=0 src2=0
	v_dual_fmac_f32 v39, v15 /*v271*/, v150 :: v_dual_fmac_f32 v41, v17 /*v273*/, v152
	s_wait_loadcnt_dscnt 0xe08
	v_dual_mul_f32 v23, v27 /*v283*/, v163 :: v_dual_fma_f32 v13, v16 /*v272*/, v152, -v13
	s_set_vgpr_msb 0                        ;  msbs: dst=0 src0=0 src1=0 src2=0
	v_add_f32_e32 v9, v9, v11
	s_set_vgpr_msb 1                        ;  msbs: dst=0 src0=1 src1=0 src2=0
	v_dual_mul_f32 v43, v18 /*v274*/, v155 :: v_dual_mul_f32 v45, v20 /*v276*/, v157
	v_mul_f32_e32 v11, v29 /*v285*/, v165
	s_set_vgpr_msb 0                        ;  msbs: dst=0 src0=0 src1=0 src2=0
	v_dual_add_f32 v7, v7, v39 :: v_dual_add_f32 v9, v9, v13
	s_wait_loadcnt_dscnt 0xd07
	s_set_vgpr_msb 1                        ;  msbs: dst=0 src0=1 src1=0 src2=0
	v_dual_fma_f32 v15, v18 /*v274*/, v154, -v15 :: v_dual_mul_f32 v13, v31 /*v287*/, v167
	v_dual_fmac_f32 v43, v19 /*v275*/, v154 :: v_dual_fmac_f32 v45, v21 /*v277*/, v156
	s_set_vgpr_msb 0                        ;  msbs: dst=0 src0=0 src1=0 src2=0
	v_add_f32_e32 v7, v7, v41
	s_set_vgpr_msb 1                        ;  msbs: dst=0 src0=1 src1=0 src2=0
	v_fma_f32 v17, v20 /*v276*/, v156, -v17
	s_set_vgpr_msb 0                        ;  msbs: dst=0 src0=0 src1=0 src2=0
	v_add_f32_e32 v9, v9, v15
	s_set_vgpr_msb 1                        ;  msbs: dst=0 src0=1 src1=0 src2=0
	v_dual_mul_f32 v47, v22 /*v278*/, v159 :: v_dual_mul_f32 v49, v24 /*v280*/, v161
	v_mul_f32_e32 v15, v33 /*v289*/, v169
	s_set_vgpr_msb 0                        ;  msbs: dst=0 src0=0 src1=0 src2=0
	v_dual_add_f32 v7, v7, v43 :: v_dual_add_f32 v9, v9, v17
	s_wait_loadcnt_dscnt 0xc06
	s_set_vgpr_msb 1                        ;  msbs: dst=0 src0=1 src1=0 src2=0
	v_dual_fma_f32 v19, v22 /*v278*/, v158, -v19 :: v_dual_mul_f32 v17, v35 /*v291*/, v171
	v_dual_fmac_f32 v47, v23 /*v279*/, v158 :: v_dual_fmac_f32 v49, v25 /*v281*/, v160
	s_set_vgpr_msb 0                        ;  msbs: dst=0 src0=0 src1=0 src2=0
	v_add_f32_e32 v7, v7, v45
	s_set_vgpr_msb 1                        ;  msbs: dst=0 src0=1 src1=0 src2=0
	v_fma_f32 v21, v24 /*v280*/, v160, -v21
	s_set_vgpr_msb 0                        ;  msbs: dst=0 src0=0 src1=0 src2=0
	v_add_f32_e32 v9, v9, v19
	s_set_vgpr_msb 1                        ;  msbs: dst=0 src0=1 src1=0 src2=0
	v_dual_mul_f32 v51, v26 /*v282*/, v163 :: v_dual_mul_f32 v53, v28 /*v284*/, v165
	v_mul_f32_e32 v19, v37 /*v293*/, v173
	s_set_vgpr_msb 0                        ;  msbs: dst=0 src0=0 src1=0 src2=0
	v_dual_add_f32 v7, v7, v47 :: v_dual_add_f32 v9, v9, v21
	s_wait_loadcnt_dscnt 0xb05
	s_set_vgpr_msb 1                        ;  msbs: dst=0 src0=1 src1=0 src2=0
	v_dual_fma_f32 v23, v26 /*v282*/, v162, -v23 :: v_dual_mul_f32 v21, v39 /*v295*/, v175
	v_dual_mul_f32 v55, v30 /*v286*/, v167 :: v_dual_mul_f32 v57, v32 /*v288*/, v169
	v_dual_mul_f32 v59, v34 /*v290*/, v171 :: v_dual_mul_f32 v61, v36 /*v292*/, v173
	v_dual_fmac_f32 v51, v27 /*v283*/, v162 :: v_dual_fmac_f32 v53, v29 /*v285*/, v164
	v_fma_f32 v11, v28 /*v284*/, v164, -v11
	s_set_vgpr_msb 0                        ;  msbs: dst=0 src0=0 src1=0 src2=0
	v_dual_add_f32 v9, v9, v23 :: v_dual_add_f32 v7, v7, v49
	s_set_vgpr_msb 1                        ;  msbs: dst=0 src0=1 src1=0 src2=0
	v_dual_mul_f32 v23, v41 /*v297*/, v177 :: v_dual_fmac_f32 v55, v31 /*v287*/, v166
	v_fma_f32 v13, v30 /*v286*/, v166, -v13
	v_dual_fmac_f32 v57, v33 /*v289*/, v168 :: v_dual_fmac_f32 v59, v35 /*v291*/, v170
	s_set_vgpr_msb 0                        ;  msbs: dst=0 src0=0 src1=0 src2=0
	v_add_f32_e32 v9, v9, v11
	s_set_vgpr_msb 1                        ;  msbs: dst=0 src0=1 src1=0 src2=0
	v_dual_mul_f32 v63, v38 /*v294*/, v175 :: v_dual_mul_f32 v65, v40 /*v296*/, v177
	s_set_vgpr_msb 0                        ;  msbs: dst=0 src0=0 src1=0 src2=0
	v_add_f32_e32 v7, v7, v51
	s_wait_loadcnt_dscnt 0xa04
	s_set_vgpr_msb 1                        ;  msbs: dst=0 src0=1 src1=0 src2=0
	v_dual_mul_f32 v11, v43 /*v299*/, v179 :: v_dual_fma_f32 v15, v32 /*v288*/, v168, -v15
	s_set_vgpr_msb 0                        ;  msbs: dst=0 src0=0 src1=0 src2=0
	v_add_f32_e32 v9, v9, v13
	s_set_vgpr_msb 1                        ;  msbs: dst=0 src0=1 src1=0 src2=0
	v_dual_mul_f32 v13, v45 /*v301*/, v181 :: v_dual_fma_f32 v17, v34 /*v290*/, v170, -v17
	s_set_vgpr_msb 0                        ;  msbs: dst=0 src0=0 src1=0 src2=0
	v_add_f32_e32 v7, v7, v53
	s_set_vgpr_msb 1                        ;  msbs: dst=0 src0=1 src1=0 src2=0
	v_dual_fmac_f32 v61, v37 /*v293*/, v172 :: v_dual_fmac_f32 v63, v39 /*v295*/, v174
	s_set_vgpr_msb 0                        ;  msbs: dst=0 src0=0 src1=0 src2=0
	v_add_f32_e32 v9, v9, v15
	s_set_vgpr_msb 1                        ;  msbs: dst=0 src0=1 src1=0 src2=0
	v_dual_mul_f32 v67, v42 /*v298*/, v179 :: v_dual_mul_f32 v69, v44 /*v300*/, v181
	s_set_vgpr_msb 0                        ;  msbs: dst=0 src0=0 src1=0 src2=0
	v_add_f32_e32 v7, v7, v55
	s_wait_loadcnt_dscnt 0x903
	s_set_vgpr_msb 1                        ;  msbs: dst=0 src0=1 src1=0 src2=0
	v_dual_mul_f32 v15, v47 /*v303*/, v183 :: v_dual_fma_f32 v19, v36 /*v292*/, v172, -v19
	s_set_vgpr_msb 0                        ;  msbs: dst=0 src0=0 src1=0 src2=0
	v_add_f32_e32 v9, v9, v17
	s_set_vgpr_msb 1                        ;  msbs: dst=0 src0=1 src1=0 src2=0
	v_dual_mul_f32 v17, v49 /*v305*/, v185 :: v_dual_fma_f32 v21, v38 /*v294*/, v174, -v21
	s_set_vgpr_msb 0                        ;  msbs: dst=0 src0=0 src1=0 src2=0
	v_add_f32_e32 v7, v7, v57
	s_set_vgpr_msb 1                        ;  msbs: dst=0 src0=1 src1=0 src2=0
	v_dual_fmac_f32 v65, v41 /*v297*/, v176 :: v_dual_fmac_f32 v67, v43 /*v299*/, v178
	s_set_vgpr_msb 0                        ;  msbs: dst=0 src0=0 src1=0 src2=0
	v_add_f32_e32 v9, v9, v19
	s_set_vgpr_msb 1                        ;  msbs: dst=0 src0=1 src1=0 src2=0
	v_dual_mul_f32 v71, v46 /*v302*/, v183 :: v_dual_mul_f32 v73, v48 /*v304*/, v185
	s_set_vgpr_msb 0                        ;  msbs: dst=0 src0=0 src1=0 src2=0
	v_add_f32_e32 v7, v7, v59
	s_wait_loadcnt_dscnt 0x802
	s_set_vgpr_msb 1                        ;  msbs: dst=0 src0=1 src1=0 src2=0
	v_dual_mul_f32 v19, v51 /*v307*/, v187 :: v_dual_fma_f32 v23, v40 /*v296*/, v176, -v23
	s_set_vgpr_msb 0                        ;  msbs: dst=0 src0=0 src1=0 src2=0
	v_add_f32_e32 v9, v9, v21
	s_set_vgpr_msb 1                        ;  msbs: dst=0 src0=1 src1=0 src2=0
	v_dual_mul_f32 v75, v50 /*v306*/, v187 :: v_dual_mul_f32 v77, v52 /*v308*/, v189
	s_set_vgpr_msb 0                        ;  msbs: dst=0 src0=0 src1=0 src2=0
	v_add_f32_e32 v7, v7, v61
	s_set_vgpr_msb 1                        ;  msbs: dst=0 src0=1 src1=0 src2=0
	v_dual_mul_f32 v21, v53 /*v309*/, v189 :: v_dual_fma_f32 v11, v42 /*v298*/, v178, -v11
	v_dual_fmac_f32 v69, v45 /*v301*/, v180 :: v_dual_fmac_f32 v71, v47 /*v303*/, v182
	s_set_vgpr_msb 0                        ;  msbs: dst=0 src0=0 src1=0 src2=0
	v_add_f32_e32 v9, v9, v23
	s_wait_loadcnt_dscnt 0x701
	s_set_vgpr_msb 1                        ;  msbs: dst=0 src0=1 src1=0 src2=0
	v_dual_mul_f32 v23, v55 /*v311*/, v191 :: v_dual_fma_f32 v13, v44 /*v300*/, v180, -v13
	v_dual_fmac_f32 v73, v49 /*v305*/, v184 :: v_dual_fmac_f32 v75, v51 /*v307*/, v186
	s_set_vgpr_msb 0                        ;  msbs: dst=0 src0=0 src1=0 src2=0
	v_add_f32_e32 v9, v9, v11
	v_add_f32_e32 v7, v7, v63
	s_set_vgpr_msb 1                        ;  msbs: dst=0 src0=1 src1=0 src2=0
	v_dual_mul_f32 v79, v54 /*v310*/, v191 :: v_dual_mul_f32 v81, v56 /*v312*/, v193
	v_dual_mul_f32 v11, v57 /*v313*/, v193 :: v_dual_fma_f32 v15, v46 /*v302*/, v182, -v15
	s_set_vgpr_msb 0                        ;  msbs: dst=0 src0=0 src1=0 src2=0
	v_add_f32_e32 v9, v9, v13
	v_add_f32_e32 v7, v7, v65
	s_wait_loadcnt_dscnt 0x600
	s_set_vgpr_msb 1                        ;  msbs: dst=0 src0=1 src1=0 src2=0
	v_dual_mul_f32 v13, v59 /*v315*/, v195 :: v_dual_fma_f32 v17, v48 /*v304*/, v184, -v17
	v_dual_fmac_f32 v77, v53 /*v309*/, v188 :: v_dual_fmac_f32 v79, v55 /*v311*/, v190
	s_set_vgpr_msb 0                        ;  msbs: dst=0 src0=0 src1=0 src2=0
	v_add_f32_e32 v9, v9, v15
	v_add_f32_e32 v7, v7, v67
	s_set_vgpr_msb 1                        ;  msbs: dst=0 src0=1 src1=0 src2=0
	v_dual_mul_f32 v15, v61 /*v317*/, v197 :: v_dual_fma_f32 v19, v50 /*v306*/, v186, -v19
	v_dual_fmac_f32 v81, v57 /*v313*/, v192 :: v_dual_fma_f32 v11, v56 /*v312*/, v192, -v11
	s_set_vgpr_msb 0                        ;  msbs: dst=0 src0=0 src1=0 src2=0
	v_add_f32_e32 v9, v9, v17
	v_add_f32_e32 v7, v7, v69
	s_set_vgpr_msb 1                        ;  msbs: dst=0 src0=1 src1=0 src2=0
	v_dual_mul_f32 v83, v58 /*v314*/, v195 :: v_dual_mul_f32 v85, v60 /*v316*/, v197
	s_wait_loadcnt 0x4
	s_set_vgpr_msb 0                        ;  msbs: dst=0 src0=0 src1=0 src2=0
	v_mov_b32_e32 v120, v205
	v_add_f32_e32 v9, v9, v19
	v_dual_add_f32 v7, v7, v71 :: v_dual_mul_f32 v19, v237, v201
	s_set_vgpr_msb 1                        ;  msbs: dst=0 src0=1 src1=0 src2=0
	v_dual_fma_f32 v21, v52 /*v308*/, v188, -v21 :: v_dual_fma_f32 v23, v54 /*v310*/, v190, -v23
	v_dual_fmac_f32 v83, v59 /*v315*/, v194 :: v_dual_fma_f32 v13, v58 /*v314*/, v194, -v13
	s_set_vgpr_msb 0                        ;  msbs: dst=0 src0=0 src1=0 src2=0
	v_add_f32_e32 v7, v7, v73
	s_set_vgpr_msb 1                        ;  msbs: dst=0 src0=1 src1=0 src2=0
	v_fmac_f32_e32 v85, v61 /*v317*/, v196
	s_wait_loadcnt 0x3
	s_set_vgpr_msb 0                        ;  msbs: dst=0 src0=0 src1=0 src2=0
	v_mov_b32_e32 v124, v209
	s_set_vgpr_msb 64                       ;  msbs: dst=1 src0=0 src1=0 src2=0
	v_dual_mul_f32 v73 /*v329*/, v234, v199 :: v_dual_mul_f32 v75 /*v331*/, v236, v201
	s_set_vgpr_msb 0                        ;  msbs: dst=0 src0=0 src1=0 src2=0
	v_add_f32_e32 v7, v7, v75
	v_pk_mul_f32 v[118:119], v[238:239], v[202:203] op_sel:[1,1] op_sel_hi:[0,1]
	s_set_vgpr_msb 64                       ;  msbs: dst=1 src0=0 src1=0 src2=0
	v_fma_f32 v74 /*v330*/, v236, v200, -v19
	v_dual_fmac_f32 v73 /*v329*/, v235, v198 :: v_dual_fmac_f32 v75 /*v331*/, v237, v200
	s_set_vgpr_msb 0                        ;  msbs: dst=0 src0=0 src1=0 src2=0
	v_add_f32_e32 v7, v7, v77
	v_pk_fma_f32 v[128:129], v[238:239], v[202:203], v[118:119] op_sel_hi:[1,0,1]
	s_set_vgpr_msb 1                        ;  msbs: dst=0 src0=1 src1=0 src2=0
	v_pk_mul_f32 v[120:121], v[64:65] /*v[320:321]*/, v[120:121] op_sel_hi:[1,0]
	s_set_vgpr_msb 0                        ;  msbs: dst=0 src0=0 src1=0 src2=0
	v_pk_fma_f32 v[118:119], v[238:239], v[202:203], v[118:119] neg_lo:[0,0,1] neg_hi:[0,0,1]
	v_pk_mul_f32 v[122:123], v[250:251], v[206:207] op_sel:[1,1] op_sel_hi:[0,1]
	v_dual_add_f32 v7, v7, v79 :: v_dual_mov_b32 v119, v129
	v_pk_fma_f32 v[128:129], v[240:241], v[204:205], v[120:121] op_sel_hi:[1,0,1]
	v_pk_fma_f32 v[120:121], v[240:241], v[204:205], v[120:121] neg_lo:[0,0,1] neg_hi:[0,0,1]
	s_delay_alu instid0(VALU_DEP_4) | instskip(NEXT) | instid1(VALU_DEP_4)
	v_pk_fma_f32 v[132:133], v[250:251], v[206:207], v[122:123] op_sel_hi:[1,0,1]
	v_add_f32_e32 v7, v7, v81
	v_dual_mul_f32 v17, v235, v199 :: v_dual_add_f32 v9, v9, v21
	s_set_vgpr_msb 1                        ;  msbs: dst=0 src0=1 src1=0 src2=0
	v_pk_mul_f32 v[124:125], v[66:67] /*v[322:323]*/, v[124:125] op_sel_hi:[1,0]
	s_set_vgpr_msb 0                        ;  msbs: dst=0 src0=0 src1=0 src2=0
	v_dual_mov_b32 v121, v129 :: v_dual_add_f32 v7, v7, v83
	s_set_vgpr_msb 64                       ;  msbs: dst=1 src0=0 src1=0 src2=0
	v_fma_f32 v72 /*v328*/, v234, v198, -v17
	s_set_vgpr_msb 0                        ;  msbs: dst=0 src0=0 src1=0 src2=0
	v_add_f32_e32 v9, v9, v23
	s_wait_loadcnt 0x2
	v_pk_mul_f32 v[130:131], v[254:255], v[210:211] op_sel:[1,1] op_sel_hi:[0,1]
	v_pk_fma_f32 v[122:123], v[250:251], v[206:207], v[122:123] neg_lo:[0,0,1] neg_hi:[0,0,1]
	v_dual_add_f32 v127, v7, v85 :: v_dual_mov_b32 v123, v133
	v_add_f32_e32 v9, v9, v11
	s_set_vgpr_msb 1                        ;  msbs: dst=0 src0=1 src1=0 src2=0
	v_fma_f32 v11, v60 /*v316*/, v196, -v15
	s_set_vgpr_msb 0                        ;  msbs: dst=0 src0=0 src1=0 src2=0
	v_pk_fma_f32 v[128:129], v[252:253], v[208:209], v[124:125] op_sel_hi:[1,0,1]
	v_pk_fma_f32 v[124:125], v[252:253], v[208:209], v[124:125] neg_lo:[0,0,1] neg_hi:[0,0,1]
	v_add_f32_e32 v9, v9, v13
	s_delay_alu instid0(VALU_DEP_1) | instskip(SKIP_1) | instid1(VALU_DEP_1)
	v_add_f32_e32 v126, v9, v11
	s_set_vgpr_msb 4                        ;  msbs: dst=0 src0=0 src1=1 src2=0
	v_pk_add_f32 v[126:127], v[126:127], v[72:73] /*v[328:329]*/
	s_delay_alu instid0(VALU_DEP_1) | instskip(SKIP_1) | instid1(VALU_DEP_1)
	v_pk_add_f32 v[126:127], v[126:127], v[74:75] /*v[330:331]*/
	s_set_vgpr_msb 0                        ;  msbs: dst=0 src0=0 src1=0 src2=0
	v_pk_add_f32 v[118:119], v[126:127], v[118:119]
	v_mov_b32_e32 v126, v213
	s_delay_alu instid0(VALU_DEP_2) | instskip(SKIP_2) | instid1(VALU_DEP_3)
	v_pk_add_f32 v[118:119], v[118:119], v[120:121]
	v_pk_fma_f32 v[120:121], v[254:255], v[210:211], v[130:131] op_sel_hi:[1,0,1]
	s_set_vgpr_msb 1                        ;  msbs: dst=0 src0=1 src1=0 src2=0
	v_pk_mul_f32 v[126:127], v[68:69] /*v[324:325]*/, v[126:127] op_sel_hi:[1,0]
	s_set_vgpr_msb 0                        ;  msbs: dst=0 src0=0 src1=0 src2=0
	v_mov_b32_e32 v125, v129
	v_pk_fma_f32 v[128:129], v[254:255], v[210:211], v[130:131] neg_lo:[0,0,1] neg_hi:[0,0,1]
	v_pk_add_f32 v[118:119], v[118:119], v[122:123]
	v_mov_b32_e32 v129, v121
	s_set_vgpr_msb 1                        ;  msbs: dst=0 src0=1 src1=0 src2=0
	v_pk_fma_f32 v[120:121], v[0:1] /*v[256:257]*/, v[212:213], v[126:127] op_sel_hi:[1,0,1]
	s_wait_loadcnt 0x1
	v_pk_mul_f32 v[122:123], v[10:11] /*v[266:267]*/, v[214:215] op_sel:[1,1] op_sel_hi:[0,1]
	s_set_vgpr_msb 0                        ;  msbs: dst=0 src0=0 src1=0 src2=0
	v_mov_b32_e32 v120, v217
	v_pk_add_f32 v[118:119], v[118:119], v[124:125]
	s_set_vgpr_msb 1                        ;  msbs: dst=0 src0=1 src1=0 src2=0
	v_pk_fma_f32 v[126:127], v[0:1] /*v[256:257]*/, v[212:213], v[126:127] neg_lo:[0,0,1] neg_hi:[0,0,1]
	s_set_vgpr_msb 0                        ;  msbs: dst=0 src0=0 src1=0 src2=0
	v_mov_b32_e32 v127, v121
	s_set_vgpr_msb 1                        ;  msbs: dst=0 src0=1 src1=0 src2=0
	v_pk_fma_f32 v[124:125], v[10:11] /*v[266:267]*/, v[214:215], v[122:123] op_sel_hi:[1,0,1]
	v_pk_mul_f32 v[120:121], v[70:71] /*v[326:327]*/, v[120:121] op_sel_hi:[1,0]
	s_set_vgpr_msb 0                        ;  msbs: dst=0 src0=0 src1=0 src2=0
	v_pk_add_f32 v[118:119], v[118:119], v[128:129]
	s_set_vgpr_msb 1                        ;  msbs: dst=0 src0=1 src1=0 src2=0
	v_pk_fma_f32 v[122:123], v[10:11] /*v[266:267]*/, v[214:215], v[122:123] neg_lo:[0,0,1] neg_hi:[0,0,1]
	s_set_vgpr_msb 0                        ;  msbs: dst=0 src0=0 src1=0 src2=0
	v_mov_b32_e32 v123, v125
	s_set_vgpr_msb 1                        ;  msbs: dst=0 src0=1 src1=0 src2=0
	v_pk_fma_f32 v[124:125], v[12:13] /*v[268:269]*/, v[216:217], v[120:121] op_sel_hi:[1,0,1]
	s_set_vgpr_msb 0                        ;  msbs: dst=0 src0=0 src1=0 src2=0
	v_pk_add_f32 v[118:119], v[118:119], v[126:127]
	s_set_vgpr_msb 1                        ;  msbs: dst=0 src0=1 src1=0 src2=0
	v_pk_fma_f32 v[120:121], v[12:13] /*v[268:269]*/, v[216:217], v[120:121] neg_lo:[0,0,1] neg_hi:[0,0,1]
	s_set_vgpr_msb 0                        ;  msbs: dst=0 src0=0 src1=0 src2=0
	v_mov_b32_e32 v121, v125
	v_pk_add_f32 v[118:119], v[118:119], v[122:123]
	s_delay_alu instid0(VALU_DEP_1) | instskip(SKIP_2) | instid1(VALU_DEP_1)
	v_pk_add_f32 v[118:119], v[118:119], v[120:121]
	s_wait_loadcnt 0x0
	s_set_vgpr_msb 1                        ;  msbs: dst=0 src0=1 src1=0 src2=0
	v_pk_add_f32 v[118:119], v[62:63] /*v[318:319]*/, v[118:119] neg_lo:[0,1] neg_hi:[0,1]
	scratch_store_b64 off, v[118:119], off offset:56
	s_wait_xcnt 0x0
	v_cmpx_lt_u32_e32 6, v0
	s_set_vgpr_msb 0                        ;  msbs: dst=0 src0=0 src1=0 src2=0
	s_cbranch_execz .LBB121_349
; %bb.348:
	scratch_load_b64 v[118:119], off, off offset:48
	v_mov_b64_e32 v[120:121], 0
	scratch_store_b64 off, v[120:121], off offset:48
	s_wait_loadcnt 0x0
	ds_store_b64 v1, v[118:119]
.LBB121_349:
	s_wait_xcnt 0x0
	s_or_b32 exec_lo, exec_lo, s0
	s_wait_storecnt_dscnt 0x0
	s_barrier_signal -1
	s_barrier_wait -1
	s_clause 0x1b
	scratch_load_b128 v[118:121], off, off offset:56
	scratch_load_b128 v[122:125], off, off offset:72
	;; [unrolled: 1-line block ×25, first 2 shown]
	s_set_vgpr_msb 64                       ;  msbs: dst=1 src0=0 src1=0 src2=0
	scratch_load_b64 v[62:63] /*v[318:319]*/, off, off offset:456
	scratch_load_b64 v[64:65] /*v[320:321]*/, off, off offset:48
	s_set_vgpr_msb 0                        ;  msbs: dst=0 src0=0 src1=0 src2=0
	v_mov_b32_e32 v7, 0
	ds_load_2addr_b64 v[218:221], v7 offset0:65 offset1:66
	ds_load_2addr_b64 v[222:225], v7 offset0:67 offset1:68
	;; [unrolled: 1-line block ×10, first 2 shown]
	s_set_vgpr_msb 64                       ;  msbs: dst=1 src0=0 src1=0 src2=0
	ds_load_2addr_b64 v[2:5] /*v[258:261]*/, v7 offset0:77 offset1:78
	ds_load_2addr_b64 v[6:9] /*v[262:265]*/, v7 offset0:79 offset1:80
	;; [unrolled: 1-line block ×15, first 2 shown]
	ds_load_b64 v[66:67] /*v[322:323]*/, v7 offset:920
	s_wait_dscnt 0x14
	v_dual_mov_b32 v68 /*v324*/, v241 :: v_dual_mov_b32 v69 /*v325*/, v240
	s_wait_dscnt 0x11
	v_dual_mov_b32 v70 /*v326*/, v253 :: v_dual_mov_b32 v71 /*v327*/, v252
	s_wait_dscnt 0x10
	s_set_vgpr_msb 0x41                     ;  msbs: dst=1 src0=1 src1=0 src2=0
	v_dual_mov_b32 v72 /*v328*/, v1 /*v257*/ :: v_dual_mov_b32 v73 /*v329*/, v0 /*v256*/
	s_wait_dscnt 0xd
	v_dual_mov_b32 v74 /*v330*/, v13 /*v269*/ :: v_dual_mov_b32 v75 /*v331*/, v12 /*v268*/
	s_mov_b32 s0, exec_lo
	s_wait_loadcnt 0x1a
	s_set_vgpr_msb 0                        ;  msbs: dst=0 src0=0 src1=0 src2=0
	v_dual_mul_f32 v9, v218, v119 :: v_dual_mul_f32 v61, v219, v119
	s_wait_loadcnt 0x19
	v_dual_mul_f32 v11, v220, v121 :: v_dual_mul_f32 v13, v222, v123
	v_dual_mul_f32 v63, v221, v121 :: v_dual_mul_f32 v77, v223, v123
	s_wait_loadcnt 0x15
	v_dual_mul_f32 v31, v248, v141 :: v_dual_mul_f32 v103, v231, v131
	v_fma_f32 v61, v218, v118, -v61
	v_dual_fmac_f32 v9, v219, v118 :: v_dual_mul_f32 v105, v233, v133
	v_fmac_f32_e32 v11, v221, v120
	s_delay_alu instid0(VALU_DEP_3) | instskip(NEXT) | instid1(VALU_DEP_3)
	v_dual_fma_f32 v63, v220, v120, -v63 :: v_dual_add_f32 v61, 0, v61
	v_add_f32_e32 v9, 0, v9
	v_dual_mul_f32 v15, v224, v125 :: v_dual_mul_f32 v17, v226, v127
	v_dual_mul_f32 v79, v225, v125 :: v_dual_mul_f32 v97, v227, v127
	v_dual_mul_f32 v107, v243, v135 :: v_dual_fma_f32 v77, v222, v122, -v77
	s_delay_alu instid0(VALU_DEP_4) | instskip(NEXT) | instid1(VALU_DEP_3)
	v_dual_fmac_f32 v13, v223, v122 :: v_dual_add_f32 v9, v9, v11
	v_dual_add_f32 v11, v61, v63 :: v_dual_fma_f32 v63, v224, v124, -v79
	v_dual_fmac_f32 v15, v225, v124 :: v_dual_mul_f32 v19, v228, v129
	s_delay_alu instid0(VALU_DEP_3) | instskip(SKIP_1) | instid1(VALU_DEP_4)
	v_dual_mul_f32 v21, v230, v131 :: v_dual_add_f32 v9, v9, v13
	v_fmac_f32_e32 v17, v227, v126
	v_add_f32_e32 v11, v11, v77
	s_wait_loadcnt 0x6
	v_dual_mul_f32 v99, v229, v129 :: v_dual_mul_f32 v101, v234, v199
	v_dual_fma_f32 v77, v226, v126, -v97 :: v_dual_add_f32 v9, v9, v15
	s_delay_alu instid0(VALU_DEP_3) | instskip(SKIP_1) | instid1(VALU_DEP_3)
	v_dual_add_f32 v11, v11, v63 :: v_dual_mul_f32 v15, v249, v141
	v_fmac_f32_e32 v19, v229, v128
	v_dual_fma_f32 v63, v228, v128, -v99 :: v_dual_add_f32 v9, v9, v17
	s_delay_alu instid0(VALU_DEP_3) | instskip(SKIP_2) | instid1(VALU_DEP_4)
	v_add_f32_e32 v11, v11, v77
	v_dual_mul_f32 v23, v232, v133 :: v_dual_mul_f32 v25, v242, v135
	v_dual_fmac_f32 v21, v231, v130 :: v_dual_fma_f32 v77, v230, v130, -v103
	v_add_f32_e32 v9, v9, v19
	s_delay_alu instid0(VALU_DEP_3) | instskip(SKIP_2) | instid1(VALU_DEP_4)
	v_dual_add_f32 v11, v11, v63 :: v_dual_fmac_f32 v23, v233, v132
	v_fma_f32 v63, v232, v132, -v105
	v_dual_mul_f32 v27, v244, v137 :: v_dual_mul_f32 v29, v246, v139
	v_dual_add_f32 v9, v9, v21 :: v_dual_fmac_f32 v25, v243, v134
	s_delay_alu instid0(VALU_DEP_4) | instskip(SKIP_1) | instid1(VALU_DEP_3)
	v_dual_add_f32 v11, v11, v77 :: v_dual_fma_f32 v77, v242, v134, -v107
	v_dual_mul_f32 v61, v245, v137 :: v_dual_mul_f32 v13, v247, v139
	v_add_f32_e32 v9, v9, v23
	s_delay_alu instid0(VALU_DEP_3) | instskip(NEXT) | instid1(VALU_DEP_3)
	v_dual_add_f32 v11, v11, v63 :: v_dual_fmac_f32 v27, v245, v136
	v_fma_f32 v61, v244, v136, -v61
	s_delay_alu instid0(VALU_DEP_3) | instskip(NEXT) | instid1(VALU_DEP_3)
	v_dual_fmac_f32 v29, v247, v138 :: v_dual_add_f32 v9, v9, v25
	v_dual_add_f32 v11, v11, v77 :: v_dual_fma_f32 v13, v246, v138, -v13
	s_set_vgpr_msb 1                        ;  msbs: dst=0 src0=1 src1=0 src2=0
	v_dual_mul_f32 v33, v2 /*v258*/, v143 :: v_dual_mul_f32 v35, v4 /*v260*/, v145
	s_set_vgpr_msb 0                        ;  msbs: dst=0 src0=0 src1=0 src2=0
	s_delay_alu instid0(VALU_DEP_2)
	v_dual_add_f32 v9, v9, v27 :: v_dual_add_f32 v11, v11, v61
	s_set_vgpr_msb 1                        ;  msbs: dst=0 src0=1 src1=0 src2=0
	v_dual_mul_f32 v17, v3 /*v259*/, v143 :: v_dual_mul_f32 v19, v5 /*v261*/, v145
	s_set_vgpr_msb 0                        ;  msbs: dst=0 src0=0 src1=0 src2=0
	v_fmac_f32_e32 v31, v249, v140
	v_dual_fma_f32 v15, v248, v140, -v15 :: v_dual_add_f32 v9, v9, v29
	v_add_f32_e32 v11, v11, v13
	s_wait_dscnt 0xb
	s_set_vgpr_msb 1                        ;  msbs: dst=0 src0=1 src1=0 src2=0
	v_dual_mul_f32 v13, v19 /*v275*/, v155 :: v_dual_fma_f32 v17, v2 /*v258*/, v142, -v17
	v_dual_fmac_f32 v33, v3 /*v259*/, v142 :: v_dual_mul_f32 v37, v6 /*v262*/, v147
	v_mul_f32_e32 v39, v8 /*v264*/, v149
	s_set_vgpr_msb 0                        ;  msbs: dst=0 src0=0 src1=0 src2=0
	v_add_f32_e32 v11, v11, v15
	v_add_f32_e32 v9, v9, v31
	s_set_vgpr_msb 1                        ;  msbs: dst=0 src0=1 src1=0 src2=0
	v_dual_mul_f32 v21, v7 /*v263*/, v147 :: v_dual_mul_f32 v23, v9 /*v265*/, v149
	v_mul_f32_e32 v15, v21 /*v277*/, v157
	v_fmac_f32_e32 v35, v5 /*v261*/, v144
	v_dual_fma_f32 v19, v4 /*v260*/, v144, -v19 :: v_dual_fmac_f32 v37, v7 /*v263*/, v146
	s_set_vgpr_msb 0                        ;  msbs: dst=0 src0=0 src1=0 src2=0
	v_add_f32_e32 v11, v11, v17
	v_add_f32_e32 v9, v9, v33
	s_wait_dscnt 0xa
	s_set_vgpr_msb 1                        ;  msbs: dst=0 src0=1 src1=0 src2=0
	v_dual_mul_f32 v17, v23 /*v279*/, v159 :: v_dual_fma_f32 v21, v6 /*v262*/, v146, -v21
	v_dual_mul_f32 v41, v14 /*v270*/, v151 :: v_dual_mul_f32 v43, v16 /*v272*/, v153
	s_set_vgpr_msb 0                        ;  msbs: dst=0 src0=0 src1=0 src2=0
	v_add_f32_e32 v11, v11, v19
	s_set_vgpr_msb 1                        ;  msbs: dst=0 src0=1 src1=0 src2=0
	v_mul_f32_e32 v19, v25 /*v281*/, v161
	s_set_vgpr_msb 0                        ;  msbs: dst=0 src0=0 src1=0 src2=0
	v_add_f32_e32 v9, v9, v35
	s_set_vgpr_msb 1                        ;  msbs: dst=0 src0=1 src1=0 src2=0
	v_dual_mul_f32 v25, v15 /*v271*/, v151 :: v_dual_mul_f32 v27, v17 /*v273*/, v153
	v_fmac_f32_e32 v39, v9 /*v265*/, v148
	v_dual_fma_f32 v23, v8 /*v264*/, v148, -v23 :: v_dual_fmac_f32 v41, v15 /*v271*/, v150
	s_set_vgpr_msb 0                        ;  msbs: dst=0 src0=0 src1=0 src2=0
	v_add_f32_e32 v11, v11, v21
	v_add_f32_e32 v9, v9, v37
	s_wait_dscnt 0x9
	s_set_vgpr_msb 1                        ;  msbs: dst=0 src0=1 src1=0 src2=0
	v_dual_mul_f32 v21, v27 /*v283*/, v163 :: v_dual_fma_f32 v25, v14 /*v270*/, v150, -v25
	v_dual_mul_f32 v45, v18 /*v274*/, v155 :: v_dual_mul_f32 v47, v20 /*v276*/, v157
	s_set_vgpr_msb 0                        ;  msbs: dst=0 src0=0 src1=0 src2=0
	v_add_f32_e32 v11, v11, v23
	s_set_vgpr_msb 1                        ;  msbs: dst=0 src0=1 src1=0 src2=0
	v_mul_f32_e32 v23, v29 /*v285*/, v165
	s_set_vgpr_msb 0                        ;  msbs: dst=0 src0=0 src1=0 src2=0
	v_add_f32_e32 v9, v9, v39
	s_set_vgpr_msb 1                        ;  msbs: dst=0 src0=1 src1=0 src2=0
	v_fmac_f32_e32 v43, v17 /*v273*/, v152
	v_dual_fma_f32 v27, v16 /*v272*/, v152, -v27 :: v_dual_fmac_f32 v45, v19 /*v275*/, v154
	s_set_vgpr_msb 0                        ;  msbs: dst=0 src0=0 src1=0 src2=0
	v_add_f32_e32 v11, v11, v25
	v_add_f32_e32 v9, v9, v41
	s_wait_dscnt 0x8
	s_set_vgpr_msb 1                        ;  msbs: dst=0 src0=1 src1=0 src2=0
	v_dual_mul_f32 v25, v31 /*v287*/, v167 :: v_dual_fma_f32 v13, v18 /*v274*/, v154, -v13
	v_dual_mul_f32 v49, v22 /*v278*/, v159 :: v_dual_mul_f32 v51, v24 /*v280*/, v161
	s_set_vgpr_msb 0                        ;  msbs: dst=0 src0=0 src1=0 src2=0
	v_add_f32_e32 v11, v11, v27
	s_set_vgpr_msb 1                        ;  msbs: dst=0 src0=1 src1=0 src2=0
	v_mul_f32_e32 v27, v33 /*v289*/, v169
	s_set_vgpr_msb 0                        ;  msbs: dst=0 src0=0 src1=0 src2=0
	v_add_f32_e32 v9, v9, v43
	s_set_vgpr_msb 1                        ;  msbs: dst=0 src0=1 src1=0 src2=0
	;; [unrolled: 16-line block ×9, first 2 shown]
	v_dual_fmac_f32 v83, v49 /*v305*/, v184 :: v_dual_fmac_f32 v85, v51 /*v307*/, v186
	v_dual_fma_f32 v27, v48 /*v304*/, v184, -v27 :: v_dual_fma_f32 v13, v50 /*v306*/, v186, -v13
	s_set_vgpr_msb 0                        ;  msbs: dst=0 src0=0 src1=0 src2=0
	v_add_f32_e32 v11, v11, v25
	v_add_f32_e32 v9, v9, v81
	s_set_vgpr_msb 1                        ;  msbs: dst=0 src0=1 src1=0 src2=0
	v_dual_mul_f32 v89, v54 /*v310*/, v191 :: v_dual_mul_f32 v91, v56 /*v312*/, v193
	v_fmac_f32_e32 v87, v53 /*v309*/, v188
	s_set_vgpr_msb 0                        ;  msbs: dst=0 src0=0 src1=0 src2=0
	v_add_f32_e32 v11, v11, v27
	v_add_f32_e32 v9, v9, v83
	s_set_vgpr_msb 1                        ;  msbs: dst=0 src0=1 src1=0 src2=0
	v_dual_fma_f32 v15, v52 /*v308*/, v188, -v15 :: v_dual_fma_f32 v17, v54 /*v310*/, v190, -v17
	v_fmac_f32_e32 v89, v55 /*v311*/, v190
	s_set_vgpr_msb 0                        ;  msbs: dst=0 src0=0 src1=0 src2=0
	v_add_f32_e32 v11, v11, v13
	v_add_f32_e32 v9, v9, v85
	s_set_vgpr_msb 1                        ;  msbs: dst=0 src0=1 src1=0 src2=0
	v_dual_mul_f32 v93, v58 /*v314*/, v195 :: v_dual_mul_f32 v95, v60 /*v316*/, v197
	v_fmac_f32_e32 v91, v57 /*v313*/, v192
	s_set_vgpr_msb 0                        ;  msbs: dst=0 src0=0 src1=0 src2=0
	v_add_f32_e32 v11, v11, v15
	v_add_f32_e32 v9, v9, v87
	s_set_vgpr_msb 1                        ;  msbs: dst=0 src0=1 src1=0 src2=0
	v_dual_fma_f32 v15, v56 /*v312*/, v192, -v19 :: v_dual_fmac_f32 v93, v59 /*v315*/, v194
	s_wait_loadcnt 0x4
	s_set_vgpr_msb 0                        ;  msbs: dst=0 src0=0 src1=0 src2=0
	v_dual_mov_b32 v124, v209 :: v_dual_add_f32 v11, v11, v17
	v_add_f32_e32 v9, v9, v89
	s_set_vgpr_msb 1                        ;  msbs: dst=0 src0=1 src1=0 src2=0
	v_fma_f32 v17, v58 /*v314*/, v194, -v21
	s_set_vgpr_msb 0                        ;  msbs: dst=0 src0=0 src1=0 src2=0
	v_dual_mul_f32 v25, v235, v199 :: v_dual_mul_f32 v27, v237, v201
	v_add_f32_e32 v11, v11, v15
	v_add_f32_e32 v9, v9, v91
	s_set_vgpr_msb 1                        ;  msbs: dst=0 src0=1 src1=0 src2=0
	v_fmac_f32_e32 v95, v61 /*v317*/, v196
	v_fma_f32 v15, v60 /*v316*/, v196, -v23
	s_set_vgpr_msb 0                        ;  msbs: dst=0 src0=0 src1=0 src2=0
	v_dual_mul_f32 v119, v236, v201 :: v_dual_mul_f32 v121, v238, v203
	v_add_f32_e32 v11, v11, v17
	v_dual_add_f32 v9, v9, v93 :: v_dual_fmac_f32 v101, v235, v198
	v_dual_mul_f32 v13, v239, v203 :: v_dual_mov_b32 v120, v205
	s_delay_alu instid0(VALU_DEP_2) | instskip(NEXT) | instid1(VALU_DEP_4)
	v_dual_fma_f32 v17, v234, v198, -v25 :: v_dual_add_f32 v9, v9, v95
	v_dual_add_f32 v11, v11, v15 :: v_dual_fmac_f32 v119, v237, v200
	v_fma_f32 v118, v236, v200, -v27
	s_set_vgpr_msb 1                        ;  msbs: dst=0 src0=1 src1=0 src2=0
	v_pk_mul_f32 v[128:129], v[68:69] /*v[324:325]*/, v[120:121] op_sel_hi:[1,0]
	s_set_vgpr_msb 0                        ;  msbs: dst=0 src0=0 src1=0 src2=0
	v_add_f32_e32 v131, v9, v101
	s_wait_loadcnt 0x3
	v_dual_add_f32 v130, v11, v17 :: v_dual_mov_b32 v132, v213
	v_pk_mul_f32 v[122:123], v[250:251], v[206:207] op_sel:[1,1] op_sel_hi:[0,1]
	v_fmac_f32_e32 v121, v239, v202
	v_pk_fma_f32 v[134:135], v[240:241], v[204:205], v[128:129] op_sel_hi:[1,0,1]
	v_fma_f32 v120, v238, v202, -v13
	v_pk_add_f32 v[118:119], v[130:131], v[118:119]
	v_pk_fma_f32 v[128:129], v[240:241], v[204:205], v[128:129] neg_lo:[0,0,1] neg_hi:[0,0,1]
	v_pk_fma_f32 v[130:131], v[250:251], v[206:207], v[122:123] op_sel_hi:[1,0,1]
	s_set_vgpr_msb 1                        ;  msbs: dst=0 src0=1 src1=0 src2=0
	v_pk_mul_f32 v[124:125], v[70:71] /*v[326:327]*/, v[124:125] op_sel_hi:[1,0]
	s_set_vgpr_msb 0                        ;  msbs: dst=0 src0=0 src1=0 src2=0
	v_mov_b32_e32 v129, v135
	v_pk_add_f32 v[118:119], v[118:119], v[120:121]
	v_pk_fma_f32 v[122:123], v[250:251], v[206:207], v[122:123] neg_lo:[0,0,1] neg_hi:[0,0,1]
	v_pk_mul_f32 v[126:127], v[254:255], v[210:211] op_sel:[1,1] op_sel_hi:[0,1]
	v_mov_b32_e32 v123, v131
	v_pk_fma_f32 v[130:131], v[252:253], v[208:209], v[124:125] op_sel_hi:[1,0,1]
	v_pk_add_f32 v[118:119], v[118:119], v[128:129]
	v_pk_fma_f32 v[124:125], v[252:253], v[208:209], v[124:125] neg_lo:[0,0,1] neg_hi:[0,0,1]
	v_pk_fma_f32 v[128:129], v[254:255], v[210:211], v[126:127] op_sel_hi:[1,0,1]
	s_set_vgpr_msb 1                        ;  msbs: dst=0 src0=1 src1=0 src2=0
	v_pk_mul_f32 v[132:133], v[72:73] /*v[328:329]*/, v[132:133] op_sel_hi:[1,0]
	s_set_vgpr_msb 0                        ;  msbs: dst=0 src0=0 src1=0 src2=0
	v_mov_b32_e32 v125, v131
	v_pk_add_f32 v[118:119], v[118:119], v[122:123]
	v_pk_fma_f32 v[126:127], v[254:255], v[210:211], v[126:127] neg_lo:[0,0,1] neg_hi:[0,0,1]
	s_wait_loadcnt 0x2
	s_set_vgpr_msb 1                        ;  msbs: dst=0 src0=1 src1=0 src2=0
	v_pk_mul_f32 v[120:121], v[10:11] /*v[266:267]*/, v[214:215] op_sel:[1,1] op_sel_hi:[0,1]
	s_set_vgpr_msb 0                        ;  msbs: dst=0 src0=0 src1=0 src2=0
	v_dual_mov_b32 v122, v217 :: v_dual_mov_b32 v127, v129
	s_set_vgpr_msb 1                        ;  msbs: dst=0 src0=1 src1=0 src2=0
	v_pk_fma_f32 v[128:129], v[0:1] /*v[256:257]*/, v[212:213], v[132:133] op_sel_hi:[1,0,1]
	s_set_vgpr_msb 0                        ;  msbs: dst=0 src0=0 src1=0 src2=0
	v_pk_add_f32 v[118:119], v[118:119], v[124:125]
	s_set_vgpr_msb 1                        ;  msbs: dst=0 src0=1 src1=0 src2=0
	v_pk_fma_f32 v[130:131], v[0:1] /*v[256:257]*/, v[212:213], v[132:133] neg_lo:[0,0,1] neg_hi:[0,0,1]
	v_pk_fma_f32 v[124:125], v[10:11] /*v[266:267]*/, v[214:215], v[120:121] op_sel_hi:[1,0,1]
	v_pk_mul_f32 v[122:123], v[74:75] /*v[330:331]*/, v[122:123] op_sel_hi:[1,0]
	s_set_vgpr_msb 0                        ;  msbs: dst=0 src0=0 src1=0 src2=0
	v_mov_b32_e32 v131, v129
	v_pk_add_f32 v[118:119], v[118:119], v[126:127]
	s_set_vgpr_msb 1                        ;  msbs: dst=0 src0=1 src1=0 src2=0
	v_pk_fma_f32 v[120:121], v[10:11] /*v[266:267]*/, v[214:215], v[120:121] neg_lo:[0,0,1] neg_hi:[0,0,1]
	s_set_vgpr_msb 0                        ;  msbs: dst=0 src0=0 src1=0 src2=0
	v_mov_b32_e32 v121, v125
	s_set_vgpr_msb 1                        ;  msbs: dst=0 src0=1 src1=0 src2=0
	v_pk_fma_f32 v[124:125], v[12:13] /*v[268:269]*/, v[216:217], v[122:123] op_sel_hi:[1,0,1]
	s_wait_loadcnt_dscnt 0x100
	s_set_vgpr_msb 5                        ;  msbs: dst=0 src0=1 src1=1 src2=0
	v_pk_mul_f32 v[126:127], v[66:67] /*v[322:323]*/, v[62:63] /*v[318:319]*/ op_sel:[1,1] op_sel_hi:[0,1]
	s_set_vgpr_msb 0                        ;  msbs: dst=0 src0=0 src1=0 src2=0
	v_pk_add_f32 v[118:119], v[118:119], v[130:131]
	s_set_vgpr_msb 1                        ;  msbs: dst=0 src0=1 src1=0 src2=0
	v_pk_fma_f32 v[122:123], v[12:13] /*v[268:269]*/, v[216:217], v[122:123] neg_lo:[0,0,1] neg_hi:[0,0,1]
	s_set_vgpr_msb 0                        ;  msbs: dst=0 src0=0 src1=0 src2=0
	v_mov_b32_e32 v123, v125
	s_set_vgpr_msb 5                        ;  msbs: dst=0 src0=1 src1=1 src2=0
	v_pk_fma_f32 v[124:125], v[66:67] /*v[322:323]*/, v[62:63] /*v[318:319]*/, v[126:127] neg_lo:[0,0,1] neg_hi:[0,0,1]
	s_set_vgpr_msb 0                        ;  msbs: dst=0 src0=0 src1=0 src2=0
	v_pk_add_f32 v[118:119], v[118:119], v[120:121]
	s_set_vgpr_msb 5                        ;  msbs: dst=0 src0=1 src1=1 src2=0
	v_pk_fma_f32 v[120:121], v[66:67] /*v[322:323]*/, v[62:63] /*v[318:319]*/, v[126:127] op_sel_hi:[1,0,1]
	s_set_vgpr_msb 0                        ;  msbs: dst=0 src0=0 src1=0 src2=0
	s_delay_alu instid0(VALU_DEP_2) | instskip(NEXT) | instid1(VALU_DEP_2)
	v_pk_add_f32 v[118:119], v[118:119], v[122:123]
	v_mov_b32_e32 v125, v121
	s_delay_alu instid0(VALU_DEP_1) | instskip(SKIP_2) | instid1(VALU_DEP_1)
	v_pk_add_f32 v[118:119], v[118:119], v[124:125]
	s_wait_loadcnt 0x0
	s_set_vgpr_msb 1                        ;  msbs: dst=0 src0=1 src1=0 src2=0
	v_pk_add_f32 v[118:119], v[64:65] /*v[320:321]*/, v[118:119] neg_lo:[0,1] neg_hi:[0,1]
	scratch_store_b64 off, v[118:119], off offset:48
	s_wait_xcnt 0x0
	v_cmpx_lt_u32_e32 5, v0
	s_set_vgpr_msb 0                        ;  msbs: dst=0 src0=0 src1=0 src2=0
	s_cbranch_execz .LBB121_351
; %bb.350:
	scratch_load_b64 v[118:119], off, off offset:40
	v_mov_b64_e32 v[120:121], 0
	scratch_store_b64 off, v[120:121], off offset:40
	s_wait_loadcnt 0x0
	ds_store_b64 v1, v[118:119]
.LBB121_351:
	s_wait_xcnt 0x0
	s_or_b32 exec_lo, exec_lo, s0
	s_wait_storecnt_dscnt 0x0
	s_barrier_signal -1
	s_barrier_wait -1
	s_clause 0x18
	scratch_load_b128 v[118:121], off, off offset:48
	scratch_load_b128 v[122:125], off, off offset:64
	;; [unrolled: 1-line block ×25, first 2 shown]
	ds_load_b128 v[218:221], v7 offset:512
	ds_load_b128 v[222:225], v7 offset:528
	scratch_load_b128 v[226:229], off, off offset:448
	ds_load_b128 v[230:233], v7 offset:544
	ds_load_b128 v[234:237], v7 offset:560
	;; [unrolled: 1-line block ×7, first 2 shown]
	s_set_vgpr_msb 64                       ;  msbs: dst=1 src0=0 src1=0 src2=0
	ds_load_b128 v[2:5] /*v[258:261]*/, v7 offset:880
	ds_load_b128 v[6:9] /*v[262:265]*/, v7 offset:896
	;; [unrolled: 1-line block ×17, first 2 shown]
	scratch_load_b64 v[70:71] /*v[326:327]*/, off, off offset:40
	s_wait_dscnt 0x13
	v_dual_mov_b32 v72 /*v328*/, v249 :: v_dual_mov_b32 v73 /*v329*/, v248
	s_wait_dscnt 0x10
	s_set_vgpr_msb 0x41                     ;  msbs: dst=1 src0=1 src1=0 src2=0
	v_dual_mov_b32 v74 /*v330*/, v5 /*v261*/ :: v_dual_mov_b32 v75 /*v331*/, v4 /*v260*/
	s_wait_dscnt 0xf
	v_dual_mov_b32 v76 /*v332*/, v9 /*v265*/ :: v_dual_mov_b32 v77 /*v333*/, v8 /*v264*/
	s_wait_dscnt 0xc
	v_dual_mov_b32 v78 /*v334*/, v21 /*v277*/ :: v_dual_mov_b32 v79 /*v335*/, v20 /*v276*/
	s_mov_b32 s0, exec_lo
	s_wait_loadcnt 0x1a
	s_set_vgpr_msb 0                        ;  msbs: dst=0 src0=0 src1=0 src2=0
	v_dual_mul_f32 v7, v218, v119 :: v_dual_mul_f32 v9, v220, v121
	s_wait_loadcnt 0x19
	v_dual_mul_f32 v91, v219, v119 :: v_dual_mul_f32 v97, v225, v125
	v_dual_mul_f32 v11, v222, v123 :: v_dual_mul_f32 v13, v224, v125
	s_delay_alu instid0(VALU_DEP_3) | instskip(SKIP_4) | instid1(VALU_DEP_3)
	v_dual_fmac_f32 v7, v219, v118 :: v_dual_fmac_f32 v9, v221, v120
	s_wait_loadcnt 0x13
	v_dual_mul_f32 v35, v254, v147 :: v_dual_mul_f32 v93, v221, v121
	v_dual_mul_f32 v95, v223, v123 :: v_dual_mul_f32 v101, v233, v129
	v_dual_mul_f32 v99, v231, v127 :: v_dual_fma_f32 v91, v218, v118, -v91
	v_dual_mul_f32 v103, v235, v131 :: v_dual_fma_f32 v93, v220, v120, -v93
	v_dual_add_f32 v7, 0, v7 :: v_dual_fmac_f32 v11, v223, v122
	s_delay_alu instid0(VALU_DEP_3)
	v_dual_fmac_f32 v13, v225, v124 :: v_dual_add_f32 v91, 0, v91
	v_mul_f32_e32 v105, v237, v133
	s_wait_loadcnt_dscnt 0x601
	s_set_vgpr_msb 1                        ;  msbs: dst=0 src0=1 src1=0 src2=0
	v_mul_f32_e32 v89, v64 /*v320*/, v201
	s_set_vgpr_msb 0                        ;  msbs: dst=0 src0=0 src1=0 src2=0
	v_dual_fma_f32 v95, v222, v122, -v95 :: v_dual_add_f32 v7, v7, v9
	v_dual_mul_f32 v15, v230, v127 :: v_dual_mul_f32 v17, v232, v129
	v_dual_add_f32 v9, v91, v93 :: v_dual_fma_f32 v93, v224, v124, -v97
	s_delay_alu instid0(VALU_DEP_3) | instskip(NEXT) | instid1(VALU_DEP_3)
	v_add_f32_e32 v7, v7, v11
	v_dual_fmac_f32 v15, v231, v126 :: v_dual_mul_f32 v19, v234, v131
	s_delay_alu instid0(VALU_DEP_3) | instskip(NEXT) | instid1(VALU_DEP_3)
	v_dual_mul_f32 v21, v236, v133 :: v_dual_add_f32 v9, v9, v95
	v_dual_fma_f32 v95, v230, v126, -v99 :: v_dual_add_f32 v7, v7, v13
	v_dual_fmac_f32 v17, v233, v128 :: v_dual_mul_f32 v13, v243, v139
	s_delay_alu instid0(VALU_DEP_3) | instskip(NEXT) | instid1(VALU_DEP_3)
	v_dual_add_f32 v9, v9, v93 :: v_dual_fma_f32 v93, v232, v128, -v101
	v_add_f32_e32 v7, v7, v15
	v_dual_fmac_f32 v19, v235, v130 :: v_dual_mul_f32 v23, v238, v135
	s_delay_alu instid0(VALU_DEP_3) | instskip(NEXT) | instid1(VALU_DEP_3)
	v_dual_mul_f32 v25, v240, v137 :: v_dual_add_f32 v9, v9, v95
	v_dual_add_f32 v7, v7, v17 :: v_dual_fmac_f32 v21, v237, v132
	v_dual_mul_f32 v15, v245, v141 :: v_dual_fma_f32 v95, v234, v130, -v103
	s_delay_alu instid0(VALU_DEP_3) | instskip(NEXT) | instid1(VALU_DEP_3)
	v_dual_add_f32 v9, v9, v93 :: v_dual_mul_f32 v17, v251, v143
	v_dual_fma_f32 v93, v236, v132, -v105 :: v_dual_add_f32 v7, v7, v19
	v_dual_mul_f32 v91, v239, v135 :: v_dual_mul_f32 v11, v241, v137
	s_delay_alu instid0(VALU_DEP_3) | instskip(NEXT) | instid1(VALU_DEP_3)
	v_dual_add_f32 v9, v9, v95 :: v_dual_fmac_f32 v23, v239, v134
	v_dual_add_f32 v7, v7, v21 :: v_dual_fmac_f32 v25, v241, v136
	v_dual_mul_f32 v27, v242, v139 :: v_dual_mul_f32 v29, v244, v141
	s_delay_alu instid0(VALU_DEP_4) | instskip(NEXT) | instid1(VALU_DEP_4)
	v_dual_mul_f32 v19, v253, v145 :: v_dual_fma_f32 v91, v238, v134, -v91
	v_dual_add_f32 v9, v9, v93 :: v_dual_mul_f32 v21, v255, v147
	s_delay_alu instid0(VALU_DEP_4) | instskip(NEXT) | instid1(VALU_DEP_2)
	v_dual_fma_f32 v11, v240, v136, -v11 :: v_dual_add_f32 v7, v7, v23
	v_dual_fmac_f32 v27, v243, v138 :: v_dual_add_f32 v9, v9, v91
	v_fma_f32 v13, v242, v138, -v13
	v_dual_mul_f32 v31, v250, v143 :: v_dual_mul_f32 v33, v252, v145
	s_delay_alu instid0(VALU_DEP_3) | instskip(SKIP_1) | instid1(VALU_DEP_3)
	v_dual_add_f32 v7, v7, v25 :: v_dual_add_f32 v9, v9, v11
	v_dual_fma_f32 v15, v244, v140, -v15 :: v_dual_fmac_f32 v29, v245, v140
	v_fmac_f32_e32 v31, v251, v142
	s_delay_alu instid0(VALU_DEP_3)
	v_dual_add_f32 v7, v7, v27 :: v_dual_add_f32 v9, v9, v13
	v_fma_f32 v17, v250, v142, -v17
	s_set_vgpr_msb 1                        ;  msbs: dst=0 src0=1 src1=0 src2=0
	v_dual_mul_f32 v37, v0 /*v256*/, v149 :: v_dual_mul_f32 v39, v10 /*v266*/, v151
	s_set_vgpr_msb 0                        ;  msbs: dst=0 src0=0 src1=0 src2=0
	v_dual_add_f32 v7, v7, v29 :: v_dual_add_f32 v9, v9, v15
	v_dual_fma_f32 v19, v252, v144, -v19 :: v_dual_fmac_f32 v33, v253, v144
	s_set_vgpr_msb 1                        ;  msbs: dst=0 src0=1 src1=0 src2=0
	v_dual_mul_f32 v23, v1 /*v257*/, v149 :: v_dual_mul_f32 v11, v11 /*v267*/, v151
	s_set_vgpr_msb 0                        ;  msbs: dst=0 src0=0 src1=0 src2=0
	v_dual_add_f32 v7, v7, v31 :: v_dual_add_f32 v9, v9, v17
	v_dual_fmac_f32 v35, v255, v146 :: v_dual_fma_f32 v21, v254, v146, -v21
	s_set_vgpr_msb 1                        ;  msbs: dst=0 src0=1 src1=0 src2=0
	v_dual_fmac_f32 v37, v1 /*v257*/, v148 :: v_dual_fma_f32 v23, v0 /*v256*/, v148, -v23
	s_set_vgpr_msb 0                        ;  msbs: dst=0 src0=0 src1=0 src2=0
	v_add_f32_e32 v7, v7, v33
	s_set_vgpr_msb 1                        ;  msbs: dst=0 src0=1 src1=0 src2=0
	v_dual_mul_f32 v41, v12 /*v268*/, v153 :: v_dual_mul_f32 v43, v14 /*v270*/, v155
	v_dual_mul_f32 v13, v13 /*v269*/, v153 :: v_dual_mul_f32 v15, v15 /*v271*/, v155
	s_set_vgpr_msb 0                        ;  msbs: dst=0 src0=0 src1=0 src2=0
	v_add_f32_e32 v7, v7, v35
	v_add_f32_e32 v9, v9, v19
	s_set_vgpr_msb 1                        ;  msbs: dst=0 src0=1 src1=0 src2=0
	v_dual_fmac_f32 v39, v11 /*v267*/, v150 :: v_dual_fmac_f32 v41, v13 /*v269*/, v152
	v_fmac_f32_e32 v43, v15 /*v271*/, v154
	s_set_vgpr_msb 0                        ;  msbs: dst=0 src0=0 src1=0 src2=0
	v_add_f32_e32 v7, v7, v37
	v_add_f32_e32 v9, v9, v21
	s_set_vgpr_msb 1                        ;  msbs: dst=0 src0=1 src1=0 src2=0
	v_dual_mul_f32 v21, v25 /*v281*/, v161 :: v_dual_fma_f32 v13, v12 /*v268*/, v152, -v13
	v_dual_mul_f32 v45, v16 /*v272*/, v157 :: v_dual_mul_f32 v47, v22 /*v278*/, v159
	s_set_vgpr_msb 0                        ;  msbs: dst=0 src0=0 src1=0 src2=0
	v_add_f32_e32 v7, v7, v39
	s_set_vgpr_msb 1                        ;  msbs: dst=0 src0=1 src1=0 src2=0
	v_dual_mul_f32 v17, v17 /*v273*/, v157 :: v_dual_mul_f32 v19, v23 /*v279*/, v159
	s_set_vgpr_msb 0                        ;  msbs: dst=0 src0=0 src1=0 src2=0
	v_add_f32_e32 v9, v9, v23
	s_set_vgpr_msb 1                        ;  msbs: dst=0 src0=1 src1=0 src2=0
	v_dual_fma_f32 v11, v10 /*v266*/, v150, -v11 :: v_dual_mul_f32 v23, v27 /*v283*/, v163
	s_set_vgpr_msb 0                        ;  msbs: dst=0 src0=0 src1=0 src2=0
	v_add_f32_e32 v7, v7, v41
	s_set_vgpr_msb 1                        ;  msbs: dst=0 src0=1 src1=0 src2=0
	v_dual_fmac_f32 v45, v17 /*v273*/, v156 :: v_dual_fmac_f32 v47, v23 /*v279*/, v158
	v_fma_f32 v17, v16 /*v272*/, v156, -v17
	v_dual_mul_f32 v49, v24 /*v280*/, v161 :: v_dual_mul_f32 v51, v26 /*v282*/, v163
	s_set_vgpr_msb 0                        ;  msbs: dst=0 src0=0 src1=0 src2=0
	v_add_f32_e32 v7, v7, v43
	v_add_f32_e32 v9, v9, v11
	s_set_vgpr_msb 1                        ;  msbs: dst=0 src0=1 src1=0 src2=0
	v_dual_mul_f32 v11, v29 /*v285*/, v165 :: v_dual_fma_f32 v15, v14 /*v270*/, v154, -v15
	v_dual_fmac_f32 v49, v25 /*v281*/, v160 :: v_dual_fmac_f32 v51, v27 /*v283*/, v162
	s_set_vgpr_msb 0                        ;  msbs: dst=0 src0=0 src1=0 src2=0
	v_add_f32_e32 v7, v7, v45
	v_add_f32_e32 v9, v9, v13
	s_set_vgpr_msb 1                        ;  msbs: dst=0 src0=1 src1=0 src2=0
	v_fma_f32 v21, v24 /*v280*/, v160, -v21
	v_dual_mul_f32 v53, v28 /*v284*/, v165 :: v_dual_mul_f32 v55, v30 /*v286*/, v167
	s_set_vgpr_msb 0                        ;  msbs: dst=0 src0=0 src1=0 src2=0
	v_add_f32_e32 v7, v7, v47
	s_set_vgpr_msb 1                        ;  msbs: dst=0 src0=1 src1=0 src2=0
	v_mul_f32_e32 v13, v31 /*v287*/, v167
	s_set_vgpr_msb 0                        ;  msbs: dst=0 src0=0 src1=0 src2=0
	v_add_f32_e32 v9, v9, v15
	s_set_vgpr_msb 1                        ;  msbs: dst=0 src0=1 src1=0 src2=0
	v_dual_mul_f32 v15, v33 /*v289*/, v169 :: v_dual_fma_f32 v19, v22 /*v278*/, v158, -v19
	s_set_vgpr_msb 0                        ;  msbs: dst=0 src0=0 src1=0 src2=0
	v_add_f32_e32 v7, v7, v49
	s_set_vgpr_msb 1                        ;  msbs: dst=0 src0=1 src1=0 src2=0
	v_dual_fmac_f32 v53, v29 /*v285*/, v164 :: v_dual_fma_f32 v11, v28 /*v284*/, v164, -v11
	s_set_vgpr_msb 0                        ;  msbs: dst=0 src0=0 src1=0 src2=0
	v_add_f32_e32 v9, v9, v17
	s_set_vgpr_msb 1                        ;  msbs: dst=0 src0=1 src1=0 src2=0
	v_dual_fmac_f32 v55, v31 /*v287*/, v166 :: v_dual_fma_f32 v13, v30 /*v286*/, v166, -v13
	s_set_vgpr_msb 0                        ;  msbs: dst=0 src0=0 src1=0 src2=0
	v_add_f32_e32 v7, v7, v51
	s_set_vgpr_msb 1                        ;  msbs: dst=0 src0=1 src1=0 src2=0
	v_dual_mul_f32 v57, v32 /*v288*/, v169 :: v_dual_mul_f32 v59, v34 /*v290*/, v171
	v_mul_f32_e32 v17, v35 /*v291*/, v171
	s_set_vgpr_msb 0                        ;  msbs: dst=0 src0=0 src1=0 src2=0
	v_dual_add_f32 v9, v9, v19 :: v_dual_add_f32 v7, v7, v53
	s_set_vgpr_msb 1                        ;  msbs: dst=0 src0=1 src1=0 src2=0
	v_dual_mul_f32 v19, v37 /*v293*/, v173 :: v_dual_fma_f32 v23, v26 /*v282*/, v162, -v23
	v_dual_fmac_f32 v57, v33 /*v289*/, v168 :: v_dual_fma_f32 v15, v32 /*v288*/, v168, -v15
	s_set_vgpr_msb 0                        ;  msbs: dst=0 src0=0 src1=0 src2=0
	v_add_f32_e32 v9, v9, v21
	s_set_vgpr_msb 1                        ;  msbs: dst=0 src0=1 src1=0 src2=0
	v_dual_fmac_f32 v59, v35 /*v291*/, v170 :: v_dual_fma_f32 v17, v34 /*v290*/, v170, -v17
	s_set_vgpr_msb 0                        ;  msbs: dst=0 src0=0 src1=0 src2=0
	v_add_f32_e32 v7, v7, v55
	s_set_vgpr_msb 1                        ;  msbs: dst=0 src0=1 src1=0 src2=0
	v_dual_mul_f32 v61, v36 /*v292*/, v173 :: v_dual_mul_f32 v63, v38 /*v294*/, v175
	v_mul_f32_e32 v21, v39 /*v295*/, v175
	s_set_vgpr_msb 0                        ;  msbs: dst=0 src0=0 src1=0 src2=0
	v_dual_add_f32 v9, v9, v23 :: v_dual_add_f32 v7, v7, v57
	s_set_vgpr_msb 1                        ;  msbs: dst=0 src0=1 src1=0 src2=0
	v_dual_fmac_f32 v61, v37 /*v293*/, v172 :: v_dual_fma_f32 v19, v36 /*v292*/, v172, -v19
	v_dual_fmac_f32 v63, v39 /*v295*/, v174 :: v_dual_fma_f32 v21, v38 /*v294*/, v174, -v21
	s_set_vgpr_msb 0                        ;  msbs: dst=0 src0=0 src1=0 src2=0
	v_add_f32_e32 v7, v7, v59
	v_add_f32_e32 v9, v9, v11
	s_set_vgpr_msb 1                        ;  msbs: dst=0 src0=1 src1=0 src2=0
	v_dual_mul_f32 v65, v40 /*v296*/, v177 :: v_dual_mul_f32 v67, v42 /*v298*/, v179
	v_dual_mul_f32 v23, v41 /*v297*/, v177 :: v_dual_mul_f32 v11, v43 /*v299*/, v179
	s_set_vgpr_msb 0                        ;  msbs: dst=0 src0=0 src1=0 src2=0
	v_add_f32_e32 v7, v7, v61
	v_add_f32_e32 v9, v9, v13
	s_set_vgpr_msb 1                        ;  msbs: dst=0 src0=1 src1=0 src2=0
	v_dual_fmac_f32 v65, v41 /*v297*/, v176 :: v_dual_fma_f32 v23, v40 /*v296*/, v176, -v23
	v_dual_mul_f32 v69, v44 /*v300*/, v181 :: v_dual_mul_f32 v71, v46 /*v302*/, v183
	s_set_vgpr_msb 0                        ;  msbs: dst=0 src0=0 src1=0 src2=0
	v_add_f32_e32 v7, v7, v63
	v_add_f32_e32 v9, v9, v15
	s_set_vgpr_msb 1                        ;  msbs: dst=0 src0=1 src1=0 src2=0
	v_dual_fmac_f32 v67, v43 /*v299*/, v178 :: v_dual_fmac_f32 v69, v45 /*v301*/, v180
	v_dual_mul_f32 v73, v48 /*v304*/, v185 :: v_dual_mul_f32 v75, v50 /*v306*/, v187
	s_set_vgpr_msb 0                        ;  msbs: dst=0 src0=0 src1=0 src2=0
	v_add_f32_e32 v7, v7, v65
	v_add_f32_e32 v9, v9, v17
	s_set_vgpr_msb 1                        ;  msbs: dst=0 src0=1 src1=0 src2=0
	v_dual_mul_f32 v77, v52 /*v308*/, v189 :: v_dual_mul_f32 v79, v54 /*v310*/, v191
	v_dual_fmac_f32 v71, v47 /*v303*/, v182 :: v_dual_fmac_f32 v73, v49 /*v305*/, v184
	s_set_vgpr_msb 0                        ;  msbs: dst=0 src0=0 src1=0 src2=0
	v_add_f32_e32 v7, v7, v67
	v_add_f32_e32 v9, v9, v19
	s_set_vgpr_msb 1                        ;  msbs: dst=0 src0=1 src1=0 src2=0
	v_fma_f32 v11, v42 /*v298*/, v178, -v11
	v_dual_fmac_f32 v79, v55 /*v311*/, v190 :: v_dual_mul_f32 v13, v45 /*v301*/, v181
	v_mul_f32_e32 v15, v47 /*v303*/, v183
	s_set_vgpr_msb 0                        ;  msbs: dst=0 src0=0 src1=0 src2=0
	v_add_f32_e32 v7, v7, v69
	v_add_f32_e32 v9, v9, v21
	s_set_vgpr_msb 1                        ;  msbs: dst=0 src0=1 src1=0 src2=0
	v_dual_mul_f32 v21, v53 /*v309*/, v189 :: v_dual_fmac_f32 v75, v51 /*v307*/, v186
	v_fmac_f32_e32 v77, v53 /*v309*/, v188
	v_fma_f32 v13, v44 /*v300*/, v180, -v13
	v_dual_mul_f32 v81, v56 /*v312*/, v193 :: v_dual_mul_f32 v83, v58 /*v314*/, v195
	s_delay_alu instid0(VALU_DEP_4)
	v_fma_f32 v21, v52 /*v308*/, v188, -v21
	s_set_vgpr_msb 0                        ;  msbs: dst=0 src0=0 src1=0 src2=0
	v_add_f32_e32 v7, v7, v71
	v_add_f32_e32 v9, v9, v23
	s_set_vgpr_msb 1                        ;  msbs: dst=0 src0=1 src1=0 src2=0
	v_dual_mul_f32 v23, v55 /*v311*/, v191 :: v_dual_mul_f32 v17, v49 /*v305*/, v185
	v_mul_f32_e32 v19, v51 /*v307*/, v187
	s_set_vgpr_msb 0                        ;  msbs: dst=0 src0=0 src1=0 src2=0
	v_add_f32_e32 v7, v7, v73
	s_set_vgpr_msb 1                        ;  msbs: dst=0 src0=1 src1=0 src2=0
	v_fma_f32 v15, v46 /*v302*/, v182, -v15
	s_wait_loadcnt 0x4
	s_set_vgpr_msb 0                        ;  msbs: dst=0 src0=0 src1=0 src2=0
	v_mov_b32_e32 v120, v209
	s_set_vgpr_msb 1                        ;  msbs: dst=0 src0=1 src1=0 src2=0
	v_fma_f32 v17, v48 /*v304*/, v184, -v17
	v_dual_mul_f32 v85, v60 /*v316*/, v197 :: v_dual_mul_f32 v87, v62 /*v318*/, v199
	s_set_vgpr_msb 0                        ;  msbs: dst=0 src0=0 src1=0 src2=0
	v_add_f32_e32 v7, v7, v75
	v_add_f32_e32 v9, v9, v11
	s_set_vgpr_msb 1                        ;  msbs: dst=0 src0=1 src1=0 src2=0
	v_dual_mul_f32 v11, v57 /*v313*/, v193 :: v_dual_fmac_f32 v81, v57 /*v313*/, v192
	v_fma_f32 v19, v50 /*v306*/, v186, -v19
	s_set_vgpr_msb 0                        ;  msbs: dst=0 src0=0 src1=0 src2=0
	v_add_f32_e32 v7, v7, v77
	v_add_f32_e32 v9, v9, v13
	s_set_vgpr_msb 1                        ;  msbs: dst=0 src0=1 src1=0 src2=0
	v_dual_mul_f32 v13, v59 /*v315*/, v195 :: v_dual_fma_f32 v11, v56 /*v312*/, v192, -v11
	v_dual_fmac_f32 v83, v59 /*v315*/, v194 :: v_dual_fmac_f32 v85, v61 /*v317*/, v196
	s_set_vgpr_msb 0                        ;  msbs: dst=0 src0=0 src1=0 src2=0
	v_add_f32_e32 v7, v7, v79
	v_add_f32_e32 v9, v9, v15
	s_set_vgpr_msb 1                        ;  msbs: dst=0 src0=1 src1=0 src2=0
	v_dual_mul_f32 v15, v61 /*v317*/, v197 :: v_dual_fma_f32 v23, v54 /*v310*/, v190, -v23
	v_dual_fmac_f32 v87, v63 /*v319*/, v198 :: v_dual_fmac_f32 v89, v65 /*v321*/, v200
	s_set_vgpr_msb 0                        ;  msbs: dst=0 src0=0 src1=0 src2=0
	v_add_f32_e32 v7, v7, v81
	v_add_f32_e32 v9, v9, v17
	s_wait_loadcnt 0x3
	v_mov_b32_e32 v124, v213
	s_set_vgpr_msb 1                        ;  msbs: dst=0 src0=1 src1=0 src2=0
	v_dual_fma_f32 v13, v58 /*v314*/, v194, -v13 :: v_dual_mul_f32 v17, v63 /*v319*/, v199
	s_set_vgpr_msb 0                        ;  msbs: dst=0 src0=0 src1=0 src2=0
	v_add_f32_e32 v7, v7, v83
	v_add_f32_e32 v9, v9, v19
	s_set_vgpr_msb 1                        ;  msbs: dst=0 src0=1 src1=0 src2=0
	v_mul_f32_e32 v19, v65 /*v321*/, v201
	s_wait_dscnt 0x0
	s_set_vgpr_msb 0x41                     ;  msbs: dst=1 src0=1 src1=0 src2=0
	v_dual_mul_f32 v81 /*v337*/, v66 /*v322*/, v203 :: v_dual_mul_f32 v83 /*v339*/, v68 /*v324*/, v205
	s_set_vgpr_msb 0                        ;  msbs: dst=0 src0=0 src1=0 src2=0
	v_add_f32_e32 v7, v7, v85
	v_add_f32_e32 v9, v9, v21
	s_set_vgpr_msb 1                        ;  msbs: dst=0 src0=1 src1=0 src2=0
	v_mul_f32_e32 v21, v67 /*v323*/, v203
	s_set_vgpr_msb 0                        ;  msbs: dst=0 src0=0 src1=0 src2=0
	v_pk_mul_f32 v[118:119], v[246:247], v[206:207] op_sel:[1,1] op_sel_hi:[0,1]
	s_set_vgpr_msb 0x41                     ;  msbs: dst=1 src0=1 src1=0 src2=0
	v_dual_fmac_f32 v81 /*v337*/, v67 /*v323*/, v202 :: v_dual_fmac_f32 v83 /*v339*/, v69 /*v325*/, v204
	s_set_vgpr_msb 0                        ;  msbs: dst=0 src0=0 src1=0 src2=0
	v_add_f32_e32 v7, v7, v87
	v_add_f32_e32 v9, v9, v23
	s_set_vgpr_msb 1                        ;  msbs: dst=0 src0=1 src1=0 src2=0
	v_mul_f32_e32 v23, v69 /*v325*/, v205
	s_set_vgpr_msb 0x41                     ;  msbs: dst=1 src0=1 src1=0 src2=0
	v_fma_f32 v80 /*v336*/, v66 /*v322*/, v202, -v21
	s_set_vgpr_msb 0                        ;  msbs: dst=0 src0=0 src1=0 src2=0
	v_pk_fma_f32 v[128:129], v[246:247], v[206:207], v[118:119] op_sel_hi:[1,0,1]
	v_dual_add_f32 v127, v7, v89 :: v_dual_add_f32 v9, v9, v11
	s_set_vgpr_msb 1                        ;  msbs: dst=0 src0=1 src1=0 src2=0
	v_fma_f32 v11, v60 /*v316*/, v196, -v15
	s_set_vgpr_msb 0x41                     ;  msbs: dst=1 src0=1 src1=0 src2=0
	v_fma_f32 v82 /*v338*/, v68 /*v324*/, v204, -v23
	s_set_vgpr_msb 1                        ;  msbs: dst=0 src0=1 src1=0 src2=0
	v_pk_mul_f32 v[120:121], v[72:73] /*v[328:329]*/, v[120:121] op_sel_hi:[1,0]
	s_set_vgpr_msb 0                        ;  msbs: dst=0 src0=0 src1=0 src2=0
	v_pk_fma_f32 v[118:119], v[246:247], v[206:207], v[118:119] neg_lo:[0,0,1] neg_hi:[0,0,1]
	v_add_f32_e32 v9, v9, v13
	s_set_vgpr_msb 1                        ;  msbs: dst=0 src0=1 src1=0 src2=0
	v_fma_f32 v13, v62 /*v318*/, v198, -v17
	v_pk_mul_f32 v[122:123], v[2:3] /*v[258:259]*/, v[210:211] op_sel:[1,1] op_sel_hi:[0,1]
	s_set_vgpr_msb 0                        ;  msbs: dst=0 src0=0 src1=0 src2=0
	v_mov_b32_e32 v119, v129
	v_pk_fma_f32 v[128:129], v[248:249], v[208:209], v[120:121] op_sel_hi:[1,0,1]
	v_add_f32_e32 v9, v9, v11
	s_set_vgpr_msb 1                        ;  msbs: dst=0 src0=1 src1=0 src2=0
	v_fma_f32 v11, v64 /*v320*/, v200, -v19
	s_set_vgpr_msb 0                        ;  msbs: dst=0 src0=0 src1=0 src2=0
	v_pk_fma_f32 v[120:121], v[248:249], v[208:209], v[120:121] neg_lo:[0,0,1] neg_hi:[0,0,1]
	s_set_vgpr_msb 1                        ;  msbs: dst=0 src0=1 src1=0 src2=0
	v_pk_fma_f32 v[132:133], v[2:3] /*v[258:259]*/, v[210:211], v[122:123] op_sel_hi:[1,0,1]
	v_pk_mul_f32 v[124:125], v[74:75] /*v[330:331]*/, v[124:125] op_sel_hi:[1,0]
	s_set_vgpr_msb 0                        ;  msbs: dst=0 src0=0 src1=0 src2=0
	v_add_f32_e32 v9, v9, v13
	v_mov_b32_e32 v121, v129
	s_wait_loadcnt 0x2
	s_set_vgpr_msb 1                        ;  msbs: dst=0 src0=1 src1=0 src2=0
	v_pk_mul_f32 v[130:131], v[6:7] /*v[262:263]*/, v[214:215] op_sel:[1,1] op_sel_hi:[0,1]
	v_pk_fma_f32 v[122:123], v[2:3] /*v[258:259]*/, v[210:211], v[122:123] neg_lo:[0,0,1] neg_hi:[0,0,1]
	s_set_vgpr_msb 0                        ;  msbs: dst=0 src0=0 src1=0 src2=0
	v_mov_b32_e32 v123, v133
	v_add_f32_e32 v126, v9, v11
	s_set_vgpr_msb 1                        ;  msbs: dst=0 src0=1 src1=0 src2=0
	v_pk_fma_f32 v[128:129], v[4:5] /*v[260:261]*/, v[212:213], v[124:125] op_sel_hi:[1,0,1]
	v_pk_fma_f32 v[124:125], v[4:5] /*v[260:261]*/, v[212:213], v[124:125] neg_lo:[0,0,1] neg_hi:[0,0,1]
	s_set_vgpr_msb 4                        ;  msbs: dst=0 src0=0 src1=1 src2=0
	v_pk_add_f32 v[126:127], v[126:127], v[80:81] /*v[336:337]*/
	s_delay_alu instid0(VALU_DEP_1) | instskip(SKIP_1) | instid1(VALU_DEP_1)
	v_pk_add_f32 v[126:127], v[126:127], v[82:83] /*v[338:339]*/
	s_set_vgpr_msb 0                        ;  msbs: dst=0 src0=0 src1=0 src2=0
	v_pk_add_f32 v[118:119], v[126:127], v[118:119]
	v_mov_b32_e32 v126, v217
	s_delay_alu instid0(VALU_DEP_2) | instskip(SKIP_2) | instid1(VALU_DEP_3)
	v_pk_add_f32 v[118:119], v[118:119], v[120:121]
	s_set_vgpr_msb 1                        ;  msbs: dst=0 src0=1 src1=0 src2=0
	v_pk_fma_f32 v[120:121], v[6:7] /*v[262:263]*/, v[214:215], v[130:131] op_sel_hi:[1,0,1]
	v_pk_mul_f32 v[126:127], v[76:77] /*v[332:333]*/, v[126:127] op_sel_hi:[1,0]
	s_set_vgpr_msb 0                        ;  msbs: dst=0 src0=0 src1=0 src2=0
	v_mov_b32_e32 v125, v129
	s_set_vgpr_msb 1                        ;  msbs: dst=0 src0=1 src1=0 src2=0
	v_pk_fma_f32 v[128:129], v[6:7] /*v[262:263]*/, v[214:215], v[130:131] neg_lo:[0,0,1] neg_hi:[0,0,1]
	s_set_vgpr_msb 0                        ;  msbs: dst=0 src0=0 src1=0 src2=0
	v_pk_add_f32 v[118:119], v[118:119], v[122:123]
	v_mov_b32_e32 v129, v121
	s_set_vgpr_msb 1                        ;  msbs: dst=0 src0=1 src1=0 src2=0
	v_pk_fma_f32 v[120:121], v[8:9] /*v[264:265]*/, v[216:217], v[126:127] op_sel_hi:[1,0,1]
	s_wait_loadcnt 0x1
	v_pk_mul_f32 v[122:123], v[18:19] /*v[274:275]*/, v[226:227] op_sel:[1,1] op_sel_hi:[0,1]
	s_set_vgpr_msb 0                        ;  msbs: dst=0 src0=0 src1=0 src2=0
	v_mov_b32_e32 v120, v229
	v_pk_add_f32 v[118:119], v[118:119], v[124:125]
	s_set_vgpr_msb 1                        ;  msbs: dst=0 src0=1 src1=0 src2=0
	v_pk_fma_f32 v[126:127], v[8:9] /*v[264:265]*/, v[216:217], v[126:127] neg_lo:[0,0,1] neg_hi:[0,0,1]
	s_set_vgpr_msb 0                        ;  msbs: dst=0 src0=0 src1=0 src2=0
	v_mov_b32_e32 v127, v121
	s_set_vgpr_msb 1                        ;  msbs: dst=0 src0=1 src1=0 src2=0
	v_pk_fma_f32 v[124:125], v[18:19] /*v[274:275]*/, v[226:227], v[122:123] op_sel_hi:[1,0,1]
	v_pk_mul_f32 v[120:121], v[78:79] /*v[334:335]*/, v[120:121] op_sel_hi:[1,0]
	s_set_vgpr_msb 0                        ;  msbs: dst=0 src0=0 src1=0 src2=0
	v_pk_add_f32 v[118:119], v[118:119], v[128:129]
	s_set_vgpr_msb 1                        ;  msbs: dst=0 src0=1 src1=0 src2=0
	v_pk_fma_f32 v[122:123], v[18:19] /*v[274:275]*/, v[226:227], v[122:123] neg_lo:[0,0,1] neg_hi:[0,0,1]
	s_set_vgpr_msb 0                        ;  msbs: dst=0 src0=0 src1=0 src2=0
	v_mov_b32_e32 v123, v125
	s_set_vgpr_msb 1                        ;  msbs: dst=0 src0=1 src1=0 src2=0
	v_pk_fma_f32 v[124:125], v[20:21] /*v[276:277]*/, v[228:229], v[120:121] op_sel_hi:[1,0,1]
	s_set_vgpr_msb 0                        ;  msbs: dst=0 src0=0 src1=0 src2=0
	v_pk_add_f32 v[118:119], v[118:119], v[126:127]
	s_set_vgpr_msb 1                        ;  msbs: dst=0 src0=1 src1=0 src2=0
	v_pk_fma_f32 v[120:121], v[20:21] /*v[276:277]*/, v[228:229], v[120:121] neg_lo:[0,0,1] neg_hi:[0,0,1]
	s_set_vgpr_msb 0                        ;  msbs: dst=0 src0=0 src1=0 src2=0
	v_mov_b32_e32 v121, v125
	v_pk_add_f32 v[118:119], v[118:119], v[122:123]
	s_delay_alu instid0(VALU_DEP_1) | instskip(SKIP_2) | instid1(VALU_DEP_1)
	v_pk_add_f32 v[118:119], v[118:119], v[120:121]
	s_wait_loadcnt 0x0
	s_set_vgpr_msb 1                        ;  msbs: dst=0 src0=1 src1=0 src2=0
	v_pk_add_f32 v[118:119], v[70:71] /*v[326:327]*/, v[118:119] neg_lo:[0,1] neg_hi:[0,1]
	scratch_store_b64 off, v[118:119], off offset:40
	s_wait_xcnt 0x0
	v_cmpx_lt_u32_e32 4, v0
	s_set_vgpr_msb 0                        ;  msbs: dst=0 src0=0 src1=0 src2=0
	s_cbranch_execz .LBB121_353
; %bb.352:
	scratch_load_b64 v[118:119], off, off offset:32
	v_mov_b64_e32 v[120:121], 0
	scratch_store_b64 off, v[120:121], off offset:32
	s_wait_loadcnt 0x0
	ds_store_b64 v1, v[118:119]
.LBB121_353:
	s_wait_xcnt 0x0
	s_or_b32 exec_lo, exec_lo, s0
	s_wait_storecnt_dscnt 0x0
	s_barrier_signal -1
	s_barrier_wait -1
	s_clause 0x1c
	scratch_load_b128 v[118:121], off, off offset:40
	scratch_load_b128 v[122:125], off, off offset:56
	;; [unrolled: 1-line block ×26, first 2 shown]
	s_set_vgpr_msb 64                       ;  msbs: dst=1 src0=0 src1=0 src2=0
	scratch_load_b64 v[70:71] /*v[326:327]*/, off, off offset:456
	scratch_load_b64 v[72:73] /*v[328:329]*/, off, off offset:32
	s_set_vgpr_msb 0                        ;  msbs: dst=0 src0=0 src1=0 src2=0
	v_mov_b32_e32 v7, 0
	ds_load_2addr_b64 v[222:225], v7 offset0:63 offset1:64
	ds_load_2addr_b64 v[226:229], v7 offset0:65 offset1:66
	ds_load_2addr_b64 v[230:233], v7 offset0:67 offset1:68
	ds_load_2addr_b64 v[234:237], v7 offset0:69 offset1:70
	ds_load_2addr_b64 v[238:241], v7 offset0:71 offset1:72
	ds_load_2addr_b64 v[242:245], v7 offset0:73 offset1:74
	ds_load_2addr_b64 v[246:249], v7 offset0:107 offset1:108
	ds_load_2addr_b64 v[250:253], v7 offset0:75 offset1:76
	ds_load_2addr_b64 v[254:257], v7 offset0:77 offset1:78
	s_set_vgpr_msb 64                       ;  msbs: dst=1 src0=0 src1=0 src2=0
	ds_load_2addr_b64 v[2:5] /*v[258:261]*/, v7 offset0:109 offset1:110
	ds_load_2addr_b64 v[6:9] /*v[262:265]*/, v7 offset0:111 offset1:112
	;; [unrolled: 1-line block ×17, first 2 shown]
	ds_load_b64 v[74:75] /*v[330:331]*/, v7 offset:920
	s_wait_dscnt 0x14
	v_dual_mov_b32 v76 /*v332*/, v249 :: v_dual_mov_b32 v77 /*v333*/, v248
	s_wait_dscnt 0x11
	s_set_vgpr_msb 0x41                     ;  msbs: dst=1 src0=1 src1=0 src2=0
	v_dual_mov_b32 v78 /*v334*/, v5 /*v261*/ :: v_dual_mov_b32 v79 /*v335*/, v4 /*v260*/
	s_wait_dscnt 0x10
	v_dual_mov_b32 v80 /*v336*/, v9 /*v265*/ :: v_dual_mov_b32 v81 /*v337*/, v8 /*v264*/
	s_wait_dscnt 0xd
	v_dual_mov_b32 v82 /*v338*/, v21 /*v277*/ :: v_dual_mov_b32 v83 /*v339*/, v20 /*v276*/
	s_mov_b32 s0, exec_lo
	s_wait_loadcnt 0x1b
	s_set_vgpr_msb 0                        ;  msbs: dst=0 src0=0 src1=0 src2=0
	v_dual_mul_f32 v9, v222, v119 :: v_dual_mul_f32 v95, v223, v119
	v_dual_mul_f32 v97, v225, v121 :: v_dual_mul_f32 v11, v224, v121
	s_wait_loadcnt 0x1a
	v_mul_f32_e32 v13, v226, v123
	s_wait_loadcnt 0x18
	v_dual_mul_f32 v107, v235, v131 :: v_dual_fma_f32 v95, v222, v118, -v95
	v_dual_fmac_f32 v9, v223, v118 :: v_dual_mul_f32 v109, v237, v133
	v_dual_mul_f32 v99, v227, v123 :: v_dual_mul_f32 v101, v229, v125
	v_dual_fmac_f32 v11, v225, v120 :: v_dual_fma_f32 v97, v224, v120, -v97
	s_delay_alu instid0(VALU_DEP_3) | instskip(SKIP_3) | instid1(VALU_DEP_3)
	v_dual_add_f32 v9, 0, v9 :: v_dual_add_f32 v95, 0, v95
	v_dual_mul_f32 v15, v228, v125 :: v_dual_mul_f32 v17, v230, v127
	s_wait_loadcnt 0x17
	v_dual_mul_f32 v111, v239, v135 :: v_dual_fma_f32 v99, v226, v122, -v99
	v_dual_fmac_f32 v13, v227, v122 :: v_dual_add_f32 v9, v9, v11
	s_delay_alu instid0(VALU_DEP_3) | instskip(SKIP_2) | instid1(VALU_DEP_3)
	v_dual_add_f32 v11, v95, v97 :: v_dual_fmac_f32 v15, v229, v124
	v_dual_mul_f32 v103, v231, v127 :: v_dual_mul_f32 v105, v233, v129
	v_dual_mul_f32 v95, v241, v137 :: v_dual_fma_f32 v97, v228, v124, -v101
	v_dual_add_f32 v9, v9, v13 :: v_dual_add_f32 v11, v11, v99
	v_dual_mul_f32 v19, v232, v129 :: v_dual_mul_f32 v21, v234, v131
	s_wait_loadcnt 0x16
	v_dual_mul_f32 v13, v243, v139 :: v_dual_fma_f32 v99, v230, v126, -v103
	s_delay_alu instid0(VALU_DEP_3) | instskip(NEXT) | instid1(VALU_DEP_3)
	v_dual_fmac_f32 v17, v231, v126 :: v_dual_add_f32 v9, v9, v15
	v_dual_add_f32 v11, v11, v97 :: v_dual_fmac_f32 v19, v233, v128
	v_dual_mul_f32 v15, v245, v141 :: v_dual_fma_f32 v97, v232, v128, -v105
	s_delay_alu instid0(VALU_DEP_2) | instskip(SKIP_3) | instid1(VALU_DEP_3)
	v_dual_add_f32 v9, v9, v17 :: v_dual_add_f32 v11, v11, v99
	v_dual_mul_f32 v23, v236, v133 :: v_dual_mul_f32 v25, v238, v135
	s_wait_loadcnt 0x15
	v_dual_mul_f32 v17, v251, v143 :: v_dual_fma_f32 v99, v234, v130, -v107
	v_dual_fmac_f32 v21, v235, v130 :: v_dual_add_f32 v9, v9, v19
	s_delay_alu instid0(VALU_DEP_3) | instskip(SKIP_1) | instid1(VALU_DEP_2)
	v_dual_add_f32 v11, v11, v97 :: v_dual_fmac_f32 v23, v237, v132
	v_dual_mul_f32 v19, v253, v145 :: v_dual_fma_f32 v97, v236, v132, -v109
	v_dual_add_f32 v9, v9, v21 :: v_dual_add_f32 v11, v11, v99
	v_dual_mul_f32 v27, v240, v137 :: v_dual_mul_f32 v29, v242, v139
	s_wait_loadcnt 0x14
	v_dual_mul_f32 v21, v255, v147 :: v_dual_fma_f32 v99, v238, v134, -v111
	s_delay_alu instid0(VALU_DEP_3) | instskip(NEXT) | instid1(VALU_DEP_3)
	v_dual_fmac_f32 v25, v239, v134 :: v_dual_add_f32 v9, v9, v23
	v_dual_add_f32 v11, v11, v97 :: v_dual_fmac_f32 v27, v241, v136
	v_fma_f32 v95, v240, v136, -v95
	v_dual_mul_f32 v31, v244, v141 :: v_dual_mul_f32 v33, v250, v143
	s_delay_alu instid0(VALU_DEP_3) | instskip(SKIP_1) | instid1(VALU_DEP_3)
	v_dual_add_f32 v9, v9, v25 :: v_dual_add_f32 v11, v11, v99
	v_fma_f32 v13, v242, v138, -v13
	v_dual_fmac_f32 v29, v243, v138 :: v_dual_fmac_f32 v31, v245, v140
	s_delay_alu instid0(VALU_DEP_3) | instskip(NEXT) | instid1(VALU_DEP_4)
	v_add_f32_e32 v9, v9, v27
	v_dual_add_f32 v11, v11, v95 :: v_dual_fma_f32 v15, v244, v140, -v15
	v_dual_mul_f32 v35, v252, v145 :: v_dual_mul_f32 v37, v254, v147
	s_delay_alu instid0(VALU_DEP_3) | instskip(NEXT) | instid1(VALU_DEP_3)
	v_add_f32_e32 v9, v9, v29
	v_dual_add_f32 v11, v11, v13 :: v_dual_fma_f32 v17, v250, v142, -v17
	s_delay_alu instid0(VALU_DEP_3) | instskip(NEXT) | instid1(VALU_DEP_3)
	v_dual_fmac_f32 v33, v251, v142 :: v_dual_fmac_f32 v35, v253, v144
	v_add_f32_e32 v9, v9, v31
	s_delay_alu instid0(VALU_DEP_3)
	v_dual_add_f32 v11, v11, v15 :: v_dual_fma_f32 v19, v252, v144, -v19
	s_wait_loadcnt 0x13
	s_set_vgpr_msb 1                        ;  msbs: dst=0 src0=1 src1=0 src2=0
	v_dual_mul_f32 v39, v0 /*v256*/, v149 :: v_dual_mul_f32 v41, v10 /*v266*/, v151
	s_set_vgpr_msb 0                        ;  msbs: dst=0 src0=0 src1=0 src2=0
	v_add_f32_e32 v9, v9, v33
	v_dual_add_f32 v11, v11, v17 :: v_dual_fma_f32 v21, v254, v146, -v21
	s_set_vgpr_msb 1                        ;  msbs: dst=0 src0=1 src1=0 src2=0
	v_dual_mul_f32 v23, v1 /*v257*/, v149 :: v_dual_mul_f32 v25, v11 /*v267*/, v151
	s_set_vgpr_msb 0                        ;  msbs: dst=0 src0=0 src1=0 src2=0
	v_dual_fmac_f32 v37, v255, v146 :: v_dual_add_f32 v9, v9, v35
	v_add_f32_e32 v11, v11, v19
	s_wait_loadcnt_dscnt 0x110c
	s_set_vgpr_msb 1                        ;  msbs: dst=0 src0=1 src1=0 src2=0
	v_dual_mul_f32 v19, v25 /*v281*/, v161 :: v_dual_fma_f32 v23, v0 /*v256*/, v148, -v23
	v_fmac_f32_e32 v39, v1 /*v257*/, v148
	s_set_vgpr_msb 0                        ;  msbs: dst=0 src0=0 src1=0 src2=0
	v_add_f32_e32 v9, v9, v37
	v_add_f32_e32 v11, v11, v21
	s_set_vgpr_msb 1                        ;  msbs: dst=0 src0=1 src1=0 src2=0
	v_dual_mul_f32 v43, v12 /*v268*/, v153 :: v_dual_mul_f32 v45, v14 /*v270*/, v155
	v_dual_mul_f32 v27, v13 /*v269*/, v153 :: v_dual_mul_f32 v13, v15 /*v271*/, v155
	s_wait_loadcnt_dscnt 0x100b
	v_mul_f32_e32 v21, v27 /*v283*/, v163
	v_fmac_f32_e32 v41, v11 /*v267*/, v150
	v_dual_fma_f32 v25, v10 /*v266*/, v150, -v25 :: v_dual_fmac_f32 v43, v13 /*v269*/, v152
	s_set_vgpr_msb 0                        ;  msbs: dst=0 src0=0 src1=0 src2=0
	v_add_f32_e32 v9, v9, v39
	v_add_f32_e32 v11, v11, v23
	s_set_vgpr_msb 1                        ;  msbs: dst=0 src0=1 src1=0 src2=0
	v_dual_mul_f32 v23, v29 /*v285*/, v165 :: v_dual_fma_f32 v27, v12 /*v268*/, v152, -v27
	v_dual_mul_f32 v47, v16 /*v272*/, v157 :: v_dual_mul_f32 v49, v22 /*v278*/, v159
	s_set_vgpr_msb 0                        ;  msbs: dst=0 src0=0 src1=0 src2=0
	v_add_f32_e32 v9, v9, v41
	v_add_f32_e32 v11, v11, v25
	s_set_vgpr_msb 1                        ;  msbs: dst=0 src0=1 src1=0 src2=0
	v_dual_mul_f32 v15, v17 /*v273*/, v157 :: v_dual_mul_f32 v17, v23 /*v279*/, v159
	s_wait_loadcnt_dscnt 0xf0a
	v_mul_f32_e32 v25, v31 /*v287*/, v167
	v_fmac_f32_e32 v45, v15 /*v271*/, v154
	v_dual_fma_f32 v13, v14 /*v270*/, v154, -v13 :: v_dual_fmac_f32 v47, v17 /*v273*/, v156
	s_set_vgpr_msb 0                        ;  msbs: dst=0 src0=0 src1=0 src2=0
	v_add_f32_e32 v9, v9, v43
	v_add_f32_e32 v11, v11, v27
	s_set_vgpr_msb 1                        ;  msbs: dst=0 src0=1 src1=0 src2=0
	v_dual_mul_f32 v27, v33 /*v289*/, v169 :: v_dual_fma_f32 v15, v16 /*v272*/, v156, -v15
	v_dual_mul_f32 v51, v24 /*v280*/, v161 :: v_dual_mul_f32 v53, v26 /*v282*/, v163
	s_set_vgpr_msb 0                        ;  msbs: dst=0 src0=0 src1=0 src2=0
	v_add_f32_e32 v9, v9, v45
	v_add_f32_e32 v11, v11, v13
	s_wait_loadcnt_dscnt 0xe09
	s_set_vgpr_msb 1                        ;  msbs: dst=0 src0=1 src1=0 src2=0
	v_mul_f32_e32 v13, v35 /*v291*/, v171
	v_fmac_f32_e32 v49, v23 /*v279*/, v158
	v_dual_fma_f32 v17, v22 /*v278*/, v158, -v17 :: v_dual_fmac_f32 v51, v25 /*v281*/, v160
	s_set_vgpr_msb 0                        ;  msbs: dst=0 src0=0 src1=0 src2=0
	v_add_f32_e32 v9, v9, v47
	v_add_f32_e32 v11, v11, v15
	s_set_vgpr_msb 1                        ;  msbs: dst=0 src0=1 src1=0 src2=0
	v_dual_mul_f32 v15, v37 /*v293*/, v173 :: v_dual_fma_f32 v19, v24 /*v280*/, v160, -v19
	v_dual_mul_f32 v55, v28 /*v284*/, v165 :: v_dual_mul_f32 v57, v30 /*v286*/, v167
	s_set_vgpr_msb 0                        ;  msbs: dst=0 src0=0 src1=0 src2=0
	v_add_f32_e32 v9, v9, v49
	v_add_f32_e32 v11, v11, v17
	s_wait_loadcnt_dscnt 0xd08
	s_set_vgpr_msb 1                        ;  msbs: dst=0 src0=1 src1=0 src2=0
	;; [unrolled: 14-line block ×9, first 2 shown]
	v_mul_f32_e32 v13, v67 /*v323*/, v203
	v_fmac_f32_e32 v81, v55 /*v311*/, v190
	v_dual_fma_f32 v17, v54 /*v310*/, v190, -v17 :: v_dual_fmac_f32 v83, v57 /*v313*/, v192
	s_set_vgpr_msb 0                        ;  msbs: dst=0 src0=0 src1=0 src2=0
	v_add_f32_e32 v9, v9, v79
	v_add_f32_e32 v11, v11, v15
	s_set_vgpr_msb 1                        ;  msbs: dst=0 src0=1 src1=0 src2=0
	v_dual_mul_f32 v15, v69 /*v325*/, v205 :: v_dual_fma_f32 v19, v56 /*v312*/, v192, -v19
	v_fmac_f32_e32 v85, v59 /*v315*/, v194
	s_set_vgpr_msb 0                        ;  msbs: dst=0 src0=0 src1=0 src2=0
	v_add_f32_e32 v9, v9, v81
	v_add_f32_e32 v11, v11, v17
	s_set_vgpr_msb 1                        ;  msbs: dst=0 src0=1 src1=0 src2=0
	v_dual_mul_f32 v87, v60 /*v316*/, v197 :: v_dual_mul_f32 v89, v62 /*v318*/, v199
	v_fma_f32 v21, v58 /*v314*/, v194, -v21
	s_set_vgpr_msb 0                        ;  msbs: dst=0 src0=0 src1=0 src2=0
	v_add_f32_e32 v9, v9, v83
	v_add_f32_e32 v11, v11, v19
	s_set_vgpr_msb 1                        ;  msbs: dst=0 src0=1 src1=0 src2=0
	v_fmac_f32_e32 v87, v61 /*v317*/, v196
	v_dual_fma_f32 v19, v60 /*v316*/, v196, -v23 :: v_dual_fmac_f32 v89, v63 /*v319*/, v198
	s_set_vgpr_msb 0                        ;  msbs: dst=0 src0=0 src1=0 src2=0
	v_add_f32_e32 v9, v9, v85
	v_add_f32_e32 v11, v11, v21
	s_set_vgpr_msb 1                        ;  msbs: dst=0 src0=1 src1=0 src2=0
	v_dual_mul_f32 v91, v64 /*v320*/, v201 :: v_dual_mul_f32 v93, v66 /*v322*/, v203
	v_fma_f32 v21, v62 /*v318*/, v198, -v25
	s_set_vgpr_msb 0                        ;  msbs: dst=0 src0=0 src1=0 src2=0
	v_add_f32_e32 v9, v9, v87
	s_wait_loadcnt 0x4
	v_dual_add_f32 v11, v11, v19 :: v_dual_mov_b32 v122, v213
	v_dual_mul_f32 v17, v247, v207 :: v_dual_mov_b32 v118, v209
	s_set_vgpr_msb 1                        ;  msbs: dst=0 src0=1 src1=0 src2=0
	v_fmac_f32_e32 v91, v65 /*v321*/, v200
	v_dual_fma_f32 v19, v64 /*v320*/, v200, -v27 :: v_dual_fmac_f32 v93, v67 /*v323*/, v202
	s_set_vgpr_msb 0                        ;  msbs: dst=0 src0=0 src1=0 src2=0
	v_add_f32_e32 v11, v11, v21
	v_add_f32_e32 v9, v9, v89
	s_set_vgpr_msb 0x41                     ;  msbs: dst=1 src0=1 src1=0 src2=0
	v_dual_mul_f32 v85 /*v341*/, v68 /*v324*/, v205 :: v_dual_fma_f32 v84 /*v340*/, v68 /*v324*/, v204, -v15
	s_set_vgpr_msb 1                        ;  msbs: dst=0 src0=1 src1=0 src2=0
	v_fma_f32 v13, v66 /*v322*/, v202, -v13
	s_set_vgpr_msb 0                        ;  msbs: dst=0 src0=0 src1=0 src2=0
	v_add_f32_e32 v11, v11, v19
	v_add_f32_e32 v9, v9, v91
	s_set_vgpr_msb 1                        ;  msbs: dst=0 src0=1 src1=0 src2=0
	v_pk_mul_f32 v[118:119], v[76:77] /*v[332:333]*/, v[118:119] op_sel_hi:[1,0]
	s_set_vgpr_msb 64                       ;  msbs: dst=1 src0=0 src1=0 src2=0
	v_dual_mul_f32 v87 /*v343*/, v246, v207 :: v_dual_fma_f32 v86 /*v342*/, v246, v206, -v17
	s_set_vgpr_msb 0x41                     ;  msbs: dst=1 src0=1 src1=0 src2=0
	v_fmac_f32_e32 v85 /*v341*/, v69 /*v325*/, v204
	s_wait_loadcnt 0x3
	s_set_vgpr_msb 0                        ;  msbs: dst=0 src0=0 src1=0 src2=0
	v_dual_add_f32 v126, v11, v13 :: v_dual_mov_b32 v128, v217
	v_pk_fma_f32 v[130:131], v[248:249], v[208:209], v[118:119] op_sel_hi:[1,0,1]
	v_add_f32_e32 v127, v9, v93
	v_pk_fma_f32 v[118:119], v[248:249], v[208:209], v[118:119] neg_lo:[0,0,1] neg_hi:[0,0,1]
	s_set_vgpr_msb 1                        ;  msbs: dst=0 src0=1 src1=0 src2=0
	v_pk_mul_f32 v[120:121], v[2:3] /*v[258:259]*/, v[210:211] op_sel:[1,1] op_sel_hi:[0,1]
	s_set_vgpr_msb 64                       ;  msbs: dst=1 src0=0 src1=0 src2=0
	v_fmac_f32_e32 v87 /*v343*/, v247, v206
	s_set_vgpr_msb 4                        ;  msbs: dst=0 src0=0 src1=1 src2=0
	v_mov_b32_e32 v119, v131
	v_pk_add_f32 v[126:127], v[126:127], v[84:85] /*v[340:341]*/
	s_set_vgpr_msb 1                        ;  msbs: dst=0 src0=1 src1=0 src2=0
	v_pk_mul_f32 v[122:123], v[78:79] /*v[334:335]*/, v[122:123] op_sel_hi:[1,0]
	v_pk_fma_f32 v[132:133], v[2:3] /*v[258:259]*/, v[210:211], v[120:121] op_sel_hi:[1,0,1]
	v_pk_fma_f32 v[120:121], v[2:3] /*v[258:259]*/, v[210:211], v[120:121] neg_lo:[0,0,1] neg_hi:[0,0,1]
	v_pk_mul_f32 v[124:125], v[6:7] /*v[262:263]*/, v[214:215] op_sel:[1,1] op_sel_hi:[0,1]
	s_set_vgpr_msb 4                        ;  msbs: dst=0 src0=0 src1=1 src2=0
	v_pk_add_f32 v[126:127], v[126:127], v[86:87] /*v[342:343]*/
	s_set_vgpr_msb 1                        ;  msbs: dst=0 src0=1 src1=0 src2=0
	v_pk_mul_f32 v[128:129], v[80:81] /*v[336:337]*/, v[128:129] op_sel_hi:[1,0]
	s_set_vgpr_msb 0                        ;  msbs: dst=0 src0=0 src1=0 src2=0
	v_mov_b32_e32 v121, v133
	s_set_vgpr_msb 1                        ;  msbs: dst=0 src0=1 src1=0 src2=0
	v_pk_fma_f32 v[132:133], v[4:5] /*v[260:261]*/, v[212:213], v[122:123] op_sel_hi:[1,0,1]
	v_pk_fma_f32 v[122:123], v[4:5] /*v[260:261]*/, v[212:213], v[122:123] neg_lo:[0,0,1] neg_hi:[0,0,1]
	s_set_vgpr_msb 0                        ;  msbs: dst=0 src0=0 src1=0 src2=0
	v_pk_add_f32 v[118:119], v[126:127], v[118:119]
	s_set_vgpr_msb 1                        ;  msbs: dst=0 src0=1 src1=0 src2=0
	v_pk_fma_f32 v[126:127], v[6:7] /*v[262:263]*/, v[214:215], v[124:125] op_sel_hi:[1,0,1]
	v_pk_fma_f32 v[124:125], v[6:7] /*v[262:263]*/, v[214:215], v[124:125] neg_lo:[0,0,1] neg_hi:[0,0,1]
	s_set_vgpr_msb 0                        ;  msbs: dst=0 src0=0 src1=0 src2=0
	v_mov_b32_e32 v123, v133
	s_wait_loadcnt 0x2
	s_set_vgpr_msb 1                        ;  msbs: dst=0 src0=1 src1=0 src2=0
	v_pk_mul_f32 v[130:131], v[18:19] /*v[274:275]*/, v[218:219] op_sel:[1,1] op_sel_hi:[0,1]
	s_set_vgpr_msb 0                        ;  msbs: dst=0 src0=0 src1=0 src2=0
	v_pk_add_f32 v[118:119], v[118:119], v[120:121]
	v_dual_mov_b32 v120, v221 :: v_dual_mov_b32 v125, v127
	s_set_vgpr_msb 1                        ;  msbs: dst=0 src0=1 src1=0 src2=0
	v_pk_fma_f32 v[126:127], v[8:9] /*v[264:265]*/, v[216:217], v[128:129] op_sel_hi:[1,0,1]
	v_pk_fma_f32 v[128:129], v[8:9] /*v[264:265]*/, v[216:217], v[128:129] neg_lo:[0,0,1] neg_hi:[0,0,1]
	s_set_vgpr_msb 0                        ;  msbs: dst=0 src0=0 src1=0 src2=0
	v_pk_add_f32 v[118:119], v[118:119], v[122:123]
	s_set_vgpr_msb 1                        ;  msbs: dst=0 src0=1 src1=0 src2=0
	v_pk_fma_f32 v[122:123], v[18:19] /*v[274:275]*/, v[218:219], v[130:131] op_sel_hi:[1,0,1]
	v_pk_mul_f32 v[120:121], v[82:83] /*v[338:339]*/, v[120:121] op_sel_hi:[1,0]
	s_set_vgpr_msb 0                        ;  msbs: dst=0 src0=0 src1=0 src2=0
	v_mov_b32_e32 v129, v127
	s_wait_loadcnt_dscnt 0x100
	s_set_vgpr_msb 5                        ;  msbs: dst=0 src0=1 src1=1 src2=0
	v_pk_mul_f32 v[126:127], v[74:75] /*v[330:331]*/, v[70:71] /*v[326:327]*/ op_sel:[1,1] op_sel_hi:[0,1]
	s_set_vgpr_msb 0                        ;  msbs: dst=0 src0=0 src1=0 src2=0
	v_pk_add_f32 v[118:119], v[118:119], v[124:125]
	s_set_vgpr_msb 1                        ;  msbs: dst=0 src0=1 src1=0 src2=0
	v_pk_fma_f32 v[124:125], v[18:19] /*v[274:275]*/, v[218:219], v[130:131] neg_lo:[0,0,1] neg_hi:[0,0,1]
	s_set_vgpr_msb 0                        ;  msbs: dst=0 src0=0 src1=0 src2=0
	v_mov_b32_e32 v125, v123
	s_set_vgpr_msb 1                        ;  msbs: dst=0 src0=1 src1=0 src2=0
	v_pk_fma_f32 v[122:123], v[20:21] /*v[276:277]*/, v[220:221], v[120:121] op_sel_hi:[1,0,1]
	v_pk_fma_f32 v[120:121], v[20:21] /*v[276:277]*/, v[220:221], v[120:121] neg_lo:[0,0,1] neg_hi:[0,0,1]
	s_set_vgpr_msb 0                        ;  msbs: dst=0 src0=0 src1=0 src2=0
	v_pk_add_f32 v[118:119], v[118:119], v[128:129]
	s_delay_alu instid0(VALU_DEP_3)
	v_mov_b32_e32 v121, v123
	s_set_vgpr_msb 5                        ;  msbs: dst=0 src0=1 src1=1 src2=0
	v_pk_fma_f32 v[122:123], v[74:75] /*v[330:331]*/, v[70:71] /*v[326:327]*/, v[126:127] op_sel_hi:[1,0,1]
	s_set_vgpr_msb 0                        ;  msbs: dst=0 src0=0 src1=0 src2=0
	v_pk_add_f32 v[118:119], v[118:119], v[124:125]
	s_set_vgpr_msb 5                        ;  msbs: dst=0 src0=1 src1=1 src2=0
	v_pk_fma_f32 v[124:125], v[74:75] /*v[330:331]*/, v[70:71] /*v[326:327]*/, v[126:127] neg_lo:[0,0,1] neg_hi:[0,0,1]
	s_set_vgpr_msb 0                        ;  msbs: dst=0 src0=0 src1=0 src2=0
	v_mov_b32_e32 v125, v123
	v_pk_add_f32 v[118:119], v[118:119], v[120:121]
	s_delay_alu instid0(VALU_DEP_1) | instskip(SKIP_2) | instid1(VALU_DEP_1)
	v_pk_add_f32 v[118:119], v[118:119], v[124:125]
	s_wait_loadcnt 0x0
	s_set_vgpr_msb 1                        ;  msbs: dst=0 src0=1 src1=0 src2=0
	v_pk_add_f32 v[118:119], v[72:73] /*v[328:329]*/, v[118:119] neg_lo:[0,1] neg_hi:[0,1]
	scratch_store_b64 off, v[118:119], off offset:32
	s_wait_xcnt 0x0
	v_cmpx_lt_u32_e32 3, v0
	s_set_vgpr_msb 0                        ;  msbs: dst=0 src0=0 src1=0 src2=0
	s_cbranch_execz .LBB121_355
; %bb.354:
	scratch_load_b64 v[118:119], off, off offset:24
	v_mov_b64_e32 v[120:121], 0
	scratch_store_b64 off, v[120:121], off offset:24
	s_wait_loadcnt 0x0
	ds_store_b64 v1, v[118:119]
.LBB121_355:
	s_wait_xcnt 0x0
	s_or_b32 exec_lo, exec_lo, s0
	s_wait_storecnt_dscnt 0x0
	s_barrier_signal -1
	s_barrier_wait -1
	s_clause 0x19
	scratch_load_b128 v[118:121], off, off offset:32
	scratch_load_b128 v[122:125], off, off offset:48
	;; [unrolled: 1-line block ×26, first 2 shown]
	ds_load_b128 v[222:225], v7 offset:496
	ds_load_b128 v[226:229], v7 offset:512
	;; [unrolled: 1-line block ×9, first 2 shown]
	s_set_vgpr_msb 64                       ;  msbs: dst=1 src0=0 src1=0 src2=0
	ds_load_b128 v[2:5] /*v[258:261]*/, v7 offset:864
	ds_load_b128 v[6:9] /*v[262:265]*/, v7 offset:880
	;; [unrolled: 1-line block ×5, first 2 shown]
	scratch_load_b128 v[22:25] /*v[278:281]*/, off, off offset:448
	ds_load_b128 v[26:29] /*v[282:285]*/, v7 offset:912
	ds_load_b128 v[30:33] /*v[286:289]*/, v7 offset:656
	;; [unrolled: 1-line block ×13, first 2 shown]
	scratch_load_b64 v[78:79] /*v[334:335]*/, off, off offset:24
	s_mov_b32 s0, exec_lo
	s_wait_dscnt 0xc
	s_set_vgpr_msb 0x41                     ;  msbs: dst=1 src0=1 src1=0 src2=0
	v_dual_mov_b32 v86 /*v342*/, v29 /*v285*/ :: v_dual_mov_b32 v87 /*v343*/, v28 /*v284*/
	v_dual_mov_b32 v80 /*v336*/, v5 /*v261*/ :: v_dual_mov_b32 v81 /*v337*/, v4 /*v260*/
	;; [unrolled: 1-line block ×4, first 2 shown]
	s_wait_loadcnt 0x1b
	s_set_vgpr_msb 0                        ;  msbs: dst=0 src0=0 src1=0 src2=0
	v_dual_mul_f32 v7, v222, v119 :: v_dual_mul_f32 v9, v224, v121
	v_dual_mul_f32 v95, v223, v119 :: v_dual_mul_f32 v97, v225, v121
	s_wait_loadcnt 0x1a
	v_dual_mul_f32 v11, v226, v123 :: v_dual_mul_f32 v13, v228, v125
	s_delay_alu instid0(VALU_DEP_3) | instskip(SKIP_3) | instid1(VALU_DEP_3)
	v_dual_fmac_f32 v7, v223, v118 :: v_dual_fmac_f32 v9, v225, v120
	s_wait_loadcnt 0x18
	v_dual_fma_f32 v95, v222, v118, -v95 :: v_dual_mul_f32 v107, v235, v131
	v_dual_mul_f32 v99, v227, v123 :: v_dual_mul_f32 v101, v229, v125
	v_dual_fma_f32 v97, v224, v120, -v97 :: v_dual_add_f32 v7, 0, v7
	s_delay_alu instid0(VALU_DEP_3) | instskip(SKIP_1) | instid1(VALU_DEP_3)
	v_dual_add_f32 v95, 0, v95 :: v_dual_mul_f32 v109, v237, v133
	v_dual_fmac_f32 v11, v227, v122 :: v_dual_fmac_f32 v13, v229, v124
	v_dual_fma_f32 v99, v226, v122, -v99 :: v_dual_add_f32 v7, v7, v9
	s_delay_alu instid0(VALU_DEP_3) | instskip(SKIP_2) | instid1(VALU_DEP_4)
	v_dual_add_f32 v9, v95, v97 :: v_dual_fma_f32 v97, v228, v124, -v101
	v_dual_mul_f32 v15, v230, v127 :: v_dual_mul_f32 v17, v232, v129
	v_dual_mul_f32 v103, v231, v127 :: v_dual_mul_f32 v105, v233, v129
	v_add_f32_e32 v7, v7, v11
	s_delay_alu instid0(VALU_DEP_3) | instskip(NEXT) | instid1(VALU_DEP_3)
	v_dual_add_f32 v9, v9, v99 :: v_dual_fmac_f32 v15, v231, v126
	v_fma_f32 v99, v230, v126, -v103
	v_dual_mul_f32 v19, v234, v131 :: v_dual_mul_f32 v21, v236, v133
	s_delay_alu instid0(VALU_DEP_4) | instskip(SKIP_2) | instid1(VALU_DEP_2)
	v_dual_add_f32 v7, v7, v13 :: v_dual_fmac_f32 v17, v233, v128
	s_wait_loadcnt 0x16
	v_dual_add_f32 v9, v9, v97 :: v_dual_mul_f32 v13, v243, v139
	v_dual_fma_f32 v97, v232, v128, -v105 :: v_dual_add_f32 v7, v7, v15
	v_mul_f32_e32 v15, v245, v141
	s_delay_alu instid0(VALU_DEP_3) | instskip(NEXT) | instid1(VALU_DEP_3)
	v_dual_add_f32 v9, v9, v99 :: v_dual_fmac_f32 v19, v235, v130
	v_dual_fma_f32 v99, v234, v130, -v107 :: v_dual_add_f32 v7, v7, v17
	v_fmac_f32_e32 v21, v237, v132
	s_wait_loadcnt 0x15
	s_delay_alu instid0(VALU_DEP_3) | instskip(SKIP_3) | instid1(VALU_DEP_3)
	v_dual_add_f32 v9, v9, v97 :: v_dual_mul_f32 v17, v247, v143
	v_dual_mul_f32 v23, v238, v135 :: v_dual_mul_f32 v25, v240, v137
	v_dual_mul_f32 v95, v239, v135 :: v_dual_mul_f32 v11, v241, v137
	v_dual_fma_f32 v97, v236, v132, -v109 :: v_dual_add_f32 v7, v7, v19
	v_dual_add_f32 v9, v9, v99 :: v_dual_fmac_f32 v23, v239, v134
	s_delay_alu instid0(VALU_DEP_3) | instskip(NEXT) | instid1(VALU_DEP_3)
	v_dual_mul_f32 v19, v249, v145 :: v_dual_fma_f32 v95, v238, v134, -v95
	v_dual_add_f32 v7, v7, v21 :: v_dual_fmac_f32 v25, v241, v136
	s_wait_loadcnt 0x14
	s_delay_alu instid0(VALU_DEP_3) | instskip(SKIP_1) | instid1(VALU_DEP_3)
	v_dual_add_f32 v9, v9, v97 :: v_dual_mul_f32 v21, v251, v147
	v_dual_mul_f32 v27, v242, v139 :: v_dual_mul_f32 v29, v244, v141
	v_dual_fma_f32 v11, v240, v136, -v11 :: v_dual_add_f32 v7, v7, v23
	s_delay_alu instid0(VALU_DEP_2) | instskip(SKIP_1) | instid1(VALU_DEP_2)
	v_dual_add_f32 v9, v9, v95 :: v_dual_fmac_f32 v27, v243, v138
	v_dual_mul_f32 v23, v253, v149 :: v_dual_fma_f32 v13, v242, v138, -v13
	v_dual_add_f32 v7, v7, v25 :: v_dual_add_f32 v9, v9, v11
	v_dual_mul_f32 v31, v246, v143 :: v_dual_mul_f32 v33, v248, v145
	v_dual_fmac_f32 v29, v245, v140 :: v_dual_fma_f32 v15, v244, v140, -v15
	s_delay_alu instid0(VALU_DEP_3) | instskip(NEXT) | instid1(VALU_DEP_3)
	v_dual_add_f32 v7, v7, v27 :: v_dual_add_f32 v9, v9, v13
	v_dual_fmac_f32 v31, v247, v142 :: v_dual_fma_f32 v17, v246, v142, -v17
	v_dual_mul_f32 v35, v250, v147 :: v_dual_mul_f32 v37, v252, v149
	s_delay_alu instid0(VALU_DEP_3) | instskip(SKIP_1) | instid1(VALU_DEP_3)
	v_dual_add_f32 v7, v7, v29 :: v_dual_add_f32 v9, v9, v15
	v_dual_fmac_f32 v33, v249, v144 :: v_dual_fma_f32 v19, v248, v144, -v19
	v_dual_fmac_f32 v35, v251, v146 :: v_dual_fma_f32 v21, v250, v146, -v21
	s_delay_alu instid0(VALU_DEP_3)
	v_dual_add_f32 v7, v7, v31 :: v_dual_add_f32 v9, v9, v17
	s_wait_loadcnt 0x13
	s_set_vgpr_msb 1                        ;  msbs: dst=0 src0=1 src1=0 src2=0
	v_dual_mul_f32 v11, v11 /*v267*/, v151 :: v_dual_mul_f32 v13, v13 /*v269*/, v153
	s_set_vgpr_msb 0                        ;  msbs: dst=0 src0=0 src1=0 src2=0
	v_dual_fmac_f32 v37, v253, v148 :: v_dual_fma_f32 v23, v252, v148, -v23
	v_dual_add_f32 v7, v7, v33 :: v_dual_add_f32 v9, v9, v19
	s_set_vgpr_msb 1                        ;  msbs: dst=0 src0=1 src1=0 src2=0
	v_dual_mul_f32 v39, v10 /*v266*/, v151 :: v_dual_mul_f32 v41, v12 /*v268*/, v153
	v_fma_f32 v11, v10 /*v266*/, v150, -v11
	s_set_vgpr_msb 0                        ;  msbs: dst=0 src0=0 src1=0 src2=0
	v_dual_add_f32 v7, v7, v35 :: v_dual_add_f32 v9, v9, v21
	s_wait_loadcnt 0x12
	s_set_vgpr_msb 1                        ;  msbs: dst=0 src0=1 src1=0 src2=0
	v_dual_mul_f32 v15, v15 /*v271*/, v155 :: v_dual_mul_f32 v17, v17 /*v273*/, v157
	v_dual_fmac_f32 v39, v11 /*v267*/, v150 :: v_dual_fmac_f32 v41, v13 /*v269*/, v152
	s_set_vgpr_msb 0                        ;  msbs: dst=0 src0=0 src1=0 src2=0
	v_dual_add_f32 v7, v7, v37 :: v_dual_add_f32 v9, v9, v23
	s_wait_loadcnt_dscnt 0x100a
	s_set_vgpr_msb 1                        ;  msbs: dst=0 src0=1 src1=0 src2=0
	v_dual_mul_f32 v23, v35 /*v291*/, v163 :: v_dual_fma_f32 v13, v12 /*v268*/, v152, -v13
	v_dual_mul_f32 v43, v14 /*v270*/, v155 :: v_dual_mul_f32 v45, v16 /*v272*/, v157
	s_set_vgpr_msb 0                        ;  msbs: dst=0 src0=0 src1=0 src2=0
	v_add_f32_e32 v9, v9, v11
	s_set_vgpr_msb 1                        ;  msbs: dst=0 src0=1 src1=0 src2=0
	v_mul_f32_e32 v11, v37 /*v293*/, v165
	s_set_vgpr_msb 0                        ;  msbs: dst=0 src0=0 src1=0 src2=0
	v_add_f32_e32 v7, v7, v39
	s_set_vgpr_msb 1                        ;  msbs: dst=0 src0=1 src1=0 src2=0
	v_dual_fma_f32 v15, v14 /*v270*/, v154, -v15 :: v_dual_mul_f32 v19, v31 /*v287*/, v159
	v_mul_f32_e32 v21, v33 /*v289*/, v161
	s_set_vgpr_msb 0                        ;  msbs: dst=0 src0=0 src1=0 src2=0
	v_add_f32_e32 v9, v9, v13
	s_set_vgpr_msb 1                        ;  msbs: dst=0 src0=1 src1=0 src2=0
	v_dual_fmac_f32 v43, v15 /*v271*/, v154 :: v_dual_fmac_f32 v45, v17 /*v273*/, v156
	s_set_vgpr_msb 0                        ;  msbs: dst=0 src0=0 src1=0 src2=0
	v_add_f32_e32 v7, v7, v41
	s_wait_loadcnt_dscnt 0xf09
	s_set_vgpr_msb 1                        ;  msbs: dst=0 src0=1 src1=0 src2=0
	v_dual_mul_f32 v13, v39 /*v295*/, v167 :: v_dual_fma_f32 v17, v16 /*v272*/, v156, -v17
	s_set_vgpr_msb 0                        ;  msbs: dst=0 src0=0 src1=0 src2=0
	v_add_f32_e32 v9, v9, v15
	s_set_vgpr_msb 1                        ;  msbs: dst=0 src0=1 src1=0 src2=0
	v_dual_mul_f32 v47, v30 /*v286*/, v159 :: v_dual_mul_f32 v49, v32 /*v288*/, v161
	v_mul_f32_e32 v15, v41 /*v297*/, v169
	s_set_vgpr_msb 0                        ;  msbs: dst=0 src0=0 src1=0 src2=0
	v_dual_add_f32 v7, v7, v43 :: v_dual_add_f32 v9, v9, v17
	s_wait_loadcnt_dscnt 0xe08
	s_set_vgpr_msb 1                        ;  msbs: dst=0 src0=1 src1=0 src2=0
	v_dual_fma_f32 v19, v30 /*v286*/, v158, -v19 :: v_dual_mul_f32 v17, v43 /*v299*/, v171
	v_dual_fmac_f32 v47, v31 /*v287*/, v158 :: v_dual_fmac_f32 v49, v33 /*v289*/, v160
	s_set_vgpr_msb 0                        ;  msbs: dst=0 src0=0 src1=0 src2=0
	v_add_f32_e32 v7, v7, v45
	s_set_vgpr_msb 1                        ;  msbs: dst=0 src0=1 src1=0 src2=0
	v_fma_f32 v21, v32 /*v288*/, v160, -v21
	s_set_vgpr_msb 0                        ;  msbs: dst=0 src0=0 src1=0 src2=0
	v_add_f32_e32 v9, v9, v19
	s_set_vgpr_msb 1                        ;  msbs: dst=0 src0=1 src1=0 src2=0
	v_dual_mul_f32 v51, v34 /*v290*/, v163 :: v_dual_mul_f32 v53, v36 /*v292*/, v165
	v_mul_f32_e32 v19, v45 /*v301*/, v173
	s_set_vgpr_msb 0                        ;  msbs: dst=0 src0=0 src1=0 src2=0
	v_dual_add_f32 v7, v7, v47 :: v_dual_add_f32 v9, v9, v21
	s_wait_loadcnt_dscnt 0xd07
	s_set_vgpr_msb 1                        ;  msbs: dst=0 src0=1 src1=0 src2=0
	v_dual_fma_f32 v23, v34 /*v290*/, v162, -v23 :: v_dual_mul_f32 v21, v47 /*v303*/, v175
	v_dual_mul_f32 v55, v38 /*v294*/, v167 :: v_dual_mul_f32 v57, v40 /*v296*/, v169
	v_dual_mul_f32 v59, v42 /*v298*/, v171 :: v_dual_mul_f32 v61, v44 /*v300*/, v173
	v_dual_fmac_f32 v51, v35 /*v291*/, v162 :: v_dual_fmac_f32 v53, v37 /*v293*/, v164
	v_fma_f32 v11, v36 /*v292*/, v164, -v11
	s_set_vgpr_msb 0                        ;  msbs: dst=0 src0=0 src1=0 src2=0
	v_dual_add_f32 v9, v9, v23 :: v_dual_add_f32 v7, v7, v49
	s_set_vgpr_msb 1                        ;  msbs: dst=0 src0=1 src1=0 src2=0
	v_dual_mul_f32 v23, v49 /*v305*/, v177 :: v_dual_fmac_f32 v55, v39 /*v295*/, v166
	v_fma_f32 v13, v38 /*v294*/, v166, -v13
	v_dual_fmac_f32 v57, v41 /*v297*/, v168 :: v_dual_fmac_f32 v59, v43 /*v299*/, v170
	s_set_vgpr_msb 0                        ;  msbs: dst=0 src0=0 src1=0 src2=0
	v_add_f32_e32 v9, v9, v11
	s_set_vgpr_msb 1                        ;  msbs: dst=0 src0=1 src1=0 src2=0
	v_dual_mul_f32 v63, v46 /*v302*/, v175 :: v_dual_mul_f32 v65, v48 /*v304*/, v177
	s_set_vgpr_msb 0                        ;  msbs: dst=0 src0=0 src1=0 src2=0
	v_add_f32_e32 v7, v7, v51
	s_wait_loadcnt_dscnt 0xc06
	s_set_vgpr_msb 1                        ;  msbs: dst=0 src0=1 src1=0 src2=0
	v_dual_mul_f32 v11, v51 /*v307*/, v179 :: v_dual_fma_f32 v15, v40 /*v296*/, v168, -v15
	s_set_vgpr_msb 0                        ;  msbs: dst=0 src0=0 src1=0 src2=0
	v_add_f32_e32 v9, v9, v13
	s_set_vgpr_msb 1                        ;  msbs: dst=0 src0=1 src1=0 src2=0
	v_dual_mul_f32 v13, v53 /*v309*/, v181 :: v_dual_fma_f32 v17, v42 /*v298*/, v170, -v17
	s_set_vgpr_msb 0                        ;  msbs: dst=0 src0=0 src1=0 src2=0
	v_add_f32_e32 v7, v7, v53
	s_set_vgpr_msb 1                        ;  msbs: dst=0 src0=1 src1=0 src2=0
	v_dual_fmac_f32 v61, v45 /*v301*/, v172 :: v_dual_fmac_f32 v63, v47 /*v303*/, v174
	s_set_vgpr_msb 0                        ;  msbs: dst=0 src0=0 src1=0 src2=0
	v_add_f32_e32 v9, v9, v15
	s_set_vgpr_msb 1                        ;  msbs: dst=0 src0=1 src1=0 src2=0
	v_dual_mul_f32 v67, v50 /*v306*/, v179 :: v_dual_mul_f32 v69, v52 /*v308*/, v181
	s_set_vgpr_msb 0                        ;  msbs: dst=0 src0=0 src1=0 src2=0
	v_add_f32_e32 v7, v7, v55
	s_wait_loadcnt_dscnt 0xb05
	s_set_vgpr_msb 1                        ;  msbs: dst=0 src0=1 src1=0 src2=0
	v_dual_mul_f32 v15, v55 /*v311*/, v183 :: v_dual_fma_f32 v19, v44 /*v300*/, v172, -v19
	s_set_vgpr_msb 0                        ;  msbs: dst=0 src0=0 src1=0 src2=0
	v_add_f32_e32 v9, v9, v17
	s_set_vgpr_msb 1                        ;  msbs: dst=0 src0=1 src1=0 src2=0
	v_dual_mul_f32 v17, v57 /*v313*/, v185 :: v_dual_fma_f32 v21, v46 /*v302*/, v174, -v21
	s_set_vgpr_msb 0                        ;  msbs: dst=0 src0=0 src1=0 src2=0
	v_add_f32_e32 v7, v7, v57
	s_set_vgpr_msb 1                        ;  msbs: dst=0 src0=1 src1=0 src2=0
	v_dual_fmac_f32 v65, v49 /*v305*/, v176 :: v_dual_fmac_f32 v67, v51 /*v307*/, v178
	s_set_vgpr_msb 0                        ;  msbs: dst=0 src0=0 src1=0 src2=0
	v_add_f32_e32 v9, v9, v19
	s_set_vgpr_msb 1                        ;  msbs: dst=0 src0=1 src1=0 src2=0
	v_dual_mul_f32 v71, v54 /*v310*/, v183 :: v_dual_mul_f32 v73, v56 /*v312*/, v185
	s_set_vgpr_msb 0                        ;  msbs: dst=0 src0=0 src1=0 src2=0
	v_add_f32_e32 v7, v7, v59
	s_wait_loadcnt_dscnt 0xa04
	s_set_vgpr_msb 1                        ;  msbs: dst=0 src0=1 src1=0 src2=0
	v_dual_mul_f32 v19, v59 /*v315*/, v187 :: v_dual_fma_f32 v23, v48 /*v304*/, v176, -v23
	s_set_vgpr_msb 0                        ;  msbs: dst=0 src0=0 src1=0 src2=0
	v_add_f32_e32 v9, v9, v21
	s_set_vgpr_msb 1                        ;  msbs: dst=0 src0=1 src1=0 src2=0
	v_dual_mul_f32 v75, v58 /*v314*/, v187 :: v_dual_mul_f32 v77, v60 /*v316*/, v189
	v_dual_mul_f32 v21, v61 /*v317*/, v189 :: v_dual_fma_f32 v11, v50 /*v306*/, v178, -v11
	v_dual_fmac_f32 v69, v53 /*v309*/, v180 :: v_dual_fmac_f32 v71, v55 /*v311*/, v182
	s_set_vgpr_msb 0                        ;  msbs: dst=0 src0=0 src1=0 src2=0
	v_dual_add_f32 v9, v9, v23 :: v_dual_add_f32 v7, v7, v61
	s_wait_loadcnt_dscnt 0x903
	s_set_vgpr_msb 1                        ;  msbs: dst=0 src0=1 src1=0 src2=0
	v_dual_mul_f32 v23, v63 /*v319*/, v191 :: v_dual_fma_f32 v13, v52 /*v308*/, v180, -v13
	v_dual_fmac_f32 v73, v57 /*v313*/, v184 :: v_dual_fmac_f32 v75, v59 /*v315*/, v186
	s_set_vgpr_msb 0                        ;  msbs: dst=0 src0=0 src1=0 src2=0
	v_add_f32_e32 v9, v9, v11
	s_set_vgpr_msb 1                        ;  msbs: dst=0 src0=1 src1=0 src2=0
	v_dual_mul_f32 v79, v62 /*v318*/, v191 :: v_dual_mul_f32 v81, v64 /*v320*/, v193
	s_set_vgpr_msb 0                        ;  msbs: dst=0 src0=0 src1=0 src2=0
	v_add_f32_e32 v7, v7, v63
	s_set_vgpr_msb 1                        ;  msbs: dst=0 src0=1 src1=0 src2=0
	v_dual_mul_f32 v11, v65 /*v321*/, v193 :: v_dual_fma_f32 v15, v54 /*v310*/, v182, -v15
	s_set_vgpr_msb 0                        ;  msbs: dst=0 src0=0 src1=0 src2=0
	v_add_f32_e32 v9, v9, v13
	s_wait_loadcnt_dscnt 0x802
	s_set_vgpr_msb 1                        ;  msbs: dst=0 src0=1 src1=0 src2=0
	v_dual_mul_f32 v13, v67 /*v323*/, v195 :: v_dual_fma_f32 v17, v56 /*v312*/, v184, -v17
	s_set_vgpr_msb 0                        ;  msbs: dst=0 src0=0 src1=0 src2=0
	v_add_f32_e32 v7, v7, v65
	s_set_vgpr_msb 1                        ;  msbs: dst=0 src0=1 src1=0 src2=0
	v_dual_fmac_f32 v77, v61 /*v317*/, v188 :: v_dual_fmac_f32 v79, v63 /*v319*/, v190
	s_set_vgpr_msb 0                        ;  msbs: dst=0 src0=0 src1=0 src2=0
	v_add_f32_e32 v9, v9, v15
	s_set_vgpr_msb 1                        ;  msbs: dst=0 src0=1 src1=0 src2=0
	v_dual_mul_f32 v83, v66 /*v322*/, v195 :: v_dual_mul_f32 v85, v68 /*v324*/, v197
	s_set_vgpr_msb 0                        ;  msbs: dst=0 src0=0 src1=0 src2=0
	v_add_f32_e32 v7, v7, v67
	s_set_vgpr_msb 1                        ;  msbs: dst=0 src0=1 src1=0 src2=0
	v_dual_mul_f32 v15, v69 /*v325*/, v197 :: v_dual_fma_f32 v19, v58 /*v314*/, v186, -v19
	s_set_vgpr_msb 0                        ;  msbs: dst=0 src0=0 src1=0 src2=0
	v_add_f32_e32 v9, v9, v17
	s_wait_loadcnt_dscnt 0x701
	s_set_vgpr_msb 1                        ;  msbs: dst=0 src0=1 src1=0 src2=0
	v_dual_mul_f32 v17, v71 /*v327*/, v199 :: v_dual_fma_f32 v21, v60 /*v316*/, v188, -v21
	s_set_vgpr_msb 0                        ;  msbs: dst=0 src0=0 src1=0 src2=0
	v_add_f32_e32 v7, v7, v69
	s_set_vgpr_msb 1                        ;  msbs: dst=0 src0=1 src1=0 src2=0
	v_dual_fmac_f32 v81, v65 /*v321*/, v192 :: v_dual_fmac_f32 v83, v67 /*v323*/, v194
	s_set_vgpr_msb 0                        ;  msbs: dst=0 src0=0 src1=0 src2=0
	v_add_f32_e32 v9, v9, v19
	s_set_vgpr_msb 1                        ;  msbs: dst=0 src0=1 src1=0 src2=0
	v_dual_mul_f32 v19, v73 /*v329*/, v201 :: v_dual_fma_f32 v23, v62 /*v318*/, v190, -v23
	s_set_vgpr_msb 0                        ;  msbs: dst=0 src0=0 src1=0 src2=0
	v_add_f32_e32 v7, v7, v71
	s_set_vgpr_msb 1                        ;  msbs: dst=0 src0=1 src1=0 src2=0
	v_dual_mul_f32 v87, v70 /*v326*/, v199 :: v_dual_mul_f32 v89, v72 /*v328*/, v201
	s_set_vgpr_msb 0                        ;  msbs: dst=0 src0=0 src1=0 src2=0
	v_add_f32_e32 v9, v9, v21
	s_wait_loadcnt_dscnt 0x600
	s_set_vgpr_msb 1                        ;  msbs: dst=0 src0=1 src1=0 src2=0
	v_dual_mul_f32 v91, v74 /*v330*/, v203 :: v_dual_mul_f32 v93, v76 /*v332*/, v205
	s_set_vgpr_msb 0                        ;  msbs: dst=0 src0=0 src1=0 src2=0
	v_add_f32_e32 v7, v7, v73
	s_set_vgpr_msb 1                        ;  msbs: dst=0 src0=1 src1=0 src2=0
	v_dual_mul_f32 v21, v75 /*v331*/, v203 :: v_dual_fma_f32 v11, v64 /*v320*/, v192, -v11
	v_dual_fmac_f32 v85, v69 /*v325*/, v196 :: v_dual_fma_f32 v15, v68 /*v324*/, v196, -v15
	s_set_vgpr_msb 0                        ;  msbs: dst=0 src0=0 src1=0 src2=0
	v_add_f32_e32 v9, v9, v23
	s_set_vgpr_msb 1                        ;  msbs: dst=0 src0=1 src1=0 src2=0
	v_dual_mul_f32 v23, v77 /*v333*/, v205 :: v_dual_fma_f32 v13, v66 /*v322*/, v194, -v13
	v_dual_fmac_f32 v89, v73 /*v329*/, v200 :: v_dual_fmac_f32 v91, v75 /*v331*/, v202
	s_set_vgpr_msb 0                        ;  msbs: dst=0 src0=0 src1=0 src2=0
	v_add_f32_e32 v9, v9, v11
	v_add_f32_e32 v7, v7, v75
	s_set_vgpr_msb 1                        ;  msbs: dst=0 src0=1 src1=0 src2=0
	v_fma_f32 v17, v70 /*v326*/, v198, -v17
	v_dual_fmac_f32 v93, v77 /*v333*/, v204 :: v_dual_fmac_f32 v87, v71 /*v327*/, v198
	s_set_vgpr_msb 0                        ;  msbs: dst=0 src0=0 src1=0 src2=0
	v_add_f32_e32 v9, v9, v13
	v_add_f32_e32 v7, v7, v77
	s_wait_loadcnt 0x5
	s_set_vgpr_msb 1                        ;  msbs: dst=0 src0=1 src1=0 src2=0
	v_mul_f32_e32 v13, v1 /*v257*/, v209
	s_wait_loadcnt 0x4
	v_pk_mul_f32 v[118:119], v[2:3] /*v[258:259]*/, v[210:211] op_sel:[1,1] op_sel_hi:[0,1]
	s_wait_loadcnt 0x3
	s_set_vgpr_msb 0                        ;  msbs: dst=0 src0=0 src1=0 src2=0
	v_mov_b32_e32 v124, v217
	v_add_f32_e32 v9, v9, v15
	s_set_vgpr_msb 1                        ;  msbs: dst=0 src0=1 src1=0 src2=0
	v_fma_f32 v15, v72 /*v328*/, v200, -v19
	s_set_vgpr_msb 0                        ;  msbs: dst=0 src0=0 src1=0 src2=0
	v_add_f32_e32 v7, v7, v79
	v_dual_mul_f32 v11, v255, v207 :: v_dual_mov_b32 v120, v213
	v_add_f32_e32 v9, v9, v17
	s_set_vgpr_msb 1                        ;  msbs: dst=0 src0=1 src1=0 src2=0
	v_fma_f32 v17, v74 /*v330*/, v202, -v21
	s_set_vgpr_msb 0                        ;  msbs: dst=0 src0=0 src1=0 src2=0
	v_add_f32_e32 v7, v7, v81
	s_set_vgpr_msb 64                       ;  msbs: dst=1 src0=0 src1=0 src2=0
	v_dual_mul_f32 v89 /*v345*/, v254, v207 :: v_dual_fma_f32 v88 /*v344*/, v254, v206, -v11
	s_set_vgpr_msb 0                        ;  msbs: dst=0 src0=0 src1=0 src2=0
	v_add_f32_e32 v9, v9, v15
	s_set_vgpr_msb 1                        ;  msbs: dst=0 src0=1 src1=0 src2=0
	v_fma_f32 v15, v76 /*v332*/, v204, -v23
	s_set_vgpr_msb 0                        ;  msbs: dst=0 src0=0 src1=0 src2=0
	v_add_f32_e32 v7, v7, v83
	s_set_vgpr_msb 1                        ;  msbs: dst=0 src0=1 src1=0 src2=0
	v_pk_fma_f32 v[128:129], v[2:3] /*v[258:259]*/, v[210:211], v[118:119] op_sel_hi:[1,0,1]
	v_pk_fma_f32 v[118:119], v[2:3] /*v[258:259]*/, v[210:211], v[118:119] neg_lo:[0,0,1] neg_hi:[0,0,1]
	s_set_vgpr_msb 0                        ;  msbs: dst=0 src0=0 src1=0 src2=0
	v_add_f32_e32 v9, v9, v17
	s_set_vgpr_msb 0x41                     ;  msbs: dst=1 src0=1 src1=0 src2=0
	v_dual_mul_f32 v91 /*v347*/, v0 /*v256*/, v209 :: v_dual_fma_f32 v90 /*v346*/, v0 /*v256*/, v208, -v13
	s_set_vgpr_msb 0                        ;  msbs: dst=0 src0=0 src1=0 src2=0
	v_add_f32_e32 v7, v7, v85
	s_set_vgpr_msb 64                       ;  msbs: dst=1 src0=0 src1=0 src2=0
	v_fmac_f32_e32 v89 /*v345*/, v255, v206
	s_set_vgpr_msb 0                        ;  msbs: dst=0 src0=0 src1=0 src2=0
	v_add_f32_e32 v126, v9, v15
	v_mov_b32_e32 v119, v129
	s_set_vgpr_msb 0x41                     ;  msbs: dst=1 src0=1 src1=0 src2=0
	v_fmac_f32_e32 v91 /*v347*/, v1 /*v257*/, v208
	s_set_vgpr_msb 0                        ;  msbs: dst=0 src0=0 src1=0 src2=0
	v_add_f32_e32 v7, v7, v87
	s_set_vgpr_msb 1                        ;  msbs: dst=0 src0=1 src1=0 src2=0
	v_pk_mul_f32 v[120:121], v[80:81] /*v[336:337]*/, v[120:121] op_sel_hi:[1,0]
	v_pk_mul_f32 v[122:123], v[6:7] /*v[262:263]*/, v[214:215] op_sel:[1,1] op_sel_hi:[0,1]
	v_pk_mul_f32 v[124:125], v[82:83] /*v[338:339]*/, v[124:125] op_sel_hi:[1,0]
	s_wait_loadcnt 0x2
	v_pk_mul_f32 v[130:131], v[18:19] /*v[274:275]*/, v[218:219] op_sel:[1,1] op_sel_hi:[0,1]
	s_set_vgpr_msb 0                        ;  msbs: dst=0 src0=0 src1=0 src2=0
	v_add_f32_e32 v7, v7, v89
	s_set_vgpr_msb 1                        ;  msbs: dst=0 src0=1 src1=0 src2=0
	v_pk_fma_f32 v[128:129], v[4:5] /*v[260:261]*/, v[212:213], v[120:121] op_sel_hi:[1,0,1]
	v_pk_fma_f32 v[120:121], v[4:5] /*v[260:261]*/, v[212:213], v[120:121] neg_lo:[0,0,1] neg_hi:[0,0,1]
	v_pk_fma_f32 v[132:133], v[6:7] /*v[262:263]*/, v[214:215], v[122:123] op_sel_hi:[1,0,1]
	v_pk_fma_f32 v[122:123], v[6:7] /*v[262:263]*/, v[214:215], v[122:123] neg_lo:[0,0,1] neg_hi:[0,0,1]
	s_set_vgpr_msb 0                        ;  msbs: dst=0 src0=0 src1=0 src2=0
	v_dual_add_f32 v7, v7, v91 :: v_dual_mov_b32 v121, v129
	s_set_vgpr_msb 1                        ;  msbs: dst=0 src0=1 src1=0 src2=0
	v_pk_fma_f32 v[128:129], v[8:9] /*v[264:265]*/, v[216:217], v[124:125] op_sel_hi:[1,0,1]
	s_set_vgpr_msb 0                        ;  msbs: dst=0 src0=0 src1=0 src2=0
	v_mov_b32_e32 v123, v133
	s_set_vgpr_msb 1                        ;  msbs: dst=0 src0=1 src1=0 src2=0
	v_pk_fma_f32 v[124:125], v[8:9] /*v[264:265]*/, v[216:217], v[124:125] neg_lo:[0,0,1] neg_hi:[0,0,1]
	s_set_vgpr_msb 0                        ;  msbs: dst=0 src0=0 src1=0 src2=0
	v_dual_add_f32 v127, v7, v93 :: v_dual_mov_b32 v125, v129
	s_set_vgpr_msb 1                        ;  msbs: dst=0 src0=1 src1=0 src2=0
	v_pk_fma_f32 v[128:129], v[18:19] /*v[274:275]*/, v[218:219], v[130:131] neg_lo:[0,0,1] neg_hi:[0,0,1]
	s_set_vgpr_msb 4                        ;  msbs: dst=0 src0=0 src1=1 src2=0
	s_delay_alu instid0(VALU_DEP_2) | instskip(NEXT) | instid1(VALU_DEP_1)
	v_pk_add_f32 v[126:127], v[126:127], v[88:89] /*v[344:345]*/
	v_pk_add_f32 v[126:127], v[126:127], v[90:91] /*v[346:347]*/
	s_set_vgpr_msb 0                        ;  msbs: dst=0 src0=0 src1=0 src2=0
	s_delay_alu instid0(VALU_DEP_1) | instskip(SKIP_1) | instid1(VALU_DEP_2)
	v_pk_add_f32 v[118:119], v[126:127], v[118:119]
	v_mov_b32_e32 v126, v221
	v_pk_add_f32 v[118:119], v[118:119], v[120:121]
	s_set_vgpr_msb 1                        ;  msbs: dst=0 src0=1 src1=0 src2=0
	v_pk_fma_f32 v[120:121], v[18:19] /*v[274:275]*/, v[218:219], v[130:131] op_sel_hi:[1,0,1]
	s_delay_alu instid0(VALU_DEP_3) | instskip(SKIP_2) | instid1(VALU_DEP_3)
	v_pk_mul_f32 v[126:127], v[84:85] /*v[340:341]*/, v[126:127] op_sel_hi:[1,0]
	s_set_vgpr_msb 0                        ;  msbs: dst=0 src0=0 src1=0 src2=0
	v_pk_add_f32 v[118:119], v[118:119], v[122:123]
	v_mov_b32_e32 v129, v121
	s_set_vgpr_msb 1                        ;  msbs: dst=0 src0=1 src1=0 src2=0
	v_pk_fma_f32 v[120:121], v[20:21] /*v[276:277]*/, v[220:221], v[126:127] op_sel_hi:[1,0,1]
	s_wait_loadcnt 0x1
	s_set_vgpr_msb 5                        ;  msbs: dst=0 src0=1 src1=1 src2=0
	v_pk_mul_f32 v[122:123], v[26:27] /*v[282:283]*/, v[22:23] /*v[278:279]*/ op_sel:[1,1] op_sel_hi:[0,1]
	v_mov_b32_e32 v120, v25 /*v281*/
	s_set_vgpr_msb 0                        ;  msbs: dst=0 src0=0 src1=0 src2=0
	v_pk_add_f32 v[118:119], v[118:119], v[124:125]
	s_set_vgpr_msb 1                        ;  msbs: dst=0 src0=1 src1=0 src2=0
	v_pk_fma_f32 v[126:127], v[20:21] /*v[276:277]*/, v[220:221], v[126:127] neg_lo:[0,0,1] neg_hi:[0,0,1]
	s_set_vgpr_msb 0                        ;  msbs: dst=0 src0=0 src1=0 src2=0
	v_mov_b32_e32 v127, v121
	s_set_vgpr_msb 5                        ;  msbs: dst=0 src0=1 src1=1 src2=0
	v_pk_fma_f32 v[124:125], v[26:27] /*v[282:283]*/, v[22:23] /*v[278:279]*/, v[122:123] op_sel_hi:[1,0,1]
	s_set_vgpr_msb 1                        ;  msbs: dst=0 src0=1 src1=0 src2=0
	v_pk_mul_f32 v[120:121], v[86:87] /*v[342:343]*/, v[120:121] op_sel_hi:[1,0]
	s_set_vgpr_msb 0                        ;  msbs: dst=0 src0=0 src1=0 src2=0
	v_pk_add_f32 v[118:119], v[118:119], v[128:129]
	s_set_vgpr_msb 5                        ;  msbs: dst=0 src0=1 src1=1 src2=0
	v_pk_fma_f32 v[122:123], v[26:27] /*v[282:283]*/, v[22:23] /*v[278:279]*/, v[122:123] neg_lo:[0,0,1] neg_hi:[0,0,1]
	s_set_vgpr_msb 0                        ;  msbs: dst=0 src0=0 src1=0 src2=0
	v_mov_b32_e32 v123, v125
	s_set_vgpr_msb 5                        ;  msbs: dst=0 src0=1 src1=1 src2=0
	v_pk_fma_f32 v[124:125], v[28:29] /*v[284:285]*/, v[24:25] /*v[280:281]*/, v[120:121] op_sel_hi:[1,0,1]
	s_set_vgpr_msb 0                        ;  msbs: dst=0 src0=0 src1=0 src2=0
	v_pk_add_f32 v[118:119], v[118:119], v[126:127]
	s_set_vgpr_msb 5                        ;  msbs: dst=0 src0=1 src1=1 src2=0
	v_pk_fma_f32 v[120:121], v[28:29] /*v[284:285]*/, v[24:25] /*v[280:281]*/, v[120:121] neg_lo:[0,0,1] neg_hi:[0,0,1]
	s_set_vgpr_msb 0                        ;  msbs: dst=0 src0=0 src1=0 src2=0
	v_mov_b32_e32 v121, v125
	v_pk_add_f32 v[118:119], v[118:119], v[122:123]
	s_delay_alu instid0(VALU_DEP_1) | instskip(SKIP_2) | instid1(VALU_DEP_1)
	v_pk_add_f32 v[118:119], v[118:119], v[120:121]
	s_wait_loadcnt 0x0
	s_set_vgpr_msb 1                        ;  msbs: dst=0 src0=1 src1=0 src2=0
	v_pk_add_f32 v[118:119], v[78:79] /*v[334:335]*/, v[118:119] neg_lo:[0,1] neg_hi:[0,1]
	scratch_store_b64 off, v[118:119], off offset:24
	s_wait_xcnt 0x0
	v_cmpx_lt_u32_e32 2, v0
	s_set_vgpr_msb 0                        ;  msbs: dst=0 src0=0 src1=0 src2=0
	s_cbranch_execz .LBB121_357
; %bb.356:
	scratch_load_b64 v[118:119], off, off offset:16
	v_mov_b64_e32 v[120:121], 0
	scratch_store_b64 off, v[120:121], off offset:16
	s_wait_loadcnt 0x0
	ds_store_b64 v1, v[118:119]
.LBB121_357:
	s_wait_xcnt 0x0
	s_or_b32 exec_lo, exec_lo, s0
	s_wait_storecnt_dscnt 0x0
	s_barrier_signal -1
	s_barrier_wait -1
	s_clause 0xf
	scratch_load_b128 v[122:125], off, off offset:24
	scratch_load_b128 v[130:133], off, off offset:40
	;; [unrolled: 1-line block ×16, first 2 shown]
	v_mov_b32_e32 v97, 0
	s_clause 0x4
	scratch_load_b128 v[250:253], off, off offset:280
	s_set_vgpr_msb 64                       ;  msbs: dst=1 src0=0 src1=0 src2=0
	scratch_load_b128 v[2:5] /*v[258:261]*/, off, off offset:296
	scratch_load_b128 v[10:13] /*v[266:269]*/, off, off offset:312
	;; [unrolled: 1-line block ×3, first 2 shown]
	s_set_vgpr_msb 0                        ;  msbs: dst=0 src0=0 src1=0 src2=0
	ds_load_2addr_b64 v[118:121], v97 offset0:61 offset1:62
	ds_load_2addr_b64 v[126:129], v97 offset0:63 offset1:64
	s_set_vgpr_msb 64                       ;  msbs: dst=1 src0=0 src1=0 src2=0
	s_clause 0x3
	scratch_load_b128 v[26:29] /*v[282:285]*/, off, off offset:344
	scratch_load_b128 v[34:37] /*v[290:293]*/, off, off offset:360
	;; [unrolled: 1-line block ×4, first 2 shown]
	s_mov_b32 s0, exec_lo
	s_wait_loadcnt_dscnt 0x1701
	s_set_vgpr_msb 0                        ;  msbs: dst=0 src0=0 src1=0 src2=0
	v_dual_mul_f32 v7, v118, v123 :: v_dual_mul_f32 v9, v120, v125
	ds_load_2addr_b64 v[134:137], v97 offset0:65 offset1:66
	ds_load_2addr_b64 v[142:145], v97 offset0:67 offset1:68
	;; [unrolled: 1-line block ×4, first 2 shown]
	v_dual_fmac_f32 v7, v119, v122 :: v_dual_fmac_f32 v9, v121, v124
	ds_load_2addr_b64 v[166:169], v97 offset0:73 offset1:74
	ds_load_2addr_b64 v[174:177], v97 offset0:75 offset1:76
	;; [unrolled: 1-line block ×4, first 2 shown]
	v_add_f32_e32 v7, 0, v7
	ds_load_2addr_b64 v[198:201], v97 offset0:81 offset1:82
	ds_load_2addr_b64 v[206:209], v97 offset0:83 offset1:84
	;; [unrolled: 1-line block ×4, first 2 shown]
	s_wait_loadcnt_dscnt 0x160c
	v_dual_add_f32 v7, v7, v9 :: v_dual_mul_f32 v9, v126, v131
	ds_load_2addr_b64 v[230:233], v97 offset0:89 offset1:90
	ds_load_2addr_b64 v[238:241], v97 offset0:91 offset1:92
	;; [unrolled: 1-line block ×4, first 2 shown]
	v_fmac_f32_e32 v9, v127, v130
	s_set_vgpr_msb 64                       ;  msbs: dst=1 src0=0 src1=0 src2=0
	ds_load_2addr_b64 v[6:9] /*v[262:265]*/, v97 offset0:97 offset1:98
	ds_load_2addr_b64 v[14:17] /*v[270:273]*/, v97 offset0:99 offset1:100
	;; [unrolled: 1-line block ×4, first 2 shown]
	s_set_vgpr_msb 0                        ;  msbs: dst=0 src0=0 src1=0 src2=0
	v_add_f32_e32 v7, v7, v9
	v_mul_f32_e32 v9, v128, v133
	s_set_vgpr_msb 64                       ;  msbs: dst=1 src0=0 src1=0 src2=0
	ds_load_2addr_b64 v[22:25] /*v[278:281]*/, v97 offset0:101 offset1:102
	ds_load_2addr_b64 v[30:33] /*v[286:289]*/, v97 offset0:103 offset1:104
	s_clause 0x3
	scratch_load_b128 v[54:57] /*v[310:313]*/, off, off offset:408
	scratch_load_b128 v[58:61] /*v[314:317]*/, off, off offset:424
	;; [unrolled: 1-line block ×3, first 2 shown]
	scratch_load_b64 v[72:73] /*v[328:329]*/, off, off offset:456
	s_set_vgpr_msb 0                        ;  msbs: dst=0 src0=0 src1=0 src2=0
	v_fmac_f32_e32 v9, v129, v132
	s_wait_loadcnt_dscnt 0x1915
	s_delay_alu instid0(VALU_DEP_1) | instskip(NEXT) | instid1(VALU_DEP_1)
	v_dual_add_f32 v7, v7, v9 :: v_dual_mul_f32 v9, v134, v139
	v_fmac_f32_e32 v9, v135, v138
	s_wait_loadcnt_dscnt 0x402
	s_set_vgpr_msb 0x45                     ;  msbs: dst=1 src0=1 src1=1 src2=0
	v_dual_mul_f32 v69 /*v325*/, v40 /*v296*/, v45 /*v301*/ :: v_dual_mul_f32 v71 /*v327*/, v46 /*v302*/, v51 /*v307*/
	s_set_vgpr_msb 0                        ;  msbs: dst=0 src0=0 src1=0 src2=0
	v_add_f32_e32 v7, v7, v9
	v_mul_f32_e32 v9, v136, v141
	s_set_vgpr_msb 0x45                     ;  msbs: dst=1 src0=1 src1=1 src2=0
	v_dual_fmac_f32 v69 /*v325*/, v41 /*v297*/, v44 /*v300*/ :: v_dual_fmac_f32 v71 /*v327*/, v47 /*v303*/, v50 /*v306*/
	s_set_vgpr_msb 0                        ;  msbs: dst=0 src0=0 src1=0 src2=0
	s_delay_alu instid0(VALU_DEP_2) | instskip(NEXT) | instid1(VALU_DEP_1)
	v_fmac_f32_e32 v9, v137, v140
	v_dual_add_f32 v7, v7, v9 :: v_dual_mul_f32 v9, v142, v147
	s_delay_alu instid0(VALU_DEP_1) | instskip(NEXT) | instid1(VALU_DEP_1)
	v_fmac_f32_e32 v9, v143, v146
	v_add_f32_e32 v7, v7, v9
	v_mul_f32_e32 v9, v144, v149
	s_delay_alu instid0(VALU_DEP_1) | instskip(NEXT) | instid1(VALU_DEP_1)
	v_fmac_f32_e32 v9, v145, v148
	v_dual_add_f32 v7, v7, v9 :: v_dual_mul_f32 v9, v150, v155
	s_delay_alu instid0(VALU_DEP_1) | instskip(NEXT) | instid1(VALU_DEP_1)
	v_fmac_f32_e32 v9, v151, v154
	v_add_f32_e32 v7, v7, v9
	v_mul_f32_e32 v9, v152, v157
	s_delay_alu instid0(VALU_DEP_1) | instskip(NEXT) | instid1(VALU_DEP_1)
	;; [unrolled: 7-line block ×14, first 2 shown]
	v_fmac_f32_e32 v9, v249, v252
	v_add_f32_e32 v7, v7, v9
	s_set_vgpr_msb 4                        ;  msbs: dst=0 src0=0 src1=1 src2=0
	v_mul_f32_e32 v9, v254, v3 /*v259*/
	s_delay_alu instid0(VALU_DEP_1) | instskip(SKIP_1) | instid1(VALU_DEP_1)
	v_fmac_f32_e32 v9, v255, v2 /*v258*/
	s_set_vgpr_msb 0                        ;  msbs: dst=0 src0=0 src1=0 src2=0
	v_add_f32_e32 v7, v7, v9
	s_set_vgpr_msb 5                        ;  msbs: dst=0 src0=1 src1=1 src2=0
	v_mul_f32_e32 v9, v0 /*v256*/, v5 /*v261*/
	s_delay_alu instid0(VALU_DEP_1) | instskip(SKIP_1) | instid1(VALU_DEP_1)
	v_fmac_f32_e32 v9, v1 /*v257*/, v4 /*v260*/
	s_set_vgpr_msb 0                        ;  msbs: dst=0 src0=0 src1=0 src2=0
	v_add_f32_e32 v7, v7, v9
	s_set_vgpr_msb 5                        ;  msbs: dst=0 src0=1 src1=1 src2=0
	v_mul_f32_e32 v9, v6 /*v262*/, v11 /*v267*/
	s_delay_alu instid0(VALU_DEP_1) | instskip(SKIP_1) | instid1(VALU_DEP_1)
	v_fmac_f32_e32 v9, v7 /*v263*/, v10 /*v266*/
	;; [unrolled: 6-line block ×5, first 2 shown]
	s_set_vgpr_msb 0                        ;  msbs: dst=0 src0=0 src1=0 src2=0
	v_add_f32_e32 v7, v7, v9
	s_wait_dscnt 0x1
	s_set_vgpr_msb 5                        ;  msbs: dst=0 src0=1 src1=1 src2=0
	v_mul_f32_e32 v9, v22 /*v278*/, v27 /*v283*/
	s_delay_alu instid0(VALU_DEP_1) | instskip(SKIP_1) | instid1(VALU_DEP_1)
	v_fmac_f32_e32 v9, v23 /*v279*/, v26 /*v282*/
	s_set_vgpr_msb 0                        ;  msbs: dst=0 src0=0 src1=0 src2=0
	v_add_f32_e32 v7, v7, v9
	s_set_vgpr_msb 5                        ;  msbs: dst=0 src0=1 src1=1 src2=0
	v_mul_f32_e32 v9, v24 /*v280*/, v29 /*v285*/
	s_delay_alu instid0(VALU_DEP_1) | instskip(SKIP_1) | instid1(VALU_DEP_1)
	v_fmac_f32_e32 v9, v25 /*v281*/, v28 /*v284*/
	s_set_vgpr_msb 0                        ;  msbs: dst=0 src0=0 src1=0 src2=0
	v_add_f32_e32 v7, v7, v9
	s_wait_dscnt 0x0
	s_set_vgpr_msb 5                        ;  msbs: dst=0 src0=1 src1=1 src2=0
	v_mul_f32_e32 v9, v30 /*v286*/, v35 /*v291*/
	s_delay_alu instid0(VALU_DEP_1) | instskip(SKIP_1) | instid1(VALU_DEP_1)
	v_fmac_f32_e32 v9, v31 /*v287*/, v34 /*v290*/
	s_set_vgpr_msb 0                        ;  msbs: dst=0 src0=0 src1=0 src2=0
	v_add_f32_e32 v7, v7, v9
	s_set_vgpr_msb 5                        ;  msbs: dst=0 src0=1 src1=1 src2=0
	v_mul_f32_e32 v9, v32 /*v288*/, v37 /*v293*/
	s_delay_alu instid0(VALU_DEP_1) | instskip(SKIP_1) | instid1(VALU_DEP_1)
	v_fmac_f32_e32 v9, v33 /*v289*/, v36 /*v292*/
	s_set_vgpr_msb 0                        ;  msbs: dst=0 src0=0 src1=0 src2=0
	v_add_f32_e32 v7, v7, v9
	s_set_vgpr_msb 5                        ;  msbs: dst=0 src0=1 src1=1 src2=0
	v_mul_f32_e32 v9, v38 /*v294*/, v43 /*v299*/
	s_delay_alu instid0(VALU_DEP_1) | instskip(SKIP_1) | instid1(VALU_DEP_1)
	v_fmac_f32_e32 v9, v39 /*v295*/, v42 /*v298*/
	s_set_vgpr_msb 64                       ;  msbs: dst=1 src0=0 src1=0 src2=0
	v_add_f32_e32 v67 /*v323*/, v7, v9
	s_set_vgpr_msb 0                        ;  msbs: dst=0 src0=0 src1=0 src2=0
	v_dual_mul_f32 v7, v119, v123 :: v_dual_mul_f32 v9, v121, v125
	s_delay_alu instid0(VALU_DEP_1) | instskip(NEXT) | instid1(VALU_DEP_1)
	v_dual_fma_f32 v7, v118, v122, -v7 :: v_dual_fma_f32 v9, v120, v124, -v9
	v_add_f32_e32 v7, 0, v7
	s_delay_alu instid0(VALU_DEP_1) | instskip(SKIP_1) | instid1(VALU_DEP_1)
	v_add_f32_e32 v7, v7, v9
	v_mul_f32_e32 v9, v127, v131
	v_fma_f32 v9, v126, v130, -v9
	s_delay_alu instid0(VALU_DEP_1) | instskip(SKIP_1) | instid1(VALU_DEP_1)
	v_add_f32_e32 v7, v7, v9
	v_mul_f32_e32 v9, v129, v133
	v_fma_f32 v9, v128, v132, -v9
	ds_load_2addr_b64 v[118:121], v97 offset0:109 offset1:110
	ds_load_2addr_b64 v[122:125], v97 offset0:111 offset1:112
	;; [unrolled: 1-line block ×3, first 2 shown]
	ds_load_b64 v[130:131], v97 offset:920
	v_add_f32_e32 v7, v7, v9
	v_mul_f32_e32 v9, v135, v139
	s_set_vgpr_msb 1                        ;  msbs: dst=0 src0=1 src1=0 src2=0
	v_mov_b32_e32 v135, v48 /*v304*/
	s_set_vgpr_msb 0                        ;  msbs: dst=0 src0=0 src1=0 src2=0
	s_delay_alu instid0(VALU_DEP_2) | instskip(SKIP_3) | instid1(VALU_DEP_2)
	v_fma_f32 v9, v134, v138, -v9
	s_set_vgpr_msb 1                        ;  msbs: dst=0 src0=1 src1=0 src2=0
	v_mov_b32_e32 v134, v49 /*v305*/
	s_set_vgpr_msb 0                        ;  msbs: dst=0 src0=0 src1=0 src2=0
	v_add_f32_e32 v7, v7, v9
	v_mul_f32_e32 v9, v137, v141
	s_delay_alu instid0(VALU_DEP_1) | instskip(SKIP_3) | instid1(VALU_DEP_2)
	v_fma_f32 v9, v136, v140, -v9
	s_set_vgpr_msb 1                        ;  msbs: dst=0 src0=1 src1=0 src2=0
	v_mov_b32_e32 v136, v53 /*v309*/
	s_set_vgpr_msb 0                        ;  msbs: dst=0 src0=0 src1=0 src2=0
	v_add_f32_e32 v7, v7, v9
	v_mul_f32_e32 v9, v143, v147
	s_delay_alu instid0(VALU_DEP_3) | instskip(NEXT) | instid1(VALU_DEP_2)
	v_pk_mul_f32 v[134:135], v[134:135], v[136:137] op_sel_hi:[1,0]
	v_fma_f32 v9, v142, v146, -v9
	s_set_vgpr_msb 5                        ;  msbs: dst=0 src0=1 src1=1 src2=0
	s_delay_alu instid0(VALU_DEP_2) | instskip(SKIP_3) | instid1(VALU_DEP_2)
	v_pk_fma_f32 v[136:137], v[48:49] /*v[304:305]*/, v[52:53] /*v[308:309]*/, v[134:135] neg_lo:[0,0,1] neg_hi:[0,0,1]
	v_pk_fma_f32 v[134:135], v[48:49] /*v[304:305]*/, v[52:53] /*v[308:309]*/, v[134:135] op_sel_hi:[1,0,1]
	s_set_vgpr_msb 0                        ;  msbs: dst=0 src0=0 src1=0 src2=0
	v_add_f32_e32 v7, v7, v9
	v_dual_mul_f32 v9, v145, v149 :: v_dual_mov_b32 v137, v135
	s_wait_loadcnt_dscnt 0x303
	s_set_vgpr_msb 4                        ;  msbs: dst=0 src0=0 src1=1 src2=0
	v_pk_mul_f32 v[134:135], v[118:119], v[54:55] /*v[310:311]*/ op_sel:[1,1] op_sel_hi:[0,1]
	s_set_vgpr_msb 0                        ;  msbs: dst=0 src0=0 src1=0 src2=0
	v_fma_f32 v9, v144, v148, -v9
	s_delay_alu instid0(VALU_DEP_1) | instskip(SKIP_1) | instid1(VALU_DEP_1)
	v_add_f32_e32 v7, v7, v9
	v_mul_f32_e32 v9, v151, v155
	v_fma_f32 v9, v150, v154, -v9
	s_delay_alu instid0(VALU_DEP_1) | instskip(SKIP_1) | instid1(VALU_DEP_1)
	v_add_f32_e32 v7, v7, v9
	v_mul_f32_e32 v9, v153, v157
	;; [unrolled: 4-line block ×26, first 2 shown]
	v_fma_f32 v9, v248, v252, -v9
	s_delay_alu instid0(VALU_DEP_1) | instskip(SKIP_2) | instid1(VALU_DEP_1)
	v_add_f32_e32 v7, v7, v9
	s_set_vgpr_msb 4                        ;  msbs: dst=0 src0=0 src1=1 src2=0
	v_mul_f32_e32 v9, v255, v3 /*v259*/
	v_fma_f32 v9, v254, v2 /*v258*/, -v9
	s_set_vgpr_msb 0                        ;  msbs: dst=0 src0=0 src1=0 src2=0
	s_delay_alu instid0(VALU_DEP_1) | instskip(SKIP_2) | instid1(VALU_DEP_1)
	v_add_f32_e32 v7, v7, v9
	s_set_vgpr_msb 5                        ;  msbs: dst=0 src0=1 src1=1 src2=0
	v_mul_f32_e32 v9, v1 /*v257*/, v5 /*v261*/
	v_fma_f32 v9, v0 /*v256*/, v4 /*v260*/, -v9
	s_set_vgpr_msb 0                        ;  msbs: dst=0 src0=0 src1=0 src2=0
	s_delay_alu instid0(VALU_DEP_1) | instskip(SKIP_2) | instid1(VALU_DEP_1)
	v_add_f32_e32 v7, v7, v9
	s_set_vgpr_msb 5                        ;  msbs: dst=0 src0=1 src1=1 src2=0
	v_mul_f32_e32 v9, v7 /*v263*/, v11 /*v267*/
	v_fma_f32 v9, v6 /*v262*/, v10 /*v266*/, -v9
	;; [unrolled: 6-line block ×10, first 2 shown]
	s_set_vgpr_msb 64                       ;  msbs: dst=1 src0=0 src1=0 src2=0
	s_delay_alu instid0(VALU_DEP_1) | instskip(SKIP_3) | instid1(VALU_DEP_1)
	v_add_f32_e32 v66 /*v322*/, v7, v9
	s_set_vgpr_msb 5                        ;  msbs: dst=0 src0=1 src1=1 src2=0
	v_mul_f32_e32 v7, v41 /*v297*/, v45 /*v301*/
	s_set_vgpr_msb 0x45                     ;  msbs: dst=1 src0=1 src1=1 src2=0
	v_fma_f32 v68 /*v324*/, v40 /*v296*/, v44 /*v300*/, -v7
	s_set_vgpr_msb 5                        ;  msbs: dst=0 src0=1 src1=1 src2=0
	v_mul_f32_e32 v7, v47 /*v303*/, v51 /*v307*/
	s_set_vgpr_msb 0x45                     ;  msbs: dst=1 src0=1 src1=1 src2=0
	s_delay_alu instid0(VALU_DEP_1) | instskip(SKIP_3) | instid1(VALU_DEP_1)
	v_fma_f32 v70 /*v326*/, v46 /*v302*/, v50 /*v306*/, -v7
	s_set_vgpr_msb 5                        ;  msbs: dst=0 src0=1 src1=1 src2=0
	v_pk_add_f32 v[132:133], v[66:67] /*v[322:323]*/, v[68:69] /*v[324:325]*/
	s_set_vgpr_msb 4                        ;  msbs: dst=0 src0=0 src1=1 src2=0
	v_pk_add_f32 v[132:133], v[132:133], v[70:71] /*v[326:327]*/
	s_set_vgpr_msb 0                        ;  msbs: dst=0 src0=0 src1=0 src2=0
	s_delay_alu instid0(VALU_DEP_1)
	v_pk_add_f32 v[132:133], v[132:133], v[136:137]
	s_set_vgpr_msb 4                        ;  msbs: dst=0 src0=0 src1=1 src2=0
	v_pk_fma_f32 v[136:137], v[118:119], v[54:55] /*v[310:311]*/, v[134:135] neg_lo:[0,0,1] neg_hi:[0,0,1]
	v_pk_fma_f32 v[118:119], v[118:119], v[54:55] /*v[310:311]*/, v[134:135] op_sel_hi:[1,0,1]
	s_set_vgpr_msb 1                        ;  msbs: dst=0 src0=1 src1=0 src2=0
	v_mov_b32_e32 v134, v57 /*v313*/
	s_set_vgpr_msb 0                        ;  msbs: dst=0 src0=0 src1=0 src2=0
	s_delay_alu instid0(VALU_DEP_2) | instskip(NEXT) | instid1(VALU_DEP_1)
	v_mov_b32_e32 v137, v119
	v_pk_add_f32 v[118:119], v[132:133], v[136:137]
	v_dual_mov_b32 v132, v121 :: v_dual_mov_b32 v133, v120
	s_delay_alu instid0(VALU_DEP_1) | instskip(SKIP_1) | instid1(VALU_DEP_1)
	v_pk_mul_f32 v[132:133], v[132:133], v[134:135] op_sel_hi:[1,0]
	s_set_vgpr_msb 4                        ;  msbs: dst=0 src0=0 src1=1 src2=0
	v_pk_fma_f32 v[134:135], v[120:121], v[56:57] /*v[312:313]*/, v[132:133] neg_lo:[0,0,1] neg_hi:[0,0,1]
	v_pk_fma_f32 v[120:121], v[120:121], v[56:57] /*v[312:313]*/, v[132:133] op_sel_hi:[1,0,1]
	s_delay_alu instid0(VALU_DEP_1) | instskip(SKIP_3) | instid1(VALU_DEP_2)
	v_mov_b32_e32 v135, v121
	s_wait_loadcnt_dscnt 0x202
	v_pk_mul_f32 v[120:121], v[122:123], v[58:59] /*v[314:315]*/ op_sel:[1,1] op_sel_hi:[0,1]
	s_set_vgpr_msb 0                        ;  msbs: dst=0 src0=0 src1=0 src2=0
	v_pk_add_f32 v[118:119], v[118:119], v[134:135]
	s_set_vgpr_msb 4                        ;  msbs: dst=0 src0=0 src1=1 src2=0
	s_delay_alu instid0(VALU_DEP_2)
	v_pk_fma_f32 v[132:133], v[122:123], v[58:59] /*v[314:315]*/, v[120:121] neg_lo:[0,0,1] neg_hi:[0,0,1]
	v_pk_fma_f32 v[120:121], v[122:123], v[58:59] /*v[314:315]*/, v[120:121] op_sel_hi:[1,0,1]
	v_mov_b32_e32 v120, v125
	s_set_vgpr_msb 1                        ;  msbs: dst=0 src0=1 src1=0 src2=0
	v_mov_b32_e32 v122, v61 /*v317*/
	s_set_vgpr_msb 0                        ;  msbs: dst=0 src0=0 src1=0 src2=0
	v_dual_mov_b32 v133, v121 :: v_dual_mov_b32 v121, v124
	s_delay_alu instid0(VALU_DEP_1) | instskip(NEXT) | instid1(VALU_DEP_2)
	v_pk_add_f32 v[118:119], v[118:119], v[132:133]
	v_pk_mul_f32 v[120:121], v[120:121], v[122:123] op_sel_hi:[1,0]
	s_set_vgpr_msb 4                        ;  msbs: dst=0 src0=0 src1=1 src2=0
	s_delay_alu instid0(VALU_DEP_1) | instskip(SKIP_1) | instid1(VALU_DEP_1)
	v_pk_fma_f32 v[122:123], v[124:125], v[60:61] /*v[316:317]*/, v[120:121] neg_lo:[0,0,1] neg_hi:[0,0,1]
	v_pk_fma_f32 v[120:121], v[124:125], v[60:61] /*v[316:317]*/, v[120:121] op_sel_hi:[1,0,1]
	v_mov_b32_e32 v123, v121
	s_wait_loadcnt_dscnt 0x101
	v_pk_mul_f32 v[120:121], v[126:127], v[62:63] /*v[318:319]*/ op_sel:[1,1] op_sel_hi:[0,1]
	s_set_vgpr_msb 0                        ;  msbs: dst=0 src0=0 src1=0 src2=0
	s_delay_alu instid0(VALU_DEP_2) | instskip(SKIP_1) | instid1(VALU_DEP_2)
	v_pk_add_f32 v[118:119], v[118:119], v[122:123]
	s_set_vgpr_msb 4                        ;  msbs: dst=0 src0=0 src1=1 src2=0
	v_pk_fma_f32 v[122:123], v[126:127], v[62:63] /*v[318:319]*/, v[120:121] neg_lo:[0,0,1] neg_hi:[0,0,1]
	v_pk_fma_f32 v[120:121], v[126:127], v[62:63] /*v[318:319]*/, v[120:121] op_sel_hi:[1,0,1]
	s_delay_alu instid0(VALU_DEP_1) | instskip(SKIP_2) | instid1(VALU_DEP_2)
	v_dual_mov_b32 v120, v129 :: v_dual_mov_b32 v123, v121
	v_mov_b32_e32 v121, v128
	s_set_vgpr_msb 0                        ;  msbs: dst=0 src0=0 src1=0 src2=0
	v_pk_add_f32 v[118:119], v[118:119], v[122:123]
	s_set_vgpr_msb 1                        ;  msbs: dst=0 src0=1 src1=0 src2=0
	v_mov_b32_e32 v122, v65 /*v321*/
	s_set_vgpr_msb 0                        ;  msbs: dst=0 src0=0 src1=0 src2=0
	s_delay_alu instid0(VALU_DEP_1) | instskip(SKIP_1) | instid1(VALU_DEP_1)
	v_pk_mul_f32 v[120:121], v[120:121], v[122:123] op_sel_hi:[1,0]
	s_set_vgpr_msb 4                        ;  msbs: dst=0 src0=0 src1=1 src2=0
	v_pk_fma_f32 v[122:123], v[128:129], v[64:65] /*v[320:321]*/, v[120:121] neg_lo:[0,0,1] neg_hi:[0,0,1]
	v_pk_fma_f32 v[120:121], v[128:129], v[64:65] /*v[320:321]*/, v[120:121] op_sel_hi:[1,0,1]
	s_delay_alu instid0(VALU_DEP_1) | instskip(SKIP_3) | instid1(VALU_DEP_2)
	v_mov_b32_e32 v123, v121
	s_wait_loadcnt_dscnt 0x0
	v_pk_mul_f32 v[120:121], v[130:131], v[72:73] /*v[328:329]*/ op_sel:[1,1] op_sel_hi:[0,1]
	s_set_vgpr_msb 0                        ;  msbs: dst=0 src0=0 src1=0 src2=0
	v_pk_add_f32 v[118:119], v[118:119], v[122:123]
	s_set_vgpr_msb 4                        ;  msbs: dst=0 src0=0 src1=1 src2=0
	s_delay_alu instid0(VALU_DEP_2) | instskip(SKIP_1) | instid1(VALU_DEP_1)
	v_pk_fma_f32 v[122:123], v[130:131], v[72:73] /*v[328:329]*/, v[120:121] neg_lo:[0,0,1] neg_hi:[0,0,1]
	v_pk_fma_f32 v[120:121], v[130:131], v[72:73] /*v[328:329]*/, v[120:121] op_sel_hi:[1,0,1]
	v_mov_b32_e32 v123, v121
	scratch_load_b64 v[120:121], off, off offset:16
	s_set_vgpr_msb 0                        ;  msbs: dst=0 src0=0 src1=0 src2=0
	v_pk_add_f32 v[118:119], v[118:119], v[122:123]
	s_wait_loadcnt 0x0
	s_delay_alu instid0(VALU_DEP_1)
	v_pk_add_f32 v[118:119], v[120:121], v[118:119] neg_lo:[0,1] neg_hi:[0,1]
	scratch_store_b64 off, v[118:119], off offset:16
	s_wait_xcnt 0x0
	v_cmpx_lt_u32_e32 1, v0
	s_cbranch_execz .LBB121_359
; %bb.358:
	scratch_load_b64 v[118:119], off, off offset:8
	v_mov_b64_e32 v[120:121], 0
	scratch_store_b64 off, v[120:121], off offset:8
	s_wait_loadcnt 0x0
	ds_store_b64 v1, v[118:119]
.LBB121_359:
	s_wait_xcnt 0x0
	s_or_b32 exec_lo, exec_lo, s0
	s_wait_storecnt_dscnt 0x0
	s_barrier_signal -1
	s_barrier_wait -1
	s_clause 0x19
	scratch_load_b128 v[118:121], off, off offset:16
	scratch_load_b128 v[122:125], off, off offset:32
	scratch_load_b128 v[126:129], off, off offset:48
	scratch_load_b128 v[130:133], off, off offset:64
	scratch_load_b128 v[134:137], off, off offset:80
	scratch_load_b128 v[138:141], off, off offset:96
	scratch_load_b128 v[142:145], off, off offset:112
	scratch_load_b128 v[146:149], off, off offset:128
	scratch_load_b128 v[150:153], off, off offset:144
	scratch_load_b128 v[154:157], off, off offset:160
	scratch_load_b128 v[158:161], off, off offset:176
	scratch_load_b128 v[162:165], off, off offset:192
	scratch_load_b128 v[166:169], off, off offset:208
	scratch_load_b128 v[170:173], off, off offset:224
	scratch_load_b128 v[174:177], off, off offset:240
	scratch_load_b128 v[178:181], off, off offset:256
	scratch_load_b128 v[182:185], off, off offset:272
	scratch_load_b128 v[186:189], off, off offset:288
	scratch_load_b128 v[190:193], off, off offset:304
	scratch_load_b128 v[194:197], off, off offset:320
	scratch_load_b128 v[198:201], off, off offset:336
	scratch_load_b128 v[202:205], off, off offset:352
	scratch_load_b128 v[206:209], off, off offset:368
	scratch_load_b128 v[210:213], off, off offset:384
	scratch_load_b128 v[214:217], off, off offset:400
	scratch_load_b128 v[218:221], off, off offset:416
	ds_load_b128 v[222:225], v97 offset:480
	ds_load_b128 v[226:229], v97 offset:496
	;; [unrolled: 1-line block ×9, first 2 shown]
	s_set_vgpr_msb 64                       ;  msbs: dst=1 src0=0 src1=0 src2=0
	ds_load_b128 v[2:5] /*v[258:261]*/, v97 offset:624
	scratch_load_b128 v[6:9] /*v[262:265]*/, off, off offset:432
	ds_load_b128 v[10:13] /*v[266:269]*/, v97 offset:640
	ds_load_b128 v[14:17] /*v[270:273]*/, v97 offset:656
	;; [unrolled: 1-line block ×12, first 2 shown]
	scratch_load_b128 v[58:61] /*v[314:317]*/, off, off offset:448
	s_set_vgpr_msb 0                        ;  msbs: dst=0 src0=0 src1=0 src2=0
	v_ashrrev_i32_e32 v95, 31, v94
	s_set_vgpr_msb 64                       ;  msbs: dst=1 src0=0 src1=0 src2=0
	ds_load_b128 v[62:65] /*v[318:321]*/, v97 offset:864
	ds_load_b128 v[66:69] /*v[322:325]*/, v97 offset:880
	scratch_load_b64 v[70:71] /*v[326:327]*/, off, off offset:8
	s_set_vgpr_msb 0                        ;  msbs: dst=0 src0=0 src1=0 src2=0
	v_dual_ashrrev_i32 v7, 31, v6 :: v_dual_ashrrev_i32 v9, 31, v8
	v_dual_ashrrev_i32 v11, 31, v10 :: v_dual_ashrrev_i32 v13, 31, v12
	;; [unrolled: 1-line block ×22, first 2 shown]
	s_mov_b32 s0, exec_lo
	s_wait_loadcnt_dscnt 0x1c17
	v_dual_mul_f32 v99, v222, v119 :: v_dual_mul_f32 v101, v224, v121
	s_wait_loadcnt_dscnt 0x1b16
	v_dual_mul_f32 v103, v226, v123 :: v_dual_mul_f32 v105, v228, v125
	v_dual_mul_f32 v107, v223, v119 :: v_dual_mul_f32 v109, v225, v121
	v_dual_mul_f32 v111, v227, v123 :: v_dual_mul_f32 v113, v229, v125
	v_dual_fmac_f32 v99, v223, v118 :: v_dual_fmac_f32 v101, v225, v120
	s_delay_alu instid0(VALU_DEP_3)
	v_dual_fma_f32 v107, v222, v118, -v107 :: v_dual_fma_f32 v109, v224, v120, -v109
	v_fmac_f32_e32 v103, v227, v122
	ds_load_b128 v[118:121], v97 offset:896
	ds_load_b128 v[222:225], v97 offset:912
	v_dual_fmac_f32 v105, v229, v124 :: v_dual_fma_f32 v111, v226, v122, -v111
	s_wait_loadcnt_dscnt 0x1a17
	v_dual_fma_f32 v113, v228, v124, -v113 :: v_dual_mul_f32 v115, v230, v127
	s_wait_loadcnt_dscnt 0x1916
	v_dual_mul_f32 v117, v232, v129 :: v_dual_mul_f32 v226, v234, v131
	v_dual_mul_f32 v227, v236, v133 :: v_dual_mul_f32 v122, v231, v127
	;; [unrolled: 1-line block ×3, first 2 shown]
	v_dual_mul_f32 v133, v237, v133 :: v_dual_fmac_f32 v115, v231, v126
	s_delay_alu instid0(VALU_DEP_3) | instskip(NEXT) | instid1(VALU_DEP_3)
	v_dual_fmac_f32 v117, v233, v128 :: v_dual_fma_f32 v228, v230, v126, -v122
	v_dual_fma_f32 v229, v232, v128, -v123 :: v_dual_fmac_f32 v226, v235, v130
	ds_load_b128 v[122:125], v97 offset:832
	ds_load_b128 v[126:129], v97 offset:848
	s_wait_loadcnt_dscnt 0x1817
	v_dual_fma_f32 v97, v234, v130, -v131 :: v_dual_mul_f32 v232, v240, v137
	v_dual_mul_f32 v231, v238, v135 :: v_dual_mul_f32 v135, v239, v135
	v_mul_f32_e32 v137, v241, v137
	v_dual_fmac_f32 v227, v237, v132 :: v_dual_fma_f32 v230, v236, v132, -v133
	s_delay_alu instid0(VALU_DEP_3) | instskip(NEXT) | instid1(VALU_DEP_3)
	v_dual_fmac_f32 v231, v239, v134 :: v_dual_fmac_f32 v232, v241, v136
	v_dual_fma_f32 v233, v238, v134, -v135 :: v_dual_fma_f32 v234, v240, v136, -v137
	s_wait_dscnt 0x2
	v_dual_mov_b32 v134, v121 :: v_dual_mov_b32 v137, v224
	s_wait_loadcnt 0x17
	v_dual_mul_f32 v235, v242, v139 :: v_dual_mul_f32 v236, v244, v141
	v_dual_mul_f32 v139, v243, v139 :: v_dual_mul_f32 v141, v245, v141
	s_wait_loadcnt 0x16
	v_mul_f32_e32 v237, v246, v143
	s_wait_loadcnt 0x14
	s_set_vgpr_msb 1                        ;  msbs: dst=0 src0=1 src1=0 src2=0
	v_dual_mul_f32 v241, v0 /*v256*/, v153 :: v_dual_add_f32 v107, 0, v107
	s_set_vgpr_msb 0                        ;  msbs: dst=0 src0=0 src1=0 src2=0
	v_dual_fmac_f32 v235, v243, v138 :: v_dual_fmac_f32 v236, v245, v140
	v_dual_fma_f32 v138, v242, v138, -v139 :: v_dual_fma_f32 v139, v244, v140, -v141
	v_dual_mul_f32 v140, v248, v145 :: v_dual_mul_f32 v238, v250, v147
	v_add_f32_e32 v107, v107, v109
	v_dual_mul_f32 v141, v247, v143 :: v_dual_fmac_f32 v237, v247, v142
	s_delay_alu instid0(VALU_DEP_3) | instskip(SKIP_1) | instid1(VALU_DEP_3)
	v_dual_fmac_f32 v140, v249, v144 :: v_dual_mul_f32 v239, v252, v149
	v_add_f32_e32 v99, 0, v99
	v_dual_add_f32 v107, v107, v111 :: v_dual_fma_f32 v141, v246, v142, -v141
	v_dual_mul_f32 v240, v254, v151 :: v_dual_mul_f32 v111, v249, v145
	s_delay_alu instid0(VALU_DEP_3) | instskip(NEXT) | instid1(VALU_DEP_3)
	v_add_f32_e32 v99, v99, v101
	v_dual_add_f32 v107, v107, v113 :: v_dual_fmac_f32 v239, v253, v148
	s_wait_loadcnt_dscnt 0x601
	v_mul_f32_e32 v247, v124, v209
	s_delay_alu instid0(VALU_DEP_3) | instskip(NEXT) | instid1(VALU_DEP_3)
	v_dual_fma_f32 v111, v248, v144, -v111 :: v_dual_add_f32 v99, v99, v103
	v_add_f32_e32 v107, v107, v228
	v_fmac_f32_e32 v238, v251, v146
	s_set_vgpr_msb 1                        ;  msbs: dst=0 src0=1 src1=0 src2=0
	v_dual_mul_f32 v242, v2 /*v258*/, v155 :: v_dual_mul_f32 v101, v4 /*v260*/, v157
	s_set_vgpr_msb 0                        ;  msbs: dst=0 src0=0 src1=0 src2=0
	v_add_f32_e32 v99, v99, v105
	v_add_f32_e32 v107, v107, v229
	s_set_vgpr_msb 1                        ;  msbs: dst=0 src0=1 src1=0 src2=0
	v_dual_mul_f32 v243, v10 /*v266*/, v159 :: v_dual_mul_f32 v109, v12 /*v268*/, v161
	v_dual_mul_f32 v103, v14 /*v270*/, v163 :: v_dual_mul_f32 v105, v16 /*v272*/, v165
	s_set_vgpr_msb 0                        ;  msbs: dst=0 src0=0 src1=0 src2=0
	v_add_f32_e32 v97, v107, v97
	s_set_vgpr_msb 1                        ;  msbs: dst=0 src0=1 src1=0 src2=0
	v_dual_mul_f32 v142, v18 /*v274*/, v167 :: v_dual_mul_f32 v113, v20 /*v276*/, v169
	v_dual_mul_f32 v143, v24 /*v280*/, v173 :: v_dual_mul_f32 v144, v26 /*v282*/, v175
	s_set_vgpr_msb 0                        ;  msbs: dst=0 src0=0 src1=0 src2=0
	v_dual_add_f32 v97, v97, v230 :: v_dual_add_f32 v99, v99, v115
	s_set_vgpr_msb 1                        ;  msbs: dst=0 src0=1 src1=0 src2=0
	v_mul_f32_e32 v115, v22 /*v278*/, v171
	v_dual_mul_f32 v145, v30 /*v286*/, v179 :: v_dual_mul_f32 v228, v32 /*v288*/, v181
	s_set_vgpr_msb 0                        ;  msbs: dst=0 src0=0 src1=0 src2=0
	v_add_f32_e32 v97, v97, v233
	v_add_f32_e32 v99, v99, v117
	s_set_vgpr_msb 1                        ;  msbs: dst=0 src0=1 src1=0 src2=0
	v_mul_f32_e32 v117, v28 /*v284*/, v177
	v_dual_mul_f32 v229, v36 /*v292*/, v185 :: v_dual_mul_f32 v107, v38 /*v294*/, v187
	s_set_vgpr_msb 0                        ;  msbs: dst=0 src0=0 src1=0 src2=0
	v_add_f32_e32 v97, v97, v234
	v_add_f32_e32 v99, v99, v226
	s_set_vgpr_msb 1                        ;  msbs: dst=0 src0=1 src1=0 src2=0
	v_mul_f32_e32 v226, v34 /*v290*/, v183
	v_dual_mul_f32 v244, v42 /*v298*/, v191 :: v_dual_mul_f32 v230, v44 /*v300*/, v193
	s_set_vgpr_msb 0                        ;  msbs: dst=0 src0=0 src1=0 src2=0
	v_dual_add_f32 v97, v97, v138 :: v_dual_add_f32 v99, v99, v227
	v_dual_mul_f32 v138, v251, v147 :: v_dual_mul_f32 v147, v253, v149
	s_set_vgpr_msb 1                        ;  msbs: dst=0 src0=1 src1=0 src2=0
	v_mul_f32_e32 v149, v11 /*v267*/, v159
	s_set_vgpr_msb 0                        ;  msbs: dst=0 src0=0 src1=0 src2=0
	v_add_f32_e32 v97, v97, v139
	v_dual_add_f32 v99, v99, v231 :: v_dual_fma_f32 v138, v250, v146, -v138
	s_wait_loadcnt_dscnt 0x500
	v_dual_fma_f32 v146, v252, v148, -v147 :: v_dual_mul_f32 v139, v126, v211
	s_delay_alu instid0(VALU_DEP_3) | instskip(NEXT) | instid1(VALU_DEP_3)
	v_dual_add_f32 v97, v97, v141 :: v_dual_mul_f32 v147, v255, v151
	v_add_f32_e32 v99, v99, v232
	v_fmac_f32_e32 v240, v255, v150
	s_set_vgpr_msb 1                        ;  msbs: dst=0 src0=1 src1=0 src2=0
	v_mul_f32_e32 v148, v1 /*v257*/, v153
	s_set_vgpr_msb 0                        ;  msbs: dst=0 src0=0 src1=0 src2=0
	v_dual_add_f32 v97, v97, v111 :: v_dual_fma_f32 v147, v254, v150, -v147
	v_add_f32_e32 v99, v99, v235
	s_set_vgpr_msb 1                        ;  msbs: dst=0 src0=1 src1=0 src2=0
	v_dual_mul_f32 v111, v3 /*v259*/, v155 :: v_dual_fmac_f32 v241, v1 /*v257*/, v152
	v_fma_f32 v148, v0 /*v256*/, v152, -v148
	s_set_vgpr_msb 0                        ;  msbs: dst=0 src0=0 src1=0 src2=0
	v_dual_add_f32 v97, v97, v138 :: v_dual_add_f32 v99, v99, v236
	s_set_vgpr_msb 1                        ;  msbs: dst=0 src0=1 src1=0 src2=0
	v_dual_fmac_f32 v242, v3 /*v259*/, v154 :: v_dual_fma_f32 v111, v2 /*v258*/, v154, -v111
	v_mul_f32_e32 v138, v13 /*v269*/, v161
	s_set_vgpr_msb 0                        ;  msbs: dst=0 src0=0 src1=0 src2=0
	v_dual_add_f32 v97, v97, v146 :: v_dual_add_f32 v99, v99, v237
	v_mul_f32_e32 v141, v128, v213
	s_set_vgpr_msb 1                        ;  msbs: dst=0 src0=1 src1=0 src2=0
	v_dual_fmac_f32 v243, v11 /*v267*/, v158 :: v_dual_fma_f32 v149, v10 /*v266*/, v158, -v149
	s_set_vgpr_msb 0                        ;  msbs: dst=0 src0=0 src1=0 src2=0
	v_dual_add_f32 v97, v97, v147 :: v_dual_add_f32 v99, v99, v140
	s_set_vgpr_msb 1                        ;  msbs: dst=0 src0=1 src1=0 src2=0
	v_mul_f32_e32 v140, v5 /*v261*/, v157
	v_mul_f32_e32 v147, v17 /*v273*/, v165
	v_fmac_f32_e32 v101, v5 /*v261*/, v156
	s_set_vgpr_msb 0                        ;  msbs: dst=0 src0=0 src1=0 src2=0
	v_dual_add_f32 v97, v97, v148 :: v_dual_add_f32 v99, v99, v238
	s_set_vgpr_msb 1                        ;  msbs: dst=0 src0=1 src1=0 src2=0
	v_dual_mul_f32 v148, v19 /*v275*/, v167 :: v_dual_fma_f32 v140, v4 /*v260*/, v156, -v140
	v_mul_f32_e32 v146, v15 /*v271*/, v163
	s_set_vgpr_msb 0                        ;  msbs: dst=0 src0=0 src1=0 src2=0
	v_add_f32_e32 v97, v97, v111
	v_add_f32_e32 v99, v99, v239
	s_set_vgpr_msb 1                        ;  msbs: dst=0 src0=1 src1=0 src2=0
	v_mul_f32_e32 v111, v21 /*v277*/, v169
	v_dual_fmac_f32 v109, v13 /*v269*/, v160 :: v_dual_fma_f32 v138, v12 /*v268*/, v160, -v138
	s_set_vgpr_msb 0                        ;  msbs: dst=0 src0=0 src1=0 src2=0
	v_add_f32_e32 v97, v97, v140
	v_add_f32_e32 v99, v99, v240
	s_set_vgpr_msb 1                        ;  msbs: dst=0 src0=1 src1=0 src2=0
	v_dual_mul_f32 v140, v25 /*v281*/, v173 :: v_dual_fmac_f32 v103, v15 /*v271*/, v162
	v_dual_fma_f32 v146, v14 /*v270*/, v162, -v146 :: v_dual_fmac_f32 v105, v17 /*v273*/, v164
	s_set_vgpr_msb 0                        ;  msbs: dst=0 src0=0 src1=0 src2=0
	v_add_f32_e32 v99, v99, v241
	s_set_vgpr_msb 1                        ;  msbs: dst=0 src0=1 src1=0 src2=0
	v_dual_fmac_f32 v142, v19 /*v275*/, v166 :: v_dual_fmac_f32 v113, v21 /*v277*/, v168
	v_fma_f32 v111, v20 /*v276*/, v168, -v111
	v_fmac_f32_e32 v115, v23 /*v279*/, v170
	s_set_vgpr_msb 0                        ;  msbs: dst=0 src0=0 src1=0 src2=0
	v_add_f32_e32 v99, v99, v242
	s_set_vgpr_msb 1                        ;  msbs: dst=0 src0=1 src1=0 src2=0
	v_dual_fmac_f32 v143, v25 /*v281*/, v172 :: v_dual_mul_f32 v227, v40 /*v296*/, v189
	v_dual_fmac_f32 v229, v37 /*v293*/, v184 :: v_dual_fmac_f32 v107, v39 /*v295*/, v186
	s_set_vgpr_msb 0                        ;  msbs: dst=0 src0=0 src1=0 src2=0
	v_add_f32_e32 v99, v99, v101
	s_set_vgpr_msb 1                        ;  msbs: dst=0 src0=1 src1=0 src2=0
	v_mul_f32_e32 v101, v23 /*v279*/, v171
	s_set_vgpr_msb 0                        ;  msbs: dst=0 src0=0 src1=0 src2=0
	v_add_f32_e32 v97, v97, v149
	s_set_vgpr_msb 1                        ;  msbs: dst=0 src0=1 src1=0 src2=0
	v_dual_fmac_f32 v144, v27 /*v283*/, v174 :: v_dual_mul_f32 v231, v46 /*v302*/, v195
	v_mul_f32_e32 v245, v48 /*v304*/, v197
	s_set_vgpr_msb 0                        ;  msbs: dst=0 src0=0 src1=0 src2=0
	v_dual_add_f32 v99, v99, v243 :: v_dual_add_f32 v97, v97, v138
	s_set_vgpr_msb 1                        ;  msbs: dst=0 src0=1 src1=0 src2=0
	v_dual_fma_f32 v138, v16 /*v272*/, v164, -v147 :: v_dual_fma_f32 v101, v22 /*v278*/, v170, -v101
	v_dual_mul_f32 v233, v50 /*v306*/, v199 :: v_dual_mul_f32 v232, v52 /*v308*/, v201
	s_set_vgpr_msb 0                        ;  msbs: dst=0 src0=0 src1=0 src2=0
	v_add_f32_e32 v99, v99, v109
	s_set_vgpr_msb 1                        ;  msbs: dst=0 src0=1 src1=0 src2=0
	v_mul_f32_e32 v109, v27 /*v283*/, v175
	s_set_vgpr_msb 0                        ;  msbs: dst=0 src0=0 src1=0 src2=0
	v_add_f32_e32 v97, v97, v146
	s_set_vgpr_msb 1                        ;  msbs: dst=0 src0=1 src1=0 src2=0
	v_fma_f32 v146, v18 /*v274*/, v166, -v148
	v_fmac_f32_e32 v145, v31 /*v287*/, v178
	s_set_vgpr_msb 0                        ;  msbs: dst=0 src0=0 src1=0 src2=0
	v_add_f32_e32 v99, v99, v103
	s_set_vgpr_msb 1                        ;  msbs: dst=0 src0=1 src1=0 src2=0
	v_mul_f32_e32 v103, v29 /*v285*/, v177
	s_set_vgpr_msb 0                        ;  msbs: dst=0 src0=0 src1=0 src2=0
	v_add_f32_e32 v97, v97, v138
	s_set_vgpr_msb 1                        ;  msbs: dst=0 src0=1 src1=0 src2=0
	v_dual_mul_f32 v138, v33 /*v289*/, v181 :: v_dual_fma_f32 v109, v26 /*v282*/, v174, -v109
	s_set_vgpr_msb 0                        ;  msbs: dst=0 src0=0 src1=0 src2=0
	v_add_f32_e32 v99, v99, v105
	s_set_vgpr_msb 1                        ;  msbs: dst=0 src0=1 src1=0 src2=0
	v_mul_f32_e32 v105, v31 /*v287*/, v179
	s_set_vgpr_msb 0                        ;  msbs: dst=0 src0=0 src1=0 src2=0
	v_add_f32_e32 v97, v97, v146
	s_set_vgpr_msb 1                        ;  msbs: dst=0 src0=1 src1=0 src2=0
	v_dual_fmac_f32 v117, v29 /*v285*/, v176 :: v_dual_fma_f32 v103, v28 /*v284*/, v176, -v103
	s_set_vgpr_msb 0                        ;  msbs: dst=0 src0=0 src1=0 src2=0
	v_add_f32_e32 v99, v99, v142
	s_set_vgpr_msb 1                        ;  msbs: dst=0 src0=1 src1=0 src2=0
	v_fma_f32 v105, v30 /*v286*/, v178, -v105
	s_set_vgpr_msb 0                        ;  msbs: dst=0 src0=0 src1=0 src2=0
	v_add_f32_e32 v97, v97, v111
	s_set_vgpr_msb 1                        ;  msbs: dst=0 src0=1 src1=0 src2=0
	v_dual_mul_f32 v111, v35 /*v291*/, v183 :: v_dual_fmac_f32 v228, v33 /*v289*/, v180
	s_set_vgpr_msb 0                        ;  msbs: dst=0 src0=0 src1=0 src2=0
	v_add_f32_e32 v99, v99, v113
	s_set_vgpr_msb 1                        ;  msbs: dst=0 src0=1 src1=0 src2=0
	v_fma_f32 v113, v24 /*v280*/, v172, -v140
	s_set_vgpr_msb 0                        ;  msbs: dst=0 src0=0 src1=0 src2=0
	v_add_f32_e32 v97, v97, v101
	s_set_vgpr_msb 1                        ;  msbs: dst=0 src0=1 src1=0 src2=0
	v_dual_mul_f32 v101, v37 /*v293*/, v185 :: v_dual_fmac_f32 v226, v35 /*v291*/, v182
	s_set_vgpr_msb 0                        ;  msbs: dst=0 src0=0 src1=0 src2=0
	v_add_f32_e32 v99, v99, v115
	s_set_vgpr_msb 1                        ;  msbs: dst=0 src0=1 src1=0 src2=0
	v_fma_f32 v115, v32 /*v288*/, v180, -v138
	s_set_vgpr_msb 0                        ;  msbs: dst=0 src0=0 src1=0 src2=0
	v_add_f32_e32 v97, v97, v113
	s_set_vgpr_msb 1                        ;  msbs: dst=0 src0=1 src1=0 src2=0
	v_dual_mul_f32 v113, v39 /*v295*/, v187 :: v_dual_fma_f32 v111, v34 /*v290*/, v182, -v111
	s_set_vgpr_msb 0                        ;  msbs: dst=0 src0=0 src1=0 src2=0
	v_add_f32_e32 v99, v99, v143
	s_set_vgpr_msb 1                        ;  msbs: dst=0 src0=1 src1=0 src2=0
	v_fma_f32 v101, v36 /*v292*/, v184, -v101
	s_set_vgpr_msb 0                        ;  msbs: dst=0 src0=0 src1=0 src2=0
	v_add_f32_e32 v97, v97, v109
	s_set_vgpr_msb 1                        ;  msbs: dst=0 src0=1 src1=0 src2=0
	v_dual_mul_f32 v109, v41 /*v297*/, v189 :: v_dual_fma_f32 v113, v38 /*v294*/, v186, -v113
	s_set_vgpr_msb 0                        ;  msbs: dst=0 src0=0 src1=0 src2=0
	v_add_f32_e32 v99, v99, v144
	s_set_vgpr_msb 1                        ;  msbs: dst=0 src0=1 src1=0 src2=0
	v_fmac_f32_e32 v227, v41 /*v297*/, v188
	s_set_vgpr_msb 0                        ;  msbs: dst=0 src0=0 src1=0 src2=0
	v_add_f32_e32 v97, v97, v103
	s_set_vgpr_msb 1                        ;  msbs: dst=0 src0=1 src1=0 src2=0
	v_dual_mul_f32 v103, v43 /*v299*/, v191 :: v_dual_fma_f32 v109, v40 /*v296*/, v188, -v109
	s_set_vgpr_msb 0                        ;  msbs: dst=0 src0=0 src1=0 src2=0
	v_add_f32_e32 v99, v99, v117
	s_set_vgpr_msb 1                        ;  msbs: dst=0 src0=1 src1=0 src2=0
	v_fmac_f32_e32 v244, v43 /*v299*/, v190
	;; [unrolled: 8-line block ×4, first 2 shown]
	s_set_vgpr_msb 0                        ;  msbs: dst=0 src0=0 src1=0 src2=0
	v_add_f32_e32 v97, v97, v111
	s_set_vgpr_msb 1                        ;  msbs: dst=0 src0=1 src1=0 src2=0
	v_dual_mul_f32 v111, v49 /*v305*/, v197 :: v_dual_fmac_f32 v245, v49 /*v305*/, v196
	s_set_vgpr_msb 0                        ;  msbs: dst=0 src0=0 src1=0 src2=0
	v_add_f32_e32 v99, v99, v226
	s_set_vgpr_msb 1                        ;  msbs: dst=0 src0=1 src1=0 src2=0
	v_fmac_f32_e32 v233, v51 /*v307*/, v198
	s_set_vgpr_msb 0                        ;  msbs: dst=0 src0=0 src1=0 src2=0
	v_add_f32_e32 v97, v97, v101
	s_set_vgpr_msb 1                        ;  msbs: dst=0 src0=1 src1=0 src2=0
	v_dual_mul_f32 v101, v51 /*v307*/, v199 :: v_dual_fma_f32 v111, v48 /*v304*/, v196, -v111
	v_dual_mul_f32 v246, v54 /*v310*/, v203 :: v_dual_mul_f32 v234, v56 /*v312*/, v205
	s_set_vgpr_msb 0                        ;  msbs: dst=0 src0=0 src1=0 src2=0
	v_add_f32_e32 v97, v97, v113
	s_set_vgpr_msb 1                        ;  msbs: dst=0 src0=1 src1=0 src2=0
	v_fma_f32 v113, v46 /*v302*/, v194, -v115
	v_dual_fma_f32 v101, v50 /*v306*/, v198, -v101 :: v_dual_fmac_f32 v232, v53 /*v309*/, v200
	v_fmac_f32_e32 v246, v55 /*v311*/, v202
	s_set_vgpr_msb 0                        ;  msbs: dst=0 src0=0 src1=0 src2=0
	v_add_f32_e32 v97, v97, v109
	s_set_vgpr_msb 1                        ;  msbs: dst=0 src0=1 src1=0 src2=0
	v_mul_f32_e32 v109, v55 /*v311*/, v203
	s_set_vgpr_msb 0                        ;  msbs: dst=0 src0=0 src1=0 src2=0
	v_add_f32_e32 v99, v99, v229
	s_set_vgpr_msb 1                        ;  msbs: dst=0 src0=1 src1=0 src2=0
	v_dual_mov_b32 v130, v65 /*v321*/ :: v_dual_mov_b32 v131, v64 /*v320*/
	s_set_vgpr_msb 0                        ;  msbs: dst=0 src0=0 src1=0 src2=0
	v_add_f32_e32 v97, v97, v103
	s_set_vgpr_msb 1                        ;  msbs: dst=0 src0=1 src1=0 src2=0
	v_mul_f32_e32 v103, v57 /*v313*/, v205
	s_set_vgpr_msb 0                        ;  msbs: dst=0 src0=0 src1=0 src2=0
	v_add_f32_e32 v99, v99, v107
	s_set_vgpr_msb 1                        ;  msbs: dst=0 src0=1 src1=0 src2=0
	v_mul_f32_e32 v107, v53 /*v309*/, v201
	s_set_vgpr_msb 0                        ;  msbs: dst=0 src0=0 src1=0 src2=0
	v_dual_mul_f32 v235, v122, v207 :: v_dual_add_f32 v97, v97, v105
	v_mul_f32_e32 v105, v123, v207
	v_add_f32_e32 v99, v99, v227
	s_set_vgpr_msb 1                        ;  msbs: dst=0 src0=1 src1=0 src2=0
	v_fma_f32 v107, v52 /*v308*/, v200, -v107
	s_wait_loadcnt 0x4
	v_pk_mul_f32 v[142:143], v[62:63] /*v[318:319]*/, v[214:215] op_sel:[1,1] op_sel_hi:[0,1]
	s_set_vgpr_msb 0                        ;  msbs: dst=0 src0=0 src1=0 src2=0
	v_add_f32_e32 v97, v97, v113
	v_dual_mul_f32 v113, v125, v209 :: v_dual_add_f32 v99, v99, v244
	v_dual_mov_b32 v144, v217 :: v_dual_fmac_f32 v235, v123, v206
	s_delay_alu instid0(VALU_DEP_3) | instskip(SKIP_1) | instid1(VALU_DEP_4)
	v_add_f32_e32 v97, v97, v111
	v_mul_f32_e32 v111, v127, v211
	v_add_f32_e32 v99, v99, v230
	s_set_vgpr_msb 1                        ;  msbs: dst=0 src0=1 src1=0 src2=0
	v_dual_fma_f32 v109, v54 /*v310*/, v202, -v109 :: v_dual_fmac_f32 v234, v57 /*v313*/, v204
	s_set_vgpr_msb 0                        ;  msbs: dst=0 src0=0 src1=0 src2=0
	v_add_f32_e32 v97, v97, v101
	v_dual_fmac_f32 v141, v129, v212 :: v_dual_add_f32 v99, v99, v231
	v_pk_mul_f32 v[130:131], v[130:131], v[144:145] op_sel_hi:[1,0]
	s_set_vgpr_msb 1                        ;  msbs: dst=0 src0=1 src1=0 src2=0
	v_fma_f32 v103, v56 /*v312*/, v204, -v103
	s_set_vgpr_msb 0                        ;  msbs: dst=0 src0=0 src1=0 src2=0
	v_add_f32_e32 v97, v97, v107
	v_dual_fmac_f32 v247, v125, v208 :: v_dual_add_f32 v99, v99, v245
	v_fmac_f32_e32 v139, v127, v210
	s_delay_alu instid0(VALU_DEP_3)
	v_dual_fma_f32 v138, v126, v210, -v111 :: v_dual_add_f32 v97, v97, v109
	s_set_vgpr_msb 1                        ;  msbs: dst=0 src0=1 src1=0 src2=0
	v_dual_mov_b32 v132, v69 /*v325*/ :: v_dual_mov_b32 v133, v68 /*v324*/
	s_set_vgpr_msb 0                        ;  msbs: dst=0 src0=0 src1=0 src2=0
	v_add_f32_e32 v99, v99, v233
	v_dual_mul_f32 v101, v129, v213 :: v_dual_mov_b32 v135, v120
	v_dual_mov_b32 v136, v225 :: v_dual_ashrrev_i32 v107, 31, v106
	v_ashrrev_i32_e32 v109, 31, v108
	s_delay_alu instid0(VALU_DEP_4) | instskip(NEXT) | instid1(VALU_DEP_4)
	v_add_f32_e32 v99, v99, v232
	v_fma_f32 v140, v128, v212, -v101
	s_set_vgpr_msb 1                        ;  msbs: dst=0 src0=1 src1=0 src2=0
	v_pk_fma_f32 v[128:129], v[62:63] /*v[318:319]*/, v[214:215], v[142:143] op_sel_hi:[1,0,1]
	v_pk_fma_f32 v[142:143], v[62:63] /*v[318:319]*/, v[214:215], v[142:143] neg_lo:[0,0,1] neg_hi:[0,0,1]
	v_ashrrev_i32_e32 v111, 31, v110
	s_set_vgpr_msb 0                        ;  msbs: dst=0 src0=0 src1=0 src2=0
	v_add_f32_e32 v99, v99, v246
	v_dual_ashrrev_i32 v115, 31, v114 :: v_dual_ashrrev_i32 v117, 31, v116
	v_mov_b32_e32 v143, v129
	s_set_vgpr_msb 1                        ;  msbs: dst=0 src0=1 src1=0 src2=0
	v_pk_fma_f32 v[128:129], v[64:65] /*v[320:321]*/, v[216:217], v[130:131] op_sel_hi:[1,0,1]
	s_set_vgpr_msb 0                        ;  msbs: dst=0 src0=0 src1=0 src2=0
	v_add_f32_e32 v99, v99, v234
	s_wait_loadcnt 0x2
	s_set_vgpr_msb 1                        ;  msbs: dst=0 src0=1 src1=0 src2=0
	v_mov_b32_e32 v128, v9 /*v265*/
	s_set_vgpr_msb 0                        ;  msbs: dst=0 src0=0 src1=0 src2=0
	v_dual_fma_f32 v105, v122, v206, -v105 :: v_dual_add_f32 v97, v97, v103
	v_dual_fma_f32 v103, v124, v208, -v113 :: v_dual_add_f32 v99, v99, v235
	v_mov_b32_e32 v124, v221
	s_set_vgpr_msb 1                        ;  msbs: dst=0 src0=1 src1=0 src2=0
	v_pk_fma_f32 v[130:131], v[64:65] /*v[320:321]*/, v[216:217], v[130:131] neg_lo:[0,0,1] neg_hi:[0,0,1]
	s_set_vgpr_msb 0                        ;  msbs: dst=0 src0=0 src1=0 src2=0
	v_add_f32_e32 v97, v97, v105
	v_dual_mov_b32 v131, v129 :: v_dual_add_f32 v127, v99, v247
	s_set_vgpr_msb 1                        ;  msbs: dst=0 src0=1 src1=0 src2=0
	v_pk_mul_f32 v[122:123], v[66:67] /*v[322:323]*/, v[218:219] op_sel:[1,1] op_sel_hi:[0,1]
	s_set_vgpr_msb 0                        ;  msbs: dst=0 src0=0 src1=0 src2=0
	v_pk_mul_f32 v[124:125], v[132:133], v[124:125] op_sel_hi:[1,0]
	v_add_f32_e32 v126, v97, v103
	v_pk_mul_f32 v[128:129], v[134:135], v[128:129] op_sel_hi:[1,0]
	v_dual_ashrrev_i32 v97, 31, v96 :: v_dual_ashrrev_i32 v99, 31, v98
	s_set_vgpr_msb 1                        ;  msbs: dst=0 src0=1 src1=0 src2=0
	v_pk_fma_f32 v[132:133], v[68:69] /*v[324:325]*/, v[220:221], v[124:125] op_sel_hi:[1,0,1]
	s_set_vgpr_msb 0                        ;  msbs: dst=0 src0=0 src1=0 src2=0
	v_pk_add_f32 v[126:127], v[126:127], v[138:139]
	s_set_vgpr_msb 4                        ;  msbs: dst=0 src0=0 src1=1 src2=0
	v_pk_mul_f32 v[138:139], v[118:119], v[6:7] /*v[262:263]*/ op_sel:[1,1] op_sel_hi:[0,1]
	s_set_vgpr_msb 1                        ;  msbs: dst=0 src0=1 src1=0 src2=0
	v_pk_fma_f32 v[124:125], v[68:69] /*v[324:325]*/, v[220:221], v[124:125] neg_lo:[0,0,1] neg_hi:[0,0,1]
	v_dual_ashrrev_i32 v103, 31, v102 :: v_dual_ashrrev_i32 v105, 31, v104
	s_set_vgpr_msb 0                        ;  msbs: dst=0 src0=0 src1=0 src2=0
	v_pk_add_f32 v[126:127], v[126:127], v[140:141]
	s_set_vgpr_msb 1                        ;  msbs: dst=0 src0=1 src1=0 src2=0
	v_pk_fma_f32 v[140:141], v[66:67] /*v[322:323]*/, v[218:219], v[122:123] op_sel_hi:[1,0,1]
	v_pk_fma_f32 v[122:123], v[66:67] /*v[322:323]*/, v[218:219], v[122:123] neg_lo:[0,0,1] neg_hi:[0,0,1]
	v_ashrrev_i32_e32 v113, 31, v112
	s_set_vgpr_msb 0                        ;  msbs: dst=0 src0=0 src1=0 src2=0
	v_pk_add_f32 v[126:127], v[126:127], v[142:143]
	v_mov_b32_e32 v123, v141
	s_delay_alu instid0(VALU_DEP_2)
	v_pk_add_f32 v[126:127], v[126:127], v[130:131]
	s_set_vgpr_msb 4                        ;  msbs: dst=0 src0=0 src1=1 src2=0
	v_pk_fma_f32 v[130:131], v[118:119], v[6:7] /*v[262:263]*/, v[138:139] op_sel_hi:[1,0,1]
	v_pk_fma_f32 v[118:119], v[118:119], v[6:7] /*v[262:263]*/, v[138:139] neg_lo:[0,0,1] neg_hi:[0,0,1]
	s_set_vgpr_msb 0                        ;  msbs: dst=0 src0=0 src1=0 src2=0
	v_pk_add_f32 v[122:123], v[126:127], v[122:123]
	s_delay_alu instid0(VALU_DEP_3)
	v_mov_b32_e32 v119, v131
	s_set_vgpr_msb 4                        ;  msbs: dst=0 src0=0 src1=1 src2=0
	v_pk_fma_f32 v[130:131], v[120:121], v[8:9] /*v[264:265]*/, v[128:129] op_sel_hi:[1,0,1]
	v_mov_b32_e32 v125, v133
	v_pk_fma_f32 v[120:121], v[120:121], v[8:9] /*v[264:265]*/, v[128:129] neg_lo:[0,0,1] neg_hi:[0,0,1]
	s_wait_loadcnt 0x1
	v_pk_mul_f32 v[126:127], v[222:223], v[58:59] /*v[314:315]*/ op_sel:[1,1] op_sel_hi:[0,1]
	v_mov_b32_e32 v121, v131
	s_set_vgpr_msb 0                        ;  msbs: dst=0 src0=0 src1=0 src2=0
	v_pk_add_f32 v[122:123], v[122:123], v[124:125]
	s_set_vgpr_msb 1                        ;  msbs: dst=0 src0=1 src1=0 src2=0
	v_mov_b32_e32 v124, v61 /*v317*/
	s_set_vgpr_msb 4                        ;  msbs: dst=0 src0=0 src1=1 src2=0
	v_pk_fma_f32 v[132:133], v[222:223], v[58:59] /*v[314:315]*/, v[126:127] op_sel_hi:[1,0,1]
	s_set_vgpr_msb 0                        ;  msbs: dst=0 src0=0 src1=0 src2=0
	v_pk_add_f32 v[118:119], v[122:123], v[118:119]
	v_pk_mul_f32 v[122:123], v[136:137], v[124:125] op_sel_hi:[1,0]
	s_set_vgpr_msb 4                        ;  msbs: dst=0 src0=0 src1=1 src2=0
	v_pk_fma_f32 v[124:125], v[222:223], v[58:59] /*v[314:315]*/, v[126:127] neg_lo:[0,0,1] neg_hi:[0,0,1]
	v_mov_b32_e32 v125, v133
	s_set_vgpr_msb 0                        ;  msbs: dst=0 src0=0 src1=0 src2=0
	v_pk_add_f32 v[118:119], v[118:119], v[120:121]
	s_set_vgpr_msb 4                        ;  msbs: dst=0 src0=0 src1=1 src2=0
	v_pk_fma_f32 v[120:121], v[224:225], v[60:61] /*v[316:317]*/, v[122:123] op_sel_hi:[1,0,1]
	v_pk_fma_f32 v[122:123], v[224:225], v[60:61] /*v[316:317]*/, v[122:123] neg_lo:[0,0,1] neg_hi:[0,0,1]
	s_set_vgpr_msb 0                        ;  msbs: dst=0 src0=0 src1=0 src2=0
	v_ashrrev_i32_e32 v101, 31, v100
	v_pk_add_f32 v[118:119], v[118:119], v[124:125]
	v_mov_b32_e32 v123, v121
	s_delay_alu instid0(VALU_DEP_1) | instskip(SKIP_2) | instid1(VALU_DEP_1)
	v_pk_add_f32 v[118:119], v[118:119], v[122:123]
	s_wait_loadcnt 0x0
	s_set_vgpr_msb 1                        ;  msbs: dst=0 src0=1 src1=0 src2=0
	v_pk_add_f32 v[118:119], v[70:71] /*v[326:327]*/, v[118:119] neg_lo:[0,1] neg_hi:[0,1]
	scratch_store_b64 off, v[118:119], off offset:8
	s_wait_xcnt 0x0
	v_cmpx_ne_u32_e32 0, v0
	s_set_vgpr_msb 0                        ;  msbs: dst=0 src0=0 src1=0 src2=0
	s_cbranch_execz .LBB121_361
; %bb.360:
	scratch_load_b64 v[118:119], off, off
	v_mov_b64_e32 v[120:121], 0
	scratch_store_b64 off, v[120:121], off
	s_wait_loadcnt 0x0
	ds_store_b64 v1, v[118:119]
.LBB121_361:
	s_wait_xcnt 0x0
	s_or_b32 exec_lo, exec_lo, s0
	s_wait_storecnt_dscnt 0x0
	s_barrier_signal -1
	s_barrier_wait -1
	s_clause 0x7
	scratch_load_b128 v[122:125], off, off offset:8
	scratch_load_b128 v[130:133], off, off offset:24
	;; [unrolled: 1-line block ×8, first 2 shown]
	v_mov_b32_e32 v0, 0
	s_clause 0x3
	scratch_load_b128 v[186:189], off, off offset:136
	scratch_load_b128 v[194:197], off, off offset:152
	;; [unrolled: 1-line block ×4, first 2 shown]
	ds_load_2addr_b64 v[118:121], v0 offset0:59 offset1:60
	s_clause 0xd
	scratch_load_b128 v[218:221], off, off offset:200
	scratch_load_b128 v[226:229], off, off offset:216
	;; [unrolled: 1-line block ×5, first 2 shown]
	s_set_vgpr_msb 64                       ;  msbs: dst=1 src0=0 src1=0 src2=0
	scratch_load_b128 v[2:5] /*v[258:261]*/, off, off offset:280
	scratch_load_b128 v[10:13] /*v[266:269]*/, off, off offset:296
	;; [unrolled: 1-line block ×8, first 2 shown]
	s_and_b32 vcc_lo, exec_lo, s12
	s_wait_loadcnt_dscnt 0x1800
	s_set_vgpr_msb 0                        ;  msbs: dst=0 src0=0 src1=0 src2=0
	v_dual_mul_f32 v1, v118, v123 :: v_dual_mul_f32 v126, v120, v125
	s_delay_alu instid0(VALU_DEP_1) | instskip(NEXT) | instid1(VALU_DEP_1)
	v_dual_fmac_f32 v1, v119, v122 :: v_dual_fmac_f32 v126, v121, v124
	v_add_f32_e32 v1, 0, v1
	s_delay_alu instid0(VALU_DEP_1) | instskip(SKIP_3) | instid1(VALU_DEP_1)
	v_add_f32_e32 v1, v1, v126
	ds_load_2addr_b64 v[126:129], v0 offset0:61 offset1:62
	s_wait_loadcnt_dscnt 0x1700
	v_mul_f32_e32 v134, v126, v131
	v_fmac_f32_e32 v134, v127, v130
	s_delay_alu instid0(VALU_DEP_1) | instskip(NEXT) | instid1(VALU_DEP_1)
	v_dual_add_f32 v1, v1, v134 :: v_dual_mul_f32 v134, v128, v133
	v_fmac_f32_e32 v134, v129, v132
	s_delay_alu instid0(VALU_DEP_1) | instskip(SKIP_3) | instid1(VALU_DEP_1)
	v_add_f32_e32 v1, v1, v134
	ds_load_2addr_b64 v[134:137], v0 offset0:63 offset1:64
	s_wait_loadcnt_dscnt 0x1600
	v_mul_f32_e32 v142, v134, v139
	v_fmac_f32_e32 v142, v135, v138
	s_delay_alu instid0(VALU_DEP_1) | instskip(NEXT) | instid1(VALU_DEP_1)
	v_dual_add_f32 v1, v1, v142 :: v_dual_mul_f32 v142, v136, v141
	v_fmac_f32_e32 v142, v137, v140
	;; [unrolled: 9-line block ×16, first 2 shown]
	s_delay_alu instid0(VALU_DEP_1) | instskip(SKIP_4) | instid1(VALU_DEP_1)
	v_add_f32_e32 v1, v1, v254
	ds_load_2addr_b64 v[254:257], v0 offset0:93 offset1:94
	s_wait_loadcnt_dscnt 0x700
	s_set_vgpr_msb 0x44                     ;  msbs: dst=1 src0=0 src1=1 src2=0
	v_mul_f32_e32 v6 /*v262*/, v254, v3 /*v259*/
	v_fmac_f32_e32 v6 /*v262*/, v255, v2 /*v258*/
	s_set_vgpr_msb 4                        ;  msbs: dst=0 src0=0 src1=1 src2=0
	s_delay_alu instid0(VALU_DEP_1) | instskip(SKIP_2) | instid1(VALU_DEP_1)
	v_add_f32_e32 v1, v1, v6 /*v262*/
	s_set_vgpr_msb 0x45                     ;  msbs: dst=1 src0=1 src1=1 src2=0
	v_mul_f32_e32 v6 /*v262*/, v0 /*v256*/, v5 /*v261*/
	v_fmac_f32_e32 v6 /*v262*/, v1 /*v257*/, v4 /*v260*/
	s_set_vgpr_msb 4                        ;  msbs: dst=0 src0=0 src1=1 src2=0
	s_delay_alu instid0(VALU_DEP_1)
	v_add_f32_e32 v1, v1, v6 /*v262*/
	s_set_vgpr_msb 64                       ;  msbs: dst=1 src0=0 src1=0 src2=0
	ds_load_2addr_b64 v[6:9] /*v[262:265]*/, v0 offset0:95 offset1:96
	s_wait_loadcnt_dscnt 0x600
	s_set_vgpr_msb 0x45                     ;  msbs: dst=1 src0=1 src1=1 src2=0
	v_mul_f32_e32 v14 /*v270*/, v6 /*v262*/, v11 /*v267*/
	s_delay_alu instid0(VALU_DEP_1) | instskip(SKIP_1) | instid1(VALU_DEP_1)
	v_fmac_f32_e32 v14 /*v270*/, v7 /*v263*/, v10 /*v266*/
	s_set_vgpr_msb 4                        ;  msbs: dst=0 src0=0 src1=1 src2=0
	v_add_f32_e32 v1, v1, v14 /*v270*/
	s_set_vgpr_msb 0x45                     ;  msbs: dst=1 src0=1 src1=1 src2=0
	v_mul_f32_e32 v14 /*v270*/, v8 /*v264*/, v13 /*v269*/
	s_delay_alu instid0(VALU_DEP_1) | instskip(SKIP_1) | instid1(VALU_DEP_1)
	v_fmac_f32_e32 v14 /*v270*/, v9 /*v265*/, v12 /*v268*/
	s_set_vgpr_msb 4                        ;  msbs: dst=0 src0=0 src1=1 src2=0
	v_add_f32_e32 v1, v1, v14 /*v270*/
	s_set_vgpr_msb 64                       ;  msbs: dst=1 src0=0 src1=0 src2=0
	ds_load_2addr_b64 v[14:17] /*v[270:273]*/, v0 offset0:97 offset1:98
	s_wait_loadcnt_dscnt 0x500
	s_set_vgpr_msb 0x45                     ;  msbs: dst=1 src0=1 src1=1 src2=0
	v_mul_f32_e32 v22 /*v278*/, v14 /*v270*/, v19 /*v275*/
	s_delay_alu instid0(VALU_DEP_1) | instskip(SKIP_1) | instid1(VALU_DEP_1)
	v_fmac_f32_e32 v22 /*v278*/, v15 /*v271*/, v18 /*v274*/
	s_set_vgpr_msb 4                        ;  msbs: dst=0 src0=0 src1=1 src2=0
	v_add_f32_e32 v1, v1, v22 /*v278*/
	s_set_vgpr_msb 0x45                     ;  msbs: dst=1 src0=1 src1=1 src2=0
	v_mul_f32_e32 v22 /*v278*/, v16 /*v272*/, v21 /*v277*/
	s_delay_alu instid0(VALU_DEP_1) | instskip(SKIP_1) | instid1(VALU_DEP_1)
	v_fmac_f32_e32 v22 /*v278*/, v17 /*v273*/, v20 /*v276*/
	s_set_vgpr_msb 4                        ;  msbs: dst=0 src0=0 src1=1 src2=0
	;; [unrolled: 15-line block ×5, first 2 shown]
	v_add_f32_e32 v1, v1, v46 /*v302*/
	s_set_vgpr_msb 64                       ;  msbs: dst=1 src0=0 src1=0 src2=0
	ds_load_2addr_b64 v[46:49] /*v[302:305]*/, v0 offset0:105 offset1:106
	s_wait_loadcnt_dscnt 0x100
	s_set_vgpr_msb 0x45                     ;  msbs: dst=1 src0=1 src1=1 src2=0
	v_dual_mul_f32 v77 /*v333*/, v48 /*v304*/, v53 /*v309*/ :: v_dual_mul_f32 v54 /*v310*/, v46 /*v302*/, v51 /*v307*/
	s_delay_alu instid0(VALU_DEP_1) | instskip(SKIP_1) | instid1(VALU_DEP_1)
	v_dual_fmac_f32 v77 /*v333*/, v49 /*v305*/, v52 /*v308*/ :: v_dual_fmac_f32 v54 /*v310*/, v47 /*v303*/, v50 /*v306*/
	s_set_vgpr_msb 0x44                     ;  msbs: dst=1 src0=0 src1=1 src2=0
	v_add_f32_e32 v75 /*v331*/, v1, v54 /*v310*/
	s_set_vgpr_msb 0                        ;  msbs: dst=0 src0=0 src1=0 src2=0
	v_mul_f32_e32 v1, v119, v123
	s_set_vgpr_msb 64                       ;  msbs: dst=1 src0=0 src1=0 src2=0
	ds_load_2addr_b64 v[54:57] /*v[310:313]*/, v0 offset0:107 offset1:108
	s_clause 0x3
	scratch_load_b128 v[62:65] /*v[318:321]*/, off, off offset:408
	scratch_load_b128 v[66:69] /*v[322:325]*/, off, off offset:424
	;; [unrolled: 1-line block ×3, first 2 shown]
	scratch_load_b64 v[80:81] /*v[336:337]*/, off, off offset:456
	s_set_vgpr_msb 0                        ;  msbs: dst=0 src0=0 src1=0 src2=0
	v_dual_fma_f32 v1, v118, v122, -v1 :: v_dual_mul_f32 v118, v121, v125
	s_delay_alu instid0(VALU_DEP_1) | instskip(NEXT) | instid1(VALU_DEP_1)
	v_dual_add_f32 v1, 0, v1 :: v_dual_fma_f32 v118, v120, v124, -v118
	v_dual_add_f32 v1, v1, v118 :: v_dual_mul_f32 v118, v127, v131
	s_delay_alu instid0(VALU_DEP_1) | instskip(NEXT) | instid1(VALU_DEP_1)
	v_fma_f32 v118, v126, v130, -v118
	v_add_f32_e32 v1, v1, v118
	v_mul_f32_e32 v118, v129, v133
	s_delay_alu instid0(VALU_DEP_1) | instskip(NEXT) | instid1(VALU_DEP_1)
	v_fma_f32 v118, v128, v132, -v118
	v_dual_add_f32 v1, v1, v118 :: v_dual_mul_f32 v118, v135, v139
	s_wait_dscnt 0x0
	s_set_vgpr_msb 1                        ;  msbs: dst=0 src0=1 src1=0 src2=0
	v_mov_b32_e32 v135, v56 /*v312*/
	s_set_vgpr_msb 0                        ;  msbs: dst=0 src0=0 src1=0 src2=0
	v_fma_f32 v118, v134, v138, -v118
	s_set_vgpr_msb 1                        ;  msbs: dst=0 src0=1 src1=0 src2=0
	v_mov_b32_e32 v134, v57 /*v313*/
	s_set_vgpr_msb 0                        ;  msbs: dst=0 src0=0 src1=0 src2=0
	s_delay_alu instid0(VALU_DEP_2) | instskip(SKIP_1) | instid1(VALU_DEP_1)
	v_add_f32_e32 v1, v1, v118
	v_mul_f32_e32 v118, v137, v141
	v_fma_f32 v118, v136, v140, -v118
	s_wait_loadcnt 0x4
	s_set_vgpr_msb 1                        ;  msbs: dst=0 src0=1 src1=0 src2=0
	v_mov_b32_e32 v136, v61 /*v317*/
	s_set_vgpr_msb 0                        ;  msbs: dst=0 src0=0 src1=0 src2=0
	v_dual_add_f32 v1, v1, v118 :: v_dual_mul_f32 v118, v143, v147
	s_delay_alu instid0(VALU_DEP_2) | instskip(NEXT) | instid1(VALU_DEP_2)
	v_pk_mul_f32 v[134:135], v[134:135], v[136:137] op_sel_hi:[1,0]
	v_fma_f32 v118, v142, v146, -v118
	s_set_vgpr_msb 5                        ;  msbs: dst=0 src0=1 src1=1 src2=0
	s_delay_alu instid0(VALU_DEP_2) | instskip(SKIP_3) | instid1(VALU_DEP_2)
	v_pk_fma_f32 v[136:137], v[56:57] /*v[312:313]*/, v[60:61] /*v[316:317]*/, v[134:135] neg_lo:[0,0,1] neg_hi:[0,0,1]
	v_pk_fma_f32 v[134:135], v[56:57] /*v[312:313]*/, v[60:61] /*v[316:317]*/, v[134:135] op_sel_hi:[1,0,1]
	s_set_vgpr_msb 0                        ;  msbs: dst=0 src0=0 src1=0 src2=0
	v_add_f32_e32 v1, v1, v118
	v_dual_mul_f32 v118, v145, v149 :: v_dual_mov_b32 v137, v135
	s_delay_alu instid0(VALU_DEP_1) | instskip(NEXT) | instid1(VALU_DEP_1)
	v_fma_f32 v118, v144, v148, -v118
	v_dual_add_f32 v1, v1, v118 :: v_dual_mul_f32 v118, v151, v155
	s_delay_alu instid0(VALU_DEP_1) | instskip(NEXT) | instid1(VALU_DEP_1)
	v_fma_f32 v118, v150, v154, -v118
	v_add_f32_e32 v1, v1, v118
	v_mul_f32_e32 v118, v153, v157
	s_delay_alu instid0(VALU_DEP_1) | instskip(NEXT) | instid1(VALU_DEP_1)
	v_fma_f32 v118, v152, v156, -v118
	v_dual_add_f32 v1, v1, v118 :: v_dual_mul_f32 v118, v159, v163
	s_delay_alu instid0(VALU_DEP_1) | instskip(NEXT) | instid1(VALU_DEP_1)
	v_fma_f32 v118, v158, v162, -v118
	v_add_f32_e32 v1, v1, v118
	v_mul_f32_e32 v118, v161, v165
	;; [unrolled: 7-line block ×13, first 2 shown]
	s_delay_alu instid0(VALU_DEP_1) | instskip(NEXT) | instid1(VALU_DEP_1)
	v_fma_f32 v118, v248, v252, -v118
	v_add_f32_e32 v1, v1, v118
	s_set_vgpr_msb 4                        ;  msbs: dst=0 src0=0 src1=1 src2=0
	v_mul_f32_e32 v118, v255, v3 /*v259*/
	s_delay_alu instid0(VALU_DEP_1) | instskip(SKIP_1) | instid1(VALU_DEP_1)
	v_fma_f32 v118, v254, v2 /*v258*/, -v118
	s_set_vgpr_msb 0                        ;  msbs: dst=0 src0=0 src1=0 src2=0
	v_add_f32_e32 v1, v1, v118
	s_set_vgpr_msb 5                        ;  msbs: dst=0 src0=1 src1=1 src2=0
	v_mul_f32_e32 v118, v1 /*v257*/, v5 /*v261*/
	s_delay_alu instid0(VALU_DEP_1) | instskip(SKIP_1) | instid1(VALU_DEP_1)
	v_fma_f32 v118, v0 /*v256*/, v4 /*v260*/, -v118
	s_set_vgpr_msb 0                        ;  msbs: dst=0 src0=0 src1=0 src2=0
	v_add_f32_e32 v1, v1, v118
	s_set_vgpr_msb 5                        ;  msbs: dst=0 src0=1 src1=1 src2=0
	v_mul_f32_e32 v118, v7 /*v263*/, v11 /*v267*/
	s_delay_alu instid0(VALU_DEP_1) | instskip(SKIP_1) | instid1(VALU_DEP_1)
	v_fma_f32 v118, v6 /*v262*/, v10 /*v266*/, -v118
	;; [unrolled: 6-line block ×12, first 2 shown]
	s_set_vgpr_msb 64                       ;  msbs: dst=1 src0=0 src1=0 src2=0
	v_add_f32_e32 v74 /*v330*/, v1, v118
	s_set_vgpr_msb 0                        ;  msbs: dst=0 src0=0 src1=0 src2=0
	ds_load_2addr_b64 v[118:121], v0 offset0:109 offset1:110
	ds_load_2addr_b64 v[122:125], v0 offset0:111 offset1:112
	;; [unrolled: 1-line block ×3, first 2 shown]
	ds_load_b64 v[130:131], v0 offset:920
	s_set_vgpr_msb 5                        ;  msbs: dst=0 src0=1 src1=1 src2=0
	v_mul_f32_e32 v1, v49 /*v305*/, v53 /*v309*/
	s_set_vgpr_msb 0x45                     ;  msbs: dst=1 src0=1 src1=1 src2=0
	s_delay_alu instid0(VALU_DEP_1) | instskip(SKIP_3) | instid1(VALU_DEP_2)
	v_dual_mul_f32 v79 /*v335*/, v54 /*v310*/, v59 /*v315*/ :: v_dual_fma_f32 v76 /*v332*/, v48 /*v304*/, v52 /*v308*/, -v1
	s_set_vgpr_msb 5                        ;  msbs: dst=0 src0=1 src1=1 src2=0
	v_mul_f32_e32 v1, v55 /*v311*/, v59 /*v315*/
	s_set_vgpr_msb 0x45                     ;  msbs: dst=1 src0=1 src1=1 src2=0
	v_fmac_f32_e32 v79 /*v335*/, v55 /*v311*/, v58 /*v314*/
	s_set_vgpr_msb 5                        ;  msbs: dst=0 src0=1 src1=1 src2=0
	v_pk_add_f32 v[132:133], v[74:75] /*v[330:331]*/, v[76:77] /*v[332:333]*/
	s_set_vgpr_msb 0x45                     ;  msbs: dst=1 src0=1 src1=1 src2=0
	v_fma_f32 v78 /*v334*/, v54 /*v310*/, v58 /*v314*/, -v1
	s_set_vgpr_msb 4                        ;  msbs: dst=0 src0=0 src1=1 src2=0
	s_delay_alu instid0(VALU_DEP_1) | instskip(SKIP_3) | instid1(VALU_DEP_2)
	v_pk_add_f32 v[132:133], v[132:133], v[78:79] /*v[334:335]*/
	s_wait_loadcnt_dscnt 0x303
	v_pk_mul_f32 v[134:135], v[118:119], v[62:63] /*v[318:319]*/ op_sel:[1,1] op_sel_hi:[0,1]
	s_set_vgpr_msb 0                        ;  msbs: dst=0 src0=0 src1=0 src2=0
	v_pk_add_f32 v[132:133], v[132:133], v[136:137]
	s_set_vgpr_msb 4                        ;  msbs: dst=0 src0=0 src1=1 src2=0
	s_delay_alu instid0(VALU_DEP_2) | instskip(SKIP_4) | instid1(VALU_DEP_2)
	v_pk_fma_f32 v[136:137], v[118:119], v[62:63] /*v[318:319]*/, v[134:135] neg_lo:[0,0,1] neg_hi:[0,0,1]
	v_pk_fma_f32 v[118:119], v[118:119], v[62:63] /*v[318:319]*/, v[134:135] op_sel_hi:[1,0,1]
	s_set_vgpr_msb 1                        ;  msbs: dst=0 src0=1 src1=0 src2=0
	v_mov_b32_e32 v134, v65 /*v321*/
	s_set_vgpr_msb 0                        ;  msbs: dst=0 src0=0 src1=0 src2=0
	v_mov_b32_e32 v137, v119
	s_delay_alu instid0(VALU_DEP_1) | instskip(SKIP_1) | instid1(VALU_DEP_1)
	v_pk_add_f32 v[118:119], v[132:133], v[136:137]
	v_dual_mov_b32 v132, v121 :: v_dual_mov_b32 v133, v120
	v_pk_mul_f32 v[132:133], v[132:133], v[134:135] op_sel_hi:[1,0]
	s_set_vgpr_msb 4                        ;  msbs: dst=0 src0=0 src1=1 src2=0
	s_delay_alu instid0(VALU_DEP_1) | instskip(SKIP_1) | instid1(VALU_DEP_1)
	v_pk_fma_f32 v[134:135], v[120:121], v[64:65] /*v[320:321]*/, v[132:133] neg_lo:[0,0,1] neg_hi:[0,0,1]
	v_pk_fma_f32 v[120:121], v[120:121], v[64:65] /*v[320:321]*/, v[132:133] op_sel_hi:[1,0,1]
	v_mov_b32_e32 v135, v121
	s_wait_loadcnt_dscnt 0x202
	v_pk_mul_f32 v[120:121], v[122:123], v[66:67] /*v[322:323]*/ op_sel:[1,1] op_sel_hi:[0,1]
	s_set_vgpr_msb 0                        ;  msbs: dst=0 src0=0 src1=0 src2=0
	s_delay_alu instid0(VALU_DEP_2) | instskip(SKIP_1) | instid1(VALU_DEP_2)
	v_pk_add_f32 v[118:119], v[118:119], v[134:135]
	s_set_vgpr_msb 4                        ;  msbs: dst=0 src0=0 src1=1 src2=0
	v_pk_fma_f32 v[132:133], v[122:123], v[66:67] /*v[322:323]*/, v[120:121] neg_lo:[0,0,1] neg_hi:[0,0,1]
	v_pk_fma_f32 v[120:121], v[122:123], v[66:67] /*v[322:323]*/, v[120:121] op_sel_hi:[1,0,1]
	v_mov_b32_e32 v120, v125
	s_set_vgpr_msb 1                        ;  msbs: dst=0 src0=1 src1=0 src2=0
	v_mov_b32_e32 v122, v69 /*v325*/
	s_set_vgpr_msb 0                        ;  msbs: dst=0 src0=0 src1=0 src2=0
	v_dual_mov_b32 v133, v121 :: v_dual_mov_b32 v121, v124
	s_delay_alu instid0(VALU_DEP_1) | instskip(NEXT) | instid1(VALU_DEP_2)
	v_pk_add_f32 v[118:119], v[118:119], v[132:133]
	v_pk_mul_f32 v[120:121], v[120:121], v[122:123] op_sel_hi:[1,0]
	s_set_vgpr_msb 4                        ;  msbs: dst=0 src0=0 src1=1 src2=0
	s_delay_alu instid0(VALU_DEP_1) | instskip(SKIP_1) | instid1(VALU_DEP_1)
	v_pk_fma_f32 v[122:123], v[124:125], v[68:69] /*v[324:325]*/, v[120:121] neg_lo:[0,0,1] neg_hi:[0,0,1]
	v_pk_fma_f32 v[120:121], v[124:125], v[68:69] /*v[324:325]*/, v[120:121] op_sel_hi:[1,0,1]
	v_mov_b32_e32 v123, v121
	s_wait_loadcnt_dscnt 0x101
	v_pk_mul_f32 v[120:121], v[126:127], v[70:71] /*v[326:327]*/ op_sel:[1,1] op_sel_hi:[0,1]
	s_set_vgpr_msb 0                        ;  msbs: dst=0 src0=0 src1=0 src2=0
	s_delay_alu instid0(VALU_DEP_2) | instskip(SKIP_1) | instid1(VALU_DEP_2)
	v_pk_add_f32 v[118:119], v[118:119], v[122:123]
	s_set_vgpr_msb 4                        ;  msbs: dst=0 src0=0 src1=1 src2=0
	v_pk_fma_f32 v[122:123], v[126:127], v[70:71] /*v[326:327]*/, v[120:121] neg_lo:[0,0,1] neg_hi:[0,0,1]
	v_pk_fma_f32 v[120:121], v[126:127], v[70:71] /*v[326:327]*/, v[120:121] op_sel_hi:[1,0,1]
	s_delay_alu instid0(VALU_DEP_1) | instskip(SKIP_2) | instid1(VALU_DEP_2)
	v_dual_mov_b32 v120, v129 :: v_dual_mov_b32 v123, v121
	v_mov_b32_e32 v121, v128
	s_set_vgpr_msb 0                        ;  msbs: dst=0 src0=0 src1=0 src2=0
	v_pk_add_f32 v[118:119], v[118:119], v[122:123]
	s_set_vgpr_msb 1                        ;  msbs: dst=0 src0=1 src1=0 src2=0
	v_mov_b32_e32 v122, v73 /*v329*/
	s_set_vgpr_msb 0                        ;  msbs: dst=0 src0=0 src1=0 src2=0
	s_delay_alu instid0(VALU_DEP_1) | instskip(SKIP_1) | instid1(VALU_DEP_1)
	v_pk_mul_f32 v[120:121], v[120:121], v[122:123] op_sel_hi:[1,0]
	s_set_vgpr_msb 4                        ;  msbs: dst=0 src0=0 src1=1 src2=0
	v_pk_fma_f32 v[122:123], v[128:129], v[72:73] /*v[328:329]*/, v[120:121] neg_lo:[0,0,1] neg_hi:[0,0,1]
	v_pk_fma_f32 v[120:121], v[128:129], v[72:73] /*v[328:329]*/, v[120:121] op_sel_hi:[1,0,1]
	s_delay_alu instid0(VALU_DEP_1) | instskip(SKIP_3) | instid1(VALU_DEP_2)
	v_mov_b32_e32 v123, v121
	s_wait_loadcnt_dscnt 0x0
	v_pk_mul_f32 v[120:121], v[130:131], v[80:81] /*v[336:337]*/ op_sel:[1,1] op_sel_hi:[0,1]
	s_set_vgpr_msb 0                        ;  msbs: dst=0 src0=0 src1=0 src2=0
	v_pk_add_f32 v[118:119], v[118:119], v[122:123]
	s_set_vgpr_msb 4                        ;  msbs: dst=0 src0=0 src1=1 src2=0
	s_delay_alu instid0(VALU_DEP_2) | instskip(SKIP_1) | instid1(VALU_DEP_1)
	v_pk_fma_f32 v[122:123], v[130:131], v[80:81] /*v[336:337]*/, v[120:121] neg_lo:[0,0,1] neg_hi:[0,0,1]
	v_pk_fma_f32 v[120:121], v[130:131], v[80:81] /*v[336:337]*/, v[120:121] op_sel_hi:[1,0,1]
	v_mov_b32_e32 v123, v121
	scratch_load_b64 v[120:121], off, off
	s_set_vgpr_msb 0                        ;  msbs: dst=0 src0=0 src1=0 src2=0
	v_pk_add_f32 v[118:119], v[118:119], v[122:123]
	s_wait_loadcnt 0x0
	s_delay_alu instid0(VALU_DEP_1)
	v_pk_add_f32 v[122:123], v[120:121], v[118:119] neg_lo:[0,1] neg_hi:[0,1]
	scratch_store_b64 off, v[122:123], off
	s_cbranch_vccz .LBB121_476
; %bb.362:
	global_load_b32 v0, v0, s[8:9] offset:224
	s_wait_loadcnt 0x0
	v_cmp_ne_u32_e32 vcc_lo, 57, v0
	s_cbranch_vccz .LBB121_364
; %bb.363:
	s_wait_xcnt 0x0
	v_lshlrev_b32_e32 v0, 3, v0
	s_delay_alu instid0(VALU_DEP_1)
	v_mov_b32_e32 v120, v0
	scratch_load_b64 v[0:1], v120, off offset:-8
	scratch_load_b64 v[118:119], off, off offset:448
	s_wait_loadcnt 0x1
	scratch_store_b64 off, v[0:1], off offset:448
	s_wait_loadcnt 0x0
	scratch_store_b64 v120, v[118:119], off offset:-8
.LBB121_364:
	s_wait_xcnt 0x0
	v_mov_b32_e32 v0, 0
	global_load_b32 v1, v0, s[8:9] offset:220
	s_wait_loadcnt 0x0
	v_cmp_eq_u32_e32 vcc_lo, 56, v1
	s_cbranch_vccnz .LBB121_366
; %bb.365:
	v_lshlrev_b32_e32 v1, 3, v1
	scratch_load_b64 v[118:119], v1, off offset:-8
	scratch_load_b64 v[120:121], off, off offset:440
	s_wait_loadcnt 0x1
	scratch_store_b64 off, v[118:119], off offset:440
	s_wait_loadcnt 0x0
	scratch_store_b64 v1, v[120:121], off offset:-8
.LBB121_366:
	global_load_b32 v0, v0, s[8:9] offset:216
	s_wait_loadcnt 0x0
	v_cmp_eq_u32_e32 vcc_lo, 55, v0
	s_cbranch_vccnz .LBB121_368
; %bb.367:
	s_wait_xcnt 0x0
	v_lshlrev_b32_e32 v0, 3, v0
	s_delay_alu instid0(VALU_DEP_1)
	v_mov_b32_e32 v120, v0
	scratch_load_b64 v[0:1], v120, off offset:-8
	scratch_load_b64 v[118:119], off, off offset:432
	s_wait_loadcnt 0x1
	scratch_store_b64 off, v[0:1], off offset:432
	s_wait_loadcnt 0x0
	scratch_store_b64 v120, v[118:119], off offset:-8
.LBB121_368:
	s_wait_xcnt 0x0
	v_mov_b32_e32 v0, 0
	global_load_b32 v1, v0, s[8:9] offset:212
	s_wait_loadcnt 0x0
	v_cmp_eq_u32_e32 vcc_lo, 54, v1
	s_cbranch_vccnz .LBB121_370
; %bb.369:
	v_lshlrev_b32_e32 v1, 3, v1
	scratch_load_b64 v[118:119], v1, off offset:-8
	scratch_load_b64 v[120:121], off, off offset:424
	s_wait_loadcnt 0x1
	scratch_store_b64 off, v[118:119], off offset:424
	s_wait_loadcnt 0x0
	scratch_store_b64 v1, v[120:121], off offset:-8
.LBB121_370:
	global_load_b32 v0, v0, s[8:9] offset:208
	s_wait_loadcnt 0x0
	v_cmp_eq_u32_e32 vcc_lo, 53, v0
	s_cbranch_vccnz .LBB121_372
; %bb.371:
	s_wait_xcnt 0x0
	v_lshlrev_b32_e32 v0, 3, v0
	s_delay_alu instid0(VALU_DEP_1)
	v_mov_b32_e32 v120, v0
	scratch_load_b64 v[0:1], v120, off offset:-8
	scratch_load_b64 v[118:119], off, off offset:416
	s_wait_loadcnt 0x1
	scratch_store_b64 off, v[0:1], off offset:416
	s_wait_loadcnt 0x0
	scratch_store_b64 v120, v[118:119], off offset:-8
.LBB121_372:
	s_wait_xcnt 0x0
	v_mov_b32_e32 v0, 0
	global_load_b32 v1, v0, s[8:9] offset:204
	s_wait_loadcnt 0x0
	v_cmp_eq_u32_e32 vcc_lo, 52, v1
	s_cbranch_vccnz .LBB121_374
; %bb.373:
	v_lshlrev_b32_e32 v1, 3, v1
	scratch_load_b64 v[118:119], v1, off offset:-8
	scratch_load_b64 v[120:121], off, off offset:408
	s_wait_loadcnt 0x1
	scratch_store_b64 off, v[118:119], off offset:408
	s_wait_loadcnt 0x0
	scratch_store_b64 v1, v[120:121], off offset:-8
.LBB121_374:
	global_load_b32 v0, v0, s[8:9] offset:200
	s_wait_loadcnt 0x0
	v_cmp_eq_u32_e32 vcc_lo, 51, v0
	s_cbranch_vccnz .LBB121_376
; %bb.375:
	s_wait_xcnt 0x0
	v_lshlrev_b32_e32 v0, 3, v0
	s_delay_alu instid0(VALU_DEP_1)
	v_mov_b32_e32 v120, v0
	scratch_load_b64 v[0:1], v120, off offset:-8
	scratch_load_b64 v[118:119], off, off offset:400
	s_wait_loadcnt 0x1
	scratch_store_b64 off, v[0:1], off offset:400
	s_wait_loadcnt 0x0
	scratch_store_b64 v120, v[118:119], off offset:-8
.LBB121_376:
	s_wait_xcnt 0x0
	v_mov_b32_e32 v0, 0
	global_load_b32 v1, v0, s[8:9] offset:196
	s_wait_loadcnt 0x0
	v_cmp_eq_u32_e32 vcc_lo, 50, v1
	s_cbranch_vccnz .LBB121_378
; %bb.377:
	v_lshlrev_b32_e32 v1, 3, v1
	scratch_load_b64 v[118:119], v1, off offset:-8
	scratch_load_b64 v[120:121], off, off offset:392
	s_wait_loadcnt 0x1
	scratch_store_b64 off, v[118:119], off offset:392
	s_wait_loadcnt 0x0
	scratch_store_b64 v1, v[120:121], off offset:-8
.LBB121_378:
	global_load_b32 v0, v0, s[8:9] offset:192
	s_wait_loadcnt 0x0
	v_cmp_eq_u32_e32 vcc_lo, 49, v0
	s_cbranch_vccnz .LBB121_380
; %bb.379:
	s_wait_xcnt 0x0
	v_lshlrev_b32_e32 v0, 3, v0
	s_delay_alu instid0(VALU_DEP_1)
	v_mov_b32_e32 v120, v0
	scratch_load_b64 v[0:1], v120, off offset:-8
	scratch_load_b64 v[118:119], off, off offset:384
	s_wait_loadcnt 0x1
	scratch_store_b64 off, v[0:1], off offset:384
	s_wait_loadcnt 0x0
	scratch_store_b64 v120, v[118:119], off offset:-8
.LBB121_380:
	s_wait_xcnt 0x0
	v_mov_b32_e32 v0, 0
	global_load_b32 v1, v0, s[8:9] offset:188
	s_wait_loadcnt 0x0
	v_cmp_eq_u32_e32 vcc_lo, 48, v1
	s_cbranch_vccnz .LBB121_382
; %bb.381:
	v_lshlrev_b32_e32 v1, 3, v1
	scratch_load_b64 v[118:119], v1, off offset:-8
	scratch_load_b64 v[120:121], off, off offset:376
	s_wait_loadcnt 0x1
	scratch_store_b64 off, v[118:119], off offset:376
	s_wait_loadcnt 0x0
	scratch_store_b64 v1, v[120:121], off offset:-8
.LBB121_382:
	global_load_b32 v0, v0, s[8:9] offset:184
	s_wait_loadcnt 0x0
	v_cmp_eq_u32_e32 vcc_lo, 47, v0
	s_cbranch_vccnz .LBB121_384
; %bb.383:
	s_wait_xcnt 0x0
	v_lshlrev_b32_e32 v0, 3, v0
	s_delay_alu instid0(VALU_DEP_1)
	v_mov_b32_e32 v120, v0
	scratch_load_b64 v[0:1], v120, off offset:-8
	scratch_load_b64 v[118:119], off, off offset:368
	s_wait_loadcnt 0x1
	scratch_store_b64 off, v[0:1], off offset:368
	s_wait_loadcnt 0x0
	scratch_store_b64 v120, v[118:119], off offset:-8
.LBB121_384:
	s_wait_xcnt 0x0
	v_mov_b32_e32 v0, 0
	global_load_b32 v1, v0, s[8:9] offset:180
	s_wait_loadcnt 0x0
	v_cmp_eq_u32_e32 vcc_lo, 46, v1
	s_cbranch_vccnz .LBB121_386
; %bb.385:
	v_lshlrev_b32_e32 v1, 3, v1
	scratch_load_b64 v[118:119], v1, off offset:-8
	scratch_load_b64 v[120:121], off, off offset:360
	s_wait_loadcnt 0x1
	scratch_store_b64 off, v[118:119], off offset:360
	s_wait_loadcnt 0x0
	scratch_store_b64 v1, v[120:121], off offset:-8
.LBB121_386:
	global_load_b32 v0, v0, s[8:9] offset:176
	s_wait_loadcnt 0x0
	v_cmp_eq_u32_e32 vcc_lo, 45, v0
	s_cbranch_vccnz .LBB121_388
; %bb.387:
	s_wait_xcnt 0x0
	v_lshlrev_b32_e32 v0, 3, v0
	s_delay_alu instid0(VALU_DEP_1)
	v_mov_b32_e32 v120, v0
	scratch_load_b64 v[0:1], v120, off offset:-8
	scratch_load_b64 v[118:119], off, off offset:352
	s_wait_loadcnt 0x1
	scratch_store_b64 off, v[0:1], off offset:352
	s_wait_loadcnt 0x0
	scratch_store_b64 v120, v[118:119], off offset:-8
.LBB121_388:
	s_wait_xcnt 0x0
	v_mov_b32_e32 v0, 0
	global_load_b32 v1, v0, s[8:9] offset:172
	s_wait_loadcnt 0x0
	v_cmp_eq_u32_e32 vcc_lo, 44, v1
	s_cbranch_vccnz .LBB121_390
; %bb.389:
	v_lshlrev_b32_e32 v1, 3, v1
	scratch_load_b64 v[118:119], v1, off offset:-8
	scratch_load_b64 v[120:121], off, off offset:344
	s_wait_loadcnt 0x1
	scratch_store_b64 off, v[118:119], off offset:344
	s_wait_loadcnt 0x0
	scratch_store_b64 v1, v[120:121], off offset:-8
.LBB121_390:
	global_load_b32 v0, v0, s[8:9] offset:168
	s_wait_loadcnt 0x0
	v_cmp_eq_u32_e32 vcc_lo, 43, v0
	s_cbranch_vccnz .LBB121_392
; %bb.391:
	s_wait_xcnt 0x0
	v_lshlrev_b32_e32 v0, 3, v0
	s_delay_alu instid0(VALU_DEP_1)
	v_mov_b32_e32 v120, v0
	scratch_load_b64 v[0:1], v120, off offset:-8
	scratch_load_b64 v[118:119], off, off offset:336
	s_wait_loadcnt 0x1
	scratch_store_b64 off, v[0:1], off offset:336
	s_wait_loadcnt 0x0
	scratch_store_b64 v120, v[118:119], off offset:-8
.LBB121_392:
	s_wait_xcnt 0x0
	v_mov_b32_e32 v0, 0
	global_load_b32 v1, v0, s[8:9] offset:164
	s_wait_loadcnt 0x0
	v_cmp_eq_u32_e32 vcc_lo, 42, v1
	s_cbranch_vccnz .LBB121_394
; %bb.393:
	v_lshlrev_b32_e32 v1, 3, v1
	scratch_load_b64 v[118:119], v1, off offset:-8
	scratch_load_b64 v[120:121], off, off offset:328
	s_wait_loadcnt 0x1
	scratch_store_b64 off, v[118:119], off offset:328
	s_wait_loadcnt 0x0
	scratch_store_b64 v1, v[120:121], off offset:-8
.LBB121_394:
	global_load_b32 v0, v0, s[8:9] offset:160
	s_wait_loadcnt 0x0
	v_cmp_eq_u32_e32 vcc_lo, 41, v0
	s_cbranch_vccnz .LBB121_396
; %bb.395:
	s_wait_xcnt 0x0
	v_lshlrev_b32_e32 v0, 3, v0
	s_delay_alu instid0(VALU_DEP_1)
	v_mov_b32_e32 v120, v0
	scratch_load_b64 v[0:1], v120, off offset:-8
	scratch_load_b64 v[118:119], off, off offset:320
	s_wait_loadcnt 0x1
	scratch_store_b64 off, v[0:1], off offset:320
	s_wait_loadcnt 0x0
	scratch_store_b64 v120, v[118:119], off offset:-8
.LBB121_396:
	s_wait_xcnt 0x0
	v_mov_b32_e32 v0, 0
	global_load_b32 v1, v0, s[8:9] offset:156
	s_wait_loadcnt 0x0
	v_cmp_eq_u32_e32 vcc_lo, 40, v1
	s_cbranch_vccnz .LBB121_398
; %bb.397:
	v_lshlrev_b32_e32 v1, 3, v1
	scratch_load_b64 v[118:119], v1, off offset:-8
	scratch_load_b64 v[120:121], off, off offset:312
	s_wait_loadcnt 0x1
	scratch_store_b64 off, v[118:119], off offset:312
	s_wait_loadcnt 0x0
	scratch_store_b64 v1, v[120:121], off offset:-8
.LBB121_398:
	global_load_b32 v0, v0, s[8:9] offset:152
	s_wait_loadcnt 0x0
	v_cmp_eq_u32_e32 vcc_lo, 39, v0
	s_cbranch_vccnz .LBB121_400
; %bb.399:
	s_wait_xcnt 0x0
	v_lshlrev_b32_e32 v0, 3, v0
	s_delay_alu instid0(VALU_DEP_1)
	v_mov_b32_e32 v120, v0
	scratch_load_b64 v[0:1], v120, off offset:-8
	scratch_load_b64 v[118:119], off, off offset:304
	s_wait_loadcnt 0x1
	scratch_store_b64 off, v[0:1], off offset:304
	s_wait_loadcnt 0x0
	scratch_store_b64 v120, v[118:119], off offset:-8
.LBB121_400:
	s_wait_xcnt 0x0
	v_mov_b32_e32 v0, 0
	global_load_b32 v1, v0, s[8:9] offset:148
	s_wait_loadcnt 0x0
	v_cmp_eq_u32_e32 vcc_lo, 38, v1
	s_cbranch_vccnz .LBB121_402
; %bb.401:
	v_lshlrev_b32_e32 v1, 3, v1
	scratch_load_b64 v[118:119], v1, off offset:-8
	scratch_load_b64 v[120:121], off, off offset:296
	s_wait_loadcnt 0x1
	scratch_store_b64 off, v[118:119], off offset:296
	s_wait_loadcnt 0x0
	scratch_store_b64 v1, v[120:121], off offset:-8
.LBB121_402:
	global_load_b32 v0, v0, s[8:9] offset:144
	s_wait_loadcnt 0x0
	v_cmp_eq_u32_e32 vcc_lo, 37, v0
	s_cbranch_vccnz .LBB121_404
; %bb.403:
	s_wait_xcnt 0x0
	v_lshlrev_b32_e32 v0, 3, v0
	s_delay_alu instid0(VALU_DEP_1)
	v_mov_b32_e32 v120, v0
	scratch_load_b64 v[0:1], v120, off offset:-8
	scratch_load_b64 v[118:119], off, off offset:288
	s_wait_loadcnt 0x1
	scratch_store_b64 off, v[0:1], off offset:288
	s_wait_loadcnt 0x0
	scratch_store_b64 v120, v[118:119], off offset:-8
.LBB121_404:
	s_wait_xcnt 0x0
	v_mov_b32_e32 v0, 0
	global_load_b32 v1, v0, s[8:9] offset:140
	s_wait_loadcnt 0x0
	v_cmp_eq_u32_e32 vcc_lo, 36, v1
	s_cbranch_vccnz .LBB121_406
; %bb.405:
	v_lshlrev_b32_e32 v1, 3, v1
	scratch_load_b64 v[118:119], v1, off offset:-8
	scratch_load_b64 v[120:121], off, off offset:280
	s_wait_loadcnt 0x1
	scratch_store_b64 off, v[118:119], off offset:280
	s_wait_loadcnt 0x0
	scratch_store_b64 v1, v[120:121], off offset:-8
.LBB121_406:
	global_load_b32 v0, v0, s[8:9] offset:136
	s_wait_loadcnt 0x0
	v_cmp_eq_u32_e32 vcc_lo, 35, v0
	s_cbranch_vccnz .LBB121_408
; %bb.407:
	s_wait_xcnt 0x0
	v_lshlrev_b32_e32 v0, 3, v0
	s_delay_alu instid0(VALU_DEP_1)
	v_mov_b32_e32 v120, v0
	scratch_load_b64 v[0:1], v120, off offset:-8
	scratch_load_b64 v[118:119], off, off offset:272
	s_wait_loadcnt 0x1
	scratch_store_b64 off, v[0:1], off offset:272
	s_wait_loadcnt 0x0
	scratch_store_b64 v120, v[118:119], off offset:-8
.LBB121_408:
	s_wait_xcnt 0x0
	v_mov_b32_e32 v0, 0
	global_load_b32 v1, v0, s[8:9] offset:132
	s_wait_loadcnt 0x0
	v_cmp_eq_u32_e32 vcc_lo, 34, v1
	s_cbranch_vccnz .LBB121_410
; %bb.409:
	v_lshlrev_b32_e32 v1, 3, v1
	scratch_load_b64 v[118:119], v1, off offset:-8
	scratch_load_b64 v[120:121], off, off offset:264
	s_wait_loadcnt 0x1
	scratch_store_b64 off, v[118:119], off offset:264
	s_wait_loadcnt 0x0
	scratch_store_b64 v1, v[120:121], off offset:-8
.LBB121_410:
	global_load_b32 v0, v0, s[8:9] offset:128
	s_wait_loadcnt 0x0
	v_cmp_eq_u32_e32 vcc_lo, 33, v0
	s_cbranch_vccnz .LBB121_412
; %bb.411:
	s_wait_xcnt 0x0
	v_lshlrev_b32_e32 v0, 3, v0
	s_delay_alu instid0(VALU_DEP_1)
	v_mov_b32_e32 v120, v0
	scratch_load_b64 v[0:1], v120, off offset:-8
	scratch_load_b64 v[118:119], off, off offset:256
	s_wait_loadcnt 0x1
	scratch_store_b64 off, v[0:1], off offset:256
	s_wait_loadcnt 0x0
	scratch_store_b64 v120, v[118:119], off offset:-8
.LBB121_412:
	s_wait_xcnt 0x0
	v_mov_b32_e32 v0, 0
	global_load_b32 v1, v0, s[8:9] offset:124
	s_wait_loadcnt 0x0
	v_cmp_eq_u32_e32 vcc_lo, 32, v1
	s_cbranch_vccnz .LBB121_414
; %bb.413:
	v_lshlrev_b32_e32 v1, 3, v1
	scratch_load_b64 v[118:119], v1, off offset:-8
	scratch_load_b64 v[120:121], off, off offset:248
	s_wait_loadcnt 0x1
	scratch_store_b64 off, v[118:119], off offset:248
	s_wait_loadcnt 0x0
	scratch_store_b64 v1, v[120:121], off offset:-8
.LBB121_414:
	global_load_b32 v0, v0, s[8:9] offset:120
	s_wait_loadcnt 0x0
	v_cmp_eq_u32_e32 vcc_lo, 31, v0
	s_cbranch_vccnz .LBB121_416
; %bb.415:
	s_wait_xcnt 0x0
	v_lshlrev_b32_e32 v0, 3, v0
	s_delay_alu instid0(VALU_DEP_1)
	v_mov_b32_e32 v120, v0
	scratch_load_b64 v[0:1], v120, off offset:-8
	scratch_load_b64 v[118:119], off, off offset:240
	s_wait_loadcnt 0x1
	scratch_store_b64 off, v[0:1], off offset:240
	s_wait_loadcnt 0x0
	scratch_store_b64 v120, v[118:119], off offset:-8
.LBB121_416:
	s_wait_xcnt 0x0
	v_mov_b32_e32 v0, 0
	global_load_b32 v1, v0, s[8:9] offset:116
	s_wait_loadcnt 0x0
	v_cmp_eq_u32_e32 vcc_lo, 30, v1
	s_cbranch_vccnz .LBB121_418
; %bb.417:
	v_lshlrev_b32_e32 v1, 3, v1
	scratch_load_b64 v[118:119], v1, off offset:-8
	scratch_load_b64 v[120:121], off, off offset:232
	s_wait_loadcnt 0x1
	scratch_store_b64 off, v[118:119], off offset:232
	s_wait_loadcnt 0x0
	scratch_store_b64 v1, v[120:121], off offset:-8
.LBB121_418:
	global_load_b32 v0, v0, s[8:9] offset:112
	s_wait_loadcnt 0x0
	v_cmp_eq_u32_e32 vcc_lo, 29, v0
	s_cbranch_vccnz .LBB121_420
; %bb.419:
	s_wait_xcnt 0x0
	v_lshlrev_b32_e32 v0, 3, v0
	s_delay_alu instid0(VALU_DEP_1)
	v_mov_b32_e32 v120, v0
	scratch_load_b64 v[0:1], v120, off offset:-8
	scratch_load_b64 v[118:119], off, off offset:224
	s_wait_loadcnt 0x1
	scratch_store_b64 off, v[0:1], off offset:224
	s_wait_loadcnt 0x0
	scratch_store_b64 v120, v[118:119], off offset:-8
.LBB121_420:
	s_wait_xcnt 0x0
	v_mov_b32_e32 v0, 0
	global_load_b32 v1, v0, s[8:9] offset:108
	s_wait_loadcnt 0x0
	v_cmp_eq_u32_e32 vcc_lo, 28, v1
	s_cbranch_vccnz .LBB121_422
; %bb.421:
	v_lshlrev_b32_e32 v1, 3, v1
	scratch_load_b64 v[118:119], v1, off offset:-8
	scratch_load_b64 v[120:121], off, off offset:216
	s_wait_loadcnt 0x1
	scratch_store_b64 off, v[118:119], off offset:216
	s_wait_loadcnt 0x0
	scratch_store_b64 v1, v[120:121], off offset:-8
.LBB121_422:
	global_load_b32 v0, v0, s[8:9] offset:104
	s_wait_loadcnt 0x0
	v_cmp_eq_u32_e32 vcc_lo, 27, v0
	s_cbranch_vccnz .LBB121_424
; %bb.423:
	s_wait_xcnt 0x0
	v_lshlrev_b32_e32 v0, 3, v0
	s_delay_alu instid0(VALU_DEP_1)
	v_mov_b32_e32 v120, v0
	scratch_load_b64 v[0:1], v120, off offset:-8
	scratch_load_b64 v[118:119], off, off offset:208
	s_wait_loadcnt 0x1
	scratch_store_b64 off, v[0:1], off offset:208
	s_wait_loadcnt 0x0
	scratch_store_b64 v120, v[118:119], off offset:-8
.LBB121_424:
	s_wait_xcnt 0x0
	v_mov_b32_e32 v0, 0
	global_load_b32 v1, v0, s[8:9] offset:100
	s_wait_loadcnt 0x0
	v_cmp_eq_u32_e32 vcc_lo, 26, v1
	s_cbranch_vccnz .LBB121_426
; %bb.425:
	v_lshlrev_b32_e32 v1, 3, v1
	scratch_load_b64 v[118:119], v1, off offset:-8
	scratch_load_b64 v[120:121], off, off offset:200
	s_wait_loadcnt 0x1
	scratch_store_b64 off, v[118:119], off offset:200
	s_wait_loadcnt 0x0
	scratch_store_b64 v1, v[120:121], off offset:-8
.LBB121_426:
	global_load_b32 v0, v0, s[8:9] offset:96
	s_wait_loadcnt 0x0
	v_cmp_eq_u32_e32 vcc_lo, 25, v0
	s_cbranch_vccnz .LBB121_428
; %bb.427:
	s_wait_xcnt 0x0
	v_lshlrev_b32_e32 v0, 3, v0
	s_delay_alu instid0(VALU_DEP_1)
	v_mov_b32_e32 v120, v0
	scratch_load_b64 v[0:1], v120, off offset:-8
	scratch_load_b64 v[118:119], off, off offset:192
	s_wait_loadcnt 0x1
	scratch_store_b64 off, v[0:1], off offset:192
	s_wait_loadcnt 0x0
	scratch_store_b64 v120, v[118:119], off offset:-8
.LBB121_428:
	s_wait_xcnt 0x0
	v_mov_b32_e32 v0, 0
	global_load_b32 v1, v0, s[8:9] offset:92
	s_wait_loadcnt 0x0
	v_cmp_eq_u32_e32 vcc_lo, 24, v1
	s_cbranch_vccnz .LBB121_430
; %bb.429:
	v_lshlrev_b32_e32 v1, 3, v1
	scratch_load_b64 v[118:119], v1, off offset:-8
	scratch_load_b64 v[120:121], off, off offset:184
	s_wait_loadcnt 0x1
	scratch_store_b64 off, v[118:119], off offset:184
	s_wait_loadcnt 0x0
	scratch_store_b64 v1, v[120:121], off offset:-8
.LBB121_430:
	global_load_b32 v0, v0, s[8:9] offset:88
	s_wait_loadcnt 0x0
	v_cmp_eq_u32_e32 vcc_lo, 23, v0
	s_cbranch_vccnz .LBB121_432
; %bb.431:
	s_wait_xcnt 0x0
	v_lshlrev_b32_e32 v0, 3, v0
	s_delay_alu instid0(VALU_DEP_1)
	v_mov_b32_e32 v120, v0
	scratch_load_b64 v[0:1], v120, off offset:-8
	scratch_load_b64 v[118:119], off, off offset:176
	s_wait_loadcnt 0x1
	scratch_store_b64 off, v[0:1], off offset:176
	s_wait_loadcnt 0x0
	scratch_store_b64 v120, v[118:119], off offset:-8
.LBB121_432:
	s_wait_xcnt 0x0
	v_mov_b32_e32 v0, 0
	global_load_b32 v1, v0, s[8:9] offset:84
	s_wait_loadcnt 0x0
	v_cmp_eq_u32_e32 vcc_lo, 22, v1
	s_cbranch_vccnz .LBB121_434
; %bb.433:
	v_lshlrev_b32_e32 v1, 3, v1
	scratch_load_b64 v[118:119], v1, off offset:-8
	scratch_load_b64 v[120:121], off, off offset:168
	s_wait_loadcnt 0x1
	scratch_store_b64 off, v[118:119], off offset:168
	s_wait_loadcnt 0x0
	scratch_store_b64 v1, v[120:121], off offset:-8
.LBB121_434:
	global_load_b32 v0, v0, s[8:9] offset:80
	s_wait_loadcnt 0x0
	v_cmp_eq_u32_e32 vcc_lo, 21, v0
	s_cbranch_vccnz .LBB121_436
; %bb.435:
	s_wait_xcnt 0x0
	v_lshlrev_b32_e32 v0, 3, v0
	s_delay_alu instid0(VALU_DEP_1)
	v_mov_b32_e32 v120, v0
	scratch_load_b64 v[0:1], v120, off offset:-8
	scratch_load_b64 v[118:119], off, off offset:160
	s_wait_loadcnt 0x1
	scratch_store_b64 off, v[0:1], off offset:160
	s_wait_loadcnt 0x0
	scratch_store_b64 v120, v[118:119], off offset:-8
.LBB121_436:
	s_wait_xcnt 0x0
	v_mov_b32_e32 v0, 0
	global_load_b32 v1, v0, s[8:9] offset:76
	s_wait_loadcnt 0x0
	v_cmp_eq_u32_e32 vcc_lo, 20, v1
	s_cbranch_vccnz .LBB121_438
; %bb.437:
	v_lshlrev_b32_e32 v1, 3, v1
	scratch_load_b64 v[118:119], v1, off offset:-8
	scratch_load_b64 v[120:121], off, off offset:152
	s_wait_loadcnt 0x1
	scratch_store_b64 off, v[118:119], off offset:152
	s_wait_loadcnt 0x0
	scratch_store_b64 v1, v[120:121], off offset:-8
.LBB121_438:
	global_load_b32 v0, v0, s[8:9] offset:72
	s_wait_loadcnt 0x0
	v_cmp_eq_u32_e32 vcc_lo, 19, v0
	s_cbranch_vccnz .LBB121_440
; %bb.439:
	s_wait_xcnt 0x0
	v_lshlrev_b32_e32 v0, 3, v0
	s_delay_alu instid0(VALU_DEP_1)
	v_mov_b32_e32 v120, v0
	scratch_load_b64 v[0:1], v120, off offset:-8
	scratch_load_b64 v[118:119], off, off offset:144
	s_wait_loadcnt 0x1
	scratch_store_b64 off, v[0:1], off offset:144
	s_wait_loadcnt 0x0
	scratch_store_b64 v120, v[118:119], off offset:-8
.LBB121_440:
	s_wait_xcnt 0x0
	v_mov_b32_e32 v0, 0
	global_load_b32 v1, v0, s[8:9] offset:68
	s_wait_loadcnt 0x0
	v_cmp_eq_u32_e32 vcc_lo, 18, v1
	s_cbranch_vccnz .LBB121_442
; %bb.441:
	v_lshlrev_b32_e32 v1, 3, v1
	scratch_load_b64 v[118:119], v1, off offset:-8
	scratch_load_b64 v[120:121], off, off offset:136
	s_wait_loadcnt 0x1
	scratch_store_b64 off, v[118:119], off offset:136
	s_wait_loadcnt 0x0
	scratch_store_b64 v1, v[120:121], off offset:-8
.LBB121_442:
	global_load_b32 v0, v0, s[8:9] offset:64
	s_wait_loadcnt 0x0
	v_cmp_eq_u32_e32 vcc_lo, 17, v0
	s_cbranch_vccnz .LBB121_444
; %bb.443:
	s_wait_xcnt 0x0
	v_lshlrev_b32_e32 v0, 3, v0
	s_delay_alu instid0(VALU_DEP_1)
	v_mov_b32_e32 v120, v0
	scratch_load_b64 v[0:1], v120, off offset:-8
	scratch_load_b64 v[118:119], off, off offset:128
	s_wait_loadcnt 0x1
	scratch_store_b64 off, v[0:1], off offset:128
	s_wait_loadcnt 0x0
	scratch_store_b64 v120, v[118:119], off offset:-8
.LBB121_444:
	s_wait_xcnt 0x0
	v_mov_b32_e32 v0, 0
	global_load_b32 v1, v0, s[8:9] offset:60
	s_wait_loadcnt 0x0
	v_cmp_eq_u32_e32 vcc_lo, 16, v1
	s_cbranch_vccnz .LBB121_446
; %bb.445:
	v_lshlrev_b32_e32 v1, 3, v1
	scratch_load_b64 v[118:119], v1, off offset:-8
	scratch_load_b64 v[120:121], off, off offset:120
	s_wait_loadcnt 0x1
	scratch_store_b64 off, v[118:119], off offset:120
	s_wait_loadcnt 0x0
	scratch_store_b64 v1, v[120:121], off offset:-8
.LBB121_446:
	global_load_b32 v0, v0, s[8:9] offset:56
	s_wait_loadcnt 0x0
	v_cmp_eq_u32_e32 vcc_lo, 15, v0
	s_cbranch_vccnz .LBB121_448
; %bb.447:
	s_wait_xcnt 0x0
	v_lshlrev_b32_e32 v0, 3, v0
	s_delay_alu instid0(VALU_DEP_1)
	v_mov_b32_e32 v120, v0
	scratch_load_b64 v[0:1], v120, off offset:-8
	scratch_load_b64 v[118:119], off, off offset:112
	s_wait_loadcnt 0x1
	scratch_store_b64 off, v[0:1], off offset:112
	s_wait_loadcnt 0x0
	scratch_store_b64 v120, v[118:119], off offset:-8
.LBB121_448:
	s_wait_xcnt 0x0
	v_mov_b32_e32 v0, 0
	global_load_b32 v1, v0, s[8:9] offset:52
	s_wait_loadcnt 0x0
	v_cmp_eq_u32_e32 vcc_lo, 14, v1
	s_cbranch_vccnz .LBB121_450
; %bb.449:
	v_lshlrev_b32_e32 v1, 3, v1
	scratch_load_b64 v[118:119], v1, off offset:-8
	scratch_load_b64 v[120:121], off, off offset:104
	s_wait_loadcnt 0x1
	scratch_store_b64 off, v[118:119], off offset:104
	s_wait_loadcnt 0x0
	scratch_store_b64 v1, v[120:121], off offset:-8
.LBB121_450:
	global_load_b32 v0, v0, s[8:9] offset:48
	s_wait_loadcnt 0x0
	v_cmp_eq_u32_e32 vcc_lo, 13, v0
	s_cbranch_vccnz .LBB121_452
; %bb.451:
	s_wait_xcnt 0x0
	v_lshlrev_b32_e32 v0, 3, v0
	s_delay_alu instid0(VALU_DEP_1)
	v_mov_b32_e32 v120, v0
	scratch_load_b64 v[0:1], v120, off offset:-8
	scratch_load_b64 v[118:119], off, off offset:96
	s_wait_loadcnt 0x1
	scratch_store_b64 off, v[0:1], off offset:96
	s_wait_loadcnt 0x0
	scratch_store_b64 v120, v[118:119], off offset:-8
.LBB121_452:
	s_wait_xcnt 0x0
	v_mov_b32_e32 v0, 0
	global_load_b32 v1, v0, s[8:9] offset:44
	s_wait_loadcnt 0x0
	v_cmp_eq_u32_e32 vcc_lo, 12, v1
	s_cbranch_vccnz .LBB121_454
; %bb.453:
	v_lshlrev_b32_e32 v1, 3, v1
	scratch_load_b64 v[118:119], v1, off offset:-8
	scratch_load_b64 v[120:121], off, off offset:88
	s_wait_loadcnt 0x1
	scratch_store_b64 off, v[118:119], off offset:88
	s_wait_loadcnt 0x0
	scratch_store_b64 v1, v[120:121], off offset:-8
.LBB121_454:
	global_load_b32 v0, v0, s[8:9] offset:40
	s_wait_loadcnt 0x0
	v_cmp_eq_u32_e32 vcc_lo, 11, v0
	s_cbranch_vccnz .LBB121_456
; %bb.455:
	s_wait_xcnt 0x0
	v_lshlrev_b32_e32 v0, 3, v0
	s_delay_alu instid0(VALU_DEP_1)
	v_mov_b32_e32 v120, v0
	scratch_load_b64 v[0:1], v120, off offset:-8
	scratch_load_b64 v[118:119], off, off offset:80
	s_wait_loadcnt 0x1
	scratch_store_b64 off, v[0:1], off offset:80
	s_wait_loadcnt 0x0
	scratch_store_b64 v120, v[118:119], off offset:-8
.LBB121_456:
	s_wait_xcnt 0x0
	v_mov_b32_e32 v0, 0
	global_load_b32 v1, v0, s[8:9] offset:36
	s_wait_loadcnt 0x0
	v_cmp_eq_u32_e32 vcc_lo, 10, v1
	s_cbranch_vccnz .LBB121_458
; %bb.457:
	v_lshlrev_b32_e32 v1, 3, v1
	scratch_load_b64 v[118:119], v1, off offset:-8
	scratch_load_b64 v[120:121], off, off offset:72
	s_wait_loadcnt 0x1
	scratch_store_b64 off, v[118:119], off offset:72
	s_wait_loadcnt 0x0
	scratch_store_b64 v1, v[120:121], off offset:-8
.LBB121_458:
	global_load_b32 v0, v0, s[8:9] offset:32
	s_wait_loadcnt 0x0
	v_cmp_eq_u32_e32 vcc_lo, 9, v0
	s_cbranch_vccnz .LBB121_460
; %bb.459:
	s_wait_xcnt 0x0
	v_lshlrev_b32_e32 v0, 3, v0
	s_delay_alu instid0(VALU_DEP_1)
	v_mov_b32_e32 v120, v0
	scratch_load_b64 v[0:1], v120, off offset:-8
	scratch_load_b64 v[118:119], off, off offset:64
	s_wait_loadcnt 0x1
	scratch_store_b64 off, v[0:1], off offset:64
	s_wait_loadcnt 0x0
	scratch_store_b64 v120, v[118:119], off offset:-8
.LBB121_460:
	s_wait_xcnt 0x0
	v_mov_b32_e32 v0, 0
	global_load_b32 v1, v0, s[8:9] offset:28
	s_wait_loadcnt 0x0
	v_cmp_eq_u32_e32 vcc_lo, 8, v1
	s_cbranch_vccnz .LBB121_462
; %bb.461:
	v_lshlrev_b32_e32 v1, 3, v1
	scratch_load_b64 v[118:119], v1, off offset:-8
	scratch_load_b64 v[120:121], off, off offset:56
	s_wait_loadcnt 0x1
	scratch_store_b64 off, v[118:119], off offset:56
	s_wait_loadcnt 0x0
	scratch_store_b64 v1, v[120:121], off offset:-8
.LBB121_462:
	global_load_b32 v0, v0, s[8:9] offset:24
	s_wait_loadcnt 0x0
	v_cmp_eq_u32_e32 vcc_lo, 7, v0
	s_cbranch_vccnz .LBB121_464
; %bb.463:
	s_wait_xcnt 0x0
	v_lshlrev_b32_e32 v0, 3, v0
	s_delay_alu instid0(VALU_DEP_1)
	v_mov_b32_e32 v120, v0
	scratch_load_b64 v[0:1], v120, off offset:-8
	scratch_load_b64 v[118:119], off, off offset:48
	s_wait_loadcnt 0x1
	scratch_store_b64 off, v[0:1], off offset:48
	s_wait_loadcnt 0x0
	scratch_store_b64 v120, v[118:119], off offset:-8
.LBB121_464:
	s_wait_xcnt 0x0
	v_mov_b32_e32 v0, 0
	global_load_b32 v1, v0, s[8:9] offset:20
	s_wait_loadcnt 0x0
	v_cmp_eq_u32_e32 vcc_lo, 6, v1
	s_cbranch_vccnz .LBB121_466
; %bb.465:
	v_lshlrev_b32_e32 v1, 3, v1
	scratch_load_b64 v[118:119], v1, off offset:-8
	scratch_load_b64 v[120:121], off, off offset:40
	s_wait_loadcnt 0x1
	scratch_store_b64 off, v[118:119], off offset:40
	s_wait_loadcnt 0x0
	scratch_store_b64 v1, v[120:121], off offset:-8
.LBB121_466:
	global_load_b32 v0, v0, s[8:9] offset:16
	s_wait_loadcnt 0x0
	v_cmp_eq_u32_e32 vcc_lo, 5, v0
	s_cbranch_vccnz .LBB121_468
; %bb.467:
	s_wait_xcnt 0x0
	v_lshlrev_b32_e32 v0, 3, v0
	s_delay_alu instid0(VALU_DEP_1)
	v_mov_b32_e32 v120, v0
	scratch_load_b64 v[0:1], v120, off offset:-8
	scratch_load_b64 v[118:119], off, off offset:32
	s_wait_loadcnt 0x1
	scratch_store_b64 off, v[0:1], off offset:32
	s_wait_loadcnt 0x0
	scratch_store_b64 v120, v[118:119], off offset:-8
.LBB121_468:
	s_wait_xcnt 0x0
	v_mov_b32_e32 v0, 0
	global_load_b32 v1, v0, s[8:9] offset:12
	s_wait_loadcnt 0x0
	v_cmp_eq_u32_e32 vcc_lo, 4, v1
	s_cbranch_vccnz .LBB121_470
; %bb.469:
	v_lshlrev_b32_e32 v1, 3, v1
	scratch_load_b64 v[118:119], v1, off offset:-8
	scratch_load_b64 v[120:121], off, off offset:24
	s_wait_loadcnt 0x1
	scratch_store_b64 off, v[118:119], off offset:24
	s_wait_loadcnt 0x0
	scratch_store_b64 v1, v[120:121], off offset:-8
.LBB121_470:
	global_load_b32 v0, v0, s[8:9] offset:8
	s_wait_loadcnt 0x0
	v_cmp_eq_u32_e32 vcc_lo, 3, v0
	s_cbranch_vccnz .LBB121_472
; %bb.471:
	s_wait_xcnt 0x0
	v_lshlrev_b32_e32 v0, 3, v0
	s_delay_alu instid0(VALU_DEP_1)
	v_mov_b32_e32 v120, v0
	scratch_load_b64 v[0:1], v120, off offset:-8
	scratch_load_b64 v[118:119], off, off offset:16
	s_wait_loadcnt 0x1
	scratch_store_b64 off, v[0:1], off offset:16
	s_wait_loadcnt 0x0
	scratch_store_b64 v120, v[118:119], off offset:-8
.LBB121_472:
	s_wait_xcnt 0x0
	v_mov_b32_e32 v0, 0
	global_load_b32 v1, v0, s[8:9] offset:4
	s_wait_loadcnt 0x0
	v_cmp_eq_u32_e32 vcc_lo, 2, v1
	s_cbranch_vccnz .LBB121_474
; %bb.473:
	v_lshlrev_b32_e32 v1, 3, v1
	scratch_load_b64 v[118:119], v1, off offset:-8
	scratch_load_b64 v[120:121], off, off offset:8
	s_wait_loadcnt 0x1
	scratch_store_b64 off, v[118:119], off offset:8
	s_wait_loadcnt 0x0
	scratch_store_b64 v1, v[120:121], off offset:-8
.LBB121_474:
	global_load_b32 v0, v0, s[8:9]
	scratch_load_b64 v[122:123], off, off
	s_wait_loadcnt 0x1
	v_cmp_eq_u32_e32 vcc_lo, 1, v0
	s_cbranch_vccnz .LBB121_476
; %bb.475:
	s_wait_xcnt 0x1
	v_lshlrev_b32_e32 v0, 3, v0
	s_delay_alu instid0(VALU_DEP_1)
	v_mov_b32_e32 v118, v0
	scratch_load_b64 v[0:1], v118, off offset:-8
	s_wait_loadcnt 0x0
	scratch_store_b64 off, v[0:1], off
	scratch_store_b64 v118, v[122:123], off offset:-8
	scratch_load_b64 v[122:123], off, off
.LBB121_476:
	s_wait_loadcnt 0x0
	flat_store_b64 v[2:3], v[122:123]
	scratch_load_b64 v[2:3], off, off offset:8
	v_lshl_add_u64 v[172:173], v[6:7], 3, s[2:3]
	v_lshl_add_u64 v[170:171], v[8:9], 3, s[2:3]
	;; [unrolled: 1-line block ×56, first 2 shown]
	s_wait_loadcnt 0x0
	flat_store_b64 v[4:5], v[2:3]
	scratch_load_b64 v[2:3], off, off offset:16
	s_wait_loadcnt 0x0
	flat_store_b64 v[172:173], v[2:3]
	scratch_load_b64 v[2:3], off, off offset:24
	;; [unrolled: 3-line block ×56, first 2 shown]
	s_wait_loadcnt 0x0
	flat_store_b64 v[0:1], v[2:3]
	s_sendmsg sendmsg(MSG_DEALLOC_VGPRS)
	s_endpgm
	.section	.rodata,"a",@progbits
	.p2align	6, 0x0
	.amdhsa_kernel _ZN9rocsolver6v33100L18getri_kernel_smallILi58E19rocblas_complex_numIfEPKPS3_EEvT1_iilPiilS8_bb
		.amdhsa_group_segment_fixed_size 932
		.amdhsa_private_segment_fixed_size 480
		.amdhsa_kernarg_size 60
		.amdhsa_user_sgpr_count 2
		.amdhsa_user_sgpr_dispatch_ptr 0
		.amdhsa_user_sgpr_queue_ptr 0
		.amdhsa_user_sgpr_kernarg_segment_ptr 1
		.amdhsa_user_sgpr_dispatch_id 0
		.amdhsa_user_sgpr_kernarg_preload_length 0
		.amdhsa_user_sgpr_kernarg_preload_offset 0
		.amdhsa_user_sgpr_private_segment_size 0
		.amdhsa_wavefront_size32 1
		.amdhsa_uses_dynamic_stack 0
		.amdhsa_enable_private_segment 1
		.amdhsa_system_sgpr_workgroup_id_x 1
		.amdhsa_system_sgpr_workgroup_id_y 0
		.amdhsa_system_sgpr_workgroup_id_z 0
		.amdhsa_system_sgpr_workgroup_info 0
		.amdhsa_system_vgpr_workitem_id 0
		.amdhsa_next_free_vgpr 348
		.amdhsa_next_free_sgpr 19
		.amdhsa_named_barrier_count 0
		.amdhsa_reserve_vcc 1
		.amdhsa_float_round_mode_32 0
		.amdhsa_float_round_mode_16_64 0
		.amdhsa_float_denorm_mode_32 3
		.amdhsa_float_denorm_mode_16_64 3
		.amdhsa_fp16_overflow 0
		.amdhsa_memory_ordered 1
		.amdhsa_forward_progress 1
		.amdhsa_inst_pref_size 255
		.amdhsa_round_robin_scheduling 0
		.amdhsa_exception_fp_ieee_invalid_op 0
		.amdhsa_exception_fp_denorm_src 0
		.amdhsa_exception_fp_ieee_div_zero 0
		.amdhsa_exception_fp_ieee_overflow 0
		.amdhsa_exception_fp_ieee_underflow 0
		.amdhsa_exception_fp_ieee_inexact 0
		.amdhsa_exception_int_div_zero 0
	.end_amdhsa_kernel
	.section	.text._ZN9rocsolver6v33100L18getri_kernel_smallILi58E19rocblas_complex_numIfEPKPS3_EEvT1_iilPiilS8_bb,"axG",@progbits,_ZN9rocsolver6v33100L18getri_kernel_smallILi58E19rocblas_complex_numIfEPKPS3_EEvT1_iilPiilS8_bb,comdat
.Lfunc_end121:
	.size	_ZN9rocsolver6v33100L18getri_kernel_smallILi58E19rocblas_complex_numIfEPKPS3_EEvT1_iilPiilS8_bb, .Lfunc_end121-_ZN9rocsolver6v33100L18getri_kernel_smallILi58E19rocblas_complex_numIfEPKPS3_EEvT1_iilPiilS8_bb
                                        ; -- End function
	.set _ZN9rocsolver6v33100L18getri_kernel_smallILi58E19rocblas_complex_numIfEPKPS3_EEvT1_iilPiilS8_bb.num_vgpr, 348
	.set _ZN9rocsolver6v33100L18getri_kernel_smallILi58E19rocblas_complex_numIfEPKPS3_EEvT1_iilPiilS8_bb.num_agpr, 0
	.set _ZN9rocsolver6v33100L18getri_kernel_smallILi58E19rocblas_complex_numIfEPKPS3_EEvT1_iilPiilS8_bb.numbered_sgpr, 19
	.set _ZN9rocsolver6v33100L18getri_kernel_smallILi58E19rocblas_complex_numIfEPKPS3_EEvT1_iilPiilS8_bb.num_named_barrier, 0
	.set _ZN9rocsolver6v33100L18getri_kernel_smallILi58E19rocblas_complex_numIfEPKPS3_EEvT1_iilPiilS8_bb.private_seg_size, 480
	.set _ZN9rocsolver6v33100L18getri_kernel_smallILi58E19rocblas_complex_numIfEPKPS3_EEvT1_iilPiilS8_bb.uses_vcc, 1
	.set _ZN9rocsolver6v33100L18getri_kernel_smallILi58E19rocblas_complex_numIfEPKPS3_EEvT1_iilPiilS8_bb.uses_flat_scratch, 1
	.set _ZN9rocsolver6v33100L18getri_kernel_smallILi58E19rocblas_complex_numIfEPKPS3_EEvT1_iilPiilS8_bb.has_dyn_sized_stack, 0
	.set _ZN9rocsolver6v33100L18getri_kernel_smallILi58E19rocblas_complex_numIfEPKPS3_EEvT1_iilPiilS8_bb.has_recursion, 0
	.set _ZN9rocsolver6v33100L18getri_kernel_smallILi58E19rocblas_complex_numIfEPKPS3_EEvT1_iilPiilS8_bb.has_indirect_call, 0
	.section	.AMDGPU.csdata,"",@progbits
; Kernel info:
; codeLenInByte = 123480
; TotalNumSgprs: 21
; NumVgprs: 348
; ScratchSize: 480
; MemoryBound: 0
; FloatMode: 240
; IeeeMode: 1
; LDSByteSize: 932 bytes/workgroup (compile time only)
; SGPRBlocks: 0
; VGPRBlocks: 21
; NumSGPRsForWavesPerEU: 21
; NumVGPRsForWavesPerEU: 348
; NamedBarCnt: 0
; Occupancy: 2
; WaveLimiterHint : 1
; COMPUTE_PGM_RSRC2:SCRATCH_EN: 1
; COMPUTE_PGM_RSRC2:USER_SGPR: 2
; COMPUTE_PGM_RSRC2:TRAP_HANDLER: 0
; COMPUTE_PGM_RSRC2:TGID_X_EN: 1
; COMPUTE_PGM_RSRC2:TGID_Y_EN: 0
; COMPUTE_PGM_RSRC2:TGID_Z_EN: 0
; COMPUTE_PGM_RSRC2:TIDIG_COMP_CNT: 0
	.section	.text._ZN9rocsolver6v33100L18getri_kernel_smallILi59E19rocblas_complex_numIfEPKPS3_EEvT1_iilPiilS8_bb,"axG",@progbits,_ZN9rocsolver6v33100L18getri_kernel_smallILi59E19rocblas_complex_numIfEPKPS3_EEvT1_iilPiilS8_bb,comdat
	.globl	_ZN9rocsolver6v33100L18getri_kernel_smallILi59E19rocblas_complex_numIfEPKPS3_EEvT1_iilPiilS8_bb ; -- Begin function _ZN9rocsolver6v33100L18getri_kernel_smallILi59E19rocblas_complex_numIfEPKPS3_EEvT1_iilPiilS8_bb
	.p2align	8
	.type	_ZN9rocsolver6v33100L18getri_kernel_smallILi59E19rocblas_complex_numIfEPKPS3_EEvT1_iilPiilS8_bb,@function
_ZN9rocsolver6v33100L18getri_kernel_smallILi59E19rocblas_complex_numIfEPKPS3_EEvT1_iilPiilS8_bb: ; @_ZN9rocsolver6v33100L18getri_kernel_smallILi59E19rocblas_complex_numIfEPKPS3_EEvT1_iilPiilS8_bb
; %bb.0:
	s_mov_b32 s2, exec_lo
	v_cmpx_gt_u32_e32 59, v0
	s_cbranch_execz .LBB122_250
; %bb.1:
	s_clause 0x1
	s_load_b32 s13, s[0:1], 0x38
	s_load_b64 s[2:3], s[0:1], 0x0
	s_getreg_b32 s6, hwreg(HW_REG_IB_STS2, 6, 4)
	s_wait_kmcnt 0x0
	s_bitcmp1_b32 s13, 8
	s_cselect_b32 s12, -1, 0
	s_bfe_u32 s4, ttmp6, 0x4000c
	s_and_b32 s5, ttmp6, 15
	s_add_co_i32 s4, s4, 1
	s_delay_alu instid0(SALU_CYCLE_1) | instskip(NEXT) | instid1(SALU_CYCLE_1)
	s_mul_i32 s4, ttmp9, s4
	s_add_co_i32 s5, s5, s4
	s_cmp_eq_u32 s6, 0
	s_cselect_b32 s10, ttmp9, s5
	s_load_b128 s[4:7], s[0:1], 0x28
	s_ashr_i32 s11, s10, 31
	s_delay_alu instid0(SALU_CYCLE_1) | instskip(NEXT) | instid1(SALU_CYCLE_1)
	s_lshl_b64 s[8:9], s[10:11], 3
	s_add_nc_u64 s[2:3], s[2:3], s[8:9]
	s_bfe_u32 s8, s13, 0x10008
	s_load_b64 s[2:3], s[2:3], 0x0
	s_cmp_eq_u32 s8, 0
                                        ; implicit-def: $sgpr8_sgpr9
	s_cbranch_scc1 .LBB122_3
; %bb.2:
	s_load_b96 s[16:18], s[0:1], 0x18
	s_wait_kmcnt 0x0
	s_mul_u64 s[4:5], s[4:5], s[10:11]
	s_delay_alu instid0(SALU_CYCLE_1) | instskip(SKIP_4) | instid1(SALU_CYCLE_1)
	s_lshl_b64 s[4:5], s[4:5], 2
	s_ashr_i32 s9, s18, 31
	s_mov_b32 s8, s18
	s_add_nc_u64 s[4:5], s[16:17], s[4:5]
	s_lshl_b64 s[8:9], s[8:9], 2
	s_add_nc_u64 s[8:9], s[4:5], s[8:9]
.LBB122_3:
	s_wait_kmcnt 0x0
	s_clause 0x1
	s_load_b64 s[4:5], s[0:1], 0x8
	s_load_b32 s13, s[0:1], 0x38
	v_dual_mov_b32 v121, 0 :: v_dual_lshlrev_b32 v120, 3, v0
	s_wait_kmcnt 0x0
	s_ashr_i32 s1, s4, 31
	s_mov_b32 s0, s4
	s_delay_alu instid0(SALU_CYCLE_1) | instskip(NEXT) | instid1(SALU_CYCLE_1)
	s_lshl_b64 s[0:1], s[0:1], 3
	s_add_nc_u64 s[2:3], s[2:3], s[0:1]
	s_ashr_i32 s1, s5, 31
	flat_load_b64 v[6:7], v0, s[2:3] scale_offset
	v_add_nc_u64_e32 v[2:3], s[2:3], v[120:121]
	s_mov_b32 s0, s5
	s_bitcmp0_b32 s13, 0
	s_delay_alu instid0(VALU_DEP_1)
	v_lshl_add_u64 v[4:5], s[0:1], 3, v[2:3]
	s_mov_b32 s1, -1
	s_wait_loadcnt_dscnt 0x0
	scratch_store_b64 off, v[6:7], off
	flat_load_b64 v[8:9], v[4:5]
	s_wait_xcnt 0x1
	v_add3_u32 v6, s5, s5, v0
	s_wait_loadcnt_dscnt 0x0
	scratch_store_b64 off, v[8:9], off offset:8
	flat_load_b64 v[10:11], v6, s[2:3] scale_offset
	s_wait_xcnt 0x1
	v_add_nc_u32_e32 v8, s5, v6
	s_wait_loadcnt_dscnt 0x0
	scratch_store_b64 off, v[10:11], off offset:16
	flat_load_b64 v[12:13], v8, s[2:3] scale_offset
	s_wait_xcnt 0x1
	v_add_nc_u32_e32 v10, s5, v8
	;; [unrolled: 5-line block ×56, first 2 shown]
	s_wait_loadcnt_dscnt 0x0
	scratch_store_b64 off, v[122:123], off offset:456
	flat_load_b64 v[122:123], v118, s[2:3] scale_offset
	s_wait_loadcnt_dscnt 0x0
	scratch_store_b64 off, v[122:123], off offset:464
	s_cbranch_scc1 .LBB122_248
; %bb.4:
	v_cmp_eq_u32_e64 s0, 0, v0
	s_wait_xcnt 0x0
	s_and_saveexec_b32 s1, s0
; %bb.5:
	v_mov_b32_e32 v1, 0
	ds_store_b32 v1, v1 offset:472
; %bb.6:
	s_or_b32 exec_lo, exec_lo, s1
	s_wait_storecnt_dscnt 0x0
	s_barrier_signal -1
	s_barrier_wait -1
	scratch_load_b64 v[122:123], v0, off scale_offset
	s_wait_loadcnt 0x0
	v_cmp_eq_f32_e32 vcc_lo, 0, v122
	v_cmp_eq_f32_e64 s1, 0, v123
	s_and_b32 s1, vcc_lo, s1
	s_delay_alu instid0(SALU_CYCLE_1)
	s_and_saveexec_b32 s4, s1
	s_cbranch_execz .LBB122_10
; %bb.7:
	v_mov_b32_e32 v1, 0
	s_mov_b32 s5, 0
	ds_load_b32 v7, v1 offset:472
	s_wait_dscnt 0x0
	v_readfirstlane_b32 s1, v7
	v_add_nc_u32_e32 v7, 1, v0
	s_cmp_eq_u32 s1, 0
	s_delay_alu instid0(VALU_DEP_1) | instskip(SKIP_1) | instid1(SALU_CYCLE_1)
	v_cmp_gt_i32_e32 vcc_lo, s1, v7
	s_cselect_b32 s13, -1, 0
	s_or_b32 s13, s13, vcc_lo
	s_delay_alu instid0(SALU_CYCLE_1)
	s_and_b32 exec_lo, exec_lo, s13
	s_cbranch_execz .LBB122_10
; %bb.8:
	v_mov_b32_e32 v9, s1
.LBB122_9:                              ; =>This Inner Loop Header: Depth=1
	ds_cmpstore_rtn_b32 v9, v1, v7, v9 offset:472
	s_wait_dscnt 0x0
	v_cmp_ne_u32_e32 vcc_lo, 0, v9
	v_cmp_le_i32_e64 s1, v9, v7
	s_and_b32 s1, vcc_lo, s1
	s_delay_alu instid0(SALU_CYCLE_1) | instskip(NEXT) | instid1(SALU_CYCLE_1)
	s_and_b32 s1, exec_lo, s1
	s_or_b32 s5, s1, s5
	s_delay_alu instid0(SALU_CYCLE_1)
	s_and_not1_b32 exec_lo, exec_lo, s5
	s_cbranch_execnz .LBB122_9
.LBB122_10:
	s_or_b32 exec_lo, exec_lo, s4
	v_mov_b32_e32 v1, 0
	s_barrier_signal -1
	s_barrier_wait -1
	ds_load_b32 v7, v1 offset:472
	s_and_saveexec_b32 s1, s0
	s_cbranch_execz .LBB122_12
; %bb.11:
	s_lshl_b64 s[4:5], s[10:11], 2
	s_delay_alu instid0(SALU_CYCLE_1)
	s_add_nc_u64 s[4:5], s[6:7], s[4:5]
	s_wait_dscnt 0x0
	global_store_b32 v1, v7, s[4:5]
.LBB122_12:
	s_wait_xcnt 0x0
	s_or_b32 exec_lo, exec_lo, s1
	s_wait_dscnt 0x0
	v_cmp_ne_u32_e32 vcc_lo, 0, v7
	s_mov_b32 s1, 0
	s_cbranch_vccnz .LBB122_248
; %bb.13:
	v_lshl_add_u32 v7, v0, 3, 0
                                        ; implicit-def: $vgpr125
                                        ; implicit-def: $vgpr126
	scratch_load_b64 v[122:123], v7, off
	s_wait_loadcnt 0x0
	v_cmp_ngt_f32_e64 s1, |v122|, |v123|
	s_wait_xcnt 0x0
	s_and_saveexec_b32 s4, s1
	s_delay_alu instid0(SALU_CYCLE_1)
	s_xor_b32 s1, exec_lo, s4
	s_cbranch_execz .LBB122_15
; %bb.14:
	v_div_scale_f32 v1, null, v123, v123, v122
	v_div_scale_f32 v13, vcc_lo, v122, v123, v122
	s_delay_alu instid0(VALU_DEP_2) | instskip(SKIP_1) | instid1(TRANS32_DEP_1)
	v_rcp_f32_e32 v9, v1
	v_nop
	v_fma_f32 v11, -v1, v9, 1.0
	s_delay_alu instid0(VALU_DEP_1) | instskip(NEXT) | instid1(VALU_DEP_1)
	v_fmac_f32_e32 v9, v11, v9
	v_mul_f32_e32 v11, v13, v9
	s_delay_alu instid0(VALU_DEP_1) | instskip(NEXT) | instid1(VALU_DEP_1)
	v_fma_f32 v15, -v1, v11, v13
	v_fmac_f32_e32 v11, v15, v9
	s_delay_alu instid0(VALU_DEP_1) | instskip(NEXT) | instid1(VALU_DEP_1)
	v_fma_f32 v1, -v1, v11, v13
	v_div_fmas_f32 v1, v1, v9, v11
	s_delay_alu instid0(VALU_DEP_1) | instskip(NEXT) | instid1(VALU_DEP_1)
	v_div_fixup_f32 v1, v1, v123, v122
	v_fmac_f32_e32 v123, v122, v1
	s_delay_alu instid0(VALU_DEP_1) | instskip(NEXT) | instid1(VALU_DEP_1)
	v_div_scale_f32 v9, null, v123, v123, -1.0
	v_rcp_f32_e32 v11, v9
	v_nop
	s_delay_alu instid0(TRANS32_DEP_1) | instskip(NEXT) | instid1(VALU_DEP_1)
	v_fma_f32 v13, -v9, v11, 1.0
	v_fmac_f32_e32 v11, v13, v11
	v_div_scale_f32 v13, vcc_lo, -1.0, v123, -1.0
	s_delay_alu instid0(VALU_DEP_1) | instskip(NEXT) | instid1(VALU_DEP_1)
	v_mul_f32_e32 v15, v13, v11
	v_fma_f32 v17, -v9, v15, v13
	s_delay_alu instid0(VALU_DEP_1) | instskip(NEXT) | instid1(VALU_DEP_1)
	v_fmac_f32_e32 v15, v17, v11
	v_fma_f32 v9, -v9, v15, v13
	s_delay_alu instid0(VALU_DEP_1) | instskip(NEXT) | instid1(VALU_DEP_1)
	v_div_fmas_f32 v9, v9, v11, v15
	v_div_fixup_f32 v125, v9, v123, -1.0
                                        ; implicit-def: $vgpr122_vgpr123
	s_delay_alu instid0(VALU_DEP_1) | instskip(NEXT) | instid1(VALU_DEP_1)
	v_mul_f32_e32 v126, v1, v125
	v_xor_b32_e32 v124, 0x80000000, v126
.LBB122_15:
	s_and_not1_saveexec_b32 s1, s1
	s_cbranch_execz .LBB122_17
; %bb.16:
	v_div_scale_f32 v1, null, v122, v122, v123
	v_div_scale_f32 v13, vcc_lo, v123, v122, v123
	s_delay_alu instid0(VALU_DEP_2) | instskip(SKIP_1) | instid1(TRANS32_DEP_1)
	v_rcp_f32_e32 v9, v1
	v_nop
	v_fma_f32 v11, -v1, v9, 1.0
	s_delay_alu instid0(VALU_DEP_1) | instskip(NEXT) | instid1(VALU_DEP_1)
	v_fmac_f32_e32 v9, v11, v9
	v_mul_f32_e32 v11, v13, v9
	s_delay_alu instid0(VALU_DEP_1) | instskip(NEXT) | instid1(VALU_DEP_1)
	v_fma_f32 v15, -v1, v11, v13
	v_fmac_f32_e32 v11, v15, v9
	s_delay_alu instid0(VALU_DEP_1) | instskip(NEXT) | instid1(VALU_DEP_1)
	v_fma_f32 v1, -v1, v11, v13
	v_div_fmas_f32 v1, v1, v9, v11
	s_delay_alu instid0(VALU_DEP_1) | instskip(NEXT) | instid1(VALU_DEP_1)
	v_div_fixup_f32 v1, v1, v122, v123
	v_fmac_f32_e32 v122, v123, v1
	s_delay_alu instid0(VALU_DEP_1) | instskip(SKIP_1) | instid1(VALU_DEP_2)
	v_div_scale_f32 v9, null, v122, v122, 1.0
	v_div_scale_f32 v15, vcc_lo, 1.0, v122, 1.0
	v_rcp_f32_e32 v11, v9
	v_nop
	s_delay_alu instid0(TRANS32_DEP_1) | instskip(NEXT) | instid1(VALU_DEP_1)
	v_fma_f32 v13, -v9, v11, 1.0
	v_fmac_f32_e32 v11, v13, v11
	s_delay_alu instid0(VALU_DEP_1) | instskip(NEXT) | instid1(VALU_DEP_1)
	v_mul_f32_e32 v13, v15, v11
	v_fma_f32 v17, -v9, v13, v15
	s_delay_alu instid0(VALU_DEP_1) | instskip(NEXT) | instid1(VALU_DEP_1)
	v_fmac_f32_e32 v13, v17, v11
	v_fma_f32 v9, -v9, v13, v15
	s_delay_alu instid0(VALU_DEP_1) | instskip(NEXT) | instid1(VALU_DEP_1)
	v_div_fmas_f32 v9, v9, v11, v13
	v_div_fixup_f32 v124, v9, v122, 1.0
	s_delay_alu instid0(VALU_DEP_1)
	v_xor_b32_e32 v126, 0x80000000, v124
	v_mul_f32_e64 v125, v1, -v124
.LBB122_17:
	s_or_b32 exec_lo, exec_lo, s1
	scratch_store_b64 v7, v[124:125], off
	scratch_load_b64 v[122:123], off, off offset:8
	v_xor_b32_e32 v127, 0x80000000, v125
	v_add_nc_u32_e32 v1, 0x1e0, v120
	s_wait_loadcnt 0x0
	ds_store_2addr_b64 v120, v[126:127], v[122:123] offset1:60
	s_wait_storecnt_dscnt 0x0
	s_barrier_signal -1
	s_barrier_wait -1
	s_wait_xcnt 0x0
	s_and_saveexec_b32 s1, s0
	s_cbranch_execz .LBB122_19
; %bb.18:
	scratch_load_b64 v[122:123], v7, off
	ds_load_b64 v[124:125], v1
	s_wait_loadcnt_dscnt 0x0
	v_pk_mul_f32 v[128:129], v[124:125], v[122:123] op_sel:[1,1] op_sel_hi:[0,1]
	s_delay_alu instid0(VALU_DEP_1) | instskip(SKIP_2) | instid1(VALU_DEP_3)
	v_pk_fma_f32 v[130:131], v[124:125], v[122:123], v[128:129] op_sel_hi:[1,0,1]
	v_mov_b32_e32 v9, 0
	v_pk_fma_f32 v[122:123], v[124:125], v[122:123], v[128:129] neg_lo:[0,0,1] neg_hi:[0,0,1]
	v_mov_b32_e32 v123, v131
	ds_load_b64 v[126:127], v9 offset:8
	v_pk_add_f32 v[122:123], v[122:123], 0 op_sel_hi:[1,0]
	s_wait_dscnt 0x0
	s_delay_alu instid0(VALU_DEP_1) | instskip(NEXT) | instid1(VALU_DEP_1)
	v_pk_mul_f32 v[124:125], v[122:123], v[126:127] op_sel:[1,1] op_sel_hi:[0,1]
	v_pk_fma_f32 v[128:129], v[122:123], v[126:127], v[124:125] op_sel_hi:[1,0,1]
	v_pk_fma_f32 v[122:123], v[122:123], v[126:127], v[124:125] neg_lo:[0,0,1] neg_hi:[0,0,1]
	s_delay_alu instid0(VALU_DEP_2)
	v_mov_b32_e32 v123, v129
	scratch_store_b64 off, v[122:123], off offset:8
.LBB122_19:
	s_wait_xcnt 0x0
	s_or_b32 exec_lo, exec_lo, s1
	s_wait_storecnt 0x0
	s_barrier_signal -1
	s_barrier_wait -1
	scratch_load_b64 v[122:123], off, off offset:16
	s_mov_b32 s1, exec_lo
	s_wait_loadcnt 0x0
	ds_store_b64 v1, v[122:123]
	s_wait_dscnt 0x0
	s_barrier_signal -1
	s_barrier_wait -1
	v_cmpx_gt_u32_e32 2, v0
	s_cbranch_execz .LBB122_23
; %bb.20:
	scratch_load_b64 v[122:123], v7, off
	ds_load_b64 v[124:125], v1
	s_wait_loadcnt_dscnt 0x0
	v_pk_mul_f32 v[126:127], v[124:125], v[122:123] op_sel:[1,1] op_sel_hi:[0,1]
	s_delay_alu instid0(VALU_DEP_1) | instskip(SKIP_1) | instid1(VALU_DEP_2)
	v_pk_fma_f32 v[128:129], v[124:125], v[122:123], v[126:127] op_sel_hi:[1,0,1]
	v_pk_fma_f32 v[122:123], v[124:125], v[122:123], v[126:127] neg_lo:[0,0,1] neg_hi:[0,0,1]
	v_mov_b32_e32 v123, v129
	s_delay_alu instid0(VALU_DEP_1)
	v_pk_add_f32 v[122:123], v[122:123], 0 op_sel_hi:[1,0]
	s_and_saveexec_b32 s4, s0
	s_cbranch_execz .LBB122_22
; %bb.21:
	scratch_load_b64 v[124:125], off, off offset:8
	v_mov_b32_e32 v7, 0
	ds_load_b64 v[126:127], v7 offset:488
	s_wait_loadcnt_dscnt 0x0
	v_pk_mul_f32 v[128:129], v[126:127], v[124:125] op_sel:[1,1] op_sel_hi:[0,1]
	s_delay_alu instid0(VALU_DEP_1) | instskip(SKIP_1) | instid1(VALU_DEP_2)
	v_pk_fma_f32 v[130:131], v[126:127], v[124:125], v[128:129] op_sel_hi:[1,0,1]
	v_pk_fma_f32 v[124:125], v[126:127], v[124:125], v[128:129] neg_lo:[0,0,1] neg_hi:[0,0,1]
	v_mov_b32_e32 v125, v131
	s_delay_alu instid0(VALU_DEP_1)
	v_pk_add_f32 v[122:123], v[122:123], v[124:125]
.LBB122_22:
	s_or_b32 exec_lo, exec_lo, s4
	v_mov_b32_e32 v7, 0
	ds_load_b64 v[124:125], v7 offset:16
	s_wait_dscnt 0x0
	v_pk_mul_f32 v[126:127], v[122:123], v[124:125] op_sel:[1,1] op_sel_hi:[0,1]
	s_delay_alu instid0(VALU_DEP_1) | instskip(SKIP_1) | instid1(VALU_DEP_2)
	v_pk_fma_f32 v[128:129], v[122:123], v[124:125], v[126:127] op_sel_hi:[1,0,1]
	v_pk_fma_f32 v[122:123], v[122:123], v[124:125], v[126:127] neg_lo:[0,0,1] neg_hi:[0,0,1]
	v_mov_b32_e32 v123, v129
	scratch_store_b64 off, v[122:123], off offset:16
.LBB122_23:
	s_wait_xcnt 0x0
	s_or_b32 exec_lo, exec_lo, s1
	s_wait_storecnt 0x0
	s_barrier_signal -1
	s_barrier_wait -1
	scratch_load_b64 v[122:123], off, off offset:24
	v_add_nc_u32_e32 v7, -1, v0
	s_mov_b32 s0, exec_lo
	s_wait_loadcnt 0x0
	ds_store_b64 v1, v[122:123]
	s_wait_dscnt 0x0
	s_barrier_signal -1
	s_barrier_wait -1
	v_cmpx_gt_u32_e32 3, v0
	s_cbranch_execz .LBB122_27
; %bb.24:
	v_dual_mov_b32 v122, 0 :: v_dual_add_nc_u32 v9, -1, v0
	v_add_nc_u32_e32 v11, 0x1e0, v120
	v_mov_b32_e32 v13, v120
	s_mov_b32 s1, 0
	s_delay_alu instid0(VALU_DEP_3)
	v_mov_b32_e32 v123, v122
.LBB122_25:                             ; =>This Inner Loop Header: Depth=1
	scratch_load_b64 v[124:125], v13, off
	ds_load_b64 v[126:127], v11
	s_wait_xcnt 0x0
	v_dual_add_nc_u32 v11, 8, v11 :: v_dual_add_nc_u32 v13, 8, v13
	s_wait_loadcnt_dscnt 0x0
	v_pk_mul_f32 v[128:129], v[126:127], v[124:125] op_sel:[1,1] op_sel_hi:[0,1]
	s_delay_alu instid0(VALU_DEP_1) | instskip(SKIP_2) | instid1(VALU_DEP_3)
	v_pk_fma_f32 v[130:131], v[126:127], v[124:125], v[128:129] op_sel_hi:[1,0,1]
	v_add_nc_u32_e32 v9, 1, v9
	v_pk_fma_f32 v[124:125], v[126:127], v[124:125], v[128:129] neg_lo:[0,0,1] neg_hi:[0,0,1]
	v_mov_b32_e32 v125, v131
	s_delay_alu instid0(VALU_DEP_3) | instskip(NEXT) | instid1(VALU_DEP_2)
	v_cmp_lt_u32_e32 vcc_lo, 1, v9
	v_pk_add_f32 v[122:123], v[122:123], v[124:125]
	s_or_b32 s1, vcc_lo, s1
	s_delay_alu instid0(SALU_CYCLE_1)
	s_and_not1_b32 exec_lo, exec_lo, s1
	s_cbranch_execnz .LBB122_25
; %bb.26:
	s_or_b32 exec_lo, exec_lo, s1
	v_mov_b32_e32 v9, 0
	ds_load_b64 v[124:125], v9 offset:24
	s_wait_dscnt 0x0
	v_pk_mul_f32 v[126:127], v[122:123], v[124:125] op_sel:[1,1] op_sel_hi:[0,1]
	s_delay_alu instid0(VALU_DEP_1) | instskip(SKIP_1) | instid1(VALU_DEP_2)
	v_pk_fma_f32 v[128:129], v[122:123], v[124:125], v[126:127] op_sel_hi:[1,0,1]
	v_pk_fma_f32 v[122:123], v[122:123], v[124:125], v[126:127] neg_lo:[0,0,1] neg_hi:[0,0,1]
	v_mov_b32_e32 v123, v129
	scratch_store_b64 off, v[122:123], off offset:24
.LBB122_27:
	s_wait_xcnt 0x0
	s_or_b32 exec_lo, exec_lo, s0
	s_wait_storecnt 0x0
	s_barrier_signal -1
	s_barrier_wait -1
	scratch_load_b64 v[122:123], off, off offset:32
	s_mov_b32 s0, exec_lo
	s_wait_loadcnt 0x0
	ds_store_b64 v1, v[122:123]
	s_wait_dscnt 0x0
	s_barrier_signal -1
	s_barrier_wait -1
	v_cmpx_gt_u32_e32 4, v0
	s_cbranch_execz .LBB122_31
; %bb.28:
	v_dual_mov_b32 v122, 0 :: v_dual_add_nc_u32 v9, -1, v0
	v_add_nc_u32_e32 v11, 0x1e0, v120
	v_mov_b32_e32 v13, v120
	s_mov_b32 s1, 0
	s_delay_alu instid0(VALU_DEP_3)
	v_mov_b32_e32 v123, v122
.LBB122_29:                             ; =>This Inner Loop Header: Depth=1
	scratch_load_b64 v[124:125], v13, off
	ds_load_b64 v[126:127], v11
	s_wait_xcnt 0x0
	v_dual_add_nc_u32 v11, 8, v11 :: v_dual_add_nc_u32 v13, 8, v13
	s_wait_loadcnt_dscnt 0x0
	v_pk_mul_f32 v[128:129], v[126:127], v[124:125] op_sel:[1,1] op_sel_hi:[0,1]
	s_delay_alu instid0(VALU_DEP_1) | instskip(SKIP_2) | instid1(VALU_DEP_3)
	v_pk_fma_f32 v[130:131], v[126:127], v[124:125], v[128:129] op_sel_hi:[1,0,1]
	v_add_nc_u32_e32 v9, 1, v9
	v_pk_fma_f32 v[124:125], v[126:127], v[124:125], v[128:129] neg_lo:[0,0,1] neg_hi:[0,0,1]
	v_mov_b32_e32 v125, v131
	s_delay_alu instid0(VALU_DEP_3) | instskip(NEXT) | instid1(VALU_DEP_2)
	v_cmp_lt_u32_e32 vcc_lo, 2, v9
	v_pk_add_f32 v[122:123], v[122:123], v[124:125]
	s_or_b32 s1, vcc_lo, s1
	s_delay_alu instid0(SALU_CYCLE_1)
	s_and_not1_b32 exec_lo, exec_lo, s1
	s_cbranch_execnz .LBB122_29
; %bb.30:
	s_or_b32 exec_lo, exec_lo, s1
	v_mov_b32_e32 v9, 0
	ds_load_b64 v[124:125], v9 offset:32
	s_wait_dscnt 0x0
	v_pk_mul_f32 v[126:127], v[122:123], v[124:125] op_sel:[1,1] op_sel_hi:[0,1]
	s_delay_alu instid0(VALU_DEP_1) | instskip(SKIP_1) | instid1(VALU_DEP_2)
	v_pk_fma_f32 v[128:129], v[122:123], v[124:125], v[126:127] op_sel_hi:[1,0,1]
	v_pk_fma_f32 v[122:123], v[122:123], v[124:125], v[126:127] neg_lo:[0,0,1] neg_hi:[0,0,1]
	v_mov_b32_e32 v123, v129
	scratch_store_b64 off, v[122:123], off offset:32
.LBB122_31:
	s_wait_xcnt 0x0
	s_or_b32 exec_lo, exec_lo, s0
	s_wait_storecnt 0x0
	s_barrier_signal -1
	s_barrier_wait -1
	scratch_load_b64 v[122:123], off, off offset:40
	;; [unrolled: 52-line block ×19, first 2 shown]
	s_mov_b32 s0, exec_lo
	s_wait_loadcnt 0x0
	ds_store_b64 v1, v[122:123]
	s_wait_dscnt 0x0
	s_barrier_signal -1
	s_barrier_wait -1
	v_cmpx_gt_u32_e32 22, v0
	s_cbranch_execz .LBB122_103
; %bb.100:
	v_dual_mov_b32 v122, 0 :: v_dual_add_nc_u32 v9, -1, v0
	v_add_nc_u32_e32 v11, 0x1e0, v120
	v_mov_b32_e32 v13, v120
	s_mov_b32 s1, 0
	s_delay_alu instid0(VALU_DEP_3)
	v_mov_b32_e32 v123, v122
.LBB122_101:                            ; =>This Inner Loop Header: Depth=1
	scratch_load_b64 v[124:125], v13, off
	ds_load_b64 v[126:127], v11
	s_wait_xcnt 0x0
	v_dual_add_nc_u32 v11, 8, v11 :: v_dual_add_nc_u32 v13, 8, v13
	s_wait_loadcnt_dscnt 0x0
	v_pk_mul_f32 v[128:129], v[126:127], v[124:125] op_sel:[1,1] op_sel_hi:[0,1]
	s_delay_alu instid0(VALU_DEP_1) | instskip(SKIP_2) | instid1(VALU_DEP_3)
	v_pk_fma_f32 v[130:131], v[126:127], v[124:125], v[128:129] op_sel_hi:[1,0,1]
	v_add_nc_u32_e32 v9, 1, v9
	v_pk_fma_f32 v[124:125], v[126:127], v[124:125], v[128:129] neg_lo:[0,0,1] neg_hi:[0,0,1]
	v_mov_b32_e32 v125, v131
	s_delay_alu instid0(VALU_DEP_3) | instskip(NEXT) | instid1(VALU_DEP_2)
	v_cmp_lt_u32_e32 vcc_lo, 20, v9
	v_pk_add_f32 v[122:123], v[122:123], v[124:125]
	s_or_b32 s1, vcc_lo, s1
	s_delay_alu instid0(SALU_CYCLE_1)
	s_and_not1_b32 exec_lo, exec_lo, s1
	s_cbranch_execnz .LBB122_101
; %bb.102:
	s_or_b32 exec_lo, exec_lo, s1
	v_mov_b32_e32 v9, 0
	ds_load_b64 v[124:125], v9 offset:176
	s_wait_dscnt 0x0
	v_pk_mul_f32 v[126:127], v[122:123], v[124:125] op_sel:[1,1] op_sel_hi:[0,1]
	s_delay_alu instid0(VALU_DEP_1) | instskip(SKIP_1) | instid1(VALU_DEP_2)
	v_pk_fma_f32 v[128:129], v[122:123], v[124:125], v[126:127] op_sel_hi:[1,0,1]
	v_pk_fma_f32 v[122:123], v[122:123], v[124:125], v[126:127] neg_lo:[0,0,1] neg_hi:[0,0,1]
	v_mov_b32_e32 v123, v129
	scratch_store_b64 off, v[122:123], off offset:176
.LBB122_103:
	s_wait_xcnt 0x0
	s_or_b32 exec_lo, exec_lo, s0
	s_wait_storecnt 0x0
	s_barrier_signal -1
	s_barrier_wait -1
	scratch_load_b64 v[122:123], off, off offset:184
	s_mov_b32 s0, exec_lo
	s_wait_loadcnt 0x0
	ds_store_b64 v1, v[122:123]
	s_wait_dscnt 0x0
	s_barrier_signal -1
	s_barrier_wait -1
	v_cmpx_gt_u32_e32 23, v0
	s_cbranch_execz .LBB122_107
; %bb.104:
	v_dual_mov_b32 v122, 0 :: v_dual_add_nc_u32 v9, -1, v0
	v_add_nc_u32_e32 v11, 0x1e0, v120
	v_mov_b32_e32 v13, v120
	s_mov_b32 s1, 0
	s_delay_alu instid0(VALU_DEP_3)
	v_mov_b32_e32 v123, v122
.LBB122_105:                            ; =>This Inner Loop Header: Depth=1
	scratch_load_b64 v[124:125], v13, off
	ds_load_b64 v[126:127], v11
	s_wait_xcnt 0x0
	v_dual_add_nc_u32 v11, 8, v11 :: v_dual_add_nc_u32 v13, 8, v13
	s_wait_loadcnt_dscnt 0x0
	v_pk_mul_f32 v[128:129], v[126:127], v[124:125] op_sel:[1,1] op_sel_hi:[0,1]
	s_delay_alu instid0(VALU_DEP_1) | instskip(SKIP_2) | instid1(VALU_DEP_3)
	v_pk_fma_f32 v[130:131], v[126:127], v[124:125], v[128:129] op_sel_hi:[1,0,1]
	v_add_nc_u32_e32 v9, 1, v9
	v_pk_fma_f32 v[124:125], v[126:127], v[124:125], v[128:129] neg_lo:[0,0,1] neg_hi:[0,0,1]
	v_mov_b32_e32 v125, v131
	s_delay_alu instid0(VALU_DEP_3) | instskip(NEXT) | instid1(VALU_DEP_2)
	v_cmp_lt_u32_e32 vcc_lo, 21, v9
	v_pk_add_f32 v[122:123], v[122:123], v[124:125]
	s_or_b32 s1, vcc_lo, s1
	s_delay_alu instid0(SALU_CYCLE_1)
	s_and_not1_b32 exec_lo, exec_lo, s1
	s_cbranch_execnz .LBB122_105
; %bb.106:
	s_or_b32 exec_lo, exec_lo, s1
	v_mov_b32_e32 v9, 0
	ds_load_b64 v[124:125], v9 offset:184
	s_wait_dscnt 0x0
	v_pk_mul_f32 v[126:127], v[122:123], v[124:125] op_sel:[1,1] op_sel_hi:[0,1]
	s_delay_alu instid0(VALU_DEP_1) | instskip(SKIP_1) | instid1(VALU_DEP_2)
	v_pk_fma_f32 v[128:129], v[122:123], v[124:125], v[126:127] op_sel_hi:[1,0,1]
	v_pk_fma_f32 v[122:123], v[122:123], v[124:125], v[126:127] neg_lo:[0,0,1] neg_hi:[0,0,1]
	v_mov_b32_e32 v123, v129
	scratch_store_b64 off, v[122:123], off offset:184
.LBB122_107:
	s_wait_xcnt 0x0
	s_or_b32 exec_lo, exec_lo, s0
	s_wait_storecnt 0x0
	s_barrier_signal -1
	s_barrier_wait -1
	scratch_load_b64 v[122:123], off, off offset:192
	;; [unrolled: 52-line block ×36, first 2 shown]
	s_mov_b32 s0, exec_lo
	s_wait_loadcnt 0x0
	ds_store_b64 v1, v[122:123]
	s_wait_dscnt 0x0
	s_barrier_signal -1
	s_barrier_wait -1
	v_cmpx_ne_u32_e32 58, v0
	s_cbranch_execz .LBB122_247
; %bb.244:
	v_dual_mov_b32 v122, 0 :: v_dual_mov_b32 v9, v120
	s_mov_b32 s1, 0
	s_delay_alu instid0(VALU_DEP_1)
	v_mov_b32_e32 v123, v122
.LBB122_245:                            ; =>This Inner Loop Header: Depth=1
	scratch_load_b64 v[120:121], v9, off
	ds_load_b64 v[124:125], v1
	v_add_nc_u32_e32 v1, 8, v1
	s_wait_xcnt 0x0
	v_add_nc_u32_e32 v9, 8, v9
	s_wait_loadcnt_dscnt 0x0
	v_pk_mul_f32 v[126:127], v[124:125], v[120:121] op_sel:[1,1] op_sel_hi:[0,1]
	s_delay_alu instid0(VALU_DEP_1) | instskip(SKIP_2) | instid1(VALU_DEP_3)
	v_pk_fma_f32 v[128:129], v[124:125], v[120:121], v[126:127] op_sel_hi:[1,0,1]
	v_add_nc_u32_e32 v7, 1, v7
	v_pk_fma_f32 v[120:121], v[124:125], v[120:121], v[126:127] neg_lo:[0,0,1] neg_hi:[0,0,1]
	v_mov_b32_e32 v121, v129
	s_delay_alu instid0(VALU_DEP_3) | instskip(NEXT) | instid1(VALU_DEP_2)
	v_cmp_lt_u32_e32 vcc_lo, 56, v7
	v_pk_add_f32 v[122:123], v[122:123], v[120:121]
	s_or_b32 s1, vcc_lo, s1
	s_delay_alu instid0(SALU_CYCLE_1)
	s_and_not1_b32 exec_lo, exec_lo, s1
	s_cbranch_execnz .LBB122_245
; %bb.246:
	s_or_b32 exec_lo, exec_lo, s1
	v_mov_b32_e32 v1, 0
	ds_load_b64 v[120:121], v1 offset:464
	s_wait_dscnt 0x0
	v_pk_mul_f32 v[124:125], v[122:123], v[120:121] op_sel:[1,1] op_sel_hi:[0,1]
	s_delay_alu instid0(VALU_DEP_1) | instskip(SKIP_1) | instid1(VALU_DEP_2)
	v_pk_fma_f32 v[126:127], v[122:123], v[120:121], v[124:125] op_sel_hi:[1,0,1]
	v_pk_fma_f32 v[120:121], v[122:123], v[120:121], v[124:125] neg_lo:[0,0,1] neg_hi:[0,0,1]
	v_mov_b32_e32 v121, v127
	scratch_store_b64 off, v[120:121], off offset:464
.LBB122_247:
	s_wait_xcnt 0x0
	s_or_b32 exec_lo, exec_lo, s0
	s_mov_b32 s1, -1
	s_wait_storecnt 0x0
	s_barrier_signal -1
	s_barrier_wait -1
.LBB122_248:
	s_and_b32 vcc_lo, exec_lo, s1
	s_cbranch_vccz .LBB122_250
; %bb.249:
	v_mov_b32_e32 v1, 0
	s_lshl_b64 s[0:1], s[10:11], 2
	s_delay_alu instid0(SALU_CYCLE_1)
	s_add_nc_u64 s[0:1], s[6:7], s[0:1]
	global_load_b32 v1, v1, s[0:1]
	s_wait_loadcnt 0x0
	v_cmp_ne_u32_e32 vcc_lo, 0, v1
	s_cbranch_vccz .LBB122_251
.LBB122_250:
	s_sendmsg sendmsg(MSG_DEALLOC_VGPRS)
	s_endpgm
.LBB122_251:
	s_wait_xcnt 0x0
	v_lshl_add_u32 v1, v0, 3, 0x1e0
	s_mov_b32 s0, exec_lo
	v_cmpx_eq_u32_e32 58, v0
	s_cbranch_execz .LBB122_253
; %bb.252:
	scratch_load_b64 v[120:121], off, off offset:456
	v_mov_b64_e32 v[122:123], 0
	scratch_store_b64 off, v[122:123], off offset:456
	s_wait_loadcnt 0x0
	ds_store_b64 v1, v[120:121]
.LBB122_253:
	s_wait_xcnt 0x0
	s_or_b32 exec_lo, exec_lo, s0
	s_wait_storecnt_dscnt 0x0
	s_barrier_signal -1
	s_barrier_wait -1
	s_clause 0x1
	scratch_load_b64 v[120:121], off, off offset:464
	scratch_load_b64 v[122:123], off, off offset:456
	v_mov_b32_e32 v7, 0
	s_mov_b32 s0, exec_lo
	ds_load_b64 v[124:125], v7 offset:944
	s_wait_loadcnt_dscnt 0x100
	v_pk_mul_f32 v[126:127], v[124:125], v[120:121] op_sel:[1,1] op_sel_hi:[0,1]
	s_delay_alu instid0(VALU_DEP_1) | instskip(SKIP_1) | instid1(VALU_DEP_2)
	v_pk_fma_f32 v[128:129], v[124:125], v[120:121], v[126:127] op_sel_hi:[1,0,1]
	v_pk_fma_f32 v[120:121], v[124:125], v[120:121], v[126:127] neg_lo:[0,0,1] neg_hi:[0,0,1]
	v_mov_b32_e32 v121, v129
	s_delay_alu instid0(VALU_DEP_1) | instskip(SKIP_1) | instid1(VALU_DEP_1)
	v_pk_add_f32 v[120:121], v[120:121], 0 op_sel_hi:[1,0]
	s_wait_loadcnt 0x0
	v_pk_add_f32 v[120:121], v[122:123], v[120:121] neg_lo:[0,1] neg_hi:[0,1]
	scratch_store_b64 off, v[120:121], off offset:456
	s_wait_xcnt 0x0
	v_cmpx_lt_u32_e32 56, v0
	s_cbranch_execz .LBB122_255
; %bb.254:
	scratch_load_b64 v[120:121], off, off offset:448
	v_mov_b64_e32 v[122:123], 0
	scratch_store_b64 off, v[122:123], off offset:448
	s_wait_loadcnt 0x0
	ds_store_b64 v1, v[120:121]
.LBB122_255:
	s_wait_xcnt 0x0
	s_or_b32 exec_lo, exec_lo, s0
	s_wait_storecnt_dscnt 0x0
	s_barrier_signal -1
	s_barrier_wait -1
	s_clause 0x1
	scratch_load_b128 v[120:123], off, off offset:456
	scratch_load_b64 v[128:129], off, off offset:448
	ds_load_2addr_b64 v[124:127], v7 offset0:117 offset1:118
	s_mov_b32 s0, exec_lo
	s_wait_dscnt 0x0
	v_dual_mov_b32 v130, v127 :: v_dual_mov_b32 v131, v126
	s_wait_loadcnt 0x1
	v_pk_mul_f32 v[132:133], v[124:125], v[120:121] op_sel:[1,1] op_sel_hi:[0,1]
	s_delay_alu instid0(VALU_DEP_1) | instskip(SKIP_2) | instid1(VALU_DEP_3)
	v_pk_fma_f32 v[136:137], v[124:125], v[120:121], v[132:133] op_sel_hi:[1,0,1]
	v_mov_b32_e32 v134, v123
	v_pk_fma_f32 v[120:121], v[124:125], v[120:121], v[132:133] neg_lo:[0,0,1] neg_hi:[0,0,1]
	v_mov_b32_e32 v121, v137
	s_delay_alu instid0(VALU_DEP_3) | instskip(NEXT) | instid1(VALU_DEP_2)
	v_pk_mul_f32 v[130:131], v[130:131], v[134:135] op_sel_hi:[1,0]
	v_pk_add_f32 v[120:121], v[120:121], 0 op_sel_hi:[1,0]
	s_delay_alu instid0(VALU_DEP_2) | instskip(SKIP_1) | instid1(VALU_DEP_2)
	v_pk_fma_f32 v[124:125], v[126:127], v[122:123], v[130:131] op_sel_hi:[1,0,1]
	v_pk_fma_f32 v[122:123], v[126:127], v[122:123], v[130:131] neg_lo:[0,0,1] neg_hi:[0,0,1]
	v_mov_b32_e32 v123, v125
	s_delay_alu instid0(VALU_DEP_1) | instskip(SKIP_1) | instid1(VALU_DEP_1)
	v_pk_add_f32 v[120:121], v[120:121], v[122:123]
	s_wait_loadcnt 0x0
	v_pk_add_f32 v[120:121], v[128:129], v[120:121] neg_lo:[0,1] neg_hi:[0,1]
	scratch_store_b64 off, v[120:121], off offset:448
	s_wait_xcnt 0x0
	v_cmpx_lt_u32_e32 55, v0
	s_cbranch_execz .LBB122_257
; %bb.256:
	scratch_load_b64 v[120:121], off, off offset:440
	v_mov_b64_e32 v[122:123], 0
	scratch_store_b64 off, v[122:123], off offset:440
	s_wait_loadcnt 0x0
	ds_store_b64 v1, v[120:121]
.LBB122_257:
	s_wait_xcnt 0x0
	s_or_b32 exec_lo, exec_lo, s0
	s_wait_storecnt_dscnt 0x0
	s_barrier_signal -1
	s_barrier_wait -1
	s_clause 0x2
	scratch_load_b128 v[120:123], off, off offset:448
	scratch_load_b64 v[128:129], off, off offset:464
	scratch_load_b64 v[130:131], off, off offset:440
	v_mov_b32_e32 v7, 0
	ds_load_b128 v[124:127], v7 offset:928
	ds_load_b64 v[132:133], v7 offset:944
	s_mov_b32 s0, exec_lo
	s_wait_dscnt 0x1
	v_dual_mov_b32 v134, v127 :: v_dual_mov_b32 v135, v126
	s_wait_loadcnt 0x2
	v_mov_b32_e32 v138, v123
	v_pk_mul_f32 v[136:137], v[124:125], v[120:121] op_sel:[1,1] op_sel_hi:[0,1]
	s_delay_alu instid0(VALU_DEP_2) | instskip(NEXT) | instid1(VALU_DEP_2)
	v_pk_mul_f32 v[134:135], v[134:135], v[138:139] op_sel_hi:[1,0]
	v_pk_fma_f32 v[140:141], v[124:125], v[120:121], v[136:137] op_sel_hi:[1,0,1]
	v_pk_fma_f32 v[120:121], v[124:125], v[120:121], v[136:137] neg_lo:[0,0,1] neg_hi:[0,0,1]
	s_wait_loadcnt_dscnt 0x100
	v_pk_mul_f32 v[136:137], v[132:133], v[128:129] op_sel:[1,1] op_sel_hi:[0,1]
	v_pk_fma_f32 v[124:125], v[126:127], v[122:123], v[134:135] op_sel_hi:[1,0,1]
	v_mov_b32_e32 v121, v141
	v_pk_fma_f32 v[122:123], v[126:127], v[122:123], v[134:135] neg_lo:[0,0,1] neg_hi:[0,0,1]
	s_delay_alu instid0(VALU_DEP_4) | instskip(NEXT) | instid1(VALU_DEP_4)
	v_pk_fma_f32 v[126:127], v[132:133], v[128:129], v[136:137] neg_lo:[0,0,1] neg_hi:[0,0,1]
	v_mov_b32_e32 v123, v125
	s_delay_alu instid0(VALU_DEP_4) | instskip(SKIP_1) | instid1(VALU_DEP_2)
	v_pk_add_f32 v[120:121], v[120:121], 0 op_sel_hi:[1,0]
	v_pk_fma_f32 v[124:125], v[132:133], v[128:129], v[136:137] op_sel_hi:[1,0,1]
	v_pk_add_f32 v[120:121], v[120:121], v[122:123]
	s_delay_alu instid0(VALU_DEP_2) | instskip(NEXT) | instid1(VALU_DEP_1)
	v_mov_b32_e32 v127, v125
	v_pk_add_f32 v[120:121], v[120:121], v[126:127]
	s_wait_loadcnt 0x0
	s_delay_alu instid0(VALU_DEP_1)
	v_pk_add_f32 v[120:121], v[130:131], v[120:121] neg_lo:[0,1] neg_hi:[0,1]
	scratch_store_b64 off, v[120:121], off offset:440
	s_wait_xcnt 0x0
	v_cmpx_lt_u32_e32 54, v0
	s_cbranch_execz .LBB122_259
; %bb.258:
	scratch_load_b64 v[120:121], off, off offset:432
	v_mov_b64_e32 v[122:123], 0
	scratch_store_b64 off, v[122:123], off offset:432
	s_wait_loadcnt 0x0
	ds_store_b64 v1, v[120:121]
.LBB122_259:
	s_wait_xcnt 0x0
	s_or_b32 exec_lo, exec_lo, s0
	s_wait_storecnt_dscnt 0x0
	s_barrier_signal -1
	s_barrier_wait -1
	s_clause 0x2
	scratch_load_b128 v[120:123], off, off offset:440
	scratch_load_b128 v[124:127], off, off offset:456
	scratch_load_b64 v[136:137], off, off offset:432
	ds_load_2addr_b64 v[128:131], v7 offset0:115 offset1:116
	ds_load_2addr_b64 v[132:135], v7 offset0:117 offset1:118
	s_mov_b32 s0, exec_lo
	s_wait_dscnt 0x1
	v_dual_mov_b32 v138, v131 :: v_dual_mov_b32 v139, v130
	s_wait_loadcnt_dscnt 0x200
	v_dual_mov_b32 v144, v135 :: v_dual_mov_b32 v142, v123
	v_pk_mul_f32 v[140:141], v[128:129], v[120:121] op_sel:[1,1] op_sel_hi:[0,1]
	s_delay_alu instid0(VALU_DEP_2) | instskip(NEXT) | instid1(VALU_DEP_2)
	v_pk_mul_f32 v[138:139], v[138:139], v[142:143] op_sel_hi:[1,0]
	v_pk_fma_f32 v[146:147], v[128:129], v[120:121], v[140:141] op_sel_hi:[1,0,1]
	v_pk_fma_f32 v[120:121], v[128:129], v[120:121], v[140:141] neg_lo:[0,0,1] neg_hi:[0,0,1]
	v_mov_b32_e32 v145, v134
	s_wait_loadcnt 0x1
	v_pk_mul_f32 v[142:143], v[132:133], v[124:125] op_sel:[1,1] op_sel_hi:[0,1]
	v_pk_fma_f32 v[128:129], v[130:131], v[122:123], v[138:139] op_sel_hi:[1,0,1]
	v_dual_mov_b32 v121, v147 :: v_dual_mov_b32 v128, v127
	v_pk_fma_f32 v[122:123], v[130:131], v[122:123], v[138:139] neg_lo:[0,0,1] neg_hi:[0,0,1]
	s_delay_alu instid0(VALU_DEP_4) | instskip(NEXT) | instid1(VALU_DEP_4)
	v_pk_fma_f32 v[140:141], v[132:133], v[124:125], v[142:143] op_sel_hi:[1,0,1]
	v_mov_b32_e32 v123, v129
	s_delay_alu instid0(VALU_DEP_4) | instskip(SKIP_2) | instid1(VALU_DEP_3)
	v_pk_add_f32 v[120:121], v[120:121], 0 op_sel_hi:[1,0]
	v_pk_mul_f32 v[128:129], v[144:145], v[128:129] op_sel_hi:[1,0]
	v_pk_fma_f32 v[124:125], v[132:133], v[124:125], v[142:143] neg_lo:[0,0,1] neg_hi:[0,0,1]
	v_pk_add_f32 v[120:121], v[120:121], v[122:123]
	s_delay_alu instid0(VALU_DEP_3) | instskip(SKIP_2) | instid1(VALU_DEP_3)
	v_pk_fma_f32 v[122:123], v[134:135], v[126:127], v[128:129] op_sel_hi:[1,0,1]
	v_mov_b32_e32 v125, v141
	v_pk_fma_f32 v[126:127], v[134:135], v[126:127], v[128:129] neg_lo:[0,0,1] neg_hi:[0,0,1]
	v_mov_b32_e32 v127, v123
	s_delay_alu instid0(VALU_DEP_3) | instskip(NEXT) | instid1(VALU_DEP_1)
	v_pk_add_f32 v[120:121], v[120:121], v[124:125]
	v_pk_add_f32 v[120:121], v[120:121], v[126:127]
	s_wait_loadcnt 0x0
	s_delay_alu instid0(VALU_DEP_1)
	v_pk_add_f32 v[120:121], v[136:137], v[120:121] neg_lo:[0,1] neg_hi:[0,1]
	scratch_store_b64 off, v[120:121], off offset:432
	s_wait_xcnt 0x0
	v_cmpx_lt_u32_e32 53, v0
	s_cbranch_execz .LBB122_261
; %bb.260:
	scratch_load_b64 v[120:121], off, off offset:424
	v_mov_b64_e32 v[122:123], 0
	scratch_store_b64 off, v[122:123], off offset:424
	s_wait_loadcnt 0x0
	ds_store_b64 v1, v[120:121]
.LBB122_261:
	s_wait_xcnt 0x0
	s_or_b32 exec_lo, exec_lo, s0
	s_wait_storecnt_dscnt 0x0
	s_barrier_signal -1
	s_barrier_wait -1
	s_clause 0x3
	scratch_load_b128 v[120:123], off, off offset:432
	scratch_load_b128 v[124:127], off, off offset:448
	scratch_load_b64 v[136:137], off, off offset:464
	scratch_load_b64 v[138:139], off, off offset:424
	v_mov_b32_e32 v7, 0
	ds_load_b128 v[128:131], v7 offset:912
	ds_load_b128 v[132:135], v7 offset:928
	s_mov_b32 s0, exec_lo
	s_wait_dscnt 0x1
	v_dual_mov_b32 v140, v131 :: v_dual_mov_b32 v141, v130
	ds_load_b64 v[146:147], v7 offset:944
	s_wait_dscnt 0x1
	v_dual_mov_b32 v148, v135 :: v_dual_mov_b32 v149, v134
	s_wait_loadcnt 0x3
	v_pk_mul_f32 v[142:143], v[128:129], v[120:121] op_sel:[1,1] op_sel_hi:[0,1]
	v_mov_b32_e32 v144, v123
	s_delay_alu instid0(VALU_DEP_2) | instskip(NEXT) | instid1(VALU_DEP_2)
	v_pk_fma_f32 v[150:151], v[128:129], v[120:121], v[142:143] op_sel_hi:[1,0,1]
	v_pk_mul_f32 v[140:141], v[140:141], v[144:145] op_sel_hi:[1,0]
	v_pk_fma_f32 v[120:121], v[128:129], v[120:121], v[142:143] neg_lo:[0,0,1] neg_hi:[0,0,1]
	s_wait_loadcnt 0x2
	v_pk_mul_f32 v[144:145], v[132:133], v[124:125] op_sel:[1,1] op_sel_hi:[0,1]
	v_dual_mov_b32 v150, v127 :: v_dual_mov_b32 v121, v151
	v_pk_fma_f32 v[128:129], v[130:131], v[122:123], v[140:141] op_sel_hi:[1,0,1]
	v_pk_fma_f32 v[122:123], v[130:131], v[122:123], v[140:141] neg_lo:[0,0,1] neg_hi:[0,0,1]
	s_delay_alu instid0(VALU_DEP_4) | instskip(NEXT) | instid1(VALU_DEP_4)
	v_pk_fma_f32 v[142:143], v[132:133], v[124:125], v[144:145] op_sel_hi:[1,0,1]
	v_pk_mul_f32 v[148:149], v[148:149], v[150:151] op_sel_hi:[1,0]
	v_pk_add_f32 v[120:121], v[120:121], 0 op_sel_hi:[1,0]
	v_mov_b32_e32 v123, v129
	v_pk_fma_f32 v[124:125], v[132:133], v[124:125], v[144:145] neg_lo:[0,0,1] neg_hi:[0,0,1]
	v_mov_b32_e32 v125, v143
	v_pk_fma_f32 v[128:129], v[134:135], v[126:127], v[148:149] op_sel_hi:[1,0,1]
	v_pk_fma_f32 v[126:127], v[134:135], v[126:127], v[148:149] neg_lo:[0,0,1] neg_hi:[0,0,1]
	v_pk_add_f32 v[120:121], v[120:121], v[122:123]
	s_wait_loadcnt_dscnt 0x100
	v_pk_mul_f32 v[122:123], v[146:147], v[136:137] op_sel:[1,1] op_sel_hi:[0,1]
	s_delay_alu instid0(VALU_DEP_2) | instskip(NEXT) | instid1(VALU_DEP_2)
	v_pk_add_f32 v[120:121], v[120:121], v[124:125]
	v_pk_fma_f32 v[124:125], v[146:147], v[136:137], v[122:123] op_sel_hi:[1,0,1]
	v_mov_b32_e32 v127, v129
	v_pk_fma_f32 v[122:123], v[146:147], v[136:137], v[122:123] neg_lo:[0,0,1] neg_hi:[0,0,1]
	s_delay_alu instid0(VALU_DEP_3) | instskip(NEXT) | instid1(VALU_DEP_3)
	v_mov_b32_e32 v123, v125
	v_pk_add_f32 v[120:121], v[120:121], v[126:127]
	s_delay_alu instid0(VALU_DEP_1) | instskip(SKIP_1) | instid1(VALU_DEP_1)
	v_pk_add_f32 v[120:121], v[120:121], v[122:123]
	s_wait_loadcnt 0x0
	v_pk_add_f32 v[120:121], v[138:139], v[120:121] neg_lo:[0,1] neg_hi:[0,1]
	scratch_store_b64 off, v[120:121], off offset:424
	s_wait_xcnt 0x0
	v_cmpx_lt_u32_e32 52, v0
	s_cbranch_execz .LBB122_263
; %bb.262:
	scratch_load_b64 v[120:121], off, off offset:416
	v_mov_b64_e32 v[122:123], 0
	scratch_store_b64 off, v[122:123], off offset:416
	s_wait_loadcnt 0x0
	ds_store_b64 v1, v[120:121]
.LBB122_263:
	s_wait_xcnt 0x0
	s_or_b32 exec_lo, exec_lo, s0
	s_wait_storecnt_dscnt 0x0
	s_barrier_signal -1
	s_barrier_wait -1
	s_clause 0x3
	scratch_load_b128 v[120:123], off, off offset:424
	scratch_load_b128 v[124:127], off, off offset:440
	scratch_load_b128 v[128:131], off, off offset:456
	scratch_load_b64 v[144:145], off, off offset:416
	ds_load_2addr_b64 v[132:135], v7 offset0:113 offset1:114
	ds_load_2addr_b64 v[136:139], v7 offset0:115 offset1:116
	;; [unrolled: 1-line block ×3, first 2 shown]
	s_mov_b32 s0, exec_lo
	s_wait_dscnt 0x2
	v_dual_mov_b32 v146, v135 :: v_dual_mov_b32 v147, v134
	s_wait_dscnt 0x1
	v_dual_mov_b32 v148, v139 :: v_dual_mov_b32 v149, v138
	;; [unrolled: 2-line block ×3, first 2 shown]
	s_wait_loadcnt 0x3
	v_pk_mul_f32 v[150:151], v[132:133], v[120:121] op_sel:[1,1] op_sel_hi:[0,1]
	v_mov_b32_e32 v152, v123
	s_delay_alu instid0(VALU_DEP_2) | instskip(NEXT) | instid1(VALU_DEP_2)
	v_pk_fma_f32 v[156:157], v[132:133], v[120:121], v[150:151] op_sel_hi:[1,0,1]
	v_pk_mul_f32 v[146:147], v[146:147], v[152:153] op_sel_hi:[1,0]
	v_pk_fma_f32 v[120:121], v[132:133], v[120:121], v[150:151] neg_lo:[0,0,1] neg_hi:[0,0,1]
	s_wait_loadcnt 0x2
	v_pk_mul_f32 v[152:153], v[136:137], v[124:125] op_sel:[1,1] op_sel_hi:[0,1]
	v_mov_b32_e32 v156, v127
	v_pk_fma_f32 v[132:133], v[134:135], v[122:123], v[146:147] op_sel_hi:[1,0,1]
	v_mov_b32_e32 v121, v157
	v_pk_fma_f32 v[122:123], v[134:135], v[122:123], v[146:147] neg_lo:[0,0,1] neg_hi:[0,0,1]
	v_pk_fma_f32 v[150:151], v[136:137], v[124:125], v[152:153] op_sel_hi:[1,0,1]
	v_pk_mul_f32 v[148:149], v[148:149], v[156:157] op_sel_hi:[1,0]
	v_mov_b32_e32 v123, v133
	v_pk_add_f32 v[120:121], v[120:121], 0 op_sel_hi:[1,0]
	v_pk_fma_f32 v[124:125], v[136:137], v[124:125], v[152:153] neg_lo:[0,0,1] neg_hi:[0,0,1]
	s_wait_loadcnt 0x1
	v_pk_mul_f32 v[132:133], v[140:141], v[128:129] op_sel:[1,1] op_sel_hi:[0,1]
	v_mov_b32_e32 v125, v151
	v_pk_fma_f32 v[134:135], v[138:139], v[126:127], v[148:149] op_sel_hi:[1,0,1]
	v_pk_add_f32 v[120:121], v[120:121], v[122:123]
	v_mov_b32_e32 v122, v131
	v_pk_fma_f32 v[126:127], v[138:139], v[126:127], v[148:149] neg_lo:[0,0,1] neg_hi:[0,0,1]
	v_pk_fma_f32 v[136:137], v[140:141], v[128:129], v[132:133] op_sel_hi:[1,0,1]
	v_mov_b32_e32 v127, v135
	v_pk_add_f32 v[120:121], v[120:121], v[124:125]
	v_pk_mul_f32 v[122:123], v[154:155], v[122:123] op_sel_hi:[1,0]
	v_pk_fma_f32 v[124:125], v[140:141], v[128:129], v[132:133] neg_lo:[0,0,1] neg_hi:[0,0,1]
	v_mov_b32_e32 v125, v137
	s_delay_alu instid0(VALU_DEP_4) | instskip(NEXT) | instid1(VALU_DEP_4)
	v_pk_add_f32 v[120:121], v[120:121], v[126:127]
	v_pk_fma_f32 v[126:127], v[142:143], v[130:131], v[122:123] op_sel_hi:[1,0,1]
	v_pk_fma_f32 v[122:123], v[142:143], v[130:131], v[122:123] neg_lo:[0,0,1] neg_hi:[0,0,1]
	s_delay_alu instid0(VALU_DEP_3) | instskip(NEXT) | instid1(VALU_DEP_3)
	v_pk_add_f32 v[120:121], v[120:121], v[124:125]
	v_mov_b32_e32 v123, v127
	s_delay_alu instid0(VALU_DEP_1) | instskip(SKIP_1) | instid1(VALU_DEP_1)
	v_pk_add_f32 v[120:121], v[120:121], v[122:123]
	s_wait_loadcnt 0x0
	v_pk_add_f32 v[120:121], v[144:145], v[120:121] neg_lo:[0,1] neg_hi:[0,1]
	scratch_store_b64 off, v[120:121], off offset:416
	s_wait_xcnt 0x0
	v_cmpx_lt_u32_e32 51, v0
	s_cbranch_execz .LBB122_265
; %bb.264:
	scratch_load_b64 v[120:121], off, off offset:408
	v_mov_b64_e32 v[122:123], 0
	scratch_store_b64 off, v[122:123], off offset:408
	s_wait_loadcnt 0x0
	ds_store_b64 v1, v[120:121]
.LBB122_265:
	s_wait_xcnt 0x0
	s_or_b32 exec_lo, exec_lo, s0
	s_wait_storecnt_dscnt 0x0
	s_barrier_signal -1
	s_barrier_wait -1
	s_clause 0x4
	scratch_load_b128 v[120:123], off, off offset:416
	scratch_load_b128 v[124:127], off, off offset:432
	;; [unrolled: 1-line block ×3, first 2 shown]
	scratch_load_b64 v[144:145], off, off offset:464
	scratch_load_b64 v[146:147], off, off offset:408
	v_mov_b32_e32 v7, 0
	ds_load_b128 v[132:135], v7 offset:896
	ds_load_b128 v[136:139], v7 offset:912
	;; [unrolled: 1-line block ×3, first 2 shown]
	ds_load_b64 v[148:149], v7 offset:944
	s_mov_b32 s0, exec_lo
	s_wait_dscnt 0x3
	v_dual_mov_b32 v150, v135 :: v_dual_mov_b32 v151, v134
	s_wait_dscnt 0x2
	v_dual_mov_b32 v152, v139 :: v_dual_mov_b32 v153, v138
	;; [unrolled: 2-line block ×3, first 2 shown]
	s_wait_loadcnt 0x4
	v_pk_mul_f32 v[154:155], v[132:133], v[120:121] op_sel:[1,1] op_sel_hi:[0,1]
	v_mov_b32_e32 v156, v123
	s_wait_loadcnt 0x3
	v_pk_mul_f32 v[160:161], v[136:137], v[124:125] op_sel:[1,1] op_sel_hi:[0,1]
	s_wait_loadcnt 0x2
	v_pk_mul_f32 v[164:165], v[140:141], v[128:129] op_sel:[1,1] op_sel_hi:[0,1]
	v_pk_fma_f32 v[162:163], v[132:133], v[120:121], v[154:155] op_sel_hi:[1,0,1]
	v_pk_mul_f32 v[150:151], v[150:151], v[156:157] op_sel_hi:[1,0]
	v_pk_fma_f32 v[120:121], v[132:133], v[120:121], v[154:155] neg_lo:[0,0,1] neg_hi:[0,0,1]
	v_mov_b32_e32 v156, v127
	v_pk_fma_f32 v[154:155], v[136:137], v[124:125], v[160:161] op_sel_hi:[1,0,1]
	v_mov_b32_e32 v121, v163
	v_pk_fma_f32 v[132:133], v[134:135], v[122:123], v[150:151] op_sel_hi:[1,0,1]
	v_pk_fma_f32 v[122:123], v[134:135], v[122:123], v[150:151] neg_lo:[0,0,1] neg_hi:[0,0,1]
	v_pk_mul_f32 v[152:153], v[152:153], v[156:157] op_sel_hi:[1,0]
	v_pk_fma_f32 v[124:125], v[136:137], v[124:125], v[160:161] neg_lo:[0,0,1] neg_hi:[0,0,1]
	v_pk_add_f32 v[120:121], v[120:121], 0 op_sel_hi:[1,0]
	v_dual_mov_b32 v123, v133 :: v_dual_mov_b32 v132, v131
	s_delay_alu instid0(VALU_DEP_4) | instskip(SKIP_2) | instid1(VALU_DEP_4)
	v_pk_fma_f32 v[134:135], v[138:139], v[126:127], v[152:153] op_sel_hi:[1,0,1]
	v_mov_b32_e32 v125, v155
	v_pk_fma_f32 v[126:127], v[138:139], v[126:127], v[152:153] neg_lo:[0,0,1] neg_hi:[0,0,1]
	v_pk_add_f32 v[120:121], v[120:121], v[122:123]
	v_pk_fma_f32 v[122:123], v[140:141], v[128:129], v[164:165] op_sel_hi:[1,0,1]
	v_pk_mul_f32 v[132:133], v[158:159], v[132:133] op_sel_hi:[1,0]
	v_mov_b32_e32 v127, v135
	s_delay_alu instid0(VALU_DEP_4)
	v_pk_add_f32 v[120:121], v[120:121], v[124:125]
	v_pk_fma_f32 v[124:125], v[140:141], v[128:129], v[164:165] neg_lo:[0,0,1] neg_hi:[0,0,1]
	v_mov_b32_e32 v125, v123
	v_pk_fma_f32 v[122:123], v[142:143], v[130:131], v[132:133] op_sel_hi:[1,0,1]
	v_pk_fma_f32 v[128:129], v[142:143], v[130:131], v[132:133] neg_lo:[0,0,1] neg_hi:[0,0,1]
	v_pk_add_f32 v[120:121], v[120:121], v[126:127]
	s_wait_loadcnt_dscnt 0x100
	v_pk_mul_f32 v[126:127], v[148:149], v[144:145] op_sel:[1,1] op_sel_hi:[0,1]
	v_mov_b32_e32 v129, v123
	s_delay_alu instid0(VALU_DEP_3) | instskip(NEXT) | instid1(VALU_DEP_3)
	v_pk_add_f32 v[120:121], v[120:121], v[124:125]
	v_pk_fma_f32 v[122:123], v[148:149], v[144:145], v[126:127] op_sel_hi:[1,0,1]
	v_pk_fma_f32 v[124:125], v[148:149], v[144:145], v[126:127] neg_lo:[0,0,1] neg_hi:[0,0,1]
	s_delay_alu instid0(VALU_DEP_3) | instskip(NEXT) | instid1(VALU_DEP_3)
	v_pk_add_f32 v[120:121], v[120:121], v[128:129]
	v_mov_b32_e32 v125, v123
	s_delay_alu instid0(VALU_DEP_1) | instskip(SKIP_1) | instid1(VALU_DEP_1)
	v_pk_add_f32 v[120:121], v[120:121], v[124:125]
	s_wait_loadcnt 0x0
	v_pk_add_f32 v[120:121], v[146:147], v[120:121] neg_lo:[0,1] neg_hi:[0,1]
	scratch_store_b64 off, v[120:121], off offset:408
	s_wait_xcnt 0x0
	v_cmpx_lt_u32_e32 50, v0
	s_cbranch_execz .LBB122_267
; %bb.266:
	scratch_load_b64 v[120:121], off, off offset:400
	v_mov_b64_e32 v[122:123], 0
	scratch_store_b64 off, v[122:123], off offset:400
	s_wait_loadcnt 0x0
	ds_store_b64 v1, v[120:121]
.LBB122_267:
	s_wait_xcnt 0x0
	s_or_b32 exec_lo, exec_lo, s0
	s_wait_storecnt_dscnt 0x0
	s_barrier_signal -1
	s_barrier_wait -1
	s_clause 0x4
	scratch_load_b128 v[120:123], off, off offset:408
	scratch_load_b128 v[124:127], off, off offset:424
	scratch_load_b128 v[128:131], off, off offset:440
	scratch_load_b128 v[132:135], off, off offset:456
	scratch_load_b64 v[152:153], off, off offset:400
	ds_load_2addr_b64 v[136:139], v7 offset0:111 offset1:112
	ds_load_2addr_b64 v[140:143], v7 offset0:113 offset1:114
	;; [unrolled: 1-line block ×4, first 2 shown]
	s_mov_b32 s0, exec_lo
	s_wait_dscnt 0x3
	v_dual_mov_b32 v154, v139 :: v_dual_mov_b32 v155, v138
	s_wait_dscnt 0x2
	v_dual_mov_b32 v156, v143 :: v_dual_mov_b32 v157, v142
	;; [unrolled: 2-line block ×3, first 2 shown]
	v_dual_mov_b32 v159, v146 :: v_dual_mov_b32 v164, v151
	s_wait_loadcnt 0x4
	v_mov_b32_e32 v162, v123
	v_pk_mul_f32 v[160:161], v[136:137], v[120:121] op_sel:[1,1] op_sel_hi:[0,1]
	s_wait_loadcnt 0x3
	v_pk_mul_f32 v[166:167], v[140:141], v[124:125] op_sel:[1,1] op_sel_hi:[0,1]
	s_wait_loadcnt 0x2
	v_pk_mul_f32 v[170:171], v[144:145], v[128:129] op_sel:[1,1] op_sel_hi:[0,1]
	v_pk_mul_f32 v[154:155], v[154:155], v[162:163] op_sel_hi:[1,0]
	v_pk_fma_f32 v[168:169], v[136:137], v[120:121], v[160:161] op_sel_hi:[1,0,1]
	v_pk_fma_f32 v[120:121], v[136:137], v[120:121], v[160:161] neg_lo:[0,0,1] neg_hi:[0,0,1]
	v_mov_b32_e32 v162, v127
	v_pk_fma_f32 v[160:161], v[140:141], v[124:125], v[166:167] op_sel_hi:[1,0,1]
	v_pk_fma_f32 v[136:137], v[138:139], v[122:123], v[154:155] op_sel_hi:[1,0,1]
	v_mov_b32_e32 v121, v169
	v_pk_fma_f32 v[122:123], v[138:139], v[122:123], v[154:155] neg_lo:[0,0,1] neg_hi:[0,0,1]
	v_pk_mul_f32 v[156:157], v[156:157], v[162:163] op_sel_hi:[1,0]
	s_delay_alu instid0(VALU_DEP_4) | instskip(NEXT) | instid1(VALU_DEP_4)
	v_dual_mov_b32 v136, v131 :: v_dual_mov_b32 v123, v137
	v_pk_add_f32 v[120:121], v[120:121], 0 op_sel_hi:[1,0]
	v_pk_fma_f32 v[124:125], v[140:141], v[124:125], v[166:167] neg_lo:[0,0,1] neg_hi:[0,0,1]
	v_mov_b32_e32 v125, v161
	v_pk_fma_f32 v[138:139], v[142:143], v[126:127], v[156:157] op_sel_hi:[1,0,1]
	v_pk_mul_f32 v[136:137], v[158:159], v[136:137] op_sel_hi:[1,0]
	v_pk_add_f32 v[120:121], v[120:121], v[122:123]
	v_pk_fma_f32 v[122:123], v[144:145], v[128:129], v[170:171] op_sel_hi:[1,0,1]
	v_pk_fma_f32 v[126:127], v[142:143], v[126:127], v[156:157] neg_lo:[0,0,1] neg_hi:[0,0,1]
	v_mov_b32_e32 v127, v139
	v_pk_fma_f32 v[128:129], v[144:145], v[128:129], v[170:171] neg_lo:[0,0,1] neg_hi:[0,0,1]
	v_pk_add_f32 v[120:121], v[120:121], v[124:125]
	v_mov_b32_e32 v129, v123
	v_pk_fma_f32 v[122:123], v[146:147], v[130:131], v[136:137] op_sel_hi:[1,0,1]
	s_wait_loadcnt 0x1
	v_pk_mul_f32 v[124:125], v[148:149], v[132:133] op_sel:[1,1] op_sel_hi:[0,1]
	v_mov_b32_e32 v122, v135
	v_pk_add_f32 v[120:121], v[120:121], v[126:127]
	v_pk_fma_f32 v[130:131], v[146:147], v[130:131], v[136:137] neg_lo:[0,0,1] neg_hi:[0,0,1]
	v_mov_b32_e32 v131, v123
	v_pk_fma_f32 v[126:127], v[148:149], v[132:133], v[124:125] op_sel_hi:[1,0,1]
	v_pk_mul_f32 v[122:123], v[164:165], v[122:123] op_sel_hi:[1,0]
	v_pk_add_f32 v[120:121], v[120:121], v[128:129]
	v_pk_fma_f32 v[124:125], v[148:149], v[132:133], v[124:125] neg_lo:[0,0,1] neg_hi:[0,0,1]
	s_delay_alu instid0(VALU_DEP_4) | instskip(NEXT) | instid1(VALU_DEP_4)
	v_mov_b32_e32 v125, v127
	v_pk_fma_f32 v[126:127], v[150:151], v[134:135], v[122:123] op_sel_hi:[1,0,1]
	s_delay_alu instid0(VALU_DEP_4) | instskip(SKIP_1) | instid1(VALU_DEP_3)
	v_pk_add_f32 v[120:121], v[120:121], v[130:131]
	v_pk_fma_f32 v[122:123], v[150:151], v[134:135], v[122:123] neg_lo:[0,0,1] neg_hi:[0,0,1]
	v_mov_b32_e32 v123, v127
	s_delay_alu instid0(VALU_DEP_3) | instskip(NEXT) | instid1(VALU_DEP_1)
	v_pk_add_f32 v[120:121], v[120:121], v[124:125]
	v_pk_add_f32 v[120:121], v[120:121], v[122:123]
	s_wait_loadcnt 0x0
	s_delay_alu instid0(VALU_DEP_1)
	v_pk_add_f32 v[120:121], v[152:153], v[120:121] neg_lo:[0,1] neg_hi:[0,1]
	scratch_store_b64 off, v[120:121], off offset:400
	s_wait_xcnt 0x0
	v_cmpx_lt_u32_e32 49, v0
	s_cbranch_execz .LBB122_269
; %bb.268:
	scratch_load_b64 v[120:121], off, off offset:392
	v_mov_b64_e32 v[122:123], 0
	scratch_store_b64 off, v[122:123], off offset:392
	s_wait_loadcnt 0x0
	ds_store_b64 v1, v[120:121]
.LBB122_269:
	s_wait_xcnt 0x0
	s_or_b32 exec_lo, exec_lo, s0
	s_wait_storecnt_dscnt 0x0
	s_barrier_signal -1
	s_barrier_wait -1
	s_clause 0x5
	scratch_load_b128 v[120:123], off, off offset:400
	scratch_load_b128 v[124:127], off, off offset:416
	;; [unrolled: 1-line block ×4, first 2 shown]
	scratch_load_b64 v[152:153], off, off offset:464
	scratch_load_b64 v[154:155], off, off offset:392
	v_mov_b32_e32 v7, 0
	ds_load_b128 v[136:139], v7 offset:880
	ds_load_b128 v[140:143], v7 offset:896
	;; [unrolled: 1-line block ×4, first 2 shown]
	ds_load_b64 v[156:157], v7 offset:944
	s_mov_b32 s0, exec_lo
	s_wait_dscnt 0x4
	v_dual_mov_b32 v158, v139 :: v_dual_mov_b32 v159, v138
	s_wait_dscnt 0x1
	v_dual_mov_b32 v160, v143 :: v_dual_mov_b32 v165, v150
	v_dual_mov_b32 v161, v142 :: v_dual_mov_b32 v162, v147
	;; [unrolled: 1-line block ×3, first 2 shown]
	s_wait_loadcnt 0x5
	v_dual_mov_b32 v166, v123 :: v_dual_mul_f32 v167, v136, v121
	v_mul_f32_e32 v9, v137, v121
	s_wait_loadcnt 0x4
	v_pk_mul_f32 v[168:169], v[140:141], v[124:125] op_sel:[1,1] op_sel_hi:[0,1]
	v_mov_b32_e32 v170, v127
	s_wait_loadcnt 0x3
	v_pk_mul_f32 v[172:173], v[144:145], v[128:129] op_sel:[1,1] op_sel_hi:[0,1]
	v_pk_mul_f32 v[158:159], v[158:159], v[166:167] op_sel_hi:[1,0]
	v_dual_fmac_f32 v167, v137, v120 :: v_dual_fma_f32 v166, v136, v120, -v9
	v_mov_b32_e32 v120, v131
	v_pk_fma_f32 v[174:175], v[140:141], v[124:125], v[168:169] op_sel_hi:[1,0,1]
	s_delay_alu instid0(VALU_DEP_4)
	v_pk_fma_f32 v[136:137], v[138:139], v[122:123], v[158:159] op_sel_hi:[1,0,1]
	v_pk_fma_f32 v[122:123], v[138:139], v[122:123], v[158:159] neg_lo:[0,0,1] neg_hi:[0,0,1]
	v_pk_mul_f32 v[160:161], v[160:161], v[170:171] op_sel_hi:[1,0]
	v_pk_add_f32 v[166:167], v[166:167], 0 op_sel_hi:[1,0]
	v_pk_fma_f32 v[124:125], v[140:141], v[124:125], v[168:169] neg_lo:[0,0,1] neg_hi:[0,0,1]
	v_dual_mov_b32 v123, v137 :: v_dual_mov_b32 v125, v175
	s_delay_alu instid0(VALU_DEP_4) | instskip(SKIP_2) | instid1(VALU_DEP_4)
	v_pk_fma_f32 v[138:139], v[142:143], v[126:127], v[160:161] op_sel_hi:[1,0,1]
	v_pk_fma_f32 v[126:127], v[142:143], v[126:127], v[160:161] neg_lo:[0,0,1] neg_hi:[0,0,1]
	v_pk_fma_f32 v[140:141], v[144:145], v[128:129], v[172:173] op_sel_hi:[1,0,1]
	v_pk_add_f32 v[122:123], v[166:167], v[122:123]
	v_pk_mul_f32 v[120:121], v[162:163], v[120:121] op_sel_hi:[1,0]
	v_mov_b32_e32 v127, v139
	v_pk_fma_f32 v[128:129], v[144:145], v[128:129], v[172:173] neg_lo:[0,0,1] neg_hi:[0,0,1]
	s_wait_loadcnt 0x2
	v_pk_mul_f32 v[136:137], v[148:149], v[132:133] op_sel:[1,1] op_sel_hi:[0,1]
	v_pk_add_f32 v[122:123], v[122:123], v[124:125]
	v_mov_b32_e32 v124, v135
	v_pk_fma_f32 v[138:139], v[146:147], v[130:131], v[120:121] op_sel_hi:[1,0,1]
	v_mov_b32_e32 v129, v141
	v_pk_fma_f32 v[120:121], v[146:147], v[130:131], v[120:121] neg_lo:[0,0,1] neg_hi:[0,0,1]
	v_pk_add_f32 v[122:123], v[122:123], v[126:127]
	v_pk_fma_f32 v[126:127], v[148:149], v[132:133], v[136:137] op_sel_hi:[1,0,1]
	v_pk_mul_f32 v[124:125], v[164:165], v[124:125] op_sel_hi:[1,0]
	v_mov_b32_e32 v121, v139
	s_delay_alu instid0(VALU_DEP_4)
	v_pk_add_f32 v[122:123], v[122:123], v[128:129]
	v_pk_fma_f32 v[128:129], v[148:149], v[132:133], v[136:137] neg_lo:[0,0,1] neg_hi:[0,0,1]
	v_mov_b32_e32 v129, v127
	v_pk_fma_f32 v[126:127], v[150:151], v[134:135], v[124:125] op_sel_hi:[1,0,1]
	v_pk_fma_f32 v[124:125], v[150:151], v[134:135], v[124:125] neg_lo:[0,0,1] neg_hi:[0,0,1]
	v_pk_add_f32 v[120:121], v[122:123], v[120:121]
	s_wait_loadcnt_dscnt 0x100
	v_pk_mul_f32 v[122:123], v[156:157], v[152:153] op_sel:[1,1] op_sel_hi:[0,1]
	v_mov_b32_e32 v125, v127
	s_delay_alu instid0(VALU_DEP_3) | instskip(NEXT) | instid1(VALU_DEP_3)
	v_pk_add_f32 v[120:121], v[120:121], v[128:129]
	v_pk_fma_f32 v[126:127], v[156:157], v[152:153], v[122:123] op_sel_hi:[1,0,1]
	v_pk_fma_f32 v[122:123], v[156:157], v[152:153], v[122:123] neg_lo:[0,0,1] neg_hi:[0,0,1]
	s_delay_alu instid0(VALU_DEP_3) | instskip(NEXT) | instid1(VALU_DEP_3)
	v_pk_add_f32 v[120:121], v[120:121], v[124:125]
	v_mov_b32_e32 v123, v127
	s_delay_alu instid0(VALU_DEP_1) | instskip(SKIP_1) | instid1(VALU_DEP_1)
	v_pk_add_f32 v[120:121], v[120:121], v[122:123]
	s_wait_loadcnt 0x0
	v_pk_add_f32 v[120:121], v[154:155], v[120:121] neg_lo:[0,1] neg_hi:[0,1]
	scratch_store_b64 off, v[120:121], off offset:392
	s_wait_xcnt 0x0
	v_cmpx_lt_u32_e32 48, v0
	s_cbranch_execz .LBB122_271
; %bb.270:
	scratch_load_b64 v[120:121], off, off offset:384
	v_mov_b64_e32 v[122:123], 0
	scratch_store_b64 off, v[122:123], off offset:384
	s_wait_loadcnt 0x0
	ds_store_b64 v1, v[120:121]
.LBB122_271:
	s_wait_xcnt 0x0
	s_or_b32 exec_lo, exec_lo, s0
	s_wait_storecnt_dscnt 0x0
	s_barrier_signal -1
	s_barrier_wait -1
	s_clause 0x5
	scratch_load_b128 v[120:123], off, off offset:392
	scratch_load_b128 v[124:127], off, off offset:408
	;; [unrolled: 1-line block ×5, first 2 shown]
	scratch_load_b64 v[160:161], off, off offset:384
	ds_load_2addr_b64 v[140:143], v7 offset0:111 offset1:112
	ds_load_2addr_b64 v[144:147], v7 offset0:113 offset1:114
	;; [unrolled: 1-line block ×5, first 2 shown]
	s_mov_b32 s0, exec_lo
	s_wait_dscnt 0x4
	v_dual_mov_b32 v162, v143 :: v_dual_mov_b32 v163, v142
	s_wait_dscnt 0x3
	v_dual_mov_b32 v164, v147 :: v_dual_mov_b32 v165, v146
	;; [unrolled: 2-line block ×4, first 2 shown]
	s_wait_loadcnt_dscnt 0x500
	v_dual_mul_f32 v171, v156, v121 :: v_dual_mul_f32 v173, v158, v123
	v_dual_mul_f32 v7, v157, v121 :: v_dual_mul_f32 v9, v159, v123
	s_wait_loadcnt 0x4
	v_pk_mul_f32 v[174:175], v[140:141], v[124:125] op_sel:[1,1] op_sel_hi:[0,1]
	s_wait_loadcnt 0x3
	v_dual_mov_b32 v176, v127 :: v_dual_mov_b32 v180, v131
	v_dual_fmac_f32 v171, v157, v120 :: v_dual_fmac_f32 v173, v159, v122
	v_dual_fma_f32 v170, v156, v120, -v7 :: v_dual_fma_f32 v172, v158, v122, -v9
	v_pk_fma_f32 v[120:121], v[140:141], v[124:125], v[174:175] op_sel_hi:[1,0,1]
	s_delay_alu instid0(VALU_DEP_4) | instskip(SKIP_1) | instid1(VALU_DEP_4)
	v_pk_mul_f32 v[122:123], v[162:163], v[176:177] op_sel_hi:[1,0]
	v_pk_fma_f32 v[124:125], v[140:141], v[124:125], v[174:175] neg_lo:[0,0,1] neg_hi:[0,0,1]
	v_pk_add_f32 v[156:157], v[170:171], 0 op_sel_hi:[1,0]
	v_pk_mul_f32 v[178:179], v[144:145], v[128:129] op_sel:[1,1] op_sel_hi:[0,1]
	v_mov_b32_e32 v125, v121
	v_pk_fma_f32 v[120:121], v[142:143], v[126:127], v[122:123] op_sel_hi:[1,0,1]
	v_pk_fma_f32 v[122:123], v[142:143], v[126:127], v[122:123] neg_lo:[0,0,1] neg_hi:[0,0,1]
	v_pk_add_f32 v[140:141], v[156:157], v[172:173]
	v_pk_fma_f32 v[156:157], v[144:145], v[128:129], v[178:179] op_sel_hi:[1,0,1]
	v_pk_mul_f32 v[162:163], v[164:165], v[180:181] op_sel_hi:[1,0]
	v_mov_b32_e32 v123, v121
	s_wait_loadcnt 0x2
	v_pk_mul_f32 v[158:159], v[148:149], v[132:133] op_sel:[1,1] op_sel_hi:[0,1]
	v_pk_add_f32 v[120:121], v[140:141], v[124:125]
	v_mov_b32_e32 v124, v135
	v_pk_fma_f32 v[126:127], v[144:145], v[128:129], v[178:179] neg_lo:[0,0,1] neg_hi:[0,0,1]
	v_mov_b32_e32 v127, v157
	v_pk_fma_f32 v[128:129], v[146:147], v[130:131], v[162:163] op_sel_hi:[1,0,1]
	v_pk_add_f32 v[120:121], v[120:121], v[122:123]
	v_pk_fma_f32 v[122:123], v[148:149], v[132:133], v[158:159] op_sel_hi:[1,0,1]
	v_pk_mul_f32 v[124:125], v[166:167], v[124:125] op_sel_hi:[1,0]
	v_pk_fma_f32 v[130:131], v[146:147], v[130:131], v[162:163] neg_lo:[0,0,1] neg_hi:[0,0,1]
	v_mov_b32_e32 v131, v129
	v_pk_add_f32 v[120:121], v[120:121], v[126:127]
	v_pk_fma_f32 v[128:129], v[148:149], v[132:133], v[158:159] neg_lo:[0,0,1] neg_hi:[0,0,1]
	v_mov_b32_e32 v129, v123
	v_pk_fma_f32 v[122:123], v[150:151], v[134:135], v[124:125] op_sel_hi:[1,0,1]
	s_wait_loadcnt 0x1
	v_pk_mul_f32 v[126:127], v[152:153], v[136:137] op_sel:[1,1] op_sel_hi:[0,1]
	v_pk_add_f32 v[120:121], v[120:121], v[130:131]
	v_mov_b32_e32 v122, v139
	v_pk_fma_f32 v[124:125], v[150:151], v[134:135], v[124:125] neg_lo:[0,0,1] neg_hi:[0,0,1]
	v_mov_b32_e32 v125, v123
	v_pk_fma_f32 v[130:131], v[152:153], v[136:137], v[126:127] op_sel_hi:[1,0,1]
	v_pk_add_f32 v[120:121], v[120:121], v[128:129]
	v_pk_mul_f32 v[122:123], v[168:169], v[122:123] op_sel_hi:[1,0]
	v_pk_fma_f32 v[126:127], v[152:153], v[136:137], v[126:127] neg_lo:[0,0,1] neg_hi:[0,0,1]
	s_delay_alu instid0(VALU_DEP_3) | instskip(NEXT) | instid1(VALU_DEP_3)
	v_pk_add_f32 v[120:121], v[120:121], v[124:125]
	v_pk_fma_f32 v[124:125], v[154:155], v[138:139], v[122:123] op_sel_hi:[1,0,1]
	v_mov_b32_e32 v127, v131
	v_pk_fma_f32 v[122:123], v[154:155], v[138:139], v[122:123] neg_lo:[0,0,1] neg_hi:[0,0,1]
	s_delay_alu instid0(VALU_DEP_3) | instskip(NEXT) | instid1(VALU_DEP_3)
	v_mov_b32_e32 v123, v125
	v_pk_add_f32 v[120:121], v[120:121], v[126:127]
	s_delay_alu instid0(VALU_DEP_1) | instskip(SKIP_1) | instid1(VALU_DEP_1)
	v_pk_add_f32 v[120:121], v[120:121], v[122:123]
	s_wait_loadcnt 0x0
	v_pk_add_f32 v[120:121], v[160:161], v[120:121] neg_lo:[0,1] neg_hi:[0,1]
	scratch_store_b64 off, v[120:121], off offset:384
	s_wait_xcnt 0x0
	v_cmpx_lt_u32_e32 47, v0
	s_cbranch_execz .LBB122_273
; %bb.272:
	scratch_load_b64 v[120:121], off, off offset:376
	v_mov_b64_e32 v[122:123], 0
	scratch_store_b64 off, v[122:123], off offset:376
	s_wait_loadcnt 0x0
	ds_store_b64 v1, v[120:121]
.LBB122_273:
	s_wait_xcnt 0x0
	s_or_b32 exec_lo, exec_lo, s0
	s_wait_storecnt_dscnt 0x0
	s_barrier_signal -1
	s_barrier_wait -1
	s_clause 0x6
	scratch_load_b128 v[120:123], off, off offset:384
	scratch_load_b128 v[124:127], off, off offset:400
	scratch_load_b128 v[128:131], off, off offset:416
	scratch_load_b128 v[132:135], off, off offset:432
	scratch_load_b128 v[136:139], off, off offset:448
	scratch_load_b64 v[160:161], off, off offset:464
	scratch_load_b64 v[162:163], off, off offset:376
	v_mov_b32_e32 v7, 0
	ds_load_b128 v[140:143], v7 offset:880
	ds_load_b128 v[144:147], v7 offset:896
	;; [unrolled: 1-line block ×5, first 2 shown]
	ds_load_b64 v[164:165], v7 offset:944
	s_mov_b32 s0, exec_lo
	s_wait_dscnt 0x5
	v_dual_mov_b32 v166, v143 :: v_dual_mov_b32 v167, v142
	s_wait_dscnt 0x2
	v_dual_mov_b32 v168, v147 :: v_dual_mov_b32 v173, v154
	v_dual_mov_b32 v169, v146 :: v_dual_mov_b32 v170, v151
	;; [unrolled: 1-line block ×3, first 2 shown]
	s_wait_loadcnt_dscnt 0x601
	v_dual_mul_f32 v9, v156, v121 :: v_dual_mul_f32 v11, v157, v121
	v_dual_mul_f32 v13, v159, v123 :: v_dual_mul_f32 v175, v158, v123
	s_wait_loadcnt 0x5
	v_dual_mul_f32 v177, v140, v125 :: v_dual_mul_f32 v15, v141, v125
	s_wait_loadcnt 0x4
	v_dual_mov_b32 v176, v127 :: v_dual_mov_b32 v180, v131
	v_dual_fmac_f32 v9, v157, v120 :: v_dual_fma_f32 v11, v156, v120, -v11
	v_dual_fma_f32 v174, v158, v122, -v13 :: v_dual_fmac_f32 v175, v159, v122
	s_delay_alu instid0(VALU_DEP_3) | instskip(NEXT) | instid1(VALU_DEP_3)
	v_pk_mul_f32 v[120:121], v[166:167], v[176:177] op_sel_hi:[1,0]
	v_dual_add_f32 v123, 0, v9 :: v_dual_add_f32 v122, 0, v11
	s_wait_loadcnt 0x3
	v_mov_b32_e32 v156, v135
	v_pk_mul_f32 v[178:179], v[144:145], v[128:129] op_sel:[1,1] op_sel_hi:[0,1]
	v_dual_fmac_f32 v177, v141, v124 :: v_dual_fma_f32 v176, v140, v124, -v15
	v_pk_fma_f32 v[124:125], v[142:143], v[126:127], v[120:121] op_sel_hi:[1,0,1]
	v_pk_add_f32 v[122:123], v[122:123], v[174:175]
	v_pk_fma_f32 v[120:121], v[142:143], v[126:127], v[120:121] neg_lo:[0,0,1] neg_hi:[0,0,1]
	v_pk_fma_f32 v[140:141], v[144:145], v[128:129], v[178:179] op_sel_hi:[1,0,1]
	v_pk_mul_f32 v[158:159], v[168:169], v[180:181] op_sel_hi:[1,0]
	v_mov_b32_e32 v121, v125
	v_pk_add_f32 v[122:123], v[122:123], v[176:177]
	v_pk_fma_f32 v[126:127], v[144:145], v[128:129], v[178:179] neg_lo:[0,0,1] neg_hi:[0,0,1]
	v_pk_mul_f32 v[182:183], v[148:149], v[132:133] op_sel:[1,1] op_sel_hi:[0,1]
	v_mov_b32_e32 v127, v141
	v_pk_fma_f32 v[128:129], v[146:147], v[130:131], v[158:159] op_sel_hi:[1,0,1]
	v_pk_add_f32 v[120:121], v[122:123], v[120:121]
	v_pk_fma_f32 v[130:131], v[146:147], v[130:131], v[158:159] neg_lo:[0,0,1] neg_hi:[0,0,1]
	v_pk_fma_f32 v[122:123], v[148:149], v[132:133], v[182:183] op_sel_hi:[1,0,1]
	v_pk_mul_f32 v[140:141], v[170:171], v[156:157] op_sel_hi:[1,0]
	s_wait_loadcnt 0x2
	v_dual_mov_b32 v131, v129 :: v_dual_mov_b32 v122, v139
	v_pk_add_f32 v[120:121], v[120:121], v[126:127]
	v_pk_fma_f32 v[126:127], v[148:149], v[132:133], v[182:183] neg_lo:[0,0,1] neg_hi:[0,0,1]
	v_pk_mul_f32 v[124:125], v[152:153], v[136:137] op_sel:[1,1] op_sel_hi:[0,1]
	v_pk_fma_f32 v[128:129], v[150:151], v[134:135], v[140:141] op_sel_hi:[1,0,1]
	v_mov_b32_e32 v127, v123
	v_pk_add_f32 v[120:121], v[120:121], v[130:131]
	v_pk_fma_f32 v[132:133], v[150:151], v[134:135], v[140:141] neg_lo:[0,0,1] neg_hi:[0,0,1]
	v_pk_fma_f32 v[130:131], v[152:153], v[136:137], v[124:125] op_sel_hi:[1,0,1]
	v_pk_mul_f32 v[122:123], v[172:173], v[122:123] op_sel_hi:[1,0]
	v_mov_b32_e32 v133, v129
	v_pk_add_f32 v[120:121], v[120:121], v[126:127]
	v_pk_fma_f32 v[124:125], v[152:153], v[136:137], v[124:125] neg_lo:[0,0,1] neg_hi:[0,0,1]
	s_wait_loadcnt_dscnt 0x100
	v_pk_mul_f32 v[128:129], v[164:165], v[160:161] op_sel:[1,1] op_sel_hi:[0,1]
	v_pk_fma_f32 v[126:127], v[154:155], v[138:139], v[122:123] op_sel_hi:[1,0,1]
	v_mov_b32_e32 v125, v131
	v_pk_add_f32 v[120:121], v[120:121], v[132:133]
	v_pk_fma_f32 v[122:123], v[154:155], v[138:139], v[122:123] neg_lo:[0,0,1] neg_hi:[0,0,1]
	s_delay_alu instid0(VALU_DEP_4) | instskip(SKIP_1) | instid1(VALU_DEP_4)
	v_mov_b32_e32 v123, v127
	v_pk_fma_f32 v[126:127], v[164:165], v[160:161], v[128:129] neg_lo:[0,0,1] neg_hi:[0,0,1]
	v_pk_add_f32 v[120:121], v[120:121], v[124:125]
	v_pk_fma_f32 v[124:125], v[164:165], v[160:161], v[128:129] op_sel_hi:[1,0,1]
	s_delay_alu instid0(VALU_DEP_2) | instskip(NEXT) | instid1(VALU_DEP_2)
	v_pk_add_f32 v[120:121], v[120:121], v[122:123]
	v_mov_b32_e32 v127, v125
	s_delay_alu instid0(VALU_DEP_1) | instskip(SKIP_1) | instid1(VALU_DEP_1)
	v_pk_add_f32 v[120:121], v[120:121], v[126:127]
	s_wait_loadcnt 0x0
	v_pk_add_f32 v[120:121], v[162:163], v[120:121] neg_lo:[0,1] neg_hi:[0,1]
	scratch_store_b64 off, v[120:121], off offset:376
	s_wait_xcnt 0x0
	v_cmpx_lt_u32_e32 46, v0
	s_cbranch_execz .LBB122_275
; %bb.274:
	scratch_load_b64 v[120:121], off, off offset:368
	v_mov_b64_e32 v[122:123], 0
	scratch_store_b64 off, v[122:123], off offset:368
	s_wait_loadcnt 0x0
	ds_store_b64 v1, v[120:121]
.LBB122_275:
	s_wait_xcnt 0x0
	s_or_b32 exec_lo, exec_lo, s0
	s_wait_storecnt_dscnt 0x0
	s_barrier_signal -1
	s_barrier_wait -1
	s_clause 0x6
	scratch_load_b128 v[120:123], off, off offset:376
	scratch_load_b128 v[124:127], off, off offset:392
	;; [unrolled: 1-line block ×6, first 2 shown]
	scratch_load_b64 v[168:169], off, off offset:368
	ds_load_2addr_b64 v[144:147], v7 offset0:111 offset1:112
	ds_load_2addr_b64 v[148:151], v7 offset0:113 offset1:114
	;; [unrolled: 1-line block ×6, first 2 shown]
	s_mov_b32 s0, exec_lo
	s_wait_dscnt 0x5
	v_dual_mov_b32 v170, v147 :: v_dual_mov_b32 v171, v146
	s_wait_dscnt 0x4
	v_dual_mov_b32 v172, v151 :: v_dual_mov_b32 v173, v150
	;; [unrolled: 2-line block ×4, first 2 shown]
	s_wait_loadcnt_dscnt 0x601
	v_dual_mul_f32 v7, v160, v121 :: v_dual_mul_f32 v9, v162, v123
	v_dual_mul_f32 v11, v161, v121 :: v_dual_mul_f32 v13, v163, v123
	s_wait_loadcnt 0x4
	s_delay_alu instid0(VALU_DEP_2)
	v_dual_mov_b32 v184, v131 :: v_dual_fmac_f32 v7, v161, v120
	s_wait_dscnt 0x0
	v_dual_mul_f32 v179, v164, v125 :: v_dual_mul_f32 v181, v166, v127
	v_dual_fma_f32 v11, v160, v120, -v11 :: v_dual_fmac_f32 v9, v163, v122
	v_dual_mul_f32 v15, v165, v125 :: v_dual_mul_f32 v17, v167, v127
	v_dual_fma_f32 v13, v162, v122, -v13 :: v_dual_add_f32 v7, 0, v7
	s_wait_loadcnt 0x3
	s_delay_alu instid0(VALU_DEP_3) | instskip(SKIP_3) | instid1(VALU_DEP_4)
	v_dual_add_f32 v11, 0, v11 :: v_dual_mov_b32 v122, v135
	v_pk_mul_f32 v[182:183], v[144:145], v[128:129] op_sel:[1,1] op_sel_hi:[0,1]
	v_pk_mul_f32 v[120:121], v[148:149], v[132:133] op_sel:[1,1] op_sel_hi:[0,1]
	v_dual_fmac_f32 v179, v165, v124 :: v_dual_add_f32 v125, v7, v9
	v_dual_fma_f32 v178, v164, v124, -v15 :: v_dual_add_f32 v124, v11, v13
	v_fmac_f32_e32 v181, v167, v126
	v_fma_f32 v180, v166, v126, -v17
	v_pk_fma_f32 v[126:127], v[144:145], v[128:129], v[182:183] op_sel_hi:[1,0,1]
	v_pk_mul_f32 v[160:161], v[170:171], v[184:185] op_sel_hi:[1,0]
	v_pk_add_f32 v[124:125], v[124:125], v[178:179]
	v_pk_fma_f32 v[128:129], v[144:145], v[128:129], v[182:183] neg_lo:[0,0,1] neg_hi:[0,0,1]
	v_pk_fma_f32 v[144:145], v[148:149], v[132:133], v[120:121] op_sel_hi:[1,0,1]
	v_pk_fma_f32 v[120:121], v[148:149], v[132:133], v[120:121] neg_lo:[0,0,1] neg_hi:[0,0,1]
	v_mov_b32_e32 v129, v127
	v_pk_fma_f32 v[126:127], v[146:147], v[130:131], v[160:161] op_sel_hi:[1,0,1]
	v_pk_fma_f32 v[130:131], v[146:147], v[130:131], v[160:161] neg_lo:[0,0,1] neg_hi:[0,0,1]
	v_mov_b32_e32 v121, v145
	v_pk_add_f32 v[124:125], v[124:125], v[180:181]
	v_pk_mul_f32 v[122:123], v[172:173], v[122:123] op_sel_hi:[1,0]
	s_wait_loadcnt 0x2
	v_dual_mov_b32 v131, v127 :: v_dual_mov_b32 v126, v139
	v_pk_mul_f32 v[162:163], v[152:153], v[136:137] op_sel:[1,1] op_sel_hi:[0,1]
	v_pk_add_f32 v[124:125], v[124:125], v[128:129]
	v_pk_fma_f32 v[128:129], v[150:151], v[134:135], v[122:123] op_sel_hi:[1,0,1]
	v_pk_fma_f32 v[122:123], v[150:151], v[134:135], v[122:123] neg_lo:[0,0,1] neg_hi:[0,0,1]
	v_pk_mul_f32 v[126:127], v[174:175], v[126:127] op_sel_hi:[1,0]
	s_delay_alu instid0(VALU_DEP_4) | instskip(SKIP_3) | instid1(VALU_DEP_4)
	v_pk_add_f32 v[124:125], v[124:125], v[130:131]
	v_pk_fma_f32 v[130:131], v[152:153], v[136:137], v[162:163] op_sel_hi:[1,0,1]
	v_mov_b32_e32 v123, v129
	v_pk_fma_f32 v[128:129], v[152:153], v[136:137], v[162:163] neg_lo:[0,0,1] neg_hi:[0,0,1]
	v_pk_add_f32 v[120:121], v[124:125], v[120:121]
	s_wait_loadcnt 0x1
	v_pk_mul_f32 v[124:125], v[156:157], v[140:141] op_sel:[1,1] op_sel_hi:[0,1]
	v_mov_b32_e32 v129, v131
	v_pk_fma_f32 v[130:131], v[154:155], v[138:139], v[126:127] op_sel_hi:[1,0,1]
	v_pk_fma_f32 v[126:127], v[154:155], v[138:139], v[126:127] neg_lo:[0,0,1] neg_hi:[0,0,1]
	v_pk_add_f32 v[120:121], v[120:121], v[122:123]
	v_mov_b32_e32 v122, v143
	v_pk_fma_f32 v[132:133], v[156:157], v[140:141], v[124:125] op_sel_hi:[1,0,1]
	v_mov_b32_e32 v127, v131
	v_pk_fma_f32 v[124:125], v[156:157], v[140:141], v[124:125] neg_lo:[0,0,1] neg_hi:[0,0,1]
	v_pk_add_f32 v[120:121], v[120:121], v[128:129]
	v_pk_mul_f32 v[122:123], v[176:177], v[122:123] op_sel_hi:[1,0]
	s_delay_alu instid0(VALU_DEP_2) | instskip(NEXT) | instid1(VALU_DEP_2)
	v_pk_add_f32 v[120:121], v[120:121], v[126:127]
	v_pk_fma_f32 v[126:127], v[158:159], v[142:143], v[122:123] op_sel_hi:[1,0,1]
	v_mov_b32_e32 v125, v133
	v_pk_fma_f32 v[122:123], v[158:159], v[142:143], v[122:123] neg_lo:[0,0,1] neg_hi:[0,0,1]
	s_delay_alu instid0(VALU_DEP_3) | instskip(NEXT) | instid1(VALU_DEP_3)
	v_mov_b32_e32 v123, v127
	v_pk_add_f32 v[120:121], v[120:121], v[124:125]
	s_delay_alu instid0(VALU_DEP_1) | instskip(SKIP_1) | instid1(VALU_DEP_1)
	v_pk_add_f32 v[120:121], v[120:121], v[122:123]
	s_wait_loadcnt 0x0
	v_pk_add_f32 v[120:121], v[168:169], v[120:121] neg_lo:[0,1] neg_hi:[0,1]
	scratch_store_b64 off, v[120:121], off offset:368
	s_wait_xcnt 0x0
	v_cmpx_lt_u32_e32 45, v0
	s_cbranch_execz .LBB122_277
; %bb.276:
	scratch_load_b64 v[120:121], off, off offset:360
	v_mov_b64_e32 v[122:123], 0
	scratch_store_b64 off, v[122:123], off offset:360
	s_wait_loadcnt 0x0
	ds_store_b64 v1, v[120:121]
.LBB122_277:
	s_wait_xcnt 0x0
	s_or_b32 exec_lo, exec_lo, s0
	s_wait_storecnt_dscnt 0x0
	s_barrier_signal -1
	s_barrier_wait -1
	s_clause 0x7
	scratch_load_b128 v[120:123], off, off offset:368
	scratch_load_b128 v[124:127], off, off offset:384
	;; [unrolled: 1-line block ×6, first 2 shown]
	scratch_load_b64 v[168:169], off, off offset:464
	scratch_load_b64 v[170:171], off, off offset:360
	v_mov_b32_e32 v7, 0
	ds_load_b128 v[144:147], v7 offset:880
	ds_load_b128 v[148:151], v7 offset:896
	;; [unrolled: 1-line block ×6, first 2 shown]
	ds_load_b64 v[172:173], v7 offset:944
	s_mov_b32 s0, exec_lo
	s_wait_dscnt 0x6
	v_dual_mov_b32 v174, v147 :: v_dual_mov_b32 v175, v146
	s_wait_dscnt 0x3
	v_dual_mov_b32 v176, v151 :: v_dual_mov_b32 v181, v158
	v_dual_mov_b32 v177, v150 :: v_dual_mov_b32 v178, v155
	;; [unrolled: 1-line block ×3, first 2 shown]
	s_wait_loadcnt_dscnt 0x702
	v_dual_mul_f32 v9, v160, v121 :: v_dual_mul_f32 v15, v161, v121
	v_dual_mul_f32 v17, v163, v123 :: v_dual_mul_f32 v11, v162, v123
	s_wait_loadcnt_dscnt 0x601
	s_delay_alu instid0(VALU_DEP_2) | instskip(NEXT) | instid1(VALU_DEP_3)
	v_dual_mul_f32 v13, v164, v125 :: v_dual_fmac_f32 v9, v161, v120
	v_dual_fma_f32 v15, v160, v120, -v15 :: v_dual_mul_f32 v19, v165, v125
	v_mul_f32_e32 v21, v167, v127
	s_wait_loadcnt 0x4
	v_dual_mov_b32 v120, v135 :: v_dual_fma_f32 v17, v162, v122, -v17
	v_dual_fmac_f32 v11, v163, v122 :: v_dual_add_f32 v9, 0, v9
	v_dual_add_f32 v15, 0, v15 :: v_dual_fmac_f32 v13, v165, v124
	v_dual_mul_f32 v183, v166, v127 :: v_dual_mul_f32 v185, v144, v129
	v_dual_mul_f32 v23, v145, v129 :: v_dual_mov_b32 v184, v131
	s_delay_alu instid0(VALU_DEP_4) | instskip(NEXT) | instid1(VALU_DEP_4)
	v_dual_fma_f32 v19, v164, v124, -v19 :: v_dual_add_f32 v9, v9, v11
	v_dual_add_f32 v11, v15, v17 :: v_dual_fma_f32 v182, v166, v126, -v21
	s_delay_alu instid0(VALU_DEP_4) | instskip(NEXT) | instid1(VALU_DEP_4)
	v_fmac_f32_e32 v183, v167, v126
	v_pk_mul_f32 v[124:125], v[174:175], v[184:185] op_sel_hi:[1,0]
	s_delay_alu instid0(VALU_DEP_3)
	v_dual_add_f32 v127, v9, v13 :: v_dual_add_f32 v126, v11, v19
	v_fmac_f32_e32 v185, v145, v128
	v_pk_mul_f32 v[186:187], v[148:149], v[132:133] op_sel:[1,1] op_sel_hi:[0,1]
	s_wait_loadcnt 0x3
	v_dual_mov_b32 v160, v139 :: v_dual_fma_f32 v184, v144, v128, -v23
	v_pk_fma_f32 v[128:129], v[146:147], v[130:131], v[124:125] op_sel_hi:[1,0,1]
	v_pk_add_f32 v[126:127], v[126:127], v[182:183]
	v_pk_fma_f32 v[124:125], v[146:147], v[130:131], v[124:125] neg_lo:[0,0,1] neg_hi:[0,0,1]
	v_pk_fma_f32 v[144:145], v[148:149], v[132:133], v[186:187] op_sel_hi:[1,0,1]
	v_pk_mul_f32 v[120:121], v[176:177], v[120:121] op_sel_hi:[1,0]
	v_mov_b32_e32 v125, v129
	v_pk_add_f32 v[126:127], v[126:127], v[184:185]
	v_pk_fma_f32 v[130:131], v[148:149], v[132:133], v[186:187] neg_lo:[0,0,1] neg_hi:[0,0,1]
	v_pk_mul_f32 v[122:123], v[152:153], v[136:137] op_sel:[1,1] op_sel_hi:[0,1]
	v_mov_b32_e32 v131, v145
	v_pk_fma_f32 v[132:133], v[150:151], v[134:135], v[120:121] op_sel_hi:[1,0,1]
	v_pk_add_f32 v[124:125], v[126:127], v[124:125]
	v_pk_fma_f32 v[120:121], v[150:151], v[134:135], v[120:121] neg_lo:[0,0,1] neg_hi:[0,0,1]
	v_pk_fma_f32 v[126:127], v[152:153], v[136:137], v[122:123] op_sel_hi:[1,0,1]
	v_pk_mul_f32 v[144:145], v[178:179], v[160:161] op_sel_hi:[1,0]
	s_wait_loadcnt 0x2
	v_dual_mov_b32 v121, v133 :: v_dual_mov_b32 v126, v143
	v_pk_add_f32 v[124:125], v[124:125], v[130:131]
	v_pk_fma_f32 v[122:123], v[152:153], v[136:137], v[122:123] neg_lo:[0,0,1] neg_hi:[0,0,1]
	v_pk_mul_f32 v[128:129], v[156:157], v[140:141] op_sel:[1,1] op_sel_hi:[0,1]
	v_pk_fma_f32 v[130:131], v[154:155], v[138:139], v[144:145] op_sel_hi:[1,0,1]
	v_mov_b32_e32 v123, v127
	v_pk_add_f32 v[120:121], v[124:125], v[120:121]
	v_pk_fma_f32 v[132:133], v[154:155], v[138:139], v[144:145] neg_lo:[0,0,1] neg_hi:[0,0,1]
	v_pk_fma_f32 v[124:125], v[156:157], v[140:141], v[128:129] op_sel_hi:[1,0,1]
	v_pk_mul_f32 v[126:127], v[180:181], v[126:127] op_sel_hi:[1,0]
	v_mov_b32_e32 v133, v131
	v_pk_add_f32 v[120:121], v[120:121], v[122:123]
	v_pk_fma_f32 v[122:123], v[156:157], v[140:141], v[128:129] neg_lo:[0,0,1] neg_hi:[0,0,1]
	v_mov_b32_e32 v123, v125
	v_pk_fma_f32 v[124:125], v[158:159], v[142:143], v[126:127] op_sel_hi:[1,0,1]
	s_wait_loadcnt_dscnt 0x100
	v_pk_mul_f32 v[128:129], v[172:173], v[168:169] op_sel:[1,1] op_sel_hi:[0,1]
	v_pk_add_f32 v[120:121], v[120:121], v[132:133]
	v_pk_fma_f32 v[126:127], v[158:159], v[142:143], v[126:127] neg_lo:[0,0,1] neg_hi:[0,0,1]
	v_mov_b32_e32 v127, v125
	s_delay_alu instid0(VALU_DEP_4) | instskip(NEXT) | instid1(VALU_DEP_4)
	v_pk_fma_f32 v[124:125], v[172:173], v[168:169], v[128:129] neg_lo:[0,0,1] neg_hi:[0,0,1]
	v_pk_add_f32 v[120:121], v[120:121], v[122:123]
	v_pk_fma_f32 v[122:123], v[172:173], v[168:169], v[128:129] op_sel_hi:[1,0,1]
	s_delay_alu instid0(VALU_DEP_2) | instskip(NEXT) | instid1(VALU_DEP_2)
	v_pk_add_f32 v[120:121], v[120:121], v[126:127]
	v_mov_b32_e32 v125, v123
	s_delay_alu instid0(VALU_DEP_1) | instskip(SKIP_1) | instid1(VALU_DEP_1)
	v_pk_add_f32 v[120:121], v[120:121], v[124:125]
	s_wait_loadcnt 0x0
	v_pk_add_f32 v[120:121], v[170:171], v[120:121] neg_lo:[0,1] neg_hi:[0,1]
	scratch_store_b64 off, v[120:121], off offset:360
	s_wait_xcnt 0x0
	v_cmpx_lt_u32_e32 44, v0
	s_cbranch_execz .LBB122_279
; %bb.278:
	scratch_load_b64 v[120:121], off, off offset:352
	v_mov_b64_e32 v[122:123], 0
	scratch_store_b64 off, v[122:123], off offset:352
	s_wait_loadcnt 0x0
	ds_store_b64 v1, v[120:121]
.LBB122_279:
	s_wait_xcnt 0x0
	s_or_b32 exec_lo, exec_lo, s0
	s_wait_storecnt_dscnt 0x0
	s_barrier_signal -1
	s_barrier_wait -1
	s_clause 0x7
	scratch_load_b128 v[120:123], off, off offset:360
	scratch_load_b128 v[124:127], off, off offset:376
	;; [unrolled: 1-line block ×7, first 2 shown]
	scratch_load_b64 v[176:177], off, off offset:352
	ds_load_2addr_b64 v[148:151], v7 offset0:111 offset1:112
	ds_load_2addr_b64 v[152:155], v7 offset0:113 offset1:114
	ds_load_2addr_b64 v[156:159], v7 offset0:115 offset1:116
	ds_load_2addr_b64 v[160:163], v7 offset0:117 offset1:118
	ds_load_2addr_b64 v[164:167], v7 offset0:105 offset1:106
	ds_load_2addr_b64 v[168:171], v7 offset0:107 offset1:108
	ds_load_2addr_b64 v[172:175], v7 offset0:109 offset1:110
	s_mov_b32 s0, exec_lo
	s_wait_dscnt 0x6
	v_dual_mov_b32 v178, v151 :: v_dual_mov_b32 v179, v150
	s_wait_dscnt 0x5
	v_dual_mov_b32 v180, v155 :: v_dual_mov_b32 v181, v154
	;; [unrolled: 2-line block ×4, first 2 shown]
	s_wait_loadcnt_dscnt 0x702
	v_dual_mul_f32 v7, v164, v121 :: v_dual_mul_f32 v9, v166, v123
	v_dual_mul_f32 v15, v165, v121 :: v_dual_mul_f32 v17, v167, v123
	s_wait_loadcnt_dscnt 0x601
	v_dual_mul_f32 v11, v168, v125 :: v_dual_mul_f32 v13, v170, v127
	s_delay_alu instid0(VALU_DEP_3) | instskip(NEXT) | instid1(VALU_DEP_3)
	v_dual_fmac_f32 v7, v165, v120 :: v_dual_fmac_f32 v9, v167, v122
	v_dual_fma_f32 v15, v164, v120, -v15 :: v_dual_fma_f32 v17, v166, v122, -v17
	v_dual_mul_f32 v19, v169, v125 :: v_dual_mul_f32 v21, v171, v127
	s_wait_loadcnt 0x4
	s_delay_alu instid0(VALU_DEP_3) | instskip(NEXT) | instid1(VALU_DEP_3)
	v_dual_add_f32 v7, 0, v7 :: v_dual_mov_b32 v122, v135
	v_dual_add_f32 v15, 0, v15 :: v_dual_fmac_f32 v11, v169, v124
	s_delay_alu instid0(VALU_DEP_2) | instskip(SKIP_2) | instid1(VALU_DEP_3)
	v_dual_fma_f32 v19, v168, v124, -v19 :: v_dual_add_f32 v7, v7, v9
	s_wait_dscnt 0x0
	v_dual_mul_f32 v187, v172, v129 :: v_dual_mul_f32 v189, v174, v131
	v_dual_add_f32 v9, v15, v17 :: v_dual_fma_f32 v15, v170, v126, -v21
	v_dual_mul_f32 v23, v173, v129 :: v_dual_mul_f32 v25, v175, v131
	s_delay_alu instid0(VALU_DEP_2) | instskip(NEXT) | instid1(VALU_DEP_4)
	v_dual_fmac_f32 v13, v171, v126 :: v_dual_add_f32 v9, v9, v19
	v_dual_add_f32 v7, v7, v11 :: v_dual_fmac_f32 v187, v173, v128
	v_pk_mul_f32 v[120:121], v[148:149], v[132:133] op_sel:[1,1] op_sel_hi:[0,1]
	s_wait_loadcnt 0x3
	v_pk_mul_f32 v[124:125], v[152:153], v[136:137] op_sel:[1,1] op_sel_hi:[0,1]
	v_dual_mov_b32 v126, v139 :: v_dual_fma_f32 v186, v172, v128, -v23
	v_dual_add_f32 v129, v7, v13 :: v_dual_add_f32 v128, v9, v15
	v_fmac_f32_e32 v189, v175, v130
	v_fma_f32 v188, v174, v130, -v25
	v_pk_fma_f32 v[130:131], v[148:149], v[132:133], v[120:121] op_sel_hi:[1,0,1]
	v_pk_mul_f32 v[122:123], v[178:179], v[122:123] op_sel_hi:[1,0]
	v_pk_add_f32 v[128:129], v[128:129], v[186:187]
	v_pk_fma_f32 v[120:121], v[148:149], v[132:133], v[120:121] neg_lo:[0,0,1] neg_hi:[0,0,1]
	v_pk_fma_f32 v[132:133], v[152:153], v[136:137], v[124:125] op_sel_hi:[1,0,1]
	v_pk_fma_f32 v[124:125], v[152:153], v[136:137], v[124:125] neg_lo:[0,0,1] neg_hi:[0,0,1]
	v_mov_b32_e32 v121, v131
	v_pk_fma_f32 v[130:131], v[150:151], v[134:135], v[122:123] op_sel_hi:[1,0,1]
	v_pk_fma_f32 v[122:123], v[150:151], v[134:135], v[122:123] neg_lo:[0,0,1] neg_hi:[0,0,1]
	v_mov_b32_e32 v125, v133
	v_pk_add_f32 v[128:129], v[128:129], v[188:189]
	v_pk_mul_f32 v[126:127], v[180:181], v[126:127] op_sel_hi:[1,0]
	v_mov_b32_e32 v123, v131
	s_wait_loadcnt 0x2
	v_pk_mul_f32 v[164:165], v[156:157], v[140:141] op_sel:[1,1] op_sel_hi:[0,1]
	v_pk_add_f32 v[120:121], v[128:129], v[120:121]
	v_mov_b32_e32 v128, v143
	v_pk_fma_f32 v[130:131], v[154:155], v[138:139], v[126:127] op_sel_hi:[1,0,1]
	v_pk_fma_f32 v[126:127], v[154:155], v[138:139], v[126:127] neg_lo:[0,0,1] neg_hi:[0,0,1]
	s_delay_alu instid0(VALU_DEP_4)
	v_pk_add_f32 v[120:121], v[120:121], v[122:123]
	v_pk_fma_f32 v[122:123], v[156:157], v[140:141], v[164:165] op_sel_hi:[1,0,1]
	v_pk_mul_f32 v[128:129], v[182:183], v[128:129] op_sel_hi:[1,0]
	v_mov_b32_e32 v127, v131
	v_pk_fma_f32 v[130:131], v[156:157], v[140:141], v[164:165] neg_lo:[0,0,1] neg_hi:[0,0,1]
	v_pk_add_f32 v[120:121], v[120:121], v[124:125]
	v_mov_b32_e32 v131, v123
	v_pk_fma_f32 v[122:123], v[158:159], v[142:143], v[128:129] op_sel_hi:[1,0,1]
	s_wait_loadcnt 0x1
	v_pk_mul_f32 v[124:125], v[160:161], v[144:145] op_sel:[1,1] op_sel_hi:[0,1]
	v_mov_b32_e32 v122, v147
	v_pk_add_f32 v[120:121], v[120:121], v[126:127]
	v_pk_fma_f32 v[128:129], v[158:159], v[142:143], v[128:129] neg_lo:[0,0,1] neg_hi:[0,0,1]
	v_mov_b32_e32 v129, v123
	v_pk_fma_f32 v[126:127], v[160:161], v[144:145], v[124:125] op_sel_hi:[1,0,1]
	v_pk_mul_f32 v[122:123], v[184:185], v[122:123] op_sel_hi:[1,0]
	v_pk_add_f32 v[120:121], v[120:121], v[130:131]
	v_pk_fma_f32 v[124:125], v[160:161], v[144:145], v[124:125] neg_lo:[0,0,1] neg_hi:[0,0,1]
	s_delay_alu instid0(VALU_DEP_4) | instskip(NEXT) | instid1(VALU_DEP_4)
	v_mov_b32_e32 v125, v127
	v_pk_fma_f32 v[126:127], v[162:163], v[146:147], v[122:123] op_sel_hi:[1,0,1]
	s_delay_alu instid0(VALU_DEP_4) | instskip(SKIP_1) | instid1(VALU_DEP_3)
	v_pk_add_f32 v[120:121], v[120:121], v[128:129]
	v_pk_fma_f32 v[122:123], v[162:163], v[146:147], v[122:123] neg_lo:[0,0,1] neg_hi:[0,0,1]
	v_mov_b32_e32 v123, v127
	s_delay_alu instid0(VALU_DEP_3) | instskip(NEXT) | instid1(VALU_DEP_1)
	v_pk_add_f32 v[120:121], v[120:121], v[124:125]
	v_pk_add_f32 v[120:121], v[120:121], v[122:123]
	s_wait_loadcnt 0x0
	s_delay_alu instid0(VALU_DEP_1)
	v_pk_add_f32 v[120:121], v[176:177], v[120:121] neg_lo:[0,1] neg_hi:[0,1]
	scratch_store_b64 off, v[120:121], off offset:352
	s_wait_xcnt 0x0
	v_cmpx_lt_u32_e32 43, v0
	s_cbranch_execz .LBB122_281
; %bb.280:
	scratch_load_b64 v[120:121], off, off offset:344
	v_mov_b64_e32 v[122:123], 0
	scratch_store_b64 off, v[122:123], off offset:344
	s_wait_loadcnt 0x0
	ds_store_b64 v1, v[120:121]
.LBB122_281:
	s_wait_xcnt 0x0
	s_or_b32 exec_lo, exec_lo, s0
	s_wait_storecnt_dscnt 0x0
	s_barrier_signal -1
	s_barrier_wait -1
	s_clause 0x8
	scratch_load_b128 v[120:123], off, off offset:352
	scratch_load_b128 v[124:127], off, off offset:368
	;; [unrolled: 1-line block ×7, first 2 shown]
	scratch_load_b64 v[176:177], off, off offset:464
	scratch_load_b64 v[178:179], off, off offset:344
	v_mov_b32_e32 v7, 0
	ds_load_b128 v[148:151], v7 offset:880
	ds_load_b128 v[152:155], v7 offset:896
	;; [unrolled: 1-line block ×7, first 2 shown]
	ds_load_b64 v[180:181], v7 offset:944
	s_mov_b32 s0, exec_lo
	s_wait_dscnt 0x7
	v_dual_mov_b32 v182, v151 :: v_dual_mov_b32 v183, v150
	s_wait_dscnt 0x4
	v_dual_mov_b32 v184, v155 :: v_dual_mov_b32 v189, v162
	v_dual_mov_b32 v185, v154 :: v_dual_mov_b32 v186, v159
	;; [unrolled: 1-line block ×3, first 2 shown]
	s_wait_loadcnt_dscnt 0x803
	v_dual_mul_f32 v9, v164, v121 :: v_dual_mul_f32 v19, v165, v121
	v_dual_mul_f32 v21, v167, v123 :: v_dual_mul_f32 v11, v166, v123
	s_wait_loadcnt_dscnt 0x702
	v_mul_f32_e32 v13, v168, v125
	s_wait_loadcnt 0x5
	v_dual_mul_f32 v31, v149, v133 :: v_dual_fma_f32 v19, v164, v120, -v19
	v_dual_fmac_f32 v9, v165, v120 :: v_dual_mov_b32 v120, v135
	v_dual_mul_f32 v23, v169, v125 :: v_dual_mul_f32 v25, v171, v127
	v_dual_fmac_f32 v11, v167, v122 :: v_dual_fma_f32 v21, v166, v122, -v21
	s_delay_alu instid0(VALU_DEP_3) | instskip(SKIP_3) | instid1(VALU_DEP_3)
	v_dual_add_f32 v9, 0, v9 :: v_dual_add_f32 v19, 0, v19
	s_wait_dscnt 0x1
	v_dual_mul_f32 v15, v170, v127 :: v_dual_mul_f32 v17, v172, v129
	v_dual_fmac_f32 v13, v169, v124 :: v_dual_fma_f32 v23, v168, v124, -v23
	v_dual_add_f32 v9, v9, v11 :: v_dual_add_f32 v11, v19, v21
	v_dual_mul_f32 v27, v173, v129 :: v_dual_mul_f32 v29, v175, v131
	s_wait_loadcnt 0x4
	v_dual_mov_b32 v124, v139 :: v_dual_fma_f32 v19, v170, v126, -v25
	s_delay_alu instid0(VALU_DEP_3) | instskip(SKIP_2) | instid1(VALU_DEP_3)
	v_dual_fmac_f32 v15, v171, v126 :: v_dual_add_f32 v9, v9, v13
	v_dual_add_f32 v11, v11, v23 :: v_dual_fmac_f32 v17, v173, v128
	v_dual_mul_f32 v191, v174, v131 :: v_dual_mul_f32 v193, v148, v133
	v_dual_fma_f32 v13, v172, v128, -v27 :: v_dual_add_f32 v9, v9, v15
	s_delay_alu instid0(VALU_DEP_3) | instskip(NEXT) | instid1(VALU_DEP_3)
	v_dual_add_f32 v11, v11, v19 :: v_dual_fma_f32 v190, v174, v130, -v29
	v_fmac_f32_e32 v191, v175, v130
	v_pk_mul_f32 v[120:121], v[182:183], v[120:121] op_sel_hi:[1,0]
	s_delay_alu instid0(VALU_DEP_4) | instskip(NEXT) | instid1(VALU_DEP_4)
	v_add_f32_e32 v129, v9, v17
	v_dual_add_f32 v128, v11, v13 :: v_dual_fmac_f32 v193, v149, v132
	v_pk_mul_f32 v[122:123], v[152:153], v[136:137] op_sel:[1,1] op_sel_hi:[0,1]
	s_wait_loadcnt 0x3
	v_dual_mov_b32 v130, v143 :: v_dual_fma_f32 v192, v148, v132, -v31
	v_pk_fma_f32 v[132:133], v[150:151], v[134:135], v[120:121] op_sel_hi:[1,0,1]
	v_pk_add_f32 v[128:129], v[128:129], v[190:191]
	v_pk_fma_f32 v[120:121], v[150:151], v[134:135], v[120:121] neg_lo:[0,0,1] neg_hi:[0,0,1]
	v_pk_fma_f32 v[148:149], v[152:153], v[136:137], v[122:123] op_sel_hi:[1,0,1]
	v_pk_mul_f32 v[124:125], v[184:185], v[124:125] op_sel_hi:[1,0]
	v_mov_b32_e32 v121, v133
	v_pk_add_f32 v[128:129], v[128:129], v[192:193]
	v_pk_fma_f32 v[122:123], v[152:153], v[136:137], v[122:123] neg_lo:[0,0,1] neg_hi:[0,0,1]
	v_pk_mul_f32 v[126:127], v[156:157], v[140:141] op_sel:[1,1] op_sel_hi:[0,1]
	v_mov_b32_e32 v123, v149
	v_pk_fma_f32 v[134:135], v[154:155], v[138:139], v[124:125] op_sel_hi:[1,0,1]
	v_pk_add_f32 v[120:121], v[128:129], v[120:121]
	v_pk_fma_f32 v[124:125], v[154:155], v[138:139], v[124:125] neg_lo:[0,0,1] neg_hi:[0,0,1]
	v_pk_fma_f32 v[128:129], v[156:157], v[140:141], v[126:127] op_sel_hi:[1,0,1]
	v_pk_mul_f32 v[130:131], v[186:187], v[130:131] op_sel_hi:[1,0]
	v_mov_b32_e32 v125, v135
	v_pk_add_f32 v[120:121], v[120:121], v[122:123]
	v_pk_fma_f32 v[126:127], v[156:157], v[140:141], v[126:127] neg_lo:[0,0,1] neg_hi:[0,0,1]
	s_wait_loadcnt 0x2
	v_pk_mul_f32 v[132:133], v[160:161], v[144:145] op_sel:[1,1] op_sel_hi:[0,1]
	v_dual_mov_b32 v122, v147 :: v_dual_mov_b32 v127, v129
	v_pk_fma_f32 v[128:129], v[158:159], v[142:143], v[130:131] op_sel_hi:[1,0,1]
	v_pk_add_f32 v[120:121], v[120:121], v[124:125]
	v_pk_fma_f32 v[130:131], v[158:159], v[142:143], v[130:131] neg_lo:[0,0,1] neg_hi:[0,0,1]
	v_pk_fma_f32 v[124:125], v[160:161], v[144:145], v[132:133] op_sel_hi:[1,0,1]
	v_pk_mul_f32 v[122:123], v[188:189], v[122:123] op_sel_hi:[1,0]
	v_mov_b32_e32 v131, v129
	v_pk_add_f32 v[120:121], v[120:121], v[126:127]
	v_pk_fma_f32 v[126:127], v[160:161], v[144:145], v[132:133] neg_lo:[0,0,1] neg_hi:[0,0,1]
	v_mov_b32_e32 v127, v125
	v_pk_fma_f32 v[124:125], v[162:163], v[146:147], v[122:123] op_sel_hi:[1,0,1]
	s_wait_loadcnt_dscnt 0x100
	v_pk_mul_f32 v[128:129], v[180:181], v[176:177] op_sel:[1,1] op_sel_hi:[0,1]
	v_pk_add_f32 v[120:121], v[120:121], v[130:131]
	v_pk_fma_f32 v[122:123], v[162:163], v[146:147], v[122:123] neg_lo:[0,0,1] neg_hi:[0,0,1]
	v_mov_b32_e32 v123, v125
	s_delay_alu instid0(VALU_DEP_4) | instskip(NEXT) | instid1(VALU_DEP_4)
	v_pk_fma_f32 v[124:125], v[180:181], v[176:177], v[128:129] op_sel_hi:[1,0,1]
	v_pk_add_f32 v[120:121], v[120:121], v[126:127]
	v_pk_fma_f32 v[126:127], v[180:181], v[176:177], v[128:129] neg_lo:[0,0,1] neg_hi:[0,0,1]
	s_delay_alu instid0(VALU_DEP_3) | instskip(NEXT) | instid1(VALU_DEP_3)
	v_mov_b32_e32 v127, v125
	v_pk_add_f32 v[120:121], v[120:121], v[122:123]
	s_delay_alu instid0(VALU_DEP_1) | instskip(SKIP_1) | instid1(VALU_DEP_1)
	v_pk_add_f32 v[120:121], v[120:121], v[126:127]
	s_wait_loadcnt 0x0
	v_pk_add_f32 v[120:121], v[178:179], v[120:121] neg_lo:[0,1] neg_hi:[0,1]
	scratch_store_b64 off, v[120:121], off offset:344
	s_wait_xcnt 0x0
	v_cmpx_lt_u32_e32 42, v0
	s_cbranch_execz .LBB122_283
; %bb.282:
	scratch_load_b64 v[120:121], off, off offset:336
	v_mov_b64_e32 v[122:123], 0
	scratch_store_b64 off, v[122:123], off offset:336
	s_wait_loadcnt 0x0
	ds_store_b64 v1, v[120:121]
.LBB122_283:
	s_wait_xcnt 0x0
	s_or_b32 exec_lo, exec_lo, s0
	s_wait_storecnt_dscnt 0x0
	s_barrier_signal -1
	s_barrier_wait -1
	s_clause 0x8
	scratch_load_b128 v[120:123], off, off offset:344
	scratch_load_b128 v[124:127], off, off offset:360
	;; [unrolled: 1-line block ×8, first 2 shown]
	scratch_load_b64 v[184:185], off, off offset:336
	ds_load_2addr_b64 v[152:155], v7 offset0:111 offset1:112
	ds_load_2addr_b64 v[156:159], v7 offset0:113 offset1:114
	;; [unrolled: 1-line block ×8, first 2 shown]
	s_mov_b32 s0, exec_lo
	s_wait_dscnt 0x7
	v_dual_mov_b32 v186, v155 :: v_dual_mov_b32 v187, v154
	s_wait_dscnt 0x6
	v_dual_mov_b32 v188, v159 :: v_dual_mov_b32 v189, v158
	;; [unrolled: 2-line block ×4, first 2 shown]
	s_wait_loadcnt_dscnt 0x803
	v_dual_mul_f32 v7, v168, v121 :: v_dual_mul_f32 v9, v170, v123
	v_dual_mul_f32 v19, v169, v121 :: v_dual_mul_f32 v21, v171, v123
	s_wait_loadcnt_dscnt 0x702
	v_dual_mul_f32 v11, v172, v125 :: v_dual_mul_f32 v13, v174, v127
	s_delay_alu instid0(VALU_DEP_3) | instskip(SKIP_3) | instid1(VALU_DEP_3)
	v_dual_fmac_f32 v7, v169, v120 :: v_dual_fmac_f32 v9, v171, v122
	s_wait_loadcnt_dscnt 0x500
	v_dual_fma_f32 v19, v168, v120, -v19 :: v_dual_mul_f32 v31, v181, v133
	v_dual_mul_f32 v23, v173, v125 :: v_dual_mul_f32 v25, v175, v127
	v_dual_fma_f32 v21, v170, v122, -v21 :: v_dual_add_f32 v7, 0, v7
	s_delay_alu instid0(VALU_DEP_3) | instskip(SKIP_1) | instid1(VALU_DEP_4)
	v_dual_add_f32 v19, 0, v19 :: v_dual_fmac_f32 v11, v173, v124
	v_dual_mul_f32 v15, v176, v129 :: v_dual_mul_f32 v17, v178, v131
	v_dual_mul_f32 v33, v183, v135 :: v_dual_fma_f32 v23, v172, v124, -v23
	s_delay_alu instid0(VALU_DEP_4) | instskip(NEXT) | instid1(VALU_DEP_3)
	v_add_f32_e32 v7, v7, v9
	v_dual_add_f32 v9, v19, v21 :: v_dual_fmac_f32 v15, v177, v128
	v_dual_mul_f32 v27, v177, v129 :: v_dual_mul_f32 v29, v179, v131
	s_delay_alu instid0(VALU_DEP_2) | instskip(NEXT) | instid1(VALU_DEP_4)
	v_dual_fmac_f32 v13, v175, v126 :: v_dual_add_f32 v9, v9, v23
	v_dual_fma_f32 v19, v174, v126, -v25 :: v_dual_add_f32 v7, v7, v11
	s_wait_loadcnt 0x4
	s_delay_alu instid0(VALU_DEP_3) | instskip(SKIP_1) | instid1(VALU_DEP_3)
	v_dual_fma_f32 v11, v176, v128, -v27 :: v_dual_mov_b32 v122, v139
	v_dual_mul_f32 v195, v180, v133 :: v_dual_mul_f32 v197, v182, v135
	v_dual_add_f32 v7, v7, v13 :: v_dual_fma_f32 v13, v178, v130, -v29
	v_dual_add_f32 v9, v9, v19 :: v_dual_fmac_f32 v17, v179, v130
	v_pk_mul_f32 v[120:121], v[152:153], v[136:137] op_sel:[1,1] op_sel_hi:[0,1]
	s_delay_alu instid0(VALU_DEP_3) | instskip(SKIP_1) | instid1(VALU_DEP_3)
	v_dual_add_f32 v7, v7, v15 :: v_dual_fmac_f32 v195, v181, v132
	s_wait_loadcnt 0x3
	v_dual_add_f32 v9, v9, v11 :: v_dual_mov_b32 v126, v143
	s_delay_alu instid0(VALU_DEP_2) | instskip(NEXT) | instid1(VALU_DEP_2)
	v_dual_fma_f32 v194, v180, v132, -v31 :: v_dual_add_f32 v129, v7, v17
	v_dual_fma_f32 v196, v182, v134, -v33 :: v_dual_add_f32 v128, v9, v13
	v_fmac_f32_e32 v197, v183, v134
	v_pk_fma_f32 v[130:131], v[152:153], v[136:137], v[120:121] op_sel_hi:[1,0,1]
	v_pk_mul_f32 v[122:123], v[186:187], v[122:123] op_sel_hi:[1,0]
	v_pk_fma_f32 v[120:121], v[152:153], v[136:137], v[120:121] neg_lo:[0,0,1] neg_hi:[0,0,1]
	v_pk_add_f32 v[128:129], v[128:129], v[194:195]
	v_pk_mul_f32 v[124:125], v[156:157], v[140:141] op_sel:[1,1] op_sel_hi:[0,1]
	v_mov_b32_e32 v121, v131
	v_pk_fma_f32 v[130:131], v[154:155], v[138:139], v[122:123] op_sel_hi:[1,0,1]
	v_pk_fma_f32 v[122:123], v[154:155], v[138:139], v[122:123] neg_lo:[0,0,1] neg_hi:[0,0,1]
	v_pk_add_f32 v[128:129], v[128:129], v[196:197]
	v_pk_fma_f32 v[134:135], v[156:157], v[140:141], v[124:125] op_sel_hi:[1,0,1]
	v_pk_mul_f32 v[126:127], v[188:189], v[126:127] op_sel_hi:[1,0]
	v_mov_b32_e32 v123, v131
	s_wait_loadcnt 0x2
	v_pk_mul_f32 v[132:133], v[160:161], v[144:145] op_sel:[1,1] op_sel_hi:[0,1]
	v_pk_add_f32 v[120:121], v[128:129], v[120:121]
	v_mov_b32_e32 v128, v147
	v_pk_fma_f32 v[124:125], v[156:157], v[140:141], v[124:125] neg_lo:[0,0,1] neg_hi:[0,0,1]
	v_mov_b32_e32 v125, v135
	v_pk_fma_f32 v[130:131], v[158:159], v[142:143], v[126:127] op_sel_hi:[1,0,1]
	v_pk_add_f32 v[120:121], v[120:121], v[122:123]
	v_pk_fma_f32 v[122:123], v[160:161], v[144:145], v[132:133] op_sel_hi:[1,0,1]
	v_pk_mul_f32 v[128:129], v[190:191], v[128:129] op_sel_hi:[1,0]
	v_pk_fma_f32 v[126:127], v[158:159], v[142:143], v[126:127] neg_lo:[0,0,1] neg_hi:[0,0,1]
	v_mov_b32_e32 v127, v131
	v_pk_add_f32 v[120:121], v[120:121], v[124:125]
	v_pk_fma_f32 v[130:131], v[160:161], v[144:145], v[132:133] neg_lo:[0,0,1] neg_hi:[0,0,1]
	v_mov_b32_e32 v131, v123
	v_pk_fma_f32 v[122:123], v[162:163], v[146:147], v[128:129] op_sel_hi:[1,0,1]
	s_wait_loadcnt 0x1
	v_pk_mul_f32 v[124:125], v[164:165], v[148:149] op_sel:[1,1] op_sel_hi:[0,1]
	v_pk_add_f32 v[120:121], v[120:121], v[126:127]
	v_mov_b32_e32 v122, v151
	v_pk_fma_f32 v[128:129], v[162:163], v[146:147], v[128:129] neg_lo:[0,0,1] neg_hi:[0,0,1]
	v_mov_b32_e32 v129, v123
	v_pk_fma_f32 v[126:127], v[164:165], v[148:149], v[124:125] op_sel_hi:[1,0,1]
	v_pk_add_f32 v[120:121], v[120:121], v[130:131]
	v_pk_mul_f32 v[122:123], v[192:193], v[122:123] op_sel_hi:[1,0]
	v_pk_fma_f32 v[124:125], v[164:165], v[148:149], v[124:125] neg_lo:[0,0,1] neg_hi:[0,0,1]
	s_delay_alu instid0(VALU_DEP_4) | instskip(NEXT) | instid1(VALU_DEP_4)
	v_mov_b32_e32 v125, v127
	v_pk_add_f32 v[120:121], v[120:121], v[128:129]
	s_delay_alu instid0(VALU_DEP_4) | instskip(SKIP_1) | instid1(VALU_DEP_2)
	v_pk_fma_f32 v[126:127], v[166:167], v[150:151], v[122:123] op_sel_hi:[1,0,1]
	v_pk_fma_f32 v[122:123], v[166:167], v[150:151], v[122:123] neg_lo:[0,0,1] neg_hi:[0,0,1]
	v_mov_b32_e32 v123, v127
	s_delay_alu instid0(VALU_DEP_4) | instskip(NEXT) | instid1(VALU_DEP_1)
	v_pk_add_f32 v[120:121], v[120:121], v[124:125]
	v_pk_add_f32 v[120:121], v[120:121], v[122:123]
	s_wait_loadcnt 0x0
	s_delay_alu instid0(VALU_DEP_1)
	v_pk_add_f32 v[120:121], v[184:185], v[120:121] neg_lo:[0,1] neg_hi:[0,1]
	scratch_store_b64 off, v[120:121], off offset:336
	s_wait_xcnt 0x0
	v_cmpx_lt_u32_e32 41, v0
	s_cbranch_execz .LBB122_285
; %bb.284:
	scratch_load_b64 v[120:121], off, off offset:328
	v_mov_b64_e32 v[122:123], 0
	scratch_store_b64 off, v[122:123], off offset:328
	s_wait_loadcnt 0x0
	ds_store_b64 v1, v[120:121]
.LBB122_285:
	s_wait_xcnt 0x0
	s_or_b32 exec_lo, exec_lo, s0
	s_wait_storecnt_dscnt 0x0
	s_barrier_signal -1
	s_barrier_wait -1
	s_clause 0x9
	scratch_load_b128 v[120:123], off, off offset:336
	scratch_load_b128 v[124:127], off, off offset:352
	;; [unrolled: 1-line block ×8, first 2 shown]
	scratch_load_b64 v[184:185], off, off offset:464
	scratch_load_b64 v[186:187], off, off offset:328
	v_mov_b32_e32 v7, 0
	ds_load_b128 v[152:155], v7 offset:880
	ds_load_b128 v[156:159], v7 offset:896
	;; [unrolled: 1-line block ×8, first 2 shown]
	ds_load_b64 v[188:189], v7 offset:944
	s_mov_b32 s0, exec_lo
	s_wait_dscnt 0x8
	v_dual_mov_b32 v190, v155 :: v_dual_mov_b32 v191, v154
	s_wait_dscnt 0x5
	v_dual_mov_b32 v192, v159 :: v_dual_mov_b32 v197, v166
	v_dual_mov_b32 v193, v158 :: v_dual_mov_b32 v194, v163
	;; [unrolled: 1-line block ×3, first 2 shown]
	s_wait_loadcnt_dscnt 0x904
	v_dual_mul_f32 v9, v168, v121 :: v_dual_mul_f32 v23, v169, v121
	v_dual_mul_f32 v25, v171, v123 :: v_dual_mul_f32 v11, v170, v123
	s_wait_loadcnt_dscnt 0x803
	v_mul_f32_e32 v13, v172, v125
	s_wait_loadcnt_dscnt 0x601
	v_dual_mul_f32 v35, v181, v133 :: v_dual_fma_f32 v23, v168, v120, -v23
	v_dual_fmac_f32 v9, v169, v120 :: v_dual_mul_f32 v37, v183, v135
	v_dual_mul_f32 v27, v173, v125 :: v_dual_mul_f32 v29, v175, v127
	v_dual_fmac_f32 v11, v171, v122 :: v_dual_fma_f32 v25, v170, v122, -v25
	s_delay_alu instid0(VALU_DEP_3)
	v_dual_add_f32 v9, 0, v9 :: v_dual_add_f32 v23, 0, v23
	v_dual_mul_f32 v15, v174, v127 :: v_dual_mul_f32 v17, v176, v129
	s_wait_loadcnt 0x5
	v_dual_mul_f32 v39, v153, v137 :: v_dual_fma_f32 v27, v172, v124, -v27
	v_fmac_f32_e32 v13, v173, v124
	v_dual_add_f32 v9, v9, v11 :: v_dual_mov_b32 v120, v139
	v_add_f32_e32 v11, v23, v25
	v_dual_mul_f32 v31, v177, v129 :: v_dual_mul_f32 v33, v179, v131
	v_dual_fmac_f32 v15, v175, v126 :: v_dual_fma_f32 v23, v174, v126, -v29
	s_delay_alu instid0(VALU_DEP_3) | instskip(SKIP_1) | instid1(VALU_DEP_4)
	v_dual_add_f32 v9, v9, v13 :: v_dual_add_f32 v11, v11, v27
	v_dual_mul_f32 v19, v178, v131 :: v_dual_mul_f32 v21, v180, v133
	v_dual_fmac_f32 v17, v177, v128 :: v_dual_fma_f32 v13, v176, v128, -v31
	s_wait_loadcnt 0x4
	s_delay_alu instid0(VALU_DEP_3) | instskip(SKIP_1) | instid1(VALU_DEP_2)
	v_dual_add_f32 v9, v9, v15 :: v_dual_mov_b32 v124, v143
	v_dual_add_f32 v11, v11, v23 :: v_dual_fma_f32 v15, v178, v130, -v33
	v_dual_fmac_f32 v19, v179, v130 :: v_dual_add_f32 v9, v9, v17
	v_dual_mul_f32 v199, v182, v135 :: v_dual_mul_f32 v201, v152, v137
	s_delay_alu instid0(VALU_DEP_3) | instskip(NEXT) | instid1(VALU_DEP_3)
	v_dual_add_f32 v11, v11, v13 :: v_dual_fmac_f32 v21, v181, v132
	v_dual_fma_f32 v13, v180, v132, -v35 :: v_dual_add_f32 v9, v9, v19
	s_delay_alu instid0(VALU_DEP_3) | instskip(NEXT) | instid1(VALU_DEP_3)
	v_fmac_f32_e32 v199, v183, v134
	v_dual_add_f32 v11, v11, v15 :: v_dual_fma_f32 v198, v182, v134, -v37
	v_pk_mul_f32 v[120:121], v[190:191], v[120:121] op_sel_hi:[1,0]
	s_delay_alu instid0(VALU_DEP_4) | instskip(SKIP_1) | instid1(VALU_DEP_4)
	v_add_f32_e32 v129, v9, v21
	v_pk_mul_f32 v[122:123], v[156:157], v[140:141] op_sel:[1,1] op_sel_hi:[0,1]
	v_dual_add_f32 v128, v11, v13 :: v_dual_fmac_f32 v201, v153, v136
	s_wait_loadcnt 0x3
	v_dual_mov_b32 v130, v147 :: v_dual_fma_f32 v200, v152, v136, -v39
	v_pk_fma_f32 v[132:133], v[154:155], v[138:139], v[120:121] op_sel_hi:[1,0,1]
	s_delay_alu instid0(VALU_DEP_3)
	v_pk_add_f32 v[128:129], v[128:129], v[198:199]
	v_pk_fma_f32 v[120:121], v[154:155], v[138:139], v[120:121] neg_lo:[0,0,1] neg_hi:[0,0,1]
	v_pk_fma_f32 v[134:135], v[156:157], v[140:141], v[122:123] op_sel_hi:[1,0,1]
	v_pk_mul_f32 v[124:125], v[192:193], v[124:125] op_sel_hi:[1,0]
	v_mov_b32_e32 v121, v133
	v_pk_add_f32 v[128:129], v[128:129], v[200:201]
	v_pk_fma_f32 v[122:123], v[156:157], v[140:141], v[122:123] neg_lo:[0,0,1] neg_hi:[0,0,1]
	v_pk_mul_f32 v[126:127], v[160:161], v[144:145] op_sel:[1,1] op_sel_hi:[0,1]
	v_mov_b32_e32 v123, v135
	v_pk_fma_f32 v[134:135], v[158:159], v[142:143], v[124:125] op_sel_hi:[1,0,1]
	v_pk_add_f32 v[120:121], v[128:129], v[120:121]
	v_pk_fma_f32 v[124:125], v[158:159], v[142:143], v[124:125] neg_lo:[0,0,1] neg_hi:[0,0,1]
	v_pk_fma_f32 v[128:129], v[160:161], v[144:145], v[126:127] op_sel_hi:[1,0,1]
	v_pk_mul_f32 v[130:131], v[194:195], v[130:131] op_sel_hi:[1,0]
	v_mov_b32_e32 v125, v135
	v_pk_add_f32 v[120:121], v[120:121], v[122:123]
	v_pk_fma_f32 v[126:127], v[160:161], v[144:145], v[126:127] neg_lo:[0,0,1] neg_hi:[0,0,1]
	s_wait_loadcnt 0x2
	v_pk_mul_f32 v[132:133], v[164:165], v[148:149] op_sel:[1,1] op_sel_hi:[0,1]
	v_dual_mov_b32 v122, v151 :: v_dual_mov_b32 v127, v129
	v_pk_fma_f32 v[128:129], v[162:163], v[146:147], v[130:131] op_sel_hi:[1,0,1]
	v_pk_add_f32 v[120:121], v[120:121], v[124:125]
	v_pk_fma_f32 v[130:131], v[162:163], v[146:147], v[130:131] neg_lo:[0,0,1] neg_hi:[0,0,1]
	v_pk_fma_f32 v[124:125], v[164:165], v[148:149], v[132:133] op_sel_hi:[1,0,1]
	v_pk_mul_f32 v[122:123], v[196:197], v[122:123] op_sel_hi:[1,0]
	v_mov_b32_e32 v131, v129
	v_pk_add_f32 v[120:121], v[120:121], v[126:127]
	v_pk_fma_f32 v[126:127], v[164:165], v[148:149], v[132:133] neg_lo:[0,0,1] neg_hi:[0,0,1]
	v_mov_b32_e32 v127, v125
	v_pk_fma_f32 v[124:125], v[166:167], v[150:151], v[122:123] op_sel_hi:[1,0,1]
	s_wait_loadcnt_dscnt 0x100
	v_pk_mul_f32 v[128:129], v[188:189], v[184:185] op_sel:[1,1] op_sel_hi:[0,1]
	v_pk_add_f32 v[120:121], v[120:121], v[130:131]
	v_pk_fma_f32 v[122:123], v[166:167], v[150:151], v[122:123] neg_lo:[0,0,1] neg_hi:[0,0,1]
	v_mov_b32_e32 v123, v125
	s_delay_alu instid0(VALU_DEP_4) | instskip(NEXT) | instid1(VALU_DEP_4)
	v_pk_fma_f32 v[124:125], v[188:189], v[184:185], v[128:129] op_sel_hi:[1,0,1]
	v_pk_add_f32 v[120:121], v[120:121], v[126:127]
	v_pk_fma_f32 v[126:127], v[188:189], v[184:185], v[128:129] neg_lo:[0,0,1] neg_hi:[0,0,1]
	s_delay_alu instid0(VALU_DEP_3) | instskip(NEXT) | instid1(VALU_DEP_3)
	v_mov_b32_e32 v127, v125
	v_pk_add_f32 v[120:121], v[120:121], v[122:123]
	s_delay_alu instid0(VALU_DEP_1) | instskip(SKIP_1) | instid1(VALU_DEP_1)
	v_pk_add_f32 v[120:121], v[120:121], v[126:127]
	s_wait_loadcnt 0x0
	v_pk_add_f32 v[120:121], v[186:187], v[120:121] neg_lo:[0,1] neg_hi:[0,1]
	scratch_store_b64 off, v[120:121], off offset:328
	s_wait_xcnt 0x0
	v_cmpx_lt_u32_e32 40, v0
	s_cbranch_execz .LBB122_287
; %bb.286:
	scratch_load_b64 v[120:121], off, off offset:320
	v_mov_b64_e32 v[122:123], 0
	scratch_store_b64 off, v[122:123], off offset:320
	s_wait_loadcnt 0x0
	ds_store_b64 v1, v[120:121]
.LBB122_287:
	s_wait_xcnt 0x0
	s_or_b32 exec_lo, exec_lo, s0
	s_wait_storecnt_dscnt 0x0
	s_barrier_signal -1
	s_barrier_wait -1
	s_clause 0x9
	scratch_load_b128 v[120:123], off, off offset:328
	scratch_load_b128 v[124:127], off, off offset:344
	;; [unrolled: 1-line block ×9, first 2 shown]
	scratch_load_b64 v[192:193], off, off offset:320
	ds_load_2addr_b64 v[156:159], v7 offset0:111 offset1:112
	ds_load_2addr_b64 v[160:163], v7 offset0:113 offset1:114
	ds_load_2addr_b64 v[164:167], v7 offset0:115 offset1:116
	ds_load_2addr_b64 v[168:171], v7 offset0:117 offset1:118
	ds_load_2addr_b64 v[172:175], v7 offset0:101 offset1:102
	ds_load_2addr_b64 v[176:179], v7 offset0:103 offset1:104
	ds_load_2addr_b64 v[180:183], v7 offset0:105 offset1:106
	ds_load_2addr_b64 v[184:187], v7 offset0:107 offset1:108
	ds_load_2addr_b64 v[188:191], v7 offset0:109 offset1:110
	s_mov_b32 s0, exec_lo
	s_wait_dscnt 0x8
	v_dual_mov_b32 v194, v159 :: v_dual_mov_b32 v195, v158
	s_wait_dscnt 0x7
	v_dual_mov_b32 v196, v163 :: v_dual_mov_b32 v197, v162
	;; [unrolled: 2-line block ×4, first 2 shown]
	s_wait_loadcnt_dscnt 0x904
	v_dual_mul_f32 v7, v172, v121 :: v_dual_mul_f32 v9, v174, v123
	v_dual_mul_f32 v23, v173, v121 :: v_dual_mul_f32 v25, v175, v123
	s_wait_loadcnt_dscnt 0x803
	v_dual_mul_f32 v11, v176, v125 :: v_dual_mul_f32 v13, v178, v127
	s_delay_alu instid0(VALU_DEP_3) | instskip(SKIP_3) | instid1(VALU_DEP_3)
	v_dual_fmac_f32 v7, v173, v120 :: v_dual_fmac_f32 v9, v175, v122
	s_wait_loadcnt_dscnt 0x601
	v_dual_fma_f32 v23, v172, v120, -v23 :: v_dual_mul_f32 v35, v185, v133
	v_dual_mul_f32 v27, v177, v125 :: v_dual_mul_f32 v29, v179, v127
	v_dual_fma_f32 v25, v174, v122, -v25 :: v_dual_add_f32 v7, 0, v7
	s_delay_alu instid0(VALU_DEP_3) | instskip(SKIP_1) | instid1(VALU_DEP_4)
	v_dual_add_f32 v23, 0, v23 :: v_dual_fmac_f32 v11, v177, v124
	v_dual_mul_f32 v15, v180, v129 :: v_dual_mul_f32 v17, v182, v131
	v_dual_mul_f32 v37, v187, v135 :: v_dual_fma_f32 v27, v176, v124, -v27
	s_delay_alu instid0(VALU_DEP_4) | instskip(NEXT) | instid1(VALU_DEP_3)
	v_add_f32_e32 v7, v7, v9
	v_dual_add_f32 v9, v23, v25 :: v_dual_fmac_f32 v15, v181, v128
	v_dual_mul_f32 v31, v181, v129 :: v_dual_mul_f32 v33, v183, v131
	s_wait_loadcnt_dscnt 0x500
	v_dual_mul_f32 v23, v189, v137 :: v_dual_fmac_f32 v13, v179, v126
	v_dual_fma_f32 v25, v178, v126, -v29 :: v_dual_add_f32 v7, v7, v11
	s_delay_alu instid0(VALU_DEP_3) | instskip(SKIP_1) | instid1(VALU_DEP_3)
	v_dual_add_f32 v9, v9, v27 :: v_dual_fma_f32 v27, v180, v128, -v31
	v_dual_mul_f32 v19, v184, v133 :: v_dual_mul_f32 v21, v186, v135
	v_add_f32_e32 v7, v7, v13
	s_delay_alu instid0(VALU_DEP_3) | instskip(SKIP_1) | instid1(VALU_DEP_3)
	v_dual_mul_f32 v11, v191, v139 :: v_dual_add_f32 v9, v9, v25
	v_fmac_f32_e32 v17, v183, v130
	v_dual_fma_f32 v13, v182, v130, -v33 :: v_dual_add_f32 v7, v7, v15
	s_wait_loadcnt 0x4
	v_dual_mov_b32 v122, v143 :: v_dual_fmac_f32 v19, v185, v132
	v_dual_add_f32 v9, v9, v27 :: v_dual_fma_f32 v15, v184, v132, -v35
	s_delay_alu instid0(VALU_DEP_3) | instskip(SKIP_1) | instid1(VALU_DEP_3)
	v_add_f32_e32 v7, v7, v17
	v_dual_mul_f32 v203, v188, v137 :: v_dual_mul_f32 v205, v190, v139
	v_dual_add_f32 v9, v9, v13 :: v_dual_fmac_f32 v21, v187, v134
	s_delay_alu instid0(VALU_DEP_3) | instskip(SKIP_2) | instid1(VALU_DEP_3)
	v_dual_fma_f32 v13, v186, v134, -v37 :: v_dual_add_f32 v7, v7, v19
	v_pk_mul_f32 v[120:121], v[156:157], v[140:141] op_sel:[1,1] op_sel_hi:[0,1]
	s_wait_loadcnt 0x3
	v_dual_add_f32 v9, v9, v15 :: v_dual_mov_b32 v126, v147
	s_delay_alu instid0(VALU_DEP_3) | instskip(NEXT) | instid1(VALU_DEP_2)
	v_dual_fmac_f32 v203, v189, v136 :: v_dual_add_f32 v129, v7, v21
	v_dual_fma_f32 v202, v188, v136, -v23 :: v_dual_add_f32 v128, v9, v13
	v_dual_fmac_f32 v205, v191, v138 :: v_dual_fma_f32 v204, v190, v138, -v11
	v_pk_fma_f32 v[130:131], v[156:157], v[140:141], v[120:121] op_sel_hi:[1,0,1]
	v_pk_mul_f32 v[122:123], v[194:195], v[122:123] op_sel_hi:[1,0]
	s_delay_alu instid0(VALU_DEP_4)
	v_pk_add_f32 v[128:129], v[128:129], v[202:203]
	v_pk_fma_f32 v[120:121], v[156:157], v[140:141], v[120:121] neg_lo:[0,0,1] neg_hi:[0,0,1]
	v_pk_mul_f32 v[124:125], v[160:161], v[144:145] op_sel:[1,1] op_sel_hi:[0,1]
	v_mov_b32_e32 v121, v131
	v_pk_fma_f32 v[130:131], v[158:159], v[142:143], v[122:123] op_sel_hi:[1,0,1]
	v_pk_add_f32 v[128:129], v[128:129], v[204:205]
	v_pk_fma_f32 v[122:123], v[158:159], v[142:143], v[122:123] neg_lo:[0,0,1] neg_hi:[0,0,1]
	v_pk_fma_f32 v[134:135], v[160:161], v[144:145], v[124:125] op_sel_hi:[1,0,1]
	v_pk_mul_f32 v[126:127], v[196:197], v[126:127] op_sel_hi:[1,0]
	v_mov_b32_e32 v123, v131
	v_pk_add_f32 v[120:121], v[128:129], v[120:121]
	s_wait_loadcnt 0x2
	v_pk_mul_f32 v[132:133], v[164:165], v[148:149] op_sel:[1,1] op_sel_hi:[0,1]
	v_mov_b32_e32 v128, v151
	v_pk_fma_f32 v[124:125], v[160:161], v[144:145], v[124:125] neg_lo:[0,0,1] neg_hi:[0,0,1]
	v_mov_b32_e32 v125, v135
	v_pk_fma_f32 v[130:131], v[162:163], v[146:147], v[126:127] op_sel_hi:[1,0,1]
	v_pk_add_f32 v[120:121], v[120:121], v[122:123]
	v_pk_fma_f32 v[122:123], v[164:165], v[148:149], v[132:133] op_sel_hi:[1,0,1]
	v_pk_mul_f32 v[128:129], v[198:199], v[128:129] op_sel_hi:[1,0]
	v_pk_fma_f32 v[126:127], v[162:163], v[146:147], v[126:127] neg_lo:[0,0,1] neg_hi:[0,0,1]
	v_mov_b32_e32 v127, v131
	v_pk_add_f32 v[120:121], v[120:121], v[124:125]
	v_pk_fma_f32 v[130:131], v[164:165], v[148:149], v[132:133] neg_lo:[0,0,1] neg_hi:[0,0,1]
	v_mov_b32_e32 v131, v123
	v_pk_fma_f32 v[122:123], v[166:167], v[150:151], v[128:129] op_sel_hi:[1,0,1]
	s_wait_loadcnt 0x1
	v_pk_mul_f32 v[124:125], v[168:169], v[152:153] op_sel:[1,1] op_sel_hi:[0,1]
	v_pk_add_f32 v[120:121], v[120:121], v[126:127]
	v_mov_b32_e32 v122, v155
	v_pk_fma_f32 v[128:129], v[166:167], v[150:151], v[128:129] neg_lo:[0,0,1] neg_hi:[0,0,1]
	v_mov_b32_e32 v129, v123
	v_pk_fma_f32 v[126:127], v[168:169], v[152:153], v[124:125] op_sel_hi:[1,0,1]
	v_pk_add_f32 v[120:121], v[120:121], v[130:131]
	v_pk_mul_f32 v[122:123], v[200:201], v[122:123] op_sel_hi:[1,0]
	v_pk_fma_f32 v[124:125], v[168:169], v[152:153], v[124:125] neg_lo:[0,0,1] neg_hi:[0,0,1]
	s_delay_alu instid0(VALU_DEP_4) | instskip(NEXT) | instid1(VALU_DEP_4)
	v_mov_b32_e32 v125, v127
	v_pk_add_f32 v[120:121], v[120:121], v[128:129]
	s_delay_alu instid0(VALU_DEP_4) | instskip(SKIP_1) | instid1(VALU_DEP_2)
	v_pk_fma_f32 v[126:127], v[170:171], v[154:155], v[122:123] op_sel_hi:[1,0,1]
	v_pk_fma_f32 v[122:123], v[170:171], v[154:155], v[122:123] neg_lo:[0,0,1] neg_hi:[0,0,1]
	v_mov_b32_e32 v123, v127
	s_delay_alu instid0(VALU_DEP_4) | instskip(NEXT) | instid1(VALU_DEP_1)
	v_pk_add_f32 v[120:121], v[120:121], v[124:125]
	v_pk_add_f32 v[120:121], v[120:121], v[122:123]
	s_wait_loadcnt 0x0
	s_delay_alu instid0(VALU_DEP_1)
	v_pk_add_f32 v[120:121], v[192:193], v[120:121] neg_lo:[0,1] neg_hi:[0,1]
	scratch_store_b64 off, v[120:121], off offset:320
	s_wait_xcnt 0x0
	v_cmpx_lt_u32_e32 39, v0
	s_cbranch_execz .LBB122_289
; %bb.288:
	scratch_load_b64 v[120:121], off, off offset:312
	v_mov_b64_e32 v[122:123], 0
	scratch_store_b64 off, v[122:123], off offset:312
	s_wait_loadcnt 0x0
	ds_store_b64 v1, v[120:121]
.LBB122_289:
	s_wait_xcnt 0x0
	s_or_b32 exec_lo, exec_lo, s0
	s_wait_storecnt_dscnt 0x0
	s_barrier_signal -1
	s_barrier_wait -1
	s_clause 0xa
	scratch_load_b128 v[120:123], off, off offset:320
	scratch_load_b128 v[124:127], off, off offset:336
	;; [unrolled: 1-line block ×9, first 2 shown]
	scratch_load_b64 v[192:193], off, off offset:464
	scratch_load_b64 v[194:195], off, off offset:312
	v_mov_b32_e32 v7, 0
	ds_load_b128 v[156:159], v7 offset:880
	ds_load_b128 v[160:163], v7 offset:896
	;; [unrolled: 1-line block ×9, first 2 shown]
	ds_load_b64 v[196:197], v7 offset:944
	s_mov_b32 s0, exec_lo
	s_wait_dscnt 0x9
	v_dual_mov_b32 v198, v159 :: v_dual_mov_b32 v199, v158
	s_wait_dscnt 0x6
	v_dual_mov_b32 v200, v163 :: v_dual_mov_b32 v205, v170
	v_dual_mov_b32 v201, v162 :: v_dual_mov_b32 v202, v167
	;; [unrolled: 1-line block ×3, first 2 shown]
	s_wait_loadcnt_dscnt 0xa05
	v_dual_mul_f32 v9, v172, v121 :: v_dual_mul_f32 v27, v173, v121
	v_dual_mul_f32 v29, v175, v123 :: v_dual_mul_f32 v11, v174, v123
	s_wait_loadcnt_dscnt 0x904
	v_mul_f32_e32 v13, v176, v125
	s_wait_loadcnt_dscnt 0x702
	v_dual_mul_f32 v39, v185, v133 :: v_dual_fma_f32 v27, v172, v120, -v27
	v_dual_fmac_f32 v9, v173, v120 :: v_dual_mul_f32 v41, v187, v135
	v_dual_mul_f32 v31, v177, v125 :: v_dual_mul_f32 v33, v179, v127
	v_dual_fmac_f32 v11, v175, v122 :: v_dual_fma_f32 v29, v174, v122, -v29
	s_delay_alu instid0(VALU_DEP_3) | instskip(SKIP_4) | instid1(VALU_DEP_3)
	v_dual_add_f32 v9, 0, v9 :: v_dual_add_f32 v27, 0, v27
	v_dual_mul_f32 v15, v178, v127 :: v_dual_mul_f32 v17, v180, v129
	s_wait_loadcnt_dscnt 0x601
	v_dual_mul_f32 v43, v189, v137 :: v_dual_fma_f32 v31, v176, v124, -v31
	v_fmac_f32_e32 v13, v177, v124
	v_dual_add_f32 v9, v9, v11 :: v_dual_fmac_f32 v15, v179, v126
	v_add_f32_e32 v11, v27, v29
	v_dual_mul_f32 v35, v181, v129 :: v_dual_mul_f32 v37, v183, v131
	v_dual_mul_f32 v27, v191, v139 :: v_dual_fma_f32 v29, v178, v126, -v33
	s_delay_alu instid0(VALU_DEP_3) | instskip(SKIP_3) | instid1(VALU_DEP_3)
	v_dual_add_f32 v9, v9, v13 :: v_dual_add_f32 v11, v11, v31
	v_dual_mul_f32 v19, v182, v131 :: v_dual_mul_f32 v21, v184, v133
	s_wait_loadcnt 0x5
	v_dual_mul_f32 v13, v157, v141 :: v_dual_fma_f32 v31, v180, v128, -v35
	v_dual_fmac_f32 v17, v181, v128 :: v_dual_add_f32 v11, v11, v29
	v_dual_add_f32 v9, v9, v15 :: v_dual_mov_b32 v120, v143
	v_dual_fmac_f32 v19, v183, v130 :: v_dual_fma_f32 v15, v182, v130, -v37
	s_delay_alu instid0(VALU_DEP_2) | instskip(SKIP_3) | instid1(VALU_DEP_3)
	v_dual_add_f32 v11, v11, v31 :: v_dual_add_f32 v9, v9, v17
	v_dual_mul_f32 v23, v186, v135 :: v_dual_mul_f32 v25, v188, v137
	v_dual_fmac_f32 v21, v185, v132 :: v_dual_fma_f32 v17, v184, v132, -v39
	s_wait_loadcnt 0x4
	v_dual_add_f32 v9, v9, v19 :: v_dual_mov_b32 v124, v147
	v_dual_add_f32 v11, v11, v15 :: v_dual_fma_f32 v15, v186, v134, -v41
	s_delay_alu instid0(VALU_DEP_2) | instskip(SKIP_1) | instid1(VALU_DEP_3)
	v_dual_fmac_f32 v23, v187, v134 :: v_dual_add_f32 v9, v9, v21
	v_dual_mul_f32 v207, v190, v139 :: v_dual_mul_f32 v209, v156, v141
	v_dual_add_f32 v11, v11, v17 :: v_dual_fmac_f32 v25, v189, v136
	s_delay_alu instid0(VALU_DEP_3) | instskip(NEXT) | instid1(VALU_DEP_3)
	v_dual_fma_f32 v17, v188, v136, -v43 :: v_dual_add_f32 v9, v9, v23
	v_fmac_f32_e32 v207, v191, v138
	s_delay_alu instid0(VALU_DEP_3) | instskip(SKIP_1) | instid1(VALU_DEP_4)
	v_dual_add_f32 v11, v11, v15 :: v_dual_fma_f32 v206, v190, v138, -v27
	v_pk_mul_f32 v[120:121], v[198:199], v[120:121] op_sel_hi:[1,0]
	v_add_f32_e32 v129, v9, v25
	v_pk_mul_f32 v[122:123], v[160:161], v[144:145] op_sel:[1,1] op_sel_hi:[0,1]
	s_delay_alu instid0(VALU_DEP_4) | instskip(SKIP_3) | instid1(VALU_DEP_3)
	v_dual_add_f32 v128, v11, v17 :: v_dual_fmac_f32 v209, v157, v140
	s_wait_loadcnt 0x3
	v_dual_mov_b32 v130, v151 :: v_dual_fma_f32 v208, v156, v140, -v13
	v_pk_fma_f32 v[132:133], v[158:159], v[142:143], v[120:121] op_sel_hi:[1,0,1]
	v_pk_add_f32 v[128:129], v[128:129], v[206:207]
	v_pk_fma_f32 v[120:121], v[158:159], v[142:143], v[120:121] neg_lo:[0,0,1] neg_hi:[0,0,1]
	v_pk_fma_f32 v[134:135], v[160:161], v[144:145], v[122:123] op_sel_hi:[1,0,1]
	v_pk_mul_f32 v[124:125], v[200:201], v[124:125] op_sel_hi:[1,0]
	v_mov_b32_e32 v121, v133
	v_pk_add_f32 v[128:129], v[128:129], v[208:209]
	v_pk_fma_f32 v[122:123], v[160:161], v[144:145], v[122:123] neg_lo:[0,0,1] neg_hi:[0,0,1]
	v_pk_mul_f32 v[126:127], v[164:165], v[148:149] op_sel:[1,1] op_sel_hi:[0,1]
	v_mov_b32_e32 v123, v135
	v_pk_fma_f32 v[134:135], v[162:163], v[146:147], v[124:125] op_sel_hi:[1,0,1]
	v_pk_add_f32 v[120:121], v[128:129], v[120:121]
	v_pk_fma_f32 v[124:125], v[162:163], v[146:147], v[124:125] neg_lo:[0,0,1] neg_hi:[0,0,1]
	v_pk_fma_f32 v[128:129], v[164:165], v[148:149], v[126:127] op_sel_hi:[1,0,1]
	v_pk_mul_f32 v[130:131], v[202:203], v[130:131] op_sel_hi:[1,0]
	v_mov_b32_e32 v125, v135
	v_pk_add_f32 v[120:121], v[120:121], v[122:123]
	v_pk_fma_f32 v[126:127], v[164:165], v[148:149], v[126:127] neg_lo:[0,0,1] neg_hi:[0,0,1]
	s_wait_loadcnt 0x2
	v_pk_mul_f32 v[132:133], v[168:169], v[152:153] op_sel:[1,1] op_sel_hi:[0,1]
	v_dual_mov_b32 v122, v155 :: v_dual_mov_b32 v127, v129
	v_pk_fma_f32 v[128:129], v[166:167], v[150:151], v[130:131] op_sel_hi:[1,0,1]
	v_pk_add_f32 v[120:121], v[120:121], v[124:125]
	v_pk_fma_f32 v[130:131], v[166:167], v[150:151], v[130:131] neg_lo:[0,0,1] neg_hi:[0,0,1]
	v_pk_fma_f32 v[124:125], v[168:169], v[152:153], v[132:133] op_sel_hi:[1,0,1]
	v_pk_mul_f32 v[122:123], v[204:205], v[122:123] op_sel_hi:[1,0]
	v_mov_b32_e32 v131, v129
	v_pk_add_f32 v[120:121], v[120:121], v[126:127]
	v_pk_fma_f32 v[126:127], v[168:169], v[152:153], v[132:133] neg_lo:[0,0,1] neg_hi:[0,0,1]
	v_mov_b32_e32 v127, v125
	v_pk_fma_f32 v[124:125], v[170:171], v[154:155], v[122:123] op_sel_hi:[1,0,1]
	s_wait_loadcnt_dscnt 0x100
	v_pk_mul_f32 v[128:129], v[196:197], v[192:193] op_sel:[1,1] op_sel_hi:[0,1]
	v_pk_add_f32 v[120:121], v[120:121], v[130:131]
	v_pk_fma_f32 v[122:123], v[170:171], v[154:155], v[122:123] neg_lo:[0,0,1] neg_hi:[0,0,1]
	v_mov_b32_e32 v123, v125
	s_delay_alu instid0(VALU_DEP_4) | instskip(NEXT) | instid1(VALU_DEP_4)
	v_pk_fma_f32 v[124:125], v[196:197], v[192:193], v[128:129] op_sel_hi:[1,0,1]
	v_pk_add_f32 v[120:121], v[120:121], v[126:127]
	v_pk_fma_f32 v[126:127], v[196:197], v[192:193], v[128:129] neg_lo:[0,0,1] neg_hi:[0,0,1]
	s_delay_alu instid0(VALU_DEP_3) | instskip(NEXT) | instid1(VALU_DEP_3)
	v_mov_b32_e32 v127, v125
	v_pk_add_f32 v[120:121], v[120:121], v[122:123]
	s_delay_alu instid0(VALU_DEP_1) | instskip(SKIP_1) | instid1(VALU_DEP_1)
	v_pk_add_f32 v[120:121], v[120:121], v[126:127]
	s_wait_loadcnt 0x0
	v_pk_add_f32 v[120:121], v[194:195], v[120:121] neg_lo:[0,1] neg_hi:[0,1]
	scratch_store_b64 off, v[120:121], off offset:312
	s_wait_xcnt 0x0
	v_cmpx_lt_u32_e32 38, v0
	s_cbranch_execz .LBB122_291
; %bb.290:
	scratch_load_b64 v[120:121], off, off offset:304
	v_mov_b64_e32 v[122:123], 0
	scratch_store_b64 off, v[122:123], off offset:304
	s_wait_loadcnt 0x0
	ds_store_b64 v1, v[120:121]
.LBB122_291:
	s_wait_xcnt 0x0
	s_or_b32 exec_lo, exec_lo, s0
	s_wait_storecnt_dscnt 0x0
	s_barrier_signal -1
	s_barrier_wait -1
	s_clause 0xa
	scratch_load_b128 v[120:123], off, off offset:312
	scratch_load_b128 v[124:127], off, off offset:328
	;; [unrolled: 1-line block ×10, first 2 shown]
	scratch_load_b64 v[200:201], off, off offset:304
	ds_load_2addr_b64 v[160:163], v7 offset0:111 offset1:112
	ds_load_2addr_b64 v[164:167], v7 offset0:113 offset1:114
	;; [unrolled: 1-line block ×10, first 2 shown]
	s_mov_b32 s0, exec_lo
	s_wait_dscnt 0x9
	v_dual_mov_b32 v202, v163 :: v_dual_mov_b32 v203, v162
	s_wait_dscnt 0x8
	v_dual_mov_b32 v204, v167 :: v_dual_mov_b32 v205, v166
	;; [unrolled: 2-line block ×4, first 2 shown]
	s_wait_loadcnt_dscnt 0xa05
	v_dual_mul_f32 v7, v176, v121 :: v_dual_mul_f32 v9, v178, v123
	v_dual_mul_f32 v27, v177, v121 :: v_dual_mul_f32 v29, v179, v123
	s_wait_loadcnt_dscnt 0x904
	v_dual_mul_f32 v11, v180, v125 :: v_dual_mul_f32 v13, v182, v127
	s_delay_alu instid0(VALU_DEP_3) | instskip(SKIP_3) | instid1(VALU_DEP_3)
	v_dual_fmac_f32 v7, v177, v120 :: v_dual_fmac_f32 v9, v179, v122
	s_wait_loadcnt_dscnt 0x702
	v_dual_fma_f32 v27, v176, v120, -v27 :: v_dual_mul_f32 v39, v189, v133
	v_dual_mul_f32 v31, v181, v125 :: v_dual_mul_f32 v33, v183, v127
	v_dual_fma_f32 v29, v178, v122, -v29 :: v_dual_add_f32 v7, 0, v7
	s_delay_alu instid0(VALU_DEP_3) | instskip(SKIP_1) | instid1(VALU_DEP_4)
	v_dual_add_f32 v27, 0, v27 :: v_dual_fmac_f32 v11, v181, v124
	v_dual_mul_f32 v15, v184, v129 :: v_dual_mul_f32 v17, v186, v131
	v_dual_mul_f32 v41, v191, v135 :: v_dual_fma_f32 v31, v180, v124, -v31
	s_delay_alu instid0(VALU_DEP_4) | instskip(NEXT) | instid1(VALU_DEP_3)
	v_add_f32_e32 v7, v7, v9
	v_dual_add_f32 v9, v27, v29 :: v_dual_fmac_f32 v15, v185, v128
	v_dual_mul_f32 v35, v185, v129 :: v_dual_mul_f32 v37, v187, v131
	s_wait_loadcnt_dscnt 0x601
	v_dual_mul_f32 v27, v193, v137 :: v_dual_fmac_f32 v13, v183, v126
	v_dual_fma_f32 v29, v182, v126, -v33 :: v_dual_add_f32 v7, v7, v11
	s_delay_alu instid0(VALU_DEP_3) | instskip(SKIP_1) | instid1(VALU_DEP_3)
	v_dual_add_f32 v9, v9, v31 :: v_dual_fma_f32 v31, v184, v128, -v35
	v_dual_mul_f32 v19, v188, v133 :: v_dual_mul_f32 v21, v190, v135
	v_add_f32_e32 v7, v7, v13
	s_delay_alu instid0(VALU_DEP_3) | instskip(SKIP_2) | instid1(VALU_DEP_3)
	v_dual_mul_f32 v11, v195, v139 :: v_dual_add_f32 v9, v9, v29
	s_wait_loadcnt_dscnt 0x500
	v_dual_mul_f32 v13, v197, v141 :: v_dual_fmac_f32 v17, v187, v130
	v_dual_fma_f32 v29, v186, v130, -v37 :: v_dual_add_f32 v7, v7, v15
	s_delay_alu instid0(VALU_DEP_3) | instskip(SKIP_1) | instid1(VALU_DEP_3)
	v_dual_add_f32 v9, v9, v31 :: v_dual_fma_f32 v31, v188, v132, -v39
	v_dual_mul_f32 v15, v199, v143 :: v_dual_fmac_f32 v19, v189, v132
	v_dual_add_f32 v7, v7, v17 :: v_dual_fma_f32 v17, v190, v134, -v41
	s_delay_alu instid0(VALU_DEP_3) | instskip(SKIP_1) | instid1(VALU_DEP_3)
	v_dual_add_f32 v9, v9, v29 :: v_dual_fmac_f32 v21, v191, v134
	v_dual_mul_f32 v23, v192, v137 :: v_dual_mul_f32 v25, v194, v139
	v_add_f32_e32 v7, v7, v19
	s_wait_loadcnt 0x4
	s_delay_alu instid0(VALU_DEP_3) | instskip(NEXT) | instid1(VALU_DEP_3)
	v_dual_add_f32 v9, v9, v31 :: v_dual_mov_b32 v122, v147
	v_fmac_f32_e32 v23, v193, v136
	s_delay_alu instid0(VALU_DEP_3) | instskip(NEXT) | instid1(VALU_DEP_3)
	v_dual_fma_f32 v19, v192, v136, -v27 :: v_dual_add_f32 v7, v7, v21
	v_dual_add_f32 v9, v9, v17 :: v_dual_fmac_f32 v25, v195, v138
	v_dual_mul_f32 v211, v196, v141 :: v_dual_mul_f32 v213, v198, v143
	s_delay_alu instid0(VALU_DEP_3) | instskip(SKIP_1) | instid1(VALU_DEP_3)
	v_dual_fma_f32 v11, v194, v138, -v11 :: v_dual_add_f32 v7, v7, v23
	s_wait_loadcnt 0x3
	v_dual_add_f32 v9, v9, v19 :: v_dual_mov_b32 v126, v151
	v_pk_mul_f32 v[120:121], v[160:161], v[144:145] op_sel:[1,1] op_sel_hi:[0,1]
	v_dual_fmac_f32 v211, v197, v140 :: v_dual_fma_f32 v210, v196, v140, -v13
	s_delay_alu instid0(VALU_DEP_3) | instskip(SKIP_1) | instid1(VALU_DEP_4)
	v_dual_add_f32 v129, v7, v25 :: v_dual_add_f32 v128, v9, v11
	v_dual_fmac_f32 v213, v199, v142 :: v_dual_fma_f32 v212, v198, v142, -v15
	v_pk_fma_f32 v[130:131], v[160:161], v[144:145], v[120:121] op_sel_hi:[1,0,1]
	v_pk_mul_f32 v[122:123], v[202:203], v[122:123] op_sel_hi:[1,0]
	s_delay_alu instid0(VALU_DEP_4)
	v_pk_add_f32 v[128:129], v[128:129], v[210:211]
	v_pk_fma_f32 v[120:121], v[160:161], v[144:145], v[120:121] neg_lo:[0,0,1] neg_hi:[0,0,1]
	v_pk_mul_f32 v[124:125], v[164:165], v[148:149] op_sel:[1,1] op_sel_hi:[0,1]
	v_mov_b32_e32 v121, v131
	v_pk_fma_f32 v[130:131], v[162:163], v[146:147], v[122:123] op_sel_hi:[1,0,1]
	v_pk_add_f32 v[128:129], v[128:129], v[212:213]
	v_pk_fma_f32 v[122:123], v[162:163], v[146:147], v[122:123] neg_lo:[0,0,1] neg_hi:[0,0,1]
	v_pk_fma_f32 v[134:135], v[164:165], v[148:149], v[124:125] op_sel_hi:[1,0,1]
	v_pk_mul_f32 v[126:127], v[204:205], v[126:127] op_sel_hi:[1,0]
	v_mov_b32_e32 v123, v131
	v_pk_add_f32 v[120:121], v[128:129], v[120:121]
	s_wait_loadcnt 0x2
	v_pk_mul_f32 v[132:133], v[168:169], v[152:153] op_sel:[1,1] op_sel_hi:[0,1]
	v_mov_b32_e32 v128, v155
	v_pk_fma_f32 v[124:125], v[164:165], v[148:149], v[124:125] neg_lo:[0,0,1] neg_hi:[0,0,1]
	v_mov_b32_e32 v125, v135
	v_pk_fma_f32 v[130:131], v[166:167], v[150:151], v[126:127] op_sel_hi:[1,0,1]
	v_pk_add_f32 v[120:121], v[120:121], v[122:123]
	v_pk_fma_f32 v[122:123], v[168:169], v[152:153], v[132:133] op_sel_hi:[1,0,1]
	v_pk_mul_f32 v[128:129], v[206:207], v[128:129] op_sel_hi:[1,0]
	v_pk_fma_f32 v[126:127], v[166:167], v[150:151], v[126:127] neg_lo:[0,0,1] neg_hi:[0,0,1]
	v_mov_b32_e32 v127, v131
	v_pk_add_f32 v[120:121], v[120:121], v[124:125]
	v_pk_fma_f32 v[130:131], v[168:169], v[152:153], v[132:133] neg_lo:[0,0,1] neg_hi:[0,0,1]
	v_mov_b32_e32 v131, v123
	v_pk_fma_f32 v[122:123], v[170:171], v[154:155], v[128:129] op_sel_hi:[1,0,1]
	s_wait_loadcnt 0x1
	v_pk_mul_f32 v[124:125], v[172:173], v[156:157] op_sel:[1,1] op_sel_hi:[0,1]
	v_pk_add_f32 v[120:121], v[120:121], v[126:127]
	v_mov_b32_e32 v122, v159
	v_pk_fma_f32 v[128:129], v[170:171], v[154:155], v[128:129] neg_lo:[0,0,1] neg_hi:[0,0,1]
	v_mov_b32_e32 v129, v123
	v_pk_fma_f32 v[126:127], v[172:173], v[156:157], v[124:125] op_sel_hi:[1,0,1]
	v_pk_add_f32 v[120:121], v[120:121], v[130:131]
	v_pk_mul_f32 v[122:123], v[208:209], v[122:123] op_sel_hi:[1,0]
	v_pk_fma_f32 v[124:125], v[172:173], v[156:157], v[124:125] neg_lo:[0,0,1] neg_hi:[0,0,1]
	s_delay_alu instid0(VALU_DEP_4) | instskip(NEXT) | instid1(VALU_DEP_4)
	v_mov_b32_e32 v125, v127
	v_pk_add_f32 v[120:121], v[120:121], v[128:129]
	s_delay_alu instid0(VALU_DEP_4) | instskip(SKIP_1) | instid1(VALU_DEP_2)
	v_pk_fma_f32 v[126:127], v[174:175], v[158:159], v[122:123] op_sel_hi:[1,0,1]
	v_pk_fma_f32 v[122:123], v[174:175], v[158:159], v[122:123] neg_lo:[0,0,1] neg_hi:[0,0,1]
	v_mov_b32_e32 v123, v127
	s_delay_alu instid0(VALU_DEP_4) | instskip(NEXT) | instid1(VALU_DEP_1)
	v_pk_add_f32 v[120:121], v[120:121], v[124:125]
	v_pk_add_f32 v[120:121], v[120:121], v[122:123]
	s_wait_loadcnt 0x0
	s_delay_alu instid0(VALU_DEP_1)
	v_pk_add_f32 v[120:121], v[200:201], v[120:121] neg_lo:[0,1] neg_hi:[0,1]
	scratch_store_b64 off, v[120:121], off offset:304
	s_wait_xcnt 0x0
	v_cmpx_lt_u32_e32 37, v0
	s_cbranch_execz .LBB122_293
; %bb.292:
	scratch_load_b64 v[120:121], off, off offset:296
	v_mov_b64_e32 v[122:123], 0
	scratch_store_b64 off, v[122:123], off offset:296
	s_wait_loadcnt 0x0
	ds_store_b64 v1, v[120:121]
.LBB122_293:
	s_wait_xcnt 0x0
	s_or_b32 exec_lo, exec_lo, s0
	s_wait_storecnt_dscnt 0x0
	s_barrier_signal -1
	s_barrier_wait -1
	s_clause 0xb
	scratch_load_b128 v[120:123], off, off offset:304
	scratch_load_b128 v[124:127], off, off offset:320
	;; [unrolled: 1-line block ×10, first 2 shown]
	scratch_load_b64 v[200:201], off, off offset:464
	scratch_load_b64 v[202:203], off, off offset:296
	v_mov_b32_e32 v7, 0
	ds_load_b128 v[160:163], v7 offset:880
	ds_load_b128 v[164:167], v7 offset:896
	;; [unrolled: 1-line block ×10, first 2 shown]
	ds_load_b64 v[204:205], v7 offset:944
	s_mov_b32 s0, exec_lo
	s_wait_dscnt 0xa
	v_dual_mov_b32 v206, v163 :: v_dual_mov_b32 v207, v162
	s_wait_dscnt 0x7
	v_dual_mov_b32 v208, v167 :: v_dual_mov_b32 v213, v174
	v_dual_mov_b32 v209, v166 :: v_dual_mov_b32 v210, v171
	;; [unrolled: 1-line block ×3, first 2 shown]
	s_wait_loadcnt_dscnt 0xb06
	v_dual_mul_f32 v9, v176, v121 :: v_dual_mul_f32 v31, v177, v121
	v_dual_mul_f32 v33, v179, v123 :: v_dual_mul_f32 v11, v178, v123
	s_wait_loadcnt_dscnt 0xa05
	v_mul_f32_e32 v13, v180, v125
	s_wait_loadcnt_dscnt 0x803
	v_dual_mul_f32 v43, v189, v133 :: v_dual_fma_f32 v31, v176, v120, -v31
	v_dual_fmac_f32 v9, v177, v120 :: v_dual_mul_f32 v45, v191, v135
	v_dual_mul_f32 v35, v181, v125 :: v_dual_mul_f32 v37, v183, v127
	v_dual_fmac_f32 v11, v179, v122 :: v_dual_fma_f32 v33, v178, v122, -v33
	s_delay_alu instid0(VALU_DEP_3) | instskip(SKIP_4) | instid1(VALU_DEP_3)
	v_dual_add_f32 v9, 0, v9 :: v_dual_add_f32 v31, 0, v31
	v_dual_mul_f32 v15, v182, v127 :: v_dual_mul_f32 v17, v184, v129
	s_wait_loadcnt_dscnt 0x702
	v_dual_mul_f32 v47, v193, v137 :: v_dual_fma_f32 v35, v180, v124, -v35
	v_fmac_f32_e32 v13, v181, v124
	v_dual_add_f32 v9, v9, v11 :: v_dual_fmac_f32 v15, v183, v126
	v_add_f32_e32 v11, v31, v33
	v_dual_mul_f32 v39, v185, v129 :: v_dual_mul_f32 v41, v187, v131
	v_dual_mul_f32 v31, v195, v139 :: v_dual_fma_f32 v33, v182, v126, -v37
	s_delay_alu instid0(VALU_DEP_3) | instskip(SKIP_3) | instid1(VALU_DEP_3)
	v_dual_add_f32 v9, v9, v13 :: v_dual_add_f32 v11, v11, v35
	v_dual_mul_f32 v19, v186, v131 :: v_dual_mul_f32 v21, v188, v133
	s_wait_loadcnt_dscnt 0x601
	v_dual_mul_f32 v13, v197, v141 :: v_dual_fma_f32 v35, v184, v128, -v39
	v_dual_fmac_f32 v17, v185, v128 :: v_dual_add_f32 v11, v11, v33
	s_delay_alu instid0(VALU_DEP_3) | instskip(SKIP_1) | instid1(VALU_DEP_2)
	v_dual_add_f32 v9, v9, v15 :: v_dual_fmac_f32 v19, v187, v130
	v_dual_mul_f32 v15, v199, v143 :: v_dual_fma_f32 v33, v186, v130, -v41
	v_dual_add_f32 v11, v11, v35 :: v_dual_add_f32 v9, v9, v17
	v_dual_mul_f32 v23, v190, v135 :: v_dual_mul_f32 v25, v192, v137
	s_wait_loadcnt 0x5
	v_dual_mul_f32 v17, v161, v145 :: v_dual_fma_f32 v35, v188, v132, -v43
	s_delay_alu instid0(VALU_DEP_3) | instskip(SKIP_2) | instid1(VALU_DEP_2)
	v_dual_fmac_f32 v21, v189, v132 :: v_dual_add_f32 v11, v11, v33
	v_dual_add_f32 v9, v9, v19 :: v_dual_mov_b32 v120, v147
	v_dual_fmac_f32 v23, v191, v134 :: v_dual_fma_f32 v19, v190, v134, -v45
	v_dual_add_f32 v11, v11, v35 :: v_dual_add_f32 v9, v9, v21
	v_dual_mul_f32 v27, v194, v139 :: v_dual_mul_f32 v29, v196, v141
	v_dual_fmac_f32 v25, v193, v136 :: v_dual_fma_f32 v21, v192, v136, -v47
	s_wait_loadcnt 0x4
	s_delay_alu instid0(VALU_DEP_3) | instskip(SKIP_1) | instid1(VALU_DEP_2)
	v_dual_add_f32 v9, v9, v23 :: v_dual_mov_b32 v124, v151
	v_dual_add_f32 v11, v11, v19 :: v_dual_fma_f32 v19, v194, v138, -v31
	v_dual_fmac_f32 v27, v195, v138 :: v_dual_add_f32 v9, v9, v25
	v_dual_mul_f32 v215, v198, v143 :: v_dual_mul_f32 v217, v160, v145
	s_delay_alu instid0(VALU_DEP_3) | instskip(NEXT) | instid1(VALU_DEP_3)
	v_dual_add_f32 v11, v11, v21 :: v_dual_fmac_f32 v29, v197, v140
	v_dual_fma_f32 v13, v196, v140, -v13 :: v_dual_add_f32 v9, v9, v27
	s_delay_alu instid0(VALU_DEP_3) | instskip(NEXT) | instid1(VALU_DEP_3)
	v_fmac_f32_e32 v215, v199, v142
	v_dual_add_f32 v11, v11, v19 :: v_dual_fma_f32 v214, v198, v142, -v15
	v_pk_mul_f32 v[120:121], v[206:207], v[120:121] op_sel_hi:[1,0]
	s_delay_alu instid0(VALU_DEP_4) | instskip(SKIP_1) | instid1(VALU_DEP_4)
	v_add_f32_e32 v129, v9, v29
	v_pk_mul_f32 v[122:123], v[164:165], v[148:149] op_sel:[1,1] op_sel_hi:[0,1]
	v_dual_add_f32 v128, v11, v13 :: v_dual_fmac_f32 v217, v161, v144
	s_wait_loadcnt 0x3
	v_dual_mov_b32 v130, v155 :: v_dual_fma_f32 v216, v160, v144, -v17
	v_pk_fma_f32 v[132:133], v[162:163], v[146:147], v[120:121] op_sel_hi:[1,0,1]
	s_delay_alu instid0(VALU_DEP_3)
	v_pk_add_f32 v[128:129], v[128:129], v[214:215]
	v_pk_fma_f32 v[120:121], v[162:163], v[146:147], v[120:121] neg_lo:[0,0,1] neg_hi:[0,0,1]
	v_pk_fma_f32 v[134:135], v[164:165], v[148:149], v[122:123] op_sel_hi:[1,0,1]
	v_pk_mul_f32 v[124:125], v[208:209], v[124:125] op_sel_hi:[1,0]
	v_mov_b32_e32 v121, v133
	v_pk_add_f32 v[128:129], v[128:129], v[216:217]
	v_pk_fma_f32 v[122:123], v[164:165], v[148:149], v[122:123] neg_lo:[0,0,1] neg_hi:[0,0,1]
	v_pk_mul_f32 v[126:127], v[168:169], v[152:153] op_sel:[1,1] op_sel_hi:[0,1]
	v_mov_b32_e32 v123, v135
	v_pk_fma_f32 v[134:135], v[166:167], v[150:151], v[124:125] op_sel_hi:[1,0,1]
	v_pk_add_f32 v[120:121], v[128:129], v[120:121]
	v_pk_fma_f32 v[124:125], v[166:167], v[150:151], v[124:125] neg_lo:[0,0,1] neg_hi:[0,0,1]
	v_pk_fma_f32 v[128:129], v[168:169], v[152:153], v[126:127] op_sel_hi:[1,0,1]
	v_pk_mul_f32 v[130:131], v[210:211], v[130:131] op_sel_hi:[1,0]
	v_mov_b32_e32 v125, v135
	v_pk_add_f32 v[120:121], v[120:121], v[122:123]
	v_pk_fma_f32 v[126:127], v[168:169], v[152:153], v[126:127] neg_lo:[0,0,1] neg_hi:[0,0,1]
	s_wait_loadcnt 0x2
	v_pk_mul_f32 v[132:133], v[172:173], v[156:157] op_sel:[1,1] op_sel_hi:[0,1]
	v_dual_mov_b32 v122, v159 :: v_dual_mov_b32 v127, v129
	v_pk_fma_f32 v[128:129], v[170:171], v[154:155], v[130:131] op_sel_hi:[1,0,1]
	v_pk_add_f32 v[120:121], v[120:121], v[124:125]
	v_pk_fma_f32 v[130:131], v[170:171], v[154:155], v[130:131] neg_lo:[0,0,1] neg_hi:[0,0,1]
	v_pk_fma_f32 v[124:125], v[172:173], v[156:157], v[132:133] op_sel_hi:[1,0,1]
	v_pk_mul_f32 v[122:123], v[212:213], v[122:123] op_sel_hi:[1,0]
	v_mov_b32_e32 v131, v129
	v_pk_add_f32 v[120:121], v[120:121], v[126:127]
	v_pk_fma_f32 v[126:127], v[172:173], v[156:157], v[132:133] neg_lo:[0,0,1] neg_hi:[0,0,1]
	v_mov_b32_e32 v127, v125
	v_pk_fma_f32 v[124:125], v[174:175], v[158:159], v[122:123] op_sel_hi:[1,0,1]
	s_wait_loadcnt_dscnt 0x100
	v_pk_mul_f32 v[128:129], v[204:205], v[200:201] op_sel:[1,1] op_sel_hi:[0,1]
	v_pk_add_f32 v[120:121], v[120:121], v[130:131]
	v_pk_fma_f32 v[122:123], v[174:175], v[158:159], v[122:123] neg_lo:[0,0,1] neg_hi:[0,0,1]
	v_mov_b32_e32 v123, v125
	s_delay_alu instid0(VALU_DEP_4) | instskip(NEXT) | instid1(VALU_DEP_4)
	v_pk_fma_f32 v[124:125], v[204:205], v[200:201], v[128:129] op_sel_hi:[1,0,1]
	v_pk_add_f32 v[120:121], v[120:121], v[126:127]
	v_pk_fma_f32 v[126:127], v[204:205], v[200:201], v[128:129] neg_lo:[0,0,1] neg_hi:[0,0,1]
	s_delay_alu instid0(VALU_DEP_3) | instskip(NEXT) | instid1(VALU_DEP_3)
	v_mov_b32_e32 v127, v125
	v_pk_add_f32 v[120:121], v[120:121], v[122:123]
	s_delay_alu instid0(VALU_DEP_1) | instskip(SKIP_1) | instid1(VALU_DEP_1)
	v_pk_add_f32 v[120:121], v[120:121], v[126:127]
	s_wait_loadcnt 0x0
	v_pk_add_f32 v[120:121], v[202:203], v[120:121] neg_lo:[0,1] neg_hi:[0,1]
	scratch_store_b64 off, v[120:121], off offset:296
	s_wait_xcnt 0x0
	v_cmpx_lt_u32_e32 36, v0
	s_cbranch_execz .LBB122_295
; %bb.294:
	scratch_load_b64 v[120:121], off, off offset:288
	v_mov_b64_e32 v[122:123], 0
	scratch_store_b64 off, v[122:123], off offset:288
	s_wait_loadcnt 0x0
	ds_store_b64 v1, v[120:121]
.LBB122_295:
	s_wait_xcnt 0x0
	s_or_b32 exec_lo, exec_lo, s0
	s_wait_storecnt_dscnt 0x0
	s_barrier_signal -1
	s_barrier_wait -1
	s_clause 0xb
	scratch_load_b128 v[120:123], off, off offset:296
	scratch_load_b128 v[124:127], off, off offset:312
	;; [unrolled: 1-line block ×11, first 2 shown]
	scratch_load_b64 v[208:209], off, off offset:288
	ds_load_2addr_b64 v[164:167], v7 offset0:111 offset1:112
	ds_load_2addr_b64 v[168:171], v7 offset0:113 offset1:114
	;; [unrolled: 1-line block ×11, first 2 shown]
	s_mov_b32 s0, exec_lo
	s_wait_dscnt 0xa
	v_dual_mov_b32 v210, v167 :: v_dual_mov_b32 v211, v166
	s_wait_dscnt 0x9
	v_dual_mov_b32 v212, v171 :: v_dual_mov_b32 v213, v170
	s_wait_dscnt 0x8
	v_dual_mov_b32 v214, v175 :: v_dual_mov_b32 v215, v174
	s_wait_dscnt 0x7
	v_dual_mov_b32 v216, v179 :: v_dual_mov_b32 v217, v178
	s_wait_loadcnt_dscnt 0xb06
	v_dual_mul_f32 v7, v180, v121 :: v_dual_mul_f32 v9, v182, v123
	v_dual_mul_f32 v31, v181, v121 :: v_dual_mul_f32 v33, v183, v123
	s_wait_loadcnt_dscnt 0xa05
	v_dual_mul_f32 v11, v184, v125 :: v_dual_mul_f32 v13, v186, v127
	s_delay_alu instid0(VALU_DEP_3) | instskip(SKIP_3) | instid1(VALU_DEP_3)
	v_dual_fmac_f32 v7, v181, v120 :: v_dual_fmac_f32 v9, v183, v122
	s_wait_loadcnt_dscnt 0x803
	v_dual_fma_f32 v31, v180, v120, -v31 :: v_dual_mul_f32 v43, v193, v133
	v_dual_mul_f32 v35, v185, v125 :: v_dual_mul_f32 v37, v187, v127
	v_dual_fma_f32 v33, v182, v122, -v33 :: v_dual_add_f32 v7, 0, v7
	s_delay_alu instid0(VALU_DEP_3) | instskip(SKIP_1) | instid1(VALU_DEP_4)
	v_dual_add_f32 v31, 0, v31 :: v_dual_fmac_f32 v11, v185, v124
	v_dual_mul_f32 v15, v188, v129 :: v_dual_mul_f32 v17, v190, v131
	v_dual_mul_f32 v45, v195, v135 :: v_dual_fma_f32 v35, v184, v124, -v35
	s_delay_alu instid0(VALU_DEP_4) | instskip(NEXT) | instid1(VALU_DEP_3)
	v_add_f32_e32 v7, v7, v9
	v_dual_add_f32 v9, v31, v33 :: v_dual_fmac_f32 v15, v189, v128
	v_dual_mul_f32 v39, v189, v129 :: v_dual_mul_f32 v41, v191, v131
	s_wait_loadcnt_dscnt 0x702
	v_dual_mul_f32 v31, v197, v137 :: v_dual_fmac_f32 v13, v187, v126
	v_dual_fma_f32 v33, v186, v126, -v37 :: v_dual_add_f32 v7, v7, v11
	s_delay_alu instid0(VALU_DEP_3) | instskip(SKIP_1) | instid1(VALU_DEP_3)
	v_dual_add_f32 v9, v9, v35 :: v_dual_fma_f32 v35, v188, v128, -v39
	v_dual_mul_f32 v19, v192, v133 :: v_dual_mul_f32 v21, v194, v135
	v_add_f32_e32 v7, v7, v13
	s_delay_alu instid0(VALU_DEP_3) | instskip(SKIP_2) | instid1(VALU_DEP_3)
	v_dual_mul_f32 v11, v199, v139 :: v_dual_add_f32 v9, v9, v33
	s_wait_loadcnt_dscnt 0x601
	v_dual_mul_f32 v13, v201, v141 :: v_dual_fmac_f32 v17, v191, v130
	v_dual_fma_f32 v33, v190, v130, -v41 :: v_dual_add_f32 v7, v7, v15
	s_delay_alu instid0(VALU_DEP_3) | instskip(SKIP_1) | instid1(VALU_DEP_3)
	v_dual_add_f32 v9, v9, v35 :: v_dual_fma_f32 v35, v192, v132, -v43
	v_dual_mul_f32 v15, v203, v143 :: v_dual_fmac_f32 v19, v193, v132
	v_add_f32_e32 v7, v7, v17
	s_delay_alu instid0(VALU_DEP_3)
	v_dual_add_f32 v9, v9, v33 :: v_dual_fmac_f32 v21, v195, v134
	v_dual_mul_f32 v23, v196, v137 :: v_dual_mul_f32 v25, v198, v139
	s_wait_loadcnt_dscnt 0x500
	v_dual_fma_f32 v33, v194, v134, -v45 :: v_dual_mul_f32 v17, v205, v145
	v_add_f32_e32 v7, v7, v19
	v_dual_add_f32 v9, v9, v35 :: v_dual_fma_f32 v31, v196, v136, -v31
	v_dual_mul_f32 v19, v207, v147 :: v_dual_fmac_f32 v23, v197, v136
	s_delay_alu instid0(VALU_DEP_3) | instskip(NEXT) | instid1(VALU_DEP_3)
	v_dual_add_f32 v7, v7, v21 :: v_dual_fma_f32 v11, v198, v138, -v11
	v_dual_add_f32 v9, v9, v33 :: v_dual_fmac_f32 v25, v199, v138
	v_dual_mul_f32 v27, v200, v141 :: v_dual_mul_f32 v29, v202, v143
	s_delay_alu instid0(VALU_DEP_3) | instskip(SKIP_1) | instid1(VALU_DEP_3)
	v_add_f32_e32 v7, v7, v23
	s_wait_loadcnt 0x4
	v_dual_add_f32 v9, v9, v31 :: v_dual_mov_b32 v122, v151
	s_delay_alu instid0(VALU_DEP_3) | instskip(NEXT) | instid1(VALU_DEP_2)
	v_dual_fmac_f32 v27, v201, v140 :: v_dual_fma_f32 v13, v200, v140, -v13
	v_dual_add_f32 v7, v7, v25 :: v_dual_add_f32 v9, v9, v11
	v_dual_fmac_f32 v29, v203, v142 :: v_dual_mul_f32 v219, v204, v145
	v_mul_f32_e32 v221, v206, v147
	s_delay_alu instid0(VALU_DEP_3) | instskip(SKIP_4) | instid1(VALU_DEP_3)
	v_dual_fma_f32 v11, v202, v142, -v15 :: v_dual_add_f32 v7, v7, v27
	s_wait_loadcnt 0x3
	v_dual_add_f32 v9, v9, v13 :: v_dual_mov_b32 v126, v155
	v_pk_mul_f32 v[120:121], v[164:165], v[148:149] op_sel:[1,1] op_sel_hi:[0,1]
	v_dual_fmac_f32 v219, v205, v144 :: v_dual_fma_f32 v218, v204, v144, -v17
	v_dual_add_f32 v129, v7, v29 :: v_dual_add_f32 v128, v9, v11
	v_dual_fmac_f32 v221, v207, v146 :: v_dual_fma_f32 v220, v206, v146, -v19
	s_delay_alu instid0(VALU_DEP_4) | instskip(SKIP_1) | instid1(VALU_DEP_4)
	v_pk_fma_f32 v[130:131], v[164:165], v[148:149], v[120:121] op_sel_hi:[1,0,1]
	v_pk_mul_f32 v[122:123], v[210:211], v[122:123] op_sel_hi:[1,0]
	v_pk_add_f32 v[128:129], v[128:129], v[218:219]
	v_pk_fma_f32 v[120:121], v[164:165], v[148:149], v[120:121] neg_lo:[0,0,1] neg_hi:[0,0,1]
	v_pk_mul_f32 v[124:125], v[168:169], v[152:153] op_sel:[1,1] op_sel_hi:[0,1]
	v_mov_b32_e32 v121, v131
	v_pk_fma_f32 v[130:131], v[166:167], v[150:151], v[122:123] op_sel_hi:[1,0,1]
	v_pk_add_f32 v[128:129], v[128:129], v[220:221]
	v_pk_fma_f32 v[122:123], v[166:167], v[150:151], v[122:123] neg_lo:[0,0,1] neg_hi:[0,0,1]
	v_pk_fma_f32 v[134:135], v[168:169], v[152:153], v[124:125] op_sel_hi:[1,0,1]
	v_pk_mul_f32 v[126:127], v[212:213], v[126:127] op_sel_hi:[1,0]
	v_mov_b32_e32 v123, v131
	v_pk_add_f32 v[120:121], v[128:129], v[120:121]
	s_wait_loadcnt 0x2
	v_pk_mul_f32 v[132:133], v[172:173], v[156:157] op_sel:[1,1] op_sel_hi:[0,1]
	v_mov_b32_e32 v128, v159
	v_pk_fma_f32 v[124:125], v[168:169], v[152:153], v[124:125] neg_lo:[0,0,1] neg_hi:[0,0,1]
	v_mov_b32_e32 v125, v135
	v_pk_fma_f32 v[130:131], v[170:171], v[154:155], v[126:127] op_sel_hi:[1,0,1]
	v_pk_add_f32 v[120:121], v[120:121], v[122:123]
	v_pk_fma_f32 v[122:123], v[172:173], v[156:157], v[132:133] op_sel_hi:[1,0,1]
	v_pk_mul_f32 v[128:129], v[214:215], v[128:129] op_sel_hi:[1,0]
	v_pk_fma_f32 v[126:127], v[170:171], v[154:155], v[126:127] neg_lo:[0,0,1] neg_hi:[0,0,1]
	v_mov_b32_e32 v127, v131
	v_pk_add_f32 v[120:121], v[120:121], v[124:125]
	v_pk_fma_f32 v[130:131], v[172:173], v[156:157], v[132:133] neg_lo:[0,0,1] neg_hi:[0,0,1]
	v_mov_b32_e32 v131, v123
	v_pk_fma_f32 v[122:123], v[174:175], v[158:159], v[128:129] op_sel_hi:[1,0,1]
	s_wait_loadcnt 0x1
	v_pk_mul_f32 v[124:125], v[176:177], v[160:161] op_sel:[1,1] op_sel_hi:[0,1]
	v_pk_add_f32 v[120:121], v[120:121], v[126:127]
	v_mov_b32_e32 v122, v163
	v_pk_fma_f32 v[128:129], v[174:175], v[158:159], v[128:129] neg_lo:[0,0,1] neg_hi:[0,0,1]
	v_mov_b32_e32 v129, v123
	v_pk_fma_f32 v[126:127], v[176:177], v[160:161], v[124:125] op_sel_hi:[1,0,1]
	v_pk_add_f32 v[120:121], v[120:121], v[130:131]
	v_pk_mul_f32 v[122:123], v[216:217], v[122:123] op_sel_hi:[1,0]
	v_pk_fma_f32 v[124:125], v[176:177], v[160:161], v[124:125] neg_lo:[0,0,1] neg_hi:[0,0,1]
	s_delay_alu instid0(VALU_DEP_4) | instskip(NEXT) | instid1(VALU_DEP_4)
	v_mov_b32_e32 v125, v127
	v_pk_add_f32 v[120:121], v[120:121], v[128:129]
	s_delay_alu instid0(VALU_DEP_4) | instskip(SKIP_1) | instid1(VALU_DEP_2)
	v_pk_fma_f32 v[126:127], v[178:179], v[162:163], v[122:123] op_sel_hi:[1,0,1]
	v_pk_fma_f32 v[122:123], v[178:179], v[162:163], v[122:123] neg_lo:[0,0,1] neg_hi:[0,0,1]
	v_mov_b32_e32 v123, v127
	s_delay_alu instid0(VALU_DEP_4) | instskip(NEXT) | instid1(VALU_DEP_1)
	v_pk_add_f32 v[120:121], v[120:121], v[124:125]
	v_pk_add_f32 v[120:121], v[120:121], v[122:123]
	s_wait_loadcnt 0x0
	s_delay_alu instid0(VALU_DEP_1)
	v_pk_add_f32 v[120:121], v[208:209], v[120:121] neg_lo:[0,1] neg_hi:[0,1]
	scratch_store_b64 off, v[120:121], off offset:288
	s_wait_xcnt 0x0
	v_cmpx_lt_u32_e32 35, v0
	s_cbranch_execz .LBB122_297
; %bb.296:
	scratch_load_b64 v[120:121], off, off offset:280
	v_mov_b64_e32 v[122:123], 0
	scratch_store_b64 off, v[122:123], off offset:280
	s_wait_loadcnt 0x0
	ds_store_b64 v1, v[120:121]
.LBB122_297:
	s_wait_xcnt 0x0
	s_or_b32 exec_lo, exec_lo, s0
	s_wait_storecnt_dscnt 0x0
	s_barrier_signal -1
	s_barrier_wait -1
	s_clause 0xc
	scratch_load_b128 v[120:123], off, off offset:288
	scratch_load_b128 v[124:127], off, off offset:304
	;; [unrolled: 1-line block ×11, first 2 shown]
	scratch_load_b64 v[208:209], off, off offset:464
	scratch_load_b64 v[210:211], off, off offset:280
	v_mov_b32_e32 v7, 0
	ds_load_b128 v[164:167], v7 offset:880
	ds_load_b128 v[168:171], v7 offset:896
	;; [unrolled: 1-line block ×11, first 2 shown]
	ds_load_b64 v[212:213], v7 offset:944
	s_mov_b32 s0, exec_lo
	s_wait_dscnt 0xb
	v_dual_mov_b32 v214, v167 :: v_dual_mov_b32 v215, v166
	s_wait_dscnt 0x8
	v_dual_mov_b32 v216, v171 :: v_dual_mov_b32 v221, v178
	v_dual_mov_b32 v217, v170 :: v_dual_mov_b32 v218, v175
	;; [unrolled: 1-line block ×3, first 2 shown]
	s_wait_loadcnt_dscnt 0xc07
	v_dual_mul_f32 v9, v180, v121 :: v_dual_mul_f32 v35, v181, v121
	v_dual_mul_f32 v37, v183, v123 :: v_dual_mul_f32 v11, v182, v123
	s_wait_loadcnt_dscnt 0xb06
	v_mul_f32_e32 v13, v184, v125
	s_wait_loadcnt_dscnt 0x904
	v_dual_mul_f32 v47, v193, v133 :: v_dual_fma_f32 v35, v180, v120, -v35
	v_dual_fmac_f32 v9, v181, v120 :: v_dual_mul_f32 v49, v195, v135
	v_dual_mul_f32 v39, v185, v125 :: v_dual_mul_f32 v41, v187, v127
	v_dual_fmac_f32 v11, v183, v122 :: v_dual_fma_f32 v37, v182, v122, -v37
	s_delay_alu instid0(VALU_DEP_3) | instskip(SKIP_4) | instid1(VALU_DEP_3)
	v_dual_add_f32 v9, 0, v9 :: v_dual_add_f32 v35, 0, v35
	v_dual_mul_f32 v15, v186, v127 :: v_dual_mul_f32 v17, v188, v129
	s_wait_loadcnt_dscnt 0x803
	v_dual_mul_f32 v51, v197, v137 :: v_dual_fma_f32 v39, v184, v124, -v39
	v_fmac_f32_e32 v13, v185, v124
	v_dual_add_f32 v9, v9, v11 :: v_dual_fmac_f32 v15, v187, v126
	v_add_f32_e32 v11, v35, v37
	v_dual_mul_f32 v43, v189, v129 :: v_dual_mul_f32 v45, v191, v131
	v_dual_mul_f32 v35, v199, v139 :: v_dual_fma_f32 v37, v186, v126, -v41
	s_delay_alu instid0(VALU_DEP_3) | instskip(SKIP_3) | instid1(VALU_DEP_3)
	v_dual_add_f32 v9, v9, v13 :: v_dual_add_f32 v11, v11, v39
	v_dual_mul_f32 v19, v190, v131 :: v_dual_mul_f32 v21, v192, v133
	s_wait_loadcnt_dscnt 0x701
	v_dual_mul_f32 v13, v205, v141 :: v_dual_fma_f32 v39, v188, v128, -v43
	v_dual_fmac_f32 v17, v189, v128 :: v_dual_add_f32 v11, v11, v37
	s_delay_alu instid0(VALU_DEP_3) | instskip(SKIP_1) | instid1(VALU_DEP_2)
	v_dual_add_f32 v9, v9, v15 :: v_dual_fmac_f32 v19, v191, v130
	v_dual_mul_f32 v15, v207, v143 :: v_dual_fma_f32 v37, v190, v130, -v45
	v_dual_add_f32 v11, v11, v39 :: v_dual_add_f32 v9, v9, v17
	v_dual_mul_f32 v23, v194, v135 :: v_dual_mul_f32 v25, v196, v137
	s_wait_loadcnt 0x6
	v_dual_mul_f32 v17, v201, v145 :: v_dual_fma_f32 v39, v192, v132, -v47
	s_delay_alu instid0(VALU_DEP_3) | instskip(NEXT) | instid1(VALU_DEP_3)
	v_dual_fmac_f32 v21, v193, v132 :: v_dual_add_f32 v11, v11, v37
	v_dual_add_f32 v9, v9, v19 :: v_dual_fmac_f32 v23, v195, v134
	v_dual_mul_f32 v19, v203, v147 :: v_dual_fma_f32 v37, v194, v134, -v49
	s_delay_alu instid0(VALU_DEP_2) | instskip(SKIP_3) | instid1(VALU_DEP_3)
	v_dual_add_f32 v11, v11, v39 :: v_dual_add_f32 v9, v9, v21
	v_dual_mul_f32 v27, v198, v139 :: v_dual_mul_f32 v29, v204, v141
	s_wait_loadcnt 0x5
	v_dual_mul_f32 v21, v165, v149 :: v_dual_fma_f32 v39, v196, v136, -v51
	v_dual_fmac_f32 v25, v197, v136 :: v_dual_add_f32 v11, v11, v37
	v_dual_add_f32 v9, v9, v23 :: v_dual_mov_b32 v120, v151
	v_fmac_f32_e32 v27, v199, v138
	s_delay_alu instid0(VALU_DEP_3) | instskip(NEXT) | instid1(VALU_DEP_3)
	v_dual_fma_f32 v23, v198, v138, -v35 :: v_dual_add_f32 v11, v11, v39
	v_dual_add_f32 v9, v9, v25 :: v_dual_mul_f32 v31, v206, v143
	v_dual_mul_f32 v33, v200, v145 :: v_dual_fmac_f32 v29, v205, v140
	s_delay_alu instid0(VALU_DEP_3) | instskip(SKIP_1) | instid1(VALU_DEP_3)
	v_dual_add_f32 v11, v11, v23 :: v_dual_fma_f32 v13, v204, v140, -v13
	s_wait_loadcnt 0x4
	v_dual_add_f32 v9, v9, v27 :: v_dual_mov_b32 v124, v155
	v_fma_f32 v15, v206, v142, -v15
	v_fmac_f32_e32 v31, v207, v142
	v_dual_add_f32 v11, v11, v13 :: v_dual_fmac_f32 v33, v201, v144
	s_delay_alu instid0(VALU_DEP_4) | instskip(SKIP_1) | instid1(VALU_DEP_3)
	v_dual_add_f32 v9, v9, v29 :: v_dual_mul_f32 v223, v202, v147
	v_mul_f32_e32 v225, v164, v149
	v_dual_fma_f32 v13, v200, v144, -v17 :: v_dual_add_f32 v11, v11, v15
	s_delay_alu instid0(VALU_DEP_3) | instskip(NEXT) | instid1(VALU_DEP_4)
	v_dual_fma_f32 v222, v202, v146, -v19 :: v_dual_add_f32 v9, v9, v31
	v_fmac_f32_e32 v223, v203, v146
	v_pk_mul_f32 v[120:121], v[214:215], v[120:121] op_sel_hi:[1,0]
	s_delay_alu instid0(VALU_DEP_4) | instskip(NEXT) | instid1(VALU_DEP_4)
	v_dual_add_f32 v128, v11, v13 :: v_dual_fmac_f32 v225, v165, v148
	v_add_f32_e32 v129, v9, v33
	v_pk_mul_f32 v[122:123], v[168:169], v[152:153] op_sel:[1,1] op_sel_hi:[0,1]
	s_wait_loadcnt 0x3
	v_dual_mov_b32 v130, v159 :: v_dual_fma_f32 v224, v164, v148, -v21
	v_pk_fma_f32 v[132:133], v[166:167], v[150:151], v[120:121] op_sel_hi:[1,0,1]
	v_pk_add_f32 v[128:129], v[128:129], v[222:223]
	v_pk_fma_f32 v[120:121], v[166:167], v[150:151], v[120:121] neg_lo:[0,0,1] neg_hi:[0,0,1]
	v_pk_fma_f32 v[134:135], v[168:169], v[152:153], v[122:123] op_sel_hi:[1,0,1]
	v_pk_mul_f32 v[124:125], v[216:217], v[124:125] op_sel_hi:[1,0]
	v_mov_b32_e32 v121, v133
	v_pk_add_f32 v[128:129], v[128:129], v[224:225]
	v_pk_fma_f32 v[122:123], v[168:169], v[152:153], v[122:123] neg_lo:[0,0,1] neg_hi:[0,0,1]
	v_pk_mul_f32 v[126:127], v[172:173], v[156:157] op_sel:[1,1] op_sel_hi:[0,1]
	v_mov_b32_e32 v123, v135
	v_pk_fma_f32 v[134:135], v[170:171], v[154:155], v[124:125] op_sel_hi:[1,0,1]
	v_pk_add_f32 v[120:121], v[128:129], v[120:121]
	v_pk_fma_f32 v[124:125], v[170:171], v[154:155], v[124:125] neg_lo:[0,0,1] neg_hi:[0,0,1]
	v_pk_fma_f32 v[128:129], v[172:173], v[156:157], v[126:127] op_sel_hi:[1,0,1]
	v_pk_mul_f32 v[130:131], v[218:219], v[130:131] op_sel_hi:[1,0]
	v_mov_b32_e32 v125, v135
	v_pk_add_f32 v[120:121], v[120:121], v[122:123]
	v_pk_fma_f32 v[126:127], v[172:173], v[156:157], v[126:127] neg_lo:[0,0,1] neg_hi:[0,0,1]
	s_wait_loadcnt 0x2
	v_pk_mul_f32 v[132:133], v[176:177], v[160:161] op_sel:[1,1] op_sel_hi:[0,1]
	v_dual_mov_b32 v122, v163 :: v_dual_mov_b32 v127, v129
	v_pk_fma_f32 v[128:129], v[174:175], v[158:159], v[130:131] op_sel_hi:[1,0,1]
	v_pk_add_f32 v[120:121], v[120:121], v[124:125]
	v_pk_fma_f32 v[130:131], v[174:175], v[158:159], v[130:131] neg_lo:[0,0,1] neg_hi:[0,0,1]
	v_pk_fma_f32 v[124:125], v[176:177], v[160:161], v[132:133] op_sel_hi:[1,0,1]
	v_pk_mul_f32 v[122:123], v[220:221], v[122:123] op_sel_hi:[1,0]
	v_mov_b32_e32 v131, v129
	v_pk_add_f32 v[120:121], v[120:121], v[126:127]
	v_pk_fma_f32 v[126:127], v[176:177], v[160:161], v[132:133] neg_lo:[0,0,1] neg_hi:[0,0,1]
	v_mov_b32_e32 v127, v125
	v_pk_fma_f32 v[124:125], v[178:179], v[162:163], v[122:123] op_sel_hi:[1,0,1]
	s_wait_loadcnt_dscnt 0x100
	v_pk_mul_f32 v[128:129], v[212:213], v[208:209] op_sel:[1,1] op_sel_hi:[0,1]
	v_pk_add_f32 v[120:121], v[120:121], v[130:131]
	v_pk_fma_f32 v[122:123], v[178:179], v[162:163], v[122:123] neg_lo:[0,0,1] neg_hi:[0,0,1]
	v_mov_b32_e32 v123, v125
	s_delay_alu instid0(VALU_DEP_4) | instskip(NEXT) | instid1(VALU_DEP_4)
	v_pk_fma_f32 v[124:125], v[212:213], v[208:209], v[128:129] op_sel_hi:[1,0,1]
	v_pk_add_f32 v[120:121], v[120:121], v[126:127]
	v_pk_fma_f32 v[126:127], v[212:213], v[208:209], v[128:129] neg_lo:[0,0,1] neg_hi:[0,0,1]
	s_delay_alu instid0(VALU_DEP_3) | instskip(NEXT) | instid1(VALU_DEP_3)
	v_mov_b32_e32 v127, v125
	v_pk_add_f32 v[120:121], v[120:121], v[122:123]
	s_delay_alu instid0(VALU_DEP_1) | instskip(SKIP_1) | instid1(VALU_DEP_1)
	v_pk_add_f32 v[120:121], v[120:121], v[126:127]
	s_wait_loadcnt 0x0
	v_pk_add_f32 v[120:121], v[210:211], v[120:121] neg_lo:[0,1] neg_hi:[0,1]
	scratch_store_b64 off, v[120:121], off offset:280
	s_wait_xcnt 0x0
	v_cmpx_lt_u32_e32 34, v0
	s_cbranch_execz .LBB122_299
; %bb.298:
	scratch_load_b64 v[120:121], off, off offset:272
	v_mov_b64_e32 v[122:123], 0
	scratch_store_b64 off, v[122:123], off offset:272
	s_wait_loadcnt 0x0
	ds_store_b64 v1, v[120:121]
.LBB122_299:
	s_wait_xcnt 0x0
	s_or_b32 exec_lo, exec_lo, s0
	s_wait_storecnt_dscnt 0x0
	s_barrier_signal -1
	s_barrier_wait -1
	s_clause 0xc
	scratch_load_b128 v[120:123], off, off offset:280
	scratch_load_b128 v[124:127], off, off offset:296
	;; [unrolled: 1-line block ×12, first 2 shown]
	scratch_load_b64 v[216:217], off, off offset:272
	ds_load_2addr_b64 v[168:171], v7 offset0:111 offset1:112
	ds_load_2addr_b64 v[172:175], v7 offset0:113 offset1:114
	;; [unrolled: 1-line block ×12, first 2 shown]
	s_mov_b32 s0, exec_lo
	s_wait_dscnt 0xb
	v_dual_mov_b32 v218, v171 :: v_dual_mov_b32 v219, v170
	s_wait_dscnt 0xa
	v_dual_mov_b32 v220, v175 :: v_dual_mov_b32 v221, v174
	;; [unrolled: 2-line block ×4, first 2 shown]
	s_wait_loadcnt_dscnt 0xc07
	v_dual_mul_f32 v7, v184, v121 :: v_dual_mul_f32 v9, v186, v123
	v_dual_mul_f32 v35, v185, v121 :: v_dual_mul_f32 v37, v187, v123
	s_wait_loadcnt_dscnt 0xb06
	v_dual_mul_f32 v11, v188, v125 :: v_dual_mul_f32 v13, v190, v127
	s_delay_alu instid0(VALU_DEP_3) | instskip(SKIP_3) | instid1(VALU_DEP_3)
	v_dual_fmac_f32 v7, v185, v120 :: v_dual_fmac_f32 v9, v187, v122
	s_wait_loadcnt_dscnt 0x904
	v_dual_fma_f32 v35, v184, v120, -v35 :: v_dual_mul_f32 v47, v197, v133
	v_dual_mul_f32 v39, v189, v125 :: v_dual_mul_f32 v41, v191, v127
	v_dual_fma_f32 v37, v186, v122, -v37 :: v_dual_add_f32 v7, 0, v7
	s_delay_alu instid0(VALU_DEP_3) | instskip(SKIP_1) | instid1(VALU_DEP_4)
	v_dual_add_f32 v35, 0, v35 :: v_dual_fmac_f32 v11, v189, v124
	v_dual_mul_f32 v15, v192, v129 :: v_dual_mul_f32 v17, v194, v131
	v_dual_mul_f32 v49, v199, v135 :: v_dual_fma_f32 v39, v188, v124, -v39
	s_delay_alu instid0(VALU_DEP_4) | instskip(NEXT) | instid1(VALU_DEP_3)
	v_add_f32_e32 v7, v7, v9
	v_dual_add_f32 v9, v35, v37 :: v_dual_fmac_f32 v15, v193, v128
	v_dual_mul_f32 v43, v193, v129 :: v_dual_mul_f32 v45, v195, v131
	s_wait_loadcnt_dscnt 0x803
	v_dual_mul_f32 v35, v201, v137 :: v_dual_fmac_f32 v13, v191, v126
	v_dual_fma_f32 v37, v190, v126, -v41 :: v_dual_add_f32 v7, v7, v11
	s_delay_alu instid0(VALU_DEP_3) | instskip(SKIP_1) | instid1(VALU_DEP_3)
	v_dual_add_f32 v9, v9, v39 :: v_dual_fma_f32 v39, v192, v128, -v43
	v_dual_mul_f32 v19, v196, v133 :: v_dual_mul_f32 v21, v198, v135
	v_add_f32_e32 v7, v7, v13
	s_delay_alu instid0(VALU_DEP_3) | instskip(SKIP_2) | instid1(VALU_DEP_3)
	v_dual_mul_f32 v11, v203, v139 :: v_dual_add_f32 v9, v9, v37
	s_wait_loadcnt_dscnt 0x702
	v_dual_mul_f32 v13, v205, v141 :: v_dual_fmac_f32 v17, v195, v130
	v_dual_fma_f32 v37, v194, v130, -v45 :: v_dual_add_f32 v7, v7, v15
	s_delay_alu instid0(VALU_DEP_3) | instskip(SKIP_1) | instid1(VALU_DEP_3)
	v_dual_add_f32 v9, v9, v39 :: v_dual_fma_f32 v39, v196, v132, -v47
	v_dual_mul_f32 v15, v207, v143 :: v_dual_fmac_f32 v19, v197, v132
	v_add_f32_e32 v7, v7, v17
	s_delay_alu instid0(VALU_DEP_3)
	v_dual_add_f32 v9, v9, v37 :: v_dual_fmac_f32 v21, v199, v134
	v_dual_mul_f32 v23, v200, v137 :: v_dual_mul_f32 v25, v202, v139
	s_wait_loadcnt_dscnt 0x601
	v_dual_fma_f32 v37, v198, v134, -v49 :: v_dual_mul_f32 v17, v209, v145
	v_add_f32_e32 v7, v7, v19
	v_dual_add_f32 v9, v9, v39 :: v_dual_fma_f32 v35, v200, v136, -v35
	v_dual_mul_f32 v19, v211, v147 :: v_dual_fmac_f32 v23, v201, v136
	s_delay_alu instid0(VALU_DEP_3) | instskip(NEXT) | instid1(VALU_DEP_3)
	v_dual_add_f32 v7, v7, v21 :: v_dual_fma_f32 v11, v202, v138, -v11
	v_dual_add_f32 v9, v9, v37 :: v_dual_fmac_f32 v25, v203, v138
	v_dual_mul_f32 v27, v204, v141 :: v_dual_mul_f32 v29, v206, v143
	s_wait_loadcnt_dscnt 0x500
	s_delay_alu instid0(VALU_DEP_3) | instskip(NEXT) | instid1(VALU_DEP_3)
	v_dual_mul_f32 v21, v213, v149 :: v_dual_add_f32 v7, v7, v23
	v_dual_add_f32 v9, v9, v35 :: v_dual_fma_f32 v13, v204, v140, -v13
	s_delay_alu instid0(VALU_DEP_3) | instskip(NEXT) | instid1(VALU_DEP_2)
	v_dual_mul_f32 v23, v215, v151 :: v_dual_fmac_f32 v27, v205, v140
	v_dual_add_f32 v7, v7, v25 :: v_dual_add_f32 v9, v9, v11
	v_dual_mul_f32 v31, v208, v145 :: v_dual_mul_f32 v33, v210, v147
	v_dual_fmac_f32 v29, v207, v142 :: v_dual_fma_f32 v11, v206, v142, -v15
	s_delay_alu instid0(VALU_DEP_3) | instskip(SKIP_1) | instid1(VALU_DEP_3)
	v_dual_add_f32 v7, v7, v27 :: v_dual_add_f32 v9, v9, v13
	s_wait_loadcnt 0x4
	v_dual_mov_b32 v122, v155 :: v_dual_fmac_f32 v31, v209, v144
	s_delay_alu instid0(VALU_DEP_2) | instskip(NEXT) | instid1(VALU_DEP_3)
	v_dual_fma_f32 v13, v208, v144, -v17 :: v_dual_add_f32 v7, v7, v29
	v_dual_add_f32 v9, v9, v11 :: v_dual_fmac_f32 v33, v211, v146
	v_dual_mul_f32 v227, v212, v149 :: v_dual_mul_f32 v229, v214, v151
	s_delay_alu instid0(VALU_DEP_3) | instskip(SKIP_1) | instid1(VALU_DEP_3)
	v_dual_fma_f32 v11, v210, v146, -v19 :: v_dual_add_f32 v7, v7, v31
	s_wait_loadcnt 0x3
	v_dual_add_f32 v9, v9, v13 :: v_dual_mov_b32 v126, v159
	v_pk_mul_f32 v[120:121], v[168:169], v[152:153] op_sel:[1,1] op_sel_hi:[0,1]
	v_dual_fmac_f32 v227, v213, v148 :: v_dual_fma_f32 v226, v212, v148, -v21
	s_delay_alu instid0(VALU_DEP_3) | instskip(SKIP_1) | instid1(VALU_DEP_4)
	v_dual_add_f32 v129, v7, v33 :: v_dual_add_f32 v128, v9, v11
	v_dual_fmac_f32 v229, v215, v150 :: v_dual_fma_f32 v228, v214, v150, -v23
	v_pk_fma_f32 v[130:131], v[168:169], v[152:153], v[120:121] op_sel_hi:[1,0,1]
	v_pk_mul_f32 v[122:123], v[218:219], v[122:123] op_sel_hi:[1,0]
	s_delay_alu instid0(VALU_DEP_4)
	v_pk_add_f32 v[128:129], v[128:129], v[226:227]
	v_pk_fma_f32 v[120:121], v[168:169], v[152:153], v[120:121] neg_lo:[0,0,1] neg_hi:[0,0,1]
	v_pk_mul_f32 v[124:125], v[172:173], v[156:157] op_sel:[1,1] op_sel_hi:[0,1]
	v_mov_b32_e32 v121, v131
	v_pk_fma_f32 v[130:131], v[170:171], v[154:155], v[122:123] op_sel_hi:[1,0,1]
	v_pk_add_f32 v[128:129], v[128:129], v[228:229]
	v_pk_fma_f32 v[122:123], v[170:171], v[154:155], v[122:123] neg_lo:[0,0,1] neg_hi:[0,0,1]
	v_pk_fma_f32 v[134:135], v[172:173], v[156:157], v[124:125] op_sel_hi:[1,0,1]
	v_pk_mul_f32 v[126:127], v[220:221], v[126:127] op_sel_hi:[1,0]
	v_mov_b32_e32 v123, v131
	v_pk_add_f32 v[120:121], v[128:129], v[120:121]
	s_wait_loadcnt 0x2
	v_pk_mul_f32 v[132:133], v[176:177], v[160:161] op_sel:[1,1] op_sel_hi:[0,1]
	v_mov_b32_e32 v128, v163
	v_pk_fma_f32 v[124:125], v[172:173], v[156:157], v[124:125] neg_lo:[0,0,1] neg_hi:[0,0,1]
	v_mov_b32_e32 v125, v135
	v_pk_fma_f32 v[130:131], v[174:175], v[158:159], v[126:127] op_sel_hi:[1,0,1]
	v_pk_add_f32 v[120:121], v[120:121], v[122:123]
	v_pk_fma_f32 v[122:123], v[176:177], v[160:161], v[132:133] op_sel_hi:[1,0,1]
	v_pk_mul_f32 v[128:129], v[222:223], v[128:129] op_sel_hi:[1,0]
	v_pk_fma_f32 v[126:127], v[174:175], v[158:159], v[126:127] neg_lo:[0,0,1] neg_hi:[0,0,1]
	v_mov_b32_e32 v127, v131
	v_pk_add_f32 v[120:121], v[120:121], v[124:125]
	v_pk_fma_f32 v[130:131], v[176:177], v[160:161], v[132:133] neg_lo:[0,0,1] neg_hi:[0,0,1]
	v_mov_b32_e32 v131, v123
	v_pk_fma_f32 v[122:123], v[178:179], v[162:163], v[128:129] op_sel_hi:[1,0,1]
	s_wait_loadcnt 0x1
	v_pk_mul_f32 v[124:125], v[180:181], v[164:165] op_sel:[1,1] op_sel_hi:[0,1]
	v_pk_add_f32 v[120:121], v[120:121], v[126:127]
	v_mov_b32_e32 v122, v167
	v_pk_fma_f32 v[128:129], v[178:179], v[162:163], v[128:129] neg_lo:[0,0,1] neg_hi:[0,0,1]
	v_mov_b32_e32 v129, v123
	v_pk_fma_f32 v[126:127], v[180:181], v[164:165], v[124:125] op_sel_hi:[1,0,1]
	v_pk_add_f32 v[120:121], v[120:121], v[130:131]
	v_pk_mul_f32 v[122:123], v[224:225], v[122:123] op_sel_hi:[1,0]
	v_pk_fma_f32 v[124:125], v[180:181], v[164:165], v[124:125] neg_lo:[0,0,1] neg_hi:[0,0,1]
	s_delay_alu instid0(VALU_DEP_4) | instskip(NEXT) | instid1(VALU_DEP_4)
	v_mov_b32_e32 v125, v127
	v_pk_add_f32 v[120:121], v[120:121], v[128:129]
	s_delay_alu instid0(VALU_DEP_4) | instskip(SKIP_1) | instid1(VALU_DEP_2)
	v_pk_fma_f32 v[126:127], v[182:183], v[166:167], v[122:123] op_sel_hi:[1,0,1]
	v_pk_fma_f32 v[122:123], v[182:183], v[166:167], v[122:123] neg_lo:[0,0,1] neg_hi:[0,0,1]
	v_mov_b32_e32 v123, v127
	s_delay_alu instid0(VALU_DEP_4) | instskip(NEXT) | instid1(VALU_DEP_1)
	v_pk_add_f32 v[120:121], v[120:121], v[124:125]
	v_pk_add_f32 v[120:121], v[120:121], v[122:123]
	s_wait_loadcnt 0x0
	s_delay_alu instid0(VALU_DEP_1)
	v_pk_add_f32 v[120:121], v[216:217], v[120:121] neg_lo:[0,1] neg_hi:[0,1]
	scratch_store_b64 off, v[120:121], off offset:272
	s_wait_xcnt 0x0
	v_cmpx_lt_u32_e32 33, v0
	s_cbranch_execz .LBB122_301
; %bb.300:
	scratch_load_b64 v[120:121], off, off offset:264
	v_mov_b64_e32 v[122:123], 0
	scratch_store_b64 off, v[122:123], off offset:264
	s_wait_loadcnt 0x0
	ds_store_b64 v1, v[120:121]
.LBB122_301:
	s_wait_xcnt 0x0
	s_or_b32 exec_lo, exec_lo, s0
	s_wait_storecnt_dscnt 0x0
	s_barrier_signal -1
	s_barrier_wait -1
	s_clause 0xd
	scratch_load_b128 v[120:123], off, off offset:272
	scratch_load_b128 v[124:127], off, off offset:288
	;; [unrolled: 1-line block ×12, first 2 shown]
	scratch_load_b64 v[216:217], off, off offset:464
	scratch_load_b64 v[218:219], off, off offset:264
	v_mov_b32_e32 v7, 0
	ds_load_b128 v[168:171], v7 offset:880
	ds_load_b128 v[172:175], v7 offset:896
	;; [unrolled: 1-line block ×12, first 2 shown]
	ds_load_b64 v[220:221], v7 offset:944
	s_mov_b32 s0, exec_lo
	s_wait_dscnt 0xc
	v_dual_mov_b32 v222, v171 :: v_dual_mov_b32 v223, v170
	s_wait_dscnt 0x9
	v_dual_mov_b32 v224, v175 :: v_dual_mov_b32 v229, v182
	v_dual_mov_b32 v225, v174 :: v_dual_mov_b32 v226, v179
	;; [unrolled: 1-line block ×3, first 2 shown]
	s_wait_loadcnt_dscnt 0xd08
	v_dual_mul_f32 v9, v184, v121 :: v_dual_mul_f32 v39, v185, v121
	v_dual_mul_f32 v41, v187, v123 :: v_dual_mul_f32 v11, v186, v123
	s_wait_loadcnt_dscnt 0xc07
	v_mul_f32_e32 v13, v188, v125
	s_wait_loadcnt_dscnt 0xa05
	v_dual_mul_f32 v51, v197, v133 :: v_dual_fma_f32 v39, v184, v120, -v39
	v_dual_fmac_f32 v9, v185, v120 :: v_dual_mul_f32 v53, v199, v135
	v_dual_mul_f32 v43, v189, v125 :: v_dual_mul_f32 v45, v191, v127
	v_dual_fmac_f32 v11, v187, v122 :: v_dual_fma_f32 v41, v186, v122, -v41
	s_delay_alu instid0(VALU_DEP_3) | instskip(SKIP_4) | instid1(VALU_DEP_3)
	v_dual_add_f32 v9, 0, v9 :: v_dual_add_f32 v39, 0, v39
	v_dual_mul_f32 v15, v190, v127 :: v_dual_mul_f32 v17, v192, v129
	s_wait_loadcnt_dscnt 0x904
	v_dual_mul_f32 v55, v201, v137 :: v_dual_fma_f32 v43, v188, v124, -v43
	v_fmac_f32_e32 v13, v189, v124
	v_dual_add_f32 v9, v9, v11 :: v_dual_fmac_f32 v15, v191, v126
	v_add_f32_e32 v11, v39, v41
	v_dual_mul_f32 v47, v193, v129 :: v_dual_mul_f32 v49, v195, v131
	v_dual_mul_f32 v39, v203, v139 :: v_dual_fma_f32 v41, v190, v126, -v45
	s_delay_alu instid0(VALU_DEP_3) | instskip(SKIP_3) | instid1(VALU_DEP_3)
	v_dual_add_f32 v9, v9, v13 :: v_dual_add_f32 v11, v11, v43
	v_dual_mul_f32 v19, v194, v131 :: v_dual_mul_f32 v21, v196, v133
	s_wait_loadcnt_dscnt 0x803
	v_dual_mul_f32 v13, v205, v141 :: v_dual_fma_f32 v43, v192, v128, -v47
	v_dual_fmac_f32 v17, v193, v128 :: v_dual_add_f32 v11, v11, v41
	s_delay_alu instid0(VALU_DEP_3) | instskip(SKIP_1) | instid1(VALU_DEP_2)
	v_dual_add_f32 v9, v9, v15 :: v_dual_fmac_f32 v19, v195, v130
	v_dual_mul_f32 v15, v207, v143 :: v_dual_fma_f32 v41, v194, v130, -v49
	v_dual_add_f32 v11, v11, v43 :: v_dual_add_f32 v9, v9, v17
	v_dual_mul_f32 v23, v198, v135 :: v_dual_mul_f32 v25, v200, v137
	s_wait_loadcnt_dscnt 0x702
	v_dual_mul_f32 v17, v209, v145 :: v_dual_fma_f32 v43, v196, v132, -v51
	s_delay_alu instid0(VALU_DEP_3) | instskip(NEXT) | instid1(VALU_DEP_3)
	v_dual_fmac_f32 v21, v197, v132 :: v_dual_add_f32 v11, v11, v41
	v_dual_add_f32 v9, v9, v19 :: v_dual_fmac_f32 v23, v199, v134
	v_dual_mul_f32 v19, v211, v147 :: v_dual_fma_f32 v41, v198, v134, -v53
	s_delay_alu instid0(VALU_DEP_2) | instskip(SKIP_3) | instid1(VALU_DEP_3)
	v_dual_add_f32 v11, v11, v43 :: v_dual_add_f32 v9, v9, v21
	v_dual_mul_f32 v27, v202, v139 :: v_dual_mul_f32 v29, v204, v141
	s_wait_loadcnt_dscnt 0x601
	v_dual_mul_f32 v21, v213, v149 :: v_dual_fma_f32 v43, v200, v136, -v55
	v_dual_fmac_f32 v25, v201, v136 :: v_dual_add_f32 v11, v11, v41
	s_delay_alu instid0(VALU_DEP_3) | instskip(SKIP_1) | instid1(VALU_DEP_2)
	v_dual_add_f32 v9, v9, v23 :: v_dual_fmac_f32 v27, v203, v138
	v_dual_mul_f32 v23, v215, v151 :: v_dual_fma_f32 v39, v202, v138, -v39
	v_dual_add_f32 v11, v11, v43 :: v_dual_add_f32 v9, v9, v25
	v_dual_mul_f32 v31, v206, v143 :: v_dual_mul_f32 v33, v208, v145
	s_wait_loadcnt 0x5
	v_dual_mul_f32 v25, v169, v153 :: v_dual_fma_f32 v13, v204, v140, -v13
	s_delay_alu instid0(VALU_DEP_3) | instskip(SKIP_2) | instid1(VALU_DEP_3)
	v_dual_fmac_f32 v29, v205, v140 :: v_dual_add_f32 v11, v11, v39
	v_dual_add_f32 v9, v9, v27 :: v_dual_mov_b32 v120, v155
	v_fmac_f32_e32 v31, v207, v142
	v_dual_fma_f32 v15, v206, v142, -v15 :: v_dual_add_f32 v11, v11, v13
	s_delay_alu instid0(VALU_DEP_3) | instskip(SKIP_1) | instid1(VALU_DEP_3)
	v_dual_add_f32 v9, v9, v29 :: v_dual_mul_f32 v35, v210, v147
	v_dual_mul_f32 v37, v212, v149 :: v_dual_fmac_f32 v33, v209, v144
	v_dual_add_f32 v11, v11, v15 :: v_dual_fma_f32 v13, v208, v144, -v17
	s_wait_loadcnt 0x4
	s_delay_alu instid0(VALU_DEP_3) | instskip(SKIP_3) | instid1(VALU_DEP_4)
	v_dual_add_f32 v9, v9, v31 :: v_dual_mov_b32 v124, v159
	v_fma_f32 v15, v210, v146, -v19
	v_fmac_f32_e32 v35, v211, v146
	v_dual_add_f32 v11, v11, v13 :: v_dual_fmac_f32 v37, v213, v148
	v_dual_add_f32 v9, v9, v33 :: v_dual_mul_f32 v231, v214, v151
	v_mul_f32_e32 v233, v168, v153
	s_delay_alu instid0(VALU_DEP_3) | instskip(NEXT) | instid1(VALU_DEP_3)
	v_dual_fma_f32 v13, v212, v148, -v21 :: v_dual_add_f32 v11, v11, v15
	v_dual_fma_f32 v230, v214, v150, -v23 :: v_dual_add_f32 v9, v9, v35
	s_delay_alu instid0(VALU_DEP_4) | instskip(SKIP_1) | instid1(VALU_DEP_4)
	v_fmac_f32_e32 v231, v215, v150
	v_pk_mul_f32 v[120:121], v[222:223], v[120:121] op_sel_hi:[1,0]
	v_dual_add_f32 v128, v11, v13 :: v_dual_fmac_f32 v233, v169, v152
	s_delay_alu instid0(VALU_DEP_4)
	v_add_f32_e32 v129, v9, v37
	v_pk_mul_f32 v[122:123], v[172:173], v[156:157] op_sel:[1,1] op_sel_hi:[0,1]
	s_wait_loadcnt 0x3
	v_dual_mov_b32 v130, v163 :: v_dual_fma_f32 v232, v168, v152, -v25
	v_pk_fma_f32 v[132:133], v[170:171], v[154:155], v[120:121] op_sel_hi:[1,0,1]
	v_pk_add_f32 v[128:129], v[128:129], v[230:231]
	v_pk_fma_f32 v[120:121], v[170:171], v[154:155], v[120:121] neg_lo:[0,0,1] neg_hi:[0,0,1]
	v_pk_fma_f32 v[134:135], v[172:173], v[156:157], v[122:123] op_sel_hi:[1,0,1]
	v_pk_mul_f32 v[124:125], v[224:225], v[124:125] op_sel_hi:[1,0]
	v_mov_b32_e32 v121, v133
	v_pk_add_f32 v[128:129], v[128:129], v[232:233]
	v_pk_fma_f32 v[122:123], v[172:173], v[156:157], v[122:123] neg_lo:[0,0,1] neg_hi:[0,0,1]
	v_pk_mul_f32 v[126:127], v[176:177], v[160:161] op_sel:[1,1] op_sel_hi:[0,1]
	v_mov_b32_e32 v123, v135
	v_pk_fma_f32 v[134:135], v[174:175], v[158:159], v[124:125] op_sel_hi:[1,0,1]
	v_pk_add_f32 v[120:121], v[128:129], v[120:121]
	v_pk_fma_f32 v[124:125], v[174:175], v[158:159], v[124:125] neg_lo:[0,0,1] neg_hi:[0,0,1]
	v_pk_fma_f32 v[128:129], v[176:177], v[160:161], v[126:127] op_sel_hi:[1,0,1]
	v_pk_mul_f32 v[130:131], v[226:227], v[130:131] op_sel_hi:[1,0]
	v_mov_b32_e32 v125, v135
	v_pk_add_f32 v[120:121], v[120:121], v[122:123]
	v_pk_fma_f32 v[126:127], v[176:177], v[160:161], v[126:127] neg_lo:[0,0,1] neg_hi:[0,0,1]
	s_wait_loadcnt 0x2
	v_pk_mul_f32 v[132:133], v[180:181], v[164:165] op_sel:[1,1] op_sel_hi:[0,1]
	v_dual_mov_b32 v122, v167 :: v_dual_mov_b32 v127, v129
	v_pk_fma_f32 v[128:129], v[178:179], v[162:163], v[130:131] op_sel_hi:[1,0,1]
	v_pk_add_f32 v[120:121], v[120:121], v[124:125]
	v_pk_fma_f32 v[130:131], v[178:179], v[162:163], v[130:131] neg_lo:[0,0,1] neg_hi:[0,0,1]
	v_pk_fma_f32 v[124:125], v[180:181], v[164:165], v[132:133] op_sel_hi:[1,0,1]
	v_pk_mul_f32 v[122:123], v[228:229], v[122:123] op_sel_hi:[1,0]
	v_mov_b32_e32 v131, v129
	v_pk_add_f32 v[120:121], v[120:121], v[126:127]
	v_pk_fma_f32 v[126:127], v[180:181], v[164:165], v[132:133] neg_lo:[0,0,1] neg_hi:[0,0,1]
	v_mov_b32_e32 v127, v125
	v_pk_fma_f32 v[124:125], v[182:183], v[166:167], v[122:123] op_sel_hi:[1,0,1]
	s_wait_loadcnt_dscnt 0x100
	v_pk_mul_f32 v[128:129], v[220:221], v[216:217] op_sel:[1,1] op_sel_hi:[0,1]
	v_pk_add_f32 v[120:121], v[120:121], v[130:131]
	v_pk_fma_f32 v[122:123], v[182:183], v[166:167], v[122:123] neg_lo:[0,0,1] neg_hi:[0,0,1]
	v_mov_b32_e32 v123, v125
	s_delay_alu instid0(VALU_DEP_4) | instskip(NEXT) | instid1(VALU_DEP_4)
	v_pk_fma_f32 v[124:125], v[220:221], v[216:217], v[128:129] op_sel_hi:[1,0,1]
	v_pk_add_f32 v[120:121], v[120:121], v[126:127]
	v_pk_fma_f32 v[126:127], v[220:221], v[216:217], v[128:129] neg_lo:[0,0,1] neg_hi:[0,0,1]
	s_delay_alu instid0(VALU_DEP_3) | instskip(NEXT) | instid1(VALU_DEP_3)
	v_mov_b32_e32 v127, v125
	v_pk_add_f32 v[120:121], v[120:121], v[122:123]
	s_delay_alu instid0(VALU_DEP_1) | instskip(SKIP_1) | instid1(VALU_DEP_1)
	v_pk_add_f32 v[120:121], v[120:121], v[126:127]
	s_wait_loadcnt 0x0
	v_pk_add_f32 v[120:121], v[218:219], v[120:121] neg_lo:[0,1] neg_hi:[0,1]
	scratch_store_b64 off, v[120:121], off offset:264
	s_wait_xcnt 0x0
	v_cmpx_lt_u32_e32 32, v0
	s_cbranch_execz .LBB122_303
; %bb.302:
	scratch_load_b64 v[120:121], off, off offset:256
	v_mov_b64_e32 v[122:123], 0
	scratch_store_b64 off, v[122:123], off offset:256
	s_wait_loadcnt 0x0
	ds_store_b64 v1, v[120:121]
.LBB122_303:
	s_wait_xcnt 0x0
	s_or_b32 exec_lo, exec_lo, s0
	s_wait_storecnt_dscnt 0x0
	s_barrier_signal -1
	s_barrier_wait -1
	s_clause 0xd
	scratch_load_b128 v[120:123], off, off offset:264
	scratch_load_b128 v[124:127], off, off offset:280
	;; [unrolled: 1-line block ×13, first 2 shown]
	scratch_load_b64 v[224:225], off, off offset:256
	ds_load_2addr_b64 v[172:175], v7 offset0:111 offset1:112
	ds_load_2addr_b64 v[176:179], v7 offset0:113 offset1:114
	;; [unrolled: 1-line block ×13, first 2 shown]
	s_mov_b32 s0, exec_lo
	s_wait_dscnt 0xc
	v_dual_mov_b32 v226, v175 :: v_dual_mov_b32 v227, v174
	s_wait_dscnt 0xb
	v_dual_mov_b32 v228, v179 :: v_dual_mov_b32 v229, v178
	;; [unrolled: 2-line block ×4, first 2 shown]
	s_wait_loadcnt_dscnt 0xd08
	v_dual_mul_f32 v7, v188, v121 :: v_dual_mul_f32 v9, v190, v123
	v_dual_mul_f32 v39, v189, v121 :: v_dual_mul_f32 v41, v191, v123
	s_wait_loadcnt_dscnt 0xc07
	v_dual_mul_f32 v11, v192, v125 :: v_dual_mul_f32 v13, v194, v127
	s_delay_alu instid0(VALU_DEP_3) | instskip(SKIP_3) | instid1(VALU_DEP_3)
	v_dual_fmac_f32 v7, v189, v120 :: v_dual_fmac_f32 v9, v191, v122
	s_wait_loadcnt_dscnt 0xa05
	v_dual_fma_f32 v39, v188, v120, -v39 :: v_dual_mul_f32 v51, v201, v133
	v_dual_mul_f32 v43, v193, v125 :: v_dual_mul_f32 v45, v195, v127
	v_dual_fma_f32 v41, v190, v122, -v41 :: v_dual_add_f32 v7, 0, v7
	s_delay_alu instid0(VALU_DEP_3) | instskip(SKIP_1) | instid1(VALU_DEP_4)
	v_dual_add_f32 v39, 0, v39 :: v_dual_fmac_f32 v11, v193, v124
	v_dual_mul_f32 v15, v196, v129 :: v_dual_mul_f32 v17, v198, v131
	v_dual_mul_f32 v53, v203, v135 :: v_dual_fma_f32 v43, v192, v124, -v43
	s_delay_alu instid0(VALU_DEP_4) | instskip(NEXT) | instid1(VALU_DEP_3)
	v_add_f32_e32 v7, v7, v9
	v_dual_add_f32 v9, v39, v41 :: v_dual_fmac_f32 v15, v197, v128
	v_dual_mul_f32 v47, v197, v129 :: v_dual_mul_f32 v49, v199, v131
	s_wait_loadcnt_dscnt 0x903
	v_dual_mul_f32 v39, v209, v137 :: v_dual_fmac_f32 v13, v195, v126
	v_dual_fma_f32 v41, v194, v126, -v45 :: v_dual_add_f32 v7, v7, v11
	s_delay_alu instid0(VALU_DEP_3) | instskip(SKIP_1) | instid1(VALU_DEP_3)
	v_dual_add_f32 v9, v9, v43 :: v_dual_fma_f32 v43, v196, v128, -v47
	v_dual_mul_f32 v19, v200, v133 :: v_dual_mul_f32 v21, v202, v135
	v_add_f32_e32 v7, v7, v13
	s_delay_alu instid0(VALU_DEP_3) | instskip(SKIP_2) | instid1(VALU_DEP_3)
	v_dual_mul_f32 v11, v211, v139 :: v_dual_add_f32 v9, v9, v41
	s_wait_loadcnt_dscnt 0x802
	v_dual_mul_f32 v13, v213, v141 :: v_dual_fmac_f32 v17, v199, v130
	v_dual_fma_f32 v41, v198, v130, -v49 :: v_dual_add_f32 v7, v7, v15
	s_delay_alu instid0(VALU_DEP_3) | instskip(SKIP_1) | instid1(VALU_DEP_3)
	v_dual_add_f32 v9, v9, v43 :: v_dual_fma_f32 v43, v200, v132, -v51
	v_dual_mul_f32 v15, v215, v143 :: v_dual_fmac_f32 v19, v201, v132
	v_add_f32_e32 v7, v7, v17
	s_delay_alu instid0(VALU_DEP_3)
	v_dual_add_f32 v9, v9, v41 :: v_dual_fmac_f32 v21, v203, v134
	v_dual_mul_f32 v23, v208, v137 :: v_dual_mul_f32 v25, v210, v139
	s_wait_loadcnt_dscnt 0x701
	v_dual_fma_f32 v41, v202, v134, -v53 :: v_dual_mul_f32 v17, v217, v145
	v_add_f32_e32 v7, v7, v19
	v_dual_add_f32 v9, v9, v43 :: v_dual_fma_f32 v39, v208, v136, -v39
	v_dual_mul_f32 v19, v219, v147 :: v_dual_fmac_f32 v23, v209, v136
	s_delay_alu instid0(VALU_DEP_3) | instskip(NEXT) | instid1(VALU_DEP_3)
	v_dual_add_f32 v7, v7, v21 :: v_dual_fma_f32 v11, v210, v138, -v11
	v_dual_add_f32 v9, v9, v41 :: v_dual_fmac_f32 v25, v211, v138
	v_dual_mul_f32 v27, v212, v141 :: v_dual_mul_f32 v29, v214, v143
	s_wait_loadcnt_dscnt 0x600
	s_delay_alu instid0(VALU_DEP_3) | instskip(NEXT) | instid1(VALU_DEP_3)
	v_dual_mul_f32 v21, v221, v149 :: v_dual_add_f32 v7, v7, v23
	v_dual_add_f32 v9, v9, v39 :: v_dual_fma_f32 v13, v212, v140, -v13
	s_delay_alu instid0(VALU_DEP_3) | instskip(NEXT) | instid1(VALU_DEP_2)
	v_dual_mul_f32 v23, v223, v151 :: v_dual_fmac_f32 v27, v213, v140
	v_dual_add_f32 v7, v7, v25 :: v_dual_add_f32 v9, v9, v11
	v_dual_mul_f32 v31, v216, v145 :: v_dual_mul_f32 v33, v218, v147
	s_wait_loadcnt 0x5
	v_dual_mul_f32 v11, v205, v153 :: v_dual_fmac_f32 v29, v215, v142
	s_delay_alu instid0(VALU_DEP_3) | instskip(SKIP_2) | instid1(VALU_DEP_2)
	v_dual_fma_f32 v15, v214, v142, -v15 :: v_dual_add_f32 v7, v7, v27
	v_dual_add_f32 v9, v9, v13 :: v_dual_mul_f32 v13, v207, v155
	v_dual_fmac_f32 v31, v217, v144 :: v_dual_fma_f32 v17, v216, v144, -v17
	v_dual_add_f32 v7, v7, v29 :: v_dual_add_f32 v9, v9, v15
	v_dual_mul_f32 v35, v220, v149 :: v_dual_mul_f32 v37, v222, v151
	v_dual_fmac_f32 v33, v219, v146 :: v_dual_fma_f32 v15, v218, v146, -v19
	s_delay_alu instid0(VALU_DEP_3) | instskip(SKIP_1) | instid1(VALU_DEP_3)
	v_dual_add_f32 v7, v7, v31 :: v_dual_add_f32 v9, v9, v17
	s_wait_loadcnt 0x4
	v_dual_mov_b32 v122, v159 :: v_dual_fmac_f32 v35, v221, v148
	s_delay_alu instid0(VALU_DEP_2) | instskip(NEXT) | instid1(VALU_DEP_3)
	v_dual_fma_f32 v17, v220, v148, -v21 :: v_dual_add_f32 v7, v7, v33
	v_dual_add_f32 v9, v9, v15 :: v_dual_fmac_f32 v37, v223, v150
	v_dual_mul_f32 v235, v204, v153 :: v_dual_mul_f32 v237, v206, v155
	s_delay_alu instid0(VALU_DEP_3) | instskip(SKIP_1) | instid1(VALU_DEP_3)
	v_dual_fma_f32 v15, v222, v150, -v23 :: v_dual_add_f32 v7, v7, v35
	s_wait_loadcnt 0x3
	v_dual_add_f32 v9, v9, v17 :: v_dual_mov_b32 v126, v163
	v_pk_mul_f32 v[120:121], v[172:173], v[156:157] op_sel:[1,1] op_sel_hi:[0,1]
	s_delay_alu instid0(VALU_DEP_3) | instskip(NEXT) | instid1(VALU_DEP_3)
	v_dual_fmac_f32 v235, v205, v152 :: v_dual_add_f32 v129, v7, v37
	v_dual_fma_f32 v234, v204, v152, -v11 :: v_dual_add_f32 v128, v9, v15
	v_fmac_f32_e32 v237, v207, v154
	s_delay_alu instid0(VALU_DEP_4)
	v_pk_fma_f32 v[130:131], v[172:173], v[156:157], v[120:121] op_sel_hi:[1,0,1]
	v_fma_f32 v236, v206, v154, -v13
	v_pk_mul_f32 v[122:123], v[226:227], v[122:123] op_sel_hi:[1,0]
	v_pk_add_f32 v[128:129], v[128:129], v[234:235]
	v_pk_fma_f32 v[120:121], v[172:173], v[156:157], v[120:121] neg_lo:[0,0,1] neg_hi:[0,0,1]
	v_pk_mul_f32 v[124:125], v[176:177], v[160:161] op_sel:[1,1] op_sel_hi:[0,1]
	v_mov_b32_e32 v121, v131
	v_pk_fma_f32 v[130:131], v[174:175], v[158:159], v[122:123] op_sel_hi:[1,0,1]
	v_pk_add_f32 v[128:129], v[128:129], v[236:237]
	v_pk_fma_f32 v[122:123], v[174:175], v[158:159], v[122:123] neg_lo:[0,0,1] neg_hi:[0,0,1]
	v_pk_fma_f32 v[134:135], v[176:177], v[160:161], v[124:125] op_sel_hi:[1,0,1]
	v_pk_mul_f32 v[126:127], v[228:229], v[126:127] op_sel_hi:[1,0]
	v_mov_b32_e32 v123, v131
	v_pk_add_f32 v[120:121], v[128:129], v[120:121]
	s_wait_loadcnt 0x2
	v_pk_mul_f32 v[132:133], v[180:181], v[164:165] op_sel:[1,1] op_sel_hi:[0,1]
	v_mov_b32_e32 v128, v167
	v_pk_fma_f32 v[124:125], v[176:177], v[160:161], v[124:125] neg_lo:[0,0,1] neg_hi:[0,0,1]
	v_pk_fma_f32 v[130:131], v[178:179], v[162:163], v[126:127] op_sel_hi:[1,0,1]
	v_mov_b32_e32 v125, v135
	v_pk_add_f32 v[120:121], v[120:121], v[122:123]
	v_pk_fma_f32 v[122:123], v[180:181], v[164:165], v[132:133] op_sel_hi:[1,0,1]
	v_pk_mul_f32 v[128:129], v[230:231], v[128:129] op_sel_hi:[1,0]
	v_pk_fma_f32 v[126:127], v[178:179], v[162:163], v[126:127] neg_lo:[0,0,1] neg_hi:[0,0,1]
	v_mov_b32_e32 v127, v131
	v_pk_add_f32 v[120:121], v[120:121], v[124:125]
	v_pk_fma_f32 v[130:131], v[180:181], v[164:165], v[132:133] neg_lo:[0,0,1] neg_hi:[0,0,1]
	v_mov_b32_e32 v131, v123
	v_pk_fma_f32 v[122:123], v[182:183], v[166:167], v[128:129] op_sel_hi:[1,0,1]
	s_wait_loadcnt 0x1
	v_pk_mul_f32 v[124:125], v[184:185], v[168:169] op_sel:[1,1] op_sel_hi:[0,1]
	v_pk_add_f32 v[120:121], v[120:121], v[126:127]
	v_mov_b32_e32 v122, v171
	v_pk_fma_f32 v[128:129], v[182:183], v[166:167], v[128:129] neg_lo:[0,0,1] neg_hi:[0,0,1]
	s_delay_alu instid0(VALU_DEP_4)
	v_pk_fma_f32 v[126:127], v[184:185], v[168:169], v[124:125] op_sel_hi:[1,0,1]
	v_mov_b32_e32 v129, v123
	v_pk_add_f32 v[120:121], v[120:121], v[130:131]
	v_pk_mul_f32 v[122:123], v[232:233], v[122:123] op_sel_hi:[1,0]
	v_pk_fma_f32 v[124:125], v[184:185], v[168:169], v[124:125] neg_lo:[0,0,1] neg_hi:[0,0,1]
	v_mov_b32_e32 v125, v127
	s_delay_alu instid0(VALU_DEP_4) | instskip(NEXT) | instid1(VALU_DEP_4)
	v_pk_add_f32 v[120:121], v[120:121], v[128:129]
	v_pk_fma_f32 v[126:127], v[186:187], v[170:171], v[122:123] op_sel_hi:[1,0,1]
	v_pk_fma_f32 v[122:123], v[186:187], v[170:171], v[122:123] neg_lo:[0,0,1] neg_hi:[0,0,1]
	s_delay_alu instid0(VALU_DEP_3) | instskip(NEXT) | instid1(VALU_DEP_3)
	v_pk_add_f32 v[120:121], v[120:121], v[124:125]
	v_mov_b32_e32 v123, v127
	s_delay_alu instid0(VALU_DEP_1) | instskip(SKIP_1) | instid1(VALU_DEP_1)
	v_pk_add_f32 v[120:121], v[120:121], v[122:123]
	s_wait_loadcnt 0x0
	v_pk_add_f32 v[120:121], v[224:225], v[120:121] neg_lo:[0,1] neg_hi:[0,1]
	scratch_store_b64 off, v[120:121], off offset:256
	s_wait_xcnt 0x0
	v_cmpx_lt_u32_e32 31, v0
	s_cbranch_execz .LBB122_305
; %bb.304:
	scratch_load_b64 v[120:121], off, off offset:248
	v_mov_b64_e32 v[122:123], 0
	scratch_store_b64 off, v[122:123], off offset:248
	s_wait_loadcnt 0x0
	ds_store_b64 v1, v[120:121]
.LBB122_305:
	s_wait_xcnt 0x0
	s_or_b32 exec_lo, exec_lo, s0
	s_wait_storecnt_dscnt 0x0
	s_barrier_signal -1
	s_barrier_wait -1
	s_clause 0xe
	scratch_load_b128 v[120:123], off, off offset:256
	scratch_load_b128 v[124:127], off, off offset:272
	;; [unrolled: 1-line block ×13, first 2 shown]
	scratch_load_b64 v[224:225], off, off offset:464
	scratch_load_b64 v[226:227], off, off offset:248
	v_mov_b32_e32 v7, 0
	ds_load_b128 v[172:175], v7 offset:880
	ds_load_b128 v[176:179], v7 offset:896
	;; [unrolled: 1-line block ×13, first 2 shown]
	ds_load_b64 v[228:229], v7 offset:944
	s_mov_b32 s0, exec_lo
	s_wait_dscnt 0xd
	v_dual_mov_b32 v230, v175 :: v_dual_mov_b32 v231, v174
	s_wait_dscnt 0xa
	v_dual_mov_b32 v232, v179 :: v_dual_mov_b32 v237, v186
	v_dual_mov_b32 v233, v178 :: v_dual_mov_b32 v234, v183
	;; [unrolled: 1-line block ×3, first 2 shown]
	s_wait_loadcnt_dscnt 0xe09
	v_dual_mul_f32 v9, v188, v121 :: v_dual_mul_f32 v43, v189, v121
	v_dual_mul_f32 v45, v191, v123 :: v_dual_mul_f32 v11, v190, v123
	s_wait_loadcnt_dscnt 0xd08
	v_mul_f32_e32 v13, v192, v125
	s_wait_loadcnt_dscnt 0xb05
	v_dual_mul_f32 v55, v205, v133 :: v_dual_fma_f32 v43, v188, v120, -v43
	v_dual_fmac_f32 v9, v189, v120 :: v_dual_mul_f32 v57, v207, v135
	v_dual_mul_f32 v47, v193, v125 :: v_dual_mul_f32 v49, v195, v127
	v_dual_fmac_f32 v11, v191, v122 :: v_dual_fma_f32 v45, v190, v122, -v45
	s_delay_alu instid0(VALU_DEP_3) | instskip(SKIP_4) | instid1(VALU_DEP_3)
	v_dual_add_f32 v9, 0, v9 :: v_dual_add_f32 v43, 0, v43
	v_dual_mul_f32 v15, v194, v127 :: v_dual_mul_f32 v17, v196, v129
	s_wait_loadcnt_dscnt 0xa04
	v_dual_mul_f32 v59, v209, v137 :: v_dual_fma_f32 v47, v192, v124, -v47
	v_fmac_f32_e32 v13, v193, v124
	v_dual_add_f32 v9, v9, v11 :: v_dual_fmac_f32 v15, v195, v126
	v_add_f32_e32 v11, v43, v45
	v_dual_mul_f32 v51, v197, v129 :: v_dual_mul_f32 v53, v199, v131
	v_dual_mul_f32 v43, v211, v139 :: v_dual_fma_f32 v45, v194, v126, -v49
	s_delay_alu instid0(VALU_DEP_3) | instskip(SKIP_3) | instid1(VALU_DEP_3)
	v_dual_add_f32 v9, v9, v13 :: v_dual_add_f32 v11, v11, v47
	v_dual_mul_f32 v19, v198, v131 :: v_dual_mul_f32 v21, v204, v133
	s_wait_loadcnt_dscnt 0x903
	v_dual_mul_f32 v13, v213, v141 :: v_dual_fma_f32 v47, v196, v128, -v51
	v_dual_fmac_f32 v17, v197, v128 :: v_dual_add_f32 v11, v11, v45
	s_delay_alu instid0(VALU_DEP_3) | instskip(SKIP_1) | instid1(VALU_DEP_2)
	v_dual_add_f32 v9, v9, v15 :: v_dual_fmac_f32 v19, v199, v130
	v_dual_mul_f32 v15, v215, v143 :: v_dual_fma_f32 v45, v198, v130, -v53
	v_dual_add_f32 v11, v11, v47 :: v_dual_add_f32 v9, v9, v17
	v_dual_mul_f32 v23, v206, v135 :: v_dual_mul_f32 v25, v208, v137
	s_wait_loadcnt_dscnt 0x802
	v_dual_mul_f32 v17, v217, v145 :: v_dual_fma_f32 v47, v204, v132, -v55
	s_delay_alu instid0(VALU_DEP_3) | instskip(NEXT) | instid1(VALU_DEP_3)
	v_dual_fmac_f32 v21, v205, v132 :: v_dual_add_f32 v11, v11, v45
	v_dual_add_f32 v9, v9, v19 :: v_dual_fmac_f32 v23, v207, v134
	v_dual_mul_f32 v19, v219, v147 :: v_dual_fma_f32 v45, v206, v134, -v57
	s_delay_alu instid0(VALU_DEP_2) | instskip(SKIP_3) | instid1(VALU_DEP_3)
	v_dual_add_f32 v11, v11, v47 :: v_dual_add_f32 v9, v9, v21
	v_dual_mul_f32 v27, v210, v139 :: v_dual_mul_f32 v29, v212, v141
	s_wait_loadcnt_dscnt 0x701
	v_dual_mul_f32 v21, v221, v149 :: v_dual_fma_f32 v47, v208, v136, -v59
	v_dual_fmac_f32 v25, v209, v136 :: v_dual_add_f32 v11, v11, v45
	s_delay_alu instid0(VALU_DEP_3) | instskip(SKIP_1) | instid1(VALU_DEP_2)
	v_dual_add_f32 v9, v9, v23 :: v_dual_fmac_f32 v27, v211, v138
	v_dual_mul_f32 v23, v223, v151 :: v_dual_fma_f32 v43, v210, v138, -v43
	v_dual_add_f32 v11, v11, v47 :: v_dual_add_f32 v9, v9, v25
	v_dual_mul_f32 v31, v214, v143 :: v_dual_mul_f32 v33, v216, v145
	s_wait_loadcnt 0x6
	v_dual_mul_f32 v25, v201, v153 :: v_dual_fma_f32 v13, v212, v140, -v13
	s_delay_alu instid0(VALU_DEP_3) | instskip(NEXT) | instid1(VALU_DEP_3)
	v_dual_fmac_f32 v29, v213, v140 :: v_dual_add_f32 v11, v11, v43
	v_dual_add_f32 v9, v9, v27 :: v_dual_fmac_f32 v31, v215, v142
	v_dual_mul_f32 v27, v203, v155 :: v_dual_fma_f32 v15, v214, v142, -v15
	s_delay_alu instid0(VALU_DEP_3) | instskip(NEXT) | instid1(VALU_DEP_3)
	v_dual_add_f32 v11, v11, v13 :: v_dual_fmac_f32 v33, v217, v144
	v_dual_add_f32 v9, v9, v29 :: v_dual_fma_f32 v17, v216, v144, -v17
	v_dual_mul_f32 v35, v218, v147 :: v_dual_mul_f32 v37, v220, v149
	s_wait_loadcnt 0x5
	s_delay_alu instid0(VALU_DEP_3) | instskip(NEXT) | instid1(VALU_DEP_3)
	v_dual_mul_f32 v13, v173, v157 :: v_dual_add_f32 v11, v11, v15
	v_dual_add_f32 v9, v9, v31 :: v_dual_mov_b32 v120, v159
	s_delay_alu instid0(VALU_DEP_3) | instskip(NEXT) | instid1(VALU_DEP_3)
	v_fmac_f32_e32 v35, v219, v146
	v_dual_fma_f32 v15, v218, v146, -v19 :: v_dual_add_f32 v11, v11, v17
	s_delay_alu instid0(VALU_DEP_3) | instskip(SKIP_1) | instid1(VALU_DEP_3)
	v_dual_add_f32 v9, v9, v33 :: v_dual_mul_f32 v39, v222, v151
	v_dual_mul_f32 v41, v200, v153 :: v_dual_fmac_f32 v37, v221, v148
	v_dual_add_f32 v11, v11, v15 :: v_dual_fma_f32 v17, v220, v148, -v21
	s_wait_loadcnt 0x4
	s_delay_alu instid0(VALU_DEP_3) | instskip(SKIP_3) | instid1(VALU_DEP_4)
	v_dual_add_f32 v9, v9, v35 :: v_dual_mov_b32 v124, v163
	v_fma_f32 v15, v222, v150, -v23
	v_fmac_f32_e32 v39, v223, v150
	v_dual_add_f32 v11, v11, v17 :: v_dual_fmac_f32 v41, v201, v152
	v_dual_add_f32 v9, v9, v37 :: v_dual_mul_f32 v239, v202, v155
	v_mul_f32_e32 v241, v172, v157
	s_delay_alu instid0(VALU_DEP_3) | instskip(NEXT) | instid1(VALU_DEP_3)
	v_dual_fma_f32 v17, v200, v152, -v25 :: v_dual_add_f32 v11, v11, v15
	v_dual_fma_f32 v238, v202, v154, -v27 :: v_dual_add_f32 v9, v9, v39
	s_delay_alu instid0(VALU_DEP_4) | instskip(SKIP_1) | instid1(VALU_DEP_4)
	v_fmac_f32_e32 v239, v203, v154
	v_pk_mul_f32 v[120:121], v[230:231], v[120:121] op_sel_hi:[1,0]
	v_dual_add_f32 v128, v11, v17 :: v_dual_fmac_f32 v241, v173, v156
	s_delay_alu instid0(VALU_DEP_4)
	v_add_f32_e32 v129, v9, v41
	v_pk_mul_f32 v[122:123], v[176:177], v[160:161] op_sel:[1,1] op_sel_hi:[0,1]
	s_wait_loadcnt 0x3
	v_dual_mov_b32 v130, v167 :: v_dual_fma_f32 v240, v172, v156, -v13
	v_pk_fma_f32 v[132:133], v[174:175], v[158:159], v[120:121] op_sel_hi:[1,0,1]
	v_pk_add_f32 v[128:129], v[128:129], v[238:239]
	v_pk_fma_f32 v[120:121], v[174:175], v[158:159], v[120:121] neg_lo:[0,0,1] neg_hi:[0,0,1]
	v_pk_fma_f32 v[134:135], v[176:177], v[160:161], v[122:123] op_sel_hi:[1,0,1]
	v_pk_mul_f32 v[124:125], v[232:233], v[124:125] op_sel_hi:[1,0]
	v_mov_b32_e32 v121, v133
	v_pk_add_f32 v[128:129], v[128:129], v[240:241]
	v_pk_fma_f32 v[122:123], v[176:177], v[160:161], v[122:123] neg_lo:[0,0,1] neg_hi:[0,0,1]
	v_pk_mul_f32 v[126:127], v[180:181], v[164:165] op_sel:[1,1] op_sel_hi:[0,1]
	v_mov_b32_e32 v123, v135
	v_pk_fma_f32 v[134:135], v[178:179], v[162:163], v[124:125] op_sel_hi:[1,0,1]
	v_pk_add_f32 v[120:121], v[128:129], v[120:121]
	v_pk_fma_f32 v[124:125], v[178:179], v[162:163], v[124:125] neg_lo:[0,0,1] neg_hi:[0,0,1]
	v_pk_fma_f32 v[128:129], v[180:181], v[164:165], v[126:127] op_sel_hi:[1,0,1]
	v_pk_mul_f32 v[130:131], v[234:235], v[130:131] op_sel_hi:[1,0]
	v_mov_b32_e32 v125, v135
	v_pk_add_f32 v[120:121], v[120:121], v[122:123]
	v_pk_fma_f32 v[126:127], v[180:181], v[164:165], v[126:127] neg_lo:[0,0,1] neg_hi:[0,0,1]
	s_wait_loadcnt 0x2
	v_pk_mul_f32 v[132:133], v[184:185], v[168:169] op_sel:[1,1] op_sel_hi:[0,1]
	v_dual_mov_b32 v122, v171 :: v_dual_mov_b32 v127, v129
	v_pk_fma_f32 v[128:129], v[182:183], v[166:167], v[130:131] op_sel_hi:[1,0,1]
	v_pk_add_f32 v[120:121], v[120:121], v[124:125]
	v_pk_fma_f32 v[130:131], v[182:183], v[166:167], v[130:131] neg_lo:[0,0,1] neg_hi:[0,0,1]
	v_pk_fma_f32 v[124:125], v[184:185], v[168:169], v[132:133] op_sel_hi:[1,0,1]
	v_pk_mul_f32 v[122:123], v[236:237], v[122:123] op_sel_hi:[1,0]
	v_mov_b32_e32 v131, v129
	v_pk_add_f32 v[120:121], v[120:121], v[126:127]
	v_pk_fma_f32 v[126:127], v[184:185], v[168:169], v[132:133] neg_lo:[0,0,1] neg_hi:[0,0,1]
	v_mov_b32_e32 v127, v125
	v_pk_fma_f32 v[124:125], v[186:187], v[170:171], v[122:123] op_sel_hi:[1,0,1]
	s_wait_loadcnt_dscnt 0x100
	v_pk_mul_f32 v[128:129], v[228:229], v[224:225] op_sel:[1,1] op_sel_hi:[0,1]
	v_pk_add_f32 v[120:121], v[120:121], v[130:131]
	v_pk_fma_f32 v[122:123], v[186:187], v[170:171], v[122:123] neg_lo:[0,0,1] neg_hi:[0,0,1]
	v_mov_b32_e32 v123, v125
	s_delay_alu instid0(VALU_DEP_4) | instskip(NEXT) | instid1(VALU_DEP_4)
	v_pk_fma_f32 v[124:125], v[228:229], v[224:225], v[128:129] op_sel_hi:[1,0,1]
	v_pk_add_f32 v[120:121], v[120:121], v[126:127]
	v_pk_fma_f32 v[126:127], v[228:229], v[224:225], v[128:129] neg_lo:[0,0,1] neg_hi:[0,0,1]
	s_delay_alu instid0(VALU_DEP_3) | instskip(NEXT) | instid1(VALU_DEP_3)
	v_mov_b32_e32 v127, v125
	v_pk_add_f32 v[120:121], v[120:121], v[122:123]
	s_delay_alu instid0(VALU_DEP_1) | instskip(SKIP_1) | instid1(VALU_DEP_1)
	v_pk_add_f32 v[120:121], v[120:121], v[126:127]
	s_wait_loadcnt 0x0
	v_pk_add_f32 v[120:121], v[226:227], v[120:121] neg_lo:[0,1] neg_hi:[0,1]
	scratch_store_b64 off, v[120:121], off offset:248
	s_wait_xcnt 0x0
	v_cmpx_lt_u32_e32 30, v0
	s_cbranch_execz .LBB122_307
; %bb.306:
	scratch_load_b64 v[120:121], off, off offset:240
	v_mov_b64_e32 v[122:123], 0
	scratch_store_b64 off, v[122:123], off offset:240
	s_wait_loadcnt 0x0
	ds_store_b64 v1, v[120:121]
.LBB122_307:
	s_wait_xcnt 0x0
	s_or_b32 exec_lo, exec_lo, s0
	s_wait_storecnt_dscnt 0x0
	s_barrier_signal -1
	s_barrier_wait -1
	s_clause 0xe
	scratch_load_b128 v[120:123], off, off offset:248
	scratch_load_b128 v[124:127], off, off offset:264
	;; [unrolled: 1-line block ×14, first 2 shown]
	scratch_load_b64 v[232:233], off, off offset:240
	ds_load_2addr_b64 v[176:179], v7 offset0:111 offset1:112
	ds_load_2addr_b64 v[180:183], v7 offset0:113 offset1:114
	;; [unrolled: 1-line block ×14, first 2 shown]
	s_mov_b32 s0, exec_lo
	s_wait_dscnt 0xd
	v_dual_mov_b32 v234, v179 :: v_dual_mov_b32 v235, v178
	s_wait_dscnt 0xc
	v_dual_mov_b32 v236, v183 :: v_dual_mov_b32 v237, v182
	;; [unrolled: 2-line block ×4, first 2 shown]
	s_wait_loadcnt_dscnt 0xe09
	v_dual_mul_f32 v7, v192, v121 :: v_dual_mul_f32 v9, v194, v123
	v_dual_mul_f32 v43, v193, v121 :: v_dual_mul_f32 v45, v195, v123
	s_wait_loadcnt_dscnt 0xd08
	v_dual_mul_f32 v11, v196, v125 :: v_dual_mul_f32 v13, v198, v127
	s_delay_alu instid0(VALU_DEP_3) | instskip(SKIP_3) | instid1(VALU_DEP_3)
	v_dual_fmac_f32 v7, v193, v120 :: v_dual_fmac_f32 v9, v195, v122
	s_wait_loadcnt_dscnt 0xb06
	v_dual_fma_f32 v43, v192, v120, -v43 :: v_dual_mul_f32 v55, v205, v133
	v_dual_mul_f32 v47, v197, v125 :: v_dual_mul_f32 v49, v199, v127
	v_dual_fma_f32 v45, v194, v122, -v45 :: v_dual_add_f32 v7, 0, v7
	s_delay_alu instid0(VALU_DEP_3) | instskip(SKIP_1) | instid1(VALU_DEP_4)
	v_dual_add_f32 v43, 0, v43 :: v_dual_fmac_f32 v11, v197, v124
	v_dual_mul_f32 v15, v200, v129 :: v_dual_mul_f32 v17, v202, v131
	v_dual_mul_f32 v57, v207, v135 :: v_dual_fma_f32 v47, v196, v124, -v47
	s_delay_alu instid0(VALU_DEP_4) | instskip(NEXT) | instid1(VALU_DEP_3)
	v_add_f32_e32 v7, v7, v9
	v_dual_add_f32 v9, v43, v45 :: v_dual_fmac_f32 v15, v201, v128
	v_dual_mul_f32 v51, v201, v129 :: v_dual_mul_f32 v53, v203, v131
	s_wait_loadcnt_dscnt 0xa05
	v_dual_mul_f32 v43, v209, v137 :: v_dual_fmac_f32 v13, v199, v126
	v_dual_fma_f32 v45, v198, v126, -v49 :: v_dual_add_f32 v7, v7, v11
	s_delay_alu instid0(VALU_DEP_3) | instskip(SKIP_1) | instid1(VALU_DEP_3)
	v_dual_add_f32 v9, v9, v47 :: v_dual_fma_f32 v47, v200, v128, -v51
	v_dual_mul_f32 v19, v204, v133 :: v_dual_mul_f32 v21, v206, v135
	v_add_f32_e32 v7, v7, v13
	s_delay_alu instid0(VALU_DEP_3) | instskip(SKIP_2) | instid1(VALU_DEP_3)
	v_dual_mul_f32 v11, v211, v139 :: v_dual_add_f32 v9, v9, v45
	s_wait_loadcnt_dscnt 0x904
	v_dual_mul_f32 v13, v213, v141 :: v_dual_fmac_f32 v17, v203, v130
	v_dual_fma_f32 v45, v202, v130, -v53 :: v_dual_add_f32 v7, v7, v15
	s_delay_alu instid0(VALU_DEP_3) | instskip(SKIP_1) | instid1(VALU_DEP_3)
	v_dual_add_f32 v9, v9, v47 :: v_dual_fma_f32 v47, v204, v132, -v55
	v_dual_mul_f32 v15, v215, v143 :: v_dual_fmac_f32 v19, v205, v132
	v_add_f32_e32 v7, v7, v17
	s_delay_alu instid0(VALU_DEP_3)
	v_dual_add_f32 v9, v9, v45 :: v_dual_fmac_f32 v21, v207, v134
	v_dual_mul_f32 v23, v208, v137 :: v_dual_mul_f32 v25, v210, v139
	s_wait_loadcnt_dscnt 0x803
	v_dual_fma_f32 v45, v206, v134, -v57 :: v_dual_mul_f32 v17, v217, v145
	v_add_f32_e32 v7, v7, v19
	v_dual_add_f32 v9, v9, v47 :: v_dual_fma_f32 v43, v208, v136, -v43
	v_dual_mul_f32 v19, v219, v147 :: v_dual_fmac_f32 v23, v209, v136
	s_delay_alu instid0(VALU_DEP_3) | instskip(NEXT) | instid1(VALU_DEP_3)
	v_dual_add_f32 v7, v7, v21 :: v_dual_fma_f32 v11, v210, v138, -v11
	v_dual_add_f32 v9, v9, v45 :: v_dual_fmac_f32 v25, v211, v138
	v_dual_mul_f32 v27, v212, v141 :: v_dual_mul_f32 v29, v214, v143
	s_wait_loadcnt_dscnt 0x702
	s_delay_alu instid0(VALU_DEP_3) | instskip(NEXT) | instid1(VALU_DEP_3)
	v_dual_mul_f32 v21, v221, v149 :: v_dual_add_f32 v7, v7, v23
	v_dual_add_f32 v9, v9, v43 :: v_dual_fma_f32 v13, v212, v140, -v13
	s_delay_alu instid0(VALU_DEP_3) | instskip(NEXT) | instid1(VALU_DEP_2)
	v_dual_mul_f32 v23, v223, v151 :: v_dual_fmac_f32 v27, v213, v140
	v_dual_add_f32 v7, v7, v25 :: v_dual_add_f32 v9, v9, v11
	v_dual_mul_f32 v31, v216, v145 :: v_dual_mul_f32 v33, v218, v147
	s_wait_loadcnt_dscnt 0x601
	v_dual_mul_f32 v11, v225, v153 :: v_dual_fmac_f32 v29, v215, v142
	s_delay_alu instid0(VALU_DEP_3) | instskip(SKIP_2) | instid1(VALU_DEP_2)
	v_dual_fma_f32 v15, v214, v142, -v15 :: v_dual_add_f32 v7, v7, v27
	v_dual_add_f32 v9, v9, v13 :: v_dual_mul_f32 v13, v227, v155
	v_dual_fmac_f32 v31, v217, v144 :: v_dual_fma_f32 v17, v216, v144, -v17
	v_dual_add_f32 v7, v7, v29 :: v_dual_add_f32 v9, v9, v15
	v_dual_mul_f32 v35, v220, v149 :: v_dual_mul_f32 v37, v222, v151
	s_wait_loadcnt_dscnt 0x500
	v_dual_mul_f32 v15, v229, v157 :: v_dual_fmac_f32 v33, v219, v146
	s_delay_alu instid0(VALU_DEP_3) | instskip(SKIP_2) | instid1(VALU_DEP_2)
	v_dual_fma_f32 v19, v218, v146, -v19 :: v_dual_add_f32 v7, v7, v31
	v_dual_add_f32 v9, v9, v17 :: v_dual_mul_f32 v17, v231, v159
	v_dual_fmac_f32 v35, v221, v148 :: v_dual_fma_f32 v21, v220, v148, -v21
	v_dual_add_f32 v7, v7, v33 :: v_dual_add_f32 v9, v9, v19
	v_dual_mul_f32 v39, v224, v153 :: v_dual_mul_f32 v41, v226, v155
	v_dual_fmac_f32 v37, v223, v150 :: v_dual_fma_f32 v19, v222, v150, -v23
	s_delay_alu instid0(VALU_DEP_3) | instskip(SKIP_1) | instid1(VALU_DEP_3)
	v_dual_add_f32 v7, v7, v35 :: v_dual_add_f32 v9, v9, v21
	s_wait_loadcnt 0x4
	v_dual_mov_b32 v122, v163 :: v_dual_fmac_f32 v39, v225, v152
	s_delay_alu instid0(VALU_DEP_2) | instskip(NEXT) | instid1(VALU_DEP_3)
	v_dual_fma_f32 v11, v224, v152, -v11 :: v_dual_add_f32 v7, v7, v37
	v_dual_add_f32 v9, v9, v19 :: v_dual_fmac_f32 v41, v227, v154
	v_dual_mul_f32 v243, v228, v157 :: v_dual_mul_f32 v245, v230, v159
	s_delay_alu instid0(VALU_DEP_3) | instskip(SKIP_1) | instid1(VALU_DEP_3)
	v_dual_fma_f32 v13, v226, v154, -v13 :: v_dual_add_f32 v7, v7, v39
	s_wait_loadcnt 0x3
	v_dual_add_f32 v9, v9, v11 :: v_dual_mov_b32 v126, v167
	v_pk_mul_f32 v[120:121], v[176:177], v[160:161] op_sel:[1,1] op_sel_hi:[0,1]
	s_delay_alu instid0(VALU_DEP_3) | instskip(NEXT) | instid1(VALU_DEP_3)
	v_dual_fmac_f32 v243, v229, v156 :: v_dual_add_f32 v129, v7, v41
	v_dual_fma_f32 v242, v228, v156, -v15 :: v_dual_add_f32 v128, v9, v13
	v_fmac_f32_e32 v245, v231, v158
	s_delay_alu instid0(VALU_DEP_4)
	v_pk_fma_f32 v[130:131], v[176:177], v[160:161], v[120:121] op_sel_hi:[1,0,1]
	v_fma_f32 v244, v230, v158, -v17
	v_pk_mul_f32 v[122:123], v[234:235], v[122:123] op_sel_hi:[1,0]
	v_pk_add_f32 v[128:129], v[128:129], v[242:243]
	v_pk_fma_f32 v[120:121], v[176:177], v[160:161], v[120:121] neg_lo:[0,0,1] neg_hi:[0,0,1]
	v_pk_mul_f32 v[124:125], v[180:181], v[164:165] op_sel:[1,1] op_sel_hi:[0,1]
	v_mov_b32_e32 v121, v131
	v_pk_fma_f32 v[130:131], v[178:179], v[162:163], v[122:123] op_sel_hi:[1,0,1]
	v_pk_add_f32 v[128:129], v[128:129], v[244:245]
	v_pk_fma_f32 v[122:123], v[178:179], v[162:163], v[122:123] neg_lo:[0,0,1] neg_hi:[0,0,1]
	v_pk_fma_f32 v[134:135], v[180:181], v[164:165], v[124:125] op_sel_hi:[1,0,1]
	v_pk_mul_f32 v[126:127], v[236:237], v[126:127] op_sel_hi:[1,0]
	v_mov_b32_e32 v123, v131
	v_pk_add_f32 v[120:121], v[128:129], v[120:121]
	s_wait_loadcnt 0x2
	v_pk_mul_f32 v[132:133], v[184:185], v[168:169] op_sel:[1,1] op_sel_hi:[0,1]
	v_mov_b32_e32 v128, v171
	v_pk_fma_f32 v[124:125], v[180:181], v[164:165], v[124:125] neg_lo:[0,0,1] neg_hi:[0,0,1]
	v_pk_fma_f32 v[130:131], v[182:183], v[166:167], v[126:127] op_sel_hi:[1,0,1]
	v_mov_b32_e32 v125, v135
	v_pk_add_f32 v[120:121], v[120:121], v[122:123]
	v_pk_fma_f32 v[122:123], v[184:185], v[168:169], v[132:133] op_sel_hi:[1,0,1]
	v_pk_mul_f32 v[128:129], v[238:239], v[128:129] op_sel_hi:[1,0]
	v_pk_fma_f32 v[126:127], v[182:183], v[166:167], v[126:127] neg_lo:[0,0,1] neg_hi:[0,0,1]
	v_mov_b32_e32 v127, v131
	v_pk_add_f32 v[120:121], v[120:121], v[124:125]
	v_pk_fma_f32 v[130:131], v[184:185], v[168:169], v[132:133] neg_lo:[0,0,1] neg_hi:[0,0,1]
	v_mov_b32_e32 v131, v123
	v_pk_fma_f32 v[122:123], v[186:187], v[170:171], v[128:129] op_sel_hi:[1,0,1]
	s_wait_loadcnt 0x1
	v_pk_mul_f32 v[124:125], v[188:189], v[172:173] op_sel:[1,1] op_sel_hi:[0,1]
	v_pk_add_f32 v[120:121], v[120:121], v[126:127]
	v_mov_b32_e32 v122, v175
	v_pk_fma_f32 v[128:129], v[186:187], v[170:171], v[128:129] neg_lo:[0,0,1] neg_hi:[0,0,1]
	s_delay_alu instid0(VALU_DEP_4)
	v_pk_fma_f32 v[126:127], v[188:189], v[172:173], v[124:125] op_sel_hi:[1,0,1]
	v_mov_b32_e32 v129, v123
	v_pk_add_f32 v[120:121], v[120:121], v[130:131]
	v_pk_mul_f32 v[122:123], v[240:241], v[122:123] op_sel_hi:[1,0]
	v_pk_fma_f32 v[124:125], v[188:189], v[172:173], v[124:125] neg_lo:[0,0,1] neg_hi:[0,0,1]
	v_mov_b32_e32 v125, v127
	s_delay_alu instid0(VALU_DEP_4) | instskip(NEXT) | instid1(VALU_DEP_4)
	v_pk_add_f32 v[120:121], v[120:121], v[128:129]
	v_pk_fma_f32 v[126:127], v[190:191], v[174:175], v[122:123] op_sel_hi:[1,0,1]
	v_pk_fma_f32 v[122:123], v[190:191], v[174:175], v[122:123] neg_lo:[0,0,1] neg_hi:[0,0,1]
	s_delay_alu instid0(VALU_DEP_3) | instskip(NEXT) | instid1(VALU_DEP_3)
	v_pk_add_f32 v[120:121], v[120:121], v[124:125]
	v_mov_b32_e32 v123, v127
	s_delay_alu instid0(VALU_DEP_1) | instskip(SKIP_1) | instid1(VALU_DEP_1)
	v_pk_add_f32 v[120:121], v[120:121], v[122:123]
	s_wait_loadcnt 0x0
	v_pk_add_f32 v[120:121], v[232:233], v[120:121] neg_lo:[0,1] neg_hi:[0,1]
	scratch_store_b64 off, v[120:121], off offset:240
	s_wait_xcnt 0x0
	v_cmpx_lt_u32_e32 29, v0
	s_cbranch_execz .LBB122_309
; %bb.308:
	scratch_load_b64 v[120:121], off, off offset:232
	v_mov_b64_e32 v[122:123], 0
	scratch_store_b64 off, v[122:123], off offset:232
	s_wait_loadcnt 0x0
	ds_store_b64 v1, v[120:121]
.LBB122_309:
	s_wait_xcnt 0x0
	s_or_b32 exec_lo, exec_lo, s0
	s_wait_storecnt_dscnt 0x0
	s_barrier_signal -1
	s_barrier_wait -1
	s_clause 0xf
	scratch_load_b128 v[120:123], off, off offset:240
	scratch_load_b128 v[124:127], off, off offset:256
	;; [unrolled: 1-line block ×14, first 2 shown]
	scratch_load_b64 v[232:233], off, off offset:464
	scratch_load_b64 v[234:235], off, off offset:232
	v_mov_b32_e32 v7, 0
	ds_load_b128 v[176:179], v7 offset:880
	ds_load_b128 v[180:183], v7 offset:896
	;; [unrolled: 1-line block ×14, first 2 shown]
	ds_load_b64 v[236:237], v7 offset:944
	s_mov_b32 s0, exec_lo
	s_wait_dscnt 0xe
	v_dual_mov_b32 v238, v179 :: v_dual_mov_b32 v239, v178
	s_wait_dscnt 0xb
	v_dual_mov_b32 v240, v183 :: v_dual_mov_b32 v245, v190
	v_dual_mov_b32 v241, v182 :: v_dual_mov_b32 v242, v187
	;; [unrolled: 1-line block ×3, first 2 shown]
	s_wait_loadcnt_dscnt 0xf0a
	v_dual_mul_f32 v9, v192, v121 :: v_dual_mul_f32 v47, v193, v121
	v_dual_mul_f32 v49, v195, v123 :: v_dual_mul_f32 v11, v194, v123
	s_wait_loadcnt_dscnt 0xe09
	v_mul_f32_e32 v13, v196, v125
	s_wait_loadcnt_dscnt 0xc07
	v_dual_mul_f32 v59, v205, v133 :: v_dual_fma_f32 v47, v192, v120, -v47
	v_dual_fmac_f32 v9, v193, v120 :: v_dual_mul_f32 v61, v207, v135
	v_dual_mul_f32 v51, v197, v125 :: v_dual_mul_f32 v53, v199, v127
	v_dual_fmac_f32 v11, v195, v122 :: v_dual_fma_f32 v49, v194, v122, -v49
	s_delay_alu instid0(VALU_DEP_3) | instskip(SKIP_4) | instid1(VALU_DEP_3)
	v_dual_add_f32 v9, 0, v9 :: v_dual_add_f32 v47, 0, v47
	v_dual_mul_f32 v15, v198, v127 :: v_dual_mul_f32 v17, v200, v129
	s_wait_loadcnt_dscnt 0xb06
	v_dual_mul_f32 v63, v209, v137 :: v_dual_fma_f32 v51, v196, v124, -v51
	v_fmac_f32_e32 v13, v197, v124
	v_dual_add_f32 v9, v9, v11 :: v_dual_fmac_f32 v15, v199, v126
	v_add_f32_e32 v11, v47, v49
	v_dual_mul_f32 v55, v201, v129 :: v_dual_mul_f32 v57, v203, v131
	v_dual_mul_f32 v47, v211, v139 :: v_dual_fma_f32 v49, v198, v126, -v53
	s_delay_alu instid0(VALU_DEP_3) | instskip(SKIP_3) | instid1(VALU_DEP_3)
	v_dual_add_f32 v9, v9, v13 :: v_dual_add_f32 v11, v11, v51
	v_dual_mul_f32 v19, v202, v131 :: v_dual_mul_f32 v21, v204, v133
	s_wait_loadcnt_dscnt 0xa05
	v_dual_mul_f32 v13, v213, v141 :: v_dual_fma_f32 v51, v200, v128, -v55
	v_dual_fmac_f32 v17, v201, v128 :: v_dual_add_f32 v11, v11, v49
	s_delay_alu instid0(VALU_DEP_3) | instskip(SKIP_1) | instid1(VALU_DEP_2)
	v_dual_add_f32 v9, v9, v15 :: v_dual_fmac_f32 v19, v203, v130
	v_dual_mul_f32 v15, v215, v143 :: v_dual_fma_f32 v49, v202, v130, -v57
	v_dual_add_f32 v11, v11, v51 :: v_dual_add_f32 v9, v9, v17
	v_dual_mul_f32 v23, v206, v135 :: v_dual_mul_f32 v25, v208, v137
	s_wait_loadcnt_dscnt 0x904
	v_dual_mul_f32 v17, v217, v145 :: v_dual_fma_f32 v51, v204, v132, -v59
	s_delay_alu instid0(VALU_DEP_3) | instskip(NEXT) | instid1(VALU_DEP_3)
	v_dual_fmac_f32 v21, v205, v132 :: v_dual_add_f32 v11, v11, v49
	v_dual_add_f32 v9, v9, v19 :: v_dual_fmac_f32 v23, v207, v134
	v_dual_mul_f32 v19, v219, v147 :: v_dual_fma_f32 v49, v206, v134, -v61
	s_delay_alu instid0(VALU_DEP_2) | instskip(SKIP_3) | instid1(VALU_DEP_3)
	v_dual_add_f32 v11, v11, v51 :: v_dual_add_f32 v9, v9, v21
	v_dual_mul_f32 v27, v210, v139 :: v_dual_mul_f32 v29, v212, v141
	s_wait_loadcnt_dscnt 0x803
	v_dual_mul_f32 v21, v221, v149 :: v_dual_fma_f32 v51, v208, v136, -v63
	v_dual_fmac_f32 v25, v209, v136 :: v_dual_add_f32 v11, v11, v49
	s_delay_alu instid0(VALU_DEP_3) | instskip(SKIP_1) | instid1(VALU_DEP_2)
	v_dual_add_f32 v9, v9, v23 :: v_dual_fmac_f32 v27, v211, v138
	v_dual_mul_f32 v23, v223, v151 :: v_dual_fma_f32 v47, v210, v138, -v47
	v_dual_add_f32 v11, v11, v51 :: v_dual_add_f32 v9, v9, v25
	v_dual_mul_f32 v31, v214, v143 :: v_dual_mul_f32 v33, v216, v145
	s_wait_loadcnt_dscnt 0x702
	v_dual_mul_f32 v25, v225, v153 :: v_dual_fma_f32 v13, v212, v140, -v13
	s_delay_alu instid0(VALU_DEP_3) | instskip(NEXT) | instid1(VALU_DEP_3)
	v_dual_fmac_f32 v29, v213, v140 :: v_dual_add_f32 v11, v11, v47
	v_dual_add_f32 v9, v9, v27 :: v_dual_fmac_f32 v31, v215, v142
	v_dual_mul_f32 v27, v227, v155 :: v_dual_fma_f32 v15, v214, v142, -v15
	s_delay_alu instid0(VALU_DEP_3) | instskip(NEXT) | instid1(VALU_DEP_3)
	v_dual_add_f32 v11, v11, v13 :: v_dual_fmac_f32 v33, v217, v144
	v_dual_add_f32 v9, v9, v29 :: v_dual_fma_f32 v17, v216, v144, -v17
	v_dual_mul_f32 v35, v218, v147 :: v_dual_mul_f32 v37, v220, v149
	s_wait_loadcnt_dscnt 0x601
	s_delay_alu instid0(VALU_DEP_3) | instskip(NEXT) | instid1(VALU_DEP_2)
	v_dual_mul_f32 v13, v229, v157 :: v_dual_add_f32 v11, v11, v15
	v_dual_add_f32 v9, v9, v31 :: v_dual_fmac_f32 v35, v219, v146
	v_dual_mul_f32 v15, v231, v159 :: v_dual_fma_f32 v19, v218, v146, -v19
	s_delay_alu instid0(VALU_DEP_3) | instskip(NEXT) | instid1(VALU_DEP_3)
	v_dual_add_f32 v11, v11, v17 :: v_dual_fmac_f32 v37, v221, v148
	v_dual_add_f32 v9, v9, v33 :: v_dual_fma_f32 v21, v220, v148, -v21
	v_dual_mul_f32 v39, v222, v151 :: v_dual_mul_f32 v41, v224, v153
	s_wait_loadcnt 0x5
	s_delay_alu instid0(VALU_DEP_3) | instskip(NEXT) | instid1(VALU_DEP_3)
	v_dual_mul_f32 v17, v177, v161 :: v_dual_add_f32 v11, v11, v19
	v_dual_add_f32 v9, v9, v35 :: v_dual_mov_b32 v120, v163
	s_delay_alu instid0(VALU_DEP_3) | instskip(NEXT) | instid1(VALU_DEP_3)
	v_fmac_f32_e32 v39, v223, v150
	v_dual_fma_f32 v19, v222, v150, -v23 :: v_dual_add_f32 v11, v11, v21
	s_delay_alu instid0(VALU_DEP_3) | instskip(SKIP_1) | instid1(VALU_DEP_3)
	v_dual_add_f32 v9, v9, v37 :: v_dual_mul_f32 v43, v226, v155
	v_dual_mul_f32 v45, v228, v157 :: v_dual_fmac_f32 v41, v225, v152
	v_dual_add_f32 v11, v11, v19 :: v_dual_fma_f32 v21, v224, v152, -v25
	s_wait_loadcnt 0x4
	s_delay_alu instid0(VALU_DEP_3) | instskip(SKIP_3) | instid1(VALU_DEP_4)
	v_dual_add_f32 v9, v9, v39 :: v_dual_mov_b32 v124, v167
	v_fma_f32 v19, v226, v154, -v27
	v_fmac_f32_e32 v43, v227, v154
	v_dual_add_f32 v11, v11, v21 :: v_dual_fmac_f32 v45, v229, v156
	v_dual_add_f32 v9, v9, v41 :: v_dual_mul_f32 v247, v230, v159
	v_mul_f32_e32 v249, v176, v161
	s_delay_alu instid0(VALU_DEP_3) | instskip(NEXT) | instid1(VALU_DEP_3)
	v_dual_fma_f32 v13, v228, v156, -v13 :: v_dual_add_f32 v11, v11, v19
	v_dual_fma_f32 v246, v230, v158, -v15 :: v_dual_add_f32 v9, v9, v43
	s_delay_alu instid0(VALU_DEP_4) | instskip(SKIP_1) | instid1(VALU_DEP_4)
	v_fmac_f32_e32 v247, v231, v158
	v_pk_mul_f32 v[120:121], v[238:239], v[120:121] op_sel_hi:[1,0]
	v_dual_add_f32 v128, v11, v13 :: v_dual_fmac_f32 v249, v177, v160
	s_delay_alu instid0(VALU_DEP_4)
	v_add_f32_e32 v129, v9, v45
	v_pk_mul_f32 v[122:123], v[180:181], v[164:165] op_sel:[1,1] op_sel_hi:[0,1]
	s_wait_loadcnt 0x3
	v_dual_mov_b32 v130, v171 :: v_dual_fma_f32 v248, v176, v160, -v17
	v_pk_fma_f32 v[132:133], v[178:179], v[162:163], v[120:121] op_sel_hi:[1,0,1]
	v_pk_add_f32 v[128:129], v[128:129], v[246:247]
	v_pk_fma_f32 v[120:121], v[178:179], v[162:163], v[120:121] neg_lo:[0,0,1] neg_hi:[0,0,1]
	v_pk_fma_f32 v[134:135], v[180:181], v[164:165], v[122:123] op_sel_hi:[1,0,1]
	v_pk_mul_f32 v[124:125], v[240:241], v[124:125] op_sel_hi:[1,0]
	v_mov_b32_e32 v121, v133
	v_pk_add_f32 v[128:129], v[128:129], v[248:249]
	v_pk_fma_f32 v[122:123], v[180:181], v[164:165], v[122:123] neg_lo:[0,0,1] neg_hi:[0,0,1]
	v_pk_mul_f32 v[126:127], v[184:185], v[168:169] op_sel:[1,1] op_sel_hi:[0,1]
	v_mov_b32_e32 v123, v135
	v_pk_fma_f32 v[134:135], v[182:183], v[166:167], v[124:125] op_sel_hi:[1,0,1]
	v_pk_add_f32 v[120:121], v[128:129], v[120:121]
	v_pk_fma_f32 v[124:125], v[182:183], v[166:167], v[124:125] neg_lo:[0,0,1] neg_hi:[0,0,1]
	v_pk_fma_f32 v[128:129], v[184:185], v[168:169], v[126:127] op_sel_hi:[1,0,1]
	v_pk_mul_f32 v[130:131], v[242:243], v[130:131] op_sel_hi:[1,0]
	v_mov_b32_e32 v125, v135
	v_pk_add_f32 v[120:121], v[120:121], v[122:123]
	v_pk_fma_f32 v[126:127], v[184:185], v[168:169], v[126:127] neg_lo:[0,0,1] neg_hi:[0,0,1]
	s_wait_loadcnt 0x2
	v_pk_mul_f32 v[132:133], v[188:189], v[172:173] op_sel:[1,1] op_sel_hi:[0,1]
	v_dual_mov_b32 v122, v175 :: v_dual_mov_b32 v127, v129
	v_pk_fma_f32 v[128:129], v[186:187], v[170:171], v[130:131] op_sel_hi:[1,0,1]
	v_pk_add_f32 v[120:121], v[120:121], v[124:125]
	v_pk_fma_f32 v[130:131], v[186:187], v[170:171], v[130:131] neg_lo:[0,0,1] neg_hi:[0,0,1]
	v_pk_fma_f32 v[124:125], v[188:189], v[172:173], v[132:133] op_sel_hi:[1,0,1]
	v_pk_mul_f32 v[122:123], v[244:245], v[122:123] op_sel_hi:[1,0]
	v_mov_b32_e32 v131, v129
	v_pk_add_f32 v[120:121], v[120:121], v[126:127]
	v_pk_fma_f32 v[126:127], v[188:189], v[172:173], v[132:133] neg_lo:[0,0,1] neg_hi:[0,0,1]
	v_mov_b32_e32 v127, v125
	v_pk_fma_f32 v[124:125], v[190:191], v[174:175], v[122:123] op_sel_hi:[1,0,1]
	s_wait_loadcnt_dscnt 0x100
	v_pk_mul_f32 v[128:129], v[236:237], v[232:233] op_sel:[1,1] op_sel_hi:[0,1]
	v_pk_add_f32 v[120:121], v[120:121], v[130:131]
	v_pk_fma_f32 v[122:123], v[190:191], v[174:175], v[122:123] neg_lo:[0,0,1] neg_hi:[0,0,1]
	v_mov_b32_e32 v123, v125
	s_delay_alu instid0(VALU_DEP_4) | instskip(NEXT) | instid1(VALU_DEP_4)
	v_pk_fma_f32 v[124:125], v[236:237], v[232:233], v[128:129] op_sel_hi:[1,0,1]
	v_pk_add_f32 v[120:121], v[120:121], v[126:127]
	v_pk_fma_f32 v[126:127], v[236:237], v[232:233], v[128:129] neg_lo:[0,0,1] neg_hi:[0,0,1]
	s_delay_alu instid0(VALU_DEP_3) | instskip(NEXT) | instid1(VALU_DEP_3)
	v_mov_b32_e32 v127, v125
	v_pk_add_f32 v[120:121], v[120:121], v[122:123]
	s_delay_alu instid0(VALU_DEP_1) | instskip(SKIP_1) | instid1(VALU_DEP_1)
	v_pk_add_f32 v[120:121], v[120:121], v[126:127]
	s_wait_loadcnt 0x0
	v_pk_add_f32 v[120:121], v[234:235], v[120:121] neg_lo:[0,1] neg_hi:[0,1]
	scratch_store_b64 off, v[120:121], off offset:232
	s_wait_xcnt 0x0
	v_cmpx_lt_u32_e32 28, v0
	s_cbranch_execz .LBB122_311
; %bb.310:
	scratch_load_b64 v[120:121], off, off offset:224
	v_mov_b64_e32 v[122:123], 0
	scratch_store_b64 off, v[122:123], off offset:224
	s_wait_loadcnt 0x0
	ds_store_b64 v1, v[120:121]
.LBB122_311:
	s_wait_xcnt 0x0
	s_or_b32 exec_lo, exec_lo, s0
	s_wait_storecnt_dscnt 0x0
	s_barrier_signal -1
	s_barrier_wait -1
	s_clause 0xf
	scratch_load_b128 v[120:123], off, off offset:232
	scratch_load_b128 v[124:127], off, off offset:248
	;; [unrolled: 1-line block ×15, first 2 shown]
	scratch_load_b64 v[240:241], off, off offset:224
	ds_load_2addr_b64 v[180:183], v7 offset0:111 offset1:112
	ds_load_2addr_b64 v[184:187], v7 offset0:113 offset1:114
	;; [unrolled: 1-line block ×15, first 2 shown]
	s_mov_b32 s0, exec_lo
	s_wait_dscnt 0xe
	v_dual_mov_b32 v242, v183 :: v_dual_mov_b32 v243, v182
	s_wait_dscnt 0xd
	v_dual_mov_b32 v244, v187 :: v_dual_mov_b32 v245, v186
	;; [unrolled: 2-line block ×4, first 2 shown]
	s_wait_loadcnt_dscnt 0xf0a
	v_dual_mul_f32 v7, v196, v121 :: v_dual_mul_f32 v9, v198, v123
	v_dual_mul_f32 v47, v197, v121 :: v_dual_mul_f32 v49, v199, v123
	s_wait_loadcnt_dscnt 0xe09
	v_dual_mul_f32 v11, v200, v125 :: v_dual_mul_f32 v13, v202, v127
	s_delay_alu instid0(VALU_DEP_3) | instskip(SKIP_3) | instid1(VALU_DEP_3)
	v_dual_fmac_f32 v7, v197, v120 :: v_dual_fmac_f32 v9, v199, v122
	s_wait_loadcnt_dscnt 0xc06
	v_dual_fma_f32 v47, v196, v120, -v47 :: v_dual_mul_f32 v59, v213, v133
	v_dual_mul_f32 v51, v201, v125 :: v_dual_mul_f32 v53, v203, v127
	v_dual_fma_f32 v49, v198, v122, -v49 :: v_dual_add_f32 v7, 0, v7
	s_delay_alu instid0(VALU_DEP_3) | instskip(SKIP_1) | instid1(VALU_DEP_4)
	v_dual_add_f32 v47, 0, v47 :: v_dual_fmac_f32 v11, v201, v124
	v_dual_mul_f32 v15, v208, v129 :: v_dual_mul_f32 v17, v210, v131
	v_dual_mul_f32 v61, v215, v135 :: v_dual_fma_f32 v51, v200, v124, -v51
	s_delay_alu instid0(VALU_DEP_4) | instskip(NEXT) | instid1(VALU_DEP_3)
	v_add_f32_e32 v7, v7, v9
	v_dual_add_f32 v9, v47, v49 :: v_dual_fmac_f32 v15, v209, v128
	v_dual_mul_f32 v55, v209, v129 :: v_dual_mul_f32 v57, v211, v131
	s_wait_loadcnt_dscnt 0xb05
	v_dual_mul_f32 v47, v217, v137 :: v_dual_fmac_f32 v13, v203, v126
	v_dual_fma_f32 v49, v202, v126, -v53 :: v_dual_add_f32 v7, v7, v11
	s_delay_alu instid0(VALU_DEP_3) | instskip(SKIP_1) | instid1(VALU_DEP_3)
	v_dual_add_f32 v9, v9, v51 :: v_dual_fma_f32 v51, v208, v128, -v55
	v_dual_mul_f32 v19, v212, v133 :: v_dual_mul_f32 v21, v214, v135
	v_add_f32_e32 v7, v7, v13
	s_delay_alu instid0(VALU_DEP_3) | instskip(SKIP_2) | instid1(VALU_DEP_3)
	v_dual_mul_f32 v11, v219, v139 :: v_dual_add_f32 v9, v9, v49
	s_wait_loadcnt_dscnt 0xa04
	v_dual_mul_f32 v13, v221, v141 :: v_dual_fmac_f32 v17, v211, v130
	v_dual_fma_f32 v49, v210, v130, -v57 :: v_dual_add_f32 v7, v7, v15
	s_delay_alu instid0(VALU_DEP_3) | instskip(SKIP_1) | instid1(VALU_DEP_3)
	v_dual_add_f32 v9, v9, v51 :: v_dual_fma_f32 v51, v212, v132, -v59
	v_dual_mul_f32 v15, v223, v143 :: v_dual_fmac_f32 v19, v213, v132
	v_add_f32_e32 v7, v7, v17
	s_delay_alu instid0(VALU_DEP_3)
	v_dual_add_f32 v9, v9, v49 :: v_dual_fmac_f32 v21, v215, v134
	v_dual_mul_f32 v23, v216, v137 :: v_dual_mul_f32 v25, v218, v139
	s_wait_loadcnt_dscnt 0x903
	v_dual_fma_f32 v49, v214, v134, -v61 :: v_dual_mul_f32 v17, v225, v145
	v_add_f32_e32 v7, v7, v19
	v_dual_add_f32 v9, v9, v51 :: v_dual_fma_f32 v47, v216, v136, -v47
	v_dual_mul_f32 v19, v227, v147 :: v_dual_fmac_f32 v23, v217, v136
	s_delay_alu instid0(VALU_DEP_3) | instskip(NEXT) | instid1(VALU_DEP_3)
	v_dual_add_f32 v7, v7, v21 :: v_dual_fma_f32 v11, v218, v138, -v11
	v_dual_add_f32 v9, v9, v49 :: v_dual_fmac_f32 v25, v219, v138
	v_dual_mul_f32 v27, v220, v141 :: v_dual_mul_f32 v29, v222, v143
	s_wait_loadcnt_dscnt 0x802
	s_delay_alu instid0(VALU_DEP_3) | instskip(NEXT) | instid1(VALU_DEP_3)
	v_dual_mul_f32 v21, v229, v149 :: v_dual_add_f32 v7, v7, v23
	v_dual_add_f32 v9, v9, v47 :: v_dual_fma_f32 v13, v220, v140, -v13
	s_delay_alu instid0(VALU_DEP_3) | instskip(NEXT) | instid1(VALU_DEP_2)
	v_dual_mul_f32 v23, v231, v151 :: v_dual_fmac_f32 v27, v221, v140
	v_dual_add_f32 v7, v7, v25 :: v_dual_add_f32 v9, v9, v11
	v_dual_mul_f32 v31, v224, v145 :: v_dual_mul_f32 v33, v226, v147
	s_wait_loadcnt_dscnt 0x701
	v_dual_mul_f32 v11, v233, v153 :: v_dual_fmac_f32 v29, v223, v142
	s_delay_alu instid0(VALU_DEP_3) | instskip(SKIP_2) | instid1(VALU_DEP_2)
	v_dual_fma_f32 v15, v222, v142, -v15 :: v_dual_add_f32 v7, v7, v27
	v_dual_add_f32 v9, v9, v13 :: v_dual_mul_f32 v13, v235, v155
	v_dual_fmac_f32 v31, v225, v144 :: v_dual_fma_f32 v17, v224, v144, -v17
	v_dual_add_f32 v7, v7, v29 :: v_dual_add_f32 v9, v9, v15
	v_dual_mul_f32 v35, v228, v149 :: v_dual_mul_f32 v37, v230, v151
	s_wait_loadcnt_dscnt 0x600
	v_dual_mul_f32 v15, v237, v157 :: v_dual_fmac_f32 v33, v227, v146
	s_delay_alu instid0(VALU_DEP_3) | instskip(SKIP_2) | instid1(VALU_DEP_2)
	v_dual_fma_f32 v19, v226, v146, -v19 :: v_dual_add_f32 v7, v7, v31
	v_dual_add_f32 v9, v9, v17 :: v_dual_mul_f32 v17, v239, v159
	v_dual_fmac_f32 v35, v229, v148 :: v_dual_fma_f32 v21, v228, v148, -v21
	v_dual_add_f32 v7, v7, v33 :: v_dual_add_f32 v9, v9, v19
	v_dual_mul_f32 v39, v232, v153 :: v_dual_mul_f32 v41, v234, v155
	s_wait_loadcnt 0x5
	v_dual_mul_f32 v19, v205, v161 :: v_dual_fmac_f32 v37, v231, v150
	s_delay_alu instid0(VALU_DEP_3) | instskip(SKIP_2) | instid1(VALU_DEP_3)
	v_dual_fma_f32 v23, v230, v150, -v23 :: v_dual_add_f32 v7, v7, v35
	v_dual_add_f32 v9, v9, v21 :: v_dual_mul_f32 v21, v207, v163
	v_fmac_f32_e32 v39, v233, v152
	v_dual_fma_f32 v11, v232, v152, -v11 :: v_dual_add_f32 v7, v7, v37
	s_delay_alu instid0(VALU_DEP_3) | instskip(SKIP_1) | instid1(VALU_DEP_3)
	v_dual_add_f32 v9, v9, v23 :: v_dual_mul_f32 v43, v236, v157
	v_dual_mul_f32 v45, v238, v159 :: v_dual_fmac_f32 v41, v235, v154
	v_dual_fma_f32 v13, v234, v154, -v13 :: v_dual_add_f32 v7, v7, v39
	s_wait_loadcnt 0x4
	s_delay_alu instid0(VALU_DEP_3) | instskip(SKIP_1) | instid1(VALU_DEP_3)
	v_dual_add_f32 v9, v9, v11 :: v_dual_mov_b32 v122, v167
	v_fmac_f32_e32 v43, v237, v156
	v_dual_fma_f32 v11, v236, v156, -v15 :: v_dual_add_f32 v7, v7, v41
	s_delay_alu instid0(VALU_DEP_3) | instskip(SKIP_1) | instid1(VALU_DEP_3)
	v_dual_add_f32 v9, v9, v13 :: v_dual_fmac_f32 v45, v239, v158
	v_dual_mul_f32 v251, v204, v161 :: v_dual_mul_f32 v253, v206, v163
	v_dual_fma_f32 v13, v238, v158, -v17 :: v_dual_add_f32 v7, v7, v43
	s_wait_loadcnt 0x3
	s_delay_alu instid0(VALU_DEP_3) | instskip(SKIP_1) | instid1(VALU_DEP_3)
	v_dual_add_f32 v9, v9, v11 :: v_dual_mov_b32 v126, v171
	v_pk_mul_f32 v[120:121], v[180:181], v[164:165] op_sel:[1,1] op_sel_hi:[0,1]
	v_dual_fmac_f32 v251, v205, v160 :: v_dual_add_f32 v129, v7, v45
	s_delay_alu instid0(VALU_DEP_3) | instskip(SKIP_1) | instid1(VALU_DEP_4)
	v_dual_fma_f32 v250, v204, v160, -v19 :: v_dual_add_f32 v128, v9, v13
	v_fmac_f32_e32 v253, v207, v162
	v_pk_fma_f32 v[130:131], v[180:181], v[164:165], v[120:121] op_sel_hi:[1,0,1]
	v_fma_f32 v252, v206, v162, -v21
	v_pk_mul_f32 v[122:123], v[242:243], v[122:123] op_sel_hi:[1,0]
	v_pk_add_f32 v[128:129], v[128:129], v[250:251]
	v_pk_fma_f32 v[120:121], v[180:181], v[164:165], v[120:121] neg_lo:[0,0,1] neg_hi:[0,0,1]
	v_pk_mul_f32 v[124:125], v[184:185], v[168:169] op_sel:[1,1] op_sel_hi:[0,1]
	v_mov_b32_e32 v121, v131
	v_pk_fma_f32 v[130:131], v[182:183], v[166:167], v[122:123] op_sel_hi:[1,0,1]
	v_pk_add_f32 v[128:129], v[128:129], v[252:253]
	v_pk_fma_f32 v[122:123], v[182:183], v[166:167], v[122:123] neg_lo:[0,0,1] neg_hi:[0,0,1]
	v_pk_fma_f32 v[134:135], v[184:185], v[168:169], v[124:125] op_sel_hi:[1,0,1]
	v_pk_mul_f32 v[126:127], v[244:245], v[126:127] op_sel_hi:[1,0]
	v_mov_b32_e32 v123, v131
	v_pk_add_f32 v[120:121], v[128:129], v[120:121]
	s_wait_loadcnt 0x2
	v_pk_mul_f32 v[132:133], v[188:189], v[172:173] op_sel:[1,1] op_sel_hi:[0,1]
	v_mov_b32_e32 v128, v175
	v_pk_fma_f32 v[124:125], v[184:185], v[168:169], v[124:125] neg_lo:[0,0,1] neg_hi:[0,0,1]
	v_pk_fma_f32 v[130:131], v[186:187], v[170:171], v[126:127] op_sel_hi:[1,0,1]
	v_mov_b32_e32 v125, v135
	v_pk_add_f32 v[120:121], v[120:121], v[122:123]
	v_pk_fma_f32 v[122:123], v[188:189], v[172:173], v[132:133] op_sel_hi:[1,0,1]
	v_pk_mul_f32 v[128:129], v[246:247], v[128:129] op_sel_hi:[1,0]
	v_pk_fma_f32 v[126:127], v[186:187], v[170:171], v[126:127] neg_lo:[0,0,1] neg_hi:[0,0,1]
	v_mov_b32_e32 v127, v131
	v_pk_add_f32 v[120:121], v[120:121], v[124:125]
	v_pk_fma_f32 v[130:131], v[188:189], v[172:173], v[132:133] neg_lo:[0,0,1] neg_hi:[0,0,1]
	v_mov_b32_e32 v131, v123
	v_pk_fma_f32 v[122:123], v[190:191], v[174:175], v[128:129] op_sel_hi:[1,0,1]
	s_wait_loadcnt 0x1
	v_pk_mul_f32 v[124:125], v[192:193], v[176:177] op_sel:[1,1] op_sel_hi:[0,1]
	v_pk_add_f32 v[120:121], v[120:121], v[126:127]
	v_mov_b32_e32 v122, v179
	v_pk_fma_f32 v[128:129], v[190:191], v[174:175], v[128:129] neg_lo:[0,0,1] neg_hi:[0,0,1]
	s_delay_alu instid0(VALU_DEP_4)
	v_pk_fma_f32 v[126:127], v[192:193], v[176:177], v[124:125] op_sel_hi:[1,0,1]
	v_mov_b32_e32 v129, v123
	v_pk_add_f32 v[120:121], v[120:121], v[130:131]
	v_pk_mul_f32 v[122:123], v[248:249], v[122:123] op_sel_hi:[1,0]
	v_pk_fma_f32 v[124:125], v[192:193], v[176:177], v[124:125] neg_lo:[0,0,1] neg_hi:[0,0,1]
	v_mov_b32_e32 v125, v127
	s_delay_alu instid0(VALU_DEP_4) | instskip(NEXT) | instid1(VALU_DEP_4)
	v_pk_add_f32 v[120:121], v[120:121], v[128:129]
	v_pk_fma_f32 v[126:127], v[194:195], v[178:179], v[122:123] op_sel_hi:[1,0,1]
	v_pk_fma_f32 v[122:123], v[194:195], v[178:179], v[122:123] neg_lo:[0,0,1] neg_hi:[0,0,1]
	s_delay_alu instid0(VALU_DEP_3) | instskip(NEXT) | instid1(VALU_DEP_3)
	v_pk_add_f32 v[120:121], v[120:121], v[124:125]
	v_mov_b32_e32 v123, v127
	s_delay_alu instid0(VALU_DEP_1) | instskip(SKIP_1) | instid1(VALU_DEP_1)
	v_pk_add_f32 v[120:121], v[120:121], v[122:123]
	s_wait_loadcnt 0x0
	v_pk_add_f32 v[120:121], v[240:241], v[120:121] neg_lo:[0,1] neg_hi:[0,1]
	scratch_store_b64 off, v[120:121], off offset:224
	s_wait_xcnt 0x0
	v_cmpx_lt_u32_e32 27, v0
	s_cbranch_execz .LBB122_313
; %bb.312:
	scratch_load_b64 v[120:121], off, off offset:216
	v_mov_b64_e32 v[122:123], 0
	scratch_store_b64 off, v[122:123], off offset:216
	s_wait_loadcnt 0x0
	ds_store_b64 v1, v[120:121]
.LBB122_313:
	s_wait_xcnt 0x0
	s_or_b32 exec_lo, exec_lo, s0
	s_wait_storecnt_dscnt 0x0
	s_barrier_signal -1
	s_barrier_wait -1
	s_clause 0x10
	scratch_load_b128 v[120:123], off, off offset:224
	scratch_load_b128 v[124:127], off, off offset:240
	;; [unrolled: 1-line block ×15, first 2 shown]
	scratch_load_b64 v[240:241], off, off offset:464
	scratch_load_b64 v[242:243], off, off offset:216
	v_mov_b32_e32 v7, 0
	ds_load_b128 v[180:183], v7 offset:880
	ds_load_b128 v[184:187], v7 offset:896
	;; [unrolled: 1-line block ×15, first 2 shown]
	ds_load_b64 v[244:245], v7 offset:944
	s_mov_b32 s0, exec_lo
	s_wait_dscnt 0xf
	v_dual_mov_b32 v246, v183 :: v_dual_mov_b32 v247, v182
	s_wait_dscnt 0xc
	v_dual_mov_b32 v248, v187 :: v_dual_mov_b32 v253, v194
	v_dual_mov_b32 v249, v186 :: v_dual_mov_b32 v250, v191
	;; [unrolled: 1-line block ×3, first 2 shown]
	s_wait_loadcnt_dscnt 0x100b
	v_dual_mul_f32 v9, v196, v121 :: v_dual_mul_f32 v11, v198, v123
	s_wait_loadcnt_dscnt 0xf09
	v_dual_mul_f32 v13, v204, v125 :: v_dual_mul_f32 v53, v199, v123
	;; [unrolled: 2-line block ×3, first 2 shown]
	v_dual_mul_f32 v51, v197, v121 :: v_dual_fmac_f32 v9, v197, v120
	s_delay_alu instid0(VALU_DEP_3) | instskip(SKIP_2) | instid1(VALU_DEP_3)
	v_fma_f32 v53, v198, v122, -v53
	v_dual_mul_f32 v15, v206, v127 :: v_dual_mul_f32 v17, v208, v129
	s_wait_loadcnt 0x6
	v_dual_mul_f32 v255, v202, v163 :: v_dual_fma_f32 v51, v196, v120, -v51
	v_dual_fmac_f32 v11, v199, v122 :: v_dual_add_f32 v9, 0, v9
	v_dual_mul_f32 v57, v207, v127 :: v_dual_mul_f32 v59, v209, v129
	s_wait_dscnt 0x6
	s_delay_alu instid0(VALU_DEP_3) | instskip(SKIP_1) | instid1(VALU_DEP_2)
	v_dual_add_f32 v51, 0, v51 :: v_dual_mul_f32 v67, v217, v137
	v_dual_fmac_f32 v13, v205, v124 :: v_dual_fma_f32 v55, v204, v124, -v55
	v_dual_add_f32 v9, v9, v11 :: v_dual_add_f32 v11, v51, v53
	v_dual_mul_f32 v51, v219, v139 :: v_dual_fma_f32 v53, v206, v126, -v57
	s_delay_alu instid0(VALU_DEP_2) | instskip(SKIP_1) | instid1(VALU_DEP_3)
	v_dual_fmac_f32 v15, v207, v126 :: v_dual_add_f32 v9, v9, v13
	s_wait_dscnt 0x5
	v_dual_add_f32 v11, v11, v55 :: v_dual_mul_f32 v13, v221, v141
	v_dual_mul_f32 v19, v210, v131 :: v_dual_mul_f32 v21, v212, v133
	v_dual_mul_f32 v61, v211, v131 :: v_dual_mul_f32 v63, v213, v133
	v_dual_fmac_f32 v17, v209, v128 :: v_dual_fma_f32 v55, v208, v128, -v59
	s_delay_alu instid0(VALU_DEP_4) | instskip(NEXT) | instid1(VALU_DEP_3)
	v_dual_add_f32 v9, v9, v15 :: v_dual_add_f32 v11, v11, v53
	v_dual_mul_f32 v15, v223, v143 :: v_dual_fma_f32 v53, v210, v130, -v61
	s_delay_alu instid0(VALU_DEP_2) | instskip(SKIP_1) | instid1(VALU_DEP_3)
	v_dual_fmac_f32 v19, v211, v130 :: v_dual_add_f32 v9, v9, v17
	s_wait_dscnt 0x4
	v_dual_add_f32 v11, v11, v55 :: v_dual_mul_f32 v17, v225, v145
	v_dual_mul_f32 v23, v214, v135 :: v_dual_mul_f32 v25, v216, v137
	v_dual_fmac_f32 v21, v213, v132 :: v_dual_fma_f32 v55, v212, v132, -v63
	s_delay_alu instid0(VALU_DEP_3) | instskip(SKIP_1) | instid1(VALU_DEP_2)
	v_dual_add_f32 v9, v9, v19 :: v_dual_add_f32 v11, v11, v53
	v_dual_mul_f32 v19, v227, v147 :: v_dual_fma_f32 v53, v214, v134, -v65
	v_dual_fmac_f32 v23, v215, v134 :: v_dual_add_f32 v9, v9, v21
	s_wait_dscnt 0x3
	s_delay_alu instid0(VALU_DEP_3) | instskip(SKIP_2) | instid1(VALU_DEP_3)
	v_dual_add_f32 v11, v11, v55 :: v_dual_mul_f32 v21, v229, v149
	v_dual_mul_f32 v27, v218, v139 :: v_dual_mul_f32 v29, v220, v141
	v_dual_fmac_f32 v25, v217, v136 :: v_dual_fma_f32 v55, v216, v136, -v67
	v_dual_add_f32 v9, v9, v23 :: v_dual_add_f32 v11, v11, v53
	v_dual_mul_f32 v23, v231, v151 :: v_dual_fma_f32 v51, v218, v138, -v51
	s_delay_alu instid0(VALU_DEP_2) | instskip(SKIP_1) | instid1(VALU_DEP_3)
	v_dual_fmac_f32 v27, v219, v138 :: v_dual_add_f32 v9, v9, v25
	s_wait_dscnt 0x2
	v_dual_add_f32 v11, v11, v55 :: v_dual_mul_f32 v25, v233, v153
	v_dual_mul_f32 v31, v222, v143 :: v_dual_mul_f32 v33, v224, v145
	s_delay_alu instid0(VALU_DEP_2) | instskip(SKIP_2) | instid1(VALU_DEP_4)
	v_dual_fmac_f32 v29, v221, v140 :: v_dual_add_f32 v11, v11, v51
	v_dual_fma_f32 v13, v220, v140, -v13 :: v_dual_add_f32 v9, v9, v27
	v_dual_mul_f32 v27, v235, v155 :: v_dual_fma_f32 v15, v222, v142, -v15
	v_fmac_f32_e32 v31, v223, v142
	s_delay_alu instid0(VALU_DEP_3) | instskip(NEXT) | instid1(VALU_DEP_4)
	v_dual_add_f32 v11, v11, v13 :: v_dual_fmac_f32 v33, v225, v144
	v_dual_add_f32 v9, v9, v29 :: v_dual_mul_f32 v35, v226, v147
	v_mul_f32_e32 v37, v228, v149
	s_wait_dscnt 0x1
	v_dual_mul_f32 v13, v237, v157 :: v_dual_fma_f32 v17, v224, v144, -v17
	s_delay_alu instid0(VALU_DEP_3) | instskip(SKIP_1) | instid1(VALU_DEP_2)
	v_dual_add_f32 v9, v9, v31 :: v_dual_fmac_f32 v35, v227, v146
	v_dual_add_f32 v11, v11, v15 :: v_dual_fma_f32 v19, v226, v146, -v19
	v_dual_mul_f32 v15, v239, v159 :: v_dual_add_f32 v9, v9, v33
	v_dual_mul_f32 v39, v230, v151 :: v_dual_mul_f32 v41, v232, v153
	s_delay_alu instid0(VALU_DEP_3) | instskip(SKIP_1) | instid1(VALU_DEP_3)
	v_dual_add_f32 v11, v11, v17 :: v_dual_fmac_f32 v37, v229, v148
	v_dual_mul_f32 v17, v201, v161 :: v_dual_fma_f32 v21, v228, v148, -v21
	v_dual_add_f32 v9, v9, v35 :: v_dual_fmac_f32 v39, v231, v150
	s_delay_alu instid0(VALU_DEP_3) | instskip(NEXT) | instid1(VALU_DEP_2)
	v_dual_add_f32 v11, v11, v19 :: v_dual_fma_f32 v23, v230, v150, -v23
	v_dual_mul_f32 v19, v203, v163 :: v_dual_add_f32 v9, v9, v37
	v_dual_mul_f32 v43, v234, v155 :: v_dual_mul_f32 v45, v236, v157
	s_delay_alu instid0(VALU_DEP_3) | instskip(SKIP_3) | instid1(VALU_DEP_3)
	v_dual_add_f32 v11, v11, v21 :: v_dual_fmac_f32 v41, v233, v152
	s_wait_loadcnt 0x5
	v_dual_mul_f32 v21, v181, v165 :: v_dual_fma_f32 v25, v232, v152, -v25
	v_dual_add_f32 v9, v9, v39 :: v_dual_mov_b32 v120, v167
	v_dual_add_f32 v11, v11, v23 :: v_dual_fma_f32 v23, v234, v154, -v27
	s_delay_alu instid0(VALU_DEP_2) | instskip(SKIP_1) | instid1(VALU_DEP_3)
	v_dual_fmac_f32 v43, v235, v154 :: v_dual_add_f32 v9, v9, v41
	v_dual_mul_f32 v47, v238, v159 :: v_dual_mul_f32 v49, v200, v161
	v_dual_add_f32 v11, v11, v25 :: v_dual_fmac_f32 v45, v237, v156
	s_delay_alu instid0(VALU_DEP_3) | instskip(SKIP_2) | instid1(VALU_DEP_3)
	v_dual_fma_f32 v13, v236, v156, -v13 :: v_dual_add_f32 v9, v9, v43
	s_wait_loadcnt 0x4
	v_mov_b32_e32 v124, v171
	v_dual_add_f32 v11, v11, v23 :: v_dual_fma_f32 v15, v238, v158, -v15
	v_dual_fmac_f32 v47, v239, v158 :: v_dual_fmac_f32 v49, v201, v160
	v_add_f32_e32 v9, v9, v45
	s_delay_alu instid0(VALU_DEP_3)
	v_dual_add_f32 v11, v11, v13 :: v_dual_fma_f32 v13, v200, v160, -v17
	v_pk_mul_f32 v[120:121], v[246:247], v[120:121] op_sel_hi:[1,0]
	s_set_vgpr_msb 64                       ;  msbs: dst=1 src0=0 src1=0 src2=0
	v_dual_mul_f32 v1 /*v257*/, v180, v165 :: v_dual_fma_f32 v0 /*v256*/, v180, v164, -v21
	s_set_vgpr_msb 0                        ;  msbs: dst=0 src0=0 src1=0 src2=0
	v_dual_add_f32 v9, v9, v47 :: v_dual_fmac_f32 v255, v203, v162
	v_dual_add_f32 v11, v11, v15 :: v_dual_fma_f32 v254, v202, v162, -v19
	v_pk_fma_f32 v[132:133], v[182:183], v[166:167], v[120:121] op_sel_hi:[1,0,1]
	s_wait_loadcnt 0x3
	s_delay_alu instid0(VALU_DEP_3) | instskip(NEXT) | instid1(VALU_DEP_3)
	v_dual_add_f32 v129, v9, v49 :: v_dual_mov_b32 v130, v175
	v_add_f32_e32 v128, v11, v13
	v_pk_fma_f32 v[120:121], v[182:183], v[166:167], v[120:121] neg_lo:[0,0,1] neg_hi:[0,0,1]
	v_pk_mul_f32 v[122:123], v[184:185], v[168:169] op_sel:[1,1] op_sel_hi:[0,1]
	s_set_vgpr_msb 64                       ;  msbs: dst=1 src0=0 src1=0 src2=0
	v_fmac_f32_e32 v1 /*v257*/, v181, v164
	s_set_vgpr_msb 0                        ;  msbs: dst=0 src0=0 src1=0 src2=0
	v_mov_b32_e32 v121, v133
	v_pk_add_f32 v[128:129], v[128:129], v[254:255]
	v_pk_mul_f32 v[124:125], v[248:249], v[124:125] op_sel_hi:[1,0]
	v_pk_fma_f32 v[134:135], v[184:185], v[168:169], v[122:123] op_sel_hi:[1,0,1]
	v_pk_fma_f32 v[122:123], v[184:185], v[168:169], v[122:123] neg_lo:[0,0,1] neg_hi:[0,0,1]
	v_pk_mul_f32 v[126:127], v[188:189], v[172:173] op_sel:[1,1] op_sel_hi:[0,1]
	s_set_vgpr_msb 4                        ;  msbs: dst=0 src0=0 src1=1 src2=0
	v_pk_add_f32 v[128:129], v[128:129], v[0:1] /*v[256:257]*/
	s_set_vgpr_msb 0                        ;  msbs: dst=0 src0=0 src1=0 src2=0
	v_pk_mul_f32 v[130:131], v[250:251], v[130:131] op_sel_hi:[1,0]
	v_mov_b32_e32 v123, v135
	v_pk_fma_f32 v[134:135], v[186:187], v[170:171], v[124:125] op_sel_hi:[1,0,1]
	v_pk_fma_f32 v[124:125], v[186:187], v[170:171], v[124:125] neg_lo:[0,0,1] neg_hi:[0,0,1]
	v_pk_add_f32 v[120:121], v[128:129], v[120:121]
	v_pk_fma_f32 v[128:129], v[188:189], v[172:173], v[126:127] op_sel_hi:[1,0,1]
	v_pk_fma_f32 v[126:127], v[188:189], v[172:173], v[126:127] neg_lo:[0,0,1] neg_hi:[0,0,1]
	v_mov_b32_e32 v125, v135
	s_wait_loadcnt 0x2
	v_pk_mul_f32 v[132:133], v[192:193], v[176:177] op_sel:[1,1] op_sel_hi:[0,1]
	v_pk_add_f32 v[120:121], v[120:121], v[122:123]
	v_dual_mov_b32 v122, v179 :: v_dual_mov_b32 v127, v129
	v_pk_fma_f32 v[128:129], v[190:191], v[174:175], v[130:131] op_sel_hi:[1,0,1]
	v_pk_fma_f32 v[130:131], v[190:191], v[174:175], v[130:131] neg_lo:[0,0,1] neg_hi:[0,0,1]
	s_delay_alu instid0(VALU_DEP_4)
	v_pk_add_f32 v[120:121], v[120:121], v[124:125]
	v_pk_fma_f32 v[124:125], v[192:193], v[176:177], v[132:133] op_sel_hi:[1,0,1]
	v_pk_mul_f32 v[122:123], v[252:253], v[122:123] op_sel_hi:[1,0]
	v_mov_b32_e32 v131, v129
	s_wait_loadcnt_dscnt 0x100
	v_pk_mul_f32 v[128:129], v[244:245], v[240:241] op_sel:[1,1] op_sel_hi:[0,1]
	v_pk_add_f32 v[120:121], v[120:121], v[126:127]
	v_pk_fma_f32 v[126:127], v[192:193], v[176:177], v[132:133] neg_lo:[0,0,1] neg_hi:[0,0,1]
	v_mov_b32_e32 v127, v125
	v_pk_fma_f32 v[124:125], v[194:195], v[178:179], v[122:123] op_sel_hi:[1,0,1]
	v_pk_fma_f32 v[122:123], v[194:195], v[178:179], v[122:123] neg_lo:[0,0,1] neg_hi:[0,0,1]
	v_pk_add_f32 v[120:121], v[120:121], v[130:131]
	s_delay_alu instid0(VALU_DEP_3) | instskip(SKIP_1) | instid1(VALU_DEP_3)
	v_mov_b32_e32 v123, v125
	v_pk_fma_f32 v[124:125], v[244:245], v[240:241], v[128:129] op_sel_hi:[1,0,1]
	v_pk_add_f32 v[120:121], v[120:121], v[126:127]
	v_pk_fma_f32 v[126:127], v[244:245], v[240:241], v[128:129] neg_lo:[0,0,1] neg_hi:[0,0,1]
	s_delay_alu instid0(VALU_DEP_3) | instskip(NEXT) | instid1(VALU_DEP_3)
	v_mov_b32_e32 v127, v125
	v_pk_add_f32 v[120:121], v[120:121], v[122:123]
	s_delay_alu instid0(VALU_DEP_1) | instskip(SKIP_1) | instid1(VALU_DEP_1)
	v_pk_add_f32 v[120:121], v[120:121], v[126:127]
	s_wait_loadcnt 0x0
	v_pk_add_f32 v[120:121], v[242:243], v[120:121] neg_lo:[0,1] neg_hi:[0,1]
	scratch_store_b64 off, v[120:121], off offset:216
	s_wait_xcnt 0x0
	v_cmpx_lt_u32_e32 26, v0
	s_cbranch_execz .LBB122_315
; %bb.314:
	scratch_load_b64 v[120:121], off, off offset:208
	v_mov_b64_e32 v[122:123], 0
	scratch_store_b64 off, v[122:123], off offset:208
	s_wait_loadcnt 0x0
	ds_store_b64 v1, v[120:121]
.LBB122_315:
	s_wait_xcnt 0x0
	s_or_b32 exec_lo, exec_lo, s0
	s_wait_storecnt_dscnt 0x0
	s_barrier_signal -1
	s_barrier_wait -1
	s_clause 0x10
	scratch_load_b128 v[120:123], off, off offset:216
	scratch_load_b128 v[124:127], off, off offset:232
	;; [unrolled: 1-line block ×16, first 2 shown]
	scratch_load_b64 v[248:249], off, off offset:208
	ds_load_2addr_b64 v[184:187], v7 offset0:111 offset1:112
	ds_load_2addr_b64 v[188:191], v7 offset0:113 offset1:114
	;; [unrolled: 1-line block ×16, first 2 shown]
	s_mov_b32 s0, exec_lo
	s_wait_dscnt 0xf
	v_dual_mov_b32 v250, v187 :: v_dual_mov_b32 v251, v186
	s_wait_dscnt 0xe
	v_dual_mov_b32 v252, v191 :: v_dual_mov_b32 v253, v190
	;; [unrolled: 2-line block ×3, first 2 shown]
	s_wait_dscnt 0xc
	s_set_vgpr_msb 64                       ;  msbs: dst=1 src0=0 src1=0 src2=0
	v_dual_mov_b32 v0 /*v256*/, v199 :: v_dual_mov_b32 v1 /*v257*/, v198
	s_wait_loadcnt_dscnt 0x100b
	s_set_vgpr_msb 0                        ;  msbs: dst=0 src0=0 src1=0 src2=0
	v_dual_mul_f32 v7, v200, v121 :: v_dual_mul_f32 v9, v202, v123
	v_dual_mul_f32 v51, v201, v121 :: v_dual_mul_f32 v53, v203, v123
	s_wait_loadcnt_dscnt 0xf0a
	v_dual_mul_f32 v11, v204, v125 :: v_dual_mul_f32 v13, v206, v127
	s_delay_alu instid0(VALU_DEP_3) | instskip(SKIP_3) | instid1(VALU_DEP_3)
	v_dual_fmac_f32 v7, v201, v120 :: v_dual_fmac_f32 v9, v203, v122
	s_wait_loadcnt_dscnt 0xd08
	v_dual_fma_f32 v51, v200, v120, -v51 :: v_dual_mul_f32 v63, v213, v133
	v_dual_mul_f32 v55, v205, v125 :: v_dual_mul_f32 v57, v207, v127
	v_dual_fma_f32 v53, v202, v122, -v53 :: v_dual_add_f32 v7, 0, v7
	s_delay_alu instid0(VALU_DEP_3) | instskip(SKIP_1) | instid1(VALU_DEP_4)
	v_dual_add_f32 v51, 0, v51 :: v_dual_fmac_f32 v11, v205, v124
	v_dual_mul_f32 v15, v208, v129 :: v_dual_mul_f32 v17, v210, v131
	v_dual_mul_f32 v65, v215, v135 :: v_dual_fma_f32 v55, v204, v124, -v55
	s_delay_alu instid0(VALU_DEP_4) | instskip(NEXT) | instid1(VALU_DEP_3)
	v_add_f32_e32 v7, v7, v9
	v_dual_add_f32 v9, v51, v53 :: v_dual_fmac_f32 v15, v209, v128
	v_dual_mul_f32 v59, v209, v129 :: v_dual_mul_f32 v61, v211, v131
	s_wait_loadcnt_dscnt 0xc07
	v_dual_mul_f32 v51, v217, v137 :: v_dual_fmac_f32 v13, v207, v126
	v_dual_fma_f32 v53, v206, v126, -v57 :: v_dual_add_f32 v7, v7, v11
	s_delay_alu instid0(VALU_DEP_3) | instskip(SKIP_1) | instid1(VALU_DEP_3)
	v_dual_add_f32 v9, v9, v55 :: v_dual_fma_f32 v55, v208, v128, -v59
	v_dual_mul_f32 v19, v212, v133 :: v_dual_mul_f32 v21, v214, v135
	v_add_f32_e32 v7, v7, v13
	s_delay_alu instid0(VALU_DEP_3) | instskip(SKIP_2) | instid1(VALU_DEP_3)
	v_dual_mul_f32 v11, v219, v139 :: v_dual_add_f32 v9, v9, v53
	s_wait_loadcnt_dscnt 0xb06
	v_dual_mul_f32 v13, v221, v141 :: v_dual_fmac_f32 v17, v211, v130
	v_dual_fma_f32 v53, v210, v130, -v61 :: v_dual_add_f32 v7, v7, v15
	s_delay_alu instid0(VALU_DEP_3) | instskip(SKIP_1) | instid1(VALU_DEP_3)
	v_dual_add_f32 v9, v9, v55 :: v_dual_fma_f32 v55, v212, v132, -v63
	v_dual_mul_f32 v15, v223, v143 :: v_dual_fmac_f32 v19, v213, v132
	v_add_f32_e32 v7, v7, v17
	s_delay_alu instid0(VALU_DEP_3)
	v_dual_add_f32 v9, v9, v53 :: v_dual_fmac_f32 v21, v215, v134
	v_dual_mul_f32 v23, v216, v137 :: v_dual_mul_f32 v25, v218, v139
	s_wait_loadcnt_dscnt 0xa05
	v_dual_fma_f32 v53, v214, v134, -v65 :: v_dual_mul_f32 v17, v225, v145
	v_add_f32_e32 v7, v7, v19
	v_dual_add_f32 v9, v9, v55 :: v_dual_fma_f32 v51, v216, v136, -v51
	v_dual_mul_f32 v19, v227, v147 :: v_dual_fmac_f32 v23, v217, v136
	s_delay_alu instid0(VALU_DEP_3) | instskip(NEXT) | instid1(VALU_DEP_3)
	v_dual_add_f32 v7, v7, v21 :: v_dual_fma_f32 v11, v218, v138, -v11
	v_dual_add_f32 v9, v9, v53 :: v_dual_fmac_f32 v25, v219, v138
	v_dual_mul_f32 v27, v220, v141 :: v_dual_mul_f32 v29, v222, v143
	s_wait_loadcnt_dscnt 0x904
	s_delay_alu instid0(VALU_DEP_3) | instskip(NEXT) | instid1(VALU_DEP_3)
	v_dual_mul_f32 v21, v229, v149 :: v_dual_add_f32 v7, v7, v23
	v_dual_add_f32 v9, v9, v51 :: v_dual_fma_f32 v13, v220, v140, -v13
	s_delay_alu instid0(VALU_DEP_3) | instskip(NEXT) | instid1(VALU_DEP_2)
	v_dual_mul_f32 v23, v231, v151 :: v_dual_fmac_f32 v27, v221, v140
	v_dual_add_f32 v7, v7, v25 :: v_dual_add_f32 v9, v9, v11
	v_dual_mul_f32 v31, v224, v145 :: v_dual_mul_f32 v33, v226, v147
	s_wait_loadcnt_dscnt 0x803
	v_dual_mul_f32 v11, v233, v153 :: v_dual_fmac_f32 v29, v223, v142
	s_delay_alu instid0(VALU_DEP_3) | instskip(SKIP_2) | instid1(VALU_DEP_2)
	v_dual_fma_f32 v15, v222, v142, -v15 :: v_dual_add_f32 v7, v7, v27
	v_dual_add_f32 v9, v9, v13 :: v_dual_mul_f32 v13, v235, v155
	v_dual_fmac_f32 v31, v225, v144 :: v_dual_fma_f32 v17, v224, v144, -v17
	v_dual_add_f32 v7, v7, v29 :: v_dual_add_f32 v9, v9, v15
	v_dual_mul_f32 v35, v228, v149 :: v_dual_mul_f32 v37, v230, v151
	s_wait_loadcnt_dscnt 0x702
	v_dual_mul_f32 v15, v237, v157 :: v_dual_fmac_f32 v33, v227, v146
	s_delay_alu instid0(VALU_DEP_3) | instskip(SKIP_2) | instid1(VALU_DEP_2)
	v_dual_fma_f32 v19, v226, v146, -v19 :: v_dual_add_f32 v7, v7, v31
	v_dual_add_f32 v9, v9, v17 :: v_dual_mul_f32 v17, v239, v159
	v_dual_fmac_f32 v35, v229, v148 :: v_dual_fma_f32 v21, v228, v148, -v21
	v_dual_add_f32 v7, v7, v33 :: v_dual_add_f32 v9, v9, v19
	v_dual_mul_f32 v39, v232, v153 :: v_dual_mul_f32 v41, v234, v155
	s_wait_loadcnt_dscnt 0x601
	v_dual_mul_f32 v19, v241, v161 :: v_dual_fmac_f32 v37, v231, v150
	s_delay_alu instid0(VALU_DEP_3) | instskip(SKIP_2) | instid1(VALU_DEP_3)
	v_dual_fma_f32 v23, v230, v150, -v23 :: v_dual_add_f32 v7, v7, v35
	v_dual_add_f32 v9, v9, v21 :: v_dual_mul_f32 v21, v243, v163
	v_fmac_f32_e32 v39, v233, v152
	v_dual_fma_f32 v11, v232, v152, -v11 :: v_dual_add_f32 v7, v7, v37
	s_delay_alu instid0(VALU_DEP_3)
	v_dual_add_f32 v9, v9, v23 :: v_dual_mul_f32 v43, v236, v157
	s_wait_loadcnt_dscnt 0x500
	v_dual_mul_f32 v45, v238, v159 :: v_dual_mul_f32 v23, v245, v165
	v_fmac_f32_e32 v41, v235, v154
	v_dual_fma_f32 v13, v234, v154, -v13 :: v_dual_add_f32 v7, v7, v39
	v_dual_add_f32 v9, v9, v11 :: v_dual_fma_f32 v15, v236, v156, -v15
	v_dual_mul_f32 v11, v247, v167 :: v_dual_fmac_f32 v43, v237, v156
	s_delay_alu instid0(VALU_DEP_3) | instskip(NEXT) | instid1(VALU_DEP_3)
	v_add_f32_e32 v7, v7, v41
	v_dual_add_f32 v9, v9, v13 :: v_dual_fmac_f32 v45, v239, v158
	v_dual_mul_f32 v47, v240, v161 :: v_dual_mul_f32 v49, v242, v163
	s_delay_alu instid0(VALU_DEP_3) | instskip(SKIP_1) | instid1(VALU_DEP_3)
	v_dual_fma_f32 v13, v238, v158, -v17 :: v_dual_add_f32 v7, v7, v43
	s_wait_loadcnt 0x4
	v_dual_add_f32 v9, v9, v15 :: v_dual_mov_b32 v122, v171
	s_delay_alu instid0(VALU_DEP_3) | instskip(NEXT) | instid1(VALU_DEP_3)
	v_fmac_f32_e32 v47, v241, v160
	v_dual_fma_f32 v15, v240, v160, -v19 :: v_dual_add_f32 v7, v7, v45
	s_delay_alu instid0(VALU_DEP_3)
	v_dual_add_f32 v9, v9, v13 :: v_dual_fmac_f32 v49, v243, v162
	s_set_vgpr_msb 64                       ;  msbs: dst=1 src0=0 src1=0 src2=0
	v_dual_mul_f32 v3 /*v259*/, v244, v165 :: v_dual_mul_f32 v5 /*v261*/, v246, v167
	s_set_vgpr_msb 0                        ;  msbs: dst=0 src0=0 src1=0 src2=0
	v_pk_mul_f32 v[120:121], v[184:185], v[168:169] op_sel:[1,1] op_sel_hi:[0,1]
	v_dual_fma_f32 v13, v242, v162, -v21 :: v_dual_add_f32 v7, v7, v47
	s_wait_loadcnt 0x3
	v_dual_add_f32 v9, v9, v15 :: v_dual_mov_b32 v126, v175
	s_set_vgpr_msb 64                       ;  msbs: dst=1 src0=0 src1=0 src2=0
	v_dual_fmac_f32 v3 /*v259*/, v245, v164 :: v_dual_fmac_f32 v5 /*v261*/, v247, v166
	v_fma_f32 v2 /*v258*/, v244, v164, -v23
	s_set_vgpr_msb 0                        ;  msbs: dst=0 src0=0 src1=0 src2=0
	v_add_f32_e32 v129, v7, v49
	v_pk_fma_f32 v[130:131], v[184:185], v[168:169], v[120:121] op_sel_hi:[1,0,1]
	v_add_f32_e32 v128, v9, v13
	v_pk_fma_f32 v[120:121], v[184:185], v[168:169], v[120:121] neg_lo:[0,0,1] neg_hi:[0,0,1]
	s_set_vgpr_msb 64                       ;  msbs: dst=1 src0=0 src1=0 src2=0
	v_fma_f32 v4 /*v260*/, v246, v166, -v11
	s_set_vgpr_msb 0                        ;  msbs: dst=0 src0=0 src1=0 src2=0
	v_pk_mul_f32 v[122:123], v[250:251], v[122:123] op_sel_hi:[1,0]
	v_mov_b32_e32 v121, v131
	s_set_vgpr_msb 4                        ;  msbs: dst=0 src0=0 src1=1 src2=0
	v_pk_add_f32 v[128:129], v[128:129], v[2:3] /*v[258:259]*/
	s_set_vgpr_msb 0                        ;  msbs: dst=0 src0=0 src1=0 src2=0
	v_pk_mul_f32 v[124:125], v[188:189], v[172:173] op_sel:[1,1] op_sel_hi:[0,1]
	v_pk_mul_f32 v[126:127], v[252:253], v[126:127] op_sel_hi:[1,0]
	v_pk_fma_f32 v[130:131], v[186:187], v[170:171], v[122:123] op_sel_hi:[1,0,1]
	v_pk_fma_f32 v[122:123], v[186:187], v[170:171], v[122:123] neg_lo:[0,0,1] neg_hi:[0,0,1]
	s_set_vgpr_msb 4                        ;  msbs: dst=0 src0=0 src1=1 src2=0
	v_pk_add_f32 v[128:129], v[128:129], v[4:5] /*v[260:261]*/
	s_set_vgpr_msb 0                        ;  msbs: dst=0 src0=0 src1=0 src2=0
	v_pk_fma_f32 v[134:135], v[188:189], v[172:173], v[124:125] op_sel_hi:[1,0,1]
	s_wait_loadcnt 0x2
	v_pk_mul_f32 v[132:133], v[192:193], v[176:177] op_sel:[1,1] op_sel_hi:[0,1]
	v_mov_b32_e32 v123, v131
	v_pk_fma_f32 v[124:125], v[188:189], v[172:173], v[124:125] neg_lo:[0,0,1] neg_hi:[0,0,1]
	v_pk_add_f32 v[120:121], v[128:129], v[120:121]
	v_mov_b32_e32 v128, v179
	v_pk_fma_f32 v[130:131], v[190:191], v[174:175], v[126:127] op_sel_hi:[1,0,1]
	v_mov_b32_e32 v125, v135
	v_pk_fma_f32 v[126:127], v[190:191], v[174:175], v[126:127] neg_lo:[0,0,1] neg_hi:[0,0,1]
	v_pk_add_f32 v[120:121], v[120:121], v[122:123]
	v_pk_fma_f32 v[122:123], v[192:193], v[176:177], v[132:133] op_sel_hi:[1,0,1]
	v_pk_mul_f32 v[128:129], v[254:255], v[128:129] op_sel_hi:[1,0]
	v_mov_b32_e32 v127, v131
	v_pk_fma_f32 v[130:131], v[192:193], v[176:177], v[132:133] neg_lo:[0,0,1] neg_hi:[0,0,1]
	v_pk_add_f32 v[120:121], v[120:121], v[124:125]
	v_mov_b32_e32 v131, v123
	v_pk_fma_f32 v[122:123], v[194:195], v[178:179], v[128:129] op_sel_hi:[1,0,1]
	s_wait_loadcnt 0x1
	v_pk_mul_f32 v[124:125], v[196:197], v[180:181] op_sel:[1,1] op_sel_hi:[0,1]
	v_mov_b32_e32 v122, v183
	v_pk_add_f32 v[120:121], v[120:121], v[126:127]
	v_pk_fma_f32 v[128:129], v[194:195], v[178:179], v[128:129] neg_lo:[0,0,1] neg_hi:[0,0,1]
	s_delay_alu instid0(VALU_DEP_4) | instskip(SKIP_1) | instid1(VALU_DEP_4)
	v_pk_fma_f32 v[126:127], v[196:197], v[180:181], v[124:125] op_sel_hi:[1,0,1]
	v_mov_b32_e32 v129, v123
	v_pk_add_f32 v[120:121], v[120:121], v[130:131]
	s_set_vgpr_msb 1                        ;  msbs: dst=0 src0=1 src1=0 src2=0
	v_pk_mul_f32 v[122:123], v[0:1] /*v[256:257]*/, v[122:123] op_sel_hi:[1,0]
	s_set_vgpr_msb 0                        ;  msbs: dst=0 src0=0 src1=0 src2=0
	v_pk_fma_f32 v[124:125], v[196:197], v[180:181], v[124:125] neg_lo:[0,0,1] neg_hi:[0,0,1]
	v_mov_b32_e32 v125, v127
	v_pk_add_f32 v[120:121], v[120:121], v[128:129]
	v_pk_fma_f32 v[126:127], v[198:199], v[182:183], v[122:123] op_sel_hi:[1,0,1]
	v_pk_fma_f32 v[122:123], v[198:199], v[182:183], v[122:123] neg_lo:[0,0,1] neg_hi:[0,0,1]
	s_delay_alu instid0(VALU_DEP_3) | instskip(NEXT) | instid1(VALU_DEP_3)
	v_pk_add_f32 v[120:121], v[120:121], v[124:125]
	v_mov_b32_e32 v123, v127
	s_delay_alu instid0(VALU_DEP_1) | instskip(SKIP_1) | instid1(VALU_DEP_1)
	v_pk_add_f32 v[120:121], v[120:121], v[122:123]
	s_wait_loadcnt 0x0
	v_pk_add_f32 v[120:121], v[248:249], v[120:121] neg_lo:[0,1] neg_hi:[0,1]
	scratch_store_b64 off, v[120:121], off offset:208
	s_wait_xcnt 0x0
	v_cmpx_lt_u32_e32 25, v0
	s_cbranch_execz .LBB122_317
; %bb.316:
	scratch_load_b64 v[120:121], off, off offset:200
	v_mov_b64_e32 v[122:123], 0
	scratch_store_b64 off, v[122:123], off offset:200
	s_wait_loadcnt 0x0
	ds_store_b64 v1, v[120:121]
.LBB122_317:
	s_wait_xcnt 0x0
	s_or_b32 exec_lo, exec_lo, s0
	s_wait_storecnt_dscnt 0x0
	s_barrier_signal -1
	s_barrier_wait -1
	s_clause 0x11
	scratch_load_b128 v[120:123], off, off offset:208
	scratch_load_b128 v[124:127], off, off offset:224
	;; [unrolled: 1-line block ×16, first 2 shown]
	scratch_load_b64 v[248:249], off, off offset:464
	scratch_load_b64 v[250:251], off, off offset:200
	v_mov_b32_e32 v7, 0
	ds_load_b128 v[184:187], v7 offset:880
	ds_load_b128 v[188:191], v7 offset:896
	ds_load_b128 v[192:195], v7 offset:912
	ds_load_b128 v[196:199], v7 offset:928
	ds_load_b128 v[200:203], v7 offset:688
	ds_load_b128 v[204:207], v7 offset:704
	ds_load_b128 v[208:211], v7 offset:720
	ds_load_b128 v[212:215], v7 offset:736
	ds_load_b128 v[216:219], v7 offset:752
	ds_load_b128 v[220:223], v7 offset:768
	ds_load_b128 v[224:227], v7 offset:784
	ds_load_b128 v[228:231], v7 offset:800
	ds_load_b128 v[232:235], v7 offset:816
	ds_load_b128 v[236:239], v7 offset:832
	ds_load_b128 v[240:243], v7 offset:848
	ds_load_b128 v[244:247], v7 offset:864
	ds_load_b64 v[252:253], v7 offset:944
	s_mov_b32 s0, exec_lo
	s_wait_dscnt 0x10
	v_dual_mov_b32 v255, v186 :: v_dual_mov_b32 v254, v187
	s_wait_dscnt 0xf
	s_set_vgpr_msb 64                       ;  msbs: dst=1 src0=0 src1=0 src2=0
	v_dual_mov_b32 v0 /*v256*/, v191 :: v_dual_mov_b32 v1 /*v257*/, v190
	s_wait_dscnt 0xe
	v_dual_mov_b32 v2 /*v258*/, v195 :: v_dual_mov_b32 v3 /*v259*/, v194
	s_wait_dscnt 0xd
	v_dual_mov_b32 v4 /*v260*/, v199 :: v_dual_mov_b32 v5 /*v261*/, v198
	s_wait_loadcnt_dscnt 0x110c
	s_set_vgpr_msb 0                        ;  msbs: dst=0 src0=0 src1=0 src2=0
	v_dual_mul_f32 v9, v200, v121 :: v_dual_mul_f32 v55, v201, v121
	v_dual_mul_f32 v57, v203, v123 :: v_dual_mul_f32 v11, v202, v123
	s_wait_loadcnt_dscnt 0x100b
	v_mul_f32_e32 v13, v204, v125
	s_wait_loadcnt_dscnt 0xe09
	v_dual_mul_f32 v67, v213, v133 :: v_dual_fma_f32 v55, v200, v120, -v55
	v_dual_fmac_f32 v9, v201, v120 :: v_dual_mul_f32 v69, v215, v135
	v_dual_mul_f32 v59, v205, v125 :: v_dual_mul_f32 v61, v207, v127
	v_dual_fmac_f32 v11, v203, v122 :: v_dual_fma_f32 v57, v202, v122, -v57
	s_delay_alu instid0(VALU_DEP_3) | instskip(SKIP_4) | instid1(VALU_DEP_3)
	v_dual_add_f32 v9, 0, v9 :: v_dual_add_f32 v55, 0, v55
	v_dual_mul_f32 v15, v206, v127 :: v_dual_mul_f32 v17, v208, v129
	s_wait_loadcnt_dscnt 0xd08
	v_dual_mul_f32 v71, v217, v137 :: v_dual_fma_f32 v59, v204, v124, -v59
	v_fmac_f32_e32 v13, v205, v124
	v_dual_add_f32 v9, v9, v11 :: v_dual_fmac_f32 v15, v207, v126
	v_add_f32_e32 v11, v55, v57
	v_dual_mul_f32 v63, v209, v129 :: v_dual_mul_f32 v65, v211, v131
	v_dual_mul_f32 v55, v219, v139 :: v_dual_fma_f32 v57, v206, v126, -v61
	s_delay_alu instid0(VALU_DEP_3) | instskip(SKIP_3) | instid1(VALU_DEP_3)
	v_dual_add_f32 v9, v9, v13 :: v_dual_add_f32 v11, v11, v59
	v_dual_mul_f32 v19, v210, v131 :: v_dual_mul_f32 v21, v212, v133
	s_wait_loadcnt_dscnt 0xc07
	v_dual_mul_f32 v13, v221, v141 :: v_dual_fma_f32 v59, v208, v128, -v63
	v_dual_fmac_f32 v17, v209, v128 :: v_dual_add_f32 v11, v11, v57
	s_delay_alu instid0(VALU_DEP_3) | instskip(SKIP_1) | instid1(VALU_DEP_2)
	v_dual_add_f32 v9, v9, v15 :: v_dual_fmac_f32 v19, v211, v130
	v_dual_mul_f32 v15, v223, v143 :: v_dual_fma_f32 v57, v210, v130, -v65
	v_dual_add_f32 v11, v11, v59 :: v_dual_add_f32 v9, v9, v17
	v_dual_mul_f32 v23, v214, v135 :: v_dual_mul_f32 v25, v216, v137
	s_wait_loadcnt_dscnt 0xb06
	v_dual_mul_f32 v17, v225, v145 :: v_dual_fma_f32 v59, v212, v132, -v67
	s_delay_alu instid0(VALU_DEP_3) | instskip(NEXT) | instid1(VALU_DEP_3)
	v_dual_fmac_f32 v21, v213, v132 :: v_dual_add_f32 v11, v11, v57
	v_dual_add_f32 v9, v9, v19 :: v_dual_fmac_f32 v23, v215, v134
	v_dual_mul_f32 v19, v227, v147 :: v_dual_fma_f32 v57, v214, v134, -v69
	s_delay_alu instid0(VALU_DEP_2) | instskip(SKIP_3) | instid1(VALU_DEP_3)
	v_dual_add_f32 v11, v11, v59 :: v_dual_add_f32 v9, v9, v21
	v_dual_mul_f32 v27, v218, v139 :: v_dual_mul_f32 v29, v220, v141
	s_wait_loadcnt_dscnt 0xa05
	v_dual_mul_f32 v21, v229, v149 :: v_dual_fma_f32 v59, v216, v136, -v71
	v_dual_fmac_f32 v25, v217, v136 :: v_dual_add_f32 v11, v11, v57
	s_delay_alu instid0(VALU_DEP_3) | instskip(SKIP_1) | instid1(VALU_DEP_2)
	v_dual_add_f32 v9, v9, v23 :: v_dual_fmac_f32 v27, v219, v138
	v_dual_mul_f32 v23, v231, v151 :: v_dual_fma_f32 v55, v218, v138, -v55
	v_dual_add_f32 v11, v11, v59 :: v_dual_add_f32 v9, v9, v25
	v_dual_mul_f32 v31, v222, v143 :: v_dual_mul_f32 v33, v224, v145
	s_wait_loadcnt_dscnt 0x904
	v_dual_mul_f32 v25, v233, v153 :: v_dual_fma_f32 v13, v220, v140, -v13
	s_delay_alu instid0(VALU_DEP_3) | instskip(NEXT) | instid1(VALU_DEP_3)
	v_dual_fmac_f32 v29, v221, v140 :: v_dual_add_f32 v11, v11, v55
	v_dual_add_f32 v9, v9, v27 :: v_dual_fmac_f32 v31, v223, v142
	v_dual_mul_f32 v27, v235, v155 :: v_dual_fma_f32 v15, v222, v142, -v15
	s_delay_alu instid0(VALU_DEP_3) | instskip(NEXT) | instid1(VALU_DEP_3)
	v_dual_add_f32 v11, v11, v13 :: v_dual_fmac_f32 v33, v225, v144
	v_dual_add_f32 v9, v9, v29 :: v_dual_fma_f32 v17, v224, v144, -v17
	v_dual_mul_f32 v35, v226, v147 :: v_dual_mul_f32 v37, v228, v149
	s_wait_loadcnt_dscnt 0x803
	s_delay_alu instid0(VALU_DEP_3) | instskip(NEXT) | instid1(VALU_DEP_2)
	v_dual_mul_f32 v13, v237, v157 :: v_dual_add_f32 v11, v11, v15
	v_dual_add_f32 v9, v9, v31 :: v_dual_fmac_f32 v35, v227, v146
	v_dual_mul_f32 v15, v239, v159 :: v_dual_fma_f32 v19, v226, v146, -v19
	s_delay_alu instid0(VALU_DEP_3) | instskip(NEXT) | instid1(VALU_DEP_3)
	v_dual_add_f32 v11, v11, v17 :: v_dual_fmac_f32 v37, v229, v148
	v_dual_add_f32 v9, v9, v33 :: v_dual_fma_f32 v21, v228, v148, -v21
	v_dual_mul_f32 v39, v230, v151 :: v_dual_mul_f32 v41, v232, v153
	s_wait_loadcnt_dscnt 0x702
	s_delay_alu instid0(VALU_DEP_3) | instskip(NEXT) | instid1(VALU_DEP_2)
	v_dual_mul_f32 v17, v241, v161 :: v_dual_add_f32 v11, v11, v19
	;; [unrolled: 9-line block ×3, first 2 shown]
	v_dual_add_f32 v9, v9, v39 :: v_dual_fmac_f32 v43, v235, v154
	v_dual_mul_f32 v23, v247, v167 :: v_dual_fma_f32 v27, v234, v154, -v27
	s_delay_alu instid0(VALU_DEP_3) | instskip(NEXT) | instid1(VALU_DEP_3)
	v_dual_add_f32 v11, v11, v25 :: v_dual_fmac_f32 v45, v237, v156
	v_dual_add_f32 v9, v9, v41 :: v_dual_fma_f32 v13, v236, v156, -v13
	v_dual_mul_f32 v47, v238, v159 :: v_dual_mul_f32 v49, v240, v161
	s_wait_loadcnt 0x5
	s_delay_alu instid0(VALU_DEP_3) | instskip(NEXT) | instid1(VALU_DEP_3)
	v_dual_mul_f32 v25, v185, v169 :: v_dual_add_f32 v11, v11, v27
	v_dual_add_f32 v9, v9, v43 :: v_dual_mov_b32 v120, v171
	s_delay_alu instid0(VALU_DEP_3) | instskip(NEXT) | instid1(VALU_DEP_3)
	v_fmac_f32_e32 v47, v239, v158
	v_dual_fma_f32 v15, v238, v158, -v15 :: v_dual_add_f32 v11, v11, v13
	s_delay_alu instid0(VALU_DEP_3) | instskip(SKIP_1) | instid1(VALU_DEP_3)
	v_dual_add_f32 v9, v9, v45 :: v_dual_mul_f32 v51, v242, v163
	v_dual_mul_f32 v53, v244, v165 :: v_dual_fmac_f32 v49, v241, v160
	v_dual_add_f32 v11, v11, v15 :: v_dual_fma_f32 v13, v240, v160, -v17
	s_wait_loadcnt 0x4
	s_delay_alu instid0(VALU_DEP_3) | instskip(SKIP_3) | instid1(VALU_DEP_4)
	v_dual_add_f32 v9, v9, v47 :: v_dual_mov_b32 v124, v175
	v_fma_f32 v15, v242, v162, -v19
	v_fmac_f32_e32 v51, v243, v162
	v_dual_add_f32 v11, v11, v13 :: v_dual_fmac_f32 v53, v245, v164
	v_add_f32_e32 v9, v9, v49
	s_set_vgpr_msb 64                       ;  msbs: dst=1 src0=0 src1=0 src2=0
	v_dual_mul_f32 v7 /*v263*/, v246, v167 :: v_dual_mul_f32 v9 /*v265*/, v184, v169
	s_set_vgpr_msb 0                        ;  msbs: dst=0 src0=0 src1=0 src2=0
	v_fma_f32 v13, v244, v164, -v21
	v_pk_mul_f32 v[120:121], v[254:255], v[120:121] op_sel_hi:[1,0]
	v_add_f32_e32 v9, v9, v51
	v_add_f32_e32 v11, v11, v15
	s_set_vgpr_msb 64                       ;  msbs: dst=1 src0=0 src1=0 src2=0
	v_dual_fmac_f32 v7 /*v263*/, v247, v166 :: v_dual_fmac_f32 v9 /*v265*/, v185, v168
	v_dual_fma_f32 v6 /*v262*/, v246, v166, -v23 :: v_dual_fma_f32 v8 /*v264*/, v184, v168, -v25
	s_set_vgpr_msb 0                        ;  msbs: dst=0 src0=0 src1=0 src2=0
	v_add_f32_e32 v129, v9, v53
	v_pk_fma_f32 v[132:133], v[186:187], v[170:171], v[120:121] op_sel_hi:[1,0,1]
	v_add_f32_e32 v128, v11, v13
	v_pk_fma_f32 v[120:121], v[186:187], v[170:171], v[120:121] neg_lo:[0,0,1] neg_hi:[0,0,1]
	v_pk_mul_f32 v[122:123], v[188:189], v[172:173] op_sel:[1,1] op_sel_hi:[0,1]
	s_set_vgpr_msb 1                        ;  msbs: dst=0 src0=1 src1=0 src2=0
	v_pk_mul_f32 v[124:125], v[0:1] /*v[256:257]*/, v[124:125] op_sel_hi:[1,0]
	s_set_vgpr_msb 4                        ;  msbs: dst=0 src0=0 src1=1 src2=0
	v_mov_b32_e32 v121, v133
	v_pk_add_f32 v[128:129], v[128:129], v[6:7] /*v[262:263]*/
	s_wait_loadcnt 0x3
	s_set_vgpr_msb 0                        ;  msbs: dst=0 src0=0 src1=0 src2=0
	v_pk_mul_f32 v[126:127], v[192:193], v[176:177] op_sel:[1,1] op_sel_hi:[0,1]
	v_pk_fma_f32 v[134:135], v[188:189], v[172:173], v[122:123] op_sel_hi:[1,0,1]
	v_pk_fma_f32 v[122:123], v[188:189], v[172:173], v[122:123] neg_lo:[0,0,1] neg_hi:[0,0,1]
	v_mov_b32_e32 v130, v179
	s_set_vgpr_msb 4                        ;  msbs: dst=0 src0=0 src1=1 src2=0
	v_pk_add_f32 v[128:129], v[128:129], v[8:9] /*v[264:265]*/
	s_wait_loadcnt 0x2
	s_set_vgpr_msb 0                        ;  msbs: dst=0 src0=0 src1=0 src2=0
	v_pk_mul_f32 v[132:133], v[196:197], v[180:181] op_sel:[1,1] op_sel_hi:[0,1]
	v_mov_b32_e32 v123, v135
	v_pk_fma_f32 v[134:135], v[190:191], v[174:175], v[124:125] op_sel_hi:[1,0,1]
	v_pk_fma_f32 v[124:125], v[190:191], v[174:175], v[124:125] neg_lo:[0,0,1] neg_hi:[0,0,1]
	v_pk_add_f32 v[120:121], v[128:129], v[120:121]
	v_pk_fma_f32 v[128:129], v[192:193], v[176:177], v[126:127] op_sel_hi:[1,0,1]
	s_set_vgpr_msb 1                        ;  msbs: dst=0 src0=1 src1=0 src2=0
	v_pk_mul_f32 v[130:131], v[2:3] /*v[258:259]*/, v[130:131] op_sel_hi:[1,0]
	s_set_vgpr_msb 0                        ;  msbs: dst=0 src0=0 src1=0 src2=0
	v_mov_b32_e32 v125, v135
	v_pk_fma_f32 v[126:127], v[192:193], v[176:177], v[126:127] neg_lo:[0,0,1] neg_hi:[0,0,1]
	v_pk_add_f32 v[120:121], v[120:121], v[122:123]
	v_dual_mov_b32 v122, v183 :: v_dual_mov_b32 v127, v129
	v_pk_fma_f32 v[128:129], v[194:195], v[178:179], v[130:131] op_sel_hi:[1,0,1]
	v_pk_fma_f32 v[130:131], v[194:195], v[178:179], v[130:131] neg_lo:[0,0,1] neg_hi:[0,0,1]
	s_delay_alu instid0(VALU_DEP_4)
	v_pk_add_f32 v[120:121], v[120:121], v[124:125]
	v_pk_fma_f32 v[124:125], v[196:197], v[180:181], v[132:133] op_sel_hi:[1,0,1]
	s_set_vgpr_msb 1                        ;  msbs: dst=0 src0=1 src1=0 src2=0
	v_pk_mul_f32 v[122:123], v[4:5] /*v[260:261]*/, v[122:123] op_sel_hi:[1,0]
	s_set_vgpr_msb 0                        ;  msbs: dst=0 src0=0 src1=0 src2=0
	v_mov_b32_e32 v131, v129
	s_wait_loadcnt_dscnt 0x100
	v_pk_mul_f32 v[128:129], v[252:253], v[248:249] op_sel:[1,1] op_sel_hi:[0,1]
	v_pk_add_f32 v[120:121], v[120:121], v[126:127]
	v_pk_fma_f32 v[126:127], v[196:197], v[180:181], v[132:133] neg_lo:[0,0,1] neg_hi:[0,0,1]
	v_mov_b32_e32 v127, v125
	v_pk_fma_f32 v[124:125], v[198:199], v[182:183], v[122:123] op_sel_hi:[1,0,1]
	v_pk_fma_f32 v[122:123], v[198:199], v[182:183], v[122:123] neg_lo:[0,0,1] neg_hi:[0,0,1]
	v_pk_add_f32 v[120:121], v[120:121], v[130:131]
	s_delay_alu instid0(VALU_DEP_3) | instskip(SKIP_1) | instid1(VALU_DEP_3)
	v_mov_b32_e32 v123, v125
	v_pk_fma_f32 v[124:125], v[252:253], v[248:249], v[128:129] op_sel_hi:[1,0,1]
	v_pk_add_f32 v[120:121], v[120:121], v[126:127]
	v_pk_fma_f32 v[126:127], v[252:253], v[248:249], v[128:129] neg_lo:[0,0,1] neg_hi:[0,0,1]
	s_delay_alu instid0(VALU_DEP_3) | instskip(NEXT) | instid1(VALU_DEP_3)
	v_mov_b32_e32 v127, v125
	v_pk_add_f32 v[120:121], v[120:121], v[122:123]
	s_delay_alu instid0(VALU_DEP_1) | instskip(SKIP_1) | instid1(VALU_DEP_1)
	v_pk_add_f32 v[120:121], v[120:121], v[126:127]
	s_wait_loadcnt 0x0
	v_pk_add_f32 v[120:121], v[250:251], v[120:121] neg_lo:[0,1] neg_hi:[0,1]
	scratch_store_b64 off, v[120:121], off offset:200
	s_wait_xcnt 0x0
	v_cmpx_lt_u32_e32 24, v0
	s_cbranch_execz .LBB122_319
; %bb.318:
	scratch_load_b64 v[120:121], off, off offset:192
	v_mov_b64_e32 v[122:123], 0
	scratch_store_b64 off, v[122:123], off offset:192
	s_wait_loadcnt 0x0
	ds_store_b64 v1, v[120:121]
.LBB122_319:
	s_wait_xcnt 0x0
	s_or_b32 exec_lo, exec_lo, s0
	s_wait_storecnt_dscnt 0x0
	s_barrier_signal -1
	s_barrier_wait -1
	s_clause 0x12
	scratch_load_b128 v[120:123], off, off offset:200
	scratch_load_b128 v[124:127], off, off offset:216
	;; [unrolled: 1-line block ×17, first 2 shown]
	s_set_vgpr_msb 64                       ;  msbs: dst=1 src0=0 src1=0 src2=0
	scratch_load_b64 v[0:1] /*v[256:257]*/, off, off offset:192
	s_set_vgpr_msb 0                        ;  msbs: dst=0 src0=0 src1=0 src2=0
	ds_load_2addr_b64 v[188:191], v7 offset0:111 offset1:112
	ds_load_2addr_b64 v[192:195], v7 offset0:113 offset1:114
	;; [unrolled: 1-line block ×17, first 2 shown]
	s_mov_b32 s0, exec_lo
	s_wait_dscnt 0x10
	s_set_vgpr_msb 64                       ;  msbs: dst=1 src0=0 src1=0 src2=0
	v_dual_mov_b32 v2 /*v258*/, v191 :: v_dual_mov_b32 v3 /*v259*/, v190
	s_wait_dscnt 0xf
	v_dual_mov_b32 v4 /*v260*/, v195 :: v_dual_mov_b32 v5 /*v261*/, v194
	s_wait_dscnt 0xe
	;; [unrolled: 2-line block ×3, first 2 shown]
	v_dual_mov_b32 v8 /*v264*/, v203 :: v_dual_mov_b32 v9 /*v265*/, v202
	s_wait_loadcnt_dscnt 0x110b
	s_set_vgpr_msb 0                        ;  msbs: dst=0 src0=0 src1=0 src2=0
	v_dual_mul_f32 v7, v208, v121 :: v_dual_mul_f32 v9, v210, v123
	v_dual_mul_f32 v55, v209, v121 :: v_dual_mul_f32 v57, v211, v123
	s_wait_loadcnt_dscnt 0x100a
	v_dual_mul_f32 v11, v212, v125 :: v_dual_mul_f32 v13, v214, v127
	s_delay_alu instid0(VALU_DEP_3) | instskip(SKIP_3) | instid1(VALU_DEP_3)
	v_dual_fmac_f32 v7, v209, v120 :: v_dual_fmac_f32 v9, v211, v122
	s_wait_loadcnt_dscnt 0xe08
	v_dual_fma_f32 v55, v208, v120, -v55 :: v_dual_mul_f32 v67, v221, v133
	v_dual_mul_f32 v59, v213, v125 :: v_dual_mul_f32 v61, v215, v127
	v_dual_fma_f32 v57, v210, v122, -v57 :: v_dual_add_f32 v7, 0, v7
	s_delay_alu instid0(VALU_DEP_3) | instskip(SKIP_1) | instid1(VALU_DEP_4)
	v_dual_add_f32 v55, 0, v55 :: v_dual_fmac_f32 v11, v213, v124
	v_dual_mul_f32 v15, v216, v129 :: v_dual_mul_f32 v17, v218, v131
	v_dual_mul_f32 v69, v223, v135 :: v_dual_fma_f32 v59, v212, v124, -v59
	s_delay_alu instid0(VALU_DEP_4) | instskip(NEXT) | instid1(VALU_DEP_3)
	v_add_f32_e32 v7, v7, v9
	v_dual_add_f32 v9, v55, v57 :: v_dual_fmac_f32 v15, v217, v128
	v_dual_mul_f32 v63, v217, v129 :: v_dual_mul_f32 v65, v219, v131
	s_wait_loadcnt_dscnt 0xd07
	v_dual_mul_f32 v55, v225, v137 :: v_dual_fmac_f32 v13, v215, v126
	v_dual_fma_f32 v57, v214, v126, -v61 :: v_dual_add_f32 v7, v7, v11
	s_delay_alu instid0(VALU_DEP_3) | instskip(SKIP_1) | instid1(VALU_DEP_3)
	v_dual_add_f32 v9, v9, v59 :: v_dual_fma_f32 v59, v216, v128, -v63
	v_dual_mul_f32 v19, v220, v133 :: v_dual_mul_f32 v21, v222, v135
	v_add_f32_e32 v7, v7, v13
	s_delay_alu instid0(VALU_DEP_3) | instskip(SKIP_2) | instid1(VALU_DEP_3)
	v_dual_mul_f32 v11, v227, v139 :: v_dual_add_f32 v9, v9, v57
	s_wait_loadcnt_dscnt 0xc06
	v_dual_mul_f32 v13, v229, v141 :: v_dual_fmac_f32 v17, v219, v130
	v_dual_fma_f32 v57, v218, v130, -v65 :: v_dual_add_f32 v7, v7, v15
	s_delay_alu instid0(VALU_DEP_3) | instskip(SKIP_1) | instid1(VALU_DEP_3)
	v_dual_add_f32 v9, v9, v59 :: v_dual_fma_f32 v59, v220, v132, -v67
	v_dual_mul_f32 v15, v231, v143 :: v_dual_fmac_f32 v19, v221, v132
	v_add_f32_e32 v7, v7, v17
	s_delay_alu instid0(VALU_DEP_3)
	v_dual_add_f32 v9, v9, v57 :: v_dual_fmac_f32 v21, v223, v134
	v_dual_mul_f32 v23, v224, v137 :: v_dual_mul_f32 v25, v226, v139
	s_wait_loadcnt_dscnt 0xb05
	v_dual_fma_f32 v57, v222, v134, -v69 :: v_dual_mul_f32 v17, v233, v145
	v_add_f32_e32 v7, v7, v19
	v_dual_add_f32 v9, v9, v59 :: v_dual_fma_f32 v55, v224, v136, -v55
	v_dual_mul_f32 v19, v235, v147 :: v_dual_fmac_f32 v23, v225, v136
	s_delay_alu instid0(VALU_DEP_3) | instskip(NEXT) | instid1(VALU_DEP_3)
	v_dual_add_f32 v7, v7, v21 :: v_dual_fma_f32 v11, v226, v138, -v11
	v_dual_add_f32 v9, v9, v57 :: v_dual_fmac_f32 v25, v227, v138
	v_dual_mul_f32 v27, v228, v141 :: v_dual_mul_f32 v29, v230, v143
	s_wait_loadcnt_dscnt 0xa04
	s_delay_alu instid0(VALU_DEP_3) | instskip(NEXT) | instid1(VALU_DEP_3)
	v_dual_mul_f32 v21, v237, v149 :: v_dual_add_f32 v7, v7, v23
	v_dual_add_f32 v9, v9, v55 :: v_dual_fma_f32 v13, v228, v140, -v13
	s_delay_alu instid0(VALU_DEP_3) | instskip(NEXT) | instid1(VALU_DEP_2)
	v_dual_mul_f32 v23, v239, v151 :: v_dual_fmac_f32 v27, v229, v140
	v_dual_add_f32 v7, v7, v25 :: v_dual_add_f32 v9, v9, v11
	v_dual_mul_f32 v31, v232, v145 :: v_dual_mul_f32 v33, v234, v147
	s_wait_loadcnt_dscnt 0x903
	v_dual_mul_f32 v11, v241, v153 :: v_dual_fmac_f32 v29, v231, v142
	s_delay_alu instid0(VALU_DEP_3) | instskip(SKIP_2) | instid1(VALU_DEP_2)
	v_dual_fma_f32 v15, v230, v142, -v15 :: v_dual_add_f32 v7, v7, v27
	v_dual_add_f32 v9, v9, v13 :: v_dual_mul_f32 v13, v243, v155
	v_dual_fmac_f32 v31, v233, v144 :: v_dual_fma_f32 v17, v232, v144, -v17
	v_dual_add_f32 v7, v7, v29 :: v_dual_add_f32 v9, v9, v15
	v_dual_mul_f32 v35, v236, v149 :: v_dual_mul_f32 v37, v238, v151
	s_wait_loadcnt_dscnt 0x802
	v_dual_mul_f32 v15, v245, v157 :: v_dual_fmac_f32 v33, v235, v146
	s_delay_alu instid0(VALU_DEP_3) | instskip(SKIP_2) | instid1(VALU_DEP_2)
	v_dual_fma_f32 v19, v234, v146, -v19 :: v_dual_add_f32 v7, v7, v31
	v_dual_add_f32 v9, v9, v17 :: v_dual_mul_f32 v17, v247, v159
	v_dual_fmac_f32 v35, v237, v148 :: v_dual_fma_f32 v21, v236, v148, -v21
	v_dual_add_f32 v7, v7, v33 :: v_dual_add_f32 v9, v9, v19
	v_dual_mul_f32 v39, v240, v153 :: v_dual_mul_f32 v41, v242, v155
	s_wait_loadcnt_dscnt 0x701
	v_dual_mul_f32 v19, v249, v161 :: v_dual_fmac_f32 v37, v239, v150
	s_delay_alu instid0(VALU_DEP_3) | instskip(SKIP_2) | instid1(VALU_DEP_3)
	v_dual_fma_f32 v23, v238, v150, -v23 :: v_dual_add_f32 v7, v7, v35
	v_dual_add_f32 v9, v9, v21 :: v_dual_mul_f32 v21, v251, v163
	v_fmac_f32_e32 v39, v241, v152
	v_dual_fma_f32 v11, v240, v152, -v11 :: v_dual_add_f32 v7, v7, v37
	s_delay_alu instid0(VALU_DEP_3)
	v_dual_add_f32 v9, v9, v23 :: v_dual_mul_f32 v43, v244, v157
	s_wait_loadcnt_dscnt 0x600
	v_dual_mul_f32 v45, v246, v159 :: v_dual_mul_f32 v23, v253, v165
	v_fmac_f32_e32 v41, v243, v154
	v_dual_fma_f32 v13, v242, v154, -v13 :: v_dual_add_f32 v7, v7, v39
	v_dual_add_f32 v9, v9, v11 :: v_dual_fma_f32 v15, v244, v156, -v15
	v_dual_mul_f32 v11, v255, v167 :: v_dual_fmac_f32 v43, v245, v156
	s_delay_alu instid0(VALU_DEP_3) | instskip(NEXT) | instid1(VALU_DEP_3)
	v_dual_add_f32 v7, v7, v41 :: v_dual_fma_f32 v17, v246, v158, -v17
	v_dual_add_f32 v9, v9, v13 :: v_dual_fmac_f32 v45, v247, v158
	v_dual_mul_f32 v47, v248, v161 :: v_dual_mul_f32 v49, v250, v163
	s_wait_loadcnt 0x5
	s_delay_alu instid0(VALU_DEP_3) | instskip(NEXT) | instid1(VALU_DEP_3)
	v_dual_mul_f32 v13, v205, v169 :: v_dual_add_f32 v7, v7, v43
	v_dual_add_f32 v9, v9, v15 :: v_dual_fma_f32 v19, v248, v160, -v19
	s_delay_alu instid0(VALU_DEP_3) | instskip(NEXT) | instid1(VALU_DEP_3)
	v_dual_mul_f32 v15, v207, v171 :: v_dual_fmac_f32 v47, v249, v160
	v_add_f32_e32 v7, v7, v45
	s_delay_alu instid0(VALU_DEP_3) | instskip(SKIP_1) | instid1(VALU_DEP_3)
	v_dual_add_f32 v9, v9, v17 :: v_dual_fmac_f32 v49, v251, v162
	v_dual_mul_f32 v51, v252, v165 :: v_dual_mul_f32 v53, v254, v167
	v_dual_fma_f32 v17, v250, v162, -v21 :: v_dual_add_f32 v7, v7, v47
	s_wait_loadcnt 0x4
	s_delay_alu instid0(VALU_DEP_3) | instskip(NEXT) | instid1(VALU_DEP_3)
	v_dual_add_f32 v9, v9, v19 :: v_dual_mov_b32 v122, v175
	v_fmac_f32_e32 v51, v253, v164
	s_delay_alu instid0(VALU_DEP_3) | instskip(NEXT) | instid1(VALU_DEP_3)
	v_dual_fma_f32 v19, v252, v164, -v23 :: v_dual_add_f32 v7, v7, v49
	v_dual_add_f32 v9, v9, v17 :: v_dual_fmac_f32 v53, v255, v166
	s_set_vgpr_msb 64                       ;  msbs: dst=1 src0=0 src1=0 src2=0
	v_dual_mul_f32 v11 /*v267*/, v204, v169 :: v_dual_mul_f32 v13 /*v269*/, v206, v171
	s_set_vgpr_msb 0                        ;  msbs: dst=0 src0=0 src1=0 src2=0
	v_dual_fma_f32 v11, v254, v166, -v11 :: v_dual_add_f32 v7, v7, v51
	s_wait_loadcnt 0x3
	v_dual_add_f32 v9, v9, v19 :: v_dual_mov_b32 v126, v179
	v_pk_mul_f32 v[120:121], v[188:189], v[172:173] op_sel:[1,1] op_sel_hi:[0,1]
	s_set_vgpr_msb 64                       ;  msbs: dst=1 src0=0 src1=0 src2=0
	v_dual_fmac_f32 v11 /*v267*/, v205, v168 :: v_dual_fmac_f32 v13 /*v269*/, v207, v170
	v_dual_fma_f32 v10 /*v266*/, v204, v168, -v13 :: v_dual_fma_f32 v12 /*v268*/, v206, v170, -v15
	s_set_vgpr_msb 0                        ;  msbs: dst=0 src0=0 src1=0 src2=0
	v_dual_add_f32 v129, v7, v53 :: v_dual_add_f32 v128, v9, v11
	v_pk_fma_f32 v[130:131], v[188:189], v[172:173], v[120:121] op_sel_hi:[1,0,1]
	s_set_vgpr_msb 1                        ;  msbs: dst=0 src0=1 src1=0 src2=0
	v_pk_mul_f32 v[122:123], v[2:3] /*v[258:259]*/, v[122:123] op_sel_hi:[1,0]
	s_set_vgpr_msb 0                        ;  msbs: dst=0 src0=0 src1=0 src2=0
	v_pk_fma_f32 v[120:121], v[188:189], v[172:173], v[120:121] neg_lo:[0,0,1] neg_hi:[0,0,1]
	v_pk_mul_f32 v[124:125], v[192:193], v[176:177] op_sel:[1,1] op_sel_hi:[0,1]
	s_set_vgpr_msb 4                        ;  msbs: dst=0 src0=0 src1=1 src2=0
	v_pk_add_f32 v[128:129], v[128:129], v[10:11] /*v[266:267]*/
	v_mov_b32_e32 v121, v131
	s_set_vgpr_msb 0                        ;  msbs: dst=0 src0=0 src1=0 src2=0
	v_pk_fma_f32 v[130:131], v[190:191], v[174:175], v[122:123] op_sel_hi:[1,0,1]
	v_pk_fma_f32 v[122:123], v[190:191], v[174:175], v[122:123] neg_lo:[0,0,1] neg_hi:[0,0,1]
	v_pk_fma_f32 v[134:135], v[192:193], v[176:177], v[124:125] op_sel_hi:[1,0,1]
	s_set_vgpr_msb 4                        ;  msbs: dst=0 src0=0 src1=1 src2=0
	v_pk_add_f32 v[128:129], v[128:129], v[12:13] /*v[268:269]*/
	s_set_vgpr_msb 1                        ;  msbs: dst=0 src0=1 src1=0 src2=0
	v_pk_mul_f32 v[126:127], v[4:5] /*v[260:261]*/, v[126:127] op_sel_hi:[1,0]
	s_set_vgpr_msb 0                        ;  msbs: dst=0 src0=0 src1=0 src2=0
	v_mov_b32_e32 v123, v131
	s_wait_loadcnt 0x2
	v_pk_mul_f32 v[132:133], v[196:197], v[180:181] op_sel:[1,1] op_sel_hi:[0,1]
	v_pk_fma_f32 v[124:125], v[192:193], v[176:177], v[124:125] neg_lo:[0,0,1] neg_hi:[0,0,1]
	v_pk_add_f32 v[120:121], v[128:129], v[120:121]
	v_dual_mov_b32 v128, v183 :: v_dual_mov_b32 v125, v135
	v_pk_fma_f32 v[130:131], v[194:195], v[178:179], v[126:127] op_sel_hi:[1,0,1]
	v_pk_fma_f32 v[126:127], v[194:195], v[178:179], v[126:127] neg_lo:[0,0,1] neg_hi:[0,0,1]
	s_delay_alu instid0(VALU_DEP_4)
	v_pk_add_f32 v[120:121], v[120:121], v[122:123]
	v_pk_fma_f32 v[122:123], v[196:197], v[180:181], v[132:133] op_sel_hi:[1,0,1]
	s_set_vgpr_msb 1                        ;  msbs: dst=0 src0=1 src1=0 src2=0
	v_pk_mul_f32 v[128:129], v[6:7] /*v[262:263]*/, v[128:129] op_sel_hi:[1,0]
	s_set_vgpr_msb 0                        ;  msbs: dst=0 src0=0 src1=0 src2=0
	v_mov_b32_e32 v127, v131
	v_pk_fma_f32 v[130:131], v[196:197], v[180:181], v[132:133] neg_lo:[0,0,1] neg_hi:[0,0,1]
	v_pk_add_f32 v[120:121], v[120:121], v[124:125]
	v_mov_b32_e32 v131, v123
	v_pk_fma_f32 v[122:123], v[198:199], v[182:183], v[128:129] op_sel_hi:[1,0,1]
	s_wait_loadcnt 0x1
	v_pk_mul_f32 v[124:125], v[200:201], v[184:185] op_sel:[1,1] op_sel_hi:[0,1]
	v_mov_b32_e32 v122, v187
	v_pk_add_f32 v[120:121], v[120:121], v[126:127]
	v_pk_fma_f32 v[128:129], v[198:199], v[182:183], v[128:129] neg_lo:[0,0,1] neg_hi:[0,0,1]
	v_mov_b32_e32 v129, v123
	v_pk_fma_f32 v[126:127], v[200:201], v[184:185], v[124:125] op_sel_hi:[1,0,1]
	s_set_vgpr_msb 1                        ;  msbs: dst=0 src0=1 src1=0 src2=0
	v_pk_mul_f32 v[122:123], v[8:9] /*v[264:265]*/, v[122:123] op_sel_hi:[1,0]
	s_set_vgpr_msb 0                        ;  msbs: dst=0 src0=0 src1=0 src2=0
	v_pk_add_f32 v[120:121], v[120:121], v[130:131]
	v_pk_fma_f32 v[124:125], v[200:201], v[184:185], v[124:125] neg_lo:[0,0,1] neg_hi:[0,0,1]
	v_mov_b32_e32 v125, v127
	v_pk_fma_f32 v[126:127], v[202:203], v[186:187], v[122:123] op_sel_hi:[1,0,1]
	s_delay_alu instid0(VALU_DEP_4) | instskip(SKIP_1) | instid1(VALU_DEP_3)
	v_pk_add_f32 v[120:121], v[120:121], v[128:129]
	v_pk_fma_f32 v[122:123], v[202:203], v[186:187], v[122:123] neg_lo:[0,0,1] neg_hi:[0,0,1]
	v_mov_b32_e32 v123, v127
	s_delay_alu instid0(VALU_DEP_3) | instskip(NEXT) | instid1(VALU_DEP_1)
	v_pk_add_f32 v[120:121], v[120:121], v[124:125]
	v_pk_add_f32 v[120:121], v[120:121], v[122:123]
	s_wait_loadcnt 0x0
	s_set_vgpr_msb 1                        ;  msbs: dst=0 src0=1 src1=0 src2=0
	s_delay_alu instid0(VALU_DEP_1)
	v_pk_add_f32 v[120:121], v[0:1] /*v[256:257]*/, v[120:121] neg_lo:[0,1] neg_hi:[0,1]
	scratch_store_b64 off, v[120:121], off offset:192
	s_wait_xcnt 0x0
	v_cmpx_lt_u32_e32 23, v0
	s_set_vgpr_msb 0                        ;  msbs: dst=0 src0=0 src1=0 src2=0
	s_cbranch_execz .LBB122_321
; %bb.320:
	scratch_load_b64 v[120:121], off, off offset:184
	v_mov_b64_e32 v[122:123], 0
	scratch_store_b64 off, v[122:123], off offset:184
	s_wait_loadcnt 0x0
	ds_store_b64 v1, v[120:121]
.LBB122_321:
	s_wait_xcnt 0x0
	s_or_b32 exec_lo, exec_lo, s0
	s_wait_storecnt_dscnt 0x0
	s_barrier_signal -1
	s_barrier_wait -1
	s_clause 0x13
	scratch_load_b128 v[120:123], off, off offset:192
	scratch_load_b128 v[124:127], off, off offset:208
	;; [unrolled: 1-line block ×17, first 2 shown]
	s_set_vgpr_msb 64                       ;  msbs: dst=1 src0=0 src1=0 src2=0
	scratch_load_b64 v[0:1] /*v[256:257]*/, off, off offset:464
	scratch_load_b64 v[2:3] /*v[258:259]*/, off, off offset:184
	s_set_vgpr_msb 0                        ;  msbs: dst=0 src0=0 src1=0 src2=0
	v_mov_b32_e32 v7, 0
	ds_load_b128 v[188:191], v7 offset:880
	ds_load_b128 v[192:195], v7 offset:896
	;; [unrolled: 1-line block ×17, first 2 shown]
	s_set_vgpr_msb 64                       ;  msbs: dst=1 src0=0 src1=0 src2=0
	ds_load_b64 v[4:5] /*v[260:261]*/, v7 offset:944
	s_mov_b32 s0, exec_lo
	s_wait_dscnt 0x11
	v_dual_mov_b32 v6 /*v262*/, v191 :: v_dual_mov_b32 v7 /*v263*/, v190
	s_wait_dscnt 0x10
	v_dual_mov_b32 v8 /*v264*/, v195 :: v_dual_mov_b32 v9 /*v265*/, v194
	;; [unrolled: 2-line block ×4, first 2 shown]
	s_wait_loadcnt_dscnt 0x120c
	s_set_vgpr_msb 0                        ;  msbs: dst=0 src0=0 src1=0 src2=0
	v_dual_mul_f32 v9, v208, v121 :: v_dual_mul_f32 v59, v209, v121
	v_dual_mul_f32 v61, v211, v123 :: v_dual_mul_f32 v11, v210, v123
	s_wait_loadcnt_dscnt 0x110b
	v_mul_f32_e32 v13, v212, v125
	s_wait_loadcnt_dscnt 0xf09
	v_dual_mul_f32 v71, v221, v133 :: v_dual_fma_f32 v59, v208, v120, -v59
	v_dual_fmac_f32 v9, v209, v120 :: v_dual_mul_f32 v73, v223, v135
	v_dual_mul_f32 v63, v213, v125 :: v_dual_mul_f32 v65, v215, v127
	v_dual_fmac_f32 v11, v211, v122 :: v_dual_fma_f32 v61, v210, v122, -v61
	s_delay_alu instid0(VALU_DEP_3) | instskip(SKIP_4) | instid1(VALU_DEP_3)
	v_dual_add_f32 v9, 0, v9 :: v_dual_add_f32 v59, 0, v59
	v_dual_mul_f32 v15, v214, v127 :: v_dual_mul_f32 v17, v216, v129
	s_wait_loadcnt_dscnt 0xe08
	v_dual_mul_f32 v75, v225, v137 :: v_dual_fma_f32 v63, v212, v124, -v63
	v_fmac_f32_e32 v13, v213, v124
	v_dual_add_f32 v9, v9, v11 :: v_dual_fmac_f32 v15, v215, v126
	v_add_f32_e32 v11, v59, v61
	v_dual_mul_f32 v67, v217, v129 :: v_dual_mul_f32 v69, v219, v131
	v_dual_mul_f32 v59, v227, v139 :: v_dual_fma_f32 v61, v214, v126, -v65
	s_delay_alu instid0(VALU_DEP_3) | instskip(SKIP_3) | instid1(VALU_DEP_3)
	v_dual_add_f32 v9, v9, v13 :: v_dual_add_f32 v11, v11, v63
	v_dual_mul_f32 v19, v218, v131 :: v_dual_mul_f32 v21, v220, v133
	s_wait_loadcnt_dscnt 0xd07
	v_dual_mul_f32 v13, v229, v141 :: v_dual_fma_f32 v63, v216, v128, -v67
	v_dual_fmac_f32 v17, v217, v128 :: v_dual_add_f32 v11, v11, v61
	s_delay_alu instid0(VALU_DEP_3) | instskip(SKIP_1) | instid1(VALU_DEP_2)
	v_dual_add_f32 v9, v9, v15 :: v_dual_fmac_f32 v19, v219, v130
	v_dual_mul_f32 v15, v231, v143 :: v_dual_fma_f32 v61, v218, v130, -v69
	v_dual_add_f32 v11, v11, v63 :: v_dual_add_f32 v9, v9, v17
	v_dual_mul_f32 v23, v222, v135 :: v_dual_mul_f32 v25, v224, v137
	s_wait_loadcnt_dscnt 0xc06
	v_dual_mul_f32 v17, v233, v145 :: v_dual_fma_f32 v63, v220, v132, -v71
	s_delay_alu instid0(VALU_DEP_3) | instskip(NEXT) | instid1(VALU_DEP_3)
	v_dual_fmac_f32 v21, v221, v132 :: v_dual_add_f32 v11, v11, v61
	v_dual_add_f32 v9, v9, v19 :: v_dual_fmac_f32 v23, v223, v134
	v_dual_mul_f32 v19, v235, v147 :: v_dual_fma_f32 v61, v222, v134, -v73
	s_delay_alu instid0(VALU_DEP_2) | instskip(SKIP_3) | instid1(VALU_DEP_3)
	v_dual_add_f32 v11, v11, v63 :: v_dual_add_f32 v9, v9, v21
	v_dual_mul_f32 v27, v226, v139 :: v_dual_mul_f32 v29, v228, v141
	s_wait_loadcnt_dscnt 0xb05
	v_dual_mul_f32 v21, v237, v149 :: v_dual_fma_f32 v63, v224, v136, -v75
	v_dual_fmac_f32 v25, v225, v136 :: v_dual_add_f32 v11, v11, v61
	s_delay_alu instid0(VALU_DEP_3) | instskip(SKIP_1) | instid1(VALU_DEP_2)
	v_dual_add_f32 v9, v9, v23 :: v_dual_fmac_f32 v27, v227, v138
	v_dual_mul_f32 v23, v239, v151 :: v_dual_fma_f32 v59, v226, v138, -v59
	v_dual_add_f32 v11, v11, v63 :: v_dual_add_f32 v9, v9, v25
	v_dual_mul_f32 v31, v230, v143 :: v_dual_mul_f32 v33, v232, v145
	s_wait_loadcnt_dscnt 0xa04
	v_dual_mul_f32 v25, v241, v153 :: v_dual_fma_f32 v13, v228, v140, -v13
	s_delay_alu instid0(VALU_DEP_3) | instskip(NEXT) | instid1(VALU_DEP_3)
	v_dual_fmac_f32 v29, v229, v140 :: v_dual_add_f32 v11, v11, v59
	v_dual_add_f32 v9, v9, v27 :: v_dual_fmac_f32 v31, v231, v142
	v_dual_mul_f32 v27, v243, v155 :: v_dual_fma_f32 v15, v230, v142, -v15
	s_delay_alu instid0(VALU_DEP_3) | instskip(NEXT) | instid1(VALU_DEP_3)
	v_dual_add_f32 v11, v11, v13 :: v_dual_fmac_f32 v33, v233, v144
	v_dual_add_f32 v9, v9, v29 :: v_dual_fma_f32 v17, v232, v144, -v17
	v_dual_mul_f32 v35, v234, v147 :: v_dual_mul_f32 v37, v236, v149
	s_wait_loadcnt_dscnt 0x903
	s_delay_alu instid0(VALU_DEP_3) | instskip(NEXT) | instid1(VALU_DEP_2)
	v_dual_mul_f32 v13, v245, v157 :: v_dual_add_f32 v11, v11, v15
	v_dual_add_f32 v9, v9, v31 :: v_dual_fmac_f32 v35, v235, v146
	v_dual_mul_f32 v15, v247, v159 :: v_dual_fma_f32 v19, v234, v146, -v19
	s_delay_alu instid0(VALU_DEP_3) | instskip(NEXT) | instid1(VALU_DEP_3)
	v_dual_add_f32 v11, v11, v17 :: v_dual_fmac_f32 v37, v237, v148
	v_dual_add_f32 v9, v9, v33 :: v_dual_fma_f32 v21, v236, v148, -v21
	v_dual_mul_f32 v39, v238, v151 :: v_dual_mul_f32 v41, v240, v153
	s_wait_loadcnt_dscnt 0x802
	s_delay_alu instid0(VALU_DEP_3) | instskip(NEXT) | instid1(VALU_DEP_2)
	v_dual_mul_f32 v17, v249, v161 :: v_dual_add_f32 v11, v11, v19
	;; [unrolled: 9-line block ×3, first 2 shown]
	v_dual_add_f32 v9, v9, v39 :: v_dual_fmac_f32 v43, v243, v154
	v_dual_mul_f32 v23, v255, v167 :: v_dual_fma_f32 v27, v242, v154, -v27
	s_delay_alu instid0(VALU_DEP_3) | instskip(NEXT) | instid1(VALU_DEP_3)
	v_dual_add_f32 v11, v11, v25 :: v_dual_fmac_f32 v45, v245, v156
	v_dual_add_f32 v9, v9, v41 :: v_dual_fma_f32 v13, v244, v156, -v13
	v_dual_mul_f32 v47, v246, v159 :: v_dual_mul_f32 v49, v248, v161
	s_wait_loadcnt 0x6
	s_delay_alu instid0(VALU_DEP_3) | instskip(NEXT) | instid1(VALU_DEP_2)
	v_dual_mul_f32 v25, v201, v169 :: v_dual_add_f32 v11, v11, v27
	v_dual_add_f32 v9, v9, v43 :: v_dual_fmac_f32 v47, v247, v158
	v_dual_mul_f32 v27, v203, v171 :: v_dual_fma_f32 v15, v246, v158, -v15
	s_delay_alu instid0(VALU_DEP_3) | instskip(NEXT) | instid1(VALU_DEP_3)
	v_dual_add_f32 v11, v11, v13 :: v_dual_fmac_f32 v49, v249, v160
	v_dual_add_f32 v9, v9, v45 :: v_dual_fma_f32 v17, v248, v160, -v17
	v_dual_mul_f32 v51, v250, v163 :: v_dual_mul_f32 v53, v252, v165
	s_wait_loadcnt 0x5
	s_delay_alu instid0(VALU_DEP_3) | instskip(NEXT) | instid1(VALU_DEP_3)
	v_dual_mul_f32 v13, v189, v173 :: v_dual_add_f32 v11, v11, v15
	v_dual_add_f32 v9, v9, v47 :: v_dual_mov_b32 v120, v175
	s_delay_alu instid0(VALU_DEP_3) | instskip(NEXT) | instid1(VALU_DEP_3)
	v_fmac_f32_e32 v51, v251, v162
	v_dual_fma_f32 v15, v250, v162, -v19 :: v_dual_add_f32 v11, v11, v17
	s_delay_alu instid0(VALU_DEP_3) | instskip(SKIP_1) | instid1(VALU_DEP_3)
	v_dual_add_f32 v9, v9, v49 :: v_dual_mul_f32 v55, v254, v167
	v_dual_mul_f32 v57, v200, v169 :: v_dual_fmac_f32 v53, v253, v164
	v_dual_add_f32 v11, v11, v15 :: v_dual_fma_f32 v17, v252, v164, -v21
	s_wait_loadcnt 0x4
	s_delay_alu instid0(VALU_DEP_3) | instskip(SKIP_3) | instid1(VALU_DEP_4)
	v_dual_add_f32 v9, v9, v51 :: v_dual_mov_b32 v124, v179
	v_fma_f32 v15, v254, v166, -v23
	v_fmac_f32_e32 v55, v255, v166
	v_dual_add_f32 v11, v11, v17 :: v_dual_fmac_f32 v57, v201, v168
	v_add_f32_e32 v9, v9, v53
	s_set_vgpr_msb 64                       ;  msbs: dst=1 src0=0 src1=0 src2=0
	v_dual_mul_f32 v15 /*v271*/, v202, v171 :: v_dual_mul_f32 v17 /*v273*/, v188, v173
	s_set_vgpr_msb 0                        ;  msbs: dst=0 src0=0 src1=0 src2=0
	v_fma_f32 v17, v200, v168, -v25
	s_set_vgpr_msb 1                        ;  msbs: dst=0 src0=1 src1=0 src2=0
	v_pk_mul_f32 v[120:121], v[6:7] /*v[262:263]*/, v[120:121] op_sel_hi:[1,0]
	s_set_vgpr_msb 0                        ;  msbs: dst=0 src0=0 src1=0 src2=0
	v_add_f32_e32 v9, v9, v55
	v_add_f32_e32 v11, v11, v15
	s_set_vgpr_msb 64                       ;  msbs: dst=1 src0=0 src1=0 src2=0
	v_dual_fmac_f32 v15 /*v271*/, v203, v170 :: v_dual_fmac_f32 v17 /*v273*/, v189, v172
	v_dual_fma_f32 v14 /*v270*/, v202, v170, -v27 :: v_dual_fma_f32 v16 /*v272*/, v188, v172, -v13
	s_set_vgpr_msb 0                        ;  msbs: dst=0 src0=0 src1=0 src2=0
	v_add_f32_e32 v129, v9, v57
	v_pk_fma_f32 v[132:133], v[190:191], v[174:175], v[120:121] op_sel_hi:[1,0,1]
	v_add_f32_e32 v128, v11, v17
	v_pk_fma_f32 v[120:121], v[190:191], v[174:175], v[120:121] neg_lo:[0,0,1] neg_hi:[0,0,1]
	v_pk_mul_f32 v[122:123], v[192:193], v[176:177] op_sel:[1,1] op_sel_hi:[0,1]
	s_set_vgpr_msb 1                        ;  msbs: dst=0 src0=1 src1=0 src2=0
	v_pk_mul_f32 v[124:125], v[8:9] /*v[264:265]*/, v[124:125] op_sel_hi:[1,0]
	s_set_vgpr_msb 4                        ;  msbs: dst=0 src0=0 src1=1 src2=0
	v_mov_b32_e32 v121, v133
	v_pk_add_f32 v[128:129], v[128:129], v[14:15] /*v[270:271]*/
	s_wait_loadcnt 0x3
	s_set_vgpr_msb 0                        ;  msbs: dst=0 src0=0 src1=0 src2=0
	v_pk_mul_f32 v[126:127], v[196:197], v[180:181] op_sel:[1,1] op_sel_hi:[0,1]
	v_pk_fma_f32 v[134:135], v[192:193], v[176:177], v[122:123] op_sel_hi:[1,0,1]
	v_pk_fma_f32 v[122:123], v[192:193], v[176:177], v[122:123] neg_lo:[0,0,1] neg_hi:[0,0,1]
	v_mov_b32_e32 v130, v183
	s_set_vgpr_msb 4                        ;  msbs: dst=0 src0=0 src1=1 src2=0
	v_pk_add_f32 v[128:129], v[128:129], v[16:17] /*v[272:273]*/
	s_wait_loadcnt 0x2
	s_set_vgpr_msb 0                        ;  msbs: dst=0 src0=0 src1=0 src2=0
	v_pk_mul_f32 v[132:133], v[204:205], v[184:185] op_sel:[1,1] op_sel_hi:[0,1]
	v_mov_b32_e32 v123, v135
	v_pk_fma_f32 v[134:135], v[194:195], v[178:179], v[124:125] op_sel_hi:[1,0,1]
	v_pk_fma_f32 v[124:125], v[194:195], v[178:179], v[124:125] neg_lo:[0,0,1] neg_hi:[0,0,1]
	v_pk_add_f32 v[120:121], v[128:129], v[120:121]
	v_pk_fma_f32 v[128:129], v[196:197], v[180:181], v[126:127] op_sel_hi:[1,0,1]
	s_set_vgpr_msb 1                        ;  msbs: dst=0 src0=1 src1=0 src2=0
	v_pk_mul_f32 v[130:131], v[10:11] /*v[266:267]*/, v[130:131] op_sel_hi:[1,0]
	s_set_vgpr_msb 0                        ;  msbs: dst=0 src0=0 src1=0 src2=0
	v_mov_b32_e32 v125, v135
	v_pk_fma_f32 v[126:127], v[196:197], v[180:181], v[126:127] neg_lo:[0,0,1] neg_hi:[0,0,1]
	v_pk_add_f32 v[120:121], v[120:121], v[122:123]
	v_dual_mov_b32 v122, v187 :: v_dual_mov_b32 v127, v129
	v_pk_fma_f32 v[128:129], v[198:199], v[182:183], v[130:131] op_sel_hi:[1,0,1]
	v_pk_fma_f32 v[130:131], v[198:199], v[182:183], v[130:131] neg_lo:[0,0,1] neg_hi:[0,0,1]
	s_delay_alu instid0(VALU_DEP_4)
	v_pk_add_f32 v[120:121], v[120:121], v[124:125]
	v_pk_fma_f32 v[124:125], v[204:205], v[184:185], v[132:133] op_sel_hi:[1,0,1]
	s_set_vgpr_msb 1                        ;  msbs: dst=0 src0=1 src1=0 src2=0
	v_pk_mul_f32 v[122:123], v[12:13] /*v[268:269]*/, v[122:123] op_sel_hi:[1,0]
	s_set_vgpr_msb 0                        ;  msbs: dst=0 src0=0 src1=0 src2=0
	v_mov_b32_e32 v131, v129
	s_wait_loadcnt_dscnt 0x100
	s_set_vgpr_msb 5                        ;  msbs: dst=0 src0=1 src1=1 src2=0
	v_pk_mul_f32 v[128:129], v[4:5] /*v[260:261]*/, v[0:1] /*v[256:257]*/ op_sel:[1,1] op_sel_hi:[0,1]
	s_set_vgpr_msb 0                        ;  msbs: dst=0 src0=0 src1=0 src2=0
	v_pk_add_f32 v[120:121], v[120:121], v[126:127]
	v_pk_fma_f32 v[126:127], v[204:205], v[184:185], v[132:133] neg_lo:[0,0,1] neg_hi:[0,0,1]
	v_mov_b32_e32 v127, v125
	v_pk_fma_f32 v[124:125], v[206:207], v[186:187], v[122:123] op_sel_hi:[1,0,1]
	v_pk_fma_f32 v[122:123], v[206:207], v[186:187], v[122:123] neg_lo:[0,0,1] neg_hi:[0,0,1]
	v_pk_add_f32 v[120:121], v[120:121], v[130:131]
	s_delay_alu instid0(VALU_DEP_3)
	v_mov_b32_e32 v123, v125
	s_set_vgpr_msb 5                        ;  msbs: dst=0 src0=1 src1=1 src2=0
	v_pk_fma_f32 v[124:125], v[4:5] /*v[260:261]*/, v[0:1] /*v[256:257]*/, v[128:129] op_sel_hi:[1,0,1]
	s_set_vgpr_msb 0                        ;  msbs: dst=0 src0=0 src1=0 src2=0
	v_pk_add_f32 v[120:121], v[120:121], v[126:127]
	s_set_vgpr_msb 5                        ;  msbs: dst=0 src0=1 src1=1 src2=0
	v_pk_fma_f32 v[126:127], v[4:5] /*v[260:261]*/, v[0:1] /*v[256:257]*/, v[128:129] neg_lo:[0,0,1] neg_hi:[0,0,1]
	s_set_vgpr_msb 0                        ;  msbs: dst=0 src0=0 src1=0 src2=0
	v_mov_b32_e32 v127, v125
	v_pk_add_f32 v[120:121], v[120:121], v[122:123]
	s_delay_alu instid0(VALU_DEP_1) | instskip(SKIP_2) | instid1(VALU_DEP_1)
	v_pk_add_f32 v[120:121], v[120:121], v[126:127]
	s_wait_loadcnt 0x0
	s_set_vgpr_msb 1                        ;  msbs: dst=0 src0=1 src1=0 src2=0
	v_pk_add_f32 v[120:121], v[2:3] /*v[258:259]*/, v[120:121] neg_lo:[0,1] neg_hi:[0,1]
	scratch_store_b64 off, v[120:121], off offset:184
	s_wait_xcnt 0x0
	v_cmpx_lt_u32_e32 22, v0
	s_set_vgpr_msb 0                        ;  msbs: dst=0 src0=0 src1=0 src2=0
	s_cbranch_execz .LBB122_323
; %bb.322:
	scratch_load_b64 v[120:121], off, off offset:176
	v_mov_b64_e32 v[122:123], 0
	scratch_store_b64 off, v[122:123], off offset:176
	s_wait_loadcnt 0x0
	ds_store_b64 v1, v[120:121]
.LBB122_323:
	s_wait_xcnt 0x0
	s_or_b32 exec_lo, exec_lo, s0
	s_wait_storecnt_dscnt 0x0
	s_barrier_signal -1
	s_barrier_wait -1
	s_clause 0x13
	scratch_load_b128 v[120:123], off, off offset:184
	scratch_load_b128 v[124:127], off, off offset:200
	;; [unrolled: 1-line block ×18, first 2 shown]
	s_set_vgpr_msb 64                       ;  msbs: dst=1 src0=0 src1=0 src2=0
	scratch_load_b64 v[8:9] /*v[264:265]*/, off, off offset:176
	s_set_vgpr_msb 0                        ;  msbs: dst=0 src0=0 src1=0 src2=0
	ds_load_2addr_b64 v[192:195], v7 offset0:111 offset1:112
	ds_load_2addr_b64 v[196:199], v7 offset0:113 offset1:114
	;; [unrolled: 1-line block ×16, first 2 shown]
	s_set_vgpr_msb 64                       ;  msbs: dst=1 src0=0 src1=0 src2=0
	ds_load_2addr_b64 v[0:3] /*v[256:259]*/, v7 offset0:107 offset1:108
	ds_load_2addr_b64 v[4:7] /*v[260:263]*/, v7 offset0:109 offset1:110
	s_mov_b32 s0, exec_lo
	s_wait_dscnt 0x11
	v_dual_mov_b32 v10 /*v266*/, v195 :: v_dual_mov_b32 v11 /*v267*/, v194
	s_wait_dscnt 0x10
	v_dual_mov_b32 v12 /*v268*/, v199 :: v_dual_mov_b32 v13 /*v269*/, v198
	;; [unrolled: 2-line block ×4, first 2 shown]
	s_wait_loadcnt_dscnt 0x120d
	s_set_vgpr_msb 0                        ;  msbs: dst=0 src0=0 src1=0 src2=0
	v_dual_mul_f32 v7, v208, v121 :: v_dual_mul_f32 v9, v210, v123
	v_dual_mul_f32 v59, v209, v121 :: v_dual_mul_f32 v61, v211, v123
	s_wait_loadcnt_dscnt 0x110c
	v_dual_mul_f32 v11, v212, v125 :: v_dual_mul_f32 v13, v214, v127
	s_delay_alu instid0(VALU_DEP_3) | instskip(SKIP_3) | instid1(VALU_DEP_3)
	v_dual_fmac_f32 v7, v209, v120 :: v_dual_fmac_f32 v9, v211, v122
	s_wait_loadcnt_dscnt 0xf0a
	v_dual_fma_f32 v59, v208, v120, -v59 :: v_dual_mul_f32 v71, v221, v133
	v_dual_mul_f32 v63, v213, v125 :: v_dual_mul_f32 v65, v215, v127
	v_dual_fma_f32 v61, v210, v122, -v61 :: v_dual_add_f32 v7, 0, v7
	s_delay_alu instid0(VALU_DEP_3) | instskip(SKIP_1) | instid1(VALU_DEP_4)
	v_dual_add_f32 v59, 0, v59 :: v_dual_fmac_f32 v11, v213, v124
	v_dual_mul_f32 v15, v216, v129 :: v_dual_mul_f32 v17, v218, v131
	v_dual_mul_f32 v73, v223, v135 :: v_dual_fma_f32 v63, v212, v124, -v63
	s_delay_alu instid0(VALU_DEP_4) | instskip(NEXT) | instid1(VALU_DEP_3)
	v_add_f32_e32 v7, v7, v9
	v_dual_add_f32 v9, v59, v61 :: v_dual_fmac_f32 v15, v217, v128
	v_dual_mul_f32 v67, v217, v129 :: v_dual_mul_f32 v69, v219, v131
	s_wait_loadcnt_dscnt 0xe09
	v_dual_mul_f32 v59, v225, v137 :: v_dual_fmac_f32 v13, v215, v126
	v_dual_fma_f32 v61, v214, v126, -v65 :: v_dual_add_f32 v7, v7, v11
	s_delay_alu instid0(VALU_DEP_3) | instskip(SKIP_1) | instid1(VALU_DEP_3)
	v_dual_add_f32 v9, v9, v63 :: v_dual_fma_f32 v63, v216, v128, -v67
	v_dual_mul_f32 v19, v220, v133 :: v_dual_mul_f32 v21, v222, v135
	v_add_f32_e32 v7, v7, v13
	s_delay_alu instid0(VALU_DEP_3) | instskip(SKIP_2) | instid1(VALU_DEP_3)
	v_dual_mul_f32 v11, v227, v139 :: v_dual_add_f32 v9, v9, v61
	s_wait_loadcnt_dscnt 0xd08
	v_dual_mul_f32 v13, v229, v141 :: v_dual_fmac_f32 v17, v219, v130
	v_dual_fma_f32 v61, v218, v130, -v69 :: v_dual_add_f32 v7, v7, v15
	s_delay_alu instid0(VALU_DEP_3) | instskip(SKIP_1) | instid1(VALU_DEP_3)
	v_dual_add_f32 v9, v9, v63 :: v_dual_fma_f32 v63, v220, v132, -v71
	v_dual_mul_f32 v15, v231, v143 :: v_dual_fmac_f32 v19, v221, v132
	v_add_f32_e32 v7, v7, v17
	s_delay_alu instid0(VALU_DEP_3)
	v_dual_add_f32 v9, v9, v61 :: v_dual_fmac_f32 v21, v223, v134
	v_dual_mul_f32 v23, v224, v137 :: v_dual_mul_f32 v25, v226, v139
	s_wait_loadcnt_dscnt 0xc07
	v_dual_fma_f32 v61, v222, v134, -v73 :: v_dual_mul_f32 v17, v233, v145
	v_add_f32_e32 v7, v7, v19
	v_dual_add_f32 v9, v9, v63 :: v_dual_fma_f32 v59, v224, v136, -v59
	v_dual_mul_f32 v19, v235, v147 :: v_dual_fmac_f32 v23, v225, v136
	s_delay_alu instid0(VALU_DEP_3) | instskip(NEXT) | instid1(VALU_DEP_3)
	v_dual_add_f32 v7, v7, v21 :: v_dual_fma_f32 v11, v226, v138, -v11
	v_dual_add_f32 v9, v9, v61 :: v_dual_fmac_f32 v25, v227, v138
	v_dual_mul_f32 v27, v228, v141 :: v_dual_mul_f32 v29, v230, v143
	s_wait_loadcnt_dscnt 0xb06
	s_delay_alu instid0(VALU_DEP_3) | instskip(NEXT) | instid1(VALU_DEP_3)
	v_dual_mul_f32 v21, v237, v149 :: v_dual_add_f32 v7, v7, v23
	v_dual_add_f32 v9, v9, v59 :: v_dual_fma_f32 v13, v228, v140, -v13
	s_delay_alu instid0(VALU_DEP_3) | instskip(NEXT) | instid1(VALU_DEP_2)
	v_dual_mul_f32 v23, v239, v151 :: v_dual_fmac_f32 v27, v229, v140
	v_dual_add_f32 v7, v7, v25 :: v_dual_add_f32 v9, v9, v11
	v_dual_mul_f32 v31, v232, v145 :: v_dual_mul_f32 v33, v234, v147
	s_wait_loadcnt_dscnt 0xa05
	v_dual_mul_f32 v11, v241, v153 :: v_dual_fmac_f32 v29, v231, v142
	s_delay_alu instid0(VALU_DEP_3) | instskip(SKIP_2) | instid1(VALU_DEP_2)
	v_dual_fma_f32 v15, v230, v142, -v15 :: v_dual_add_f32 v7, v7, v27
	v_dual_add_f32 v9, v9, v13 :: v_dual_mul_f32 v13, v243, v155
	v_dual_fmac_f32 v31, v233, v144 :: v_dual_fma_f32 v17, v232, v144, -v17
	v_dual_add_f32 v7, v7, v29 :: v_dual_add_f32 v9, v9, v15
	v_dual_mul_f32 v35, v236, v149 :: v_dual_mul_f32 v37, v238, v151
	s_wait_loadcnt_dscnt 0x904
	v_dual_mul_f32 v15, v245, v157 :: v_dual_fmac_f32 v33, v235, v146
	s_delay_alu instid0(VALU_DEP_3) | instskip(SKIP_2) | instid1(VALU_DEP_2)
	v_dual_fma_f32 v19, v234, v146, -v19 :: v_dual_add_f32 v7, v7, v31
	v_dual_add_f32 v9, v9, v17 :: v_dual_mul_f32 v17, v247, v159
	v_dual_fmac_f32 v35, v237, v148 :: v_dual_fma_f32 v21, v236, v148, -v21
	v_dual_add_f32 v7, v7, v33 :: v_dual_add_f32 v9, v9, v19
	v_dual_fma_f32 v23, v238, v150, -v23 :: v_dual_mul_f32 v39, v240, v153
	s_wait_loadcnt_dscnt 0x803
	v_dual_mul_f32 v41, v242, v155 :: v_dual_mul_f32 v19, v249, v161
	s_delay_alu instid0(VALU_DEP_3) | instskip(SKIP_3) | instid1(VALU_DEP_4)
	v_dual_fmac_f32 v37, v239, v150 :: v_dual_add_f32 v9, v9, v21
	v_mul_f32_e32 v21, v251, v163
	v_dual_add_f32 v7, v7, v35 :: v_dual_fma_f32 v11, v240, v152, -v11
	v_fmac_f32_e32 v39, v241, v152
	v_dual_add_f32 v9, v9, v23 :: v_dual_mul_f32 v43, v244, v157
	s_delay_alu instid0(VALU_DEP_3) | instskip(NEXT) | instid1(VALU_DEP_2)
	v_dual_mul_f32 v45, v246, v159 :: v_dual_add_f32 v7, v7, v37
	v_dual_fma_f32 v13, v242, v154, -v13 :: v_dual_add_f32 v9, v9, v11
	s_wait_loadcnt_dscnt 0x702
	v_dual_fma_f32 v15, v244, v156, -v15 :: v_dual_mul_f32 v23, v253, v165
	v_fmac_f32_e32 v41, v243, v154
	s_delay_alu instid0(VALU_DEP_3) | instskip(SKIP_2) | instid1(VALU_DEP_3)
	v_dual_add_f32 v7, v7, v39 :: v_dual_add_f32 v9, v9, v13
	v_fmac_f32_e32 v45, v247, v158
	v_dual_mul_f32 v11, v255, v167 :: v_dual_fmac_f32 v43, v245, v156
	v_dual_add_f32 v7, v7, v41 :: v_dual_fma_f32 v17, v246, v158, -v17
	s_delay_alu instid0(VALU_DEP_4) | instskip(SKIP_1) | instid1(VALU_DEP_2)
	v_dual_add_f32 v9, v9, v15 :: v_dual_fma_f32 v19, v248, v160, -v19
	v_dual_mul_f32 v47, v248, v161 :: v_dual_mul_f32 v49, v250, v163
	v_dual_add_f32 v7, v7, v43 :: v_dual_add_f32 v9, v9, v17
	s_delay_alu instid0(VALU_DEP_2) | instskip(NEXT) | instid1(VALU_DEP_3)
	v_dual_fma_f32 v21, v250, v162, -v21 :: v_dual_fmac_f32 v47, v249, v160
	v_fmac_f32_e32 v49, v251, v162
	s_delay_alu instid0(VALU_DEP_3) | instskip(SKIP_2) | instid1(VALU_DEP_3)
	v_dual_add_f32 v7, v7, v45 :: v_dual_add_f32 v9, v9, v19
	v_dual_fma_f32 v23, v252, v164, -v23 :: v_dual_mul_f32 v51, v252, v165
	v_mul_f32_e32 v53, v254, v167
	v_dual_add_f32 v7, v7, v47 :: v_dual_add_f32 v9, v9, v21
	s_wait_loadcnt_dscnt 0x601
	s_set_vgpr_msb 1                        ;  msbs: dst=0 src0=1 src1=0 src2=0
	v_dual_mul_f32 v55, v0 /*v256*/, v169 :: v_dual_mul_f32 v57, v2 /*v258*/, v171
	v_dual_mul_f32 v13, v1 /*v257*/, v169 :: v_dual_mul_f32 v15, v3 /*v259*/, v171
	s_set_vgpr_msb 0                        ;  msbs: dst=0 src0=0 src1=0 src2=0
	v_dual_fmac_f32 v51, v253, v164 :: v_dual_add_f32 v7, v7, v49
	v_dual_fma_f32 v11, v254, v166, -v11 :: v_dual_fmac_f32 v53, v255, v166
	s_wait_loadcnt 0x4
	v_dual_add_f32 v9, v9, v23 :: v_dual_mov_b32 v122, v179
	s_set_vgpr_msb 1                        ;  msbs: dst=0 src0=1 src1=0 src2=0
	v_dual_fmac_f32 v55, v1 /*v257*/, v168 :: v_dual_fma_f32 v13, v0 /*v256*/, v168, -v13
	s_wait_loadcnt 0x3
	s_set_vgpr_msb 0                        ;  msbs: dst=0 src0=0 src1=0 src2=0
	v_dual_mov_b32 v126, v183 :: v_dual_add_f32 v9, v9, v11
	v_add_f32_e32 v7, v7, v51
	s_set_vgpr_msb 1                        ;  msbs: dst=0 src0=1 src1=0 src2=0
	v_dual_fmac_f32 v57, v3 /*v259*/, v170 :: v_dual_fma_f32 v11, v2 /*v258*/, v170, -v15
	s_wait_dscnt 0x0
	s_set_vgpr_msb 0x41                     ;  msbs: dst=1 src0=1 src1=0 src2=0
	v_dual_mul_f32 v19 /*v275*/, v4 /*v260*/, v173 :: v_dual_mul_f32 v21 /*v277*/, v6 /*v262*/, v175
	s_set_vgpr_msb 0                        ;  msbs: dst=0 src0=0 src1=0 src2=0
	v_add_f32_e32 v9, v9, v13
	v_add_f32_e32 v7, v7, v53
	s_set_vgpr_msb 1                        ;  msbs: dst=0 src0=1 src1=0 src2=0
	v_dual_mul_f32 v17, v5 /*v261*/, v173 :: v_dual_mul_f32 v19, v7 /*v263*/, v175
	s_set_vgpr_msb 0                        ;  msbs: dst=0 src0=0 src1=0 src2=0
	v_pk_mul_f32 v[120:121], v[192:193], v[176:177] op_sel:[1,1] op_sel_hi:[0,1]
	v_add_f32_e32 v128, v9, v11
	v_add_f32_e32 v7, v7, v55
	s_set_vgpr_msb 0x41                     ;  msbs: dst=1 src0=1 src1=0 src2=0
	v_dual_fmac_f32 v19 /*v275*/, v5 /*v261*/, v172 :: v_dual_fmac_f32 v21 /*v277*/, v7 /*v263*/, v174
	v_dual_fma_f32 v18 /*v274*/, v4 /*v260*/, v172, -v17 :: v_dual_fma_f32 v20 /*v276*/, v6 /*v262*/, v174, -v19
	s_set_vgpr_msb 0                        ;  msbs: dst=0 src0=0 src1=0 src2=0
	v_add_f32_e32 v129, v7, v57
	v_pk_fma_f32 v[130:131], v[192:193], v[176:177], v[120:121] op_sel_hi:[1,0,1]
	s_set_vgpr_msb 1                        ;  msbs: dst=0 src0=1 src1=0 src2=0
	v_pk_mul_f32 v[122:123], v[10:11] /*v[266:267]*/, v[122:123] op_sel_hi:[1,0]
	s_set_vgpr_msb 0                        ;  msbs: dst=0 src0=0 src1=0 src2=0
	v_pk_fma_f32 v[120:121], v[192:193], v[176:177], v[120:121] neg_lo:[0,0,1] neg_hi:[0,0,1]
	v_pk_mul_f32 v[124:125], v[196:197], v[180:181] op_sel:[1,1] op_sel_hi:[0,1]
	s_set_vgpr_msb 4                        ;  msbs: dst=0 src0=0 src1=1 src2=0
	v_pk_add_f32 v[128:129], v[128:129], v[18:19] /*v[274:275]*/
	v_mov_b32_e32 v121, v131
	s_set_vgpr_msb 0                        ;  msbs: dst=0 src0=0 src1=0 src2=0
	v_pk_fma_f32 v[130:131], v[194:195], v[178:179], v[122:123] op_sel_hi:[1,0,1]
	v_pk_fma_f32 v[122:123], v[194:195], v[178:179], v[122:123] neg_lo:[0,0,1] neg_hi:[0,0,1]
	v_pk_fma_f32 v[134:135], v[196:197], v[180:181], v[124:125] op_sel_hi:[1,0,1]
	s_set_vgpr_msb 4                        ;  msbs: dst=0 src0=0 src1=1 src2=0
	v_pk_add_f32 v[128:129], v[128:129], v[20:21] /*v[276:277]*/
	s_set_vgpr_msb 1                        ;  msbs: dst=0 src0=1 src1=0 src2=0
	v_pk_mul_f32 v[126:127], v[12:13] /*v[268:269]*/, v[126:127] op_sel_hi:[1,0]
	s_set_vgpr_msb 0                        ;  msbs: dst=0 src0=0 src1=0 src2=0
	v_mov_b32_e32 v123, v131
	s_wait_loadcnt 0x2
	v_pk_mul_f32 v[132:133], v[200:201], v[184:185] op_sel:[1,1] op_sel_hi:[0,1]
	v_pk_fma_f32 v[124:125], v[196:197], v[180:181], v[124:125] neg_lo:[0,0,1] neg_hi:[0,0,1]
	v_pk_add_f32 v[120:121], v[128:129], v[120:121]
	v_dual_mov_b32 v128, v187 :: v_dual_mov_b32 v125, v135
	v_pk_fma_f32 v[130:131], v[198:199], v[182:183], v[126:127] op_sel_hi:[1,0,1]
	v_pk_fma_f32 v[126:127], v[198:199], v[182:183], v[126:127] neg_lo:[0,0,1] neg_hi:[0,0,1]
	s_delay_alu instid0(VALU_DEP_4)
	v_pk_add_f32 v[120:121], v[120:121], v[122:123]
	v_pk_fma_f32 v[122:123], v[200:201], v[184:185], v[132:133] op_sel_hi:[1,0,1]
	s_set_vgpr_msb 1                        ;  msbs: dst=0 src0=1 src1=0 src2=0
	v_pk_mul_f32 v[128:129], v[14:15] /*v[270:271]*/, v[128:129] op_sel_hi:[1,0]
	s_set_vgpr_msb 0                        ;  msbs: dst=0 src0=0 src1=0 src2=0
	v_mov_b32_e32 v127, v131
	v_pk_fma_f32 v[130:131], v[200:201], v[184:185], v[132:133] neg_lo:[0,0,1] neg_hi:[0,0,1]
	v_pk_add_f32 v[120:121], v[120:121], v[124:125]
	v_mov_b32_e32 v131, v123
	v_pk_fma_f32 v[122:123], v[202:203], v[186:187], v[128:129] op_sel_hi:[1,0,1]
	s_wait_loadcnt 0x1
	v_pk_mul_f32 v[124:125], v[204:205], v[188:189] op_sel:[1,1] op_sel_hi:[0,1]
	v_mov_b32_e32 v122, v191
	v_pk_add_f32 v[120:121], v[120:121], v[126:127]
	v_pk_fma_f32 v[128:129], v[202:203], v[186:187], v[128:129] neg_lo:[0,0,1] neg_hi:[0,0,1]
	v_mov_b32_e32 v129, v123
	v_pk_fma_f32 v[126:127], v[204:205], v[188:189], v[124:125] op_sel_hi:[1,0,1]
	s_set_vgpr_msb 1                        ;  msbs: dst=0 src0=1 src1=0 src2=0
	v_pk_mul_f32 v[122:123], v[16:17] /*v[272:273]*/, v[122:123] op_sel_hi:[1,0]
	s_set_vgpr_msb 0                        ;  msbs: dst=0 src0=0 src1=0 src2=0
	v_pk_add_f32 v[120:121], v[120:121], v[130:131]
	v_pk_fma_f32 v[124:125], v[204:205], v[188:189], v[124:125] neg_lo:[0,0,1] neg_hi:[0,0,1]
	v_mov_b32_e32 v125, v127
	v_pk_fma_f32 v[126:127], v[206:207], v[190:191], v[122:123] op_sel_hi:[1,0,1]
	s_delay_alu instid0(VALU_DEP_4) | instskip(SKIP_1) | instid1(VALU_DEP_3)
	v_pk_add_f32 v[120:121], v[120:121], v[128:129]
	v_pk_fma_f32 v[122:123], v[206:207], v[190:191], v[122:123] neg_lo:[0,0,1] neg_hi:[0,0,1]
	v_mov_b32_e32 v123, v127
	s_delay_alu instid0(VALU_DEP_3) | instskip(NEXT) | instid1(VALU_DEP_1)
	v_pk_add_f32 v[120:121], v[120:121], v[124:125]
	v_pk_add_f32 v[120:121], v[120:121], v[122:123]
	s_wait_loadcnt 0x0
	s_set_vgpr_msb 1                        ;  msbs: dst=0 src0=1 src1=0 src2=0
	s_delay_alu instid0(VALU_DEP_1)
	v_pk_add_f32 v[120:121], v[8:9] /*v[264:265]*/, v[120:121] neg_lo:[0,1] neg_hi:[0,1]
	scratch_store_b64 off, v[120:121], off offset:176
	s_wait_xcnt 0x0
	v_cmpx_lt_u32_e32 21, v0
	s_set_vgpr_msb 0                        ;  msbs: dst=0 src0=0 src1=0 src2=0
	s_cbranch_execz .LBB122_325
; %bb.324:
	scratch_load_b64 v[120:121], off, off offset:168
	v_mov_b64_e32 v[122:123], 0
	scratch_store_b64 off, v[122:123], off offset:168
	s_wait_loadcnt 0x0
	ds_store_b64 v1, v[120:121]
.LBB122_325:
	s_wait_xcnt 0x0
	s_or_b32 exec_lo, exec_lo, s0
	s_wait_storecnt_dscnt 0x0
	s_barrier_signal -1
	s_barrier_wait -1
	s_clause 0x14
	scratch_load_b128 v[120:123], off, off offset:176
	scratch_load_b128 v[124:127], off, off offset:192
	;; [unrolled: 1-line block ×18, first 2 shown]
	s_set_vgpr_msb 64                       ;  msbs: dst=1 src0=0 src1=0 src2=0
	scratch_load_b64 v[8:9] /*v[264:265]*/, off, off offset:464
	scratch_load_b64 v[10:11] /*v[266:267]*/, off, off offset:168
	s_set_vgpr_msb 0                        ;  msbs: dst=0 src0=0 src1=0 src2=0
	v_mov_b32_e32 v7, 0
	ds_load_b128 v[192:195], v7 offset:880
	ds_load_b128 v[196:199], v7 offset:896
	;; [unrolled: 1-line block ×16, first 2 shown]
	s_set_vgpr_msb 64                       ;  msbs: dst=1 src0=0 src1=0 src2=0
	ds_load_b128 v[0:3] /*v[256:259]*/, v7 offset:848
	ds_load_b128 v[4:7] /*v[260:263]*/, v7 offset:864
	ds_load_b64 v[12:13] /*v[268:269]*/, v7 offset:944
	s_mov_b32 s0, exec_lo
	s_wait_dscnt 0x12
	v_dual_mov_b32 v14 /*v270*/, v195 :: v_dual_mov_b32 v15 /*v271*/, v194
	s_wait_dscnt 0x11
	v_dual_mov_b32 v16 /*v272*/, v199 :: v_dual_mov_b32 v17 /*v273*/, v198
	;; [unrolled: 2-line block ×4, first 2 shown]
	s_wait_loadcnt 0x13
	s_set_vgpr_msb 0                        ;  msbs: dst=0 src0=0 src1=0 src2=0
	v_dual_mul_f32 v9, v204, v121 :: v_dual_mul_f32 v11, v206, v123
	s_wait_loadcnt 0x12
	v_dual_mul_f32 v13, v208, v125 :: v_dual_mul_f32 v65, v207, v123
	s_wait_loadcnt_dscnt 0x100b
	v_dual_mul_f32 v67, v209, v125 :: v_dual_mul_f32 v77, v223, v135
	v_dual_mul_f32 v15, v210, v127 :: v_dual_mul_f32 v17, v216, v129
	v_dual_mul_f32 v63, v205, v121 :: v_dual_fmac_f32 v9, v205, v120
	v_fma_f32 v65, v206, v122, -v65
	s_wait_loadcnt_dscnt 0x803
	v_mul_f32_e32 v55, v254, v167
	v_dual_mul_f32 v69, v211, v127 :: v_dual_mul_f32 v71, v217, v129
	v_fma_f32 v63, v204, v120, -v63
	s_wait_loadcnt_dscnt 0x601
	s_set_vgpr_msb 1                        ;  msbs: dst=0 src0=1 src1=0 src2=0
	v_mul_f32_e32 v61, v4 /*v260*/, v173
	s_set_vgpr_msb 0                        ;  msbs: dst=0 src0=0 src1=0 src2=0
	v_dual_fmac_f32 v11, v207, v122 :: v_dual_add_f32 v9, 0, v9
	v_dual_mul_f32 v79, v225, v137 :: v_dual_fma_f32 v67, v208, v124, -v67
	v_dual_add_f32 v63, 0, v63 :: v_dual_fmac_f32 v13, v209, v124
	s_delay_alu instid0(VALU_DEP_3) | instskip(SKIP_1) | instid1(VALU_DEP_3)
	v_dual_add_f32 v9, v9, v11 :: v_dual_fmac_f32 v15, v211, v126
	v_dual_mul_f32 v19, v218, v131 :: v_dual_mul_f32 v21, v220, v133
	v_add_f32_e32 v11, v63, v65
	v_dual_mul_f32 v63, v227, v139 :: v_dual_fma_f32 v65, v210, v126, -v69
	s_delay_alu instid0(VALU_DEP_4) | instskip(NEXT) | instid1(VALU_DEP_3)
	v_dual_add_f32 v9, v9, v13 :: v_dual_mul_f32 v73, v219, v131
	v_dual_mul_f32 v75, v221, v133 :: v_dual_add_f32 v11, v11, v67
	v_dual_mul_f32 v13, v229, v141 :: v_dual_fma_f32 v67, v216, v128, -v71
	v_fmac_f32_e32 v17, v217, v128
	s_delay_alu instid0(VALU_DEP_4) | instskip(NEXT) | instid1(VALU_DEP_4)
	v_dual_add_f32 v9, v9, v15 :: v_dual_fmac_f32 v19, v219, v130
	v_add_f32_e32 v11, v11, v65
	v_dual_mul_f32 v15, v231, v143 :: v_dual_fma_f32 v65, v218, v130, -v73
	s_delay_alu instid0(VALU_DEP_3) | instskip(NEXT) | instid1(VALU_DEP_3)
	v_dual_add_f32 v9, v9, v17 :: v_dual_mul_f32 v23, v222, v135
	v_dual_mul_f32 v25, v224, v137 :: v_dual_add_f32 v11, v11, v67
	v_dual_mul_f32 v17, v233, v145 :: v_dual_fma_f32 v67, v220, v132, -v75
	v_fmac_f32_e32 v21, v221, v132
	s_delay_alu instid0(VALU_DEP_4) | instskip(NEXT) | instid1(VALU_DEP_4)
	v_dual_add_f32 v9, v9, v19 :: v_dual_fmac_f32 v23, v223, v134
	v_add_f32_e32 v11, v11, v65
	v_dual_mul_f32 v19, v235, v147 :: v_dual_fma_f32 v65, v222, v134, -v77
	s_delay_alu instid0(VALU_DEP_3) | instskip(NEXT) | instid1(VALU_DEP_3)
	;; [unrolled: 9-line block ×4, first 2 shown]
	v_dual_add_f32 v9, v9, v29 :: v_dual_fma_f32 v17, v232, v144, -v17
	v_dual_add_f32 v11, v11, v13 :: v_dual_fmac_f32 v33, v233, v144
	v_dual_mul_f32 v35, v234, v147 :: v_dual_mul_f32 v37, v236, v149
	s_delay_alu instid0(VALU_DEP_2) | instskip(NEXT) | instid1(VALU_DEP_2)
	v_dual_mul_f32 v13, v245, v157 :: v_dual_add_f32 v11, v11, v15
	v_dual_add_f32 v9, v9, v31 :: v_dual_fmac_f32 v35, v235, v146
	v_dual_mul_f32 v15, v247, v159 :: v_dual_fma_f32 v19, v234, v146, -v19
	s_delay_alu instid0(VALU_DEP_3) | instskip(NEXT) | instid1(VALU_DEP_3)
	v_dual_add_f32 v11, v11, v17 :: v_dual_fmac_f32 v37, v237, v148
	v_dual_add_f32 v9, v9, v33 :: v_dual_fma_f32 v21, v236, v148, -v21
	v_dual_mul_f32 v39, v238, v151 :: v_dual_mul_f32 v41, v240, v153
	s_delay_alu instid0(VALU_DEP_3) | instskip(NEXT) | instid1(VALU_DEP_2)
	v_dual_mul_f32 v17, v249, v161 :: v_dual_add_f32 v11, v11, v19
	v_dual_add_f32 v9, v9, v35 :: v_dual_fmac_f32 v39, v239, v150
	v_dual_mul_f32 v19, v251, v163 :: v_dual_fma_f32 v23, v238, v150, -v23
	s_delay_alu instid0(VALU_DEP_3) | instskip(NEXT) | instid1(VALU_DEP_3)
	v_dual_add_f32 v11, v11, v21 :: v_dual_fmac_f32 v41, v241, v152
	v_dual_add_f32 v9, v9, v37 :: v_dual_fma_f32 v25, v240, v152, -v25
	v_dual_mul_f32 v43, v242, v155 :: v_dual_mul_f32 v45, v244, v157
	s_delay_alu instid0(VALU_DEP_3) | instskip(NEXT) | instid1(VALU_DEP_2)
	;; [unrolled: 8-line block ×3, first 2 shown]
	v_dual_add_f32 v11, v11, v27 :: v_dual_fma_f32 v15, v246, v158, -v15
	v_dual_add_f32 v9, v9, v43 :: v_dual_fmac_f32 v47, v247, v158
	v_dual_mul_f32 v51, v250, v163 :: v_dual_mul_f32 v53, v252, v165
	s_delay_alu instid0(VALU_DEP_3) | instskip(NEXT) | instid1(VALU_DEP_3)
	v_dual_add_f32 v11, v11, v13 :: v_dual_fmac_f32 v49, v249, v160
	v_dual_add_f32 v9, v9, v45 :: v_dual_fma_f32 v17, v248, v160, -v17
	s_delay_alu instid0(VALU_DEP_3) | instskip(NEXT) | instid1(VALU_DEP_3)
	v_fmac_f32_e32 v51, v251, v162
	v_dual_add_f32 v11, v11, v15 :: v_dual_fma_f32 v19, v250, v162, -v19
	s_delay_alu instid0(VALU_DEP_3) | instskip(SKIP_1) | instid1(VALU_DEP_3)
	v_add_f32_e32 v9, v9, v47
	v_fmac_f32_e32 v53, v253, v164
	v_dual_fma_f32 v21, v252, v164, -v21 :: v_dual_add_f32 v11, v11, v17
	s_wait_loadcnt 0x5
	v_mul_f32_e32 v17, v193, v177
	v_add_f32_e32 v9, v9, v49
	s_set_vgpr_msb 1                        ;  msbs: dst=0 src0=1 src1=0 src2=0
	v_dual_mul_f32 v57, v0 /*v256*/, v169 :: v_dual_mul_f32 v59, v2 /*v258*/, v171
	s_set_vgpr_msb 0                        ;  msbs: dst=0 src0=0 src1=0 src2=0
	v_add_f32_e32 v11, v11, v19
	s_set_vgpr_msb 1                        ;  msbs: dst=0 src0=1 src1=0 src2=0
	v_dual_mul_f32 v25, v1 /*v257*/, v169 :: v_dual_mul_f32 v27, v3 /*v259*/, v171
	s_set_vgpr_msb 0                        ;  msbs: dst=0 src0=0 src1=0 src2=0
	v_dual_add_f32 v9, v9, v51 :: v_dual_mov_b32 v120, v179
	v_fmac_f32_e32 v55, v255, v166
	v_dual_fma_f32 v19, v254, v166, -v23 :: v_dual_add_f32 v11, v11, v21
	s_delay_alu instid0(VALU_DEP_3)
	v_add_f32_e32 v9, v9, v53
	s_set_vgpr_msb 1                        ;  msbs: dst=0 src0=1 src1=0 src2=0
	v_dual_fmac_f32 v57, v1 /*v257*/, v168 :: v_dual_fmac_f32 v59, v3 /*v259*/, v170
	v_fma_f32 v21, v0 /*v256*/, v168, -v25
	s_wait_loadcnt 0x4
	s_set_vgpr_msb 0                        ;  msbs: dst=0 src0=0 src1=0 src2=0
	v_dual_mov_b32 v124, v183 :: v_dual_add_f32 v9, v9, v55
	v_add_f32_e32 v11, v11, v19
	s_set_vgpr_msb 1                        ;  msbs: dst=0 src0=1 src1=0 src2=0
	v_dual_mul_f32 v13, v5 /*v261*/, v173 :: v_dual_mul_f32 v15, v7 /*v263*/, v175
	v_fma_f32 v19, v2 /*v258*/, v170, -v27
	s_set_vgpr_msb 0                        ;  msbs: dst=0 src0=0 src1=0 src2=0
	v_add_f32_e32 v9, v9, v57
	v_add_f32_e32 v11, v11, v21
	s_set_vgpr_msb 0x41                     ;  msbs: dst=1 src0=1 src1=0 src2=0
	v_dual_mul_f32 v23 /*v279*/, v6 /*v262*/, v175 :: v_dual_fma_f32 v22 /*v278*/, v6 /*v262*/, v174, -v15
	s_set_vgpr_msb 1                        ;  msbs: dst=0 src0=1 src1=0 src2=0
	v_fmac_f32_e32 v61, v5 /*v261*/, v172
	v_fma_f32 v13, v4 /*v260*/, v172, -v13
	s_set_vgpr_msb 0                        ;  msbs: dst=0 src0=0 src1=0 src2=0
	v_add_f32_e32 v9, v9, v59
	v_add_f32_e32 v11, v11, v19
	s_set_vgpr_msb 1                        ;  msbs: dst=0 src0=1 src1=0 src2=0
	v_pk_mul_f32 v[120:121], v[14:15] /*v[270:271]*/, v[120:121] op_sel_hi:[1,0]
	s_set_vgpr_msb 64                       ;  msbs: dst=1 src0=0 src1=0 src2=0
	v_dual_mul_f32 v25 /*v281*/, v192, v177 :: v_dual_fma_f32 v24 /*v280*/, v192, v176, -v17
	s_set_vgpr_msb 0x41                     ;  msbs: dst=1 src0=1 src1=0 src2=0
	v_fmac_f32_e32 v23 /*v279*/, v7 /*v263*/, v174
	s_set_vgpr_msb 0                        ;  msbs: dst=0 src0=0 src1=0 src2=0
	v_add_f32_e32 v129, v9, v61
	v_pk_fma_f32 v[132:133], v[194:195], v[178:179], v[120:121] op_sel_hi:[1,0,1]
	v_add_f32_e32 v128, v11, v13
	v_pk_fma_f32 v[120:121], v[194:195], v[178:179], v[120:121] neg_lo:[0,0,1] neg_hi:[0,0,1]
	v_pk_mul_f32 v[122:123], v[196:197], v[180:181] op_sel:[1,1] op_sel_hi:[0,1]
	s_set_vgpr_msb 64                       ;  msbs: dst=1 src0=0 src1=0 src2=0
	v_fmac_f32_e32 v25 /*v281*/, v193, v176
	s_set_vgpr_msb 4                        ;  msbs: dst=0 src0=0 src1=1 src2=0
	v_mov_b32_e32 v121, v133
	v_pk_add_f32 v[128:129], v[128:129], v[22:23] /*v[278:279]*/
	s_set_vgpr_msb 1                        ;  msbs: dst=0 src0=1 src1=0 src2=0
	v_pk_mul_f32 v[124:125], v[16:17] /*v[272:273]*/, v[124:125] op_sel_hi:[1,0]
	s_set_vgpr_msb 0                        ;  msbs: dst=0 src0=0 src1=0 src2=0
	v_pk_fma_f32 v[134:135], v[196:197], v[180:181], v[122:123] op_sel_hi:[1,0,1]
	v_pk_fma_f32 v[122:123], v[196:197], v[180:181], v[122:123] neg_lo:[0,0,1] neg_hi:[0,0,1]
	s_wait_loadcnt 0x3
	v_pk_mul_f32 v[126:127], v[200:201], v[184:185] op_sel:[1,1] op_sel_hi:[0,1]
	s_set_vgpr_msb 4                        ;  msbs: dst=0 src0=0 src1=1 src2=0
	v_pk_add_f32 v[128:129], v[128:129], v[24:25] /*v[280:281]*/
	v_dual_mov_b32 v130, v187 :: v_dual_mov_b32 v123, v135
	s_set_vgpr_msb 0                        ;  msbs: dst=0 src0=0 src1=0 src2=0
	v_pk_fma_f32 v[134:135], v[198:199], v[182:183], v[124:125] op_sel_hi:[1,0,1]
	v_pk_fma_f32 v[124:125], v[198:199], v[182:183], v[124:125] neg_lo:[0,0,1] neg_hi:[0,0,1]
	v_pk_add_f32 v[120:121], v[128:129], v[120:121]
	v_pk_fma_f32 v[128:129], v[200:201], v[184:185], v[126:127] op_sel_hi:[1,0,1]
	s_set_vgpr_msb 1                        ;  msbs: dst=0 src0=1 src1=0 src2=0
	v_pk_mul_f32 v[130:131], v[18:19] /*v[274:275]*/, v[130:131] op_sel_hi:[1,0]
	s_set_vgpr_msb 0                        ;  msbs: dst=0 src0=0 src1=0 src2=0
	v_mov_b32_e32 v125, v135
	v_pk_fma_f32 v[126:127], v[200:201], v[184:185], v[126:127] neg_lo:[0,0,1] neg_hi:[0,0,1]
	v_pk_add_f32 v[120:121], v[120:121], v[122:123]
	s_wait_loadcnt 0x2
	v_pk_mul_f32 v[132:133], v[212:213], v[188:189] op_sel:[1,1] op_sel_hi:[0,1]
	v_dual_mov_b32 v122, v191 :: v_dual_mov_b32 v127, v129
	v_pk_fma_f32 v[128:129], v[202:203], v[186:187], v[130:131] op_sel_hi:[1,0,1]
	v_pk_add_f32 v[120:121], v[120:121], v[124:125]
	v_pk_fma_f32 v[130:131], v[202:203], v[186:187], v[130:131] neg_lo:[0,0,1] neg_hi:[0,0,1]
	v_pk_fma_f32 v[124:125], v[212:213], v[188:189], v[132:133] op_sel_hi:[1,0,1]
	s_set_vgpr_msb 1                        ;  msbs: dst=0 src0=1 src1=0 src2=0
	v_pk_mul_f32 v[122:123], v[20:21] /*v[276:277]*/, v[122:123] op_sel_hi:[1,0]
	s_set_vgpr_msb 0                        ;  msbs: dst=0 src0=0 src1=0 src2=0
	v_mov_b32_e32 v131, v129
	v_pk_add_f32 v[120:121], v[120:121], v[126:127]
	v_pk_fma_f32 v[126:127], v[212:213], v[188:189], v[132:133] neg_lo:[0,0,1] neg_hi:[0,0,1]
	v_mov_b32_e32 v127, v125
	v_pk_fma_f32 v[124:125], v[214:215], v[190:191], v[122:123] op_sel_hi:[1,0,1]
	s_wait_loadcnt_dscnt 0x100
	s_set_vgpr_msb 5                        ;  msbs: dst=0 src0=1 src1=1 src2=0
	v_pk_mul_f32 v[128:129], v[12:13] /*v[268:269]*/, v[8:9] /*v[264:265]*/ op_sel:[1,1] op_sel_hi:[0,1]
	s_set_vgpr_msb 0                        ;  msbs: dst=0 src0=0 src1=0 src2=0
	v_pk_add_f32 v[120:121], v[120:121], v[130:131]
	v_pk_fma_f32 v[122:123], v[214:215], v[190:191], v[122:123] neg_lo:[0,0,1] neg_hi:[0,0,1]
	v_mov_b32_e32 v123, v125
	s_set_vgpr_msb 5                        ;  msbs: dst=0 src0=1 src1=1 src2=0
	v_pk_fma_f32 v[124:125], v[12:13] /*v[268:269]*/, v[8:9] /*v[264:265]*/, v[128:129] op_sel_hi:[1,0,1]
	s_set_vgpr_msb 0                        ;  msbs: dst=0 src0=0 src1=0 src2=0
	v_pk_add_f32 v[120:121], v[120:121], v[126:127]
	s_set_vgpr_msb 5                        ;  msbs: dst=0 src0=1 src1=1 src2=0
	v_pk_fma_f32 v[126:127], v[12:13] /*v[268:269]*/, v[8:9] /*v[264:265]*/, v[128:129] neg_lo:[0,0,1] neg_hi:[0,0,1]
	s_set_vgpr_msb 0                        ;  msbs: dst=0 src0=0 src1=0 src2=0
	v_mov_b32_e32 v127, v125
	v_pk_add_f32 v[120:121], v[120:121], v[122:123]
	s_delay_alu instid0(VALU_DEP_1) | instskip(SKIP_2) | instid1(VALU_DEP_1)
	v_pk_add_f32 v[120:121], v[120:121], v[126:127]
	s_wait_loadcnt 0x0
	s_set_vgpr_msb 1                        ;  msbs: dst=0 src0=1 src1=0 src2=0
	v_pk_add_f32 v[120:121], v[10:11] /*v[266:267]*/, v[120:121] neg_lo:[0,1] neg_hi:[0,1]
	scratch_store_b64 off, v[120:121], off offset:168
	s_wait_xcnt 0x0
	v_cmpx_lt_u32_e32 20, v0
	s_set_vgpr_msb 0                        ;  msbs: dst=0 src0=0 src1=0 src2=0
	s_cbranch_execz .LBB122_327
; %bb.326:
	scratch_load_b64 v[120:121], off, off offset:160
	v_mov_b64_e32 v[122:123], 0
	scratch_store_b64 off, v[122:123], off offset:160
	s_wait_loadcnt 0x0
	ds_store_b64 v1, v[120:121]
.LBB122_327:
	s_wait_xcnt 0x0
	s_or_b32 exec_lo, exec_lo, s0
	s_wait_storecnt_dscnt 0x0
	s_barrier_signal -1
	s_barrier_wait -1
	s_clause 0x14
	scratch_load_b128 v[120:123], off, off offset:168
	scratch_load_b128 v[124:127], off, off offset:184
	;; [unrolled: 1-line block ×19, first 2 shown]
	s_set_vgpr_msb 64                       ;  msbs: dst=1 src0=0 src1=0 src2=0
	scratch_load_b64 v[16:17] /*v[272:273]*/, off, off offset:160
	s_set_vgpr_msb 0                        ;  msbs: dst=0 src0=0 src1=0 src2=0
	ds_load_2addr_b64 v[196:199], v7 offset0:111 offset1:112
	ds_load_2addr_b64 v[200:203], v7 offset0:113 offset1:114
	;; [unrolled: 1-line block ×15, first 2 shown]
	s_set_vgpr_msb 64                       ;  msbs: dst=1 src0=0 src1=0 src2=0
	ds_load_2addr_b64 v[0:3] /*v[256:259]*/, v7 offset0:101 offset1:102
	ds_load_2addr_b64 v[4:7] /*v[260:263]*/, v7 offset0:103 offset1:104
	;; [unrolled: 1-line block ×4, first 2 shown]
	s_mov_b32 s0, exec_lo
	s_wait_dscnt 0x12
	v_dual_mov_b32 v18 /*v274*/, v199 :: v_dual_mov_b32 v19 /*v275*/, v198
	s_wait_dscnt 0x11
	v_dual_mov_b32 v20 /*v276*/, v203 :: v_dual_mov_b32 v21 /*v277*/, v202
	;; [unrolled: 2-line block ×4, first 2 shown]
	s_wait_loadcnt_dscnt 0x130d
	s_set_vgpr_msb 0                        ;  msbs: dst=0 src0=0 src1=0 src2=0
	v_dual_mul_f32 v7, v216, v121 :: v_dual_mul_f32 v9, v218, v123
	v_dual_mul_f32 v63, v217, v121 :: v_dual_mul_f32 v65, v219, v123
	s_wait_loadcnt_dscnt 0x120c
	v_dual_mul_f32 v11, v220, v125 :: v_dual_mul_f32 v13, v222, v127
	s_delay_alu instid0(VALU_DEP_3) | instskip(SKIP_3) | instid1(VALU_DEP_3)
	v_dual_fmac_f32 v7, v217, v120 :: v_dual_fmac_f32 v9, v219, v122
	s_wait_loadcnt_dscnt 0x100a
	v_dual_fma_f32 v63, v216, v120, -v63 :: v_dual_mul_f32 v75, v229, v133
	v_dual_mul_f32 v67, v221, v125 :: v_dual_mul_f32 v69, v223, v127
	v_dual_fma_f32 v65, v218, v122, -v65 :: v_dual_add_f32 v7, 0, v7
	s_delay_alu instid0(VALU_DEP_3) | instskip(SKIP_1) | instid1(VALU_DEP_4)
	v_dual_add_f32 v63, 0, v63 :: v_dual_fmac_f32 v11, v221, v124
	v_dual_mul_f32 v15, v224, v129 :: v_dual_mul_f32 v17, v226, v131
	v_dual_mul_f32 v77, v231, v135 :: v_dual_fma_f32 v67, v220, v124, -v67
	s_delay_alu instid0(VALU_DEP_4) | instskip(NEXT) | instid1(VALU_DEP_3)
	v_add_f32_e32 v7, v7, v9
	v_dual_add_f32 v9, v63, v65 :: v_dual_fmac_f32 v15, v225, v128
	v_dual_mul_f32 v71, v225, v129 :: v_dual_mul_f32 v73, v227, v131
	s_wait_loadcnt_dscnt 0xf09
	v_dual_mul_f32 v63, v233, v137 :: v_dual_fmac_f32 v13, v223, v126
	v_dual_fma_f32 v65, v222, v126, -v69 :: v_dual_add_f32 v7, v7, v11
	s_delay_alu instid0(VALU_DEP_3) | instskip(SKIP_1) | instid1(VALU_DEP_3)
	v_dual_add_f32 v9, v9, v67 :: v_dual_fma_f32 v67, v224, v128, -v71
	v_dual_mul_f32 v19, v228, v133 :: v_dual_mul_f32 v21, v230, v135
	v_add_f32_e32 v7, v7, v13
	s_delay_alu instid0(VALU_DEP_3) | instskip(SKIP_2) | instid1(VALU_DEP_3)
	v_dual_mul_f32 v11, v235, v139 :: v_dual_add_f32 v9, v9, v65
	s_wait_loadcnt_dscnt 0xe08
	v_dual_mul_f32 v13, v237, v141 :: v_dual_fmac_f32 v17, v227, v130
	v_dual_fma_f32 v65, v226, v130, -v73 :: v_dual_add_f32 v7, v7, v15
	s_delay_alu instid0(VALU_DEP_3) | instskip(SKIP_1) | instid1(VALU_DEP_3)
	v_dual_add_f32 v9, v9, v67 :: v_dual_fma_f32 v67, v228, v132, -v75
	v_dual_mul_f32 v15, v239, v143 :: v_dual_fmac_f32 v19, v229, v132
	v_add_f32_e32 v7, v7, v17
	s_delay_alu instid0(VALU_DEP_3)
	v_dual_add_f32 v9, v9, v65 :: v_dual_fmac_f32 v21, v231, v134
	v_dual_mul_f32 v23, v232, v137 :: v_dual_mul_f32 v25, v234, v139
	s_wait_loadcnt_dscnt 0xd07
	v_dual_fma_f32 v65, v230, v134, -v77 :: v_dual_mul_f32 v17, v241, v145
	v_add_f32_e32 v7, v7, v19
	v_dual_add_f32 v9, v9, v67 :: v_dual_fma_f32 v63, v232, v136, -v63
	v_dual_mul_f32 v19, v243, v147 :: v_dual_fmac_f32 v23, v233, v136
	s_delay_alu instid0(VALU_DEP_3) | instskip(NEXT) | instid1(VALU_DEP_3)
	v_dual_add_f32 v7, v7, v21 :: v_dual_fma_f32 v11, v234, v138, -v11
	v_dual_add_f32 v9, v9, v65 :: v_dual_fmac_f32 v25, v235, v138
	v_dual_mul_f32 v27, v236, v141 :: v_dual_mul_f32 v29, v238, v143
	s_wait_loadcnt_dscnt 0xc06
	s_delay_alu instid0(VALU_DEP_3) | instskip(NEXT) | instid1(VALU_DEP_3)
	v_dual_mul_f32 v21, v245, v149 :: v_dual_add_f32 v7, v7, v23
	v_dual_add_f32 v9, v9, v63 :: v_dual_fma_f32 v13, v236, v140, -v13
	s_delay_alu instid0(VALU_DEP_3) | instskip(NEXT) | instid1(VALU_DEP_2)
	v_dual_mul_f32 v23, v247, v151 :: v_dual_fmac_f32 v27, v237, v140
	v_dual_add_f32 v7, v7, v25 :: v_dual_add_f32 v9, v9, v11
	v_dual_mul_f32 v31, v240, v145 :: v_dual_mul_f32 v33, v242, v147
	s_wait_loadcnt_dscnt 0xb05
	v_dual_mul_f32 v11, v249, v153 :: v_dual_fmac_f32 v29, v239, v142
	s_delay_alu instid0(VALU_DEP_3) | instskip(SKIP_2) | instid1(VALU_DEP_2)
	v_dual_fma_f32 v15, v238, v142, -v15 :: v_dual_add_f32 v7, v7, v27
	v_dual_add_f32 v9, v9, v13 :: v_dual_mul_f32 v13, v251, v155
	v_dual_fmac_f32 v31, v241, v144 :: v_dual_fma_f32 v17, v240, v144, -v17
	v_dual_add_f32 v7, v7, v29 :: v_dual_add_f32 v9, v9, v15
	v_dual_mul_f32 v35, v244, v149 :: v_dual_mul_f32 v37, v246, v151
	s_wait_loadcnt_dscnt 0xa04
	v_dual_mul_f32 v15, v253, v157 :: v_dual_fmac_f32 v33, v243, v146
	s_delay_alu instid0(VALU_DEP_3) | instskip(SKIP_2) | instid1(VALU_DEP_2)
	v_dual_fma_f32 v19, v242, v146, -v19 :: v_dual_add_f32 v7, v7, v31
	v_dual_add_f32 v9, v9, v17 :: v_dual_mul_f32 v17, v255, v159
	v_dual_fmac_f32 v35, v245, v148 :: v_dual_fma_f32 v21, v244, v148, -v21
	v_dual_add_f32 v7, v7, v33 :: v_dual_add_f32 v9, v9, v19
	v_dual_mul_f32 v39, v248, v153 :: v_dual_mul_f32 v41, v250, v155
	v_dual_fmac_f32 v37, v247, v150 :: v_dual_fma_f32 v23, v246, v150, -v23
	s_delay_alu instid0(VALU_DEP_3) | instskip(NEXT) | instid1(VALU_DEP_3)
	v_dual_add_f32 v7, v7, v35 :: v_dual_add_f32 v9, v9, v21
	v_fmac_f32_e32 v39, v249, v152
	v_fma_f32 v11, v248, v152, -v11
	v_dual_mul_f32 v43, v252, v157 :: v_dual_mul_f32 v45, v254, v159
	s_delay_alu instid0(VALU_DEP_4)
	v_dual_add_f32 v7, v7, v37 :: v_dual_add_f32 v9, v9, v23
	v_fmac_f32_e32 v41, v251, v154
	v_fma_f32 v13, v250, v154, -v13
	s_wait_loadcnt_dscnt 0x903
	s_set_vgpr_msb 1                        ;  msbs: dst=0 src0=1 src1=0 src2=0
	v_dual_mul_f32 v47, v0 /*v256*/, v161 :: v_dual_mul_f32 v49, v2 /*v258*/, v163
	s_set_vgpr_msb 0                        ;  msbs: dst=0 src0=0 src1=0 src2=0
	v_add_f32_e32 v7, v7, v39
	v_add_f32_e32 v9, v9, v11
	v_fmac_f32_e32 v43, v253, v156
	v_fma_f32 v15, v252, v156, -v15
	s_set_vgpr_msb 1                        ;  msbs: dst=0 src0=1 src1=0 src2=0
	v_dual_mul_f32 v19, v1 /*v257*/, v161 :: v_dual_mul_f32 v21, v3 /*v259*/, v163
	s_set_vgpr_msb 0                        ;  msbs: dst=0 src0=0 src1=0 src2=0
	v_add_f32_e32 v7, v7, v41
	v_dual_add_f32 v9, v9, v13 :: v_dual_fmac_f32 v45, v255, v158
	v_fma_f32 v17, v254, v158, -v17
	s_set_vgpr_msb 1                        ;  msbs: dst=0 src0=1 src1=0 src2=0
	v_dual_fmac_f32 v47, v1 /*v257*/, v160 :: v_dual_fmac_f32 v49, v3 /*v259*/, v162
	s_set_vgpr_msb 0                        ;  msbs: dst=0 src0=0 src1=0 src2=0
	v_add_f32_e32 v7, v7, v43
	v_add_f32_e32 v9, v9, v15
	s_set_vgpr_msb 1                        ;  msbs: dst=0 src0=1 src1=0 src2=0
	v_fma_f32 v19, v0 /*v256*/, v160, -v19
	s_wait_loadcnt_dscnt 0x802
	v_dual_mul_f32 v51, v4 /*v260*/, v165 :: v_dual_mul_f32 v53, v6 /*v262*/, v167
	s_wait_loadcnt_dscnt 0x701
	v_dual_mul_f32 v55, v8 /*v264*/, v169 :: v_dual_mul_f32 v57, v10 /*v266*/, v171
	s_set_vgpr_msb 0                        ;  msbs: dst=0 src0=0 src1=0 src2=0
	v_add_f32_e32 v9, v9, v17
	s_wait_loadcnt_dscnt 0x600
	s_set_vgpr_msb 1                        ;  msbs: dst=0 src0=1 src1=0 src2=0
	v_mul_f32_e32 v17, v13 /*v269*/, v173
	s_set_vgpr_msb 0                        ;  msbs: dst=0 src0=0 src1=0 src2=0
	v_add_f32_e32 v7, v7, v45
	s_set_vgpr_msb 1                        ;  msbs: dst=0 src0=1 src1=0 src2=0
	v_dual_mul_f32 v23, v5 /*v261*/, v165 :: v_dual_mul_f32 v11, v7 /*v263*/, v167
	v_fma_f32 v21, v2 /*v258*/, v162, -v21
	s_set_vgpr_msb 0                        ;  msbs: dst=0 src0=0 src1=0 src2=0
	v_add_f32_e32 v9, v9, v19
	v_add_f32_e32 v7, v7, v47
	s_set_vgpr_msb 1                        ;  msbs: dst=0 src0=1 src1=0 src2=0
	v_dual_mul_f32 v19, v15 /*v271*/, v175 :: v_dual_fmac_f32 v51, v5 /*v261*/, v164
	v_dual_fmac_f32 v53, v7 /*v263*/, v166 :: v_dual_fma_f32 v23, v4 /*v260*/, v164, -v23
	v_fmac_f32_e32 v57, v11 /*v267*/, v170
	s_set_vgpr_msb 0                        ;  msbs: dst=0 src0=0 src1=0 src2=0
	v_add_f32_e32 v9, v9, v21
	v_add_f32_e32 v7, v7, v49
	s_set_vgpr_msb 1                        ;  msbs: dst=0 src0=1 src1=0 src2=0
	v_dual_mul_f32 v13, v9 /*v265*/, v169 :: v_dual_mul_f32 v15, v11 /*v267*/, v171
	v_fma_f32 v11, v6 /*v262*/, v166, -v11
	s_set_vgpr_msb 0                        ;  msbs: dst=0 src0=0 src1=0 src2=0
	v_add_f32_e32 v9, v9, v23
	v_add_f32_e32 v7, v7, v51
	s_set_vgpr_msb 1                        ;  msbs: dst=0 src0=1 src1=0 src2=0
	v_dual_mul_f32 v59, v12 /*v268*/, v173 :: v_dual_mul_f32 v61, v14 /*v270*/, v175
	v_dual_fmac_f32 v55, v9 /*v265*/, v168 :: v_dual_fma_f32 v13, v8 /*v264*/, v168, -v13
	s_set_vgpr_msb 0                        ;  msbs: dst=0 src0=0 src1=0 src2=0
	v_dual_add_f32 v7, v7, v53 :: v_dual_add_f32 v9, v9, v11
	s_set_vgpr_msb 1                        ;  msbs: dst=0 src0=1 src1=0 src2=0
	v_fma_f32 v11, v10 /*v266*/, v170, -v15
	v_dual_fmac_f32 v61, v15 /*v271*/, v174 :: v_dual_fmac_f32 v59, v13 /*v269*/, v172
	s_set_vgpr_msb 0                        ;  msbs: dst=0 src0=0 src1=0 src2=0
	v_dual_add_f32 v7, v7, v55 :: v_dual_add_f32 v9, v9, v13
	s_set_vgpr_msb 1                        ;  msbs: dst=0 src0=1 src1=0 src2=0
	v_fma_f32 v13, v12 /*v268*/, v172, -v17
	s_wait_loadcnt 0x3
	s_set_vgpr_msb 0                        ;  msbs: dst=0 src0=0 src1=0 src2=0
	v_dual_mov_b32 v122, v183 :: v_dual_mov_b32 v126, v187
	s_set_vgpr_msb 64                       ;  msbs: dst=1 src0=0 src1=0 src2=0
	v_dual_mul_f32 v27 /*v283*/, v204, v177 :: v_dual_mul_f32 v29 /*v285*/, v206, v179
	s_set_vgpr_msb 0                        ;  msbs: dst=0 src0=0 src1=0 src2=0
	v_add_f32_e32 v9, v9, v11
	s_set_vgpr_msb 1                        ;  msbs: dst=0 src0=1 src1=0 src2=0
	v_fma_f32 v11, v14 /*v270*/, v174, -v19
	s_set_vgpr_msb 0                        ;  msbs: dst=0 src0=0 src1=0 src2=0
	v_dual_mul_f32 v21, v205, v177 :: v_dual_mul_f32 v23, v207, v179
	v_pk_mul_f32 v[120:121], v[196:197], v[180:181] op_sel:[1,1] op_sel_hi:[0,1]
	v_add_f32_e32 v9, v9, v13
	v_add_f32_e32 v7, v7, v57
	s_set_vgpr_msb 64                       ;  msbs: dst=1 src0=0 src1=0 src2=0
	v_dual_fmac_f32 v27 /*v283*/, v205, v176 :: v_dual_fmac_f32 v29 /*v285*/, v207, v178
	v_dual_fma_f32 v26 /*v282*/, v204, v176, -v21 :: v_dual_fma_f32 v28 /*v284*/, v206, v178, -v23
	s_set_vgpr_msb 0                        ;  msbs: dst=0 src0=0 src1=0 src2=0
	v_add_f32_e32 v128, v9, v11
	v_add_f32_e32 v7, v7, v59
	v_pk_fma_f32 v[130:131], v[196:197], v[180:181], v[120:121] op_sel_hi:[1,0,1]
	s_set_vgpr_msb 1                        ;  msbs: dst=0 src0=1 src1=0 src2=0
	v_pk_mul_f32 v[122:123], v[18:19] /*v[274:275]*/, v[122:123] op_sel_hi:[1,0]
	s_set_vgpr_msb 0                        ;  msbs: dst=0 src0=0 src1=0 src2=0
	v_pk_fma_f32 v[120:121], v[196:197], v[180:181], v[120:121] neg_lo:[0,0,1] neg_hi:[0,0,1]
	v_pk_mul_f32 v[124:125], v[200:201], v[184:185] op_sel:[1,1] op_sel_hi:[0,1]
	v_add_f32_e32 v129, v7, v61
	v_mov_b32_e32 v121, v131
	v_pk_fma_f32 v[130:131], v[198:199], v[182:183], v[122:123] op_sel_hi:[1,0,1]
	v_pk_fma_f32 v[122:123], v[198:199], v[182:183], v[122:123] neg_lo:[0,0,1] neg_hi:[0,0,1]
	v_pk_fma_f32 v[134:135], v[200:201], v[184:185], v[124:125] op_sel_hi:[1,0,1]
	s_set_vgpr_msb 4                        ;  msbs: dst=0 src0=0 src1=1 src2=0
	v_pk_add_f32 v[128:129], v[128:129], v[26:27] /*v[282:283]*/
	s_set_vgpr_msb 1                        ;  msbs: dst=0 src0=1 src1=0 src2=0
	v_pk_mul_f32 v[126:127], v[20:21] /*v[276:277]*/, v[126:127] op_sel_hi:[1,0]
	s_set_vgpr_msb 0                        ;  msbs: dst=0 src0=0 src1=0 src2=0
	v_mov_b32_e32 v123, v131
	s_wait_loadcnt 0x2
	v_pk_mul_f32 v[132:133], v[208:209], v[188:189] op_sel:[1,1] op_sel_hi:[0,1]
	v_pk_fma_f32 v[124:125], v[200:201], v[184:185], v[124:125] neg_lo:[0,0,1] neg_hi:[0,0,1]
	s_set_vgpr_msb 4                        ;  msbs: dst=0 src0=0 src1=1 src2=0
	v_pk_add_f32 v[128:129], v[128:129], v[28:29] /*v[284:285]*/
	v_mov_b32_e32 v125, v135
	s_set_vgpr_msb 0                        ;  msbs: dst=0 src0=0 src1=0 src2=0
	v_pk_fma_f32 v[130:131], v[202:203], v[186:187], v[126:127] op_sel_hi:[1,0,1]
	v_pk_fma_f32 v[126:127], v[202:203], v[186:187], v[126:127] neg_lo:[0,0,1] neg_hi:[0,0,1]
	v_pk_add_f32 v[120:121], v[128:129], v[120:121]
	v_mov_b32_e32 v128, v191
	s_delay_alu instid0(VALU_DEP_2) | instskip(SKIP_2) | instid1(VALU_DEP_3)
	v_pk_add_f32 v[120:121], v[120:121], v[122:123]
	v_pk_fma_f32 v[122:123], v[208:209], v[188:189], v[132:133] op_sel_hi:[1,0,1]
	s_set_vgpr_msb 1                        ;  msbs: dst=0 src0=1 src1=0 src2=0
	v_pk_mul_f32 v[128:129], v[22:23] /*v[278:279]*/, v[128:129] op_sel_hi:[1,0]
	s_set_vgpr_msb 0                        ;  msbs: dst=0 src0=0 src1=0 src2=0
	v_mov_b32_e32 v127, v131
	v_pk_fma_f32 v[130:131], v[208:209], v[188:189], v[132:133] neg_lo:[0,0,1] neg_hi:[0,0,1]
	v_pk_add_f32 v[120:121], v[120:121], v[124:125]
	v_mov_b32_e32 v131, v123
	v_pk_fma_f32 v[122:123], v[210:211], v[190:191], v[128:129] op_sel_hi:[1,0,1]
	s_wait_loadcnt 0x1
	v_pk_mul_f32 v[124:125], v[212:213], v[192:193] op_sel:[1,1] op_sel_hi:[0,1]
	v_mov_b32_e32 v122, v195
	v_pk_add_f32 v[120:121], v[120:121], v[126:127]
	v_pk_fma_f32 v[128:129], v[210:211], v[190:191], v[128:129] neg_lo:[0,0,1] neg_hi:[0,0,1]
	v_mov_b32_e32 v129, v123
	v_pk_fma_f32 v[126:127], v[212:213], v[192:193], v[124:125] op_sel_hi:[1,0,1]
	s_set_vgpr_msb 1                        ;  msbs: dst=0 src0=1 src1=0 src2=0
	v_pk_mul_f32 v[122:123], v[24:25] /*v[280:281]*/, v[122:123] op_sel_hi:[1,0]
	s_set_vgpr_msb 0                        ;  msbs: dst=0 src0=0 src1=0 src2=0
	v_pk_add_f32 v[120:121], v[120:121], v[130:131]
	v_pk_fma_f32 v[124:125], v[212:213], v[192:193], v[124:125] neg_lo:[0,0,1] neg_hi:[0,0,1]
	v_mov_b32_e32 v125, v127
	v_pk_fma_f32 v[126:127], v[214:215], v[194:195], v[122:123] op_sel_hi:[1,0,1]
	s_delay_alu instid0(VALU_DEP_4) | instskip(SKIP_1) | instid1(VALU_DEP_3)
	v_pk_add_f32 v[120:121], v[120:121], v[128:129]
	v_pk_fma_f32 v[122:123], v[214:215], v[194:195], v[122:123] neg_lo:[0,0,1] neg_hi:[0,0,1]
	v_mov_b32_e32 v123, v127
	s_delay_alu instid0(VALU_DEP_3) | instskip(NEXT) | instid1(VALU_DEP_1)
	v_pk_add_f32 v[120:121], v[120:121], v[124:125]
	v_pk_add_f32 v[120:121], v[120:121], v[122:123]
	s_wait_loadcnt 0x0
	s_set_vgpr_msb 1                        ;  msbs: dst=0 src0=1 src1=0 src2=0
	s_delay_alu instid0(VALU_DEP_1)
	v_pk_add_f32 v[120:121], v[16:17] /*v[272:273]*/, v[120:121] neg_lo:[0,1] neg_hi:[0,1]
	scratch_store_b64 off, v[120:121], off offset:160
	s_wait_xcnt 0x0
	v_cmpx_lt_u32_e32 19, v0
	s_set_vgpr_msb 0                        ;  msbs: dst=0 src0=0 src1=0 src2=0
	s_cbranch_execz .LBB122_329
; %bb.328:
	scratch_load_b64 v[120:121], off, off offset:152
	v_mov_b64_e32 v[122:123], 0
	scratch_store_b64 off, v[122:123], off offset:152
	s_wait_loadcnt 0x0
	ds_store_b64 v1, v[120:121]
.LBB122_329:
	s_wait_xcnt 0x0
	s_or_b32 exec_lo, exec_lo, s0
	v_mov_b32_e32 v7, 0
	s_wait_storecnt_dscnt 0x0
	s_barrier_signal -1
	s_barrier_wait -1
	ds_load_b128 v[120:123], v7 offset:640
	ds_load_b128 v[124:127], v7 offset:656
	;; [unrolled: 1-line block ×4, first 2 shown]
	s_clause 0xf
	scratch_load_b128 v[136:139], off, off offset:160
	scratch_load_b128 v[140:143], off, off offset:176
	;; [unrolled: 1-line block ×16, first 2 shown]
	s_mov_b32 s0, exec_lo
	s_wait_loadcnt_dscnt 0xf03
	v_mul_f32_e32 v9, v120, v137
	ds_load_b128 v[232:235], v7 offset:864
	ds_load_b128 v[240:243], v7 offset:880
	;; [unrolled: 1-line block ×4, first 2 shown]
	v_dual_fmac_f32 v9, v121, v136 :: v_dual_mul_f32 v11, v122, v139
	ds_load_b128 v[168:171], v7 offset:736
	ds_load_b128 v[176:179], v7 offset:752
	;; [unrolled: 1-line block ×4, first 2 shown]
	v_dual_add_f32 v9, 0, v9 :: v_dual_fmac_f32 v11, v123, v138
	ds_load_b128 v[200:203], v7 offset:800
	ds_load_b128 v[208:211], v7 offset:816
	ds_load_b128 v[216:219], v7 offset:832
	ds_load_b128 v[224:227], v7 offset:848
	s_wait_loadcnt_dscnt 0xe0e
	v_dual_add_f32 v9, v9, v11 :: v_dual_mul_f32 v11, v124, v141
	s_clause 0x4
	scratch_load_b128 v[248:251], off, off offset:416
	scratch_load_b128 v[252:255], off, off offset:432
	s_set_vgpr_msb 64                       ;  msbs: dst=1 src0=0 src1=0 src2=0
	scratch_load_b128 v[0:3] /*v[256:259]*/, off, off offset:448
	scratch_load_b64 v[10:11] /*v[266:267]*/, off, off offset:464
	s_wait_loadcnt_dscnt 0x40a
	v_dual_mul_f32 v7 /*v263*/, v234, v239 :: v_dual_mul_f32 v9 /*v265*/, v240, v245
	s_set_vgpr_msb 0                        ;  msbs: dst=0 src0=0 src1=0 src2=0
	v_fmac_f32_e32 v11, v125, v140
	s_set_vgpr_msb 64                       ;  msbs: dst=1 src0=0 src1=0 src2=0
	s_delay_alu instid0(VALU_DEP_2) | instskip(SKIP_1) | instid1(VALU_DEP_2)
	v_dual_fmac_f32 v7 /*v263*/, v235, v238 :: v_dual_fmac_f32 v9 /*v265*/, v241, v244
	s_set_vgpr_msb 0                        ;  msbs: dst=0 src0=0 src1=0 src2=0
	v_add_f32_e32 v9, v9, v11
	v_mul_f32_e32 v11, v126, v143
	s_delay_alu instid0(VALU_DEP_1) | instskip(NEXT) | instid1(VALU_DEP_1)
	v_fmac_f32_e32 v11, v127, v142
	v_dual_add_f32 v9, v9, v11 :: v_dual_mul_f32 v11, v128, v145
	s_delay_alu instid0(VALU_DEP_1) | instskip(NEXT) | instid1(VALU_DEP_1)
	v_fmac_f32_e32 v11, v129, v144
	v_add_f32_e32 v9, v9, v11
	v_mul_f32_e32 v11, v130, v147
	s_delay_alu instid0(VALU_DEP_1) | instskip(NEXT) | instid1(VALU_DEP_1)
	v_fmac_f32_e32 v11, v131, v146
	v_dual_add_f32 v9, v9, v11 :: v_dual_mul_f32 v11, v132, v149
	s_delay_alu instid0(VALU_DEP_1) | instskip(NEXT) | instid1(VALU_DEP_1)
	v_fmac_f32_e32 v11, v133, v148
	v_add_f32_e32 v9, v9, v11
	v_mul_f32_e32 v11, v134, v151
	s_delay_alu instid0(VALU_DEP_1) | instskip(SKIP_1) | instid1(VALU_DEP_1)
	v_fmac_f32_e32 v11, v135, v150
	s_wait_dscnt 0x9
	v_dual_add_f32 v9, v9, v11 :: v_dual_mul_f32 v11, v152, v157
	s_delay_alu instid0(VALU_DEP_1) | instskip(NEXT) | instid1(VALU_DEP_1)
	v_fmac_f32_e32 v11, v153, v156
	v_add_f32_e32 v9, v9, v11
	v_mul_f32_e32 v11, v154, v159
	s_delay_alu instid0(VALU_DEP_1) | instskip(SKIP_1) | instid1(VALU_DEP_1)
	v_fmac_f32_e32 v11, v155, v158
	s_wait_dscnt 0x8
	;; [unrolled: 8-line block ×10, first 2 shown]
	v_dual_add_f32 v9, v9, v11 :: v_dual_mul_f32 v11, v224, v229
	s_delay_alu instid0(VALU_DEP_1) | instskip(NEXT) | instid1(VALU_DEP_1)
	v_fmac_f32_e32 v11, v225, v228
	v_add_f32_e32 v9, v9, v11
	v_mul_f32_e32 v11, v226, v231
	s_delay_alu instid0(VALU_DEP_1) | instskip(NEXT) | instid1(VALU_DEP_1)
	v_fmac_f32_e32 v11, v227, v230
	v_dual_add_f32 v9, v9, v11 :: v_dual_mul_f32 v11, v232, v237
	s_delay_alu instid0(VALU_DEP_1) | instskip(SKIP_1) | instid1(VALU_DEP_1)
	v_fmac_f32_e32 v11, v233, v236
	s_set_vgpr_msb 64                       ;  msbs: dst=1 src0=0 src1=0 src2=0
	v_add_f32_e32 v5 /*v261*/, v9, v11
	s_set_vgpr_msb 0                        ;  msbs: dst=0 src0=0 src1=0 src2=0
	v_dual_mul_f32 v9, v121, v137 :: v_dual_mul_f32 v11, v123, v139
	s_delay_alu instid0(VALU_DEP_1) | instskip(NEXT) | instid1(VALU_DEP_2)
	v_dual_mov_b32 v137, v242 :: v_dual_fma_f32 v9, v120, v136, -v9
	v_dual_fma_f32 v11, v122, v138, -v11 :: v_dual_mov_b32 v136, v243
	s_delay_alu instid0(VALU_DEP_2) | instskip(NEXT) | instid1(VALU_DEP_1)
	v_dual_mov_b32 v138, v247 :: v_dual_add_f32 v9, 0, v9
	v_pk_mul_f32 v[136:137], v[136:137], v[138:139] op_sel_hi:[1,0]
	s_delay_alu instid0(VALU_DEP_2) | instskip(SKIP_1) | instid1(VALU_DEP_3)
	v_add_f32_e32 v9, v9, v11
	v_mul_f32_e32 v11, v125, v141
	v_pk_fma_f32 v[138:139], v[242:243], v[246:247], v[136:137] neg_lo:[0,0,1] neg_hi:[0,0,1]
	v_pk_fma_f32 v[136:137], v[242:243], v[246:247], v[136:137] op_sel_hi:[1,0,1]
	s_delay_alu instid0(VALU_DEP_1) | instskip(NEXT) | instid1(VALU_DEP_1)
	v_dual_fma_f32 v11, v124, v140, -v11 :: v_dual_mov_b32 v139, v137
	v_add_f32_e32 v9, v9, v11
	v_mul_f32_e32 v11, v127, v143
	s_delay_alu instid0(VALU_DEP_1) | instskip(NEXT) | instid1(VALU_DEP_1)
	v_fma_f32 v11, v126, v142, -v11
	v_add_f32_e32 v9, v9, v11
	v_mul_f32_e32 v11, v129, v145
	s_delay_alu instid0(VALU_DEP_1) | instskip(NEXT) | instid1(VALU_DEP_1)
	v_fma_f32 v11, v128, v144, -v11
	;; [unrolled: 4-line block ×3, first 2 shown]
	v_add_f32_e32 v9, v9, v11
	v_mul_f32_e32 v11, v133, v149
	s_delay_alu instid0(VALU_DEP_1)
	v_fma_f32 v11, v132, v148, -v11
	ds_load_b128 v[120:123], v7 offset:896
	ds_load_b128 v[124:127], v7 offset:912
	;; [unrolled: 1-line block ×3, first 2 shown]
	ds_load_b64 v[132:133], v7 offset:944
	v_add_f32_e32 v9, v9, v11
	v_mul_f32_e32 v11, v135, v151
	s_delay_alu instid0(VALU_DEP_1) | instskip(NEXT) | instid1(VALU_DEP_1)
	v_fma_f32 v11, v134, v150, -v11
	v_add_f32_e32 v9, v9, v11
	v_mul_f32_e32 v11, v153, v157
	s_wait_loadcnt_dscnt 0x303
	v_pk_mul_f32 v[136:137], v[120:121], v[248:249] op_sel:[1,1] op_sel_hi:[0,1]
	s_delay_alu instid0(VALU_DEP_2) | instskip(NEXT) | instid1(VALU_DEP_1)
	v_fma_f32 v11, v152, v156, -v11
	v_add_f32_e32 v9, v9, v11
	v_mul_f32_e32 v11, v155, v159
	s_delay_alu instid0(VALU_DEP_1) | instskip(NEXT) | instid1(VALU_DEP_1)
	v_fma_f32 v11, v154, v158, -v11
	v_add_f32_e32 v9, v9, v11
	v_mul_f32_e32 v11, v161, v165
	s_delay_alu instid0(VALU_DEP_1) | instskip(NEXT) | instid1(VALU_DEP_1)
	;; [unrolled: 4-line block ×19, first 2 shown]
	v_fma_f32 v11, v226, v230, -v11
	v_add_f32_e32 v9, v9, v11
	v_mul_f32_e32 v11, v233, v237
	s_delay_alu instid0(VALU_DEP_1) | instskip(SKIP_1) | instid1(VALU_DEP_1)
	v_fma_f32 v11, v232, v236, -v11
	s_set_vgpr_msb 64                       ;  msbs: dst=1 src0=0 src1=0 src2=0
	v_add_f32_e32 v4 /*v260*/, v9, v11
	s_set_vgpr_msb 0                        ;  msbs: dst=0 src0=0 src1=0 src2=0
	v_mul_f32_e32 v9, v235, v239
	s_set_vgpr_msb 64                       ;  msbs: dst=1 src0=0 src1=0 src2=0
	s_delay_alu instid0(VALU_DEP_1) | instskip(SKIP_3) | instid1(VALU_DEP_2)
	v_fma_f32 v6 /*v262*/, v234, v238, -v9
	s_set_vgpr_msb 0                        ;  msbs: dst=0 src0=0 src1=0 src2=0
	v_mul_f32_e32 v9, v241, v245
	s_set_vgpr_msb 5                        ;  msbs: dst=0 src0=1 src1=1 src2=0
	v_pk_add_f32 v[134:135], v[4:5] /*v[260:261]*/, v[6:7] /*v[262:263]*/
	s_set_vgpr_msb 64                       ;  msbs: dst=1 src0=0 src1=0 src2=0
	s_delay_alu instid0(VALU_DEP_2) | instskip(SKIP_1) | instid1(VALU_DEP_1)
	v_fma_f32 v8 /*v264*/, v240, v244, -v9
	s_set_vgpr_msb 4                        ;  msbs: dst=0 src0=0 src1=1 src2=0
	v_pk_add_f32 v[134:135], v[134:135], v[8:9] /*v[264:265]*/
	s_set_vgpr_msb 0                        ;  msbs: dst=0 src0=0 src1=0 src2=0
	s_delay_alu instid0(VALU_DEP_1) | instskip(SKIP_2) | instid1(VALU_DEP_1)
	v_pk_add_f32 v[134:135], v[134:135], v[138:139]
	v_pk_fma_f32 v[138:139], v[120:121], v[248:249], v[136:137] neg_lo:[0,0,1] neg_hi:[0,0,1]
	v_pk_fma_f32 v[120:121], v[120:121], v[248:249], v[136:137] op_sel_hi:[1,0,1]
	v_dual_mov_b32 v136, v251 :: v_dual_mov_b32 v139, v121
	s_delay_alu instid0(VALU_DEP_1) | instskip(SKIP_1) | instid1(VALU_DEP_1)
	v_pk_add_f32 v[120:121], v[134:135], v[138:139]
	v_dual_mov_b32 v134, v123 :: v_dual_mov_b32 v135, v122
	v_pk_mul_f32 v[134:135], v[134:135], v[136:137] op_sel_hi:[1,0]
	s_delay_alu instid0(VALU_DEP_1) | instskip(SKIP_1) | instid1(VALU_DEP_1)
	v_pk_fma_f32 v[136:137], v[122:123], v[250:251], v[134:135] neg_lo:[0,0,1] neg_hi:[0,0,1]
	v_pk_fma_f32 v[122:123], v[122:123], v[250:251], v[134:135] op_sel_hi:[1,0,1]
	v_mov_b32_e32 v137, v123
	s_wait_loadcnt_dscnt 0x202
	v_pk_mul_f32 v[122:123], v[124:125], v[252:253] op_sel:[1,1] op_sel_hi:[0,1]
	s_delay_alu instid0(VALU_DEP_2) | instskip(NEXT) | instid1(VALU_DEP_2)
	v_pk_add_f32 v[120:121], v[120:121], v[136:137]
	v_pk_fma_f32 v[134:135], v[124:125], v[252:253], v[122:123] neg_lo:[0,0,1] neg_hi:[0,0,1]
	v_pk_fma_f32 v[122:123], v[124:125], v[252:253], v[122:123] op_sel_hi:[1,0,1]
	v_dual_mov_b32 v122, v127 :: v_dual_mov_b32 v124, v255
	s_delay_alu instid0(VALU_DEP_2) | instskip(NEXT) | instid1(VALU_DEP_1)
	v_dual_mov_b32 v135, v123 :: v_dual_mov_b32 v123, v126
	v_pk_add_f32 v[120:121], v[120:121], v[134:135]
	s_delay_alu instid0(VALU_DEP_2) | instskip(NEXT) | instid1(VALU_DEP_1)
	v_pk_mul_f32 v[122:123], v[122:123], v[124:125] op_sel_hi:[1,0]
	v_pk_fma_f32 v[124:125], v[126:127], v[254:255], v[122:123] neg_lo:[0,0,1] neg_hi:[0,0,1]
	v_pk_fma_f32 v[122:123], v[126:127], v[254:255], v[122:123] op_sel_hi:[1,0,1]
	s_delay_alu instid0(VALU_DEP_1)
	v_mov_b32_e32 v125, v123
	s_wait_loadcnt_dscnt 0x101
	s_set_vgpr_msb 4                        ;  msbs: dst=0 src0=0 src1=1 src2=0
	v_pk_mul_f32 v[122:123], v[128:129], v[0:1] /*v[256:257]*/ op_sel:[1,1] op_sel_hi:[0,1]
	s_set_vgpr_msb 0                        ;  msbs: dst=0 src0=0 src1=0 src2=0
	v_pk_add_f32 v[120:121], v[120:121], v[124:125]
	s_set_vgpr_msb 4                        ;  msbs: dst=0 src0=0 src1=1 src2=0
	s_delay_alu instid0(VALU_DEP_2) | instskip(SKIP_1) | instid1(VALU_DEP_1)
	v_pk_fma_f32 v[124:125], v[128:129], v[0:1] /*v[256:257]*/, v[122:123] neg_lo:[0,0,1] neg_hi:[0,0,1]
	v_pk_fma_f32 v[122:123], v[128:129], v[0:1] /*v[256:257]*/, v[122:123] op_sel_hi:[1,0,1]
	v_dual_mov_b32 v122, v131 :: v_dual_mov_b32 v125, v123
	v_mov_b32_e32 v123, v130
	s_set_vgpr_msb 0                        ;  msbs: dst=0 src0=0 src1=0 src2=0
	s_delay_alu instid0(VALU_DEP_2) | instskip(SKIP_3) | instid1(VALU_DEP_1)
	v_pk_add_f32 v[120:121], v[120:121], v[124:125]
	s_set_vgpr_msb 1                        ;  msbs: dst=0 src0=1 src1=0 src2=0
	v_mov_b32_e32 v124, v3 /*v259*/
	s_set_vgpr_msb 0                        ;  msbs: dst=0 src0=0 src1=0 src2=0
	v_pk_mul_f32 v[122:123], v[122:123], v[124:125] op_sel_hi:[1,0]
	s_set_vgpr_msb 4                        ;  msbs: dst=0 src0=0 src1=1 src2=0
	s_delay_alu instid0(VALU_DEP_1) | instskip(SKIP_1) | instid1(VALU_DEP_1)
	v_pk_fma_f32 v[124:125], v[130:131], v[2:3] /*v[258:259]*/, v[122:123] neg_lo:[0,0,1] neg_hi:[0,0,1]
	v_pk_fma_f32 v[122:123], v[130:131], v[2:3] /*v[258:259]*/, v[122:123] op_sel_hi:[1,0,1]
	v_mov_b32_e32 v125, v123
	s_wait_loadcnt_dscnt 0x0
	v_pk_mul_f32 v[122:123], v[132:133], v[10:11] /*v[266:267]*/ op_sel:[1,1] op_sel_hi:[0,1]
	s_set_vgpr_msb 0                        ;  msbs: dst=0 src0=0 src1=0 src2=0
	s_delay_alu instid0(VALU_DEP_2) | instskip(SKIP_1) | instid1(VALU_DEP_2)
	v_pk_add_f32 v[120:121], v[120:121], v[124:125]
	s_set_vgpr_msb 4                        ;  msbs: dst=0 src0=0 src1=1 src2=0
	v_pk_fma_f32 v[124:125], v[132:133], v[10:11] /*v[266:267]*/, v[122:123] neg_lo:[0,0,1] neg_hi:[0,0,1]
	v_pk_fma_f32 v[122:123], v[132:133], v[10:11] /*v[266:267]*/, v[122:123] op_sel_hi:[1,0,1]
	s_delay_alu instid0(VALU_DEP_1) | instskip(SKIP_4) | instid1(VALU_DEP_1)
	v_mov_b32_e32 v125, v123
	scratch_load_b64 v[122:123], off, off offset:152
	s_set_vgpr_msb 0                        ;  msbs: dst=0 src0=0 src1=0 src2=0
	v_pk_add_f32 v[120:121], v[120:121], v[124:125]
	s_wait_loadcnt 0x0
	v_pk_add_f32 v[120:121], v[122:123], v[120:121] neg_lo:[0,1] neg_hi:[0,1]
	scratch_store_b64 off, v[120:121], off offset:152
	s_wait_xcnt 0x0
	v_cmpx_lt_u32_e32 18, v0
	s_cbranch_execz .LBB122_331
; %bb.330:
	scratch_load_b64 v[120:121], off, off offset:144
	v_mov_b64_e32 v[122:123], 0
	scratch_store_b64 off, v[122:123], off offset:144
	s_wait_loadcnt 0x0
	ds_store_b64 v1, v[120:121]
.LBB122_331:
	s_wait_xcnt 0x0
	s_or_b32 exec_lo, exec_lo, s0
	s_wait_storecnt_dscnt 0x0
	s_barrier_signal -1
	s_barrier_wait -1
	s_clause 0xf
	scratch_load_b128 v[124:127], off, off offset:152
	scratch_load_b128 v[132:135], off, off offset:168
	;; [unrolled: 1-line block ×16, first 2 shown]
	ds_load_2addr_b64 v[120:123], v7 offset0:79 offset1:80
	ds_load_2addr_b64 v[128:131], v7 offset0:81 offset1:82
	;; [unrolled: 1-line block ×16, first 2 shown]
	s_clause 0x4
	scratch_load_b128 v[248:251], off, off offset:408
	scratch_load_b128 v[252:255], off, off offset:424
	s_set_vgpr_msb 64                       ;  msbs: dst=1 src0=0 src1=0 src2=0
	scratch_load_b128 v[0:3] /*v[256:259]*/, off, off offset:440
	scratch_load_b128 v[4:7] /*v[260:263]*/, off, off offset:456
	s_mov_b32 s0, exec_lo
	s_wait_loadcnt_dscnt 0x130f
	s_set_vgpr_msb 0                        ;  msbs: dst=0 src0=0 src1=0 src2=0
	v_dual_mul_f32 v9, v120, v125 :: v_dual_mul_f32 v11, v122, v127
	s_delay_alu instid0(VALU_DEP_1) | instskip(NEXT) | instid1(VALU_DEP_1)
	v_dual_fmac_f32 v9, v121, v124 :: v_dual_fmac_f32 v11, v123, v126
	v_add_f32_e32 v9, 0, v9
	s_wait_loadcnt_dscnt 0x120e
	s_delay_alu instid0(VALU_DEP_1)
	v_dual_add_f32 v9, v9, v11 :: v_dual_mul_f32 v11, v128, v133
	s_wait_loadcnt_dscnt 0x408
	s_set_vgpr_msb 64                       ;  msbs: dst=1 src0=0 src1=0 src2=0
	v_dual_mul_f32 v11 /*v267*/, v240, v245 :: v_dual_mul_f32 v13 /*v269*/, v242, v247
	s_set_vgpr_msb 0                        ;  msbs: dst=0 src0=0 src1=0 src2=0
	v_fmac_f32_e32 v11, v129, v132
	s_set_vgpr_msb 64                       ;  msbs: dst=1 src0=0 src1=0 src2=0
	s_delay_alu instid0(VALU_DEP_2) | instskip(SKIP_1) | instid1(VALU_DEP_2)
	v_fmac_f32_e32 v11 /*v267*/, v241, v244
	s_set_vgpr_msb 0                        ;  msbs: dst=0 src0=0 src1=0 src2=0
	v_add_f32_e32 v9, v9, v11
	v_mul_f32_e32 v11, v130, v135
	s_delay_alu instid0(VALU_DEP_1) | instskip(NEXT) | instid1(VALU_DEP_1)
	v_fmac_f32_e32 v11, v131, v134
	v_dual_add_f32 v9, v9, v11 :: v_dual_mul_f32 v11, v136, v141
	s_delay_alu instid0(VALU_DEP_1) | instskip(NEXT) | instid1(VALU_DEP_1)
	v_fmac_f32_e32 v11, v137, v140
	v_add_f32_e32 v9, v9, v11
	v_mul_f32_e32 v11, v138, v143
	s_delay_alu instid0(VALU_DEP_1) | instskip(NEXT) | instid1(VALU_DEP_1)
	v_fmac_f32_e32 v11, v139, v142
	v_dual_add_f32 v9, v9, v11 :: v_dual_mul_f32 v11, v144, v149
	s_delay_alu instid0(VALU_DEP_1) | instskip(NEXT) | instid1(VALU_DEP_1)
	v_fmac_f32_e32 v11, v145, v148
	v_add_f32_e32 v9, v9, v11
	v_mul_f32_e32 v11, v146, v151
	s_delay_alu instid0(VALU_DEP_1) | instskip(NEXT) | instid1(VALU_DEP_1)
	v_fmac_f32_e32 v11, v147, v150
	v_dual_add_f32 v9, v9, v11 :: v_dual_mul_f32 v11, v152, v157
	s_delay_alu instid0(VALU_DEP_1) | instskip(NEXT) | instid1(VALU_DEP_1)
	v_fmac_f32_e32 v11, v153, v156
	v_add_f32_e32 v9, v9, v11
	v_mul_f32_e32 v11, v154, v159
	s_delay_alu instid0(VALU_DEP_1) | instskip(NEXT) | instid1(VALU_DEP_1)
	v_fmac_f32_e32 v11, v155, v158
	v_dual_add_f32 v9, v9, v11 :: v_dual_mul_f32 v11, v160, v165
	s_delay_alu instid0(VALU_DEP_1) | instskip(NEXT) | instid1(VALU_DEP_1)
	v_fmac_f32_e32 v11, v161, v164
	v_add_f32_e32 v9, v9, v11
	v_mul_f32_e32 v11, v162, v167
	s_delay_alu instid0(VALU_DEP_1) | instskip(SKIP_1) | instid1(VALU_DEP_1)
	v_fmac_f32_e32 v11, v163, v166
	s_wait_dscnt 0x7
	v_dual_add_f32 v9, v9, v11 :: v_dual_mul_f32 v11, v168, v173
	s_delay_alu instid0(VALU_DEP_1) | instskip(NEXT) | instid1(VALU_DEP_1)
	v_fmac_f32_e32 v11, v169, v172
	v_add_f32_e32 v9, v9, v11
	v_mul_f32_e32 v11, v170, v175
	s_delay_alu instid0(VALU_DEP_1) | instskip(SKIP_1) | instid1(VALU_DEP_1)
	v_fmac_f32_e32 v11, v171, v174
	s_wait_dscnt 0x6
	v_dual_add_f32 v9, v9, v11 :: v_dual_mul_f32 v11, v176, v181
	s_delay_alu instid0(VALU_DEP_1) | instskip(NEXT) | instid1(VALU_DEP_1)
	v_fmac_f32_e32 v11, v177, v180
	;; [unrolled: 8-line block ×8, first 2 shown]
	v_add_f32_e32 v9, v9, v11
	v_mul_f32_e32 v11, v226, v231
	s_delay_alu instid0(VALU_DEP_1) | instskip(NEXT) | instid1(VALU_DEP_1)
	v_fmac_f32_e32 v11, v227, v230
	v_dual_add_f32 v9, v9, v11 :: v_dual_mul_f32 v11, v232, v237
	s_delay_alu instid0(VALU_DEP_1) | instskip(NEXT) | instid1(VALU_DEP_1)
	v_fmac_f32_e32 v11, v233, v236
	v_add_f32_e32 v9, v9, v11
	v_mul_f32_e32 v11, v234, v239
	s_delay_alu instid0(VALU_DEP_1) | instskip(SKIP_1) | instid1(VALU_DEP_1)
	v_fmac_f32_e32 v11, v235, v238
	s_set_vgpr_msb 64                       ;  msbs: dst=1 src0=0 src1=0 src2=0
	v_add_f32_e32 v9 /*v265*/, v9, v11
	s_set_vgpr_msb 0                        ;  msbs: dst=0 src0=0 src1=0 src2=0
	v_dual_mul_f32 v9, v121, v125 :: v_dual_mul_f32 v11, v123, v127
	s_delay_alu instid0(VALU_DEP_1) | instskip(NEXT) | instid1(VALU_DEP_1)
	v_dual_fma_f32 v9, v120, v124, -v9 :: v_dual_fma_f32 v11, v122, v126, -v11
	v_add_f32_e32 v9, 0, v9
	s_delay_alu instid0(VALU_DEP_1) | instskip(SKIP_1) | instid1(VALU_DEP_1)
	v_add_f32_e32 v9, v9, v11
	v_mul_f32_e32 v11, v129, v133
	v_fma_f32 v11, v128, v132, -v11
	s_delay_alu instid0(VALU_DEP_1) | instskip(SKIP_1) | instid1(VALU_DEP_1)
	v_add_f32_e32 v9, v9, v11
	v_mul_f32_e32 v11, v131, v135
	v_fma_f32 v11, v130, v134, -v11
	ds_load_2addr_b64 v[120:123], v7 offset0:111 offset1:112
	ds_load_2addr_b64 v[124:127], v7 offset0:113 offset1:114
	;; [unrolled: 1-line block ×4, first 2 shown]
	v_add_f32_e32 v9, v9, v11
	v_mul_f32_e32 v11, v137, v141
	s_delay_alu instid0(VALU_DEP_1) | instskip(NEXT) | instid1(VALU_DEP_1)
	v_fma_f32 v11, v136, v140, -v11
	v_add_f32_e32 v9, v9, v11
	v_mul_f32_e32 v11, v139, v143
	s_delay_alu instid0(VALU_DEP_1) | instskip(SKIP_2) | instid1(VALU_DEP_2)
	v_fma_f32 v11, v138, v142, -v11
	s_wait_loadcnt_dscnt 0x303
	v_pk_mul_f32 v[138:139], v[120:121], v[248:249] op_sel:[1,1] op_sel_hi:[0,1]
	v_add_f32_e32 v9, v9, v11
	v_mul_f32_e32 v11, v145, v149
	s_delay_alu instid0(VALU_DEP_3) | instskip(SKIP_1) | instid1(VALU_DEP_3)
	v_pk_fma_f32 v[140:141], v[120:121], v[248:249], v[138:139] neg_lo:[0,0,1] neg_hi:[0,0,1]
	v_pk_fma_f32 v[120:121], v[120:121], v[248:249], v[138:139] op_sel_hi:[1,0,1]
	v_dual_mov_b32 v138, v251 :: v_dual_fma_f32 v11, v144, v148, -v11
	s_delay_alu instid0(VALU_DEP_2) | instskip(NEXT) | instid1(VALU_DEP_2)
	v_mov_b32_e32 v141, v121
	v_add_f32_e32 v9, v9, v11
	v_mul_f32_e32 v11, v147, v151
	s_delay_alu instid0(VALU_DEP_1) | instskip(NEXT) | instid1(VALU_DEP_1)
	v_fma_f32 v11, v146, v150, -v11
	v_add_f32_e32 v9, v9, v11
	v_mul_f32_e32 v11, v153, v157
	s_delay_alu instid0(VALU_DEP_1) | instskip(NEXT) | instid1(VALU_DEP_1)
	v_fma_f32 v11, v152, v156, -v11
	;; [unrolled: 4-line block ×22, first 2 shown]
	v_add_f32_e32 v9, v9, v11
	v_mul_f32_e32 v11, v235, v239
	s_delay_alu instid0(VALU_DEP_1) | instskip(SKIP_1) | instid1(VALU_DEP_1)
	v_fma_f32 v11, v234, v238, -v11
	s_set_vgpr_msb 64                       ;  msbs: dst=1 src0=0 src1=0 src2=0
	v_dual_fmac_f32 v13 /*v269*/, v243, v246 :: v_dual_add_f32 v8 /*v264*/, v9, v11
	s_set_vgpr_msb 0                        ;  msbs: dst=0 src0=0 src1=0 src2=0
	v_mul_f32_e32 v9, v241, v245
	s_set_vgpr_msb 64                       ;  msbs: dst=1 src0=0 src1=0 src2=0
	s_delay_alu instid0(VALU_DEP_1) | instskip(SKIP_3) | instid1(VALU_DEP_1)
	v_fma_f32 v10 /*v266*/, v240, v244, -v9
	s_set_vgpr_msb 0                        ;  msbs: dst=0 src0=0 src1=0 src2=0
	v_mul_f32_e32 v9, v243, v247
	s_set_vgpr_msb 64                       ;  msbs: dst=1 src0=0 src1=0 src2=0
	v_fma_f32 v12 /*v268*/, v242, v246, -v9
	s_set_vgpr_msb 5                        ;  msbs: dst=0 src0=1 src1=1 src2=0
	v_pk_add_f32 v[136:137], v[8:9] /*v[264:265]*/, v[10:11] /*v[266:267]*/
	s_set_vgpr_msb 4                        ;  msbs: dst=0 src0=0 src1=1 src2=0
	s_delay_alu instid0(VALU_DEP_1) | instskip(SKIP_1) | instid1(VALU_DEP_1)
	v_pk_add_f32 v[136:137], v[136:137], v[12:13] /*v[268:269]*/
	s_set_vgpr_msb 0                        ;  msbs: dst=0 src0=0 src1=0 src2=0
	v_pk_add_f32 v[120:121], v[136:137], v[140:141]
	v_dual_mov_b32 v136, v123 :: v_dual_mov_b32 v137, v122
	s_delay_alu instid0(VALU_DEP_1) | instskip(NEXT) | instid1(VALU_DEP_1)
	v_pk_mul_f32 v[136:137], v[136:137], v[138:139] op_sel_hi:[1,0]
	v_pk_fma_f32 v[138:139], v[122:123], v[250:251], v[136:137] neg_lo:[0,0,1] neg_hi:[0,0,1]
	v_pk_fma_f32 v[122:123], v[122:123], v[250:251], v[136:137] op_sel_hi:[1,0,1]
	s_delay_alu instid0(VALU_DEP_1) | instskip(SKIP_2) | instid1(VALU_DEP_2)
	v_mov_b32_e32 v139, v123
	s_wait_loadcnt_dscnt 0x202
	v_pk_mul_f32 v[122:123], v[124:125], v[252:253] op_sel:[1,1] op_sel_hi:[0,1]
	v_pk_add_f32 v[120:121], v[120:121], v[138:139]
	s_delay_alu instid0(VALU_DEP_2) | instskip(SKIP_2) | instid1(VALU_DEP_2)
	v_pk_fma_f32 v[136:137], v[124:125], v[252:253], v[122:123] neg_lo:[0,0,1] neg_hi:[0,0,1]
	v_pk_fma_f32 v[122:123], v[124:125], v[252:253], v[122:123] op_sel_hi:[1,0,1]
	v_dual_mov_b32 v122, v127 :: v_dual_mov_b32 v124, v255
	v_dual_mov_b32 v137, v123 :: v_dual_mov_b32 v123, v126
	s_delay_alu instid0(VALU_DEP_1) | instskip(NEXT) | instid1(VALU_DEP_2)
	v_pk_add_f32 v[120:121], v[120:121], v[136:137]
	v_pk_mul_f32 v[122:123], v[122:123], v[124:125] op_sel_hi:[1,0]
	s_delay_alu instid0(VALU_DEP_1) | instskip(SKIP_1) | instid1(VALU_DEP_1)
	v_pk_fma_f32 v[124:125], v[126:127], v[254:255], v[122:123] neg_lo:[0,0,1] neg_hi:[0,0,1]
	v_pk_fma_f32 v[122:123], v[126:127], v[254:255], v[122:123] op_sel_hi:[1,0,1]
	v_mov_b32_e32 v125, v123
	s_wait_loadcnt_dscnt 0x101
	s_set_vgpr_msb 4                        ;  msbs: dst=0 src0=0 src1=1 src2=0
	v_pk_mul_f32 v[122:123], v[128:129], v[0:1] /*v[256:257]*/ op_sel:[1,1] op_sel_hi:[0,1]
	s_set_vgpr_msb 0                        ;  msbs: dst=0 src0=0 src1=0 src2=0
	v_pk_add_f32 v[120:121], v[120:121], v[124:125]
	s_set_vgpr_msb 4                        ;  msbs: dst=0 src0=0 src1=1 src2=0
	s_delay_alu instid0(VALU_DEP_2) | instskip(SKIP_1) | instid1(VALU_DEP_1)
	v_pk_fma_f32 v[124:125], v[128:129], v[0:1] /*v[256:257]*/, v[122:123] neg_lo:[0,0,1] neg_hi:[0,0,1]
	v_pk_fma_f32 v[122:123], v[128:129], v[0:1] /*v[256:257]*/, v[122:123] op_sel_hi:[1,0,1]
	v_dual_mov_b32 v122, v131 :: v_dual_mov_b32 v125, v123
	v_mov_b32_e32 v123, v130
	s_set_vgpr_msb 0                        ;  msbs: dst=0 src0=0 src1=0 src2=0
	s_delay_alu instid0(VALU_DEP_2) | instskip(SKIP_3) | instid1(VALU_DEP_1)
	v_pk_add_f32 v[120:121], v[120:121], v[124:125]
	s_set_vgpr_msb 1                        ;  msbs: dst=0 src0=1 src1=0 src2=0
	v_mov_b32_e32 v124, v3 /*v259*/
	s_set_vgpr_msb 0                        ;  msbs: dst=0 src0=0 src1=0 src2=0
	v_pk_mul_f32 v[122:123], v[122:123], v[124:125] op_sel_hi:[1,0]
	s_set_vgpr_msb 4                        ;  msbs: dst=0 src0=0 src1=1 src2=0
	s_delay_alu instid0(VALU_DEP_1) | instskip(SKIP_1) | instid1(VALU_DEP_1)
	v_pk_fma_f32 v[124:125], v[130:131], v[2:3] /*v[258:259]*/, v[122:123] neg_lo:[0,0,1] neg_hi:[0,0,1]
	v_pk_fma_f32 v[122:123], v[130:131], v[2:3] /*v[258:259]*/, v[122:123] op_sel_hi:[1,0,1]
	v_mov_b32_e32 v125, v123
	s_wait_loadcnt_dscnt 0x0
	v_pk_mul_f32 v[122:123], v[132:133], v[4:5] /*v[260:261]*/ op_sel:[1,1] op_sel_hi:[0,1]
	s_set_vgpr_msb 0                        ;  msbs: dst=0 src0=0 src1=0 src2=0
	s_delay_alu instid0(VALU_DEP_2) | instskip(SKIP_1) | instid1(VALU_DEP_2)
	v_pk_add_f32 v[120:121], v[120:121], v[124:125]
	s_set_vgpr_msb 4                        ;  msbs: dst=0 src0=0 src1=1 src2=0
	v_pk_fma_f32 v[124:125], v[132:133], v[4:5] /*v[260:261]*/, v[122:123] neg_lo:[0,0,1] neg_hi:[0,0,1]
	v_pk_fma_f32 v[122:123], v[132:133], v[4:5] /*v[260:261]*/, v[122:123] op_sel_hi:[1,0,1]
	s_delay_alu instid0(VALU_DEP_1) | instskip(SKIP_2) | instid1(VALU_DEP_2)
	v_dual_mov_b32 v122, v135 :: v_dual_mov_b32 v125, v123
	v_mov_b32_e32 v123, v134
	s_set_vgpr_msb 0                        ;  msbs: dst=0 src0=0 src1=0 src2=0
	v_pk_add_f32 v[120:121], v[120:121], v[124:125]
	s_set_vgpr_msb 1                        ;  msbs: dst=0 src0=1 src1=0 src2=0
	v_mov_b32_e32 v124, v7 /*v263*/
	s_set_vgpr_msb 0                        ;  msbs: dst=0 src0=0 src1=0 src2=0
	s_delay_alu instid0(VALU_DEP_1) | instskip(SKIP_1) | instid1(VALU_DEP_1)
	v_pk_mul_f32 v[122:123], v[122:123], v[124:125] op_sel_hi:[1,0]
	s_set_vgpr_msb 4                        ;  msbs: dst=0 src0=0 src1=1 src2=0
	v_pk_fma_f32 v[124:125], v[134:135], v[6:7] /*v[262:263]*/, v[122:123] neg_lo:[0,0,1] neg_hi:[0,0,1]
	v_pk_fma_f32 v[122:123], v[134:135], v[6:7] /*v[262:263]*/, v[122:123] op_sel_hi:[1,0,1]
	s_delay_alu instid0(VALU_DEP_1) | instskip(SKIP_4) | instid1(VALU_DEP_1)
	v_mov_b32_e32 v125, v123
	scratch_load_b64 v[122:123], off, off offset:144
	s_set_vgpr_msb 0                        ;  msbs: dst=0 src0=0 src1=0 src2=0
	v_pk_add_f32 v[120:121], v[120:121], v[124:125]
	s_wait_loadcnt 0x0
	v_pk_add_f32 v[120:121], v[122:123], v[120:121] neg_lo:[0,1] neg_hi:[0,1]
	scratch_store_b64 off, v[120:121], off offset:144
	s_wait_xcnt 0x0
	v_cmpx_lt_u32_e32 17, v0
	s_cbranch_execz .LBB122_333
; %bb.332:
	scratch_load_b64 v[120:121], off, off offset:136
	v_mov_b64_e32 v[122:123], 0
	scratch_store_b64 off, v[122:123], off offset:136
	s_wait_loadcnt 0x0
	ds_store_b64 v1, v[120:121]
.LBB122_333:
	s_wait_xcnt 0x0
	s_or_b32 exec_lo, exec_lo, s0
	v_mov_b32_e32 v7, 0
	s_wait_storecnt_dscnt 0x0
	s_barrier_signal -1
	s_barrier_wait -1
	ds_load_b128 v[120:123], v7 offset:624
	ds_load_b128 v[124:127], v7 offset:640
	;; [unrolled: 1-line block ×4, first 2 shown]
	s_clause 0x10
	scratch_load_b128 v[136:139], off, off offset:144
	scratch_load_b128 v[140:143], off, off offset:160
	;; [unrolled: 1-line block ×17, first 2 shown]
	s_mov_b32 s0, exec_lo
	s_wait_loadcnt_dscnt 0x1003
	v_mul_f32_e32 v9, v120, v137
	ds_load_b128 v[232:235], v7 offset:848
	ds_load_b128 v[240:243], v7 offset:864
	;; [unrolled: 1-line block ×4, first 2 shown]
	v_dual_fmac_f32 v9, v121, v136 :: v_dual_mul_f32 v11, v122, v139
	ds_load_b128 v[248:251], v7 offset:880
	ds_load_b128 v[168:171], v7 offset:720
	;; [unrolled: 1-line block ×3, first 2 shown]
	v_dual_add_f32 v9, 0, v9 :: v_dual_fmac_f32 v11, v123, v138
	ds_load_b128 v[184:187], v7 offset:752
	ds_load_b128 v[192:195], v7 offset:768
	;; [unrolled: 1-line block ×4, first 2 shown]
	s_wait_loadcnt_dscnt 0xf0d
	v_dual_add_f32 v9, v9, v11 :: v_dual_mul_f32 v11, v124, v141
	ds_load_b128 v[216:219], v7 offset:816
	ds_load_b128 v[224:227], v7 offset:832
	s_set_vgpr_msb 64                       ;  msbs: dst=1 src0=0 src1=0 src2=0
	s_clause 0x3
	scratch_load_b128 v[0:3] /*v[256:259]*/, off, off offset:416
	scratch_load_b128 v[4:7] /*v[260:263]*/, off, off offset:432
	;; [unrolled: 1-line block ×3, first 2 shown]
	scratch_load_b64 v[18:19] /*v[274:275]*/, off, off offset:464
	s_set_vgpr_msb 0                        ;  msbs: dst=0 src0=0 src1=0 src2=0
	v_fmac_f32_e32 v11, v125, v140
	s_wait_loadcnt_dscnt 0x408
	s_set_vgpr_msb 64                       ;  msbs: dst=1 src0=0 src1=0 src2=0
	v_dual_mul_f32 v15 /*v271*/, v242, v247 :: v_dual_mul_f32 v17 /*v273*/, v248, v253
	s_set_vgpr_msb 0                        ;  msbs: dst=0 src0=0 src1=0 src2=0
	v_add_f32_e32 v9, v9, v11
	v_mul_f32_e32 v11, v126, v143
	s_set_vgpr_msb 64                       ;  msbs: dst=1 src0=0 src1=0 src2=0
	v_dual_fmac_f32 v15 /*v271*/, v243, v246 :: v_dual_fmac_f32 v17 /*v273*/, v249, v252
	s_set_vgpr_msb 0                        ;  msbs: dst=0 src0=0 src1=0 src2=0
	s_delay_alu instid0(VALU_DEP_2) | instskip(NEXT) | instid1(VALU_DEP_1)
	v_fmac_f32_e32 v11, v127, v142
	v_dual_add_f32 v9, v9, v11 :: v_dual_mul_f32 v11, v128, v145
	s_delay_alu instid0(VALU_DEP_1) | instskip(NEXT) | instid1(VALU_DEP_1)
	v_fmac_f32_e32 v11, v129, v144
	v_add_f32_e32 v9, v9, v11
	v_mul_f32_e32 v11, v130, v147
	s_delay_alu instid0(VALU_DEP_1) | instskip(NEXT) | instid1(VALU_DEP_1)
	v_fmac_f32_e32 v11, v131, v146
	v_dual_add_f32 v9, v9, v11 :: v_dual_mul_f32 v11, v132, v149
	s_delay_alu instid0(VALU_DEP_1) | instskip(NEXT) | instid1(VALU_DEP_1)
	v_fmac_f32_e32 v11, v133, v148
	v_add_f32_e32 v9, v9, v11
	v_mul_f32_e32 v11, v134, v151
	s_delay_alu instid0(VALU_DEP_1) | instskip(NEXT) | instid1(VALU_DEP_1)
	;; [unrolled: 7-line block ×3, first 2 shown]
	v_fmac_f32_e32 v11, v155, v158
	v_dual_add_f32 v9, v9, v11 :: v_dual_mul_f32 v11, v160, v165
	s_delay_alu instid0(VALU_DEP_1) | instskip(NEXT) | instid1(VALU_DEP_1)
	v_fmac_f32_e32 v11, v161, v164
	v_add_f32_e32 v9, v9, v11
	v_mul_f32_e32 v11, v162, v167
	s_delay_alu instid0(VALU_DEP_1) | instskip(SKIP_1) | instid1(VALU_DEP_1)
	v_fmac_f32_e32 v11, v163, v166
	s_wait_dscnt 0x7
	v_dual_add_f32 v9, v9, v11 :: v_dual_mul_f32 v11, v168, v173
	s_delay_alu instid0(VALU_DEP_1) | instskip(NEXT) | instid1(VALU_DEP_1)
	v_fmac_f32_e32 v11, v169, v172
	v_add_f32_e32 v9, v9, v11
	v_mul_f32_e32 v11, v170, v175
	s_delay_alu instid0(VALU_DEP_1) | instskip(SKIP_1) | instid1(VALU_DEP_1)
	v_fmac_f32_e32 v11, v171, v174
	s_wait_dscnt 0x6
	;; [unrolled: 8-line block ×8, first 2 shown]
	v_dual_add_f32 v9, v9, v11 :: v_dual_mul_f32 v11, v224, v229
	s_delay_alu instid0(VALU_DEP_1) | instskip(NEXT) | instid1(VALU_DEP_1)
	v_fmac_f32_e32 v11, v225, v228
	v_add_f32_e32 v9, v9, v11
	v_mul_f32_e32 v11, v226, v231
	s_delay_alu instid0(VALU_DEP_1) | instskip(NEXT) | instid1(VALU_DEP_1)
	v_fmac_f32_e32 v11, v227, v230
	v_dual_add_f32 v9, v9, v11 :: v_dual_mul_f32 v11, v232, v237
	s_delay_alu instid0(VALU_DEP_1) | instskip(NEXT) | instid1(VALU_DEP_1)
	v_fmac_f32_e32 v11, v233, v236
	v_add_f32_e32 v9, v9, v11
	v_mul_f32_e32 v11, v234, v239
	s_delay_alu instid0(VALU_DEP_1) | instskip(NEXT) | instid1(VALU_DEP_1)
	v_fmac_f32_e32 v11, v235, v238
	v_dual_add_f32 v9, v9, v11 :: v_dual_mul_f32 v11, v240, v245
	s_delay_alu instid0(VALU_DEP_1) | instskip(SKIP_1) | instid1(VALU_DEP_1)
	v_fmac_f32_e32 v11, v241, v244
	s_set_vgpr_msb 64                       ;  msbs: dst=1 src0=0 src1=0 src2=0
	v_add_f32_e32 v13 /*v269*/, v9, v11
	s_set_vgpr_msb 0                        ;  msbs: dst=0 src0=0 src1=0 src2=0
	v_dual_mul_f32 v9, v121, v137 :: v_dual_mul_f32 v11, v123, v139
	s_delay_alu instid0(VALU_DEP_1) | instskip(NEXT) | instid1(VALU_DEP_2)
	v_dual_mov_b32 v137, v250 :: v_dual_fma_f32 v9, v120, v136, -v9
	v_dual_fma_f32 v11, v122, v138, -v11 :: v_dual_mov_b32 v136, v251
	s_delay_alu instid0(VALU_DEP_2) | instskip(NEXT) | instid1(VALU_DEP_1)
	v_dual_mov_b32 v138, v255 :: v_dual_add_f32 v9, 0, v9
	v_pk_mul_f32 v[136:137], v[136:137], v[138:139] op_sel_hi:[1,0]
	s_delay_alu instid0(VALU_DEP_2) | instskip(SKIP_1) | instid1(VALU_DEP_3)
	v_add_f32_e32 v9, v9, v11
	v_mul_f32_e32 v11, v125, v141
	v_pk_fma_f32 v[138:139], v[250:251], v[254:255], v[136:137] neg_lo:[0,0,1] neg_hi:[0,0,1]
	v_pk_fma_f32 v[136:137], v[250:251], v[254:255], v[136:137] op_sel_hi:[1,0,1]
	s_delay_alu instid0(VALU_DEP_1) | instskip(NEXT) | instid1(VALU_DEP_1)
	v_dual_fma_f32 v11, v124, v140, -v11 :: v_dual_mov_b32 v139, v137
	v_add_f32_e32 v9, v9, v11
	v_mul_f32_e32 v11, v127, v143
	s_delay_alu instid0(VALU_DEP_1) | instskip(NEXT) | instid1(VALU_DEP_1)
	v_fma_f32 v11, v126, v142, -v11
	v_add_f32_e32 v9, v9, v11
	v_mul_f32_e32 v11, v129, v145
	s_delay_alu instid0(VALU_DEP_1) | instskip(NEXT) | instid1(VALU_DEP_1)
	v_fma_f32 v11, v128, v144, -v11
	;; [unrolled: 4-line block ×3, first 2 shown]
	v_add_f32_e32 v9, v9, v11
	v_mul_f32_e32 v11, v133, v149
	s_delay_alu instid0(VALU_DEP_1)
	v_fma_f32 v11, v132, v148, -v11
	ds_load_b128 v[120:123], v7 offset:896
	ds_load_b128 v[124:127], v7 offset:912
	;; [unrolled: 1-line block ×3, first 2 shown]
	ds_load_b64 v[132:133], v7 offset:944
	v_add_f32_e32 v9, v9, v11
	v_mul_f32_e32 v11, v135, v151
	s_delay_alu instid0(VALU_DEP_1) | instskip(NEXT) | instid1(VALU_DEP_1)
	v_fma_f32 v11, v134, v150, -v11
	v_add_f32_e32 v9, v9, v11
	v_mul_f32_e32 v11, v153, v157
	s_wait_loadcnt_dscnt 0x303
	s_set_vgpr_msb 4                        ;  msbs: dst=0 src0=0 src1=1 src2=0
	v_pk_mul_f32 v[136:137], v[120:121], v[0:1] /*v[256:257]*/ op_sel:[1,1] op_sel_hi:[0,1]
	s_set_vgpr_msb 0                        ;  msbs: dst=0 src0=0 src1=0 src2=0
	v_fma_f32 v11, v152, v156, -v11
	s_delay_alu instid0(VALU_DEP_1) | instskip(SKIP_1) | instid1(VALU_DEP_1)
	v_add_f32_e32 v9, v9, v11
	v_mul_f32_e32 v11, v155, v159
	v_fma_f32 v11, v154, v158, -v11
	s_delay_alu instid0(VALU_DEP_1) | instskip(SKIP_1) | instid1(VALU_DEP_1)
	v_add_f32_e32 v9, v9, v11
	v_mul_f32_e32 v11, v161, v165
	;; [unrolled: 4-line block ×22, first 2 shown]
	v_fma_f32 v11, v240, v244, -v11
	s_set_vgpr_msb 64                       ;  msbs: dst=1 src0=0 src1=0 src2=0
	s_delay_alu instid0(VALU_DEP_1) | instskip(SKIP_3) | instid1(VALU_DEP_1)
	v_add_f32_e32 v12 /*v268*/, v9, v11
	s_set_vgpr_msb 0                        ;  msbs: dst=0 src0=0 src1=0 src2=0
	v_mul_f32_e32 v9, v243, v247
	s_set_vgpr_msb 64                       ;  msbs: dst=1 src0=0 src1=0 src2=0
	v_fma_f32 v14 /*v270*/, v242, v246, -v9
	s_set_vgpr_msb 0                        ;  msbs: dst=0 src0=0 src1=0 src2=0
	v_mul_f32_e32 v9, v249, v253
	s_set_vgpr_msb 5                        ;  msbs: dst=0 src0=1 src1=1 src2=0
	s_delay_alu instid0(VALU_DEP_2) | instskip(SKIP_1) | instid1(VALU_DEP_2)
	v_pk_add_f32 v[134:135], v[12:13] /*v[268:269]*/, v[14:15] /*v[270:271]*/
	s_set_vgpr_msb 64                       ;  msbs: dst=1 src0=0 src1=0 src2=0
	v_fma_f32 v16 /*v272*/, v248, v252, -v9
	s_set_vgpr_msb 4                        ;  msbs: dst=0 src0=0 src1=1 src2=0
	s_delay_alu instid0(VALU_DEP_1) | instskip(SKIP_1) | instid1(VALU_DEP_1)
	v_pk_add_f32 v[134:135], v[134:135], v[16:17] /*v[272:273]*/
	s_set_vgpr_msb 0                        ;  msbs: dst=0 src0=0 src1=0 src2=0
	v_pk_add_f32 v[134:135], v[134:135], v[138:139]
	s_set_vgpr_msb 4                        ;  msbs: dst=0 src0=0 src1=1 src2=0
	v_pk_fma_f32 v[138:139], v[120:121], v[0:1] /*v[256:257]*/, v[136:137] neg_lo:[0,0,1] neg_hi:[0,0,1]
	v_pk_fma_f32 v[120:121], v[120:121], v[0:1] /*v[256:257]*/, v[136:137] op_sel_hi:[1,0,1]
	s_set_vgpr_msb 1                        ;  msbs: dst=0 src0=1 src1=0 src2=0
	v_mov_b32_e32 v136, v3 /*v259*/
	s_set_vgpr_msb 0                        ;  msbs: dst=0 src0=0 src1=0 src2=0
	s_delay_alu instid0(VALU_DEP_2) | instskip(NEXT) | instid1(VALU_DEP_1)
	v_mov_b32_e32 v139, v121
	v_pk_add_f32 v[120:121], v[134:135], v[138:139]
	v_dual_mov_b32 v134, v123 :: v_dual_mov_b32 v135, v122
	s_delay_alu instid0(VALU_DEP_1) | instskip(SKIP_1) | instid1(VALU_DEP_1)
	v_pk_mul_f32 v[134:135], v[134:135], v[136:137] op_sel_hi:[1,0]
	s_set_vgpr_msb 4                        ;  msbs: dst=0 src0=0 src1=1 src2=0
	v_pk_fma_f32 v[136:137], v[122:123], v[2:3] /*v[258:259]*/, v[134:135] neg_lo:[0,0,1] neg_hi:[0,0,1]
	v_pk_fma_f32 v[122:123], v[122:123], v[2:3] /*v[258:259]*/, v[134:135] op_sel_hi:[1,0,1]
	s_delay_alu instid0(VALU_DEP_1) | instskip(SKIP_3) | instid1(VALU_DEP_2)
	v_mov_b32_e32 v137, v123
	s_wait_loadcnt_dscnt 0x202
	v_pk_mul_f32 v[122:123], v[124:125], v[4:5] /*v[260:261]*/ op_sel:[1,1] op_sel_hi:[0,1]
	s_set_vgpr_msb 0                        ;  msbs: dst=0 src0=0 src1=0 src2=0
	v_pk_add_f32 v[120:121], v[120:121], v[136:137]
	s_set_vgpr_msb 4                        ;  msbs: dst=0 src0=0 src1=1 src2=0
	s_delay_alu instid0(VALU_DEP_2)
	v_pk_fma_f32 v[134:135], v[124:125], v[4:5] /*v[260:261]*/, v[122:123] neg_lo:[0,0,1] neg_hi:[0,0,1]
	v_pk_fma_f32 v[122:123], v[124:125], v[4:5] /*v[260:261]*/, v[122:123] op_sel_hi:[1,0,1]
	v_mov_b32_e32 v122, v127
	s_set_vgpr_msb 1                        ;  msbs: dst=0 src0=1 src1=0 src2=0
	v_mov_b32_e32 v124, v7 /*v263*/
	s_set_vgpr_msb 0                        ;  msbs: dst=0 src0=0 src1=0 src2=0
	v_dual_mov_b32 v135, v123 :: v_dual_mov_b32 v123, v126
	s_delay_alu instid0(VALU_DEP_1) | instskip(NEXT) | instid1(VALU_DEP_2)
	v_pk_add_f32 v[120:121], v[120:121], v[134:135]
	v_pk_mul_f32 v[122:123], v[122:123], v[124:125] op_sel_hi:[1,0]
	s_set_vgpr_msb 4                        ;  msbs: dst=0 src0=0 src1=1 src2=0
	s_delay_alu instid0(VALU_DEP_1) | instskip(SKIP_1) | instid1(VALU_DEP_1)
	v_pk_fma_f32 v[124:125], v[126:127], v[6:7] /*v[262:263]*/, v[122:123] neg_lo:[0,0,1] neg_hi:[0,0,1]
	v_pk_fma_f32 v[122:123], v[126:127], v[6:7] /*v[262:263]*/, v[122:123] op_sel_hi:[1,0,1]
	v_mov_b32_e32 v125, v123
	s_wait_loadcnt_dscnt 0x101
	v_pk_mul_f32 v[122:123], v[128:129], v[8:9] /*v[264:265]*/ op_sel:[1,1] op_sel_hi:[0,1]
	s_set_vgpr_msb 0                        ;  msbs: dst=0 src0=0 src1=0 src2=0
	s_delay_alu instid0(VALU_DEP_2) | instskip(SKIP_1) | instid1(VALU_DEP_2)
	v_pk_add_f32 v[120:121], v[120:121], v[124:125]
	s_set_vgpr_msb 4                        ;  msbs: dst=0 src0=0 src1=1 src2=0
	v_pk_fma_f32 v[124:125], v[128:129], v[8:9] /*v[264:265]*/, v[122:123] neg_lo:[0,0,1] neg_hi:[0,0,1]
	v_pk_fma_f32 v[122:123], v[128:129], v[8:9] /*v[264:265]*/, v[122:123] op_sel_hi:[1,0,1]
	s_delay_alu instid0(VALU_DEP_1) | instskip(SKIP_2) | instid1(VALU_DEP_2)
	v_dual_mov_b32 v122, v131 :: v_dual_mov_b32 v125, v123
	v_mov_b32_e32 v123, v130
	s_set_vgpr_msb 0                        ;  msbs: dst=0 src0=0 src1=0 src2=0
	v_pk_add_f32 v[120:121], v[120:121], v[124:125]
	s_set_vgpr_msb 1                        ;  msbs: dst=0 src0=1 src1=0 src2=0
	v_mov_b32_e32 v124, v11 /*v267*/
	s_set_vgpr_msb 0                        ;  msbs: dst=0 src0=0 src1=0 src2=0
	s_delay_alu instid0(VALU_DEP_1) | instskip(SKIP_1) | instid1(VALU_DEP_1)
	v_pk_mul_f32 v[122:123], v[122:123], v[124:125] op_sel_hi:[1,0]
	s_set_vgpr_msb 4                        ;  msbs: dst=0 src0=0 src1=1 src2=0
	v_pk_fma_f32 v[124:125], v[130:131], v[10:11] /*v[266:267]*/, v[122:123] neg_lo:[0,0,1] neg_hi:[0,0,1]
	v_pk_fma_f32 v[122:123], v[130:131], v[10:11] /*v[266:267]*/, v[122:123] op_sel_hi:[1,0,1]
	s_delay_alu instid0(VALU_DEP_1) | instskip(SKIP_3) | instid1(VALU_DEP_2)
	v_mov_b32_e32 v125, v123
	s_wait_loadcnt_dscnt 0x0
	v_pk_mul_f32 v[122:123], v[132:133], v[18:19] /*v[274:275]*/ op_sel:[1,1] op_sel_hi:[0,1]
	s_set_vgpr_msb 0                        ;  msbs: dst=0 src0=0 src1=0 src2=0
	v_pk_add_f32 v[120:121], v[120:121], v[124:125]
	s_set_vgpr_msb 4                        ;  msbs: dst=0 src0=0 src1=1 src2=0
	s_delay_alu instid0(VALU_DEP_2) | instskip(SKIP_1) | instid1(VALU_DEP_1)
	v_pk_fma_f32 v[124:125], v[132:133], v[18:19] /*v[274:275]*/, v[122:123] neg_lo:[0,0,1] neg_hi:[0,0,1]
	v_pk_fma_f32 v[122:123], v[132:133], v[18:19] /*v[274:275]*/, v[122:123] op_sel_hi:[1,0,1]
	v_mov_b32_e32 v125, v123
	scratch_load_b64 v[122:123], off, off offset:136
	s_set_vgpr_msb 0                        ;  msbs: dst=0 src0=0 src1=0 src2=0
	v_pk_add_f32 v[120:121], v[120:121], v[124:125]
	s_wait_loadcnt 0x0
	s_delay_alu instid0(VALU_DEP_1)
	v_pk_add_f32 v[120:121], v[122:123], v[120:121] neg_lo:[0,1] neg_hi:[0,1]
	scratch_store_b64 off, v[120:121], off offset:136
	s_wait_xcnt 0x0
	v_cmpx_lt_u32_e32 16, v0
	s_cbranch_execz .LBB122_335
; %bb.334:
	scratch_load_b64 v[120:121], off, off offset:128
	v_mov_b64_e32 v[122:123], 0
	scratch_store_b64 off, v[122:123], off offset:128
	s_wait_loadcnt 0x0
	ds_store_b64 v1, v[120:121]
.LBB122_335:
	s_wait_xcnt 0x0
	s_or_b32 exec_lo, exec_lo, s0
	s_wait_storecnt_dscnt 0x0
	s_barrier_signal -1
	s_barrier_wait -1
	s_clause 0xf
	scratch_load_b128 v[124:127], off, off offset:136
	scratch_load_b128 v[132:135], off, off offset:152
	;; [unrolled: 1-line block ×16, first 2 shown]
	ds_load_2addr_b64 v[120:123], v7 offset0:77 offset1:78
	ds_load_2addr_b64 v[128:131], v7 offset0:79 offset1:80
	;; [unrolled: 1-line block ×7, first 2 shown]
	scratch_load_b128 v[252:255], off, off offset:392
	ds_load_2addr_b64 v[168:171], v7 offset0:89 offset1:90
	ds_load_2addr_b64 v[176:179], v7 offset0:91 offset1:92
	;; [unrolled: 1-line block ×10, first 2 shown]
	s_set_vgpr_msb 64                       ;  msbs: dst=1 src0=0 src1=0 src2=0
	s_clause 0x3
	scratch_load_b128 v[0:3] /*v[256:259]*/, off, off offset:408
	scratch_load_b128 v[4:7] /*v[260:263]*/, off, off offset:424
	;; [unrolled: 1-line block ×4, first 2 shown]
	s_mov_b32 s0, exec_lo
	s_wait_loadcnt_dscnt 0x1410
	s_set_vgpr_msb 0                        ;  msbs: dst=0 src0=0 src1=0 src2=0
	v_dual_mul_f32 v9, v120, v125 :: v_dual_mul_f32 v11, v122, v127
	s_delay_alu instid0(VALU_DEP_1) | instskip(NEXT) | instid1(VALU_DEP_1)
	v_dual_fmac_f32 v9, v121, v124 :: v_dual_fmac_f32 v11, v123, v126
	v_add_f32_e32 v9, 0, v9
	s_wait_loadcnt_dscnt 0x130f
	s_delay_alu instid0(VALU_DEP_1) | instskip(NEXT) | instid1(VALU_DEP_1)
	v_dual_add_f32 v9, v9, v11 :: v_dual_mul_f32 v11, v128, v133
	v_fmac_f32_e32 v11, v129, v132
	s_wait_loadcnt_dscnt 0x40a
	s_set_vgpr_msb 64                       ;  msbs: dst=1 src0=0 src1=0 src2=0
	v_dual_mul_f32 v19 /*v275*/, v248, v253 :: v_dual_mul_f32 v21 /*v277*/, v250, v255
	s_set_vgpr_msb 0                        ;  msbs: dst=0 src0=0 src1=0 src2=0
	v_add_f32_e32 v9, v9, v11
	v_mul_f32_e32 v11, v130, v135
	s_set_vgpr_msb 64                       ;  msbs: dst=1 src0=0 src1=0 src2=0
	v_fmac_f32_e32 v19 /*v275*/, v249, v252
	s_set_vgpr_msb 0                        ;  msbs: dst=0 src0=0 src1=0 src2=0
	s_delay_alu instid0(VALU_DEP_2) | instskip(NEXT) | instid1(VALU_DEP_1)
	v_fmac_f32_e32 v11, v131, v134
	v_dual_add_f32 v9, v9, v11 :: v_dual_mul_f32 v11, v136, v141
	s_delay_alu instid0(VALU_DEP_1) | instskip(NEXT) | instid1(VALU_DEP_1)
	v_fmac_f32_e32 v11, v137, v140
	v_add_f32_e32 v9, v9, v11
	v_mul_f32_e32 v11, v138, v143
	s_delay_alu instid0(VALU_DEP_1) | instskip(NEXT) | instid1(VALU_DEP_1)
	v_fmac_f32_e32 v11, v139, v142
	v_dual_add_f32 v9, v9, v11 :: v_dual_mul_f32 v11, v144, v149
	s_delay_alu instid0(VALU_DEP_1) | instskip(NEXT) | instid1(VALU_DEP_1)
	v_fmac_f32_e32 v11, v145, v148
	v_add_f32_e32 v9, v9, v11
	v_mul_f32_e32 v11, v146, v151
	s_delay_alu instid0(VALU_DEP_1) | instskip(NEXT) | instid1(VALU_DEP_1)
	;; [unrolled: 7-line block ×3, first 2 shown]
	v_fmac_f32_e32 v11, v155, v158
	v_dual_add_f32 v9, v9, v11 :: v_dual_mul_f32 v11, v160, v165
	s_delay_alu instid0(VALU_DEP_1) | instskip(NEXT) | instid1(VALU_DEP_1)
	v_fmac_f32_e32 v11, v161, v164
	v_add_f32_e32 v9, v9, v11
	v_mul_f32_e32 v11, v162, v167
	s_delay_alu instid0(VALU_DEP_1) | instskip(SKIP_1) | instid1(VALU_DEP_1)
	v_fmac_f32_e32 v11, v163, v166
	s_wait_dscnt 0x9
	v_dual_add_f32 v9, v9, v11 :: v_dual_mul_f32 v11, v168, v173
	s_delay_alu instid0(VALU_DEP_1) | instskip(NEXT) | instid1(VALU_DEP_1)
	v_fmac_f32_e32 v11, v169, v172
	v_add_f32_e32 v9, v9, v11
	v_mul_f32_e32 v11, v170, v175
	s_delay_alu instid0(VALU_DEP_1) | instskip(SKIP_1) | instid1(VALU_DEP_1)
	v_fmac_f32_e32 v11, v171, v174
	s_wait_dscnt 0x8
	;; [unrolled: 8-line block ×10, first 2 shown]
	v_dual_add_f32 v9, v9, v11 :: v_dual_mul_f32 v11, v240, v245
	s_delay_alu instid0(VALU_DEP_1) | instskip(NEXT) | instid1(VALU_DEP_1)
	v_fmac_f32_e32 v11, v241, v244
	v_add_f32_e32 v9, v9, v11
	v_mul_f32_e32 v11, v242, v247
	s_delay_alu instid0(VALU_DEP_1) | instskip(SKIP_1) | instid1(VALU_DEP_1)
	v_fmac_f32_e32 v11, v243, v246
	s_set_vgpr_msb 64                       ;  msbs: dst=1 src0=0 src1=0 src2=0
	v_add_f32_e32 v17 /*v273*/, v9, v11
	s_set_vgpr_msb 0                        ;  msbs: dst=0 src0=0 src1=0 src2=0
	v_dual_mul_f32 v9, v121, v125 :: v_dual_mul_f32 v11, v123, v127
	s_delay_alu instid0(VALU_DEP_1) | instskip(NEXT) | instid1(VALU_DEP_1)
	v_dual_fma_f32 v9, v120, v124, -v9 :: v_dual_fma_f32 v11, v122, v126, -v11
	v_add_f32_e32 v9, 0, v9
	s_delay_alu instid0(VALU_DEP_1) | instskip(SKIP_1) | instid1(VALU_DEP_1)
	v_add_f32_e32 v9, v9, v11
	v_mul_f32_e32 v11, v129, v133
	v_fma_f32 v11, v128, v132, -v11
	s_delay_alu instid0(VALU_DEP_1) | instskip(SKIP_1) | instid1(VALU_DEP_1)
	v_add_f32_e32 v9, v9, v11
	v_mul_f32_e32 v11, v131, v135
	v_fma_f32 v11, v130, v134, -v11
	ds_load_2addr_b64 v[120:123], v7 offset0:111 offset1:112
	ds_load_2addr_b64 v[124:127], v7 offset0:113 offset1:114
	;; [unrolled: 1-line block ×4, first 2 shown]
	v_add_f32_e32 v9, v9, v11
	v_mul_f32_e32 v11, v137, v141
	s_delay_alu instid0(VALU_DEP_1) | instskip(NEXT) | instid1(VALU_DEP_1)
	v_fma_f32 v11, v136, v140, -v11
	v_add_f32_e32 v9, v9, v11
	v_mul_f32_e32 v11, v139, v143
	s_delay_alu instid0(VALU_DEP_1)
	v_fma_f32 v11, v138, v142, -v11
	s_wait_loadcnt_dscnt 0x303
	s_set_vgpr_msb 4                        ;  msbs: dst=0 src0=0 src1=1 src2=0
	v_pk_mul_f32 v[138:139], v[120:121], v[0:1] /*v[256:257]*/ op_sel:[1,1] op_sel_hi:[0,1]
	s_set_vgpr_msb 0                        ;  msbs: dst=0 src0=0 src1=0 src2=0
	v_add_f32_e32 v9, v9, v11
	v_mul_f32_e32 v11, v145, v149
	s_set_vgpr_msb 4                        ;  msbs: dst=0 src0=0 src1=1 src2=0
	v_pk_fma_f32 v[140:141], v[120:121], v[0:1] /*v[256:257]*/, v[138:139] neg_lo:[0,0,1] neg_hi:[0,0,1]
	v_pk_fma_f32 v[120:121], v[120:121], v[0:1] /*v[256:257]*/, v[138:139] op_sel_hi:[1,0,1]
	s_set_vgpr_msb 1                        ;  msbs: dst=0 src0=1 src1=0 src2=0
	v_mov_b32_e32 v138, v3 /*v259*/
	s_set_vgpr_msb 0                        ;  msbs: dst=0 src0=0 src1=0 src2=0
	s_delay_alu instid0(VALU_DEP_2) | instskip(NEXT) | instid1(VALU_DEP_1)
	v_dual_fma_f32 v11, v144, v148, -v11 :: v_dual_mov_b32 v141, v121
	v_add_f32_e32 v9, v9, v11
	v_mul_f32_e32 v11, v147, v151
	s_delay_alu instid0(VALU_DEP_1) | instskip(NEXT) | instid1(VALU_DEP_1)
	v_fma_f32 v11, v146, v150, -v11
	v_add_f32_e32 v9, v9, v11
	v_mul_f32_e32 v11, v153, v157
	s_delay_alu instid0(VALU_DEP_1) | instskip(NEXT) | instid1(VALU_DEP_1)
	v_fma_f32 v11, v152, v156, -v11
	;; [unrolled: 4-line block ×24, first 2 shown]
	v_add_f32_e32 v9, v9, v11
	v_mul_f32_e32 v11, v243, v247
	s_delay_alu instid0(VALU_DEP_1) | instskip(SKIP_1) | instid1(VALU_DEP_1)
	v_fma_f32 v11, v242, v246, -v11
	s_set_vgpr_msb 64                       ;  msbs: dst=1 src0=0 src1=0 src2=0
	v_dual_fmac_f32 v21 /*v277*/, v251, v254 :: v_dual_add_f32 v16 /*v272*/, v9, v11
	s_set_vgpr_msb 0                        ;  msbs: dst=0 src0=0 src1=0 src2=0
	v_mul_f32_e32 v9, v249, v253
	s_set_vgpr_msb 64                       ;  msbs: dst=1 src0=0 src1=0 src2=0
	s_delay_alu instid0(VALU_DEP_1) | instskip(SKIP_3) | instid1(VALU_DEP_1)
	v_fma_f32 v18 /*v274*/, v248, v252, -v9
	s_set_vgpr_msb 0                        ;  msbs: dst=0 src0=0 src1=0 src2=0
	v_mul_f32_e32 v9, v251, v255
	s_set_vgpr_msb 64                       ;  msbs: dst=1 src0=0 src1=0 src2=0
	v_fma_f32 v20 /*v276*/, v250, v254, -v9
	s_set_vgpr_msb 5                        ;  msbs: dst=0 src0=1 src1=1 src2=0
	v_pk_add_f32 v[136:137], v[16:17] /*v[272:273]*/, v[18:19] /*v[274:275]*/
	s_set_vgpr_msb 4                        ;  msbs: dst=0 src0=0 src1=1 src2=0
	s_delay_alu instid0(VALU_DEP_1) | instskip(SKIP_1) | instid1(VALU_DEP_1)
	v_pk_add_f32 v[136:137], v[136:137], v[20:21] /*v[276:277]*/
	s_set_vgpr_msb 0                        ;  msbs: dst=0 src0=0 src1=0 src2=0
	v_pk_add_f32 v[120:121], v[136:137], v[140:141]
	v_dual_mov_b32 v136, v123 :: v_dual_mov_b32 v137, v122
	s_delay_alu instid0(VALU_DEP_1) | instskip(SKIP_1) | instid1(VALU_DEP_1)
	v_pk_mul_f32 v[136:137], v[136:137], v[138:139] op_sel_hi:[1,0]
	s_set_vgpr_msb 4                        ;  msbs: dst=0 src0=0 src1=1 src2=0
	v_pk_fma_f32 v[138:139], v[122:123], v[2:3] /*v[258:259]*/, v[136:137] neg_lo:[0,0,1] neg_hi:[0,0,1]
	v_pk_fma_f32 v[122:123], v[122:123], v[2:3] /*v[258:259]*/, v[136:137] op_sel_hi:[1,0,1]
	s_delay_alu instid0(VALU_DEP_1) | instskip(SKIP_3) | instid1(VALU_DEP_2)
	v_mov_b32_e32 v139, v123
	s_wait_loadcnt_dscnt 0x202
	v_pk_mul_f32 v[122:123], v[124:125], v[4:5] /*v[260:261]*/ op_sel:[1,1] op_sel_hi:[0,1]
	s_set_vgpr_msb 0                        ;  msbs: dst=0 src0=0 src1=0 src2=0
	v_pk_add_f32 v[120:121], v[120:121], v[138:139]
	s_set_vgpr_msb 4                        ;  msbs: dst=0 src0=0 src1=1 src2=0
	s_delay_alu instid0(VALU_DEP_2)
	v_pk_fma_f32 v[136:137], v[124:125], v[4:5] /*v[260:261]*/, v[122:123] neg_lo:[0,0,1] neg_hi:[0,0,1]
	v_pk_fma_f32 v[122:123], v[124:125], v[4:5] /*v[260:261]*/, v[122:123] op_sel_hi:[1,0,1]
	v_mov_b32_e32 v122, v127
	s_set_vgpr_msb 1                        ;  msbs: dst=0 src0=1 src1=0 src2=0
	v_mov_b32_e32 v124, v7 /*v263*/
	s_set_vgpr_msb 0                        ;  msbs: dst=0 src0=0 src1=0 src2=0
	v_dual_mov_b32 v137, v123 :: v_dual_mov_b32 v123, v126
	s_delay_alu instid0(VALU_DEP_1) | instskip(NEXT) | instid1(VALU_DEP_2)
	v_pk_add_f32 v[120:121], v[120:121], v[136:137]
	v_pk_mul_f32 v[122:123], v[122:123], v[124:125] op_sel_hi:[1,0]
	s_set_vgpr_msb 4                        ;  msbs: dst=0 src0=0 src1=1 src2=0
	s_delay_alu instid0(VALU_DEP_1) | instskip(SKIP_1) | instid1(VALU_DEP_1)
	v_pk_fma_f32 v[124:125], v[126:127], v[6:7] /*v[262:263]*/, v[122:123] neg_lo:[0,0,1] neg_hi:[0,0,1]
	v_pk_fma_f32 v[122:123], v[126:127], v[6:7] /*v[262:263]*/, v[122:123] op_sel_hi:[1,0,1]
	v_mov_b32_e32 v125, v123
	s_wait_loadcnt_dscnt 0x101
	v_pk_mul_f32 v[122:123], v[128:129], v[8:9] /*v[264:265]*/ op_sel:[1,1] op_sel_hi:[0,1]
	s_set_vgpr_msb 0                        ;  msbs: dst=0 src0=0 src1=0 src2=0
	s_delay_alu instid0(VALU_DEP_2) | instskip(SKIP_1) | instid1(VALU_DEP_2)
	v_pk_add_f32 v[120:121], v[120:121], v[124:125]
	s_set_vgpr_msb 4                        ;  msbs: dst=0 src0=0 src1=1 src2=0
	v_pk_fma_f32 v[124:125], v[128:129], v[8:9] /*v[264:265]*/, v[122:123] neg_lo:[0,0,1] neg_hi:[0,0,1]
	v_pk_fma_f32 v[122:123], v[128:129], v[8:9] /*v[264:265]*/, v[122:123] op_sel_hi:[1,0,1]
	s_delay_alu instid0(VALU_DEP_1) | instskip(SKIP_2) | instid1(VALU_DEP_2)
	v_dual_mov_b32 v122, v131 :: v_dual_mov_b32 v125, v123
	v_mov_b32_e32 v123, v130
	s_set_vgpr_msb 0                        ;  msbs: dst=0 src0=0 src1=0 src2=0
	v_pk_add_f32 v[120:121], v[120:121], v[124:125]
	s_set_vgpr_msb 1                        ;  msbs: dst=0 src0=1 src1=0 src2=0
	v_mov_b32_e32 v124, v11 /*v267*/
	s_set_vgpr_msb 0                        ;  msbs: dst=0 src0=0 src1=0 src2=0
	s_delay_alu instid0(VALU_DEP_1) | instskip(SKIP_1) | instid1(VALU_DEP_1)
	v_pk_mul_f32 v[122:123], v[122:123], v[124:125] op_sel_hi:[1,0]
	s_set_vgpr_msb 4                        ;  msbs: dst=0 src0=0 src1=1 src2=0
	v_pk_fma_f32 v[124:125], v[130:131], v[10:11] /*v[266:267]*/, v[122:123] neg_lo:[0,0,1] neg_hi:[0,0,1]
	v_pk_fma_f32 v[122:123], v[130:131], v[10:11] /*v[266:267]*/, v[122:123] op_sel_hi:[1,0,1]
	s_delay_alu instid0(VALU_DEP_1) | instskip(SKIP_3) | instid1(VALU_DEP_2)
	v_mov_b32_e32 v125, v123
	s_wait_loadcnt_dscnt 0x0
	v_pk_mul_f32 v[122:123], v[132:133], v[12:13] /*v[268:269]*/ op_sel:[1,1] op_sel_hi:[0,1]
	s_set_vgpr_msb 0                        ;  msbs: dst=0 src0=0 src1=0 src2=0
	v_pk_add_f32 v[120:121], v[120:121], v[124:125]
	s_set_vgpr_msb 4                        ;  msbs: dst=0 src0=0 src1=1 src2=0
	s_delay_alu instid0(VALU_DEP_2) | instskip(SKIP_1) | instid1(VALU_DEP_1)
	v_pk_fma_f32 v[124:125], v[132:133], v[12:13] /*v[268:269]*/, v[122:123] neg_lo:[0,0,1] neg_hi:[0,0,1]
	v_pk_fma_f32 v[122:123], v[132:133], v[12:13] /*v[268:269]*/, v[122:123] op_sel_hi:[1,0,1]
	v_dual_mov_b32 v122, v135 :: v_dual_mov_b32 v125, v123
	v_mov_b32_e32 v123, v134
	s_set_vgpr_msb 0                        ;  msbs: dst=0 src0=0 src1=0 src2=0
	s_delay_alu instid0(VALU_DEP_2) | instskip(SKIP_3) | instid1(VALU_DEP_1)
	v_pk_add_f32 v[120:121], v[120:121], v[124:125]
	s_set_vgpr_msb 1                        ;  msbs: dst=0 src0=1 src1=0 src2=0
	v_mov_b32_e32 v124, v15 /*v271*/
	s_set_vgpr_msb 0                        ;  msbs: dst=0 src0=0 src1=0 src2=0
	v_pk_mul_f32 v[122:123], v[122:123], v[124:125] op_sel_hi:[1,0]
	s_set_vgpr_msb 4                        ;  msbs: dst=0 src0=0 src1=1 src2=0
	s_delay_alu instid0(VALU_DEP_1) | instskip(SKIP_1) | instid1(VALU_DEP_1)
	v_pk_fma_f32 v[124:125], v[134:135], v[14:15] /*v[270:271]*/, v[122:123] neg_lo:[0,0,1] neg_hi:[0,0,1]
	v_pk_fma_f32 v[122:123], v[134:135], v[14:15] /*v[270:271]*/, v[122:123] op_sel_hi:[1,0,1]
	v_mov_b32_e32 v125, v123
	scratch_load_b64 v[122:123], off, off offset:128
	s_set_vgpr_msb 0                        ;  msbs: dst=0 src0=0 src1=0 src2=0
	v_pk_add_f32 v[120:121], v[120:121], v[124:125]
	s_wait_loadcnt 0x0
	s_delay_alu instid0(VALU_DEP_1)
	v_pk_add_f32 v[120:121], v[122:123], v[120:121] neg_lo:[0,1] neg_hi:[0,1]
	scratch_store_b64 off, v[120:121], off offset:128
	s_wait_xcnt 0x0
	v_cmpx_lt_u32_e32 15, v0
	s_cbranch_execz .LBB122_337
; %bb.336:
	scratch_load_b64 v[120:121], off, off offset:120
	v_mov_b64_e32 v[122:123], 0
	scratch_store_b64 off, v[122:123], off offset:120
	s_wait_loadcnt 0x0
	ds_store_b64 v1, v[120:121]
.LBB122_337:
	s_wait_xcnt 0x0
	s_or_b32 exec_lo, exec_lo, s0
	v_mov_b32_e32 v7, 0
	s_wait_storecnt_dscnt 0x0
	s_barrier_signal -1
	s_barrier_wait -1
	ds_load_b128 v[120:123], v7 offset:608
	ds_load_b128 v[124:127], v7 offset:624
	;; [unrolled: 1-line block ×4, first 2 shown]
	s_clause 0x12
	scratch_load_b128 v[136:139], off, off offset:128
	scratch_load_b128 v[140:143], off, off offset:144
	scratch_load_b128 v[144:147], off, off offset:160
	scratch_load_b128 v[148:151], off, off offset:176
	scratch_load_b128 v[156:159], off, off offset:192
	scratch_load_b128 v[164:167], off, off offset:208
	scratch_load_b128 v[172:175], off, off offset:224
	scratch_load_b128 v[180:183], off, off offset:240
	scratch_load_b128 v[188:191], off, off offset:256
	scratch_load_b128 v[196:199], off, off offset:272
	scratch_load_b128 v[204:207], off, off offset:288
	scratch_load_b128 v[212:215], off, off offset:304
	scratch_load_b128 v[220:223], off, off offset:320
	scratch_load_b128 v[228:231], off, off offset:336
	scratch_load_b128 v[236:239], off, off offset:352
	scratch_load_b128 v[244:247], off, off offset:368
	scratch_load_b128 v[252:255], off, off offset:384
	s_set_vgpr_msb 64                       ;  msbs: dst=1 src0=0 src1=0 src2=0
	scratch_load_b128 v[4:7] /*v[260:263]*/, off, off offset:400
	s_mov_b32 s0, exec_lo
	s_wait_loadcnt_dscnt 0x1103
	s_set_vgpr_msb 0                        ;  msbs: dst=0 src0=0 src1=0 src2=0
	v_mul_f32_e32 v9, v120, v137
	ds_load_b128 v[248:251], v7 offset:864
	s_set_vgpr_msb 64                       ;  msbs: dst=1 src0=0 src1=0 src2=0
	ds_load_b128 v[0:3] /*v[256:259]*/, v7 offset:880
	s_set_vgpr_msb 0                        ;  msbs: dst=0 src0=0 src1=0 src2=0
	ds_load_b128 v[152:155], v7 offset:672
	ds_load_b128 v[160:163], v7 offset:688
	v_dual_fmac_f32 v9, v121, v136 :: v_dual_mul_f32 v11, v122, v139
	ds_load_b128 v[168:171], v7 offset:704
	ds_load_b128 v[176:179], v7 offset:720
	ds_load_b128 v[184:187], v7 offset:736
	ds_load_b128 v[192:195], v7 offset:752
	v_dual_add_f32 v9, 0, v9 :: v_dual_fmac_f32 v11, v123, v138
	ds_load_b128 v[200:203], v7 offset:768
	ds_load_b128 v[208:211], v7 offset:784
	;; [unrolled: 1-line block ×4, first 2 shown]
	s_wait_loadcnt_dscnt 0x100e
	v_dual_add_f32 v9, v9, v11 :: v_dual_mul_f32 v11, v124, v141
	ds_load_b128 v[232:235], v7 offset:832
	ds_load_b128 v[240:243], v7 offset:848
	s_wait_loadcnt_dscnt 0x10d
	s_set_vgpr_msb 64                       ;  msbs: dst=1 src0=0 src1=0 src2=0
	v_mul_f32_e32 v23 /*v279*/, v250, v255
	s_clause 0x3
	scratch_load_b128 v[8:11] /*v[264:267]*/, off, off offset:416
	scratch_load_b128 v[12:15] /*v[268:271]*/, off, off offset:432
	;; [unrolled: 1-line block ×3, first 2 shown]
	scratch_load_b64 v[26:27] /*v[282:283]*/, off, off offset:464
	s_set_vgpr_msb 0                        ;  msbs: dst=0 src0=0 src1=0 src2=0
	v_fmac_f32_e32 v11, v125, v140
	s_delay_alu instid0(VALU_DEP_1) | instskip(SKIP_1) | instid1(VALU_DEP_1)
	v_add_f32_e32 v9, v9, v11
	v_mul_f32_e32 v11, v126, v143
	v_fmac_f32_e32 v11, v127, v142
	s_delay_alu instid0(VALU_DEP_1) | instskip(NEXT) | instid1(VALU_DEP_1)
	v_dual_add_f32 v9, v9, v11 :: v_dual_mul_f32 v11, v128, v145
	v_fmac_f32_e32 v11, v129, v144
	s_delay_alu instid0(VALU_DEP_1) | instskip(SKIP_1) | instid1(VALU_DEP_1)
	v_add_f32_e32 v9, v9, v11
	v_mul_f32_e32 v11, v130, v147
	v_fmac_f32_e32 v11, v131, v146
	s_delay_alu instid0(VALU_DEP_1) | instskip(NEXT) | instid1(VALU_DEP_1)
	v_dual_add_f32 v9, v9, v11 :: v_dual_mul_f32 v11, v132, v149
	v_fmac_f32_e32 v11, v133, v148
	s_delay_alu instid0(VALU_DEP_1) | instskip(SKIP_1) | instid1(VALU_DEP_1)
	v_add_f32_e32 v9, v9, v11
	v_mul_f32_e32 v11, v134, v151
	v_fmac_f32_e32 v11, v135, v150
	s_wait_dscnt 0xb
	s_delay_alu instid0(VALU_DEP_1) | instskip(NEXT) | instid1(VALU_DEP_1)
	v_dual_add_f32 v9, v9, v11 :: v_dual_mul_f32 v11, v152, v157
	v_fmac_f32_e32 v11, v153, v156
	s_delay_alu instid0(VALU_DEP_1) | instskip(SKIP_1) | instid1(VALU_DEP_1)
	v_add_f32_e32 v9, v9, v11
	v_mul_f32_e32 v11, v154, v159
	v_fmac_f32_e32 v11, v155, v158
	s_wait_dscnt 0xa
	;; [unrolled: 8-line block ×12, first 2 shown]
	s_delay_alu instid0(VALU_DEP_1) | instskip(NEXT) | instid1(VALU_DEP_1)
	v_dual_add_f32 v9, v9, v11 :: v_dual_mul_f32 v11, v240, v245
	v_fmac_f32_e32 v11, v241, v244
	s_delay_alu instid0(VALU_DEP_1) | instskip(SKIP_1) | instid1(VALU_DEP_1)
	v_add_f32_e32 v9, v9, v11
	v_mul_f32_e32 v11, v242, v247
	v_fmac_f32_e32 v11, v243, v246
	s_delay_alu instid0(VALU_DEP_1) | instskip(NEXT) | instid1(VALU_DEP_1)
	v_dual_add_f32 v9, v9, v11 :: v_dual_mul_f32 v11, v248, v253
	v_fmac_f32_e32 v11, v249, v252
	s_set_vgpr_msb 64                       ;  msbs: dst=1 src0=0 src1=0 src2=0
	s_delay_alu instid0(VALU_DEP_1)
	v_add_f32_e32 v21 /*v277*/, v9, v11
	s_set_vgpr_msb 0                        ;  msbs: dst=0 src0=0 src1=0 src2=0
	v_dual_mul_f32 v9, v121, v137 :: v_dual_mul_f32 v11, v123, v139
	s_set_vgpr_msb 1                        ;  msbs: dst=0 src0=1 src1=0 src2=0
	v_mov_b32_e32 v137, v2 /*v258*/
	s_set_vgpr_msb 0                        ;  msbs: dst=0 src0=0 src1=0 src2=0
	s_delay_alu instid0(VALU_DEP_2) | instskip(SKIP_3) | instid1(VALU_DEP_2)
	v_dual_fma_f32 v9, v120, v136, -v9 :: v_dual_fma_f32 v11, v122, v138, -v11
	s_wait_loadcnt 0x4
	s_set_vgpr_msb 1                        ;  msbs: dst=0 src0=1 src1=0 src2=0
	v_dual_mov_b32 v138, v7 /*v263*/ :: v_dual_mov_b32 v136, v3 /*v259*/
	v_add_f32_e32 v9, 0, v9
	s_set_vgpr_msb 0                        ;  msbs: dst=0 src0=0 src1=0 src2=0
	s_delay_alu instid0(VALU_DEP_2) | instskip(NEXT) | instid1(VALU_DEP_2)
	v_pk_mul_f32 v[136:137], v[136:137], v[138:139] op_sel_hi:[1,0]
	v_add_f32_e32 v9, v9, v11
	v_mul_f32_e32 v11, v125, v141
	s_set_vgpr_msb 5                        ;  msbs: dst=0 src0=1 src1=1 src2=0
	s_delay_alu instid0(VALU_DEP_3) | instskip(SKIP_2) | instid1(VALU_DEP_1)
	v_pk_fma_f32 v[138:139], v[2:3] /*v[258:259]*/, v[6:7] /*v[262:263]*/, v[136:137] neg_lo:[0,0,1] neg_hi:[0,0,1]
	v_pk_fma_f32 v[136:137], v[2:3] /*v[258:259]*/, v[6:7] /*v[262:263]*/, v[136:137] op_sel_hi:[1,0,1]
	s_set_vgpr_msb 0                        ;  msbs: dst=0 src0=0 src1=0 src2=0
	v_dual_fma_f32 v11, v124, v140, -v11 :: v_dual_mov_b32 v139, v137
	s_delay_alu instid0(VALU_DEP_1) | instskip(SKIP_1) | instid1(VALU_DEP_1)
	v_add_f32_e32 v9, v9, v11
	v_mul_f32_e32 v11, v127, v143
	v_fma_f32 v11, v126, v142, -v11
	s_delay_alu instid0(VALU_DEP_1) | instskip(SKIP_1) | instid1(VALU_DEP_1)
	v_add_f32_e32 v9, v9, v11
	v_mul_f32_e32 v11, v129, v145
	v_fma_f32 v11, v128, v144, -v11
	;; [unrolled: 4-line block ×4, first 2 shown]
	ds_load_b128 v[120:123], v7 offset:896
	ds_load_b128 v[124:127], v7 offset:912
	;; [unrolled: 1-line block ×3, first 2 shown]
	ds_load_b64 v[132:133], v7 offset:944
	v_add_f32_e32 v9, v9, v11
	v_mul_f32_e32 v11, v135, v151
	s_delay_alu instid0(VALU_DEP_1) | instskip(NEXT) | instid1(VALU_DEP_1)
	v_fma_f32 v11, v134, v150, -v11
	v_add_f32_e32 v9, v9, v11
	v_mul_f32_e32 v11, v153, v157
	s_wait_loadcnt_dscnt 0x303
	s_set_vgpr_msb 4                        ;  msbs: dst=0 src0=0 src1=1 src2=0
	v_pk_mul_f32 v[136:137], v[120:121], v[8:9] /*v[264:265]*/ op_sel:[1,1] op_sel_hi:[0,1]
	s_set_vgpr_msb 0                        ;  msbs: dst=0 src0=0 src1=0 src2=0
	v_fma_f32 v11, v152, v156, -v11
	s_delay_alu instid0(VALU_DEP_1) | instskip(SKIP_1) | instid1(VALU_DEP_1)
	v_add_f32_e32 v9, v9, v11
	v_mul_f32_e32 v11, v155, v159
	v_fma_f32 v11, v154, v158, -v11
	s_delay_alu instid0(VALU_DEP_1) | instskip(SKIP_1) | instid1(VALU_DEP_1)
	v_add_f32_e32 v9, v9, v11
	v_mul_f32_e32 v11, v161, v165
	;; [unrolled: 4-line block ×24, first 2 shown]
	v_fma_f32 v11, v248, v252, -v11
	s_set_vgpr_msb 64                       ;  msbs: dst=1 src0=0 src1=0 src2=0
	s_delay_alu instid0(VALU_DEP_1) | instskip(SKIP_3) | instid1(VALU_DEP_1)
	v_add_f32_e32 v20 /*v276*/, v9, v11
	s_set_vgpr_msb 0                        ;  msbs: dst=0 src0=0 src1=0 src2=0
	v_mul_f32_e32 v9, v251, v255
	s_set_vgpr_msb 64                       ;  msbs: dst=1 src0=0 src1=0 src2=0
	v_fma_f32 v22 /*v278*/, v250, v254, -v9
	s_set_vgpr_msb 5                        ;  msbs: dst=0 src0=1 src1=1 src2=0
	v_mul_f32_e32 v9, v1 /*v257*/, v5 /*v261*/
	s_set_vgpr_msb 64                       ;  msbs: dst=1 src0=0 src1=0 src2=0
	v_fmac_f32_e32 v23 /*v279*/, v251, v254
	s_set_vgpr_msb 0x45                     ;  msbs: dst=1 src0=1 src1=1 src2=0
	s_delay_alu instid0(VALU_DEP_2) | instskip(SKIP_1) | instid1(VALU_DEP_2)
	v_dual_mul_f32 v25 /*v281*/, v0 /*v256*/, v5 /*v261*/ :: v_dual_fma_f32 v24 /*v280*/, v0 /*v256*/, v4 /*v260*/, -v9
	s_set_vgpr_msb 5                        ;  msbs: dst=0 src0=1 src1=1 src2=0
	v_pk_add_f32 v[134:135], v[20:21] /*v[276:277]*/, v[22:23] /*v[278:279]*/
	s_set_vgpr_msb 0x45                     ;  msbs: dst=1 src0=1 src1=1 src2=0
	s_delay_alu instid0(VALU_DEP_2) | instskip(SKIP_1) | instid1(VALU_DEP_1)
	v_fmac_f32_e32 v25 /*v281*/, v1 /*v257*/, v4 /*v260*/
	s_set_vgpr_msb 4                        ;  msbs: dst=0 src0=0 src1=1 src2=0
	v_pk_add_f32 v[134:135], v[134:135], v[24:25] /*v[280:281]*/
	s_set_vgpr_msb 0                        ;  msbs: dst=0 src0=0 src1=0 src2=0
	s_delay_alu instid0(VALU_DEP_1)
	v_pk_add_f32 v[134:135], v[134:135], v[138:139]
	s_set_vgpr_msb 4                        ;  msbs: dst=0 src0=0 src1=1 src2=0
	v_pk_fma_f32 v[138:139], v[120:121], v[8:9] /*v[264:265]*/, v[136:137] neg_lo:[0,0,1] neg_hi:[0,0,1]
	v_pk_fma_f32 v[120:121], v[120:121], v[8:9] /*v[264:265]*/, v[136:137] op_sel_hi:[1,0,1]
	s_set_vgpr_msb 1                        ;  msbs: dst=0 src0=1 src1=0 src2=0
	v_mov_b32_e32 v136, v11 /*v267*/
	s_set_vgpr_msb 0                        ;  msbs: dst=0 src0=0 src1=0 src2=0
	s_delay_alu instid0(VALU_DEP_2) | instskip(NEXT) | instid1(VALU_DEP_1)
	v_mov_b32_e32 v139, v121
	v_pk_add_f32 v[120:121], v[134:135], v[138:139]
	v_dual_mov_b32 v134, v123 :: v_dual_mov_b32 v135, v122
	s_delay_alu instid0(VALU_DEP_1) | instskip(SKIP_1) | instid1(VALU_DEP_1)
	v_pk_mul_f32 v[134:135], v[134:135], v[136:137] op_sel_hi:[1,0]
	s_set_vgpr_msb 4                        ;  msbs: dst=0 src0=0 src1=1 src2=0
	v_pk_fma_f32 v[136:137], v[122:123], v[10:11] /*v[266:267]*/, v[134:135] neg_lo:[0,0,1] neg_hi:[0,0,1]
	v_pk_fma_f32 v[122:123], v[122:123], v[10:11] /*v[266:267]*/, v[134:135] op_sel_hi:[1,0,1]
	s_delay_alu instid0(VALU_DEP_1) | instskip(SKIP_3) | instid1(VALU_DEP_2)
	v_mov_b32_e32 v137, v123
	s_wait_loadcnt_dscnt 0x202
	v_pk_mul_f32 v[122:123], v[124:125], v[12:13] /*v[268:269]*/ op_sel:[1,1] op_sel_hi:[0,1]
	s_set_vgpr_msb 0                        ;  msbs: dst=0 src0=0 src1=0 src2=0
	v_pk_add_f32 v[120:121], v[120:121], v[136:137]
	s_set_vgpr_msb 4                        ;  msbs: dst=0 src0=0 src1=1 src2=0
	s_delay_alu instid0(VALU_DEP_2)
	v_pk_fma_f32 v[134:135], v[124:125], v[12:13] /*v[268:269]*/, v[122:123] neg_lo:[0,0,1] neg_hi:[0,0,1]
	v_pk_fma_f32 v[122:123], v[124:125], v[12:13] /*v[268:269]*/, v[122:123] op_sel_hi:[1,0,1]
	v_mov_b32_e32 v122, v127
	s_set_vgpr_msb 1                        ;  msbs: dst=0 src0=1 src1=0 src2=0
	v_mov_b32_e32 v124, v15 /*v271*/
	s_set_vgpr_msb 0                        ;  msbs: dst=0 src0=0 src1=0 src2=0
	v_dual_mov_b32 v135, v123 :: v_dual_mov_b32 v123, v126
	s_delay_alu instid0(VALU_DEP_1) | instskip(NEXT) | instid1(VALU_DEP_2)
	v_pk_add_f32 v[120:121], v[120:121], v[134:135]
	v_pk_mul_f32 v[122:123], v[122:123], v[124:125] op_sel_hi:[1,0]
	s_set_vgpr_msb 4                        ;  msbs: dst=0 src0=0 src1=1 src2=0
	s_delay_alu instid0(VALU_DEP_1) | instskip(SKIP_1) | instid1(VALU_DEP_1)
	v_pk_fma_f32 v[124:125], v[126:127], v[14:15] /*v[270:271]*/, v[122:123] neg_lo:[0,0,1] neg_hi:[0,0,1]
	v_pk_fma_f32 v[122:123], v[126:127], v[14:15] /*v[270:271]*/, v[122:123] op_sel_hi:[1,0,1]
	v_mov_b32_e32 v125, v123
	s_wait_loadcnt_dscnt 0x101
	v_pk_mul_f32 v[122:123], v[128:129], v[16:17] /*v[272:273]*/ op_sel:[1,1] op_sel_hi:[0,1]
	s_set_vgpr_msb 0                        ;  msbs: dst=0 src0=0 src1=0 src2=0
	s_delay_alu instid0(VALU_DEP_2) | instskip(SKIP_1) | instid1(VALU_DEP_2)
	v_pk_add_f32 v[120:121], v[120:121], v[124:125]
	s_set_vgpr_msb 4                        ;  msbs: dst=0 src0=0 src1=1 src2=0
	v_pk_fma_f32 v[124:125], v[128:129], v[16:17] /*v[272:273]*/, v[122:123] neg_lo:[0,0,1] neg_hi:[0,0,1]
	v_pk_fma_f32 v[122:123], v[128:129], v[16:17] /*v[272:273]*/, v[122:123] op_sel_hi:[1,0,1]
	s_delay_alu instid0(VALU_DEP_1) | instskip(SKIP_2) | instid1(VALU_DEP_2)
	v_dual_mov_b32 v122, v131 :: v_dual_mov_b32 v125, v123
	v_mov_b32_e32 v123, v130
	s_set_vgpr_msb 0                        ;  msbs: dst=0 src0=0 src1=0 src2=0
	v_pk_add_f32 v[120:121], v[120:121], v[124:125]
	s_set_vgpr_msb 1                        ;  msbs: dst=0 src0=1 src1=0 src2=0
	v_mov_b32_e32 v124, v19 /*v275*/
	s_set_vgpr_msb 0                        ;  msbs: dst=0 src0=0 src1=0 src2=0
	s_delay_alu instid0(VALU_DEP_1) | instskip(SKIP_1) | instid1(VALU_DEP_1)
	v_pk_mul_f32 v[122:123], v[122:123], v[124:125] op_sel_hi:[1,0]
	s_set_vgpr_msb 4                        ;  msbs: dst=0 src0=0 src1=1 src2=0
	v_pk_fma_f32 v[124:125], v[130:131], v[18:19] /*v[274:275]*/, v[122:123] neg_lo:[0,0,1] neg_hi:[0,0,1]
	v_pk_fma_f32 v[122:123], v[130:131], v[18:19] /*v[274:275]*/, v[122:123] op_sel_hi:[1,0,1]
	s_delay_alu instid0(VALU_DEP_1) | instskip(SKIP_3) | instid1(VALU_DEP_2)
	v_mov_b32_e32 v125, v123
	s_wait_loadcnt_dscnt 0x0
	v_pk_mul_f32 v[122:123], v[132:133], v[26:27] /*v[282:283]*/ op_sel:[1,1] op_sel_hi:[0,1]
	s_set_vgpr_msb 0                        ;  msbs: dst=0 src0=0 src1=0 src2=0
	v_pk_add_f32 v[120:121], v[120:121], v[124:125]
	s_set_vgpr_msb 4                        ;  msbs: dst=0 src0=0 src1=1 src2=0
	s_delay_alu instid0(VALU_DEP_2) | instskip(SKIP_1) | instid1(VALU_DEP_1)
	v_pk_fma_f32 v[124:125], v[132:133], v[26:27] /*v[282:283]*/, v[122:123] neg_lo:[0,0,1] neg_hi:[0,0,1]
	v_pk_fma_f32 v[122:123], v[132:133], v[26:27] /*v[282:283]*/, v[122:123] op_sel_hi:[1,0,1]
	v_mov_b32_e32 v125, v123
	scratch_load_b64 v[122:123], off, off offset:120
	s_set_vgpr_msb 0                        ;  msbs: dst=0 src0=0 src1=0 src2=0
	v_pk_add_f32 v[120:121], v[120:121], v[124:125]
	s_wait_loadcnt 0x0
	s_delay_alu instid0(VALU_DEP_1)
	v_pk_add_f32 v[120:121], v[122:123], v[120:121] neg_lo:[0,1] neg_hi:[0,1]
	scratch_store_b64 off, v[120:121], off offset:120
	s_wait_xcnt 0x0
	v_cmpx_lt_u32_e32 14, v0
	s_cbranch_execz .LBB122_339
; %bb.338:
	scratch_load_b64 v[120:121], off, off offset:112
	v_mov_b64_e32 v[122:123], 0
	scratch_store_b64 off, v[122:123], off offset:112
	s_wait_loadcnt 0x0
	ds_store_b64 v1, v[120:121]
.LBB122_339:
	s_wait_xcnt 0x0
	s_or_b32 exec_lo, exec_lo, s0
	s_wait_storecnt_dscnt 0x0
	s_barrier_signal -1
	s_barrier_wait -1
	s_clause 0xf
	scratch_load_b128 v[124:127], off, off offset:120
	scratch_load_b128 v[132:135], off, off offset:136
	;; [unrolled: 1-line block ×16, first 2 shown]
	ds_load_2addr_b64 v[120:123], v7 offset0:75 offset1:76
	ds_load_2addr_b64 v[128:131], v7 offset0:77 offset1:78
	s_clause 0x2
	scratch_load_b128 v[252:255], off, off offset:376
	s_set_vgpr_msb 64                       ;  msbs: dst=1 src0=0 src1=0 src2=0
	scratch_load_b128 v[4:7] /*v[260:263]*/, off, off offset:392
	s_set_vgpr_msb 0                        ;  msbs: dst=0 src0=0 src1=0 src2=0
	ds_load_2addr_b64 v[136:139], v7 offset0:79 offset1:80
	ds_load_2addr_b64 v[144:147], v7 offset0:81 offset1:82
	;; [unrolled: 1-line block ×15, first 2 shown]
	s_set_vgpr_msb 64                       ;  msbs: dst=1 src0=0 src1=0 src2=0
	ds_load_2addr_b64 v[0:3] /*v[256:259]*/, v7 offset0:109 offset1:110
	s_clause 0x3
	scratch_load_b128 v[8:11] /*v[264:267]*/, off, off offset:408
	scratch_load_b128 v[12:15] /*v[268:271]*/, off, off offset:424
	;; [unrolled: 1-line block ×4, first 2 shown]
	s_mov_b32 s0, exec_lo
	s_wait_loadcnt_dscnt 0x1511
	s_set_vgpr_msb 0                        ;  msbs: dst=0 src0=0 src1=0 src2=0
	v_dual_mul_f32 v9, v120, v125 :: v_dual_mul_f32 v11, v122, v127
	s_delay_alu instid0(VALU_DEP_1) | instskip(NEXT) | instid1(VALU_DEP_1)
	v_dual_fmac_f32 v9, v121, v124 :: v_dual_fmac_f32 v11, v123, v126
	v_add_f32_e32 v9, 0, v9
	s_wait_loadcnt_dscnt 0x1410
	s_delay_alu instid0(VALU_DEP_1)
	v_dual_add_f32 v9, v9, v11 :: v_dual_mul_f32 v11, v128, v133
	s_wait_loadcnt_dscnt 0x400
	s_set_vgpr_msb 0x45                     ;  msbs: dst=1 src0=1 src1=1 src2=0
	v_dual_mul_f32 v27 /*v283*/, v0 /*v256*/, v5 /*v261*/ :: v_dual_mul_f32 v29 /*v285*/, v2 /*v258*/, v7 /*v263*/
	s_set_vgpr_msb 0                        ;  msbs: dst=0 src0=0 src1=0 src2=0
	v_fmac_f32_e32 v11, v129, v132
	s_set_vgpr_msb 0x45                     ;  msbs: dst=1 src0=1 src1=1 src2=0
	s_delay_alu instid0(VALU_DEP_2) | instskip(SKIP_1) | instid1(VALU_DEP_2)
	v_dual_fmac_f32 v27 /*v283*/, v1 /*v257*/, v4 /*v260*/ :: v_dual_fmac_f32 v29 /*v285*/, v3 /*v259*/, v6 /*v262*/
	s_set_vgpr_msb 0                        ;  msbs: dst=0 src0=0 src1=0 src2=0
	v_add_f32_e32 v9, v9, v11
	v_mul_f32_e32 v11, v130, v135
	s_delay_alu instid0(VALU_DEP_1) | instskip(NEXT) | instid1(VALU_DEP_1)
	v_fmac_f32_e32 v11, v131, v134
	v_dual_add_f32 v9, v9, v11 :: v_dual_mul_f32 v11, v136, v141
	s_delay_alu instid0(VALU_DEP_1) | instskip(NEXT) | instid1(VALU_DEP_1)
	v_fmac_f32_e32 v11, v137, v140
	v_add_f32_e32 v9, v9, v11
	v_mul_f32_e32 v11, v138, v143
	s_delay_alu instid0(VALU_DEP_1) | instskip(NEXT) | instid1(VALU_DEP_1)
	v_fmac_f32_e32 v11, v139, v142
	v_dual_add_f32 v9, v9, v11 :: v_dual_mul_f32 v11, v144, v149
	s_delay_alu instid0(VALU_DEP_1) | instskip(NEXT) | instid1(VALU_DEP_1)
	v_fmac_f32_e32 v11, v145, v148
	;; [unrolled: 7-line block ×15, first 2 shown]
	v_add_f32_e32 v9, v9, v11
	v_mul_f32_e32 v11, v250, v255
	s_delay_alu instid0(VALU_DEP_1) | instskip(SKIP_1) | instid1(VALU_DEP_1)
	v_fmac_f32_e32 v11, v251, v254
	s_set_vgpr_msb 64                       ;  msbs: dst=1 src0=0 src1=0 src2=0
	v_add_f32_e32 v25 /*v281*/, v9, v11
	s_set_vgpr_msb 0                        ;  msbs: dst=0 src0=0 src1=0 src2=0
	v_dual_mul_f32 v9, v121, v125 :: v_dual_mul_f32 v11, v123, v127
	s_delay_alu instid0(VALU_DEP_1) | instskip(NEXT) | instid1(VALU_DEP_1)
	v_dual_fma_f32 v9, v120, v124, -v9 :: v_dual_fma_f32 v11, v122, v126, -v11
	v_add_f32_e32 v9, 0, v9
	s_delay_alu instid0(VALU_DEP_1) | instskip(SKIP_1) | instid1(VALU_DEP_1)
	v_add_f32_e32 v9, v9, v11
	v_mul_f32_e32 v11, v129, v133
	v_fma_f32 v11, v128, v132, -v11
	s_delay_alu instid0(VALU_DEP_1) | instskip(SKIP_1) | instid1(VALU_DEP_1)
	v_add_f32_e32 v9, v9, v11
	v_mul_f32_e32 v11, v131, v135
	v_fma_f32 v11, v130, v134, -v11
	ds_load_2addr_b64 v[120:123], v7 offset0:111 offset1:112
	ds_load_2addr_b64 v[124:127], v7 offset0:113 offset1:114
	;; [unrolled: 1-line block ×4, first 2 shown]
	v_add_f32_e32 v9, v9, v11
	v_mul_f32_e32 v11, v137, v141
	s_delay_alu instid0(VALU_DEP_1) | instskip(NEXT) | instid1(VALU_DEP_1)
	v_fma_f32 v11, v136, v140, -v11
	v_add_f32_e32 v9, v9, v11
	v_mul_f32_e32 v11, v139, v143
	s_delay_alu instid0(VALU_DEP_1)
	v_fma_f32 v11, v138, v142, -v11
	s_wait_loadcnt_dscnt 0x303
	s_set_vgpr_msb 4                        ;  msbs: dst=0 src0=0 src1=1 src2=0
	v_pk_mul_f32 v[138:139], v[120:121], v[8:9] /*v[264:265]*/ op_sel:[1,1] op_sel_hi:[0,1]
	s_set_vgpr_msb 0                        ;  msbs: dst=0 src0=0 src1=0 src2=0
	v_add_f32_e32 v9, v9, v11
	v_mul_f32_e32 v11, v145, v149
	s_set_vgpr_msb 4                        ;  msbs: dst=0 src0=0 src1=1 src2=0
	v_pk_fma_f32 v[140:141], v[120:121], v[8:9] /*v[264:265]*/, v[138:139] neg_lo:[0,0,1] neg_hi:[0,0,1]
	v_pk_fma_f32 v[120:121], v[120:121], v[8:9] /*v[264:265]*/, v[138:139] op_sel_hi:[1,0,1]
	s_set_vgpr_msb 1                        ;  msbs: dst=0 src0=1 src1=0 src2=0
	v_mov_b32_e32 v138, v11 /*v267*/
	s_set_vgpr_msb 0                        ;  msbs: dst=0 src0=0 src1=0 src2=0
	s_delay_alu instid0(VALU_DEP_2) | instskip(NEXT) | instid1(VALU_DEP_1)
	v_dual_fma_f32 v11, v144, v148, -v11 :: v_dual_mov_b32 v141, v121
	v_add_f32_e32 v9, v9, v11
	v_mul_f32_e32 v11, v147, v151
	s_delay_alu instid0(VALU_DEP_1) | instskip(NEXT) | instid1(VALU_DEP_1)
	v_fma_f32 v11, v146, v150, -v11
	v_add_f32_e32 v9, v9, v11
	v_mul_f32_e32 v11, v153, v157
	s_delay_alu instid0(VALU_DEP_1) | instskip(NEXT) | instid1(VALU_DEP_1)
	v_fma_f32 v11, v152, v156, -v11
	v_add_f32_e32 v9, v9, v11
	v_mul_f32_e32 v11, v155, v159
	s_delay_alu instid0(VALU_DEP_1) | instskip(NEXT) | instid1(VALU_DEP_1)
	v_fma_f32 v11, v154, v158, -v11
	v_add_f32_e32 v9, v9, v11
	v_mul_f32_e32 v11, v161, v165
	s_delay_alu instid0(VALU_DEP_1) | instskip(NEXT) | instid1(VALU_DEP_1)
	v_fma_f32 v11, v160, v164, -v11
	v_add_f32_e32 v9, v9, v11
	v_mul_f32_e32 v11, v163, v167
	s_delay_alu instid0(VALU_DEP_1) | instskip(NEXT) | instid1(VALU_DEP_1)
	v_fma_f32 v11, v162, v166, -v11
	v_add_f32_e32 v9, v9, v11
	v_mul_f32_e32 v11, v169, v173
	s_delay_alu instid0(VALU_DEP_1) | instskip(NEXT) | instid1(VALU_DEP_1)
	v_fma_f32 v11, v168, v172, -v11
	v_add_f32_e32 v9, v9, v11
	v_mul_f32_e32 v11, v171, v175
	s_delay_alu instid0(VALU_DEP_1) | instskip(NEXT) | instid1(VALU_DEP_1)
	v_fma_f32 v11, v170, v174, -v11
	v_add_f32_e32 v9, v9, v11
	v_mul_f32_e32 v11, v177, v181
	s_delay_alu instid0(VALU_DEP_1) | instskip(NEXT) | instid1(VALU_DEP_1)
	v_fma_f32 v11, v176, v180, -v11
	v_add_f32_e32 v9, v9, v11
	v_mul_f32_e32 v11, v179, v183
	s_delay_alu instid0(VALU_DEP_1) | instskip(NEXT) | instid1(VALU_DEP_1)
	v_fma_f32 v11, v178, v182, -v11
	v_add_f32_e32 v9, v9, v11
	v_mul_f32_e32 v11, v185, v189
	s_delay_alu instid0(VALU_DEP_1) | instskip(NEXT) | instid1(VALU_DEP_1)
	v_fma_f32 v11, v184, v188, -v11
	v_add_f32_e32 v9, v9, v11
	v_mul_f32_e32 v11, v187, v191
	s_delay_alu instid0(VALU_DEP_1) | instskip(NEXT) | instid1(VALU_DEP_1)
	v_fma_f32 v11, v186, v190, -v11
	v_add_f32_e32 v9, v9, v11
	v_mul_f32_e32 v11, v193, v197
	s_delay_alu instid0(VALU_DEP_1) | instskip(NEXT) | instid1(VALU_DEP_1)
	v_fma_f32 v11, v192, v196, -v11
	v_add_f32_e32 v9, v9, v11
	v_mul_f32_e32 v11, v195, v199
	s_delay_alu instid0(VALU_DEP_1) | instskip(NEXT) | instid1(VALU_DEP_1)
	v_fma_f32 v11, v194, v198, -v11
	v_add_f32_e32 v9, v9, v11
	v_mul_f32_e32 v11, v201, v205
	s_delay_alu instid0(VALU_DEP_1) | instskip(NEXT) | instid1(VALU_DEP_1)
	v_fma_f32 v11, v200, v204, -v11
	v_add_f32_e32 v9, v9, v11
	v_mul_f32_e32 v11, v203, v207
	s_delay_alu instid0(VALU_DEP_1) | instskip(NEXT) | instid1(VALU_DEP_1)
	v_fma_f32 v11, v202, v206, -v11
	v_add_f32_e32 v9, v9, v11
	v_mul_f32_e32 v11, v209, v213
	s_delay_alu instid0(VALU_DEP_1) | instskip(NEXT) | instid1(VALU_DEP_1)
	v_fma_f32 v11, v208, v212, -v11
	v_add_f32_e32 v9, v9, v11
	v_mul_f32_e32 v11, v211, v215
	s_delay_alu instid0(VALU_DEP_1) | instskip(NEXT) | instid1(VALU_DEP_1)
	v_fma_f32 v11, v210, v214, -v11
	v_add_f32_e32 v9, v9, v11
	v_mul_f32_e32 v11, v217, v221
	s_delay_alu instid0(VALU_DEP_1) | instskip(NEXT) | instid1(VALU_DEP_1)
	v_fma_f32 v11, v216, v220, -v11
	v_add_f32_e32 v9, v9, v11
	v_mul_f32_e32 v11, v219, v223
	s_delay_alu instid0(VALU_DEP_1) | instskip(NEXT) | instid1(VALU_DEP_1)
	v_fma_f32 v11, v218, v222, -v11
	v_add_f32_e32 v9, v9, v11
	v_mul_f32_e32 v11, v225, v229
	s_delay_alu instid0(VALU_DEP_1) | instskip(NEXT) | instid1(VALU_DEP_1)
	v_fma_f32 v11, v224, v228, -v11
	v_add_f32_e32 v9, v9, v11
	v_mul_f32_e32 v11, v227, v231
	s_delay_alu instid0(VALU_DEP_1) | instskip(NEXT) | instid1(VALU_DEP_1)
	v_fma_f32 v11, v226, v230, -v11
	v_add_f32_e32 v9, v9, v11
	v_mul_f32_e32 v11, v233, v237
	s_delay_alu instid0(VALU_DEP_1) | instskip(NEXT) | instid1(VALU_DEP_1)
	v_fma_f32 v11, v232, v236, -v11
	v_add_f32_e32 v9, v9, v11
	v_mul_f32_e32 v11, v235, v239
	s_delay_alu instid0(VALU_DEP_1) | instskip(NEXT) | instid1(VALU_DEP_1)
	v_fma_f32 v11, v234, v238, -v11
	v_add_f32_e32 v9, v9, v11
	v_mul_f32_e32 v11, v241, v245
	s_delay_alu instid0(VALU_DEP_1) | instskip(NEXT) | instid1(VALU_DEP_1)
	v_fma_f32 v11, v240, v244, -v11
	v_add_f32_e32 v9, v9, v11
	v_mul_f32_e32 v11, v243, v247
	s_delay_alu instid0(VALU_DEP_1) | instskip(NEXT) | instid1(VALU_DEP_1)
	v_fma_f32 v11, v242, v246, -v11
	v_add_f32_e32 v9, v9, v11
	v_mul_f32_e32 v11, v249, v253
	s_delay_alu instid0(VALU_DEP_1) | instskip(NEXT) | instid1(VALU_DEP_1)
	v_fma_f32 v11, v248, v252, -v11
	v_add_f32_e32 v9, v9, v11
	v_mul_f32_e32 v11, v251, v255
	s_delay_alu instid0(VALU_DEP_1) | instskip(SKIP_1) | instid1(VALU_DEP_1)
	v_fma_f32 v11, v250, v254, -v11
	s_set_vgpr_msb 64                       ;  msbs: dst=1 src0=0 src1=0 src2=0
	v_add_f32_e32 v24 /*v280*/, v9, v11
	s_set_vgpr_msb 5                        ;  msbs: dst=0 src0=1 src1=1 src2=0
	v_mul_f32_e32 v9, v1 /*v257*/, v5 /*v261*/
	s_set_vgpr_msb 0x45                     ;  msbs: dst=1 src0=1 src1=1 src2=0
	s_delay_alu instid0(VALU_DEP_1) | instskip(SKIP_3) | instid1(VALU_DEP_1)
	v_fma_f32 v26 /*v282*/, v0 /*v256*/, v4 /*v260*/, -v9
	s_set_vgpr_msb 5                        ;  msbs: dst=0 src0=1 src1=1 src2=0
	v_mul_f32_e32 v9, v3 /*v259*/, v7 /*v263*/
	s_set_vgpr_msb 0x45                     ;  msbs: dst=1 src0=1 src1=1 src2=0
	v_fma_f32 v28 /*v284*/, v2 /*v258*/, v6 /*v262*/, -v9
	s_set_vgpr_msb 5                        ;  msbs: dst=0 src0=1 src1=1 src2=0
	v_pk_add_f32 v[136:137], v[24:25] /*v[280:281]*/, v[26:27] /*v[282:283]*/
	s_set_vgpr_msb 4                        ;  msbs: dst=0 src0=0 src1=1 src2=0
	s_delay_alu instid0(VALU_DEP_1) | instskip(SKIP_1) | instid1(VALU_DEP_1)
	v_pk_add_f32 v[136:137], v[136:137], v[28:29] /*v[284:285]*/
	s_set_vgpr_msb 0                        ;  msbs: dst=0 src0=0 src1=0 src2=0
	v_pk_add_f32 v[120:121], v[136:137], v[140:141]
	v_dual_mov_b32 v136, v123 :: v_dual_mov_b32 v137, v122
	s_delay_alu instid0(VALU_DEP_1) | instskip(SKIP_1) | instid1(VALU_DEP_1)
	v_pk_mul_f32 v[136:137], v[136:137], v[138:139] op_sel_hi:[1,0]
	s_set_vgpr_msb 4                        ;  msbs: dst=0 src0=0 src1=1 src2=0
	v_pk_fma_f32 v[138:139], v[122:123], v[10:11] /*v[266:267]*/, v[136:137] neg_lo:[0,0,1] neg_hi:[0,0,1]
	v_pk_fma_f32 v[122:123], v[122:123], v[10:11] /*v[266:267]*/, v[136:137] op_sel_hi:[1,0,1]
	s_delay_alu instid0(VALU_DEP_1) | instskip(SKIP_3) | instid1(VALU_DEP_2)
	v_mov_b32_e32 v139, v123
	s_wait_loadcnt_dscnt 0x202
	v_pk_mul_f32 v[122:123], v[124:125], v[12:13] /*v[268:269]*/ op_sel:[1,1] op_sel_hi:[0,1]
	s_set_vgpr_msb 0                        ;  msbs: dst=0 src0=0 src1=0 src2=0
	v_pk_add_f32 v[120:121], v[120:121], v[138:139]
	s_set_vgpr_msb 4                        ;  msbs: dst=0 src0=0 src1=1 src2=0
	s_delay_alu instid0(VALU_DEP_2)
	v_pk_fma_f32 v[136:137], v[124:125], v[12:13] /*v[268:269]*/, v[122:123] neg_lo:[0,0,1] neg_hi:[0,0,1]
	v_pk_fma_f32 v[122:123], v[124:125], v[12:13] /*v[268:269]*/, v[122:123] op_sel_hi:[1,0,1]
	v_mov_b32_e32 v122, v127
	s_set_vgpr_msb 1                        ;  msbs: dst=0 src0=1 src1=0 src2=0
	v_mov_b32_e32 v124, v15 /*v271*/
	s_set_vgpr_msb 0                        ;  msbs: dst=0 src0=0 src1=0 src2=0
	v_dual_mov_b32 v137, v123 :: v_dual_mov_b32 v123, v126
	s_delay_alu instid0(VALU_DEP_1) | instskip(NEXT) | instid1(VALU_DEP_2)
	v_pk_add_f32 v[120:121], v[120:121], v[136:137]
	v_pk_mul_f32 v[122:123], v[122:123], v[124:125] op_sel_hi:[1,0]
	s_set_vgpr_msb 4                        ;  msbs: dst=0 src0=0 src1=1 src2=0
	s_delay_alu instid0(VALU_DEP_1) | instskip(SKIP_1) | instid1(VALU_DEP_1)
	v_pk_fma_f32 v[124:125], v[126:127], v[14:15] /*v[270:271]*/, v[122:123] neg_lo:[0,0,1] neg_hi:[0,0,1]
	v_pk_fma_f32 v[122:123], v[126:127], v[14:15] /*v[270:271]*/, v[122:123] op_sel_hi:[1,0,1]
	v_mov_b32_e32 v125, v123
	s_wait_loadcnt_dscnt 0x101
	v_pk_mul_f32 v[122:123], v[128:129], v[16:17] /*v[272:273]*/ op_sel:[1,1] op_sel_hi:[0,1]
	s_set_vgpr_msb 0                        ;  msbs: dst=0 src0=0 src1=0 src2=0
	s_delay_alu instid0(VALU_DEP_2) | instskip(SKIP_1) | instid1(VALU_DEP_2)
	v_pk_add_f32 v[120:121], v[120:121], v[124:125]
	s_set_vgpr_msb 4                        ;  msbs: dst=0 src0=0 src1=1 src2=0
	v_pk_fma_f32 v[124:125], v[128:129], v[16:17] /*v[272:273]*/, v[122:123] neg_lo:[0,0,1] neg_hi:[0,0,1]
	v_pk_fma_f32 v[122:123], v[128:129], v[16:17] /*v[272:273]*/, v[122:123] op_sel_hi:[1,0,1]
	s_delay_alu instid0(VALU_DEP_1) | instskip(SKIP_2) | instid1(VALU_DEP_2)
	v_dual_mov_b32 v122, v131 :: v_dual_mov_b32 v125, v123
	v_mov_b32_e32 v123, v130
	s_set_vgpr_msb 0                        ;  msbs: dst=0 src0=0 src1=0 src2=0
	v_pk_add_f32 v[120:121], v[120:121], v[124:125]
	s_set_vgpr_msb 1                        ;  msbs: dst=0 src0=1 src1=0 src2=0
	v_mov_b32_e32 v124, v19 /*v275*/
	s_set_vgpr_msb 0                        ;  msbs: dst=0 src0=0 src1=0 src2=0
	s_delay_alu instid0(VALU_DEP_1) | instskip(SKIP_1) | instid1(VALU_DEP_1)
	v_pk_mul_f32 v[122:123], v[122:123], v[124:125] op_sel_hi:[1,0]
	s_set_vgpr_msb 4                        ;  msbs: dst=0 src0=0 src1=1 src2=0
	v_pk_fma_f32 v[124:125], v[130:131], v[18:19] /*v[274:275]*/, v[122:123] neg_lo:[0,0,1] neg_hi:[0,0,1]
	v_pk_fma_f32 v[122:123], v[130:131], v[18:19] /*v[274:275]*/, v[122:123] op_sel_hi:[1,0,1]
	s_delay_alu instid0(VALU_DEP_1) | instskip(SKIP_3) | instid1(VALU_DEP_2)
	v_mov_b32_e32 v125, v123
	s_wait_loadcnt_dscnt 0x0
	v_pk_mul_f32 v[122:123], v[132:133], v[20:21] /*v[276:277]*/ op_sel:[1,1] op_sel_hi:[0,1]
	s_set_vgpr_msb 0                        ;  msbs: dst=0 src0=0 src1=0 src2=0
	v_pk_add_f32 v[120:121], v[120:121], v[124:125]
	s_set_vgpr_msb 4                        ;  msbs: dst=0 src0=0 src1=1 src2=0
	s_delay_alu instid0(VALU_DEP_2) | instskip(SKIP_1) | instid1(VALU_DEP_1)
	v_pk_fma_f32 v[124:125], v[132:133], v[20:21] /*v[276:277]*/, v[122:123] neg_lo:[0,0,1] neg_hi:[0,0,1]
	v_pk_fma_f32 v[122:123], v[132:133], v[20:21] /*v[276:277]*/, v[122:123] op_sel_hi:[1,0,1]
	v_dual_mov_b32 v122, v135 :: v_dual_mov_b32 v125, v123
	v_mov_b32_e32 v123, v134
	s_set_vgpr_msb 0                        ;  msbs: dst=0 src0=0 src1=0 src2=0
	s_delay_alu instid0(VALU_DEP_2) | instskip(SKIP_3) | instid1(VALU_DEP_1)
	v_pk_add_f32 v[120:121], v[120:121], v[124:125]
	s_set_vgpr_msb 1                        ;  msbs: dst=0 src0=1 src1=0 src2=0
	v_mov_b32_e32 v124, v23 /*v279*/
	s_set_vgpr_msb 0                        ;  msbs: dst=0 src0=0 src1=0 src2=0
	v_pk_mul_f32 v[122:123], v[122:123], v[124:125] op_sel_hi:[1,0]
	s_set_vgpr_msb 4                        ;  msbs: dst=0 src0=0 src1=1 src2=0
	s_delay_alu instid0(VALU_DEP_1) | instskip(SKIP_1) | instid1(VALU_DEP_1)
	v_pk_fma_f32 v[124:125], v[134:135], v[22:23] /*v[278:279]*/, v[122:123] neg_lo:[0,0,1] neg_hi:[0,0,1]
	v_pk_fma_f32 v[122:123], v[134:135], v[22:23] /*v[278:279]*/, v[122:123] op_sel_hi:[1,0,1]
	v_mov_b32_e32 v125, v123
	scratch_load_b64 v[122:123], off, off offset:112
	s_set_vgpr_msb 0                        ;  msbs: dst=0 src0=0 src1=0 src2=0
	v_pk_add_f32 v[120:121], v[120:121], v[124:125]
	s_wait_loadcnt 0x0
	s_delay_alu instid0(VALU_DEP_1)
	v_pk_add_f32 v[120:121], v[122:123], v[120:121] neg_lo:[0,1] neg_hi:[0,1]
	scratch_store_b64 off, v[120:121], off offset:112
	s_wait_xcnt 0x0
	v_cmpx_lt_u32_e32 13, v0
	s_cbranch_execz .LBB122_341
; %bb.340:
	scratch_load_b64 v[120:121], off, off offset:104
	v_mov_b64_e32 v[122:123], 0
	scratch_store_b64 off, v[122:123], off offset:104
	s_wait_loadcnt 0x0
	ds_store_b64 v1, v[120:121]
.LBB122_341:
	s_wait_xcnt 0x0
	s_or_b32 exec_lo, exec_lo, s0
	v_mov_b32_e32 v7, 0
	s_wait_storecnt_dscnt 0x0
	s_barrier_signal -1
	s_barrier_wait -1
	ds_load_b128 v[120:123], v7 offset:592
	ds_load_b128 v[124:127], v7 offset:608
	;; [unrolled: 1-line block ×4, first 2 shown]
	s_clause 0x13
	scratch_load_b128 v[136:139], off, off offset:112
	scratch_load_b128 v[140:143], off, off offset:128
	;; [unrolled: 1-line block ×17, first 2 shown]
	s_set_vgpr_msb 64                       ;  msbs: dst=1 src0=0 src1=0 src2=0
	scratch_load_b128 v[4:7] /*v[260:263]*/, off, off offset:384
	scratch_load_b128 v[12:15] /*v[268:271]*/, off, off offset:400
	s_mov_b32 s0, exec_lo
	s_wait_loadcnt_dscnt 0x1203
	s_set_vgpr_msb 0                        ;  msbs: dst=0 src0=0 src1=0 src2=0
	v_mul_f32_e32 v9, v120, v137
	ds_load_b128 v[152:155], v7 offset:656
	ds_load_b128 v[160:163], v7 offset:672
	ds_load_b128 v[168:171], v7 offset:688
	ds_load_b128 v[176:179], v7 offset:704
	v_dual_fmac_f32 v9, v121, v136 :: v_dual_mul_f32 v11, v122, v139
	ds_load_b128 v[184:187], v7 offset:720
	ds_load_b128 v[192:195], v7 offset:736
	;; [unrolled: 1-line block ×4, first 2 shown]
	v_dual_add_f32 v9, 0, v9 :: v_dual_fmac_f32 v11, v123, v138
	ds_load_b128 v[216:219], v7 offset:784
	ds_load_b128 v[224:227], v7 offset:800
	;; [unrolled: 1-line block ×4, first 2 shown]
	s_wait_loadcnt_dscnt 0x110e
	v_dual_add_f32 v9, v9, v11 :: v_dual_mul_f32 v11, v124, v141
	ds_load_b128 v[248:251], v7 offset:848
	s_set_vgpr_msb 64                       ;  msbs: dst=1 src0=0 src1=0 src2=0
	ds_load_b128 v[0:3] /*v[256:259]*/, v7 offset:864
	ds_load_b128 v[8:11] /*v[264:267]*/, v7 offset:880
	s_clause 0x3
	scratch_load_b128 v[16:19] /*v[272:275]*/, off, off offset:416
	scratch_load_b128 v[20:23] /*v[276:279]*/, off, off offset:432
	;; [unrolled: 1-line block ×3, first 2 shown]
	scratch_load_b64 v[34:35] /*v[290:291]*/, off, off offset:464
	s_set_vgpr_msb 0                        ;  msbs: dst=0 src0=0 src1=0 src2=0
	v_fmac_f32_e32 v11, v125, v140
	s_delay_alu instid0(VALU_DEP_1) | instskip(SKIP_1) | instid1(VALU_DEP_1)
	v_add_f32_e32 v9, v9, v11
	v_mul_f32_e32 v11, v126, v143
	v_fmac_f32_e32 v11, v127, v142
	s_wait_loadcnt_dscnt 0x1410
	s_delay_alu instid0(VALU_DEP_1)
	v_dual_add_f32 v9, v9, v11 :: v_dual_mul_f32 v11, v128, v145
	s_wait_loadcnt_dscnt 0x400
	s_set_vgpr_msb 0x45                     ;  msbs: dst=1 src0=1 src1=1 src2=0
	v_dual_mul_f32 v31 /*v287*/, v2 /*v258*/, v7 /*v263*/ :: v_dual_mul_f32 v33 /*v289*/, v8 /*v264*/, v13 /*v269*/
	s_set_vgpr_msb 0                        ;  msbs: dst=0 src0=0 src1=0 src2=0
	v_fmac_f32_e32 v11, v129, v144
	s_set_vgpr_msb 0x45                     ;  msbs: dst=1 src0=1 src1=1 src2=0
	s_delay_alu instid0(VALU_DEP_2) | instskip(SKIP_1) | instid1(VALU_DEP_2)
	v_dual_fmac_f32 v31 /*v287*/, v3 /*v259*/, v6 /*v262*/ :: v_dual_fmac_f32 v33 /*v289*/, v9 /*v265*/, v12 /*v268*/
	s_set_vgpr_msb 0                        ;  msbs: dst=0 src0=0 src1=0 src2=0
	v_add_f32_e32 v9, v9, v11
	v_mul_f32_e32 v11, v130, v147
	s_delay_alu instid0(VALU_DEP_1) | instskip(NEXT) | instid1(VALU_DEP_1)
	v_fmac_f32_e32 v11, v131, v146
	v_dual_add_f32 v9, v9, v11 :: v_dual_mul_f32 v11, v132, v149
	s_delay_alu instid0(VALU_DEP_1) | instskip(NEXT) | instid1(VALU_DEP_1)
	v_fmac_f32_e32 v11, v133, v148
	v_add_f32_e32 v9, v9, v11
	v_mul_f32_e32 v11, v134, v151
	s_delay_alu instid0(VALU_DEP_1) | instskip(NEXT) | instid1(VALU_DEP_1)
	v_fmac_f32_e32 v11, v135, v150
	v_dual_add_f32 v9, v9, v11 :: v_dual_mul_f32 v11, v152, v157
	s_delay_alu instid0(VALU_DEP_1) | instskip(NEXT) | instid1(VALU_DEP_1)
	v_fmac_f32_e32 v11, v153, v156
	v_add_f32_e32 v9, v9, v11
	v_mul_f32_e32 v11, v154, v159
	s_delay_alu instid0(VALU_DEP_1) | instskip(NEXT) | instid1(VALU_DEP_1)
	v_fmac_f32_e32 v11, v155, v158
	v_dual_add_f32 v9, v9, v11 :: v_dual_mul_f32 v11, v160, v165
	s_delay_alu instid0(VALU_DEP_1) | instskip(NEXT) | instid1(VALU_DEP_1)
	v_fmac_f32_e32 v11, v161, v164
	v_add_f32_e32 v9, v9, v11
	v_mul_f32_e32 v11, v162, v167
	s_delay_alu instid0(VALU_DEP_1) | instskip(NEXT) | instid1(VALU_DEP_1)
	v_fmac_f32_e32 v11, v163, v166
	v_dual_add_f32 v9, v9, v11 :: v_dual_mul_f32 v11, v168, v173
	s_delay_alu instid0(VALU_DEP_1) | instskip(NEXT) | instid1(VALU_DEP_1)
	v_fmac_f32_e32 v11, v169, v172
	v_add_f32_e32 v9, v9, v11
	v_mul_f32_e32 v11, v170, v175
	s_delay_alu instid0(VALU_DEP_1) | instskip(NEXT) | instid1(VALU_DEP_1)
	v_fmac_f32_e32 v11, v171, v174
	v_dual_add_f32 v9, v9, v11 :: v_dual_mul_f32 v11, v176, v181
	s_delay_alu instid0(VALU_DEP_1) | instskip(NEXT) | instid1(VALU_DEP_1)
	v_fmac_f32_e32 v11, v177, v180
	v_add_f32_e32 v9, v9, v11
	v_mul_f32_e32 v11, v178, v183
	s_delay_alu instid0(VALU_DEP_1) | instskip(NEXT) | instid1(VALU_DEP_1)
	v_fmac_f32_e32 v11, v179, v182
	v_dual_add_f32 v9, v9, v11 :: v_dual_mul_f32 v11, v184, v189
	s_delay_alu instid0(VALU_DEP_1) | instskip(NEXT) | instid1(VALU_DEP_1)
	v_fmac_f32_e32 v11, v185, v188
	v_add_f32_e32 v9, v9, v11
	v_mul_f32_e32 v11, v186, v191
	s_delay_alu instid0(VALU_DEP_1) | instskip(NEXT) | instid1(VALU_DEP_1)
	v_fmac_f32_e32 v11, v187, v190
	v_dual_add_f32 v9, v9, v11 :: v_dual_mul_f32 v11, v192, v197
	s_delay_alu instid0(VALU_DEP_1) | instskip(NEXT) | instid1(VALU_DEP_1)
	v_fmac_f32_e32 v11, v193, v196
	v_add_f32_e32 v9, v9, v11
	v_mul_f32_e32 v11, v194, v199
	s_delay_alu instid0(VALU_DEP_1) | instskip(NEXT) | instid1(VALU_DEP_1)
	v_fmac_f32_e32 v11, v195, v198
	v_dual_add_f32 v9, v9, v11 :: v_dual_mul_f32 v11, v200, v205
	s_delay_alu instid0(VALU_DEP_1) | instskip(NEXT) | instid1(VALU_DEP_1)
	v_fmac_f32_e32 v11, v201, v204
	v_add_f32_e32 v9, v9, v11
	v_mul_f32_e32 v11, v202, v207
	s_delay_alu instid0(VALU_DEP_1) | instskip(NEXT) | instid1(VALU_DEP_1)
	v_fmac_f32_e32 v11, v203, v206
	v_dual_add_f32 v9, v9, v11 :: v_dual_mul_f32 v11, v208, v213
	s_delay_alu instid0(VALU_DEP_1) | instskip(NEXT) | instid1(VALU_DEP_1)
	v_fmac_f32_e32 v11, v209, v212
	v_add_f32_e32 v9, v9, v11
	v_mul_f32_e32 v11, v210, v215
	s_delay_alu instid0(VALU_DEP_1) | instskip(NEXT) | instid1(VALU_DEP_1)
	v_fmac_f32_e32 v11, v211, v214
	v_dual_add_f32 v9, v9, v11 :: v_dual_mul_f32 v11, v216, v221
	s_delay_alu instid0(VALU_DEP_1) | instskip(NEXT) | instid1(VALU_DEP_1)
	v_fmac_f32_e32 v11, v217, v220
	v_add_f32_e32 v9, v9, v11
	v_mul_f32_e32 v11, v218, v223
	s_delay_alu instid0(VALU_DEP_1) | instskip(NEXT) | instid1(VALU_DEP_1)
	v_fmac_f32_e32 v11, v219, v222
	v_dual_add_f32 v9, v9, v11 :: v_dual_mul_f32 v11, v224, v229
	s_delay_alu instid0(VALU_DEP_1) | instskip(NEXT) | instid1(VALU_DEP_1)
	v_fmac_f32_e32 v11, v225, v228
	v_add_f32_e32 v9, v9, v11
	v_mul_f32_e32 v11, v226, v231
	s_delay_alu instid0(VALU_DEP_1) | instskip(NEXT) | instid1(VALU_DEP_1)
	v_fmac_f32_e32 v11, v227, v230
	v_dual_add_f32 v9, v9, v11 :: v_dual_mul_f32 v11, v232, v237
	s_delay_alu instid0(VALU_DEP_1) | instskip(NEXT) | instid1(VALU_DEP_1)
	v_fmac_f32_e32 v11, v233, v236
	v_add_f32_e32 v9, v9, v11
	v_mul_f32_e32 v11, v234, v239
	s_delay_alu instid0(VALU_DEP_1) | instskip(NEXT) | instid1(VALU_DEP_1)
	v_fmac_f32_e32 v11, v235, v238
	v_dual_add_f32 v9, v9, v11 :: v_dual_mul_f32 v11, v240, v245
	s_delay_alu instid0(VALU_DEP_1) | instskip(NEXT) | instid1(VALU_DEP_1)
	v_fmac_f32_e32 v11, v241, v244
	v_add_f32_e32 v9, v9, v11
	v_mul_f32_e32 v11, v242, v247
	s_delay_alu instid0(VALU_DEP_1) | instskip(NEXT) | instid1(VALU_DEP_1)
	v_fmac_f32_e32 v11, v243, v246
	v_dual_add_f32 v9, v9, v11 :: v_dual_mul_f32 v11, v248, v253
	s_delay_alu instid0(VALU_DEP_1) | instskip(NEXT) | instid1(VALU_DEP_1)
	v_fmac_f32_e32 v11, v249, v252
	v_add_f32_e32 v9, v9, v11
	v_mul_f32_e32 v11, v250, v255
	s_delay_alu instid0(VALU_DEP_1) | instskip(NEXT) | instid1(VALU_DEP_1)
	v_fmac_f32_e32 v11, v251, v254
	v_add_f32_e32 v9, v9, v11
	s_set_vgpr_msb 5                        ;  msbs: dst=0 src0=1 src1=1 src2=0
	v_mul_f32_e32 v11, v0 /*v256*/, v5 /*v261*/
	s_delay_alu instid0(VALU_DEP_1) | instskip(SKIP_1) | instid1(VALU_DEP_1)
	v_fmac_f32_e32 v11, v1 /*v257*/, v4 /*v260*/
	s_set_vgpr_msb 64                       ;  msbs: dst=1 src0=0 src1=0 src2=0
	v_add_f32_e32 v29 /*v285*/, v9, v11
	s_set_vgpr_msb 0                        ;  msbs: dst=0 src0=0 src1=0 src2=0
	v_dual_mul_f32 v9, v121, v137 :: v_dual_mul_f32 v11, v123, v139
	s_set_vgpr_msb 1                        ;  msbs: dst=0 src0=1 src1=0 src2=0
	v_mov_b32_e32 v137, v10 /*v266*/
	s_set_vgpr_msb 0                        ;  msbs: dst=0 src0=0 src1=0 src2=0
	s_delay_alu instid0(VALU_DEP_2) | instskip(SKIP_2) | instid1(VALU_DEP_2)
	v_dual_fma_f32 v9, v120, v136, -v9 :: v_dual_fma_f32 v11, v122, v138, -v11
	s_set_vgpr_msb 1                        ;  msbs: dst=0 src0=1 src1=0 src2=0
	v_dual_mov_b32 v136, v11 /*v267*/ :: v_dual_mov_b32 v138, v15 /*v271*/
	v_add_f32_e32 v9, 0, v9
	s_set_vgpr_msb 0                        ;  msbs: dst=0 src0=0 src1=0 src2=0
	s_delay_alu instid0(VALU_DEP_2) | instskip(NEXT) | instid1(VALU_DEP_2)
	v_pk_mul_f32 v[136:137], v[136:137], v[138:139] op_sel_hi:[1,0]
	v_add_f32_e32 v9, v9, v11
	v_mul_f32_e32 v11, v125, v141
	s_set_vgpr_msb 5                        ;  msbs: dst=0 src0=1 src1=1 src2=0
	s_delay_alu instid0(VALU_DEP_3) | instskip(SKIP_2) | instid1(VALU_DEP_1)
	v_pk_fma_f32 v[138:139], v[10:11] /*v[266:267]*/, v[14:15] /*v[270:271]*/, v[136:137] neg_lo:[0,0,1] neg_hi:[0,0,1]
	v_pk_fma_f32 v[136:137], v[10:11] /*v[266:267]*/, v[14:15] /*v[270:271]*/, v[136:137] op_sel_hi:[1,0,1]
	s_set_vgpr_msb 0                        ;  msbs: dst=0 src0=0 src1=0 src2=0
	v_dual_fma_f32 v11, v124, v140, -v11 :: v_dual_mov_b32 v139, v137
	s_delay_alu instid0(VALU_DEP_1) | instskip(SKIP_1) | instid1(VALU_DEP_1)
	v_add_f32_e32 v9, v9, v11
	v_mul_f32_e32 v11, v127, v143
	v_fma_f32 v11, v126, v142, -v11
	s_delay_alu instid0(VALU_DEP_1) | instskip(SKIP_1) | instid1(VALU_DEP_1)
	v_add_f32_e32 v9, v9, v11
	v_mul_f32_e32 v11, v129, v145
	v_fma_f32 v11, v128, v144, -v11
	;; [unrolled: 4-line block ×4, first 2 shown]
	ds_load_b128 v[120:123], v7 offset:896
	ds_load_b128 v[124:127], v7 offset:912
	;; [unrolled: 1-line block ×3, first 2 shown]
	ds_load_b64 v[132:133], v7 offset:944
	v_add_f32_e32 v9, v9, v11
	v_mul_f32_e32 v11, v135, v151
	s_delay_alu instid0(VALU_DEP_1) | instskip(NEXT) | instid1(VALU_DEP_1)
	v_fma_f32 v11, v134, v150, -v11
	v_add_f32_e32 v9, v9, v11
	v_mul_f32_e32 v11, v153, v157
	s_wait_loadcnt_dscnt 0x303
	s_set_vgpr_msb 4                        ;  msbs: dst=0 src0=0 src1=1 src2=0
	v_pk_mul_f32 v[136:137], v[120:121], v[16:17] /*v[272:273]*/ op_sel:[1,1] op_sel_hi:[0,1]
	s_set_vgpr_msb 0                        ;  msbs: dst=0 src0=0 src1=0 src2=0
	v_fma_f32 v11, v152, v156, -v11
	s_delay_alu instid0(VALU_DEP_1) | instskip(SKIP_1) | instid1(VALU_DEP_1)
	v_add_f32_e32 v9, v9, v11
	v_mul_f32_e32 v11, v155, v159
	v_fma_f32 v11, v154, v158, -v11
	s_delay_alu instid0(VALU_DEP_1) | instskip(SKIP_1) | instid1(VALU_DEP_1)
	v_add_f32_e32 v9, v9, v11
	v_mul_f32_e32 v11, v161, v165
	;; [unrolled: 4-line block ×25, first 2 shown]
	v_fma_f32 v11, v250, v254, -v11
	s_delay_alu instid0(VALU_DEP_1) | instskip(SKIP_2) | instid1(VALU_DEP_1)
	v_add_f32_e32 v9, v9, v11
	s_set_vgpr_msb 5                        ;  msbs: dst=0 src0=1 src1=1 src2=0
	v_mul_f32_e32 v11, v1 /*v257*/, v5 /*v261*/
	v_fma_f32 v11, v0 /*v256*/, v4 /*v260*/, -v11
	s_set_vgpr_msb 64                       ;  msbs: dst=1 src0=0 src1=0 src2=0
	s_delay_alu instid0(VALU_DEP_1) | instskip(SKIP_3) | instid1(VALU_DEP_1)
	v_add_f32_e32 v28 /*v284*/, v9, v11
	s_set_vgpr_msb 5                        ;  msbs: dst=0 src0=1 src1=1 src2=0
	v_mul_f32_e32 v9, v3 /*v259*/, v7 /*v263*/
	s_set_vgpr_msb 0x45                     ;  msbs: dst=1 src0=1 src1=1 src2=0
	v_fma_f32 v30 /*v286*/, v2 /*v258*/, v6 /*v262*/, -v9
	s_set_vgpr_msb 5                        ;  msbs: dst=0 src0=1 src1=1 src2=0
	v_mul_f32_e32 v9, v9 /*v265*/, v13 /*v269*/
	s_set_vgpr_msb 0x45                     ;  msbs: dst=1 src0=1 src1=1 src2=0
	s_delay_alu instid0(VALU_DEP_1) | instskip(SKIP_3) | instid1(VALU_DEP_1)
	v_fma_f32 v32 /*v288*/, v8 /*v264*/, v12 /*v268*/, -v9
	s_set_vgpr_msb 5                        ;  msbs: dst=0 src0=1 src1=1 src2=0
	v_pk_add_f32 v[134:135], v[28:29] /*v[284:285]*/, v[30:31] /*v[286:287]*/
	s_set_vgpr_msb 4                        ;  msbs: dst=0 src0=0 src1=1 src2=0
	v_pk_add_f32 v[134:135], v[134:135], v[32:33] /*v[288:289]*/
	s_set_vgpr_msb 0                        ;  msbs: dst=0 src0=0 src1=0 src2=0
	s_delay_alu instid0(VALU_DEP_1)
	v_pk_add_f32 v[134:135], v[134:135], v[138:139]
	s_set_vgpr_msb 4                        ;  msbs: dst=0 src0=0 src1=1 src2=0
	v_pk_fma_f32 v[138:139], v[120:121], v[16:17] /*v[272:273]*/, v[136:137] neg_lo:[0,0,1] neg_hi:[0,0,1]
	v_pk_fma_f32 v[120:121], v[120:121], v[16:17] /*v[272:273]*/, v[136:137] op_sel_hi:[1,0,1]
	s_set_vgpr_msb 1                        ;  msbs: dst=0 src0=1 src1=0 src2=0
	v_mov_b32_e32 v136, v19 /*v275*/
	s_set_vgpr_msb 0                        ;  msbs: dst=0 src0=0 src1=0 src2=0
	s_delay_alu instid0(VALU_DEP_2) | instskip(NEXT) | instid1(VALU_DEP_1)
	v_mov_b32_e32 v139, v121
	v_pk_add_f32 v[120:121], v[134:135], v[138:139]
	v_dual_mov_b32 v134, v123 :: v_dual_mov_b32 v135, v122
	s_delay_alu instid0(VALU_DEP_1) | instskip(SKIP_1) | instid1(VALU_DEP_1)
	v_pk_mul_f32 v[134:135], v[134:135], v[136:137] op_sel_hi:[1,0]
	s_set_vgpr_msb 4                        ;  msbs: dst=0 src0=0 src1=1 src2=0
	v_pk_fma_f32 v[136:137], v[122:123], v[18:19] /*v[274:275]*/, v[134:135] neg_lo:[0,0,1] neg_hi:[0,0,1]
	v_pk_fma_f32 v[122:123], v[122:123], v[18:19] /*v[274:275]*/, v[134:135] op_sel_hi:[1,0,1]
	s_delay_alu instid0(VALU_DEP_1) | instskip(SKIP_3) | instid1(VALU_DEP_2)
	v_mov_b32_e32 v137, v123
	s_wait_loadcnt_dscnt 0x202
	v_pk_mul_f32 v[122:123], v[124:125], v[20:21] /*v[276:277]*/ op_sel:[1,1] op_sel_hi:[0,1]
	s_set_vgpr_msb 0                        ;  msbs: dst=0 src0=0 src1=0 src2=0
	v_pk_add_f32 v[120:121], v[120:121], v[136:137]
	s_set_vgpr_msb 4                        ;  msbs: dst=0 src0=0 src1=1 src2=0
	s_delay_alu instid0(VALU_DEP_2)
	v_pk_fma_f32 v[134:135], v[124:125], v[20:21] /*v[276:277]*/, v[122:123] neg_lo:[0,0,1] neg_hi:[0,0,1]
	v_pk_fma_f32 v[122:123], v[124:125], v[20:21] /*v[276:277]*/, v[122:123] op_sel_hi:[1,0,1]
	v_mov_b32_e32 v122, v127
	s_set_vgpr_msb 1                        ;  msbs: dst=0 src0=1 src1=0 src2=0
	v_mov_b32_e32 v124, v23 /*v279*/
	s_set_vgpr_msb 0                        ;  msbs: dst=0 src0=0 src1=0 src2=0
	v_dual_mov_b32 v135, v123 :: v_dual_mov_b32 v123, v126
	s_delay_alu instid0(VALU_DEP_1) | instskip(NEXT) | instid1(VALU_DEP_2)
	v_pk_add_f32 v[120:121], v[120:121], v[134:135]
	v_pk_mul_f32 v[122:123], v[122:123], v[124:125] op_sel_hi:[1,0]
	s_set_vgpr_msb 4                        ;  msbs: dst=0 src0=0 src1=1 src2=0
	s_delay_alu instid0(VALU_DEP_1) | instskip(SKIP_1) | instid1(VALU_DEP_1)
	v_pk_fma_f32 v[124:125], v[126:127], v[22:23] /*v[278:279]*/, v[122:123] neg_lo:[0,0,1] neg_hi:[0,0,1]
	v_pk_fma_f32 v[122:123], v[126:127], v[22:23] /*v[278:279]*/, v[122:123] op_sel_hi:[1,0,1]
	v_mov_b32_e32 v125, v123
	s_wait_loadcnt_dscnt 0x101
	v_pk_mul_f32 v[122:123], v[128:129], v[24:25] /*v[280:281]*/ op_sel:[1,1] op_sel_hi:[0,1]
	s_set_vgpr_msb 0                        ;  msbs: dst=0 src0=0 src1=0 src2=0
	s_delay_alu instid0(VALU_DEP_2) | instskip(SKIP_1) | instid1(VALU_DEP_2)
	v_pk_add_f32 v[120:121], v[120:121], v[124:125]
	s_set_vgpr_msb 4                        ;  msbs: dst=0 src0=0 src1=1 src2=0
	v_pk_fma_f32 v[124:125], v[128:129], v[24:25] /*v[280:281]*/, v[122:123] neg_lo:[0,0,1] neg_hi:[0,0,1]
	v_pk_fma_f32 v[122:123], v[128:129], v[24:25] /*v[280:281]*/, v[122:123] op_sel_hi:[1,0,1]
	s_delay_alu instid0(VALU_DEP_1) | instskip(SKIP_2) | instid1(VALU_DEP_2)
	v_dual_mov_b32 v122, v131 :: v_dual_mov_b32 v125, v123
	v_mov_b32_e32 v123, v130
	s_set_vgpr_msb 0                        ;  msbs: dst=0 src0=0 src1=0 src2=0
	v_pk_add_f32 v[120:121], v[120:121], v[124:125]
	s_set_vgpr_msb 1                        ;  msbs: dst=0 src0=1 src1=0 src2=0
	v_mov_b32_e32 v124, v27 /*v283*/
	s_set_vgpr_msb 0                        ;  msbs: dst=0 src0=0 src1=0 src2=0
	s_delay_alu instid0(VALU_DEP_1) | instskip(SKIP_1) | instid1(VALU_DEP_1)
	v_pk_mul_f32 v[122:123], v[122:123], v[124:125] op_sel_hi:[1,0]
	s_set_vgpr_msb 4                        ;  msbs: dst=0 src0=0 src1=1 src2=0
	v_pk_fma_f32 v[124:125], v[130:131], v[26:27] /*v[282:283]*/, v[122:123] neg_lo:[0,0,1] neg_hi:[0,0,1]
	v_pk_fma_f32 v[122:123], v[130:131], v[26:27] /*v[282:283]*/, v[122:123] op_sel_hi:[1,0,1]
	s_delay_alu instid0(VALU_DEP_1) | instskip(SKIP_3) | instid1(VALU_DEP_2)
	v_mov_b32_e32 v125, v123
	s_wait_loadcnt_dscnt 0x0
	v_pk_mul_f32 v[122:123], v[132:133], v[34:35] /*v[290:291]*/ op_sel:[1,1] op_sel_hi:[0,1]
	s_set_vgpr_msb 0                        ;  msbs: dst=0 src0=0 src1=0 src2=0
	v_pk_add_f32 v[120:121], v[120:121], v[124:125]
	s_set_vgpr_msb 4                        ;  msbs: dst=0 src0=0 src1=1 src2=0
	s_delay_alu instid0(VALU_DEP_2) | instskip(SKIP_1) | instid1(VALU_DEP_1)
	v_pk_fma_f32 v[124:125], v[132:133], v[34:35] /*v[290:291]*/, v[122:123] neg_lo:[0,0,1] neg_hi:[0,0,1]
	v_pk_fma_f32 v[122:123], v[132:133], v[34:35] /*v[290:291]*/, v[122:123] op_sel_hi:[1,0,1]
	v_mov_b32_e32 v125, v123
	scratch_load_b64 v[122:123], off, off offset:104
	s_set_vgpr_msb 0                        ;  msbs: dst=0 src0=0 src1=0 src2=0
	v_pk_add_f32 v[120:121], v[120:121], v[124:125]
	s_wait_loadcnt 0x0
	s_delay_alu instid0(VALU_DEP_1)
	v_pk_add_f32 v[120:121], v[122:123], v[120:121] neg_lo:[0,1] neg_hi:[0,1]
	scratch_store_b64 off, v[120:121], off offset:104
	s_wait_xcnt 0x0
	v_cmpx_lt_u32_e32 12, v0
	s_cbranch_execz .LBB122_343
; %bb.342:
	scratch_load_b64 v[120:121], off, off offset:96
	v_mov_b64_e32 v[122:123], 0
	scratch_store_b64 off, v[122:123], off offset:96
	s_wait_loadcnt 0x0
	ds_store_b64 v1, v[120:121]
.LBB122_343:
	s_wait_xcnt 0x0
	s_or_b32 exec_lo, exec_lo, s0
	s_wait_storecnt_dscnt 0x0
	s_barrier_signal -1
	s_barrier_wait -1
	s_clause 0xf
	scratch_load_b128 v[124:127], off, off offset:104
	scratch_load_b128 v[132:135], off, off offset:120
	scratch_load_b128 v[140:143], off, off offset:136
	scratch_load_b128 v[148:151], off, off offset:152
	scratch_load_b128 v[156:159], off, off offset:168
	scratch_load_b128 v[164:167], off, off offset:184
	scratch_load_b128 v[172:175], off, off offset:200
	scratch_load_b128 v[180:183], off, off offset:216
	scratch_load_b128 v[188:191], off, off offset:232
	scratch_load_b128 v[196:199], off, off offset:248
	scratch_load_b128 v[204:207], off, off offset:264
	scratch_load_b128 v[212:215], off, off offset:280
	scratch_load_b128 v[220:223], off, off offset:296
	scratch_load_b128 v[228:231], off, off offset:312
	scratch_load_b128 v[236:239], off, off offset:328
	scratch_load_b128 v[244:247], off, off offset:344
	ds_load_2addr_b64 v[120:123], v7 offset0:73 offset1:74
	ds_load_2addr_b64 v[128:131], v7 offset0:75 offset1:76
	s_clause 0x2
	scratch_load_b128 v[252:255], off, off offset:360
	s_set_vgpr_msb 64                       ;  msbs: dst=1 src0=0 src1=0 src2=0
	scratch_load_b128 v[4:7] /*v[260:263]*/, off, off offset:376
	s_set_vgpr_msb 0                        ;  msbs: dst=0 src0=0 src1=0 src2=0
	ds_load_2addr_b64 v[136:139], v7 offset0:77 offset1:78
	ds_load_2addr_b64 v[144:147], v7 offset0:79 offset1:80
	;; [unrolled: 1-line block ×15, first 2 shown]
	s_set_vgpr_msb 64                       ;  msbs: dst=1 src0=0 src1=0 src2=0
	ds_load_2addr_b64 v[0:3] /*v[256:259]*/, v7 offset0:107 offset1:108
	ds_load_2addr_b64 v[8:11] /*v[264:267]*/, v7 offset0:109 offset1:110
	s_clause 0x4
	scratch_load_b128 v[12:15] /*v[268:271]*/, off, off offset:392
	scratch_load_b128 v[16:19] /*v[272:275]*/, off, off offset:408
	;; [unrolled: 1-line block ×5, first 2 shown]
	s_mov_b32 s0, exec_lo
	s_wait_loadcnt_dscnt 0x1612
	s_set_vgpr_msb 0                        ;  msbs: dst=0 src0=0 src1=0 src2=0
	v_dual_mul_f32 v9, v120, v125 :: v_dual_mul_f32 v11, v122, v127
	s_delay_alu instid0(VALU_DEP_1) | instskip(NEXT) | instid1(VALU_DEP_1)
	v_dual_fmac_f32 v9, v121, v124 :: v_dual_fmac_f32 v11, v123, v126
	v_add_f32_e32 v9, 0, v9
	s_wait_loadcnt_dscnt 0x1511
	s_delay_alu instid0(VALU_DEP_1) | instskip(NEXT) | instid1(VALU_DEP_1)
	v_dual_add_f32 v9, v9, v11 :: v_dual_mul_f32 v11, v128, v133
	v_fmac_f32_e32 v11, v129, v132
	s_delay_alu instid0(VALU_DEP_1) | instskip(SKIP_1) | instid1(VALU_DEP_1)
	v_add_f32_e32 v9, v9, v11
	v_mul_f32_e32 v11, v130, v135
	v_fmac_f32_e32 v11, v131, v134
	s_wait_loadcnt_dscnt 0x1410
	s_delay_alu instid0(VALU_DEP_1)
	v_dual_add_f32 v9, v9, v11 :: v_dual_mul_f32 v11, v136, v141
	s_wait_loadcnt_dscnt 0x400
	s_set_vgpr_msb 0x45                     ;  msbs: dst=1 src0=1 src1=1 src2=0
	v_dual_mul_f32 v35 /*v291*/, v8 /*v264*/, v13 /*v269*/ :: v_dual_mul_f32 v37 /*v293*/, v10 /*v266*/, v15 /*v271*/
	s_set_vgpr_msb 0                        ;  msbs: dst=0 src0=0 src1=0 src2=0
	v_fmac_f32_e32 v11, v137, v140
	s_set_vgpr_msb 0x45                     ;  msbs: dst=1 src0=1 src1=1 src2=0
	s_delay_alu instid0(VALU_DEP_2) | instskip(SKIP_1) | instid1(VALU_DEP_2)
	v_dual_fmac_f32 v35 /*v291*/, v9 /*v265*/, v12 /*v268*/ :: v_dual_fmac_f32 v37 /*v293*/, v11 /*v267*/, v14 /*v270*/
	s_set_vgpr_msb 0                        ;  msbs: dst=0 src0=0 src1=0 src2=0
	v_add_f32_e32 v9, v9, v11
	v_mul_f32_e32 v11, v138, v143
	s_delay_alu instid0(VALU_DEP_1) | instskip(NEXT) | instid1(VALU_DEP_1)
	v_fmac_f32_e32 v11, v139, v142
	v_dual_add_f32 v9, v9, v11 :: v_dual_mul_f32 v11, v144, v149
	s_delay_alu instid0(VALU_DEP_1) | instskip(NEXT) | instid1(VALU_DEP_1)
	v_fmac_f32_e32 v11, v145, v148
	v_add_f32_e32 v9, v9, v11
	v_mul_f32_e32 v11, v146, v151
	s_delay_alu instid0(VALU_DEP_1) | instskip(NEXT) | instid1(VALU_DEP_1)
	v_fmac_f32_e32 v11, v147, v150
	v_dual_add_f32 v9, v9, v11 :: v_dual_mul_f32 v11, v152, v157
	s_delay_alu instid0(VALU_DEP_1) | instskip(NEXT) | instid1(VALU_DEP_1)
	v_fmac_f32_e32 v11, v153, v156
	;; [unrolled: 7-line block ×14, first 2 shown]
	v_add_f32_e32 v9, v9, v11
	v_mul_f32_e32 v11, v250, v255
	s_delay_alu instid0(VALU_DEP_1) | instskip(NEXT) | instid1(VALU_DEP_1)
	v_fmac_f32_e32 v11, v251, v254
	v_add_f32_e32 v9, v9, v11
	s_set_vgpr_msb 5                        ;  msbs: dst=0 src0=1 src1=1 src2=0
	v_mul_f32_e32 v11, v0 /*v256*/, v5 /*v261*/
	s_delay_alu instid0(VALU_DEP_1) | instskip(SKIP_1) | instid1(VALU_DEP_1)
	v_fmac_f32_e32 v11, v1 /*v257*/, v4 /*v260*/
	s_set_vgpr_msb 0                        ;  msbs: dst=0 src0=0 src1=0 src2=0
	v_add_f32_e32 v9, v9, v11
	s_set_vgpr_msb 5                        ;  msbs: dst=0 src0=1 src1=1 src2=0
	v_mul_f32_e32 v11, v2 /*v258*/, v7 /*v263*/
	s_delay_alu instid0(VALU_DEP_1) | instskip(SKIP_1) | instid1(VALU_DEP_1)
	v_fmac_f32_e32 v11, v3 /*v259*/, v6 /*v262*/
	s_set_vgpr_msb 64                       ;  msbs: dst=1 src0=0 src1=0 src2=0
	v_add_f32_e32 v33 /*v289*/, v9, v11
	s_set_vgpr_msb 0                        ;  msbs: dst=0 src0=0 src1=0 src2=0
	v_dual_mul_f32 v9, v121, v125 :: v_dual_mul_f32 v11, v123, v127
	s_delay_alu instid0(VALU_DEP_1) | instskip(NEXT) | instid1(VALU_DEP_1)
	v_dual_fma_f32 v9, v120, v124, -v9 :: v_dual_fma_f32 v11, v122, v126, -v11
	v_add_f32_e32 v9, 0, v9
	s_delay_alu instid0(VALU_DEP_1) | instskip(SKIP_1) | instid1(VALU_DEP_1)
	v_add_f32_e32 v9, v9, v11
	v_mul_f32_e32 v11, v129, v133
	v_fma_f32 v11, v128, v132, -v11
	s_delay_alu instid0(VALU_DEP_1) | instskip(SKIP_1) | instid1(VALU_DEP_1)
	v_add_f32_e32 v9, v9, v11
	v_mul_f32_e32 v11, v131, v135
	v_fma_f32 v11, v130, v134, -v11
	ds_load_2addr_b64 v[120:123], v7 offset0:111 offset1:112
	ds_load_2addr_b64 v[124:127], v7 offset0:113 offset1:114
	;; [unrolled: 1-line block ×4, first 2 shown]
	v_add_f32_e32 v9, v9, v11
	v_mul_f32_e32 v11, v137, v141
	s_delay_alu instid0(VALU_DEP_1) | instskip(NEXT) | instid1(VALU_DEP_1)
	v_fma_f32 v11, v136, v140, -v11
	v_add_f32_e32 v9, v9, v11
	v_mul_f32_e32 v11, v139, v143
	s_delay_alu instid0(VALU_DEP_1)
	v_fma_f32 v11, v138, v142, -v11
	s_wait_loadcnt_dscnt 0x303
	s_set_vgpr_msb 4                        ;  msbs: dst=0 src0=0 src1=1 src2=0
	v_pk_mul_f32 v[138:139], v[120:121], v[16:17] /*v[272:273]*/ op_sel:[1,1] op_sel_hi:[0,1]
	s_set_vgpr_msb 0                        ;  msbs: dst=0 src0=0 src1=0 src2=0
	v_add_f32_e32 v9, v9, v11
	v_mul_f32_e32 v11, v145, v149
	s_set_vgpr_msb 4                        ;  msbs: dst=0 src0=0 src1=1 src2=0
	v_pk_fma_f32 v[140:141], v[120:121], v[16:17] /*v[272:273]*/, v[138:139] neg_lo:[0,0,1] neg_hi:[0,0,1]
	v_pk_fma_f32 v[120:121], v[120:121], v[16:17] /*v[272:273]*/, v[138:139] op_sel_hi:[1,0,1]
	s_set_vgpr_msb 1                        ;  msbs: dst=0 src0=1 src1=0 src2=0
	v_mov_b32_e32 v138, v19 /*v275*/
	s_set_vgpr_msb 0                        ;  msbs: dst=0 src0=0 src1=0 src2=0
	s_delay_alu instid0(VALU_DEP_2) | instskip(NEXT) | instid1(VALU_DEP_1)
	v_dual_fma_f32 v11, v144, v148, -v11 :: v_dual_mov_b32 v141, v121
	v_add_f32_e32 v9, v9, v11
	v_mul_f32_e32 v11, v147, v151
	s_delay_alu instid0(VALU_DEP_1) | instskip(NEXT) | instid1(VALU_DEP_1)
	v_fma_f32 v11, v146, v150, -v11
	v_add_f32_e32 v9, v9, v11
	v_mul_f32_e32 v11, v153, v157
	s_delay_alu instid0(VALU_DEP_1) | instskip(NEXT) | instid1(VALU_DEP_1)
	v_fma_f32 v11, v152, v156, -v11
	;; [unrolled: 4-line block ×27, first 2 shown]
	v_add_f32_e32 v9, v9, v11
	s_set_vgpr_msb 5                        ;  msbs: dst=0 src0=1 src1=1 src2=0
	v_mul_f32_e32 v11, v1 /*v257*/, v5 /*v261*/
	s_delay_alu instid0(VALU_DEP_1) | instskip(SKIP_1) | instid1(VALU_DEP_1)
	v_fma_f32 v11, v0 /*v256*/, v4 /*v260*/, -v11
	s_set_vgpr_msb 0                        ;  msbs: dst=0 src0=0 src1=0 src2=0
	v_add_f32_e32 v9, v9, v11
	s_set_vgpr_msb 5                        ;  msbs: dst=0 src0=1 src1=1 src2=0
	v_mul_f32_e32 v11, v3 /*v259*/, v7 /*v263*/
	s_delay_alu instid0(VALU_DEP_1) | instskip(SKIP_1) | instid1(VALU_DEP_1)
	v_fma_f32 v11, v2 /*v258*/, v6 /*v262*/, -v11
	s_set_vgpr_msb 64                       ;  msbs: dst=1 src0=0 src1=0 src2=0
	v_add_f32_e32 v32 /*v288*/, v9, v11
	s_set_vgpr_msb 5                        ;  msbs: dst=0 src0=1 src1=1 src2=0
	v_mul_f32_e32 v9, v9 /*v265*/, v13 /*v269*/
	s_set_vgpr_msb 0x45                     ;  msbs: dst=1 src0=1 src1=1 src2=0
	s_delay_alu instid0(VALU_DEP_1) | instskip(SKIP_3) | instid1(VALU_DEP_1)
	v_fma_f32 v34 /*v290*/, v8 /*v264*/, v12 /*v268*/, -v9
	s_set_vgpr_msb 5                        ;  msbs: dst=0 src0=1 src1=1 src2=0
	v_mul_f32_e32 v9, v11 /*v267*/, v15 /*v271*/
	s_set_vgpr_msb 0x45                     ;  msbs: dst=1 src0=1 src1=1 src2=0
	v_fma_f32 v36 /*v292*/, v10 /*v266*/, v14 /*v270*/, -v9
	s_set_vgpr_msb 5                        ;  msbs: dst=0 src0=1 src1=1 src2=0
	v_pk_add_f32 v[136:137], v[32:33] /*v[288:289]*/, v[34:35] /*v[290:291]*/
	s_set_vgpr_msb 4                        ;  msbs: dst=0 src0=0 src1=1 src2=0
	s_delay_alu instid0(VALU_DEP_1) | instskip(SKIP_1) | instid1(VALU_DEP_1)
	v_pk_add_f32 v[136:137], v[136:137], v[36:37] /*v[292:293]*/
	s_set_vgpr_msb 0                        ;  msbs: dst=0 src0=0 src1=0 src2=0
	v_pk_add_f32 v[120:121], v[136:137], v[140:141]
	v_dual_mov_b32 v136, v123 :: v_dual_mov_b32 v137, v122
	s_delay_alu instid0(VALU_DEP_1) | instskip(SKIP_1) | instid1(VALU_DEP_1)
	v_pk_mul_f32 v[136:137], v[136:137], v[138:139] op_sel_hi:[1,0]
	s_set_vgpr_msb 4                        ;  msbs: dst=0 src0=0 src1=1 src2=0
	v_pk_fma_f32 v[138:139], v[122:123], v[18:19] /*v[274:275]*/, v[136:137] neg_lo:[0,0,1] neg_hi:[0,0,1]
	v_pk_fma_f32 v[122:123], v[122:123], v[18:19] /*v[274:275]*/, v[136:137] op_sel_hi:[1,0,1]
	s_delay_alu instid0(VALU_DEP_1) | instskip(SKIP_3) | instid1(VALU_DEP_2)
	v_mov_b32_e32 v139, v123
	s_wait_loadcnt_dscnt 0x202
	v_pk_mul_f32 v[122:123], v[124:125], v[20:21] /*v[276:277]*/ op_sel:[1,1] op_sel_hi:[0,1]
	s_set_vgpr_msb 0                        ;  msbs: dst=0 src0=0 src1=0 src2=0
	v_pk_add_f32 v[120:121], v[120:121], v[138:139]
	s_set_vgpr_msb 4                        ;  msbs: dst=0 src0=0 src1=1 src2=0
	s_delay_alu instid0(VALU_DEP_2)
	v_pk_fma_f32 v[136:137], v[124:125], v[20:21] /*v[276:277]*/, v[122:123] neg_lo:[0,0,1] neg_hi:[0,0,1]
	v_pk_fma_f32 v[122:123], v[124:125], v[20:21] /*v[276:277]*/, v[122:123] op_sel_hi:[1,0,1]
	v_mov_b32_e32 v122, v127
	s_set_vgpr_msb 1                        ;  msbs: dst=0 src0=1 src1=0 src2=0
	v_mov_b32_e32 v124, v23 /*v279*/
	s_set_vgpr_msb 0                        ;  msbs: dst=0 src0=0 src1=0 src2=0
	v_dual_mov_b32 v137, v123 :: v_dual_mov_b32 v123, v126
	s_delay_alu instid0(VALU_DEP_1) | instskip(NEXT) | instid1(VALU_DEP_2)
	v_pk_add_f32 v[120:121], v[120:121], v[136:137]
	v_pk_mul_f32 v[122:123], v[122:123], v[124:125] op_sel_hi:[1,0]
	s_set_vgpr_msb 4                        ;  msbs: dst=0 src0=0 src1=1 src2=0
	s_delay_alu instid0(VALU_DEP_1) | instskip(SKIP_1) | instid1(VALU_DEP_1)
	v_pk_fma_f32 v[124:125], v[126:127], v[22:23] /*v[278:279]*/, v[122:123] neg_lo:[0,0,1] neg_hi:[0,0,1]
	v_pk_fma_f32 v[122:123], v[126:127], v[22:23] /*v[278:279]*/, v[122:123] op_sel_hi:[1,0,1]
	v_mov_b32_e32 v125, v123
	s_wait_loadcnt_dscnt 0x101
	v_pk_mul_f32 v[122:123], v[128:129], v[24:25] /*v[280:281]*/ op_sel:[1,1] op_sel_hi:[0,1]
	s_set_vgpr_msb 0                        ;  msbs: dst=0 src0=0 src1=0 src2=0
	s_delay_alu instid0(VALU_DEP_2) | instskip(SKIP_1) | instid1(VALU_DEP_2)
	v_pk_add_f32 v[120:121], v[120:121], v[124:125]
	s_set_vgpr_msb 4                        ;  msbs: dst=0 src0=0 src1=1 src2=0
	v_pk_fma_f32 v[124:125], v[128:129], v[24:25] /*v[280:281]*/, v[122:123] neg_lo:[0,0,1] neg_hi:[0,0,1]
	v_pk_fma_f32 v[122:123], v[128:129], v[24:25] /*v[280:281]*/, v[122:123] op_sel_hi:[1,0,1]
	s_delay_alu instid0(VALU_DEP_1) | instskip(SKIP_2) | instid1(VALU_DEP_2)
	v_dual_mov_b32 v122, v131 :: v_dual_mov_b32 v125, v123
	v_mov_b32_e32 v123, v130
	s_set_vgpr_msb 0                        ;  msbs: dst=0 src0=0 src1=0 src2=0
	v_pk_add_f32 v[120:121], v[120:121], v[124:125]
	s_set_vgpr_msb 1                        ;  msbs: dst=0 src0=1 src1=0 src2=0
	v_mov_b32_e32 v124, v27 /*v283*/
	s_set_vgpr_msb 0                        ;  msbs: dst=0 src0=0 src1=0 src2=0
	s_delay_alu instid0(VALU_DEP_1) | instskip(SKIP_1) | instid1(VALU_DEP_1)
	v_pk_mul_f32 v[122:123], v[122:123], v[124:125] op_sel_hi:[1,0]
	s_set_vgpr_msb 4                        ;  msbs: dst=0 src0=0 src1=1 src2=0
	v_pk_fma_f32 v[124:125], v[130:131], v[26:27] /*v[282:283]*/, v[122:123] neg_lo:[0,0,1] neg_hi:[0,0,1]
	v_pk_fma_f32 v[122:123], v[130:131], v[26:27] /*v[282:283]*/, v[122:123] op_sel_hi:[1,0,1]
	s_delay_alu instid0(VALU_DEP_1) | instskip(SKIP_3) | instid1(VALU_DEP_2)
	v_mov_b32_e32 v125, v123
	s_wait_loadcnt_dscnt 0x0
	v_pk_mul_f32 v[122:123], v[132:133], v[28:29] /*v[284:285]*/ op_sel:[1,1] op_sel_hi:[0,1]
	s_set_vgpr_msb 0                        ;  msbs: dst=0 src0=0 src1=0 src2=0
	v_pk_add_f32 v[120:121], v[120:121], v[124:125]
	s_set_vgpr_msb 4                        ;  msbs: dst=0 src0=0 src1=1 src2=0
	s_delay_alu instid0(VALU_DEP_2) | instskip(SKIP_1) | instid1(VALU_DEP_1)
	v_pk_fma_f32 v[124:125], v[132:133], v[28:29] /*v[284:285]*/, v[122:123] neg_lo:[0,0,1] neg_hi:[0,0,1]
	v_pk_fma_f32 v[122:123], v[132:133], v[28:29] /*v[284:285]*/, v[122:123] op_sel_hi:[1,0,1]
	v_dual_mov_b32 v122, v135 :: v_dual_mov_b32 v125, v123
	v_mov_b32_e32 v123, v134
	s_set_vgpr_msb 0                        ;  msbs: dst=0 src0=0 src1=0 src2=0
	s_delay_alu instid0(VALU_DEP_2) | instskip(SKIP_3) | instid1(VALU_DEP_1)
	v_pk_add_f32 v[120:121], v[120:121], v[124:125]
	s_set_vgpr_msb 1                        ;  msbs: dst=0 src0=1 src1=0 src2=0
	v_mov_b32_e32 v124, v31 /*v287*/
	s_set_vgpr_msb 0                        ;  msbs: dst=0 src0=0 src1=0 src2=0
	v_pk_mul_f32 v[122:123], v[122:123], v[124:125] op_sel_hi:[1,0]
	s_set_vgpr_msb 4                        ;  msbs: dst=0 src0=0 src1=1 src2=0
	s_delay_alu instid0(VALU_DEP_1) | instskip(SKIP_1) | instid1(VALU_DEP_1)
	v_pk_fma_f32 v[124:125], v[134:135], v[30:31] /*v[286:287]*/, v[122:123] neg_lo:[0,0,1] neg_hi:[0,0,1]
	v_pk_fma_f32 v[122:123], v[134:135], v[30:31] /*v[286:287]*/, v[122:123] op_sel_hi:[1,0,1]
	v_mov_b32_e32 v125, v123
	scratch_load_b64 v[122:123], off, off offset:96
	s_set_vgpr_msb 0                        ;  msbs: dst=0 src0=0 src1=0 src2=0
	v_pk_add_f32 v[120:121], v[120:121], v[124:125]
	s_wait_loadcnt 0x0
	s_delay_alu instid0(VALU_DEP_1)
	v_pk_add_f32 v[120:121], v[122:123], v[120:121] neg_lo:[0,1] neg_hi:[0,1]
	scratch_store_b64 off, v[120:121], off offset:96
	s_wait_xcnt 0x0
	v_cmpx_lt_u32_e32 11, v0
	s_cbranch_execz .LBB122_345
; %bb.344:
	scratch_load_b64 v[120:121], off, off offset:88
	v_mov_b64_e32 v[122:123], 0
	scratch_store_b64 off, v[122:123], off offset:88
	s_wait_loadcnt 0x0
	ds_store_b64 v1, v[120:121]
.LBB122_345:
	s_wait_xcnt 0x0
	s_or_b32 exec_lo, exec_lo, s0
	v_mov_b32_e32 v7, 0
	s_wait_storecnt_dscnt 0x0
	s_barrier_signal -1
	s_barrier_wait -1
	ds_load_b128 v[120:123], v7 offset:576
	ds_load_b128 v[124:127], v7 offset:592
	;; [unrolled: 1-line block ×4, first 2 shown]
	s_clause 0x14
	scratch_load_b128 v[136:139], off, off offset:96
	scratch_load_b128 v[140:143], off, off offset:112
	;; [unrolled: 1-line block ×17, first 2 shown]
	s_set_vgpr_msb 64                       ;  msbs: dst=1 src0=0 src1=0 src2=0
	scratch_load_b128 v[4:7] /*v[260:263]*/, off, off offset:368
	scratch_load_b128 v[12:15] /*v[268:271]*/, off, off offset:384
	;; [unrolled: 1-line block ×3, first 2 shown]
	s_mov_b32 s0, exec_lo
	s_wait_loadcnt_dscnt 0x1303
	s_set_vgpr_msb 0                        ;  msbs: dst=0 src0=0 src1=0 src2=0
	v_mul_f32_e32 v9, v120, v137
	ds_load_b128 v[152:155], v7 offset:640
	ds_load_b128 v[160:163], v7 offset:656
	;; [unrolled: 1-line block ×4, first 2 shown]
	v_dual_fmac_f32 v9, v121, v136 :: v_dual_mul_f32 v11, v122, v139
	ds_load_b128 v[184:187], v7 offset:704
	ds_load_b128 v[192:195], v7 offset:720
	;; [unrolled: 1-line block ×4, first 2 shown]
	v_dual_add_f32 v9, 0, v9 :: v_dual_fmac_f32 v11, v123, v138
	ds_load_b128 v[216:219], v7 offset:768
	ds_load_b128 v[224:227], v7 offset:784
	;; [unrolled: 1-line block ×4, first 2 shown]
	s_wait_loadcnt_dscnt 0x120e
	v_dual_add_f32 v9, v9, v11 :: v_dual_mul_f32 v11, v124, v141
	ds_load_b128 v[248:251], v7 offset:832
	s_set_vgpr_msb 64                       ;  msbs: dst=1 src0=0 src1=0 src2=0
	ds_load_b128 v[0:3] /*v[256:259]*/, v7 offset:848
	ds_load_b128 v[8:11] /*v[264:267]*/, v7 offset:864
	;; [unrolled: 1-line block ×3, first 2 shown]
	s_set_vgpr_msb 0                        ;  msbs: dst=0 src0=0 src1=0 src2=0
	v_fmac_f32_e32 v11, v125, v140
	s_set_vgpr_msb 64                       ;  msbs: dst=1 src0=0 src1=0 src2=0
	s_clause 0x3
	scratch_load_b128 v[24:27] /*v[280:283]*/, off, off offset:416
	scratch_load_b128 v[28:31] /*v[284:287]*/, off, off offset:432
	scratch_load_b128 v[32:35] /*v[288:291]*/, off, off offset:448
	scratch_load_b64 v[42:43] /*v[298:299]*/, off, off offset:464
	s_set_vgpr_msb 0                        ;  msbs: dst=0 src0=0 src1=0 src2=0
	v_add_f32_e32 v9, v9, v11
	v_mul_f32_e32 v11, v126, v143
	s_delay_alu instid0(VALU_DEP_1) | instskip(SKIP_1) | instid1(VALU_DEP_1)
	v_fmac_f32_e32 v11, v127, v142
	s_wait_loadcnt_dscnt 0x1511
	v_dual_add_f32 v9, v9, v11 :: v_dual_mul_f32 v11, v128, v145
	s_wait_loadcnt_dscnt 0x400
	s_set_vgpr_msb 0x45                     ;  msbs: dst=1 src0=1 src1=1 src2=0
	v_dual_mul_f32 v39 /*v295*/, v10 /*v266*/, v15 /*v271*/ :: v_dual_mul_f32 v41 /*v297*/, v16 /*v272*/, v21 /*v277*/
	s_set_vgpr_msb 0                        ;  msbs: dst=0 src0=0 src1=0 src2=0
	v_fmac_f32_e32 v11, v129, v144
	s_set_vgpr_msb 0x45                     ;  msbs: dst=1 src0=1 src1=1 src2=0
	s_delay_alu instid0(VALU_DEP_2) | instskip(SKIP_1) | instid1(VALU_DEP_2)
	v_dual_fmac_f32 v39 /*v295*/, v11 /*v267*/, v14 /*v270*/ :: v_dual_fmac_f32 v41 /*v297*/, v17 /*v273*/, v20 /*v276*/
	s_set_vgpr_msb 0                        ;  msbs: dst=0 src0=0 src1=0 src2=0
	v_add_f32_e32 v9, v9, v11
	v_mul_f32_e32 v11, v130, v147
	s_delay_alu instid0(VALU_DEP_1) | instskip(NEXT) | instid1(VALU_DEP_1)
	v_fmac_f32_e32 v11, v131, v146
	v_dual_add_f32 v9, v9, v11 :: v_dual_mul_f32 v11, v132, v149
	s_delay_alu instid0(VALU_DEP_1) | instskip(NEXT) | instid1(VALU_DEP_1)
	v_fmac_f32_e32 v11, v133, v148
	v_add_f32_e32 v9, v9, v11
	v_mul_f32_e32 v11, v134, v151
	s_delay_alu instid0(VALU_DEP_1) | instskip(NEXT) | instid1(VALU_DEP_1)
	v_fmac_f32_e32 v11, v135, v150
	v_dual_add_f32 v9, v9, v11 :: v_dual_mul_f32 v11, v152, v157
	s_delay_alu instid0(VALU_DEP_1) | instskip(NEXT) | instid1(VALU_DEP_1)
	v_fmac_f32_e32 v11, v153, v156
	;; [unrolled: 7-line block ×14, first 2 shown]
	v_add_f32_e32 v9, v9, v11
	v_mul_f32_e32 v11, v250, v255
	s_delay_alu instid0(VALU_DEP_1) | instskip(NEXT) | instid1(VALU_DEP_1)
	v_fmac_f32_e32 v11, v251, v254
	v_add_f32_e32 v9, v9, v11
	s_set_vgpr_msb 5                        ;  msbs: dst=0 src0=1 src1=1 src2=0
	v_mul_f32_e32 v11, v0 /*v256*/, v5 /*v261*/
	s_delay_alu instid0(VALU_DEP_1) | instskip(SKIP_1) | instid1(VALU_DEP_1)
	v_fmac_f32_e32 v11, v1 /*v257*/, v4 /*v260*/
	s_set_vgpr_msb 0                        ;  msbs: dst=0 src0=0 src1=0 src2=0
	v_add_f32_e32 v9, v9, v11
	s_set_vgpr_msb 5                        ;  msbs: dst=0 src0=1 src1=1 src2=0
	v_mul_f32_e32 v11, v2 /*v258*/, v7 /*v263*/
	s_delay_alu instid0(VALU_DEP_1) | instskip(SKIP_1) | instid1(VALU_DEP_1)
	v_fmac_f32_e32 v11, v3 /*v259*/, v6 /*v262*/
	s_set_vgpr_msb 0                        ;  msbs: dst=0 src0=0 src1=0 src2=0
	v_add_f32_e32 v9, v9, v11
	s_set_vgpr_msb 5                        ;  msbs: dst=0 src0=1 src1=1 src2=0
	v_mul_f32_e32 v11, v8 /*v264*/, v13 /*v269*/
	s_delay_alu instid0(VALU_DEP_1) | instskip(SKIP_1) | instid1(VALU_DEP_1)
	v_fmac_f32_e32 v11, v9 /*v265*/, v12 /*v268*/
	s_set_vgpr_msb 64                       ;  msbs: dst=1 src0=0 src1=0 src2=0
	v_add_f32_e32 v37 /*v293*/, v9, v11
	s_set_vgpr_msb 0                        ;  msbs: dst=0 src0=0 src1=0 src2=0
	v_dual_mul_f32 v9, v121, v137 :: v_dual_mul_f32 v11, v123, v139
	s_set_vgpr_msb 1                        ;  msbs: dst=0 src0=1 src1=0 src2=0
	v_mov_b32_e32 v137, v18 /*v274*/
	s_set_vgpr_msb 0                        ;  msbs: dst=0 src0=0 src1=0 src2=0
	s_delay_alu instid0(VALU_DEP_2) | instskip(SKIP_2) | instid1(VALU_DEP_2)
	v_dual_fma_f32 v9, v120, v136, -v9 :: v_dual_fma_f32 v11, v122, v138, -v11
	s_set_vgpr_msb 1                        ;  msbs: dst=0 src0=1 src1=0 src2=0
	v_dual_mov_b32 v136, v19 /*v275*/ :: v_dual_mov_b32 v138, v23 /*v279*/
	v_add_f32_e32 v9, 0, v9
	s_set_vgpr_msb 0                        ;  msbs: dst=0 src0=0 src1=0 src2=0
	s_delay_alu instid0(VALU_DEP_2) | instskip(NEXT) | instid1(VALU_DEP_2)
	v_pk_mul_f32 v[136:137], v[136:137], v[138:139] op_sel_hi:[1,0]
	v_add_f32_e32 v9, v9, v11
	v_mul_f32_e32 v11, v125, v141
	s_set_vgpr_msb 5                        ;  msbs: dst=0 src0=1 src1=1 src2=0
	s_delay_alu instid0(VALU_DEP_3) | instskip(SKIP_2) | instid1(VALU_DEP_1)
	v_pk_fma_f32 v[138:139], v[18:19] /*v[274:275]*/, v[22:23] /*v[278:279]*/, v[136:137] neg_lo:[0,0,1] neg_hi:[0,0,1]
	v_pk_fma_f32 v[136:137], v[18:19] /*v[274:275]*/, v[22:23] /*v[278:279]*/, v[136:137] op_sel_hi:[1,0,1]
	s_set_vgpr_msb 0                        ;  msbs: dst=0 src0=0 src1=0 src2=0
	v_dual_fma_f32 v11, v124, v140, -v11 :: v_dual_mov_b32 v139, v137
	s_delay_alu instid0(VALU_DEP_1) | instskip(SKIP_1) | instid1(VALU_DEP_1)
	v_add_f32_e32 v9, v9, v11
	v_mul_f32_e32 v11, v127, v143
	v_fma_f32 v11, v126, v142, -v11
	s_delay_alu instid0(VALU_DEP_1) | instskip(SKIP_1) | instid1(VALU_DEP_1)
	v_add_f32_e32 v9, v9, v11
	v_mul_f32_e32 v11, v129, v145
	v_fma_f32 v11, v128, v144, -v11
	;; [unrolled: 4-line block ×4, first 2 shown]
	ds_load_b128 v[120:123], v7 offset:896
	ds_load_b128 v[124:127], v7 offset:912
	;; [unrolled: 1-line block ×3, first 2 shown]
	ds_load_b64 v[132:133], v7 offset:944
	v_add_f32_e32 v9, v9, v11
	v_mul_f32_e32 v11, v135, v151
	s_delay_alu instid0(VALU_DEP_1) | instskip(NEXT) | instid1(VALU_DEP_1)
	v_fma_f32 v11, v134, v150, -v11
	v_add_f32_e32 v9, v9, v11
	v_mul_f32_e32 v11, v153, v157
	s_wait_loadcnt_dscnt 0x303
	s_set_vgpr_msb 4                        ;  msbs: dst=0 src0=0 src1=1 src2=0
	v_pk_mul_f32 v[136:137], v[120:121], v[24:25] /*v[280:281]*/ op_sel:[1,1] op_sel_hi:[0,1]
	s_set_vgpr_msb 0                        ;  msbs: dst=0 src0=0 src1=0 src2=0
	v_fma_f32 v11, v152, v156, -v11
	s_delay_alu instid0(VALU_DEP_1) | instskip(SKIP_1) | instid1(VALU_DEP_1)
	v_add_f32_e32 v9, v9, v11
	v_mul_f32_e32 v11, v155, v159
	v_fma_f32 v11, v154, v158, -v11
	s_delay_alu instid0(VALU_DEP_1) | instskip(SKIP_1) | instid1(VALU_DEP_1)
	v_add_f32_e32 v9, v9, v11
	v_mul_f32_e32 v11, v161, v165
	;; [unrolled: 4-line block ×25, first 2 shown]
	v_fma_f32 v11, v250, v254, -v11
	s_delay_alu instid0(VALU_DEP_1) | instskip(SKIP_2) | instid1(VALU_DEP_1)
	v_add_f32_e32 v9, v9, v11
	s_set_vgpr_msb 5                        ;  msbs: dst=0 src0=1 src1=1 src2=0
	v_mul_f32_e32 v11, v1 /*v257*/, v5 /*v261*/
	v_fma_f32 v11, v0 /*v256*/, v4 /*v260*/, -v11
	s_set_vgpr_msb 0                        ;  msbs: dst=0 src0=0 src1=0 src2=0
	s_delay_alu instid0(VALU_DEP_1) | instskip(SKIP_2) | instid1(VALU_DEP_1)
	v_add_f32_e32 v9, v9, v11
	s_set_vgpr_msb 5                        ;  msbs: dst=0 src0=1 src1=1 src2=0
	v_mul_f32_e32 v11, v3 /*v259*/, v7 /*v263*/
	v_fma_f32 v11, v2 /*v258*/, v6 /*v262*/, -v11
	s_set_vgpr_msb 0                        ;  msbs: dst=0 src0=0 src1=0 src2=0
	s_delay_alu instid0(VALU_DEP_1) | instskip(SKIP_2) | instid1(VALU_DEP_1)
	v_add_f32_e32 v9, v9, v11
	s_set_vgpr_msb 5                        ;  msbs: dst=0 src0=1 src1=1 src2=0
	v_mul_f32_e32 v11, v9 /*v265*/, v13 /*v269*/
	v_fma_f32 v11, v8 /*v264*/, v12 /*v268*/, -v11
	s_set_vgpr_msb 64                       ;  msbs: dst=1 src0=0 src1=0 src2=0
	s_delay_alu instid0(VALU_DEP_1) | instskip(SKIP_3) | instid1(VALU_DEP_1)
	v_add_f32_e32 v36 /*v292*/, v9, v11
	s_set_vgpr_msb 5                        ;  msbs: dst=0 src0=1 src1=1 src2=0
	v_mul_f32_e32 v9, v11 /*v267*/, v15 /*v271*/
	s_set_vgpr_msb 0x45                     ;  msbs: dst=1 src0=1 src1=1 src2=0
	v_fma_f32 v38 /*v294*/, v10 /*v266*/, v14 /*v270*/, -v9
	s_set_vgpr_msb 5                        ;  msbs: dst=0 src0=1 src1=1 src2=0
	v_mul_f32_e32 v9, v17 /*v273*/, v21 /*v277*/
	s_set_vgpr_msb 0x45                     ;  msbs: dst=1 src0=1 src1=1 src2=0
	s_delay_alu instid0(VALU_DEP_1) | instskip(SKIP_3) | instid1(VALU_DEP_1)
	v_fma_f32 v40 /*v296*/, v16 /*v272*/, v20 /*v276*/, -v9
	s_set_vgpr_msb 5                        ;  msbs: dst=0 src0=1 src1=1 src2=0
	v_pk_add_f32 v[134:135], v[36:37] /*v[292:293]*/, v[38:39] /*v[294:295]*/
	s_set_vgpr_msb 4                        ;  msbs: dst=0 src0=0 src1=1 src2=0
	v_pk_add_f32 v[134:135], v[134:135], v[40:41] /*v[296:297]*/
	s_set_vgpr_msb 0                        ;  msbs: dst=0 src0=0 src1=0 src2=0
	s_delay_alu instid0(VALU_DEP_1)
	v_pk_add_f32 v[134:135], v[134:135], v[138:139]
	s_set_vgpr_msb 4                        ;  msbs: dst=0 src0=0 src1=1 src2=0
	v_pk_fma_f32 v[138:139], v[120:121], v[24:25] /*v[280:281]*/, v[136:137] neg_lo:[0,0,1] neg_hi:[0,0,1]
	v_pk_fma_f32 v[120:121], v[120:121], v[24:25] /*v[280:281]*/, v[136:137] op_sel_hi:[1,0,1]
	s_set_vgpr_msb 1                        ;  msbs: dst=0 src0=1 src1=0 src2=0
	v_mov_b32_e32 v136, v27 /*v283*/
	s_set_vgpr_msb 0                        ;  msbs: dst=0 src0=0 src1=0 src2=0
	s_delay_alu instid0(VALU_DEP_2) | instskip(NEXT) | instid1(VALU_DEP_1)
	v_mov_b32_e32 v139, v121
	v_pk_add_f32 v[120:121], v[134:135], v[138:139]
	v_dual_mov_b32 v134, v123 :: v_dual_mov_b32 v135, v122
	s_delay_alu instid0(VALU_DEP_1) | instskip(SKIP_1) | instid1(VALU_DEP_1)
	v_pk_mul_f32 v[134:135], v[134:135], v[136:137] op_sel_hi:[1,0]
	s_set_vgpr_msb 4                        ;  msbs: dst=0 src0=0 src1=1 src2=0
	v_pk_fma_f32 v[136:137], v[122:123], v[26:27] /*v[282:283]*/, v[134:135] neg_lo:[0,0,1] neg_hi:[0,0,1]
	v_pk_fma_f32 v[122:123], v[122:123], v[26:27] /*v[282:283]*/, v[134:135] op_sel_hi:[1,0,1]
	s_delay_alu instid0(VALU_DEP_1) | instskip(SKIP_3) | instid1(VALU_DEP_2)
	v_mov_b32_e32 v137, v123
	s_wait_loadcnt_dscnt 0x202
	v_pk_mul_f32 v[122:123], v[124:125], v[28:29] /*v[284:285]*/ op_sel:[1,1] op_sel_hi:[0,1]
	s_set_vgpr_msb 0                        ;  msbs: dst=0 src0=0 src1=0 src2=0
	v_pk_add_f32 v[120:121], v[120:121], v[136:137]
	s_set_vgpr_msb 4                        ;  msbs: dst=0 src0=0 src1=1 src2=0
	s_delay_alu instid0(VALU_DEP_2)
	v_pk_fma_f32 v[134:135], v[124:125], v[28:29] /*v[284:285]*/, v[122:123] neg_lo:[0,0,1] neg_hi:[0,0,1]
	v_pk_fma_f32 v[122:123], v[124:125], v[28:29] /*v[284:285]*/, v[122:123] op_sel_hi:[1,0,1]
	v_mov_b32_e32 v122, v127
	s_set_vgpr_msb 1                        ;  msbs: dst=0 src0=1 src1=0 src2=0
	v_mov_b32_e32 v124, v31 /*v287*/
	s_set_vgpr_msb 0                        ;  msbs: dst=0 src0=0 src1=0 src2=0
	v_dual_mov_b32 v135, v123 :: v_dual_mov_b32 v123, v126
	s_delay_alu instid0(VALU_DEP_1) | instskip(NEXT) | instid1(VALU_DEP_2)
	v_pk_add_f32 v[120:121], v[120:121], v[134:135]
	v_pk_mul_f32 v[122:123], v[122:123], v[124:125] op_sel_hi:[1,0]
	s_set_vgpr_msb 4                        ;  msbs: dst=0 src0=0 src1=1 src2=0
	s_delay_alu instid0(VALU_DEP_1) | instskip(SKIP_1) | instid1(VALU_DEP_1)
	v_pk_fma_f32 v[124:125], v[126:127], v[30:31] /*v[286:287]*/, v[122:123] neg_lo:[0,0,1] neg_hi:[0,0,1]
	v_pk_fma_f32 v[122:123], v[126:127], v[30:31] /*v[286:287]*/, v[122:123] op_sel_hi:[1,0,1]
	v_mov_b32_e32 v125, v123
	s_wait_loadcnt_dscnt 0x101
	v_pk_mul_f32 v[122:123], v[128:129], v[32:33] /*v[288:289]*/ op_sel:[1,1] op_sel_hi:[0,1]
	s_set_vgpr_msb 0                        ;  msbs: dst=0 src0=0 src1=0 src2=0
	s_delay_alu instid0(VALU_DEP_2) | instskip(SKIP_1) | instid1(VALU_DEP_2)
	v_pk_add_f32 v[120:121], v[120:121], v[124:125]
	s_set_vgpr_msb 4                        ;  msbs: dst=0 src0=0 src1=1 src2=0
	v_pk_fma_f32 v[124:125], v[128:129], v[32:33] /*v[288:289]*/, v[122:123] neg_lo:[0,0,1] neg_hi:[0,0,1]
	v_pk_fma_f32 v[122:123], v[128:129], v[32:33] /*v[288:289]*/, v[122:123] op_sel_hi:[1,0,1]
	s_delay_alu instid0(VALU_DEP_1) | instskip(SKIP_2) | instid1(VALU_DEP_2)
	v_dual_mov_b32 v122, v131 :: v_dual_mov_b32 v125, v123
	v_mov_b32_e32 v123, v130
	s_set_vgpr_msb 0                        ;  msbs: dst=0 src0=0 src1=0 src2=0
	v_pk_add_f32 v[120:121], v[120:121], v[124:125]
	s_set_vgpr_msb 1                        ;  msbs: dst=0 src0=1 src1=0 src2=0
	v_mov_b32_e32 v124, v35 /*v291*/
	s_set_vgpr_msb 0                        ;  msbs: dst=0 src0=0 src1=0 src2=0
	s_delay_alu instid0(VALU_DEP_1) | instskip(SKIP_1) | instid1(VALU_DEP_1)
	v_pk_mul_f32 v[122:123], v[122:123], v[124:125] op_sel_hi:[1,0]
	s_set_vgpr_msb 4                        ;  msbs: dst=0 src0=0 src1=1 src2=0
	v_pk_fma_f32 v[124:125], v[130:131], v[34:35] /*v[290:291]*/, v[122:123] neg_lo:[0,0,1] neg_hi:[0,0,1]
	v_pk_fma_f32 v[122:123], v[130:131], v[34:35] /*v[290:291]*/, v[122:123] op_sel_hi:[1,0,1]
	s_delay_alu instid0(VALU_DEP_1) | instskip(SKIP_3) | instid1(VALU_DEP_2)
	v_mov_b32_e32 v125, v123
	s_wait_loadcnt_dscnt 0x0
	v_pk_mul_f32 v[122:123], v[132:133], v[42:43] /*v[298:299]*/ op_sel:[1,1] op_sel_hi:[0,1]
	s_set_vgpr_msb 0                        ;  msbs: dst=0 src0=0 src1=0 src2=0
	v_pk_add_f32 v[120:121], v[120:121], v[124:125]
	s_set_vgpr_msb 4                        ;  msbs: dst=0 src0=0 src1=1 src2=0
	s_delay_alu instid0(VALU_DEP_2) | instskip(SKIP_1) | instid1(VALU_DEP_1)
	v_pk_fma_f32 v[124:125], v[132:133], v[42:43] /*v[298:299]*/, v[122:123] neg_lo:[0,0,1] neg_hi:[0,0,1]
	v_pk_fma_f32 v[122:123], v[132:133], v[42:43] /*v[298:299]*/, v[122:123] op_sel_hi:[1,0,1]
	v_mov_b32_e32 v125, v123
	scratch_load_b64 v[122:123], off, off offset:88
	s_set_vgpr_msb 0                        ;  msbs: dst=0 src0=0 src1=0 src2=0
	v_pk_add_f32 v[120:121], v[120:121], v[124:125]
	s_wait_loadcnt 0x0
	s_delay_alu instid0(VALU_DEP_1)
	v_pk_add_f32 v[120:121], v[122:123], v[120:121] neg_lo:[0,1] neg_hi:[0,1]
	scratch_store_b64 off, v[120:121], off offset:88
	s_wait_xcnt 0x0
	v_cmpx_lt_u32_e32 10, v0
	s_cbranch_execz .LBB122_347
; %bb.346:
	scratch_load_b64 v[120:121], off, off offset:80
	v_mov_b64_e32 v[122:123], 0
	scratch_store_b64 off, v[122:123], off offset:80
	s_wait_loadcnt 0x0
	ds_store_b64 v1, v[120:121]
.LBB122_347:
	s_wait_xcnt 0x0
	s_or_b32 exec_lo, exec_lo, s0
	s_wait_storecnt_dscnt 0x0
	s_barrier_signal -1
	s_barrier_wait -1
	s_clause 0x17
	scratch_load_b128 v[120:123], off, off offset:88
	scratch_load_b128 v[124:127], off, off offset:104
	;; [unrolled: 1-line block ×24, first 2 shown]
	ds_load_2addr_b64 v[216:219], v7 offset0:71 offset1:72
	ds_load_2addr_b64 v[220:223], v7 offset0:73 offset1:74
	;; [unrolled: 1-line block ×6, first 2 shown]
	s_set_vgpr_msb 64                       ;  msbs: dst=1 src0=0 src1=0 src2=0
	scratch_load_b64 v[56:57] /*v[312:313]*/, off, off offset:80
	s_set_vgpr_msb 0                        ;  msbs: dst=0 src0=0 src1=0 src2=0
	ds_load_2addr_b64 v[240:243], v7 offset0:79 offset1:80
	ds_load_2addr_b64 v[244:247], v7 offset0:81 offset1:82
	;; [unrolled: 1-line block ×4, first 2 shown]
	s_set_vgpr_msb 64                       ;  msbs: dst=1 src0=0 src1=0 src2=0
	ds_load_2addr_b64 v[0:3] /*v[256:259]*/, v7 offset0:83 offset1:84
	ds_load_2addr_b64 v[4:7] /*v[260:263]*/, v7 offset0:85 offset1:86
	;; [unrolled: 1-line block ×14, first 2 shown]
	s_mov_b32 s0, exec_lo
	s_wait_dscnt 0xf
	v_dual_mov_b32 v62 /*v318*/, v251 :: v_dual_mov_b32 v63 /*v319*/, v250
	s_wait_dscnt 0xe
	v_dual_mov_b32 v64 /*v320*/, v255 :: v_dual_mov_b32 v65 /*v321*/, v254
	v_dual_mov_b32 v58 /*v314*/, v235 :: v_dual_mov_b32 v59 /*v315*/, v234
	;; [unrolled: 1-line block ×3, first 2 shown]
	s_wait_loadcnt 0x18
	s_set_vgpr_msb 0                        ;  msbs: dst=0 src0=0 src1=0 src2=0
	v_dual_mul_f32 v7, v216, v121 :: v_dual_mul_f32 v9, v218, v123
	v_dual_mul_f32 v83, v217, v121 :: v_dual_mul_f32 v85, v219, v123
	s_wait_loadcnt 0x17
	v_dual_mul_f32 v11, v220, v125 :: v_dual_mul_f32 v13, v222, v127
	s_delay_alu instid0(VALU_DEP_3) | instskip(SKIP_3) | instid1(VALU_DEP_3)
	v_dual_fmac_f32 v7, v217, v120 :: v_dual_fmac_f32 v9, v219, v122
	s_wait_loadcnt 0x15
	v_dual_fma_f32 v83, v216, v120, -v83 :: v_dual_mul_f32 v95, v229, v133
	v_dual_mul_f32 v87, v221, v125 :: v_dual_mul_f32 v89, v223, v127
	v_dual_fma_f32 v85, v218, v122, -v85 :: v_dual_add_f32 v7, 0, v7
	s_delay_alu instid0(VALU_DEP_3) | instskip(SKIP_1) | instid1(VALU_DEP_4)
	v_dual_add_f32 v83, 0, v83 :: v_dual_fmac_f32 v11, v221, v124
	v_dual_mul_f32 v15, v224, v129 :: v_dual_mul_f32 v17, v226, v131
	v_dual_mul_f32 v97, v231, v135 :: v_dual_fma_f32 v87, v220, v124, -v87
	s_delay_alu instid0(VALU_DEP_4) | instskip(NEXT) | instid1(VALU_DEP_3)
	v_add_f32_e32 v7, v7, v9
	v_dual_add_f32 v9, v83, v85 :: v_dual_fmac_f32 v15, v225, v128
	v_dual_mul_f32 v91, v225, v129 :: v_dual_mul_f32 v93, v227, v131
	s_wait_loadcnt 0x14
	v_dual_mul_f32 v83, v241, v137 :: v_dual_fmac_f32 v13, v223, v126
	v_dual_fma_f32 v85, v222, v126, -v89 :: v_dual_add_f32 v7, v7, v11
	s_delay_alu instid0(VALU_DEP_3) | instskip(SKIP_1) | instid1(VALU_DEP_3)
	v_dual_add_f32 v9, v9, v87 :: v_dual_fma_f32 v87, v224, v128, -v91
	v_dual_mul_f32 v19, v228, v133 :: v_dual_mul_f32 v21, v230, v135
	v_add_f32_e32 v7, v7, v13
	s_delay_alu instid0(VALU_DEP_3) | instskip(SKIP_2) | instid1(VALU_DEP_3)
	v_dual_mul_f32 v11, v243, v139 :: v_dual_add_f32 v9, v9, v85
	s_wait_loadcnt 0x13
	v_dual_mul_f32 v13, v245, v141 :: v_dual_fmac_f32 v17, v227, v130
	v_dual_fma_f32 v85, v226, v130, -v93 :: v_dual_add_f32 v7, v7, v15
	s_delay_alu instid0(VALU_DEP_3) | instskip(SKIP_1) | instid1(VALU_DEP_3)
	v_dual_add_f32 v9, v9, v87 :: v_dual_fma_f32 v87, v228, v132, -v95
	v_dual_mul_f32 v15, v247, v143 :: v_dual_fmac_f32 v19, v229, v132
	v_add_f32_e32 v7, v7, v17
	s_delay_alu instid0(VALU_DEP_3) | instskip(SKIP_1) | instid1(VALU_DEP_3)
	v_dual_add_f32 v9, v9, v85 :: v_dual_fmac_f32 v21, v231, v134
	v_dual_mul_f32 v23, v240, v137 :: v_dual_mul_f32 v25, v242, v139
	v_dual_fma_f32 v85, v230, v134, -v97 :: v_dual_add_f32 v7, v7, v19
	s_delay_alu instid0(VALU_DEP_3) | instskip(NEXT) | instid1(VALU_DEP_3)
	v_dual_add_f32 v9, v9, v87 :: v_dual_fma_f32 v83, v240, v136, -v83
	v_dual_fmac_f32 v23, v241, v136 :: v_dual_mul_f32 v27, v244, v141
	s_delay_alu instid0(VALU_DEP_3) | instskip(NEXT) | instid1(VALU_DEP_3)
	v_dual_mul_f32 v29, v246, v143 :: v_dual_add_f32 v7, v7, v21
	v_dual_fma_f32 v11, v242, v138, -v11 :: v_dual_add_f32 v9, v9, v85
	s_delay_alu instid0(VALU_DEP_3) | instskip(NEXT) | instid1(VALU_DEP_3)
	v_dual_fmac_f32 v25, v243, v138 :: v_dual_fmac_f32 v27, v245, v140
	v_dual_add_f32 v7, v7, v23 :: v_dual_fma_f32 v13, v244, v140, -v13
	s_delay_alu instid0(VALU_DEP_3)
	v_add_f32_e32 v9, v9, v83
	s_wait_loadcnt_dscnt 0x120d
	s_set_vgpr_msb 1                        ;  msbs: dst=0 src0=1 src1=0 src2=0
	v_dual_mul_f32 v31, v0 /*v256*/, v145 :: v_dual_mul_f32 v33, v2 /*v258*/, v147
	s_set_vgpr_msb 0                        ;  msbs: dst=0 src0=0 src1=0 src2=0
	v_add_f32_e32 v7, v7, v25
	s_set_vgpr_msb 1                        ;  msbs: dst=0 src0=1 src1=0 src2=0
	v_dual_mul_f32 v17, v1 /*v257*/, v145 :: v_dual_mul_f32 v19, v3 /*v259*/, v147
	s_set_vgpr_msb 0                        ;  msbs: dst=0 src0=0 src1=0 src2=0
	v_dual_add_f32 v9, v9, v11 :: v_dual_fmac_f32 v29, v247, v142
	v_dual_fma_f32 v15, v246, v142, -v15 :: v_dual_add_f32 v7, v7, v27
	s_set_vgpr_msb 1                        ;  msbs: dst=0 src0=1 src1=0 src2=0
	v_dual_fmac_f32 v31, v1 /*v257*/, v144 :: v_dual_fma_f32 v17, v0 /*v256*/, v144, -v17
	s_set_vgpr_msb 0                        ;  msbs: dst=0 src0=0 src1=0 src2=0
	v_add_f32_e32 v9, v9, v13
	s_wait_loadcnt_dscnt 0x110c
	s_set_vgpr_msb 1                        ;  msbs: dst=0 src0=1 src1=0 src2=0
	v_dual_mul_f32 v35, v4 /*v260*/, v149 :: v_dual_mul_f32 v37, v6 /*v262*/, v151
	s_set_vgpr_msb 0                        ;  msbs: dst=0 src0=0 src1=0 src2=0
	v_add_f32_e32 v7, v7, v29
	s_set_vgpr_msb 1                        ;  msbs: dst=0 src0=1 src1=0 src2=0
	v_dual_mul_f32 v21, v5 /*v261*/, v149 :: v_dual_mul_f32 v23, v7 /*v263*/, v151
	s_set_vgpr_msb 0                        ;  msbs: dst=0 src0=0 src1=0 src2=0
	v_add_f32_e32 v9, v9, v15
	s_wait_loadcnt_dscnt 0xf0a
	s_set_vgpr_msb 1                        ;  msbs: dst=0 src0=1 src1=0 src2=0
	v_dual_mul_f32 v15, v13 /*v269*/, v157 :: v_dual_fmac_f32 v33, v3 /*v259*/, v146
	v_fma_f32 v19, v2 /*v258*/, v146, -v19
	s_set_vgpr_msb 0                        ;  msbs: dst=0 src0=0 src1=0 src2=0
	v_dual_add_f32 v7, v7, v31 :: v_dual_add_f32 v9, v9, v17
	s_set_vgpr_msb 1                        ;  msbs: dst=0 src0=1 src1=0 src2=0
	v_dual_mul_f32 v17, v15 /*v271*/, v159 :: v_dual_fmac_f32 v35, v5 /*v261*/, v148
	v_fma_f32 v21, v4 /*v260*/, v148, -v21
	s_set_vgpr_msb 0                        ;  msbs: dst=0 src0=0 src1=0 src2=0
	v_dual_add_f32 v7, v7, v33 :: v_dual_add_f32 v9, v9, v19
	s_set_vgpr_msb 1                        ;  msbs: dst=0 src0=1 src1=0 src2=0
	v_dual_mul_f32 v11, v9 /*v265*/, v153 :: v_dual_mul_f32 v13, v11 /*v267*/, v155
	s_wait_loadcnt_dscnt 0xe09
	v_dual_mul_f32 v19, v17 /*v273*/, v161 :: v_dual_fmac_f32 v37, v7 /*v263*/, v150
	v_fma_f32 v23, v6 /*v262*/, v150, -v23
	s_set_vgpr_msb 0                        ;  msbs: dst=0 src0=0 src1=0 src2=0
	v_dual_add_f32 v7, v7, v35 :: v_dual_add_f32 v9, v9, v21
	s_set_vgpr_msb 1                        ;  msbs: dst=0 src0=1 src1=0 src2=0
	v_dual_mul_f32 v39, v8 /*v264*/, v153 :: v_dual_mul_f32 v41, v10 /*v266*/, v155
	v_dual_mul_f32 v21, v19 /*v275*/, v163 :: v_dual_fma_f32 v11, v8 /*v264*/, v152, -v11
	s_set_vgpr_msb 0                        ;  msbs: dst=0 src0=0 src1=0 src2=0
	v_dual_add_f32 v7, v7, v37 :: v_dual_add_f32 v9, v9, v23
	s_set_vgpr_msb 1                        ;  msbs: dst=0 src0=1 src1=0 src2=0
	v_dual_fmac_f32 v39, v9 /*v265*/, v152 :: v_dual_fmac_f32 v41, v11 /*v267*/, v154
	s_wait_loadcnt_dscnt 0xd08
	v_dual_mul_f32 v23, v21 /*v277*/, v165 :: v_dual_fma_f32 v13, v10 /*v266*/, v154, -v13
	s_set_vgpr_msb 0                        ;  msbs: dst=0 src0=0 src1=0 src2=0
	v_add_f32_e32 v9, v9, v11
	s_set_vgpr_msb 1                        ;  msbs: dst=0 src0=1 src1=0 src2=0
	v_dual_mul_f32 v43, v12 /*v268*/, v157 :: v_dual_mul_f32 v45, v14 /*v270*/, v159
	v_mul_f32_e32 v11, v23 /*v279*/, v167
	s_set_vgpr_msb 0                        ;  msbs: dst=0 src0=0 src1=0 src2=0
	v_dual_add_f32 v7, v7, v39 :: v_dual_add_f32 v9, v9, v13
	s_wait_loadcnt_dscnt 0xc07
	s_set_vgpr_msb 1                        ;  msbs: dst=0 src0=1 src1=0 src2=0
	v_dual_fma_f32 v15, v12 /*v268*/, v156, -v15 :: v_dual_mul_f32 v13, v25 /*v281*/, v169
	v_dual_fmac_f32 v43, v13 /*v269*/, v156 :: v_dual_fmac_f32 v45, v15 /*v271*/, v158
	s_set_vgpr_msb 0                        ;  msbs: dst=0 src0=0 src1=0 src2=0
	v_add_f32_e32 v7, v7, v41
	s_set_vgpr_msb 1                        ;  msbs: dst=0 src0=1 src1=0 src2=0
	v_fma_f32 v17, v14 /*v270*/, v158, -v17
	s_set_vgpr_msb 0                        ;  msbs: dst=0 src0=0 src1=0 src2=0
	v_add_f32_e32 v9, v9, v15
	s_set_vgpr_msb 1                        ;  msbs: dst=0 src0=1 src1=0 src2=0
	v_dual_mul_f32 v47, v16 /*v272*/, v161 :: v_dual_mul_f32 v49, v18 /*v274*/, v163
	v_mul_f32_e32 v15, v27 /*v283*/, v171
	s_set_vgpr_msb 0                        ;  msbs: dst=0 src0=0 src1=0 src2=0
	v_dual_add_f32 v7, v7, v43 :: v_dual_add_f32 v9, v9, v17
	s_wait_loadcnt_dscnt 0xb06
	s_set_vgpr_msb 1                        ;  msbs: dst=0 src0=1 src1=0 src2=0
	v_dual_fma_f32 v19, v16 /*v272*/, v160, -v19 :: v_dual_mul_f32 v17, v29 /*v285*/, v173
	v_dual_fmac_f32 v47, v17 /*v273*/, v160 :: v_dual_fmac_f32 v49, v19 /*v275*/, v162
	s_set_vgpr_msb 0                        ;  msbs: dst=0 src0=0 src1=0 src2=0
	v_add_f32_e32 v7, v7, v45
	s_set_vgpr_msb 1                        ;  msbs: dst=0 src0=1 src1=0 src2=0
	v_fma_f32 v21, v18 /*v274*/, v162, -v21
	s_set_vgpr_msb 0                        ;  msbs: dst=0 src0=0 src1=0 src2=0
	v_add_f32_e32 v9, v9, v19
	s_set_vgpr_msb 1                        ;  msbs: dst=0 src0=1 src1=0 src2=0
	v_dual_mul_f32 v51, v20 /*v276*/, v165 :: v_dual_mul_f32 v53, v22 /*v278*/, v167
	v_mul_f32_e32 v19, v31 /*v287*/, v175
	s_set_vgpr_msb 0                        ;  msbs: dst=0 src0=0 src1=0 src2=0
	v_dual_add_f32 v7, v7, v47 :: v_dual_add_f32 v9, v9, v21
	s_wait_loadcnt_dscnt 0xa05
	s_set_vgpr_msb 1                        ;  msbs: dst=0 src0=1 src1=0 src2=0
	v_dual_fma_f32 v23, v20 /*v276*/, v164, -v23 :: v_dual_mul_f32 v21, v33 /*v289*/, v177
	v_dual_mul_f32 v55, v24 /*v280*/, v169 :: v_dual_mul_f32 v57, v26 /*v282*/, v171
	v_dual_mul_f32 v59, v28 /*v284*/, v173 :: v_dual_mul_f32 v61, v30 /*v286*/, v175
	v_dual_fmac_f32 v51, v21 /*v277*/, v164 :: v_dual_fmac_f32 v53, v23 /*v279*/, v166
	v_fma_f32 v11, v22 /*v278*/, v166, -v11
	s_set_vgpr_msb 0                        ;  msbs: dst=0 src0=0 src1=0 src2=0
	v_dual_add_f32 v9, v9, v23 :: v_dual_add_f32 v7, v7, v49
	s_set_vgpr_msb 1                        ;  msbs: dst=0 src0=1 src1=0 src2=0
	v_dual_mul_f32 v23, v35 /*v291*/, v179 :: v_dual_fmac_f32 v55, v25 /*v281*/, v168
	v_fma_f32 v13, v24 /*v280*/, v168, -v13
	v_dual_fmac_f32 v57, v27 /*v283*/, v170 :: v_dual_fmac_f32 v59, v29 /*v285*/, v172
	s_set_vgpr_msb 0                        ;  msbs: dst=0 src0=0 src1=0 src2=0
	v_add_f32_e32 v9, v9, v11
	s_set_vgpr_msb 1                        ;  msbs: dst=0 src0=1 src1=0 src2=0
	v_dual_mul_f32 v63, v32 /*v288*/, v177 :: v_dual_mul_f32 v65, v34 /*v290*/, v179
	s_set_vgpr_msb 0                        ;  msbs: dst=0 src0=0 src1=0 src2=0
	v_add_f32_e32 v7, v7, v51
	s_wait_loadcnt_dscnt 0x904
	s_set_vgpr_msb 1                        ;  msbs: dst=0 src0=1 src1=0 src2=0
	v_dual_mul_f32 v11, v37 /*v293*/, v181 :: v_dual_fma_f32 v15, v26 /*v282*/, v170, -v15
	s_set_vgpr_msb 0                        ;  msbs: dst=0 src0=0 src1=0 src2=0
	v_add_f32_e32 v9, v9, v13
	s_set_vgpr_msb 1                        ;  msbs: dst=0 src0=1 src1=0 src2=0
	v_dual_mul_f32 v13, v39 /*v295*/, v183 :: v_dual_fma_f32 v17, v28 /*v284*/, v172, -v17
	s_set_vgpr_msb 0                        ;  msbs: dst=0 src0=0 src1=0 src2=0
	v_add_f32_e32 v7, v7, v53
	s_set_vgpr_msb 1                        ;  msbs: dst=0 src0=1 src1=0 src2=0
	v_dual_fmac_f32 v61, v31 /*v287*/, v174 :: v_dual_fmac_f32 v63, v33 /*v289*/, v176
	s_set_vgpr_msb 0                        ;  msbs: dst=0 src0=0 src1=0 src2=0
	v_add_f32_e32 v9, v9, v15
	s_set_vgpr_msb 1                        ;  msbs: dst=0 src0=1 src1=0 src2=0
	v_dual_mul_f32 v67, v36 /*v292*/, v181 :: v_dual_mul_f32 v69, v38 /*v294*/, v183
	s_set_vgpr_msb 0                        ;  msbs: dst=0 src0=0 src1=0 src2=0
	v_add_f32_e32 v7, v7, v55
	s_wait_loadcnt_dscnt 0x803
	s_set_vgpr_msb 1                        ;  msbs: dst=0 src0=1 src1=0 src2=0
	v_dual_mul_f32 v15, v41 /*v297*/, v185 :: v_dual_fma_f32 v19, v30 /*v286*/, v174, -v19
	s_set_vgpr_msb 0                        ;  msbs: dst=0 src0=0 src1=0 src2=0
	v_add_f32_e32 v9, v9, v17
	s_set_vgpr_msb 1                        ;  msbs: dst=0 src0=1 src1=0 src2=0
	v_dual_mul_f32 v17, v43 /*v299*/, v187 :: v_dual_fma_f32 v21, v32 /*v288*/, v176, -v21
	s_set_vgpr_msb 0                        ;  msbs: dst=0 src0=0 src1=0 src2=0
	v_add_f32_e32 v7, v7, v57
	s_set_vgpr_msb 1                        ;  msbs: dst=0 src0=1 src1=0 src2=0
	v_dual_fmac_f32 v65, v35 /*v291*/, v178 :: v_dual_fmac_f32 v67, v37 /*v293*/, v180
	s_set_vgpr_msb 0                        ;  msbs: dst=0 src0=0 src1=0 src2=0
	v_add_f32_e32 v9, v9, v19
	s_set_vgpr_msb 1                        ;  msbs: dst=0 src0=1 src1=0 src2=0
	v_dual_mul_f32 v71, v40 /*v296*/, v185 :: v_dual_mul_f32 v73, v42 /*v298*/, v187
	s_set_vgpr_msb 0                        ;  msbs: dst=0 src0=0 src1=0 src2=0
	v_add_f32_e32 v7, v7, v59
	s_wait_loadcnt_dscnt 0x702
	s_set_vgpr_msb 1                        ;  msbs: dst=0 src0=1 src1=0 src2=0
	v_dual_mul_f32 v19, v45 /*v301*/, v189 :: v_dual_fma_f32 v23, v34 /*v290*/, v178, -v23
	s_set_vgpr_msb 0                        ;  msbs: dst=0 src0=0 src1=0 src2=0
	v_add_f32_e32 v9, v9, v21
	s_set_vgpr_msb 1                        ;  msbs: dst=0 src0=1 src1=0 src2=0
	v_dual_mul_f32 v75, v44 /*v300*/, v189 :: v_dual_mul_f32 v77, v46 /*v302*/, v191
	s_set_vgpr_msb 0                        ;  msbs: dst=0 src0=0 src1=0 src2=0
	v_add_f32_e32 v7, v7, v61
	s_set_vgpr_msb 1                        ;  msbs: dst=0 src0=1 src1=0 src2=0
	v_dual_mul_f32 v21, v47 /*v303*/, v191 :: v_dual_fma_f32 v11, v36 /*v292*/, v180, -v11
	v_dual_fmac_f32 v69, v39 /*v295*/, v182 :: v_dual_fmac_f32 v71, v41 /*v297*/, v184
	s_set_vgpr_msb 0                        ;  msbs: dst=0 src0=0 src1=0 src2=0
	v_add_f32_e32 v9, v9, v23
	s_wait_loadcnt_dscnt 0x601
	s_set_vgpr_msb 1                        ;  msbs: dst=0 src0=1 src1=0 src2=0
	v_dual_mul_f32 v23, v49 /*v305*/, v193 :: v_dual_fma_f32 v13, v38 /*v294*/, v182, -v13
	v_dual_fmac_f32 v73, v43 /*v299*/, v186 :: v_dual_fmac_f32 v75, v45 /*v301*/, v188
	s_set_vgpr_msb 0                        ;  msbs: dst=0 src0=0 src1=0 src2=0
	v_add_f32_e32 v9, v9, v11
	v_add_f32_e32 v7, v7, v63
	s_set_vgpr_msb 1                        ;  msbs: dst=0 src0=1 src1=0 src2=0
	v_dual_mul_f32 v11, v51 /*v307*/, v195 :: v_dual_fma_f32 v15, v40 /*v296*/, v184, -v15
	v_fma_f32 v17, v42 /*v298*/, v186, -v17
	s_set_vgpr_msb 0                        ;  msbs: dst=0 src0=0 src1=0 src2=0
	v_add_f32_e32 v9, v9, v13
	v_add_f32_e32 v7, v7, v65
	s_wait_loadcnt_dscnt 0x500
	s_set_vgpr_msb 1                        ;  msbs: dst=0 src0=1 src1=0 src2=0
	v_mul_f32_e32 v13, v53 /*v309*/, v197
	s_wait_loadcnt 0x4
	s_set_vgpr_msb 0                        ;  msbs: dst=0 src0=0 src1=0 src2=0
	v_mov_b32_e32 v122, v203
	s_set_vgpr_msb 1                        ;  msbs: dst=0 src0=1 src1=0 src2=0
	v_dual_mul_f32 v79, v48 /*v304*/, v193 :: v_dual_mul_f32 v81, v50 /*v306*/, v195
	s_set_vgpr_msb 0                        ;  msbs: dst=0 src0=0 src1=0 src2=0
	v_add_f32_e32 v9, v9, v15
	v_add_f32_e32 v7, v7, v67
	s_set_vgpr_msb 1                        ;  msbs: dst=0 src0=1 src1=0 src2=0
	v_dual_mul_f32 v15, v55 /*v311*/, v199 :: v_dual_fma_f32 v19, v44 /*v300*/, v188, -v19
	v_dual_fmac_f32 v77, v47 /*v303*/, v190 :: v_dual_fmac_f32 v79, v49 /*v305*/, v192
	s_set_vgpr_msb 0                        ;  msbs: dst=0 src0=0 src1=0 src2=0
	v_add_f32_e32 v9, v9, v17
	v_add_f32_e32 v7, v7, v69
	s_set_vgpr_msb 1                        ;  msbs: dst=0 src0=1 src1=0 src2=0
	v_fma_f32 v17, v46 /*v302*/, v190, -v21
	s_set_vgpr_msb 0x41                     ;  msbs: dst=1 src0=1 src1=0 src2=0
	v_dual_mul_f32 v67 /*v323*/, v52 /*v308*/, v197 :: v_dual_mul_f32 v69 /*v325*/, v54 /*v310*/, v199
	s_set_vgpr_msb 0                        ;  msbs: dst=0 src0=0 src1=0 src2=0
	v_add_f32_e32 v9, v9, v19
	s_set_vgpr_msb 1                        ;  msbs: dst=0 src0=1 src1=0 src2=0
	v_fma_f32 v19, v48 /*v304*/, v192, -v23
	s_set_vgpr_msb 0                        ;  msbs: dst=0 src0=0 src1=0 src2=0
	v_add_f32_e32 v7, v7, v71
	s_set_vgpr_msb 1                        ;  msbs: dst=0 src0=1 src1=0 src2=0
	v_dual_fmac_f32 v81, v51 /*v307*/, v194 :: v_dual_fma_f32 v11, v50 /*v306*/, v194, -v11
	s_set_vgpr_msb 0                        ;  msbs: dst=0 src0=0 src1=0 src2=0
	v_add_f32_e32 v9, v9, v17
	v_pk_mul_f32 v[120:121], v[232:233], v[200:201] op_sel:[1,1] op_sel_hi:[0,1]
	v_add_f32_e32 v7, v7, v73
	s_wait_loadcnt 0x3
	v_mov_b32_e32 v126, v207
	s_set_vgpr_msb 0x41                     ;  msbs: dst=1 src0=1 src1=0 src2=0
	v_dual_fmac_f32 v67 /*v323*/, v53 /*v309*/, v196 :: v_dual_fmac_f32 v69 /*v325*/, v55 /*v311*/, v198
	s_set_vgpr_msb 0                        ;  msbs: dst=0 src0=0 src1=0 src2=0
	v_add_f32_e32 v9, v9, v19
	v_add_f32_e32 v7, v7, v75
	s_set_vgpr_msb 0x41                     ;  msbs: dst=1 src0=1 src1=0 src2=0
	v_dual_fma_f32 v66 /*v322*/, v52 /*v308*/, v196, -v13 :: v_dual_fma_f32 v68 /*v324*/, v54 /*v310*/, v198, -v15
	s_set_vgpr_msb 0                        ;  msbs: dst=0 src0=0 src1=0 src2=0
	v_pk_fma_f32 v[130:131], v[232:233], v[200:201], v[120:121] op_sel_hi:[1,0,1]
	v_dual_add_f32 v128, v9, v11 :: v_dual_add_f32 v7, v7, v77
	s_set_vgpr_msb 1                        ;  msbs: dst=0 src0=1 src1=0 src2=0
	v_pk_mul_f32 v[122:123], v[58:59] /*v[314:315]*/, v[122:123] op_sel_hi:[1,0]
	s_set_vgpr_msb 0                        ;  msbs: dst=0 src0=0 src1=0 src2=0
	v_pk_fma_f32 v[120:121], v[232:233], v[200:201], v[120:121] neg_lo:[0,0,1] neg_hi:[0,0,1]
	v_pk_mul_f32 v[124:125], v[236:237], v[204:205] op_sel:[1,1] op_sel_hi:[0,1]
	v_mov_b32_e32 v121, v131
	v_add_f32_e32 v7, v7, v79
	v_pk_fma_f32 v[130:131], v[234:235], v[202:203], v[122:123] op_sel_hi:[1,0,1]
	v_pk_fma_f32 v[122:123], v[234:235], v[202:203], v[122:123] neg_lo:[0,0,1] neg_hi:[0,0,1]
	v_pk_fma_f32 v[134:135], v[236:237], v[204:205], v[124:125] op_sel_hi:[1,0,1]
	s_set_vgpr_msb 1                        ;  msbs: dst=0 src0=1 src1=0 src2=0
	v_pk_mul_f32 v[126:127], v[60:61] /*v[316:317]*/, v[126:127] op_sel_hi:[1,0]
	s_set_vgpr_msb 0                        ;  msbs: dst=0 src0=0 src1=0 src2=0
	v_add_f32_e32 v129, v7, v81
	v_mov_b32_e32 v123, v131
	s_wait_loadcnt 0x2
	v_pk_mul_f32 v[132:133], v[248:249], v[208:209] op_sel:[1,1] op_sel_hi:[0,1]
	v_pk_fma_f32 v[124:125], v[236:237], v[204:205], v[124:125] neg_lo:[0,0,1] neg_hi:[0,0,1]
	v_mov_b32_e32 v125, v135
	s_set_vgpr_msb 4                        ;  msbs: dst=0 src0=0 src1=1 src2=0
	v_pk_add_f32 v[128:129], v[128:129], v[66:67] /*v[322:323]*/
	s_set_vgpr_msb 0                        ;  msbs: dst=0 src0=0 src1=0 src2=0
	v_pk_fma_f32 v[130:131], v[238:239], v[206:207], v[126:127] op_sel_hi:[1,0,1]
	v_pk_fma_f32 v[126:127], v[238:239], v[206:207], v[126:127] neg_lo:[0,0,1] neg_hi:[0,0,1]
	s_set_vgpr_msb 4                        ;  msbs: dst=0 src0=0 src1=1 src2=0
	v_pk_add_f32 v[128:129], v[128:129], v[68:69] /*v[324:325]*/
	s_set_vgpr_msb 0                        ;  msbs: dst=0 src0=0 src1=0 src2=0
	s_delay_alu instid0(VALU_DEP_1) | instskip(SKIP_1) | instid1(VALU_DEP_2)
	v_pk_add_f32 v[120:121], v[128:129], v[120:121]
	v_mov_b32_e32 v128, v211
	v_pk_add_f32 v[120:121], v[120:121], v[122:123]
	v_pk_fma_f32 v[122:123], v[248:249], v[208:209], v[132:133] op_sel_hi:[1,0,1]
	s_set_vgpr_msb 1                        ;  msbs: dst=0 src0=1 src1=0 src2=0
	s_delay_alu instid0(VALU_DEP_3)
	v_pk_mul_f32 v[128:129], v[62:63] /*v[318:319]*/, v[128:129] op_sel_hi:[1,0]
	s_set_vgpr_msb 0                        ;  msbs: dst=0 src0=0 src1=0 src2=0
	v_mov_b32_e32 v127, v131
	v_pk_fma_f32 v[130:131], v[248:249], v[208:209], v[132:133] neg_lo:[0,0,1] neg_hi:[0,0,1]
	v_pk_add_f32 v[120:121], v[120:121], v[124:125]
	v_mov_b32_e32 v131, v123
	v_pk_fma_f32 v[122:123], v[250:251], v[210:211], v[128:129] op_sel_hi:[1,0,1]
	s_wait_loadcnt 0x1
	v_pk_mul_f32 v[124:125], v[252:253], v[212:213] op_sel:[1,1] op_sel_hi:[0,1]
	v_mov_b32_e32 v122, v215
	v_pk_add_f32 v[120:121], v[120:121], v[126:127]
	v_pk_fma_f32 v[128:129], v[250:251], v[210:211], v[128:129] neg_lo:[0,0,1] neg_hi:[0,0,1]
	v_mov_b32_e32 v129, v123
	v_pk_fma_f32 v[126:127], v[252:253], v[212:213], v[124:125] op_sel_hi:[1,0,1]
	s_set_vgpr_msb 1                        ;  msbs: dst=0 src0=1 src1=0 src2=0
	v_pk_mul_f32 v[122:123], v[64:65] /*v[320:321]*/, v[122:123] op_sel_hi:[1,0]
	s_set_vgpr_msb 0                        ;  msbs: dst=0 src0=0 src1=0 src2=0
	v_pk_add_f32 v[120:121], v[120:121], v[130:131]
	v_pk_fma_f32 v[124:125], v[252:253], v[212:213], v[124:125] neg_lo:[0,0,1] neg_hi:[0,0,1]
	v_mov_b32_e32 v125, v127
	v_pk_fma_f32 v[126:127], v[254:255], v[214:215], v[122:123] op_sel_hi:[1,0,1]
	s_delay_alu instid0(VALU_DEP_4) | instskip(SKIP_1) | instid1(VALU_DEP_3)
	v_pk_add_f32 v[120:121], v[120:121], v[128:129]
	v_pk_fma_f32 v[122:123], v[254:255], v[214:215], v[122:123] neg_lo:[0,0,1] neg_hi:[0,0,1]
	v_mov_b32_e32 v123, v127
	s_delay_alu instid0(VALU_DEP_3) | instskip(NEXT) | instid1(VALU_DEP_1)
	v_pk_add_f32 v[120:121], v[120:121], v[124:125]
	v_pk_add_f32 v[120:121], v[120:121], v[122:123]
	s_wait_loadcnt 0x0
	s_set_vgpr_msb 1                        ;  msbs: dst=0 src0=1 src1=0 src2=0
	s_delay_alu instid0(VALU_DEP_1)
	v_pk_add_f32 v[120:121], v[56:57] /*v[312:313]*/, v[120:121] neg_lo:[0,1] neg_hi:[0,1]
	scratch_store_b64 off, v[120:121], off offset:80
	s_wait_xcnt 0x0
	v_cmpx_lt_u32_e32 9, v0
	s_set_vgpr_msb 0                        ;  msbs: dst=0 src0=0 src1=0 src2=0
	s_cbranch_execz .LBB122_349
; %bb.348:
	scratch_load_b64 v[120:121], off, off offset:72
	v_mov_b64_e32 v[122:123], 0
	scratch_store_b64 off, v[122:123], off offset:72
	s_wait_loadcnt 0x0
	ds_store_b64 v1, v[120:121]
.LBB122_349:
	s_wait_xcnt 0x0
	s_or_b32 exec_lo, exec_lo, s0
	s_wait_storecnt_dscnt 0x0
	s_barrier_signal -1
	s_barrier_wait -1
	s_clause 0x1a
	scratch_load_b128 v[120:123], off, off offset:80
	scratch_load_b128 v[124:127], off, off offset:96
	scratch_load_b128 v[128:131], off, off offset:112
	scratch_load_b128 v[132:135], off, off offset:128
	scratch_load_b128 v[136:139], off, off offset:144
	scratch_load_b128 v[140:143], off, off offset:160
	scratch_load_b128 v[144:147], off, off offset:176
	scratch_load_b128 v[148:151], off, off offset:192
	scratch_load_b128 v[152:155], off, off offset:208
	scratch_load_b128 v[156:159], off, off offset:224
	scratch_load_b128 v[160:163], off, off offset:240
	scratch_load_b128 v[164:167], off, off offset:256
	scratch_load_b128 v[168:171], off, off offset:272
	scratch_load_b128 v[172:175], off, off offset:288
	scratch_load_b128 v[176:179], off, off offset:304
	scratch_load_b128 v[180:183], off, off offset:320
	scratch_load_b128 v[184:187], off, off offset:336
	scratch_load_b128 v[188:191], off, off offset:352
	scratch_load_b128 v[192:195], off, off offset:368
	scratch_load_b128 v[196:199], off, off offset:384
	scratch_load_b128 v[200:203], off, off offset:400
	scratch_load_b128 v[204:207], off, off offset:416
	scratch_load_b128 v[208:211], off, off offset:432
	scratch_load_b128 v[212:215], off, off offset:448
	s_set_vgpr_msb 64                       ;  msbs: dst=1 src0=0 src1=0 src2=0
	scratch_load_b64 v[56:57] /*v[312:313]*/, off, off offset:464
	scratch_load_b64 v[58:59] /*v[314:315]*/, off, off offset:72
	s_set_vgpr_msb 0                        ;  msbs: dst=0 src0=0 src1=0 src2=0
	v_mov_b32_e32 v7, 0
	ds_load_b128 v[216:219], v7 offset:560
	ds_load_b128 v[220:223], v7 offset:576
	ds_load_b128 v[224:227], v7 offset:592
	ds_load_b128 v[228:231], v7 offset:608
	ds_load_b128 v[232:235], v7 offset:880
	ds_load_b128 v[236:239], v7 offset:624
	ds_load_b128 v[240:243], v7 offset:640
	ds_load_b128 v[244:247], v7 offset:896
	ds_load_b128 v[248:251], v7 offset:912
	ds_load_b128 v[252:255], v7 offset:656
	s_set_vgpr_msb 64                       ;  msbs: dst=1 src0=0 src1=0 src2=0
	ds_load_b128 v[0:3] /*v[256:259]*/, v7 offset:672
	ds_load_b128 v[4:7] /*v[260:263]*/, v7 offset:928
	;; [unrolled: 1-line block ×14, first 2 shown]
	ds_load_b64 v[60:61] /*v[316:317]*/, v7 offset:944
	s_wait_dscnt 0x14
	v_dual_mov_b32 v62 /*v318*/, v235 :: v_dual_mov_b32 v63 /*v319*/, v234
	s_wait_dscnt 0x11
	v_dual_mov_b32 v64 /*v320*/, v247 :: v_dual_mov_b32 v65 /*v321*/, v246
	;; [unrolled: 2-line block ×3, first 2 shown]
	s_wait_dscnt 0xd
	s_set_vgpr_msb 0x41                     ;  msbs: dst=1 src0=1 src1=0 src2=0
	v_dual_mov_b32 v68 /*v324*/, v7 /*v263*/ :: v_dual_mov_b32 v69 /*v325*/, v6 /*v262*/
	s_mov_b32 s0, exec_lo
	s_wait_loadcnt 0x19
	s_set_vgpr_msb 0                        ;  msbs: dst=0 src0=0 src1=0 src2=0
	v_dual_mul_f32 v9, v216, v121 :: v_dual_mul_f32 v11, v218, v123
	s_wait_loadcnt 0x18
	v_mul_f32_e32 v13, v220, v125
	v_dual_mul_f32 v87, v217, v121 :: v_dual_mul_f32 v89, v219, v123
	s_wait_loadcnt 0x13
	v_dual_mul_f32 v91, v221, v125 :: v_dual_mul_f32 v35, v254, v147
	s_delay_alu instid0(VALU_DEP_2) | instskip(NEXT) | instid1(VALU_DEP_3)
	v_dual_fmac_f32 v9, v217, v120 :: v_dual_fma_f32 v87, v216, v120, -v87
	v_dual_mul_f32 v101, v231, v135 :: v_dual_fma_f32 v89, v218, v122, -v89
	s_delay_alu instid0(VALU_DEP_2) | instskip(SKIP_1) | instid1(VALU_DEP_4)
	v_dual_fmac_f32 v11, v219, v122 :: v_dual_add_f32 v9, 0, v9
	v_dual_mul_f32 v15, v222, v127 :: v_dual_mul_f32 v17, v224, v129
	v_add_f32_e32 v87, 0, v87
	v_dual_mul_f32 v93, v223, v127 :: v_dual_mul_f32 v95, v225, v129
	v_dual_mul_f32 v103, v237, v137 :: v_dual_fma_f32 v91, v220, v124, -v91
	s_wait_loadcnt_dscnt 0x601
	s_set_vgpr_msb 1                        ;  msbs: dst=0 src0=1 src1=0 src2=0
	v_mul_f32_e32 v85, v52 /*v308*/, v197
	s_set_vgpr_msb 0                        ;  msbs: dst=0 src0=0 src1=0 src2=0
	v_fmac_f32_e32 v13, v221, v124
	v_dual_add_f32 v9, v9, v11 :: v_dual_fmac_f32 v15, v223, v126
	v_add_f32_e32 v11, v87, v89
	v_dual_mul_f32 v87, v239, v139 :: v_dual_fma_f32 v89, v222, v126, -v93
	s_delay_alu instid0(VALU_DEP_3) | instskip(NEXT) | instid1(VALU_DEP_3)
	v_dual_add_f32 v9, v9, v13 :: v_dual_mul_f32 v19, v226, v131
	v_dual_mul_f32 v21, v228, v133 :: v_dual_add_f32 v11, v11, v91
	v_dual_mul_f32 v97, v227, v131 :: v_dual_mul_f32 v99, v229, v133
	v_dual_mul_f32 v13, v241, v141 :: v_dual_fma_f32 v91, v224, v128, -v95
	s_delay_alu instid0(VALU_DEP_3) | instskip(SKIP_1) | instid1(VALU_DEP_4)
	v_dual_fmac_f32 v17, v225, v128 :: v_dual_add_f32 v11, v11, v89
	v_dual_add_f32 v9, v9, v15 :: v_dual_fmac_f32 v19, v227, v130
	v_dual_mul_f32 v15, v243, v143 :: v_dual_fma_f32 v89, v226, v130, -v97
	s_delay_alu instid0(VALU_DEP_2) | instskip(SKIP_2) | instid1(VALU_DEP_3)
	v_dual_add_f32 v11, v11, v91 :: v_dual_add_f32 v9, v9, v17
	v_dual_mul_f32 v23, v230, v135 :: v_dual_mul_f32 v25, v236, v137
	v_dual_mul_f32 v17, v253, v145 :: v_dual_fma_f32 v91, v228, v132, -v99
	v_dual_fmac_f32 v21, v229, v132 :: v_dual_add_f32 v11, v11, v89
	s_delay_alu instid0(VALU_DEP_3) | instskip(SKIP_1) | instid1(VALU_DEP_2)
	v_dual_add_f32 v9, v9, v19 :: v_dual_fmac_f32 v23, v231, v134
	v_dual_mul_f32 v19, v255, v147 :: v_dual_fma_f32 v89, v230, v134, -v101
	v_dual_add_f32 v11, v11, v91 :: v_dual_add_f32 v9, v9, v21
	v_dual_mul_f32 v27, v238, v139 :: v_dual_mul_f32 v29, v240, v141
	v_dual_fmac_f32 v25, v237, v136 :: v_dual_fma_f32 v91, v236, v136, -v103
	s_delay_alu instid0(VALU_DEP_3) | instskip(NEXT) | instid1(VALU_DEP_3)
	v_dual_add_f32 v9, v9, v23 :: v_dual_add_f32 v11, v11, v89
	v_fmac_f32_e32 v27, v239, v138
	v_fma_f32 v87, v238, v138, -v87
	v_dual_mul_f32 v31, v242, v143 :: v_dual_mul_f32 v33, v252, v145
	s_delay_alu instid0(VALU_DEP_4)
	v_dual_add_f32 v9, v9, v25 :: v_dual_add_f32 v11, v11, v91
	v_fmac_f32_e32 v29, v241, v140
	v_fma_f32 v13, v240, v140, -v13
	s_set_vgpr_msb 1                        ;  msbs: dst=0 src0=1 src1=0 src2=0
	v_dual_mul_f32 v37, v0 /*v256*/, v149 :: v_dual_mul_f32 v39, v2 /*v258*/, v151
	s_set_vgpr_msb 0                        ;  msbs: dst=0 src0=0 src1=0 src2=0
	v_add_f32_e32 v9, v9, v27
	v_add_f32_e32 v11, v11, v87
	v_fmac_f32_e32 v31, v243, v142
	v_fma_f32 v15, v242, v142, -v15
	s_set_vgpr_msb 1                        ;  msbs: dst=0 src0=1 src1=0 src2=0
	v_dual_mul_f32 v21, v1 /*v257*/, v149 :: v_dual_mul_f32 v23, v3 /*v259*/, v151
	s_set_vgpr_msb 0                        ;  msbs: dst=0 src0=0 src1=0 src2=0
	v_add_f32_e32 v9, v9, v29
	v_dual_add_f32 v11, v11, v13 :: v_dual_fmac_f32 v33, v253, v144
	v_fma_f32 v17, v252, v144, -v17
	s_set_vgpr_msb 1                        ;  msbs: dst=0 src0=1 src1=0 src2=0
	v_fmac_f32_e32 v37, v1 /*v257*/, v148
	s_set_vgpr_msb 0                        ;  msbs: dst=0 src0=0 src1=0 src2=0
	v_add_f32_e32 v9, v9, v31
	v_add_f32_e32 v11, v11, v15
	v_fmac_f32_e32 v35, v255, v146
	v_fma_f32 v19, v254, v146, -v19
	s_set_vgpr_msb 1                        ;  msbs: dst=0 src0=1 src1=0 src2=0
	v_fma_f32 v21, v0 /*v256*/, v148, -v21
	s_set_vgpr_msb 0                        ;  msbs: dst=0 src0=0 src1=0 src2=0
	v_add_f32_e32 v9, v9, v33
	v_add_f32_e32 v11, v11, v17
	s_set_vgpr_msb 1                        ;  msbs: dst=0 src0=1 src1=0 src2=0
	v_mul_f32_e32 v17, v17 /*v273*/, v161
	v_dual_mul_f32 v41, v8 /*v264*/, v153 :: v_dual_mul_f32 v43, v10 /*v266*/, v155
	v_dual_mul_f32 v25, v9 /*v265*/, v153 :: v_dual_mul_f32 v27, v11 /*v267*/, v155
	s_set_vgpr_msb 0                        ;  msbs: dst=0 src0=0 src1=0 src2=0
	v_add_f32_e32 v11, v11, v19
	v_add_f32_e32 v9, v9, v35
	s_set_vgpr_msb 1                        ;  msbs: dst=0 src0=1 src1=0 src2=0
	v_mul_f32_e32 v19, v19 /*v275*/, v163
	v_fmac_f32_e32 v39, v3 /*v259*/, v150
	v_dual_fma_f32 v23, v2 /*v258*/, v150, -v23 :: v_dual_fmac_f32 v41, v9 /*v265*/, v152
	s_set_vgpr_msb 0                        ;  msbs: dst=0 src0=0 src1=0 src2=0
	v_add_f32_e32 v11, v11, v21
	v_add_f32_e32 v9, v9, v37
	s_set_vgpr_msb 1                        ;  msbs: dst=0 src0=1 src1=0 src2=0
	v_dual_mul_f32 v21, v21 /*v277*/, v165 :: v_dual_fma_f32 v25, v8 /*v264*/, v152, -v25
	v_dual_mul_f32 v45, v12 /*v268*/, v157 :: v_dual_mul_f32 v47, v14 /*v270*/, v159
	s_set_vgpr_msb 0                        ;  msbs: dst=0 src0=0 src1=0 src2=0
	v_add_f32_e32 v11, v11, v23
	s_set_vgpr_msb 1                        ;  msbs: dst=0 src0=1 src1=0 src2=0
	v_mul_f32_e32 v23, v23 /*v279*/, v167
	s_set_vgpr_msb 0                        ;  msbs: dst=0 src0=0 src1=0 src2=0
	v_add_f32_e32 v9, v9, v39
	s_set_vgpr_msb 1                        ;  msbs: dst=0 src0=1 src1=0 src2=0
	v_dual_mul_f32 v13, v13 /*v269*/, v157 :: v_dual_mul_f32 v15, v15 /*v271*/, v159
	v_fmac_f32_e32 v43, v11 /*v267*/, v154
	v_dual_fma_f32 v27, v10 /*v266*/, v154, -v27 :: v_dual_fmac_f32 v45, v13 /*v269*/, v156
	s_set_vgpr_msb 0                        ;  msbs: dst=0 src0=0 src1=0 src2=0
	v_add_f32_e32 v11, v11, v25
	v_add_f32_e32 v9, v9, v41
	s_set_vgpr_msb 1                        ;  msbs: dst=0 src0=1 src1=0 src2=0
	v_dual_mul_f32 v25, v25 /*v281*/, v169 :: v_dual_fma_f32 v13, v12 /*v268*/, v156, -v13
	v_dual_mul_f32 v49, v16 /*v272*/, v161 :: v_dual_mul_f32 v51, v18 /*v274*/, v163
	s_set_vgpr_msb 0                        ;  msbs: dst=0 src0=0 src1=0 src2=0
	v_add_f32_e32 v11, v11, v27
	s_set_vgpr_msb 1                        ;  msbs: dst=0 src0=1 src1=0 src2=0
	v_mul_f32_e32 v27, v27 /*v283*/, v171
	s_set_vgpr_msb 0                        ;  msbs: dst=0 src0=0 src1=0 src2=0
	v_add_f32_e32 v9, v9, v43
	s_set_vgpr_msb 1                        ;  msbs: dst=0 src0=1 src1=0 src2=0
	v_fmac_f32_e32 v47, v15 /*v271*/, v158
	v_dual_fma_f32 v15, v14 /*v270*/, v158, -v15 :: v_dual_fmac_f32 v49, v17 /*v273*/, v160
	s_set_vgpr_msb 0                        ;  msbs: dst=0 src0=0 src1=0 src2=0
	v_add_f32_e32 v11, v11, v13
	v_add_f32_e32 v9, v9, v45
	s_set_vgpr_msb 1                        ;  msbs: dst=0 src0=1 src1=0 src2=0
	v_dual_mul_f32 v13, v29 /*v285*/, v173 :: v_dual_fma_f32 v17, v16 /*v272*/, v160, -v17
	v_dual_mul_f32 v53, v20 /*v276*/, v165 :: v_dual_mul_f32 v55, v22 /*v278*/, v167
	s_set_vgpr_msb 0                        ;  msbs: dst=0 src0=0 src1=0 src2=0
	v_add_f32_e32 v11, v11, v15
	s_set_vgpr_msb 1                        ;  msbs: dst=0 src0=1 src1=0 src2=0
	v_mul_f32_e32 v15, v31 /*v287*/, v175
	s_set_vgpr_msb 0                        ;  msbs: dst=0 src0=0 src1=0 src2=0
	v_add_f32_e32 v9, v9, v47
	s_set_vgpr_msb 1                        ;  msbs: dst=0 src0=1 src1=0 src2=0
	v_fmac_f32_e32 v51, v19 /*v275*/, v162
	v_dual_fma_f32 v19, v18 /*v274*/, v162, -v19 :: v_dual_fmac_f32 v53, v21 /*v277*/, v164
	s_set_vgpr_msb 0                        ;  msbs: dst=0 src0=0 src1=0 src2=0
	v_add_f32_e32 v11, v11, v17
	v_add_f32_e32 v9, v9, v49
	s_set_vgpr_msb 1                        ;  msbs: dst=0 src0=1 src1=0 src2=0
	v_dual_mul_f32 v17, v33 /*v289*/, v177 :: v_dual_fma_f32 v21, v20 /*v276*/, v164, -v21
	v_dual_mul_f32 v57, v24 /*v280*/, v169 :: v_dual_mul_f32 v59, v26 /*v282*/, v171
	s_set_vgpr_msb 0                        ;  msbs: dst=0 src0=0 src1=0 src2=0
	v_add_f32_e32 v11, v11, v19
	s_set_vgpr_msb 1                        ;  msbs: dst=0 src0=1 src1=0 src2=0
	v_mul_f32_e32 v19, v35 /*v291*/, v179
	s_set_vgpr_msb 0                        ;  msbs: dst=0 src0=0 src1=0 src2=0
	v_add_f32_e32 v9, v9, v51
	s_set_vgpr_msb 1                        ;  msbs: dst=0 src0=1 src1=0 src2=0
	v_fmac_f32_e32 v55, v23 /*v279*/, v166
	v_dual_fma_f32 v23, v22 /*v278*/, v166, -v23 :: v_dual_fmac_f32 v57, v25 /*v281*/, v168
	s_set_vgpr_msb 0                        ;  msbs: dst=0 src0=0 src1=0 src2=0
	v_add_f32_e32 v11, v11, v21
	v_add_f32_e32 v9, v9, v53
	s_set_vgpr_msb 1                        ;  msbs: dst=0 src0=1 src1=0 src2=0
	v_dual_mul_f32 v21, v37 /*v293*/, v181 :: v_dual_fma_f32 v25, v24 /*v280*/, v168, -v25
	v_dual_mul_f32 v61, v28 /*v284*/, v173 :: v_dual_mul_f32 v63, v30 /*v286*/, v175
	s_set_vgpr_msb 0                        ;  msbs: dst=0 src0=0 src1=0 src2=0
	v_add_f32_e32 v11, v11, v23
	s_set_vgpr_msb 1                        ;  msbs: dst=0 src0=1 src1=0 src2=0
	v_mul_f32_e32 v23, v39 /*v295*/, v183
	s_set_vgpr_msb 0                        ;  msbs: dst=0 src0=0 src1=0 src2=0
	v_add_f32_e32 v9, v9, v55
	s_set_vgpr_msb 1                        ;  msbs: dst=0 src0=1 src1=0 src2=0
	v_fmac_f32_e32 v59, v27 /*v283*/, v170
	v_dual_fma_f32 v27, v26 /*v282*/, v170, -v27 :: v_dual_fmac_f32 v61, v29 /*v285*/, v172
	s_set_vgpr_msb 0                        ;  msbs: dst=0 src0=0 src1=0 src2=0
	v_add_f32_e32 v11, v11, v25
	v_add_f32_e32 v9, v9, v57
	s_set_vgpr_msb 1                        ;  msbs: dst=0 src0=1 src1=0 src2=0
	v_dual_mul_f32 v25, v41 /*v297*/, v185 :: v_dual_fma_f32 v13, v28 /*v284*/, v172, -v13
	v_dual_mul_f32 v65, v32 /*v288*/, v177 :: v_dual_mul_f32 v67, v34 /*v290*/, v179
	s_set_vgpr_msb 0                        ;  msbs: dst=0 src0=0 src1=0 src2=0
	v_add_f32_e32 v11, v11, v27
	s_set_vgpr_msb 1                        ;  msbs: dst=0 src0=1 src1=0 src2=0
	v_mul_f32_e32 v27, v43 /*v299*/, v187
	s_set_vgpr_msb 0                        ;  msbs: dst=0 src0=0 src1=0 src2=0
	v_add_f32_e32 v9, v9, v59
	s_set_vgpr_msb 1                        ;  msbs: dst=0 src0=1 src1=0 src2=0
	v_fmac_f32_e32 v63, v31 /*v287*/, v174
	v_dual_fma_f32 v15, v30 /*v286*/, v174, -v15 :: v_dual_fmac_f32 v65, v33 /*v289*/, v176
	s_set_vgpr_msb 0                        ;  msbs: dst=0 src0=0 src1=0 src2=0
	v_add_f32_e32 v11, v11, v13
	v_add_f32_e32 v9, v9, v61
	s_set_vgpr_msb 1                        ;  msbs: dst=0 src0=1 src1=0 src2=0
	v_dual_mul_f32 v13, v45 /*v301*/, v189 :: v_dual_fma_f32 v17, v32 /*v288*/, v176, -v17
	v_dual_mul_f32 v69, v36 /*v292*/, v181 :: v_dual_mul_f32 v71, v38 /*v294*/, v183
	s_set_vgpr_msb 0                        ;  msbs: dst=0 src0=0 src1=0 src2=0
	v_add_f32_e32 v11, v11, v15
	s_set_vgpr_msb 1                        ;  msbs: dst=0 src0=1 src1=0 src2=0
	v_mul_f32_e32 v15, v47 /*v303*/, v191
	s_set_vgpr_msb 0                        ;  msbs: dst=0 src0=0 src1=0 src2=0
	v_add_f32_e32 v9, v9, v63
	s_set_vgpr_msb 1                        ;  msbs: dst=0 src0=1 src1=0 src2=0
	v_fmac_f32_e32 v67, v35 /*v291*/, v178
	v_dual_fma_f32 v19, v34 /*v290*/, v178, -v19 :: v_dual_fmac_f32 v69, v37 /*v293*/, v180
	s_set_vgpr_msb 0                        ;  msbs: dst=0 src0=0 src1=0 src2=0
	v_add_f32_e32 v11, v11, v17
	v_add_f32_e32 v9, v9, v65
	s_set_vgpr_msb 1                        ;  msbs: dst=0 src0=1 src1=0 src2=0
	v_dual_mul_f32 v17, v49 /*v305*/, v193 :: v_dual_fma_f32 v21, v36 /*v292*/, v180, -v21
	v_dual_mul_f32 v73, v40 /*v296*/, v185 :: v_dual_mul_f32 v75, v42 /*v298*/, v187
	s_set_vgpr_msb 0                        ;  msbs: dst=0 src0=0 src1=0 src2=0
	v_add_f32_e32 v11, v11, v19
	s_set_vgpr_msb 1                        ;  msbs: dst=0 src0=1 src1=0 src2=0
	v_mul_f32_e32 v19, v51 /*v307*/, v195
	s_set_vgpr_msb 0                        ;  msbs: dst=0 src0=0 src1=0 src2=0
	v_add_f32_e32 v9, v9, v67
	s_set_vgpr_msb 1                        ;  msbs: dst=0 src0=1 src1=0 src2=0
	v_fmac_f32_e32 v71, v39 /*v295*/, v182
	v_dual_fma_f32 v23, v38 /*v294*/, v182, -v23 :: v_dual_fmac_f32 v73, v41 /*v297*/, v184
	s_set_vgpr_msb 0                        ;  msbs: dst=0 src0=0 src1=0 src2=0
	v_add_f32_e32 v11, v11, v21
	v_add_f32_e32 v9, v9, v69
	s_set_vgpr_msb 1                        ;  msbs: dst=0 src0=1 src1=0 src2=0
	v_dual_mul_f32 v21, v53 /*v309*/, v197 :: v_dual_fma_f32 v25, v40 /*v296*/, v184, -v25
	v_dual_mul_f32 v77, v44 /*v300*/, v189 :: v_dual_mul_f32 v79, v46 /*v302*/, v191
	s_set_vgpr_msb 0                        ;  msbs: dst=0 src0=0 src1=0 src2=0
	v_add_f32_e32 v11, v11, v23
	s_set_vgpr_msb 1                        ;  msbs: dst=0 src0=1 src1=0 src2=0
	v_mul_f32_e32 v23, v55 /*v311*/, v199
	s_set_vgpr_msb 0                        ;  msbs: dst=0 src0=0 src1=0 src2=0
	v_add_f32_e32 v9, v9, v71
	s_set_vgpr_msb 1                        ;  msbs: dst=0 src0=1 src1=0 src2=0
	v_dual_fmac_f32 v75, v43 /*v299*/, v186 :: v_dual_fmac_f32 v77, v45 /*v301*/, v188
	v_dual_fma_f32 v27, v42 /*v298*/, v186, -v27 :: v_dual_fma_f32 v13, v44 /*v300*/, v188, -v13
	s_set_vgpr_msb 0                        ;  msbs: dst=0 src0=0 src1=0 src2=0
	v_add_f32_e32 v11, v11, v25
	v_add_f32_e32 v9, v9, v73
	s_set_vgpr_msb 1                        ;  msbs: dst=0 src0=1 src1=0 src2=0
	v_dual_mul_f32 v81, v48 /*v304*/, v193 :: v_dual_mul_f32 v83, v50 /*v306*/, v195
	s_wait_loadcnt 0x5
	s_set_vgpr_msb 0                        ;  msbs: dst=0 src0=0 src1=0 src2=0
	v_dual_mul_f32 v25, v233, v201 :: v_dual_add_f32 v11, v11, v27
	v_dual_add_f32 v9, v9, v75 :: v_dual_mov_b32 v120, v203
	s_set_vgpr_msb 1                        ;  msbs: dst=0 src0=1 src1=0 src2=0
	v_dual_fmac_f32 v79, v47 /*v303*/, v190 :: v_dual_fmac_f32 v81, v49 /*v305*/, v192
	v_fma_f32 v15, v46 /*v302*/, v190, -v15
	s_set_vgpr_msb 0                        ;  msbs: dst=0 src0=0 src1=0 src2=0
	v_add_f32_e32 v11, v11, v13
	s_set_vgpr_msb 1                        ;  msbs: dst=0 src0=1 src1=0 src2=0
	v_fma_f32 v13, v48 /*v304*/, v192, -v17
	s_set_vgpr_msb 0                        ;  msbs: dst=0 src0=0 src1=0 src2=0
	v_add_f32_e32 v9, v9, v77
	s_set_vgpr_msb 1                        ;  msbs: dst=0 src0=1 src1=0 src2=0
	v_dual_fmac_f32 v83, v51 /*v307*/, v194 :: v_dual_fmac_f32 v85, v53 /*v309*/, v196
	s_set_vgpr_msb 0                        ;  msbs: dst=0 src0=0 src1=0 src2=0
	v_add_f32_e32 v11, v11, v15
	s_set_vgpr_msb 1                        ;  msbs: dst=0 src0=1 src1=0 src2=0
	v_fma_f32 v15, v50 /*v306*/, v194, -v19
	s_wait_loadcnt 0x4
	s_set_vgpr_msb 0                        ;  msbs: dst=0 src0=0 src1=0 src2=0
	v_dual_add_f32 v9, v9, v79 :: v_dual_mov_b32 v124, v207
	s_set_vgpr_msb 0x41                     ;  msbs: dst=1 src0=1 src1=0 src2=0
	v_dual_mul_f32 v71 /*v327*/, v54 /*v310*/, v199 :: v_dual_fma_f32 v70 /*v326*/, v54 /*v310*/, v198, -v23
	s_set_vgpr_msb 1                        ;  msbs: dst=0 src0=1 src1=0 src2=0
	v_pk_mul_f32 v[120:121], v[62:63] /*v[318:319]*/, v[120:121] op_sel_hi:[1,0]
	s_set_vgpr_msb 0                        ;  msbs: dst=0 src0=0 src1=0 src2=0
	v_add_f32_e32 v9, v9, v81
	v_add_f32_e32 v11, v11, v13
	s_set_vgpr_msb 1                        ;  msbs: dst=0 src0=1 src1=0 src2=0
	v_fma_f32 v13, v52 /*v308*/, v196, -v21
	s_set_vgpr_msb 64                       ;  msbs: dst=1 src0=0 src1=0 src2=0
	v_dual_mul_f32 v73 /*v329*/, v232, v201 :: v_dual_fma_f32 v72 /*v328*/, v232, v200, -v25
	s_set_vgpr_msb 0                        ;  msbs: dst=0 src0=0 src1=0 src2=0
	v_add_f32_e32 v9, v9, v83
	v_add_f32_e32 v11, v11, v15
	s_set_vgpr_msb 0x41                     ;  msbs: dst=1 src0=1 src1=0 src2=0
	v_fmac_f32_e32 v71 /*v327*/, v55 /*v311*/, v198
	s_set_vgpr_msb 0                        ;  msbs: dst=0 src0=0 src1=0 src2=0
	v_pk_fma_f32 v[132:133], v[234:235], v[202:203], v[120:121] op_sel_hi:[1,0,1]
	v_pk_fma_f32 v[120:121], v[234:235], v[202:203], v[120:121] neg_lo:[0,0,1] neg_hi:[0,0,1]
	v_add_f32_e32 v129, v9, v85
	v_add_f32_e32 v128, v11, v13
	v_pk_mul_f32 v[122:123], v[244:245], v[204:205] op_sel:[1,1] op_sel_hi:[0,1]
	s_set_vgpr_msb 64                       ;  msbs: dst=1 src0=0 src1=0 src2=0
	v_fmac_f32_e32 v73 /*v329*/, v233, v200
	s_set_vgpr_msb 0                        ;  msbs: dst=0 src0=0 src1=0 src2=0
	v_mov_b32_e32 v121, v133
	s_set_vgpr_msb 1                        ;  msbs: dst=0 src0=1 src1=0 src2=0
	v_pk_mul_f32 v[124:125], v[64:65] /*v[320:321]*/, v[124:125] op_sel_hi:[1,0]
	s_set_vgpr_msb 4                        ;  msbs: dst=0 src0=0 src1=1 src2=0
	v_pk_add_f32 v[128:129], v[128:129], v[70:71] /*v[326:327]*/
	s_set_vgpr_msb 0                        ;  msbs: dst=0 src0=0 src1=0 src2=0
	v_pk_fma_f32 v[134:135], v[244:245], v[204:205], v[122:123] op_sel_hi:[1,0,1]
	v_pk_fma_f32 v[122:123], v[244:245], v[204:205], v[122:123] neg_lo:[0,0,1] neg_hi:[0,0,1]
	s_wait_loadcnt 0x3
	v_pk_mul_f32 v[126:127], v[248:249], v[208:209] op_sel:[1,1] op_sel_hi:[0,1]
	v_mov_b32_e32 v130, v211
	s_set_vgpr_msb 4                        ;  msbs: dst=0 src0=0 src1=1 src2=0
	v_pk_add_f32 v[128:129], v[128:129], v[72:73] /*v[328:329]*/
	v_mov_b32_e32 v123, v135
	s_set_vgpr_msb 0                        ;  msbs: dst=0 src0=0 src1=0 src2=0
	v_pk_fma_f32 v[134:135], v[246:247], v[206:207], v[124:125] op_sel_hi:[1,0,1]
	v_pk_fma_f32 v[124:125], v[246:247], v[206:207], v[124:125] neg_lo:[0,0,1] neg_hi:[0,0,1]
	s_set_vgpr_msb 1                        ;  msbs: dst=0 src0=1 src1=0 src2=0
	v_pk_mul_f32 v[130:131], v[66:67] /*v[322:323]*/, v[130:131] op_sel_hi:[1,0]
	s_set_vgpr_msb 0                        ;  msbs: dst=0 src0=0 src1=0 src2=0
	v_pk_add_f32 v[120:121], v[128:129], v[120:121]
	v_pk_fma_f32 v[128:129], v[248:249], v[208:209], v[126:127] op_sel_hi:[1,0,1]
	v_mov_b32_e32 v125, v135
	v_pk_fma_f32 v[126:127], v[248:249], v[208:209], v[126:127] neg_lo:[0,0,1] neg_hi:[0,0,1]
	s_wait_loadcnt 0x2
	s_set_vgpr_msb 1                        ;  msbs: dst=0 src0=1 src1=0 src2=0
	v_pk_mul_f32 v[132:133], v[4:5] /*v[260:261]*/, v[212:213] op_sel:[1,1] op_sel_hi:[0,1]
	s_set_vgpr_msb 0                        ;  msbs: dst=0 src0=0 src1=0 src2=0
	v_pk_add_f32 v[120:121], v[120:121], v[122:123]
	v_dual_mov_b32 v122, v215 :: v_dual_mov_b32 v127, v129
	v_pk_fma_f32 v[128:129], v[250:251], v[210:211], v[130:131] op_sel_hi:[1,0,1]
	v_pk_fma_f32 v[130:131], v[250:251], v[210:211], v[130:131] neg_lo:[0,0,1] neg_hi:[0,0,1]
	s_delay_alu instid0(VALU_DEP_4)
	v_pk_add_f32 v[120:121], v[120:121], v[124:125]
	s_set_vgpr_msb 1                        ;  msbs: dst=0 src0=1 src1=0 src2=0
	v_pk_fma_f32 v[124:125], v[4:5] /*v[260:261]*/, v[212:213], v[132:133] op_sel_hi:[1,0,1]
	v_pk_mul_f32 v[122:123], v[68:69] /*v[324:325]*/, v[122:123] op_sel_hi:[1,0]
	s_set_vgpr_msb 0                        ;  msbs: dst=0 src0=0 src1=0 src2=0
	v_mov_b32_e32 v131, v129
	s_wait_loadcnt_dscnt 0x100
	s_set_vgpr_msb 5                        ;  msbs: dst=0 src0=1 src1=1 src2=0
	v_pk_mul_f32 v[128:129], v[60:61] /*v[316:317]*/, v[56:57] /*v[312:313]*/ op_sel:[1,1] op_sel_hi:[0,1]
	s_set_vgpr_msb 0                        ;  msbs: dst=0 src0=0 src1=0 src2=0
	v_pk_add_f32 v[120:121], v[120:121], v[126:127]
	s_set_vgpr_msb 1                        ;  msbs: dst=0 src0=1 src1=0 src2=0
	v_pk_fma_f32 v[126:127], v[4:5] /*v[260:261]*/, v[212:213], v[132:133] neg_lo:[0,0,1] neg_hi:[0,0,1]
	s_set_vgpr_msb 0                        ;  msbs: dst=0 src0=0 src1=0 src2=0
	v_mov_b32_e32 v127, v125
	s_set_vgpr_msb 1                        ;  msbs: dst=0 src0=1 src1=0 src2=0
	v_pk_fma_f32 v[124:125], v[6:7] /*v[262:263]*/, v[214:215], v[122:123] op_sel_hi:[1,0,1]
	v_pk_fma_f32 v[122:123], v[6:7] /*v[262:263]*/, v[214:215], v[122:123] neg_lo:[0,0,1] neg_hi:[0,0,1]
	s_set_vgpr_msb 0                        ;  msbs: dst=0 src0=0 src1=0 src2=0
	v_pk_add_f32 v[120:121], v[120:121], v[130:131]
	s_delay_alu instid0(VALU_DEP_3)
	v_mov_b32_e32 v123, v125
	s_set_vgpr_msb 5                        ;  msbs: dst=0 src0=1 src1=1 src2=0
	v_pk_fma_f32 v[124:125], v[60:61] /*v[316:317]*/, v[56:57] /*v[312:313]*/, v[128:129] op_sel_hi:[1,0,1]
	s_set_vgpr_msb 0                        ;  msbs: dst=0 src0=0 src1=0 src2=0
	v_pk_add_f32 v[120:121], v[120:121], v[126:127]
	s_set_vgpr_msb 5                        ;  msbs: dst=0 src0=1 src1=1 src2=0
	v_pk_fma_f32 v[126:127], v[60:61] /*v[316:317]*/, v[56:57] /*v[312:313]*/, v[128:129] neg_lo:[0,0,1] neg_hi:[0,0,1]
	s_set_vgpr_msb 0                        ;  msbs: dst=0 src0=0 src1=0 src2=0
	v_mov_b32_e32 v127, v125
	v_pk_add_f32 v[120:121], v[120:121], v[122:123]
	s_delay_alu instid0(VALU_DEP_1) | instskip(SKIP_2) | instid1(VALU_DEP_1)
	v_pk_add_f32 v[120:121], v[120:121], v[126:127]
	s_wait_loadcnt 0x0
	s_set_vgpr_msb 1                        ;  msbs: dst=0 src0=1 src1=0 src2=0
	v_pk_add_f32 v[120:121], v[58:59] /*v[314:315]*/, v[120:121] neg_lo:[0,1] neg_hi:[0,1]
	scratch_store_b64 off, v[120:121], off offset:72
	s_wait_xcnt 0x0
	v_cmpx_lt_u32_e32 8, v0
	s_set_vgpr_msb 0                        ;  msbs: dst=0 src0=0 src1=0 src2=0
	s_cbranch_execz .LBB122_351
; %bb.350:
	scratch_load_b64 v[120:121], off, off offset:64
	v_mov_b64_e32 v[122:123], 0
	scratch_store_b64 off, v[122:123], off offset:64
	s_wait_loadcnt 0x0
	ds_store_b64 v1, v[120:121]
.LBB122_351:
	s_wait_xcnt 0x0
	s_or_b32 exec_lo, exec_lo, s0
	s_wait_storecnt_dscnt 0x0
	s_barrier_signal -1
	s_barrier_wait -1
	s_clause 0x18
	scratch_load_b128 v[120:123], off, off offset:72
	scratch_load_b128 v[124:127], off, off offset:88
	;; [unrolled: 1-line block ×25, first 2 shown]
	ds_load_2addr_b64 v[220:223], v7 offset0:69 offset1:70
	ds_load_2addr_b64 v[224:227], v7 offset0:71 offset1:72
	;; [unrolled: 1-line block ×9, first 2 shown]
	s_set_vgpr_msb 64                       ;  msbs: dst=1 src0=0 src1=0 src2=0
	ds_load_2addr_b64 v[0:3] /*v[256:259]*/, v7 offset0:115 offset1:116
	ds_load_2addr_b64 v[4:7] /*v[260:263]*/, v7 offset0:81 offset1:82
	;; [unrolled: 1-line block ×10, first 2 shown]
	scratch_load_b64 v[64:65] /*v[320:321]*/, off, off offset:64
	ds_load_2addr_b64 v[40:43] /*v[296:299]*/, v7 offset0:97 offset1:98
	ds_load_2addr_b64 v[44:47] /*v[300:303]*/, v7 offset0:99 offset1:100
	;; [unrolled: 1-line block ×6, first 2 shown]
	s_mov_b32 s0, exec_lo
	s_wait_dscnt 0x13
	v_dual_mov_b32 v66 /*v322*/, v243 :: v_dual_mov_b32 v67 /*v323*/, v242
	s_wait_dscnt 0x10
	v_dual_mov_b32 v68 /*v324*/, v255 :: v_dual_mov_b32 v69 /*v325*/, v254
	s_wait_dscnt 0xf
	s_set_vgpr_msb 0x41                     ;  msbs: dst=1 src0=1 src1=0 src2=0
	v_dual_mov_b32 v70 /*v326*/, v3 /*v259*/ :: v_dual_mov_b32 v71 /*v327*/, v2 /*v258*/
	s_wait_dscnt 0xc
	v_dual_mov_b32 v72 /*v328*/, v15 /*v271*/ :: v_dual_mov_b32 v73 /*v329*/, v14 /*v270*/
	s_wait_loadcnt 0x19
	s_set_vgpr_msb 0                        ;  msbs: dst=0 src0=0 src1=0 src2=0
	v_dual_mul_f32 v7, v220, v121 :: v_dual_mul_f32 v9, v222, v123
	v_dual_mul_f32 v87, v221, v121 :: v_dual_mul_f32 v89, v223, v123
	s_wait_loadcnt 0x18
	v_dual_mul_f32 v11, v224, v125 :: v_dual_mul_f32 v13, v226, v127
	s_delay_alu instid0(VALU_DEP_3) | instskip(SKIP_3) | instid1(VALU_DEP_3)
	v_dual_fmac_f32 v7, v221, v120 :: v_dual_fmac_f32 v9, v223, v122
	s_wait_loadcnt 0x16
	v_dual_fma_f32 v87, v220, v120, -v87 :: v_dual_mul_f32 v99, v233, v133
	v_dual_mul_f32 v91, v225, v125 :: v_dual_mul_f32 v93, v227, v127
	v_dual_fma_f32 v89, v222, v122, -v89 :: v_dual_add_f32 v7, 0, v7
	s_delay_alu instid0(VALU_DEP_3) | instskip(SKIP_1) | instid1(VALU_DEP_4)
	v_dual_add_f32 v87, 0, v87 :: v_dual_fmac_f32 v11, v225, v124
	v_dual_mul_f32 v15, v228, v129 :: v_dual_mul_f32 v17, v230, v131
	v_dual_mul_f32 v101, v235, v135 :: v_dual_fma_f32 v91, v224, v124, -v91
	s_delay_alu instid0(VALU_DEP_4) | instskip(NEXT) | instid1(VALU_DEP_3)
	v_add_f32_e32 v7, v7, v9
	v_dual_add_f32 v9, v87, v89 :: v_dual_fmac_f32 v15, v229, v128
	v_dual_mul_f32 v95, v229, v129 :: v_dual_mul_f32 v97, v231, v131
	s_wait_loadcnt 0x15
	v_dual_mul_f32 v87, v245, v137 :: v_dual_fmac_f32 v13, v227, v126
	v_dual_fma_f32 v89, v226, v126, -v93 :: v_dual_add_f32 v7, v7, v11
	s_delay_alu instid0(VALU_DEP_3) | instskip(SKIP_1) | instid1(VALU_DEP_3)
	v_dual_add_f32 v9, v9, v91 :: v_dual_fma_f32 v91, v228, v128, -v95
	v_dual_mul_f32 v19, v232, v133 :: v_dual_mul_f32 v21, v234, v135
	v_add_f32_e32 v7, v7, v13
	s_delay_alu instid0(VALU_DEP_3) | instskip(SKIP_2) | instid1(VALU_DEP_3)
	v_dual_mul_f32 v11, v247, v139 :: v_dual_add_f32 v9, v9, v89
	s_wait_loadcnt 0x14
	v_dual_mul_f32 v13, v249, v141 :: v_dual_fmac_f32 v17, v231, v130
	v_dual_fma_f32 v89, v230, v130, -v97 :: v_dual_add_f32 v7, v7, v15
	s_delay_alu instid0(VALU_DEP_3) | instskip(SKIP_1) | instid1(VALU_DEP_3)
	v_dual_add_f32 v9, v9, v91 :: v_dual_fma_f32 v91, v232, v132, -v99
	v_dual_mul_f32 v15, v251, v143 :: v_dual_fmac_f32 v19, v233, v132
	v_add_f32_e32 v7, v7, v17
	s_delay_alu instid0(VALU_DEP_3) | instskip(SKIP_1) | instid1(VALU_DEP_3)
	v_dual_add_f32 v9, v9, v89 :: v_dual_fmac_f32 v21, v235, v134
	v_dual_mul_f32 v23, v244, v137 :: v_dual_mul_f32 v25, v246, v139
	v_dual_fma_f32 v89, v234, v134, -v101 :: v_dual_add_f32 v7, v7, v19
	s_delay_alu instid0(VALU_DEP_3) | instskip(NEXT) | instid1(VALU_DEP_3)
	v_dual_add_f32 v9, v9, v91 :: v_dual_fma_f32 v87, v244, v136, -v87
	v_dual_fmac_f32 v23, v245, v136 :: v_dual_mul_f32 v27, v248, v141
	s_delay_alu instid0(VALU_DEP_3) | instskip(NEXT) | instid1(VALU_DEP_3)
	v_dual_mul_f32 v29, v250, v143 :: v_dual_add_f32 v7, v7, v21
	v_dual_fma_f32 v11, v246, v138, -v11 :: v_dual_add_f32 v9, v9, v89
	s_delay_alu instid0(VALU_DEP_3) | instskip(NEXT) | instid1(VALU_DEP_3)
	v_dual_fmac_f32 v25, v247, v138 :: v_dual_fmac_f32 v27, v249, v140
	v_dual_add_f32 v7, v7, v23 :: v_dual_fma_f32 v13, v248, v140, -v13
	s_delay_alu instid0(VALU_DEP_3)
	v_add_f32_e32 v9, v9, v87
	s_wait_loadcnt 0x13
	s_set_vgpr_msb 1                        ;  msbs: dst=0 src0=1 src1=0 src2=0
	v_dual_mul_f32 v31, v4 /*v260*/, v145 :: v_dual_mul_f32 v33, v6 /*v262*/, v147
	s_set_vgpr_msb 0                        ;  msbs: dst=0 src0=0 src1=0 src2=0
	v_add_f32_e32 v7, v7, v25
	s_set_vgpr_msb 1                        ;  msbs: dst=0 src0=1 src1=0 src2=0
	v_dual_mul_f32 v17, v5 /*v261*/, v145 :: v_dual_mul_f32 v19, v7 /*v263*/, v147
	s_set_vgpr_msb 0                        ;  msbs: dst=0 src0=0 src1=0 src2=0
	v_dual_add_f32 v9, v9, v11 :: v_dual_fmac_f32 v29, v251, v142
	v_dual_fma_f32 v15, v250, v142, -v15 :: v_dual_add_f32 v7, v7, v27
	s_set_vgpr_msb 1                        ;  msbs: dst=0 src0=1 src1=0 src2=0
	v_dual_fmac_f32 v31, v5 /*v261*/, v144 :: v_dual_fma_f32 v17, v4 /*v260*/, v144, -v17
	s_set_vgpr_msb 0                        ;  msbs: dst=0 src0=0 src1=0 src2=0
	v_add_f32_e32 v9, v9, v13
	s_wait_loadcnt 0x12
	s_set_vgpr_msb 1                        ;  msbs: dst=0 src0=1 src1=0 src2=0
	v_dual_mul_f32 v35, v8 /*v264*/, v149 :: v_dual_mul_f32 v37, v10 /*v266*/, v151
	s_set_vgpr_msb 0                        ;  msbs: dst=0 src0=0 src1=0 src2=0
	v_add_f32_e32 v7, v7, v29
	s_set_vgpr_msb 1                        ;  msbs: dst=0 src0=1 src1=0 src2=0
	v_dual_mul_f32 v21, v9 /*v265*/, v149 :: v_dual_mul_f32 v23, v11 /*v267*/, v151
	s_set_vgpr_msb 0                        ;  msbs: dst=0 src0=0 src1=0 src2=0
	v_add_f32_e32 v9, v9, v15
	s_wait_loadcnt_dscnt 0x100a
	s_set_vgpr_msb 1                        ;  msbs: dst=0 src0=1 src1=0 src2=0
	v_dual_mul_f32 v15, v21 /*v277*/, v157 :: v_dual_fmac_f32 v33, v7 /*v263*/, v146
	v_fma_f32 v19, v6 /*v262*/, v146, -v19
	s_set_vgpr_msb 0                        ;  msbs: dst=0 src0=0 src1=0 src2=0
	v_dual_add_f32 v7, v7, v31 :: v_dual_add_f32 v9, v9, v17
	s_set_vgpr_msb 1                        ;  msbs: dst=0 src0=1 src1=0 src2=0
	v_dual_mul_f32 v17, v23 /*v279*/, v159 :: v_dual_fmac_f32 v35, v9 /*v265*/, v148
	v_fma_f32 v21, v8 /*v264*/, v148, -v21
	s_set_vgpr_msb 0                        ;  msbs: dst=0 src0=0 src1=0 src2=0
	v_dual_add_f32 v7, v7, v33 :: v_dual_add_f32 v9, v9, v19
	s_set_vgpr_msb 1                        ;  msbs: dst=0 src0=1 src1=0 src2=0
	v_dual_mul_f32 v11, v17 /*v273*/, v153 :: v_dual_mul_f32 v13, v19 /*v275*/, v155
	s_wait_loadcnt_dscnt 0xf09
	v_dual_mul_f32 v19, v25 /*v281*/, v161 :: v_dual_fmac_f32 v37, v11 /*v267*/, v150
	v_fma_f32 v23, v10 /*v266*/, v150, -v23
	s_set_vgpr_msb 0                        ;  msbs: dst=0 src0=0 src1=0 src2=0
	v_dual_add_f32 v7, v7, v35 :: v_dual_add_f32 v9, v9, v21
	s_set_vgpr_msb 1                        ;  msbs: dst=0 src0=1 src1=0 src2=0
	v_dual_mul_f32 v39, v16 /*v272*/, v153 :: v_dual_mul_f32 v41, v18 /*v274*/, v155
	v_dual_mul_f32 v21, v27 /*v283*/, v163 :: v_dual_fma_f32 v11, v16 /*v272*/, v152, -v11
	s_set_vgpr_msb 0                        ;  msbs: dst=0 src0=0 src1=0 src2=0
	v_dual_add_f32 v7, v7, v37 :: v_dual_add_f32 v9, v9, v23
	s_set_vgpr_msb 1                        ;  msbs: dst=0 src0=1 src1=0 src2=0
	v_dual_fmac_f32 v39, v17 /*v273*/, v152 :: v_dual_fmac_f32 v41, v19 /*v275*/, v154
	s_wait_loadcnt_dscnt 0xe08
	v_dual_mul_f32 v23, v29 /*v285*/, v165 :: v_dual_fma_f32 v13, v18 /*v274*/, v154, -v13
	s_set_vgpr_msb 0                        ;  msbs: dst=0 src0=0 src1=0 src2=0
	v_add_f32_e32 v9, v9, v11
	s_set_vgpr_msb 1                        ;  msbs: dst=0 src0=1 src1=0 src2=0
	v_dual_mul_f32 v43, v20 /*v276*/, v157 :: v_dual_mul_f32 v45, v22 /*v278*/, v159
	v_mul_f32_e32 v11, v31 /*v287*/, v167
	s_set_vgpr_msb 0                        ;  msbs: dst=0 src0=0 src1=0 src2=0
	v_dual_add_f32 v7, v7, v39 :: v_dual_add_f32 v9, v9, v13
	s_wait_loadcnt_dscnt 0xd07
	s_set_vgpr_msb 1                        ;  msbs: dst=0 src0=1 src1=0 src2=0
	v_dual_fma_f32 v15, v20 /*v276*/, v156, -v15 :: v_dual_mul_f32 v13, v33 /*v289*/, v169
	v_dual_fmac_f32 v43, v21 /*v277*/, v156 :: v_dual_fmac_f32 v45, v23 /*v279*/, v158
	s_set_vgpr_msb 0                        ;  msbs: dst=0 src0=0 src1=0 src2=0
	v_add_f32_e32 v7, v7, v41
	s_set_vgpr_msb 1                        ;  msbs: dst=0 src0=1 src1=0 src2=0
	v_fma_f32 v17, v22 /*v278*/, v158, -v17
	s_set_vgpr_msb 0                        ;  msbs: dst=0 src0=0 src1=0 src2=0
	v_add_f32_e32 v9, v9, v15
	s_set_vgpr_msb 1                        ;  msbs: dst=0 src0=1 src1=0 src2=0
	v_dual_mul_f32 v47, v24 /*v280*/, v161 :: v_dual_mul_f32 v49, v26 /*v282*/, v163
	v_mul_f32_e32 v15, v35 /*v291*/, v171
	s_set_vgpr_msb 0                        ;  msbs: dst=0 src0=0 src1=0 src2=0
	v_dual_add_f32 v7, v7, v43 :: v_dual_add_f32 v9, v9, v17
	s_wait_loadcnt_dscnt 0xc06
	s_set_vgpr_msb 1                        ;  msbs: dst=0 src0=1 src1=0 src2=0
	v_dual_fma_f32 v19, v24 /*v280*/, v160, -v19 :: v_dual_mul_f32 v17, v37 /*v293*/, v173
	v_dual_fmac_f32 v47, v25 /*v281*/, v160 :: v_dual_fmac_f32 v49, v27 /*v283*/, v162
	s_set_vgpr_msb 0                        ;  msbs: dst=0 src0=0 src1=0 src2=0
	v_add_f32_e32 v7, v7, v45
	s_set_vgpr_msb 1                        ;  msbs: dst=0 src0=1 src1=0 src2=0
	v_fma_f32 v21, v26 /*v282*/, v162, -v21
	s_set_vgpr_msb 0                        ;  msbs: dst=0 src0=0 src1=0 src2=0
	v_add_f32_e32 v9, v9, v19
	s_set_vgpr_msb 1                        ;  msbs: dst=0 src0=1 src1=0 src2=0
	v_dual_mul_f32 v51, v28 /*v284*/, v165 :: v_dual_mul_f32 v53, v30 /*v286*/, v167
	v_mul_f32_e32 v19, v39 /*v295*/, v175
	s_set_vgpr_msb 0                        ;  msbs: dst=0 src0=0 src1=0 src2=0
	v_dual_add_f32 v7, v7, v47 :: v_dual_add_f32 v9, v9, v21
	s_wait_loadcnt_dscnt 0xb05
	s_set_vgpr_msb 1                        ;  msbs: dst=0 src0=1 src1=0 src2=0
	v_dual_fma_f32 v23, v28 /*v284*/, v164, -v23 :: v_dual_mul_f32 v21, v41 /*v297*/, v177
	v_dual_mul_f32 v55, v32 /*v288*/, v169 :: v_dual_mul_f32 v57, v34 /*v290*/, v171
	v_dual_mul_f32 v59, v36 /*v292*/, v173 :: v_dual_mul_f32 v61, v38 /*v294*/, v175
	v_dual_fmac_f32 v51, v29 /*v285*/, v164 :: v_dual_fmac_f32 v53, v31 /*v287*/, v166
	v_fma_f32 v11, v30 /*v286*/, v166, -v11
	s_set_vgpr_msb 0                        ;  msbs: dst=0 src0=0 src1=0 src2=0
	v_dual_add_f32 v9, v9, v23 :: v_dual_add_f32 v7, v7, v49
	s_set_vgpr_msb 1                        ;  msbs: dst=0 src0=1 src1=0 src2=0
	v_dual_mul_f32 v23, v43 /*v299*/, v179 :: v_dual_fmac_f32 v55, v33 /*v289*/, v168
	v_fma_f32 v13, v32 /*v288*/, v168, -v13
	v_dual_fmac_f32 v57, v35 /*v291*/, v170 :: v_dual_fmac_f32 v59, v37 /*v293*/, v172
	s_set_vgpr_msb 0                        ;  msbs: dst=0 src0=0 src1=0 src2=0
	v_add_f32_e32 v9, v9, v11
	s_set_vgpr_msb 1                        ;  msbs: dst=0 src0=1 src1=0 src2=0
	v_dual_mul_f32 v63, v40 /*v296*/, v177 :: v_dual_mul_f32 v65, v42 /*v298*/, v179
	s_set_vgpr_msb 0                        ;  msbs: dst=0 src0=0 src1=0 src2=0
	v_add_f32_e32 v7, v7, v51
	s_wait_loadcnt_dscnt 0xa04
	s_set_vgpr_msb 1                        ;  msbs: dst=0 src0=1 src1=0 src2=0
	v_dual_mul_f32 v11, v45 /*v301*/, v181 :: v_dual_fma_f32 v15, v34 /*v290*/, v170, -v15
	s_set_vgpr_msb 0                        ;  msbs: dst=0 src0=0 src1=0 src2=0
	v_add_f32_e32 v9, v9, v13
	s_set_vgpr_msb 1                        ;  msbs: dst=0 src0=1 src1=0 src2=0
	v_dual_mul_f32 v13, v47 /*v303*/, v183 :: v_dual_fma_f32 v17, v36 /*v292*/, v172, -v17
	s_set_vgpr_msb 0                        ;  msbs: dst=0 src0=0 src1=0 src2=0
	v_add_f32_e32 v7, v7, v53
	s_set_vgpr_msb 1                        ;  msbs: dst=0 src0=1 src1=0 src2=0
	v_dual_fmac_f32 v61, v39 /*v295*/, v174 :: v_dual_fmac_f32 v63, v41 /*v297*/, v176
	s_set_vgpr_msb 0                        ;  msbs: dst=0 src0=0 src1=0 src2=0
	v_add_f32_e32 v9, v9, v15
	s_set_vgpr_msb 1                        ;  msbs: dst=0 src0=1 src1=0 src2=0
	v_dual_mul_f32 v67, v44 /*v300*/, v181 :: v_dual_mul_f32 v69, v46 /*v302*/, v183
	s_set_vgpr_msb 0                        ;  msbs: dst=0 src0=0 src1=0 src2=0
	v_add_f32_e32 v7, v7, v55
	s_wait_loadcnt_dscnt 0x903
	s_set_vgpr_msb 1                        ;  msbs: dst=0 src0=1 src1=0 src2=0
	v_dual_mul_f32 v15, v49 /*v305*/, v185 :: v_dual_fma_f32 v19, v38 /*v294*/, v174, -v19
	s_set_vgpr_msb 0                        ;  msbs: dst=0 src0=0 src1=0 src2=0
	v_add_f32_e32 v9, v9, v17
	s_set_vgpr_msb 1                        ;  msbs: dst=0 src0=1 src1=0 src2=0
	v_dual_mul_f32 v17, v51 /*v307*/, v187 :: v_dual_fma_f32 v21, v40 /*v296*/, v176, -v21
	s_set_vgpr_msb 0                        ;  msbs: dst=0 src0=0 src1=0 src2=0
	v_add_f32_e32 v7, v7, v57
	s_set_vgpr_msb 1                        ;  msbs: dst=0 src0=1 src1=0 src2=0
	v_dual_fmac_f32 v65, v43 /*v299*/, v178 :: v_dual_fmac_f32 v67, v45 /*v301*/, v180
	s_set_vgpr_msb 0                        ;  msbs: dst=0 src0=0 src1=0 src2=0
	v_add_f32_e32 v9, v9, v19
	s_set_vgpr_msb 1                        ;  msbs: dst=0 src0=1 src1=0 src2=0
	v_dual_mul_f32 v71, v48 /*v304*/, v185 :: v_dual_mul_f32 v73, v50 /*v306*/, v187
	s_set_vgpr_msb 0                        ;  msbs: dst=0 src0=0 src1=0 src2=0
	v_add_f32_e32 v7, v7, v59
	s_wait_loadcnt_dscnt 0x802
	s_set_vgpr_msb 1                        ;  msbs: dst=0 src0=1 src1=0 src2=0
	v_dual_mul_f32 v19, v53 /*v309*/, v189 :: v_dual_fma_f32 v23, v42 /*v298*/, v178, -v23
	s_set_vgpr_msb 0                        ;  msbs: dst=0 src0=0 src1=0 src2=0
	v_add_f32_e32 v9, v9, v21
	s_set_vgpr_msb 1                        ;  msbs: dst=0 src0=1 src1=0 src2=0
	v_dual_mul_f32 v75, v52 /*v308*/, v189 :: v_dual_mul_f32 v77, v54 /*v310*/, v191
	s_set_vgpr_msb 0                        ;  msbs: dst=0 src0=0 src1=0 src2=0
	v_add_f32_e32 v7, v7, v61
	s_set_vgpr_msb 1                        ;  msbs: dst=0 src0=1 src1=0 src2=0
	v_dual_mul_f32 v21, v55 /*v311*/, v191 :: v_dual_fma_f32 v11, v44 /*v300*/, v180, -v11
	v_dual_fmac_f32 v69, v47 /*v303*/, v182 :: v_dual_fmac_f32 v71, v49 /*v305*/, v184
	s_set_vgpr_msb 0                        ;  msbs: dst=0 src0=0 src1=0 src2=0
	v_add_f32_e32 v9, v9, v23
	s_wait_loadcnt_dscnt 0x701
	s_set_vgpr_msb 1                        ;  msbs: dst=0 src0=1 src1=0 src2=0
	v_dual_mul_f32 v23, v57 /*v313*/, v193 :: v_dual_fma_f32 v13, v46 /*v302*/, v182, -v13
	v_dual_fmac_f32 v73, v51 /*v307*/, v186 :: v_dual_fmac_f32 v75, v53 /*v309*/, v188
	s_set_vgpr_msb 0                        ;  msbs: dst=0 src0=0 src1=0 src2=0
	v_add_f32_e32 v9, v9, v11
	v_add_f32_e32 v7, v7, v63
	s_set_vgpr_msb 1                        ;  msbs: dst=0 src0=1 src1=0 src2=0
	v_dual_mul_f32 v79, v56 /*v312*/, v193 :: v_dual_mul_f32 v81, v58 /*v314*/, v195
	v_dual_mul_f32 v11, v59 /*v315*/, v195 :: v_dual_fma_f32 v15, v48 /*v304*/, v184, -v15
	s_set_vgpr_msb 0                        ;  msbs: dst=0 src0=0 src1=0 src2=0
	v_add_f32_e32 v9, v9, v13
	v_add_f32_e32 v7, v7, v65
	s_wait_loadcnt_dscnt 0x600
	s_set_vgpr_msb 1                        ;  msbs: dst=0 src0=1 src1=0 src2=0
	v_dual_mul_f32 v13, v61 /*v317*/, v197 :: v_dual_fma_f32 v17, v50 /*v306*/, v186, -v17
	v_dual_fmac_f32 v77, v55 /*v311*/, v190 :: v_dual_fmac_f32 v79, v57 /*v313*/, v192
	s_set_vgpr_msb 0                        ;  msbs: dst=0 src0=0 src1=0 src2=0
	v_add_f32_e32 v9, v9, v15
	v_add_f32_e32 v7, v7, v67
	s_set_vgpr_msb 1                        ;  msbs: dst=0 src0=1 src1=0 src2=0
	v_dual_mul_f32 v15, v63 /*v319*/, v199 :: v_dual_fma_f32 v19, v52 /*v308*/, v188, -v19
	v_dual_fma_f32 v21, v54 /*v310*/, v190, -v21 :: v_dual_fma_f32 v23, v56 /*v312*/, v192, -v23
	s_set_vgpr_msb 0                        ;  msbs: dst=0 src0=0 src1=0 src2=0
	v_add_f32_e32 v9, v9, v17
	v_add_f32_e32 v7, v7, v69
	s_wait_loadcnt 0x4
	v_dual_mul_f32 v17, v237, v201 :: v_dual_mov_b32 v122, v207
	s_set_vgpr_msb 1                        ;  msbs: dst=0 src0=1 src1=0 src2=0
	v_dual_mul_f32 v83, v60 /*v316*/, v197 :: v_dual_mul_f32 v85, v62 /*v318*/, v199
	s_set_vgpr_msb 0                        ;  msbs: dst=0 src0=0 src1=0 src2=0
	v_add_f32_e32 v7, v7, v71
	v_add_f32_e32 v9, v9, v19
	s_set_vgpr_msb 1                        ;  msbs: dst=0 src0=1 src1=0 src2=0
	v_dual_fmac_f32 v81, v59 /*v315*/, v194 :: v_dual_fma_f32 v11, v58 /*v314*/, v194, -v11
	v_dual_fmac_f32 v83, v61 /*v317*/, v196 :: v_dual_fma_f32 v13, v60 /*v316*/, v196, -v13
	s_set_vgpr_msb 0                        ;  msbs: dst=0 src0=0 src1=0 src2=0
	v_add_f32_e32 v7, v7, v73
	v_add_f32_e32 v9, v9, v21
	s_set_vgpr_msb 64                       ;  msbs: dst=1 src0=0 src1=0 src2=0
	v_dual_mul_f32 v75 /*v331*/, v236, v201 :: v_dual_mul_f32 v77 /*v333*/, v238, v203
	s_set_vgpr_msb 1                        ;  msbs: dst=0 src0=1 src1=0 src2=0
	v_fmac_f32_e32 v85, v63 /*v319*/, v198
	s_set_vgpr_msb 0                        ;  msbs: dst=0 src0=0 src1=0 src2=0
	v_add_f32_e32 v7, v7, v75
	s_wait_loadcnt 0x3
	v_mov_b32_e32 v126, v211
	v_pk_mul_f32 v[120:121], v[240:241], v[204:205] op_sel:[1,1] op_sel_hi:[0,1]
	s_set_vgpr_msb 64                       ;  msbs: dst=1 src0=0 src1=0 src2=0
	v_dual_fmac_f32 v75 /*v331*/, v237, v200 :: v_dual_fmac_f32 v77 /*v333*/, v239, v202
	s_set_vgpr_msb 0                        ;  msbs: dst=0 src0=0 src1=0 src2=0
	v_add_f32_e32 v7, v7, v77
	s_set_vgpr_msb 1                        ;  msbs: dst=0 src0=1 src1=0 src2=0
	v_pk_mul_f32 v[122:123], v[66:67] /*v[322:323]*/, v[122:123] op_sel_hi:[1,0]
	s_set_vgpr_msb 0                        ;  msbs: dst=0 src0=0 src1=0 src2=0
	v_pk_fma_f32 v[130:131], v[240:241], v[204:205], v[120:121] op_sel_hi:[1,0,1]
	v_pk_fma_f32 v[120:121], v[240:241], v[204:205], v[120:121] neg_lo:[0,0,1] neg_hi:[0,0,1]
	v_pk_mul_f32 v[124:125], v[252:253], v[208:209] op_sel:[1,1] op_sel_hi:[0,1]
	v_add_f32_e32 v7, v7, v79
	s_delay_alu instid0(VALU_DEP_4) | instskip(SKIP_2) | instid1(VALU_DEP_3)
	v_dual_add_f32 v9, v9, v23 :: v_dual_mov_b32 v121, v131
	v_pk_fma_f32 v[130:131], v[242:243], v[206:207], v[122:123] op_sel_hi:[1,0,1]
	v_pk_fma_f32 v[122:123], v[242:243], v[206:207], v[122:123] neg_lo:[0,0,1] neg_hi:[0,0,1]
	v_dual_add_f32 v7, v7, v81 :: v_dual_add_f32 v9, v9, v11
	v_mul_f32_e32 v19, v239, v203
	s_set_vgpr_msb 1                        ;  msbs: dst=0 src0=1 src1=0 src2=0
	v_fma_f32 v11, v62 /*v318*/, v198, -v15
	s_set_vgpr_msb 0                        ;  msbs: dst=0 src0=0 src1=0 src2=0
	v_pk_fma_f32 v[134:135], v[252:253], v[208:209], v[124:125] op_sel_hi:[1,0,1]
	v_dual_add_f32 v7, v7, v83 :: v_dual_add_f32 v9, v9, v13
	s_set_vgpr_msb 64                       ;  msbs: dst=1 src0=0 src1=0 src2=0
	v_dual_fma_f32 v74 /*v330*/, v236, v200, -v17 :: v_dual_fma_f32 v76 /*v332*/, v238, v202, -v19
	s_set_vgpr_msb 1                        ;  msbs: dst=0 src0=1 src1=0 src2=0
	v_pk_mul_f32 v[126:127], v[68:69] /*v[324:325]*/, v[126:127] op_sel_hi:[1,0]
	s_set_vgpr_msb 0                        ;  msbs: dst=0 src0=0 src1=0 src2=0
	v_dual_add_f32 v129, v7, v85 :: v_dual_add_f32 v128, v9, v11
	v_mov_b32_e32 v123, v131
	s_wait_loadcnt 0x2
	s_set_vgpr_msb 1                        ;  msbs: dst=0 src0=1 src1=0 src2=0
	v_pk_mul_f32 v[132:133], v[0:1] /*v[256:257]*/, v[212:213] op_sel:[1,1] op_sel_hi:[0,1]
	s_set_vgpr_msb 0                        ;  msbs: dst=0 src0=0 src1=0 src2=0
	v_pk_fma_f32 v[124:125], v[252:253], v[208:209], v[124:125] neg_lo:[0,0,1] neg_hi:[0,0,1]
	v_mov_b32_e32 v125, v135
	s_set_vgpr_msb 4                        ;  msbs: dst=0 src0=0 src1=1 src2=0
	v_pk_add_f32 v[128:129], v[128:129], v[74:75] /*v[330:331]*/
	s_set_vgpr_msb 0                        ;  msbs: dst=0 src0=0 src1=0 src2=0
	v_pk_fma_f32 v[130:131], v[254:255], v[210:211], v[126:127] op_sel_hi:[1,0,1]
	v_pk_fma_f32 v[126:127], v[254:255], v[210:211], v[126:127] neg_lo:[0,0,1] neg_hi:[0,0,1]
	s_set_vgpr_msb 4                        ;  msbs: dst=0 src0=0 src1=1 src2=0
	v_pk_add_f32 v[128:129], v[128:129], v[76:77] /*v[332:333]*/
	s_set_vgpr_msb 0                        ;  msbs: dst=0 src0=0 src1=0 src2=0
	s_delay_alu instid0(VALU_DEP_1) | instskip(SKIP_1) | instid1(VALU_DEP_2)
	v_pk_add_f32 v[120:121], v[128:129], v[120:121]
	v_mov_b32_e32 v128, v215
	v_pk_add_f32 v[120:121], v[120:121], v[122:123]
	s_set_vgpr_msb 1                        ;  msbs: dst=0 src0=1 src1=0 src2=0
	v_pk_fma_f32 v[122:123], v[0:1] /*v[256:257]*/, v[212:213], v[132:133] op_sel_hi:[1,0,1]
	s_delay_alu instid0(VALU_DEP_3)
	v_pk_mul_f32 v[128:129], v[70:71] /*v[326:327]*/, v[128:129] op_sel_hi:[1,0]
	s_set_vgpr_msb 0                        ;  msbs: dst=0 src0=0 src1=0 src2=0
	v_mov_b32_e32 v127, v131
	s_set_vgpr_msb 1                        ;  msbs: dst=0 src0=1 src1=0 src2=0
	v_pk_fma_f32 v[130:131], v[0:1] /*v[256:257]*/, v[212:213], v[132:133] neg_lo:[0,0,1] neg_hi:[0,0,1]
	s_set_vgpr_msb 0                        ;  msbs: dst=0 src0=0 src1=0 src2=0
	v_pk_add_f32 v[120:121], v[120:121], v[124:125]
	v_mov_b32_e32 v131, v123
	s_set_vgpr_msb 1                        ;  msbs: dst=0 src0=1 src1=0 src2=0
	v_pk_fma_f32 v[122:123], v[2:3] /*v[258:259]*/, v[214:215], v[128:129] op_sel_hi:[1,0,1]
	s_wait_loadcnt 0x1
	v_pk_mul_f32 v[124:125], v[12:13] /*v[268:269]*/, v[216:217] op_sel:[1,1] op_sel_hi:[0,1]
	s_set_vgpr_msb 0                        ;  msbs: dst=0 src0=0 src1=0 src2=0
	v_mov_b32_e32 v122, v219
	v_pk_add_f32 v[120:121], v[120:121], v[126:127]
	s_set_vgpr_msb 1                        ;  msbs: dst=0 src0=1 src1=0 src2=0
	v_pk_fma_f32 v[128:129], v[2:3] /*v[258:259]*/, v[214:215], v[128:129] neg_lo:[0,0,1] neg_hi:[0,0,1]
	s_set_vgpr_msb 0                        ;  msbs: dst=0 src0=0 src1=0 src2=0
	v_mov_b32_e32 v129, v123
	s_set_vgpr_msb 1                        ;  msbs: dst=0 src0=1 src1=0 src2=0
	v_pk_fma_f32 v[126:127], v[12:13] /*v[268:269]*/, v[216:217], v[124:125] op_sel_hi:[1,0,1]
	v_pk_mul_f32 v[122:123], v[72:73] /*v[328:329]*/, v[122:123] op_sel_hi:[1,0]
	s_set_vgpr_msb 0                        ;  msbs: dst=0 src0=0 src1=0 src2=0
	v_pk_add_f32 v[120:121], v[120:121], v[130:131]
	s_set_vgpr_msb 1                        ;  msbs: dst=0 src0=1 src1=0 src2=0
	v_pk_fma_f32 v[124:125], v[12:13] /*v[268:269]*/, v[216:217], v[124:125] neg_lo:[0,0,1] neg_hi:[0,0,1]
	s_set_vgpr_msb 0                        ;  msbs: dst=0 src0=0 src1=0 src2=0
	v_mov_b32_e32 v125, v127
	s_set_vgpr_msb 1                        ;  msbs: dst=0 src0=1 src1=0 src2=0
	v_pk_fma_f32 v[126:127], v[14:15] /*v[270:271]*/, v[218:219], v[122:123] op_sel_hi:[1,0,1]
	s_set_vgpr_msb 0                        ;  msbs: dst=0 src0=0 src1=0 src2=0
	v_pk_add_f32 v[120:121], v[120:121], v[128:129]
	s_set_vgpr_msb 1                        ;  msbs: dst=0 src0=1 src1=0 src2=0
	v_pk_fma_f32 v[122:123], v[14:15] /*v[270:271]*/, v[218:219], v[122:123] neg_lo:[0,0,1] neg_hi:[0,0,1]
	s_set_vgpr_msb 0                        ;  msbs: dst=0 src0=0 src1=0 src2=0
	v_mov_b32_e32 v123, v127
	v_pk_add_f32 v[120:121], v[120:121], v[124:125]
	s_delay_alu instid0(VALU_DEP_1) | instskip(SKIP_2) | instid1(VALU_DEP_1)
	v_pk_add_f32 v[120:121], v[120:121], v[122:123]
	s_wait_loadcnt 0x0
	s_set_vgpr_msb 1                        ;  msbs: dst=0 src0=1 src1=0 src2=0
	v_pk_add_f32 v[120:121], v[64:65] /*v[320:321]*/, v[120:121] neg_lo:[0,1] neg_hi:[0,1]
	scratch_store_b64 off, v[120:121], off offset:64
	s_wait_xcnt 0x0
	v_cmpx_lt_u32_e32 7, v0
	s_set_vgpr_msb 0                        ;  msbs: dst=0 src0=0 src1=0 src2=0
	s_cbranch_execz .LBB122_353
; %bb.352:
	scratch_load_b64 v[120:121], off, off offset:56
	v_mov_b64_e32 v[122:123], 0
	scratch_store_b64 off, v[122:123], off offset:56
	s_wait_loadcnt 0x0
	ds_store_b64 v1, v[120:121]
.LBB122_353:
	s_wait_xcnt 0x0
	s_or_b32 exec_lo, exec_lo, s0
	s_wait_storecnt_dscnt 0x0
	s_barrier_signal -1
	s_barrier_wait -1
	s_clause 0x1b
	scratch_load_b128 v[120:123], off, off offset:64
	scratch_load_b128 v[124:127], off, off offset:80
	;; [unrolled: 1-line block ×25, first 2 shown]
	s_set_vgpr_msb 64                       ;  msbs: dst=1 src0=0 src1=0 src2=0
	scratch_load_b64 v[64:65] /*v[320:321]*/, off, off offset:464
	scratch_load_b64 v[66:67] /*v[322:323]*/, off, off offset:56
	s_set_vgpr_msb 0                        ;  msbs: dst=0 src0=0 src1=0 src2=0
	v_mov_b32_e32 v7, 0
	ds_load_b128 v[220:223], v7 offset:544
	ds_load_b128 v[224:227], v7 offset:560
	;; [unrolled: 1-line block ×9, first 2 shown]
	s_set_vgpr_msb 64                       ;  msbs: dst=1 src0=0 src1=0 src2=0
	ds_load_b128 v[0:3] /*v[256:259]*/, v7 offset:912
	ds_load_b128 v[4:7] /*v[260:263]*/, v7 offset:640
	;; [unrolled: 1-line block ×16, first 2 shown]
	ds_load_b64 v[68:69] /*v[324:325]*/, v7 offset:944
	s_wait_dscnt 0x14
	v_dual_mov_b32 v70 /*v326*/, v243 :: v_dual_mov_b32 v71 /*v327*/, v242
	s_wait_dscnt 0x11
	v_dual_mov_b32 v72 /*v328*/, v255 :: v_dual_mov_b32 v73 /*v329*/, v254
	s_wait_dscnt 0x10
	s_set_vgpr_msb 0x41                     ;  msbs: dst=1 src0=1 src1=0 src2=0
	v_dual_mov_b32 v74 /*v330*/, v3 /*v259*/ :: v_dual_mov_b32 v75 /*v331*/, v2 /*v258*/
	s_wait_dscnt 0xd
	v_dual_mov_b32 v76 /*v332*/, v15 /*v271*/ :: v_dual_mov_b32 v77 /*v333*/, v14 /*v270*/
	s_mov_b32 s0, exec_lo
	s_wait_loadcnt 0x1a
	s_set_vgpr_msb 0                        ;  msbs: dst=0 src0=0 src1=0 src2=0
	v_dual_mul_f32 v9, v220, v121 :: v_dual_mul_f32 v75, v221, v121
	s_wait_loadcnt 0x19
	v_dual_mul_f32 v11, v222, v123 :: v_dual_mul_f32 v13, v224, v125
	v_dual_mul_f32 v77, v223, v123 :: v_dual_mul_f32 v91, v225, v125
	s_wait_loadcnt 0x15
	v_dual_mul_f32 v31, v250, v143 :: v_dual_mul_f32 v103, v233, v133
	v_dual_fma_f32 v75, v220, v120, -v75 :: v_dual_fmac_f32 v9, v221, v120
	v_mul_f32_e32 v105, v235, v135
	v_dual_fmac_f32 v11, v223, v122 :: v_dual_fma_f32 v77, v222, v122, -v77
	s_delay_alu instid0(VALU_DEP_3) | instskip(SKIP_3) | instid1(VALU_DEP_3)
	v_dual_add_f32 v75, 0, v75 :: v_dual_add_f32 v9, 0, v9
	v_dual_mul_f32 v15, v226, v127 :: v_dual_mul_f32 v17, v228, v129
	v_dual_mul_f32 v93, v227, v127 :: v_dual_mul_f32 v107, v245, v137
	v_dual_fma_f32 v91, v224, v124, -v91 :: v_dual_fmac_f32 v13, v225, v124
	v_dual_add_f32 v9, v9, v11 :: v_dual_fmac_f32 v15, v227, v126
	v_add_f32_e32 v11, v75, v77
	s_wait_loadcnt 0x6
	v_mul_f32_e32 v97, v236, v201
	v_dual_mul_f32 v99, v229, v129 :: v_dual_mul_f32 v101, v231, v131
	v_dual_mul_f32 v75, v247, v139 :: v_dual_fma_f32 v77, v226, v126, -v93
	v_dual_add_f32 v9, v9, v13 :: v_dual_add_f32 v11, v11, v91
	v_dual_mul_f32 v19, v230, v131 :: v_dual_mul_f32 v21, v232, v133
	s_delay_alu instid0(VALU_DEP_4) | instskip(NEXT) | instid1(VALU_DEP_3)
	v_dual_mul_f32 v13, v249, v141 :: v_dual_fma_f32 v91, v228, v128, -v99
	v_dual_fmac_f32 v17, v229, v128 :: v_dual_add_f32 v11, v11, v77
	s_delay_alu instid0(VALU_DEP_3) | instskip(SKIP_1) | instid1(VALU_DEP_2)
	v_dual_add_f32 v9, v9, v15 :: v_dual_fmac_f32 v19, v231, v130
	v_dual_mul_f32 v15, v251, v143 :: v_dual_fma_f32 v77, v230, v130, -v101
	v_dual_add_f32 v11, v11, v91 :: v_dual_add_f32 v9, v9, v17
	v_dual_mul_f32 v23, v234, v135 :: v_dual_mul_f32 v25, v244, v137
	v_dual_fmac_f32 v21, v233, v132 :: v_dual_fma_f32 v91, v232, v132, -v103
	s_delay_alu instid0(VALU_DEP_3) | instskip(NEXT) | instid1(VALU_DEP_3)
	v_dual_add_f32 v9, v9, v19 :: v_dual_add_f32 v11, v11, v77
	v_dual_fmac_f32 v23, v235, v134 :: v_dual_fma_f32 v77, v234, v134, -v105
	v_dual_mul_f32 v27, v246, v139 :: v_dual_mul_f32 v29, v248, v141
	s_delay_alu instid0(VALU_DEP_3)
	v_dual_add_f32 v9, v9, v21 :: v_dual_add_f32 v11, v11, v91
	v_dual_fmac_f32 v25, v245, v136 :: v_dual_fma_f32 v91, v244, v136, -v107
	s_set_vgpr_msb 1                        ;  msbs: dst=0 src0=1 src1=0 src2=0
	v_dual_mul_f32 v33, v4 /*v260*/, v145 :: v_dual_mul_f32 v35, v6 /*v262*/, v147
	s_set_vgpr_msb 0                        ;  msbs: dst=0 src0=0 src1=0 src2=0
	v_dual_add_f32 v9, v9, v23 :: v_dual_add_f32 v11, v11, v77
	v_fmac_f32_e32 v27, v247, v138
	v_fma_f32 v75, v246, v138, -v75
	s_set_vgpr_msb 1                        ;  msbs: dst=0 src0=1 src1=0 src2=0
	v_dual_mul_f32 v17, v5 /*v261*/, v145 :: v_dual_mul_f32 v19, v7 /*v263*/, v147
	s_set_vgpr_msb 0                        ;  msbs: dst=0 src0=0 src1=0 src2=0
	v_dual_add_f32 v9, v9, v25 :: v_dual_add_f32 v11, v11, v91
	v_fmac_f32_e32 v29, v249, v140
	v_fma_f32 v13, v248, v140, -v13
	s_set_vgpr_msb 1                        ;  msbs: dst=0 src0=1 src1=0 src2=0
	v_fmac_f32_e32 v33, v5 /*v261*/, v144
	s_set_vgpr_msb 0                        ;  msbs: dst=0 src0=0 src1=0 src2=0
	v_add_f32_e32 v9, v9, v27
	v_add_f32_e32 v11, v11, v75
	v_fmac_f32_e32 v31, v251, v142
	v_fma_f32 v15, v250, v142, -v15
	s_set_vgpr_msb 1                        ;  msbs: dst=0 src0=1 src1=0 src2=0
	v_fma_f32 v17, v4 /*v260*/, v144, -v17
	s_set_vgpr_msb 0                        ;  msbs: dst=0 src0=0 src1=0 src2=0
	v_add_f32_e32 v9, v9, v29
	v_add_f32_e32 v11, v11, v13
	s_wait_dscnt 0xb
	s_set_vgpr_msb 1                        ;  msbs: dst=0 src0=1 src1=0 src2=0
	v_mul_f32_e32 v13, v21 /*v277*/, v157
	v_dual_mul_f32 v37, v8 /*v264*/, v149 :: v_dual_mul_f32 v39, v10 /*v266*/, v151
	v_dual_mul_f32 v21, v9 /*v265*/, v149 :: v_dual_mul_f32 v23, v11 /*v267*/, v151
	s_set_vgpr_msb 0                        ;  msbs: dst=0 src0=0 src1=0 src2=0
	v_add_f32_e32 v11, v11, v15
	v_add_f32_e32 v9, v9, v31
	s_set_vgpr_msb 1                        ;  msbs: dst=0 src0=1 src1=0 src2=0
	v_mul_f32_e32 v15, v23 /*v279*/, v159
	v_fmac_f32_e32 v35, v7 /*v263*/, v146
	v_dual_fma_f32 v19, v6 /*v262*/, v146, -v19 :: v_dual_fmac_f32 v37, v9 /*v265*/, v148
	s_set_vgpr_msb 0                        ;  msbs: dst=0 src0=0 src1=0 src2=0
	v_add_f32_e32 v11, v11, v17
	v_add_f32_e32 v9, v9, v33
	s_wait_dscnt 0xa
	s_set_vgpr_msb 1                        ;  msbs: dst=0 src0=1 src1=0 src2=0
	v_dual_mul_f32 v17, v25 /*v281*/, v161 :: v_dual_fma_f32 v21, v8 /*v264*/, v148, -v21
	v_dual_mul_f32 v41, v16 /*v272*/, v153 :: v_dual_mul_f32 v43, v18 /*v274*/, v155
	s_set_vgpr_msb 0                        ;  msbs: dst=0 src0=0 src1=0 src2=0
	v_add_f32_e32 v11, v11, v19
	s_set_vgpr_msb 1                        ;  msbs: dst=0 src0=1 src1=0 src2=0
	v_mul_f32_e32 v19, v27 /*v283*/, v163
	s_set_vgpr_msb 0                        ;  msbs: dst=0 src0=0 src1=0 src2=0
	v_add_f32_e32 v9, v9, v35
	s_set_vgpr_msb 1                        ;  msbs: dst=0 src0=1 src1=0 src2=0
	v_dual_mul_f32 v25, v17 /*v273*/, v153 :: v_dual_mul_f32 v27, v19 /*v275*/, v155
	v_fmac_f32_e32 v39, v11 /*v267*/, v150
	v_dual_fma_f32 v23, v10 /*v266*/, v150, -v23 :: v_dual_fmac_f32 v41, v17 /*v273*/, v152
	s_set_vgpr_msb 0                        ;  msbs: dst=0 src0=0 src1=0 src2=0
	v_add_f32_e32 v11, v11, v21
	v_add_f32_e32 v9, v9, v37
	s_wait_dscnt 0x9
	s_set_vgpr_msb 1                        ;  msbs: dst=0 src0=1 src1=0 src2=0
	v_dual_mul_f32 v21, v29 /*v285*/, v165 :: v_dual_fma_f32 v25, v16 /*v272*/, v152, -v25
	v_dual_mul_f32 v45, v20 /*v276*/, v157 :: v_dual_mul_f32 v47, v22 /*v278*/, v159
	s_set_vgpr_msb 0                        ;  msbs: dst=0 src0=0 src1=0 src2=0
	v_add_f32_e32 v11, v11, v23
	s_set_vgpr_msb 1                        ;  msbs: dst=0 src0=1 src1=0 src2=0
	v_mul_f32_e32 v23, v31 /*v287*/, v167
	s_set_vgpr_msb 0                        ;  msbs: dst=0 src0=0 src1=0 src2=0
	v_add_f32_e32 v9, v9, v39
	s_set_vgpr_msb 1                        ;  msbs: dst=0 src0=1 src1=0 src2=0
	v_fmac_f32_e32 v43, v19 /*v275*/, v154
	v_dual_fma_f32 v27, v18 /*v274*/, v154, -v27 :: v_dual_fmac_f32 v45, v21 /*v277*/, v156
	s_set_vgpr_msb 0                        ;  msbs: dst=0 src0=0 src1=0 src2=0
	v_add_f32_e32 v11, v11, v25
	v_add_f32_e32 v9, v9, v41
	s_wait_dscnt 0x8
	s_set_vgpr_msb 1                        ;  msbs: dst=0 src0=1 src1=0 src2=0
	v_dual_mul_f32 v25, v33 /*v289*/, v169 :: v_dual_fma_f32 v13, v20 /*v276*/, v156, -v13
	v_dual_mul_f32 v49, v24 /*v280*/, v161 :: v_dual_mul_f32 v51, v26 /*v282*/, v163
	s_set_vgpr_msb 0                        ;  msbs: dst=0 src0=0 src1=0 src2=0
	v_add_f32_e32 v11, v11, v27
	s_set_vgpr_msb 1                        ;  msbs: dst=0 src0=1 src1=0 src2=0
	v_mul_f32_e32 v27, v35 /*v291*/, v171
	s_set_vgpr_msb 0                        ;  msbs: dst=0 src0=0 src1=0 src2=0
	v_add_f32_e32 v9, v9, v43
	s_set_vgpr_msb 1                        ;  msbs: dst=0 src0=1 src1=0 src2=0
	;; [unrolled: 16-line block ×9, first 2 shown]
	v_dual_fmac_f32 v79, v51 /*v307*/, v186 :: v_dual_fmac_f32 v81, v53 /*v309*/, v188
	v_dual_fma_f32 v27, v50 /*v306*/, v186, -v27 :: v_dual_fma_f32 v13, v52 /*v308*/, v188, -v13
	s_set_vgpr_msb 0                        ;  msbs: dst=0 src0=0 src1=0 src2=0
	v_add_f32_e32 v11, v11, v25
	v_add_f32_e32 v9, v9, v73
	v_mul_f32_e32 v25, v237, v201
	s_set_vgpr_msb 1                        ;  msbs: dst=0 src0=1 src1=0 src2=0
	v_dual_mul_f32 v85, v56 /*v312*/, v193 :: v_dual_mul_f32 v87, v58 /*v314*/, v195
	s_set_vgpr_msb 0                        ;  msbs: dst=0 src0=0 src1=0 src2=0
	v_add_f32_e32 v11, v11, v27
	v_add_f32_e32 v9, v9, v79
	s_set_vgpr_msb 1                        ;  msbs: dst=0 src0=1 src1=0 src2=0
	v_dual_fmac_f32 v83, v55 /*v311*/, v190 :: v_dual_fmac_f32 v85, v57 /*v313*/, v192
	v_dual_fma_f32 v15, v54 /*v310*/, v190, -v15 :: v_dual_fma_f32 v17, v56 /*v312*/, v192, -v17
	s_set_vgpr_msb 0                        ;  msbs: dst=0 src0=0 src1=0 src2=0
	v_add_f32_e32 v11, v11, v13
	v_dual_mul_f32 v27, v239, v203 :: v_dual_add_f32 v9, v9, v81
	s_set_vgpr_msb 1                        ;  msbs: dst=0 src0=1 src1=0 src2=0
	v_dual_mul_f32 v89, v60 /*v316*/, v197 :: v_dual_mul_f32 v95, v62 /*v318*/, v199
	s_wait_loadcnt 0x5
	s_set_vgpr_msb 0                        ;  msbs: dst=0 src0=0 src1=0 src2=0
	v_dual_mul_f32 v13, v241, v205 :: v_dual_add_f32 v11, v11, v15
	v_dual_add_f32 v9, v9, v83 :: v_dual_mov_b32 v122, v207
	s_set_vgpr_msb 1                        ;  msbs: dst=0 src0=1 src1=0 src2=0
	v_dual_fmac_f32 v87, v59 /*v315*/, v194 :: v_dual_fmac_f32 v89, v61 /*v317*/, v196
	v_fma_f32 v15, v58 /*v314*/, v194, -v19
	s_set_vgpr_msb 0                        ;  msbs: dst=0 src0=0 src1=0 src2=0
	v_add_f32_e32 v11, v11, v17
	s_set_vgpr_msb 1                        ;  msbs: dst=0 src0=1 src1=0 src2=0
	v_fma_f32 v17, v60 /*v316*/, v196, -v21
	s_set_vgpr_msb 0                        ;  msbs: dst=0 src0=0 src1=0 src2=0
	v_add_f32_e32 v9, v9, v85
	s_set_vgpr_msb 1                        ;  msbs: dst=0 src0=1 src1=0 src2=0
	v_fmac_f32_e32 v95, v63 /*v319*/, v198
	s_set_vgpr_msb 0                        ;  msbs: dst=0 src0=0 src1=0 src2=0
	v_dual_mul_f32 v121, v238, v203 :: v_dual_mul_f32 v123, v240, v205
	v_add_f32_e32 v11, v11, v15
	s_wait_loadcnt 0x4
	v_dual_add_f32 v9, v9, v87 :: v_dual_mov_b32 v126, v211
	s_set_vgpr_msb 1                        ;  msbs: dst=0 src0=1 src1=0 src2=0
	v_fma_f32 v15, v62 /*v318*/, v198, -v23
	s_set_vgpr_msb 0                        ;  msbs: dst=0 src0=0 src1=0 src2=0
	v_dual_fmac_f32 v97, v237, v200 :: v_dual_add_f32 v11, v11, v17
	v_dual_add_f32 v9, v9, v89 :: v_dual_fma_f32 v17, v236, v200, -v25
	v_fma_f32 v120, v238, v202, -v27
	s_set_vgpr_msb 1                        ;  msbs: dst=0 src0=1 src1=0 src2=0
	v_pk_mul_f32 v[130:131], v[70:71] /*v[326:327]*/, v[122:123] op_sel_hi:[1,0]
	s_set_vgpr_msb 0                        ;  msbs: dst=0 src0=0 src1=0 src2=0
	v_add_f32_e32 v11, v11, v15
	v_dual_add_f32 v9, v9, v95 :: v_dual_fmac_f32 v121, v239, v202
	v_pk_mul_f32 v[124:125], v[252:253], v[208:209] op_sel:[1,1] op_sel_hi:[0,1]
	s_wait_loadcnt 0x3
	v_dual_mov_b32 v134, v215 :: v_dual_fma_f32 v122, v240, v204, -v13
	s_delay_alu instid0(VALU_DEP_3)
	v_add_f32_e32 v133, v9, v97
	v_dual_add_f32 v132, v11, v17 :: v_dual_fmac_f32 v123, v241, v204
	v_pk_fma_f32 v[136:137], v[242:243], v[206:207], v[130:131] op_sel_hi:[1,0,1]
	v_pk_fma_f32 v[130:131], v[242:243], v[206:207], v[130:131] neg_lo:[0,0,1] neg_hi:[0,0,1]
	s_set_vgpr_msb 1                        ;  msbs: dst=0 src0=1 src1=0 src2=0
	v_pk_mul_f32 v[126:127], v[72:73] /*v[328:329]*/, v[126:127] op_sel_hi:[1,0]
	s_set_vgpr_msb 0                        ;  msbs: dst=0 src0=0 src1=0 src2=0
	v_pk_add_f32 v[120:121], v[132:133], v[120:121]
	v_pk_fma_f32 v[132:133], v[252:253], v[208:209], v[124:125] op_sel_hi:[1,0,1]
	v_mov_b32_e32 v131, v137
	v_pk_fma_f32 v[124:125], v[252:253], v[208:209], v[124:125] neg_lo:[0,0,1] neg_hi:[0,0,1]
	s_set_vgpr_msb 1                        ;  msbs: dst=0 src0=1 src1=0 src2=0
	v_pk_mul_f32 v[128:129], v[0:1] /*v[256:257]*/, v[212:213] op_sel:[1,1] op_sel_hi:[0,1]
	s_set_vgpr_msb 0                        ;  msbs: dst=0 src0=0 src1=0 src2=0
	v_pk_add_f32 v[120:121], v[120:121], v[122:123]
	v_mov_b32_e32 v125, v133
	v_pk_fma_f32 v[132:133], v[254:255], v[210:211], v[126:127] op_sel_hi:[1,0,1]
	v_pk_fma_f32 v[126:127], v[254:255], v[210:211], v[126:127] neg_lo:[0,0,1] neg_hi:[0,0,1]
	s_set_vgpr_msb 1                        ;  msbs: dst=0 src0=1 src1=0 src2=0
	v_pk_mul_f32 v[134:135], v[74:75] /*v[330:331]*/, v[134:135] op_sel_hi:[1,0]
	s_set_vgpr_msb 0                        ;  msbs: dst=0 src0=0 src1=0 src2=0
	v_pk_add_f32 v[120:121], v[120:121], v[130:131]
	s_set_vgpr_msb 1                        ;  msbs: dst=0 src0=1 src1=0 src2=0
	v_pk_fma_f32 v[130:131], v[0:1] /*v[256:257]*/, v[212:213], v[128:129] op_sel_hi:[1,0,1]
	s_set_vgpr_msb 0                        ;  msbs: dst=0 src0=0 src1=0 src2=0
	v_mov_b32_e32 v127, v133
	s_set_vgpr_msb 1                        ;  msbs: dst=0 src0=1 src1=0 src2=0
	v_pk_fma_f32 v[128:129], v[0:1] /*v[256:257]*/, v[212:213], v[128:129] neg_lo:[0,0,1] neg_hi:[0,0,1]
	s_wait_loadcnt 0x2
	v_pk_mul_f32 v[122:123], v[12:13] /*v[268:269]*/, v[216:217] op_sel:[1,1] op_sel_hi:[0,1]
	s_set_vgpr_msb 0                        ;  msbs: dst=0 src0=0 src1=0 src2=0
	v_pk_add_f32 v[120:121], v[120:121], v[124:125]
	v_dual_mov_b32 v124, v219 :: v_dual_mov_b32 v129, v131
	s_set_vgpr_msb 1                        ;  msbs: dst=0 src0=1 src1=0 src2=0
	v_pk_fma_f32 v[130:131], v[2:3] /*v[258:259]*/, v[214:215], v[134:135] op_sel_hi:[1,0,1]
	v_pk_fma_f32 v[132:133], v[2:3] /*v[258:259]*/, v[214:215], v[134:135] neg_lo:[0,0,1] neg_hi:[0,0,1]
	s_set_vgpr_msb 0                        ;  msbs: dst=0 src0=0 src1=0 src2=0
	v_pk_add_f32 v[120:121], v[120:121], v[126:127]
	s_set_vgpr_msb 1                        ;  msbs: dst=0 src0=1 src1=0 src2=0
	v_pk_fma_f32 v[126:127], v[12:13] /*v[268:269]*/, v[216:217], v[122:123] op_sel_hi:[1,0,1]
	v_pk_mul_f32 v[124:125], v[76:77] /*v[332:333]*/, v[124:125] op_sel_hi:[1,0]
	s_set_vgpr_msb 0                        ;  msbs: dst=0 src0=0 src1=0 src2=0
	v_mov_b32_e32 v133, v131
	s_set_vgpr_msb 1                        ;  msbs: dst=0 src0=1 src1=0 src2=0
	v_pk_fma_f32 v[122:123], v[12:13] /*v[268:269]*/, v[216:217], v[122:123] neg_lo:[0,0,1] neg_hi:[0,0,1]
	s_set_vgpr_msb 0                        ;  msbs: dst=0 src0=0 src1=0 src2=0
	v_pk_add_f32 v[120:121], v[120:121], v[128:129]
	v_mov_b32_e32 v123, v127
	s_set_vgpr_msb 1                        ;  msbs: dst=0 src0=1 src1=0 src2=0
	v_pk_fma_f32 v[126:127], v[14:15] /*v[270:271]*/, v[218:219], v[124:125] op_sel_hi:[1,0,1]
	s_wait_loadcnt_dscnt 0x100
	s_set_vgpr_msb 5                        ;  msbs: dst=0 src0=1 src1=1 src2=0
	v_pk_mul_f32 v[128:129], v[68:69] /*v[324:325]*/, v[64:65] /*v[320:321]*/ op_sel:[1,1] op_sel_hi:[0,1]
	s_set_vgpr_msb 1                        ;  msbs: dst=0 src0=1 src1=0 src2=0
	v_pk_fma_f32 v[124:125], v[14:15] /*v[270:271]*/, v[218:219], v[124:125] neg_lo:[0,0,1] neg_hi:[0,0,1]
	s_set_vgpr_msb 0                        ;  msbs: dst=0 src0=0 src1=0 src2=0
	v_pk_add_f32 v[120:121], v[120:121], v[132:133]
	v_mov_b32_e32 v125, v127
	s_set_vgpr_msb 5                        ;  msbs: dst=0 src0=1 src1=1 src2=0
	v_pk_fma_f32 v[126:127], v[68:69] /*v[324:325]*/, v[64:65] /*v[320:321]*/, v[128:129] neg_lo:[0,0,1] neg_hi:[0,0,1]
	s_set_vgpr_msb 0                        ;  msbs: dst=0 src0=0 src1=0 src2=0
	v_pk_add_f32 v[120:121], v[120:121], v[122:123]
	s_set_vgpr_msb 5                        ;  msbs: dst=0 src0=1 src1=1 src2=0
	v_pk_fma_f32 v[122:123], v[68:69] /*v[324:325]*/, v[64:65] /*v[320:321]*/, v[128:129] op_sel_hi:[1,0,1]
	s_set_vgpr_msb 0                        ;  msbs: dst=0 src0=0 src1=0 src2=0
	s_delay_alu instid0(VALU_DEP_2) | instskip(NEXT) | instid1(VALU_DEP_2)
	v_pk_add_f32 v[120:121], v[120:121], v[124:125]
	v_mov_b32_e32 v127, v123
	s_delay_alu instid0(VALU_DEP_1) | instskip(SKIP_2) | instid1(VALU_DEP_1)
	v_pk_add_f32 v[120:121], v[120:121], v[126:127]
	s_wait_loadcnt 0x0
	s_set_vgpr_msb 1                        ;  msbs: dst=0 src0=1 src1=0 src2=0
	v_pk_add_f32 v[120:121], v[66:67] /*v[322:323]*/, v[120:121] neg_lo:[0,1] neg_hi:[0,1]
	scratch_store_b64 off, v[120:121], off offset:56
	s_wait_xcnt 0x0
	v_cmpx_lt_u32_e32 6, v0
	s_set_vgpr_msb 0                        ;  msbs: dst=0 src0=0 src1=0 src2=0
	s_cbranch_execz .LBB122_355
; %bb.354:
	scratch_load_b64 v[120:121], off, off offset:48
	v_mov_b64_e32 v[122:123], 0
	scratch_store_b64 off, v[122:123], off offset:48
	s_wait_loadcnt 0x0
	ds_store_b64 v1, v[120:121]
.LBB122_355:
	s_wait_xcnt 0x0
	s_or_b32 exec_lo, exec_lo, s0
	s_wait_storecnt_dscnt 0x0
	s_barrier_signal -1
	s_barrier_wait -1
	s_clause 0x18
	scratch_load_b128 v[120:123], off, off offset:56
	scratch_load_b128 v[124:127], off, off offset:72
	;; [unrolled: 1-line block ×25, first 2 shown]
	ds_load_2addr_b64 v[220:223], v7 offset0:67 offset1:68
	ds_load_2addr_b64 v[224:227], v7 offset0:69 offset1:70
	scratch_load_b128 v[228:231], off, off offset:456
	ds_load_2addr_b64 v[232:235], v7 offset0:71 offset1:72
	ds_load_2addr_b64 v[236:239], v7 offset0:73 offset1:74
	;; [unrolled: 1-line block ×6, first 2 shown]
	s_set_vgpr_msb 64                       ;  msbs: dst=1 src0=0 src1=0 src2=0
	ds_load_2addr_b64 v[0:3] /*v[256:259]*/, v7 offset0:81 offset1:82
	ds_load_2addr_b64 v[4:7] /*v[260:263]*/, v7 offset0:113 offset1:114
	;; [unrolled: 1-line block ×18, first 2 shown]
	scratch_load_b64 v[72:73] /*v[328:329]*/, off, off offset:48
	s_wait_dscnt 0x13
	v_dual_mov_b32 v74 /*v330*/, v251 :: v_dual_mov_b32 v75 /*v331*/, v250
	s_wait_dscnt 0x10
	s_set_vgpr_msb 0x41                     ;  msbs: dst=1 src0=1 src1=0 src2=0
	v_dual_mov_b32 v76 /*v332*/, v7 /*v263*/ :: v_dual_mov_b32 v77 /*v333*/, v6 /*v262*/
	s_wait_dscnt 0xf
	v_dual_mov_b32 v78 /*v334*/, v11 /*v267*/ :: v_dual_mov_b32 v79 /*v335*/, v10 /*v266*/
	s_wait_dscnt 0xc
	v_dual_mov_b32 v80 /*v336*/, v23 /*v279*/ :: v_dual_mov_b32 v81 /*v337*/, v22 /*v278*/
	s_mov_b32 s0, exec_lo
	s_wait_loadcnt 0x1a
	s_set_vgpr_msb 0                        ;  msbs: dst=0 src0=0 src1=0 src2=0
	v_dual_mul_f32 v7, v220, v121 :: v_dual_mul_f32 v9, v222, v123
	v_dual_mul_f32 v91, v221, v121 :: v_dual_mul_f32 v93, v223, v123
	s_wait_loadcnt 0x19
	v_dual_mul_f32 v11, v224, v125 :: v_dual_mul_f32 v13, v226, v127
	s_delay_alu instid0(VALU_DEP_3) | instskip(SKIP_3) | instid1(VALU_DEP_3)
	v_dual_fmac_f32 v7, v221, v120 :: v_dual_fmac_f32 v9, v223, v122
	s_wait_loadcnt 0x17
	v_dual_fma_f32 v91, v220, v120, -v91 :: v_dual_mul_f32 v103, v237, v133
	v_dual_mul_f32 v95, v225, v125 :: v_dual_mul_f32 v97, v227, v127
	v_dual_fma_f32 v93, v222, v122, -v93 :: v_dual_add_f32 v7, 0, v7
	s_delay_alu instid0(VALU_DEP_3) | instskip(SKIP_1) | instid1(VALU_DEP_4)
	v_dual_add_f32 v91, 0, v91 :: v_dual_fmac_f32 v11, v225, v124
	v_dual_mul_f32 v15, v232, v129 :: v_dual_mul_f32 v17, v234, v131
	v_dual_mul_f32 v105, v239, v135 :: v_dual_fma_f32 v95, v224, v124, -v95
	s_delay_alu instid0(VALU_DEP_4) | instskip(NEXT) | instid1(VALU_DEP_3)
	v_add_f32_e32 v7, v7, v9
	v_dual_add_f32 v9, v91, v93 :: v_dual_fmac_f32 v15, v233, v128
	v_dual_mul_f32 v99, v233, v129 :: v_dual_mul_f32 v101, v235, v131
	s_wait_loadcnt 0x16
	v_dual_mul_f32 v91, v241, v137 :: v_dual_fmac_f32 v13, v227, v126
	v_dual_fma_f32 v93, v226, v126, -v97 :: v_dual_add_f32 v7, v7, v11
	s_delay_alu instid0(VALU_DEP_3) | instskip(SKIP_1) | instid1(VALU_DEP_3)
	v_dual_add_f32 v9, v9, v95 :: v_dual_fma_f32 v95, v232, v128, -v99
	v_dual_mul_f32 v19, v236, v133 :: v_dual_mul_f32 v21, v238, v135
	v_add_f32_e32 v7, v7, v13
	s_delay_alu instid0(VALU_DEP_3) | instskip(SKIP_2) | instid1(VALU_DEP_3)
	v_dual_mul_f32 v11, v243, v139 :: v_dual_add_f32 v9, v9, v93
	s_wait_loadcnt 0x15
	v_dual_mul_f32 v13, v245, v141 :: v_dual_fmac_f32 v17, v235, v130
	v_dual_fma_f32 v93, v234, v130, -v101 :: v_dual_add_f32 v7, v7, v15
	s_delay_alu instid0(VALU_DEP_3) | instskip(SKIP_1) | instid1(VALU_DEP_3)
	v_dual_add_f32 v9, v9, v95 :: v_dual_fma_f32 v95, v236, v132, -v103
	v_dual_mul_f32 v15, v247, v143 :: v_dual_fmac_f32 v19, v237, v132
	v_add_f32_e32 v7, v7, v17
	s_delay_alu instid0(VALU_DEP_3)
	v_dual_add_f32 v9, v9, v93 :: v_dual_fmac_f32 v21, v239, v134
	v_dual_mul_f32 v23, v240, v137 :: v_dual_mul_f32 v25, v242, v139
	s_wait_loadcnt 0x14
	v_dual_fma_f32 v93, v238, v134, -v105 :: v_dual_mul_f32 v17, v253, v145
	v_add_f32_e32 v7, v7, v19
	v_dual_add_f32 v9, v9, v95 :: v_dual_fma_f32 v91, v240, v136, -v91
	v_dual_mul_f32 v19, v255, v147 :: v_dual_fmac_f32 v23, v241, v136
	s_delay_alu instid0(VALU_DEP_3) | instskip(NEXT) | instid1(VALU_DEP_3)
	v_dual_add_f32 v7, v7, v21 :: v_dual_fma_f32 v11, v242, v138, -v11
	v_dual_add_f32 v9, v9, v93 :: v_dual_fmac_f32 v25, v243, v138
	v_dual_mul_f32 v27, v244, v141 :: v_dual_mul_f32 v29, v246, v143
	s_delay_alu instid0(VALU_DEP_3) | instskip(NEXT) | instid1(VALU_DEP_3)
	v_add_f32_e32 v7, v7, v23
	v_dual_add_f32 v9, v9, v91 :: v_dual_fma_f32 v13, v244, v140, -v13
	s_delay_alu instid0(VALU_DEP_3) | instskip(NEXT) | instid1(VALU_DEP_3)
	v_dual_fmac_f32 v27, v245, v140 :: v_dual_mul_f32 v31, v252, v145
	v_dual_mul_f32 v33, v254, v147 :: v_dual_add_f32 v7, v7, v25
	s_delay_alu instid0(VALU_DEP_3) | instskip(SKIP_1) | instid1(VALU_DEP_4)
	v_dual_add_f32 v9, v9, v11 :: v_dual_fmac_f32 v29, v247, v142
	v_fma_f32 v15, v246, v142, -v15
	v_dual_fmac_f32 v31, v253, v144 :: v_dual_fma_f32 v17, v252, v144, -v17
	s_delay_alu instid0(VALU_DEP_3)
	v_dual_add_f32 v7, v7, v27 :: v_dual_add_f32 v9, v9, v13
	s_wait_loadcnt 0x13
	s_set_vgpr_msb 1                        ;  msbs: dst=0 src0=1 src1=0 src2=0
	v_dual_mul_f32 v35, v0 /*v256*/, v149 :: v_dual_mul_f32 v37, v2 /*v258*/, v151
	v_dual_mul_f32 v21, v1 /*v257*/, v149 :: v_dual_mul_f32 v23, v3 /*v259*/, v151
	s_set_vgpr_msb 0                        ;  msbs: dst=0 src0=0 src1=0 src2=0
	v_dual_add_f32 v7, v7, v29 :: v_dual_add_f32 v9, v9, v15
	v_dual_fmac_f32 v33, v255, v146 :: v_dual_fma_f32 v19, v254, v146, -v19
	s_set_vgpr_msb 1                        ;  msbs: dst=0 src0=1 src1=0 src2=0
	v_dual_fmac_f32 v35, v1 /*v257*/, v148 :: v_dual_fma_f32 v21, v0 /*v256*/, v148, -v21
	s_set_vgpr_msb 0                        ;  msbs: dst=0 src0=0 src1=0 src2=0
	v_dual_add_f32 v7, v7, v31 :: v_dual_add_f32 v9, v9, v17
	s_wait_loadcnt 0x12
	s_set_vgpr_msb 1                        ;  msbs: dst=0 src0=1 src1=0 src2=0
	v_dual_mul_f32 v11, v13 /*v269*/, v153 :: v_dual_mul_f32 v13, v15 /*v271*/, v155
	v_fmac_f32_e32 v37, v3 /*v259*/, v150
	s_set_vgpr_msb 0                        ;  msbs: dst=0 src0=0 src1=0 src2=0
	v_dual_add_f32 v7, v7, v33 :: v_dual_add_f32 v9, v9, v19
	s_wait_loadcnt_dscnt 0x100b
	s_set_vgpr_msb 1                        ;  msbs: dst=0 src0=1 src1=0 src2=0
	v_dual_mul_f32 v19, v25 /*v281*/, v161 :: v_dual_fma_f32 v23, v2 /*v258*/, v150, -v23
	v_dual_mul_f32 v39, v12 /*v268*/, v153 :: v_dual_mul_f32 v41, v14 /*v270*/, v155
	s_set_vgpr_msb 0                        ;  msbs: dst=0 src0=0 src1=0 src2=0
	v_dual_add_f32 v7, v7, v35 :: v_dual_add_f32 v9, v9, v21
	s_set_vgpr_msb 1                        ;  msbs: dst=0 src0=1 src1=0 src2=0
	v_dual_mul_f32 v21, v27 /*v283*/, v163 :: v_dual_fma_f32 v11, v12 /*v268*/, v152, -v11
	v_dual_mul_f32 v15, v17 /*v273*/, v157 :: v_dual_mul_f32 v17, v19 /*v275*/, v159
	s_set_vgpr_msb 0                        ;  msbs: dst=0 src0=0 src1=0 src2=0
	v_dual_add_f32 v7, v7, v37 :: v_dual_add_f32 v9, v9, v23
	s_set_vgpr_msb 1                        ;  msbs: dst=0 src0=1 src1=0 src2=0
	v_dual_fmac_f32 v39, v13 /*v269*/, v152 :: v_dual_fmac_f32 v41, v15 /*v271*/, v154
	s_wait_loadcnt_dscnt 0xf0a
	v_dual_mul_f32 v23, v29 /*v285*/, v165 :: v_dual_fma_f32 v13, v14 /*v270*/, v154, -v13
	s_set_vgpr_msb 0                        ;  msbs: dst=0 src0=0 src1=0 src2=0
	v_add_f32_e32 v9, v9, v11
	s_set_vgpr_msb 1                        ;  msbs: dst=0 src0=1 src1=0 src2=0
	v_dual_mul_f32 v43, v16 /*v272*/, v157 :: v_dual_mul_f32 v45, v18 /*v274*/, v159
	v_mul_f32_e32 v11, v31 /*v287*/, v167
	s_set_vgpr_msb 0                        ;  msbs: dst=0 src0=0 src1=0 src2=0
	v_dual_add_f32 v7, v7, v39 :: v_dual_add_f32 v9, v9, v13
	s_wait_loadcnt_dscnt 0xe09
	s_set_vgpr_msb 1                        ;  msbs: dst=0 src0=1 src1=0 src2=0
	v_dual_fma_f32 v15, v16 /*v272*/, v156, -v15 :: v_dual_mul_f32 v13, v33 /*v289*/, v169
	v_dual_fmac_f32 v43, v17 /*v273*/, v156 :: v_dual_fmac_f32 v45, v19 /*v275*/, v158
	s_set_vgpr_msb 0                        ;  msbs: dst=0 src0=0 src1=0 src2=0
	v_add_f32_e32 v7, v7, v41
	s_set_vgpr_msb 1                        ;  msbs: dst=0 src0=1 src1=0 src2=0
	v_fma_f32 v17, v18 /*v274*/, v158, -v17
	s_set_vgpr_msb 0                        ;  msbs: dst=0 src0=0 src1=0 src2=0
	v_add_f32_e32 v9, v9, v15
	s_set_vgpr_msb 1                        ;  msbs: dst=0 src0=1 src1=0 src2=0
	v_dual_mul_f32 v47, v24 /*v280*/, v161 :: v_dual_mul_f32 v49, v26 /*v282*/, v163
	v_mul_f32_e32 v15, v35 /*v291*/, v171
	s_set_vgpr_msb 0                        ;  msbs: dst=0 src0=0 src1=0 src2=0
	v_dual_add_f32 v7, v7, v43 :: v_dual_add_f32 v9, v9, v17
	s_wait_loadcnt_dscnt 0xd08
	s_set_vgpr_msb 1                        ;  msbs: dst=0 src0=1 src1=0 src2=0
	v_dual_fma_f32 v19, v24 /*v280*/, v160, -v19 :: v_dual_mul_f32 v17, v37 /*v293*/, v173
	v_dual_fmac_f32 v47, v25 /*v281*/, v160 :: v_dual_fmac_f32 v49, v27 /*v283*/, v162
	s_set_vgpr_msb 0                        ;  msbs: dst=0 src0=0 src1=0 src2=0
	v_add_f32_e32 v7, v7, v45
	s_set_vgpr_msb 1                        ;  msbs: dst=0 src0=1 src1=0 src2=0
	v_fma_f32 v21, v26 /*v282*/, v162, -v21
	s_set_vgpr_msb 0                        ;  msbs: dst=0 src0=0 src1=0 src2=0
	v_add_f32_e32 v9, v9, v19
	s_set_vgpr_msb 1                        ;  msbs: dst=0 src0=1 src1=0 src2=0
	v_dual_mul_f32 v51, v28 /*v284*/, v165 :: v_dual_mul_f32 v53, v30 /*v286*/, v167
	v_mul_f32_e32 v19, v39 /*v295*/, v175
	s_set_vgpr_msb 0                        ;  msbs: dst=0 src0=0 src1=0 src2=0
	v_dual_add_f32 v7, v7, v47 :: v_dual_add_f32 v9, v9, v21
	s_wait_loadcnt_dscnt 0xc07
	s_set_vgpr_msb 1                        ;  msbs: dst=0 src0=1 src1=0 src2=0
	v_dual_fma_f32 v23, v28 /*v284*/, v164, -v23 :: v_dual_mul_f32 v21, v41 /*v297*/, v177
	v_dual_mul_f32 v55, v32 /*v288*/, v169 :: v_dual_mul_f32 v57, v34 /*v290*/, v171
	v_dual_mul_f32 v59, v36 /*v292*/, v173 :: v_dual_mul_f32 v61, v38 /*v294*/, v175
	v_dual_fmac_f32 v51, v29 /*v285*/, v164 :: v_dual_fmac_f32 v53, v31 /*v287*/, v166
	v_fma_f32 v11, v30 /*v286*/, v166, -v11
	s_set_vgpr_msb 0                        ;  msbs: dst=0 src0=0 src1=0 src2=0
	v_dual_add_f32 v9, v9, v23 :: v_dual_add_f32 v7, v7, v49
	s_set_vgpr_msb 1                        ;  msbs: dst=0 src0=1 src1=0 src2=0
	v_dual_mul_f32 v23, v43 /*v299*/, v179 :: v_dual_fmac_f32 v55, v33 /*v289*/, v168
	v_fma_f32 v13, v32 /*v288*/, v168, -v13
	v_dual_fmac_f32 v57, v35 /*v291*/, v170 :: v_dual_fmac_f32 v59, v37 /*v293*/, v172
	s_set_vgpr_msb 0                        ;  msbs: dst=0 src0=0 src1=0 src2=0
	v_add_f32_e32 v9, v9, v11
	s_set_vgpr_msb 1                        ;  msbs: dst=0 src0=1 src1=0 src2=0
	v_dual_mul_f32 v63, v40 /*v296*/, v177 :: v_dual_mul_f32 v65, v42 /*v298*/, v179
	s_set_vgpr_msb 0                        ;  msbs: dst=0 src0=0 src1=0 src2=0
	v_add_f32_e32 v7, v7, v51
	s_wait_loadcnt_dscnt 0xb06
	s_set_vgpr_msb 1                        ;  msbs: dst=0 src0=1 src1=0 src2=0
	v_dual_mul_f32 v11, v45 /*v301*/, v181 :: v_dual_fma_f32 v15, v34 /*v290*/, v170, -v15
	s_set_vgpr_msb 0                        ;  msbs: dst=0 src0=0 src1=0 src2=0
	v_add_f32_e32 v9, v9, v13
	s_set_vgpr_msb 1                        ;  msbs: dst=0 src0=1 src1=0 src2=0
	v_dual_mul_f32 v13, v47 /*v303*/, v183 :: v_dual_fma_f32 v17, v36 /*v292*/, v172, -v17
	s_set_vgpr_msb 0                        ;  msbs: dst=0 src0=0 src1=0 src2=0
	v_add_f32_e32 v7, v7, v53
	s_set_vgpr_msb 1                        ;  msbs: dst=0 src0=1 src1=0 src2=0
	v_dual_fmac_f32 v61, v39 /*v295*/, v174 :: v_dual_fmac_f32 v63, v41 /*v297*/, v176
	s_set_vgpr_msb 0                        ;  msbs: dst=0 src0=0 src1=0 src2=0
	v_add_f32_e32 v9, v9, v15
	s_set_vgpr_msb 1                        ;  msbs: dst=0 src0=1 src1=0 src2=0
	v_dual_mul_f32 v67, v44 /*v300*/, v181 :: v_dual_mul_f32 v69, v46 /*v302*/, v183
	s_set_vgpr_msb 0                        ;  msbs: dst=0 src0=0 src1=0 src2=0
	v_add_f32_e32 v7, v7, v55
	s_wait_loadcnt_dscnt 0xa05
	s_set_vgpr_msb 1                        ;  msbs: dst=0 src0=1 src1=0 src2=0
	v_dual_mul_f32 v15, v49 /*v305*/, v185 :: v_dual_fma_f32 v19, v38 /*v294*/, v174, -v19
	s_set_vgpr_msb 0                        ;  msbs: dst=0 src0=0 src1=0 src2=0
	v_add_f32_e32 v9, v9, v17
	s_set_vgpr_msb 1                        ;  msbs: dst=0 src0=1 src1=0 src2=0
	v_dual_mul_f32 v17, v51 /*v307*/, v187 :: v_dual_fma_f32 v21, v40 /*v296*/, v176, -v21
	s_set_vgpr_msb 0                        ;  msbs: dst=0 src0=0 src1=0 src2=0
	v_add_f32_e32 v7, v7, v57
	s_set_vgpr_msb 1                        ;  msbs: dst=0 src0=1 src1=0 src2=0
	v_dual_fmac_f32 v65, v43 /*v299*/, v178 :: v_dual_fmac_f32 v67, v45 /*v301*/, v180
	s_set_vgpr_msb 0                        ;  msbs: dst=0 src0=0 src1=0 src2=0
	v_add_f32_e32 v9, v9, v19
	s_set_vgpr_msb 1                        ;  msbs: dst=0 src0=1 src1=0 src2=0
	v_dual_mul_f32 v71, v48 /*v304*/, v185 :: v_dual_mul_f32 v73, v50 /*v306*/, v187
	s_set_vgpr_msb 0                        ;  msbs: dst=0 src0=0 src1=0 src2=0
	v_add_f32_e32 v7, v7, v59
	s_wait_loadcnt_dscnt 0x904
	s_set_vgpr_msb 1                        ;  msbs: dst=0 src0=1 src1=0 src2=0
	v_dual_mul_f32 v19, v53 /*v309*/, v189 :: v_dual_fma_f32 v23, v42 /*v298*/, v178, -v23
	s_set_vgpr_msb 0                        ;  msbs: dst=0 src0=0 src1=0 src2=0
	v_add_f32_e32 v9, v9, v21
	s_set_vgpr_msb 1                        ;  msbs: dst=0 src0=1 src1=0 src2=0
	v_dual_mul_f32 v75, v52 /*v308*/, v189 :: v_dual_mul_f32 v77, v54 /*v310*/, v191
	v_dual_mul_f32 v21, v55 /*v311*/, v191 :: v_dual_fma_f32 v11, v44 /*v300*/, v180, -v11
	v_dual_fmac_f32 v69, v47 /*v303*/, v182 :: v_dual_fmac_f32 v71, v49 /*v305*/, v184
	s_set_vgpr_msb 0                        ;  msbs: dst=0 src0=0 src1=0 src2=0
	v_dual_add_f32 v9, v9, v23 :: v_dual_add_f32 v7, v7, v61
	s_wait_loadcnt_dscnt 0x803
	s_set_vgpr_msb 1                        ;  msbs: dst=0 src0=1 src1=0 src2=0
	v_dual_mul_f32 v23, v57 /*v313*/, v193 :: v_dual_fma_f32 v13, v46 /*v302*/, v182, -v13
	v_dual_fmac_f32 v73, v51 /*v307*/, v186 :: v_dual_fmac_f32 v75, v53 /*v309*/, v188
	s_set_vgpr_msb 0                        ;  msbs: dst=0 src0=0 src1=0 src2=0
	v_add_f32_e32 v9, v9, v11
	s_set_vgpr_msb 1                        ;  msbs: dst=0 src0=1 src1=0 src2=0
	v_dual_mul_f32 v79, v56 /*v312*/, v193 :: v_dual_mul_f32 v81, v58 /*v314*/, v195
	s_set_vgpr_msb 0                        ;  msbs: dst=0 src0=0 src1=0 src2=0
	v_add_f32_e32 v7, v7, v63
	s_set_vgpr_msb 1                        ;  msbs: dst=0 src0=1 src1=0 src2=0
	v_dual_mul_f32 v11, v59 /*v315*/, v195 :: v_dual_fma_f32 v15, v48 /*v304*/, v184, -v15
	s_set_vgpr_msb 0                        ;  msbs: dst=0 src0=0 src1=0 src2=0
	v_add_f32_e32 v9, v9, v13
	s_wait_loadcnt_dscnt 0x702
	s_set_vgpr_msb 1                        ;  msbs: dst=0 src0=1 src1=0 src2=0
	v_dual_mul_f32 v13, v61 /*v317*/, v197 :: v_dual_fma_f32 v17, v50 /*v306*/, v186, -v17
	s_set_vgpr_msb 0                        ;  msbs: dst=0 src0=0 src1=0 src2=0
	v_add_f32_e32 v7, v7, v65
	s_set_vgpr_msb 1                        ;  msbs: dst=0 src0=1 src1=0 src2=0
	v_dual_fmac_f32 v77, v55 /*v311*/, v190 :: v_dual_fmac_f32 v79, v57 /*v313*/, v192
	s_set_vgpr_msb 0                        ;  msbs: dst=0 src0=0 src1=0 src2=0
	v_add_f32_e32 v9, v9, v15
	s_set_vgpr_msb 1                        ;  msbs: dst=0 src0=1 src1=0 src2=0
	v_dual_mul_f32 v83, v60 /*v316*/, v197 :: v_dual_mul_f32 v85, v62 /*v318*/, v199
	s_set_vgpr_msb 0                        ;  msbs: dst=0 src0=0 src1=0 src2=0
	v_add_f32_e32 v7, v7, v67
	s_set_vgpr_msb 1                        ;  msbs: dst=0 src0=1 src1=0 src2=0
	v_dual_mul_f32 v15, v63 /*v319*/, v199 :: v_dual_fma_f32 v19, v52 /*v308*/, v188, -v19
	s_set_vgpr_msb 0                        ;  msbs: dst=0 src0=0 src1=0 src2=0
	v_add_f32_e32 v9, v9, v17
	s_wait_loadcnt_dscnt 0x601
	s_set_vgpr_msb 1                        ;  msbs: dst=0 src0=1 src1=0 src2=0
	v_dual_mul_f32 v17, v65 /*v321*/, v201 :: v_dual_fma_f32 v21, v54 /*v310*/, v190, -v21
	s_set_vgpr_msb 0                        ;  msbs: dst=0 src0=0 src1=0 src2=0
	v_add_f32_e32 v7, v7, v69
	s_set_vgpr_msb 1                        ;  msbs: dst=0 src0=1 src1=0 src2=0
	v_dual_fmac_f32 v81, v59 /*v315*/, v194 :: v_dual_fmac_f32 v83, v61 /*v317*/, v196
	s_set_vgpr_msb 0                        ;  msbs: dst=0 src0=0 src1=0 src2=0
	v_add_f32_e32 v9, v9, v19
	s_set_vgpr_msb 1                        ;  msbs: dst=0 src0=1 src1=0 src2=0
	v_dual_mul_f32 v19, v67 /*v323*/, v203 :: v_dual_fma_f32 v23, v56 /*v312*/, v192, -v23
	s_set_vgpr_msb 0                        ;  msbs: dst=0 src0=0 src1=0 src2=0
	v_add_f32_e32 v7, v7, v71
	s_set_vgpr_msb 1                        ;  msbs: dst=0 src0=1 src1=0 src2=0
	v_fma_f32 v11, v58 /*v314*/, v194, -v11
	s_set_vgpr_msb 0                        ;  msbs: dst=0 src0=0 src1=0 src2=0
	v_add_f32_e32 v9, v9, v21
	s_wait_loadcnt_dscnt 0x500
	s_set_vgpr_msb 1                        ;  msbs: dst=0 src0=1 src1=0 src2=0
	v_dual_mul_f32 v21, v69 /*v325*/, v205 :: v_dual_fma_f32 v13, v60 /*v316*/, v196, -v13
	s_set_vgpr_msb 0                        ;  msbs: dst=0 src0=0 src1=0 src2=0
	v_add_f32_e32 v7, v7, v73
	s_set_vgpr_msb 1                        ;  msbs: dst=0 src0=1 src1=0 src2=0
	v_fmac_f32_e32 v85, v63 /*v319*/, v198
	s_wait_loadcnt 0x4
	s_set_vgpr_msb 0                        ;  msbs: dst=0 src0=0 src1=0 src2=0
	v_dual_add_f32 v9, v9, v23 :: v_dual_mov_b32 v122, v211
	s_set_vgpr_msb 1                        ;  msbs: dst=0 src0=1 src1=0 src2=0
	v_dual_mul_f32 v23, v71 /*v327*/, v207 :: v_dual_mul_f32 v87, v64 /*v320*/, v201
	v_mul_f32_e32 v89, v66 /*v322*/, v203
	s_set_vgpr_msb 0                        ;  msbs: dst=0 src0=0 src1=0 src2=0
	v_add_f32_e32 v9, v9, v11
	v_add_f32_e32 v7, v7, v75
	s_set_vgpr_msb 1                        ;  msbs: dst=0 src0=1 src1=0 src2=0
	v_fma_f32 v11, v62 /*v318*/, v198, -v15
	v_fmac_f32_e32 v87, v65 /*v321*/, v200
	s_wait_loadcnt 0x3
	s_set_vgpr_msb 0                        ;  msbs: dst=0 src0=0 src1=0 src2=0
	v_dual_mov_b32 v126, v215 :: v_dual_add_f32 v9, v9, v13
	v_add_f32_e32 v7, v7, v77
	s_set_vgpr_msb 1                        ;  msbs: dst=0 src0=1 src1=0 src2=0
	v_fma_f32 v13, v64 /*v320*/, v200, -v17
	s_set_vgpr_msb 0x41                     ;  msbs: dst=1 src0=1 src1=0 src2=0
	v_dual_mul_f32 v83 /*v339*/, v68 /*v324*/, v205 :: v_dual_mul_f32 v85 /*v341*/, v70 /*v326*/, v207
	s_set_vgpr_msb 0                        ;  msbs: dst=0 src0=0 src1=0 src2=0
	v_add_f32_e32 v9, v9, v11
	v_add_f32_e32 v7, v7, v79
	s_set_vgpr_msb 1                        ;  msbs: dst=0 src0=1 src1=0 src2=0
	v_dual_fmac_f32 v89, v67 /*v323*/, v202 :: v_dual_fma_f32 v11, v66 /*v322*/, v202, -v19
	s_set_vgpr_msb 0                        ;  msbs: dst=0 src0=0 src1=0 src2=0
	v_pk_mul_f32 v[120:121], v[248:249], v[208:209] op_sel:[1,1] op_sel_hi:[0,1]
	v_add_f32_e32 v9, v9, v13
	v_add_f32_e32 v7, v7, v81
	s_set_vgpr_msb 0x41                     ;  msbs: dst=1 src0=1 src1=0 src2=0
	v_dual_fmac_f32 v83 /*v339*/, v69 /*v325*/, v204 :: v_dual_fmac_f32 v85 /*v341*/, v71 /*v327*/, v206
	v_dual_fma_f32 v82 /*v338*/, v68 /*v324*/, v204, -v21 :: v_dual_fma_f32 v84 /*v340*/, v70 /*v326*/, v206, -v23
	s_set_vgpr_msb 0                        ;  msbs: dst=0 src0=0 src1=0 src2=0
	v_add_f32_e32 v7, v7, v83
	v_add_f32_e32 v128, v9, v11
	v_pk_fma_f32 v[130:131], v[248:249], v[208:209], v[120:121] op_sel_hi:[1,0,1]
	s_set_vgpr_msb 1                        ;  msbs: dst=0 src0=1 src1=0 src2=0
	v_pk_mul_f32 v[122:123], v[74:75] /*v[330:331]*/, v[122:123] op_sel_hi:[1,0]
	s_set_vgpr_msb 0                        ;  msbs: dst=0 src0=0 src1=0 src2=0
	v_pk_fma_f32 v[120:121], v[248:249], v[208:209], v[120:121] neg_lo:[0,0,1] neg_hi:[0,0,1]
	v_add_f32_e32 v7, v7, v85
	s_set_vgpr_msb 1                        ;  msbs: dst=0 src0=1 src1=0 src2=0
	v_pk_mul_f32 v[124:125], v[4:5] /*v[260:261]*/, v[212:213] op_sel:[1,1] op_sel_hi:[0,1]
	s_set_vgpr_msb 0                        ;  msbs: dst=0 src0=0 src1=0 src2=0
	v_mov_b32_e32 v121, v131
	v_pk_fma_f32 v[130:131], v[250:251], v[210:211], v[122:123] op_sel_hi:[1,0,1]
	v_pk_fma_f32 v[122:123], v[250:251], v[210:211], v[122:123] neg_lo:[0,0,1] neg_hi:[0,0,1]
	v_add_f32_e32 v7, v7, v87
	s_set_vgpr_msb 1                        ;  msbs: dst=0 src0=1 src1=0 src2=0
	v_pk_fma_f32 v[134:135], v[4:5] /*v[260:261]*/, v[212:213], v[124:125] op_sel_hi:[1,0,1]
	v_pk_mul_f32 v[126:127], v[76:77] /*v[332:333]*/, v[126:127] op_sel_hi:[1,0]
	s_set_vgpr_msb 0                        ;  msbs: dst=0 src0=0 src1=0 src2=0
	v_mov_b32_e32 v123, v131
	s_wait_loadcnt 0x2
	s_set_vgpr_msb 1                        ;  msbs: dst=0 src0=1 src1=0 src2=0
	v_pk_mul_f32 v[132:133], v[8:9] /*v[264:265]*/, v[216:217] op_sel:[1,1] op_sel_hi:[0,1]
	s_set_vgpr_msb 0                        ;  msbs: dst=0 src0=0 src1=0 src2=0
	v_add_f32_e32 v129, v7, v89
	s_set_vgpr_msb 1                        ;  msbs: dst=0 src0=1 src1=0 src2=0
	v_pk_fma_f32 v[124:125], v[4:5] /*v[260:261]*/, v[212:213], v[124:125] neg_lo:[0,0,1] neg_hi:[0,0,1]
	s_set_vgpr_msb 0                        ;  msbs: dst=0 src0=0 src1=0 src2=0
	v_mov_b32_e32 v125, v135
	s_set_vgpr_msb 1                        ;  msbs: dst=0 src0=1 src1=0 src2=0
	v_pk_fma_f32 v[130:131], v[6:7] /*v[262:263]*/, v[214:215], v[126:127] op_sel_hi:[1,0,1]
	v_pk_fma_f32 v[126:127], v[6:7] /*v[262:263]*/, v[214:215], v[126:127] neg_lo:[0,0,1] neg_hi:[0,0,1]
	s_set_vgpr_msb 4                        ;  msbs: dst=0 src0=0 src1=1 src2=0
	v_pk_add_f32 v[128:129], v[128:129], v[82:83] /*v[338:339]*/
	s_delay_alu instid0(VALU_DEP_1) | instskip(SKIP_1) | instid1(VALU_DEP_1)
	v_pk_add_f32 v[128:129], v[128:129], v[84:85] /*v[340:341]*/
	s_set_vgpr_msb 0                        ;  msbs: dst=0 src0=0 src1=0 src2=0
	v_pk_add_f32 v[120:121], v[128:129], v[120:121]
	v_mov_b32_e32 v128, v219
	s_delay_alu instid0(VALU_DEP_2) | instskip(SKIP_2) | instid1(VALU_DEP_3)
	v_pk_add_f32 v[120:121], v[120:121], v[122:123]
	s_set_vgpr_msb 1                        ;  msbs: dst=0 src0=1 src1=0 src2=0
	v_pk_fma_f32 v[122:123], v[8:9] /*v[264:265]*/, v[216:217], v[132:133] op_sel_hi:[1,0,1]
	v_pk_mul_f32 v[128:129], v[78:79] /*v[334:335]*/, v[128:129] op_sel_hi:[1,0]
	s_set_vgpr_msb 0                        ;  msbs: dst=0 src0=0 src1=0 src2=0
	v_mov_b32_e32 v127, v131
	s_set_vgpr_msb 1                        ;  msbs: dst=0 src0=1 src1=0 src2=0
	v_pk_fma_f32 v[130:131], v[8:9] /*v[264:265]*/, v[216:217], v[132:133] neg_lo:[0,0,1] neg_hi:[0,0,1]
	s_set_vgpr_msb 0                        ;  msbs: dst=0 src0=0 src1=0 src2=0
	v_pk_add_f32 v[120:121], v[120:121], v[124:125]
	v_mov_b32_e32 v131, v123
	s_set_vgpr_msb 1                        ;  msbs: dst=0 src0=1 src1=0 src2=0
	v_pk_fma_f32 v[122:123], v[10:11] /*v[266:267]*/, v[218:219], v[128:129] op_sel_hi:[1,0,1]
	s_wait_loadcnt 0x1
	v_pk_mul_f32 v[124:125], v[20:21] /*v[276:277]*/, v[228:229] op_sel:[1,1] op_sel_hi:[0,1]
	s_set_vgpr_msb 0                        ;  msbs: dst=0 src0=0 src1=0 src2=0
	v_mov_b32_e32 v122, v231
	v_pk_add_f32 v[120:121], v[120:121], v[126:127]
	s_set_vgpr_msb 1                        ;  msbs: dst=0 src0=1 src1=0 src2=0
	v_pk_fma_f32 v[128:129], v[10:11] /*v[266:267]*/, v[218:219], v[128:129] neg_lo:[0,0,1] neg_hi:[0,0,1]
	s_set_vgpr_msb 0                        ;  msbs: dst=0 src0=0 src1=0 src2=0
	v_mov_b32_e32 v129, v123
	s_set_vgpr_msb 1                        ;  msbs: dst=0 src0=1 src1=0 src2=0
	v_pk_fma_f32 v[126:127], v[20:21] /*v[276:277]*/, v[228:229], v[124:125] op_sel_hi:[1,0,1]
	v_pk_mul_f32 v[122:123], v[80:81] /*v[336:337]*/, v[122:123] op_sel_hi:[1,0]
	s_set_vgpr_msb 0                        ;  msbs: dst=0 src0=0 src1=0 src2=0
	v_pk_add_f32 v[120:121], v[120:121], v[130:131]
	s_set_vgpr_msb 1                        ;  msbs: dst=0 src0=1 src1=0 src2=0
	v_pk_fma_f32 v[124:125], v[20:21] /*v[276:277]*/, v[228:229], v[124:125] neg_lo:[0,0,1] neg_hi:[0,0,1]
	s_set_vgpr_msb 0                        ;  msbs: dst=0 src0=0 src1=0 src2=0
	v_mov_b32_e32 v125, v127
	s_set_vgpr_msb 1                        ;  msbs: dst=0 src0=1 src1=0 src2=0
	v_pk_fma_f32 v[126:127], v[22:23] /*v[278:279]*/, v[230:231], v[122:123] op_sel_hi:[1,0,1]
	s_set_vgpr_msb 0                        ;  msbs: dst=0 src0=0 src1=0 src2=0
	v_pk_add_f32 v[120:121], v[120:121], v[128:129]
	s_set_vgpr_msb 1                        ;  msbs: dst=0 src0=1 src1=0 src2=0
	v_pk_fma_f32 v[122:123], v[22:23] /*v[278:279]*/, v[230:231], v[122:123] neg_lo:[0,0,1] neg_hi:[0,0,1]
	s_set_vgpr_msb 0                        ;  msbs: dst=0 src0=0 src1=0 src2=0
	v_mov_b32_e32 v123, v127
	v_pk_add_f32 v[120:121], v[120:121], v[124:125]
	s_delay_alu instid0(VALU_DEP_1) | instskip(SKIP_2) | instid1(VALU_DEP_1)
	v_pk_add_f32 v[120:121], v[120:121], v[122:123]
	s_wait_loadcnt 0x0
	s_set_vgpr_msb 1                        ;  msbs: dst=0 src0=1 src1=0 src2=0
	v_pk_add_f32 v[120:121], v[72:73] /*v[328:329]*/, v[120:121] neg_lo:[0,1] neg_hi:[0,1]
	scratch_store_b64 off, v[120:121], off offset:48
	s_wait_xcnt 0x0
	v_cmpx_lt_u32_e32 5, v0
	s_set_vgpr_msb 0                        ;  msbs: dst=0 src0=0 src1=0 src2=0
	s_cbranch_execz .LBB122_357
; %bb.356:
	scratch_load_b64 v[120:121], off, off offset:40
	v_mov_b64_e32 v[122:123], 0
	scratch_store_b64 off, v[122:123], off offset:40
	s_wait_loadcnt 0x0
	ds_store_b64 v1, v[120:121]
.LBB122_357:
	s_wait_xcnt 0x0
	s_or_b32 exec_lo, exec_lo, s0
	s_wait_storecnt_dscnt 0x0
	s_barrier_signal -1
	s_barrier_wait -1
	s_clause 0x1c
	scratch_load_b128 v[120:123], off, off offset:48
	scratch_load_b128 v[124:127], off, off offset:64
	;; [unrolled: 1-line block ×26, first 2 shown]
	s_set_vgpr_msb 64                       ;  msbs: dst=1 src0=0 src1=0 src2=0
	scratch_load_b64 v[72:73] /*v[328:329]*/, off, off offset:464
	scratch_load_b64 v[74:75] /*v[330:331]*/, off, off offset:40
	s_set_vgpr_msb 0                        ;  msbs: dst=0 src0=0 src1=0 src2=0
	v_mov_b32_e32 v7, 0
	ds_load_b128 v[224:227], v7 offset:528
	ds_load_b128 v[228:231], v7 offset:544
	;; [unrolled: 1-line block ×8, first 2 shown]
	s_set_vgpr_msb 64                       ;  msbs: dst=1 src0=0 src1=0 src2=0
	ds_load_b128 v[0:3] /*v[256:259]*/, v7 offset:640
	ds_load_b128 v[4:7] /*v[260:263]*/, v7 offset:896
	;; [unrolled: 1-line block ×18, first 2 shown]
	ds_load_b64 v[76:77] /*v[332:333]*/, v7 offset:944
	s_wait_dscnt 0x14
	v_dual_mov_b32 v78 /*v334*/, v251 :: v_dual_mov_b32 v79 /*v335*/, v250
	s_wait_dscnt 0x11
	s_set_vgpr_msb 0x41                     ;  msbs: dst=1 src0=1 src1=0 src2=0
	v_dual_mov_b32 v80 /*v336*/, v7 /*v263*/ :: v_dual_mov_b32 v81 /*v337*/, v6 /*v262*/
	s_wait_dscnt 0x10
	v_dual_mov_b32 v82 /*v338*/, v11 /*v267*/ :: v_dual_mov_b32 v83 /*v339*/, v10 /*v266*/
	s_wait_dscnt 0xd
	v_dual_mov_b32 v84 /*v340*/, v23 /*v279*/ :: v_dual_mov_b32 v85 /*v341*/, v22 /*v278*/
	s_mov_b32 s0, exec_lo
	s_wait_loadcnt 0x1b
	s_set_vgpr_msb 0                        ;  msbs: dst=0 src0=0 src1=0 src2=0
	v_dual_mul_f32 v9, v224, v121 :: v_dual_mul_f32 v11, v226, v123
	s_wait_loadcnt 0x1a
	v_mul_f32_e32 v13, v228, v125
	v_dual_mul_f32 v95, v225, v121 :: v_dual_mul_f32 v97, v227, v123
	s_wait_loadcnt 0x15
	v_dual_mul_f32 v99, v229, v125 :: v_dual_mul_f32 v35, v254, v147
	s_delay_alu instid0(VALU_DEP_2) | instskip(NEXT) | instid1(VALU_DEP_3)
	v_dual_fmac_f32 v9, v225, v120 :: v_dual_fma_f32 v95, v224, v120, -v95
	v_dual_mul_f32 v109, v239, v135 :: v_dual_fma_f32 v97, v226, v122, -v97
	s_delay_alu instid0(VALU_DEP_2)
	v_dual_fmac_f32 v11, v227, v122 :: v_dual_add_f32 v9, 0, v9
	v_dual_mul_f32 v15, v230, v127 :: v_dual_mul_f32 v17, v232, v129
	v_dual_mul_f32 v101, v231, v127 :: v_dual_mul_f32 v103, v233, v129
	v_dual_add_f32 v95, 0, v95 :: v_dual_mul_f32 v111, v241, v137
	v_dual_fma_f32 v99, v228, v124, -v99 :: v_dual_fmac_f32 v13, v229, v124
	s_wait_loadcnt_dscnt 0x601
	s_set_vgpr_msb 1                        ;  msbs: dst=0 src0=1 src1=0 src2=0
	v_mul_f32_e32 v93, v68 /*v324*/, v205
	s_set_vgpr_msb 0                        ;  msbs: dst=0 src0=0 src1=0 src2=0
	v_dual_add_f32 v9, v9, v11 :: v_dual_fmac_f32 v15, v231, v126
	v_add_f32_e32 v11, v95, v97
	v_dual_mul_f32 v95, v243, v139 :: v_dual_fma_f32 v97, v230, v126, -v101
	s_delay_alu instid0(VALU_DEP_3) | instskip(NEXT) | instid1(VALU_DEP_3)
	v_dual_add_f32 v9, v9, v13 :: v_dual_mul_f32 v19, v234, v131
	v_dual_mul_f32 v21, v236, v133 :: v_dual_add_f32 v11, v11, v99
	v_dual_mul_f32 v105, v235, v131 :: v_dual_mul_f32 v107, v237, v133
	v_dual_mul_f32 v13, v245, v141 :: v_dual_fma_f32 v99, v232, v128, -v103
	s_delay_alu instid0(VALU_DEP_3) | instskip(SKIP_1) | instid1(VALU_DEP_4)
	v_dual_fmac_f32 v17, v233, v128 :: v_dual_add_f32 v11, v11, v97
	v_dual_add_f32 v9, v9, v15 :: v_dual_fmac_f32 v19, v235, v130
	v_dual_mul_f32 v15, v247, v143 :: v_dual_fma_f32 v97, v234, v130, -v105
	s_delay_alu instid0(VALU_DEP_2) | instskip(SKIP_2) | instid1(VALU_DEP_3)
	v_dual_add_f32 v11, v11, v99 :: v_dual_add_f32 v9, v9, v17
	v_dual_mul_f32 v23, v238, v135 :: v_dual_mul_f32 v25, v240, v137
	v_dual_mul_f32 v17, v253, v145 :: v_dual_fma_f32 v99, v236, v132, -v107
	v_dual_fmac_f32 v21, v237, v132 :: v_dual_add_f32 v11, v11, v97
	s_delay_alu instid0(VALU_DEP_3) | instskip(SKIP_1) | instid1(VALU_DEP_2)
	v_dual_add_f32 v9, v9, v19 :: v_dual_fmac_f32 v23, v239, v134
	v_dual_mul_f32 v19, v255, v147 :: v_dual_fma_f32 v97, v238, v134, -v109
	v_dual_add_f32 v11, v11, v99 :: v_dual_add_f32 v9, v9, v21
	v_dual_mul_f32 v27, v242, v139 :: v_dual_mul_f32 v29, v244, v141
	v_dual_fmac_f32 v25, v241, v136 :: v_dual_fma_f32 v99, v240, v136, -v111
	s_delay_alu instid0(VALU_DEP_3) | instskip(NEXT) | instid1(VALU_DEP_3)
	v_dual_add_f32 v9, v9, v23 :: v_dual_add_f32 v11, v11, v97
	v_fmac_f32_e32 v27, v243, v138
	v_fma_f32 v95, v242, v138, -v95
	v_dual_mul_f32 v31, v246, v143 :: v_dual_mul_f32 v33, v252, v145
	s_delay_alu instid0(VALU_DEP_4)
	v_dual_add_f32 v9, v9, v25 :: v_dual_add_f32 v11, v11, v99
	v_fmac_f32_e32 v29, v245, v140
	v_fma_f32 v13, v244, v140, -v13
	s_set_vgpr_msb 1                        ;  msbs: dst=0 src0=1 src1=0 src2=0
	v_dual_mul_f32 v37, v0 /*v256*/, v149 :: v_dual_mul_f32 v39, v2 /*v258*/, v151
	s_set_vgpr_msb 0                        ;  msbs: dst=0 src0=0 src1=0 src2=0
	v_add_f32_e32 v9, v9, v27
	v_add_f32_e32 v11, v11, v95
	v_fmac_f32_e32 v31, v247, v142
	v_fma_f32 v15, v246, v142, -v15
	s_set_vgpr_msb 1                        ;  msbs: dst=0 src0=1 src1=0 src2=0
	v_dual_mul_f32 v21, v1 /*v257*/, v149 :: v_dual_mul_f32 v23, v3 /*v259*/, v151
	s_set_vgpr_msb 0                        ;  msbs: dst=0 src0=0 src1=0 src2=0
	v_add_f32_e32 v9, v9, v29
	v_dual_add_f32 v11, v11, v13 :: v_dual_fmac_f32 v33, v253, v144
	v_fma_f32 v17, v252, v144, -v17
	s_set_vgpr_msb 1                        ;  msbs: dst=0 src0=1 src1=0 src2=0
	v_fmac_f32_e32 v37, v1 /*v257*/, v148
	s_set_vgpr_msb 0                        ;  msbs: dst=0 src0=0 src1=0 src2=0
	v_add_f32_e32 v9, v9, v31
	v_add_f32_e32 v11, v11, v15
	v_fmac_f32_e32 v35, v255, v146
	v_fma_f32 v19, v254, v146, -v19
	s_set_vgpr_msb 1                        ;  msbs: dst=0 src0=1 src1=0 src2=0
	v_fma_f32 v21, v0 /*v256*/, v148, -v21
	s_set_vgpr_msb 0                        ;  msbs: dst=0 src0=0 src1=0 src2=0
	v_add_f32_e32 v9, v9, v33
	v_add_f32_e32 v11, v11, v17
	s_set_vgpr_msb 1                        ;  msbs: dst=0 src0=1 src1=0 src2=0
	v_mul_f32_e32 v17, v25 /*v281*/, v161
	v_dual_mul_f32 v41, v12 /*v268*/, v153 :: v_dual_mul_f32 v43, v14 /*v270*/, v155
	v_dual_mul_f32 v25, v13 /*v269*/, v153 :: v_dual_mul_f32 v27, v15 /*v271*/, v155
	s_set_vgpr_msb 0                        ;  msbs: dst=0 src0=0 src1=0 src2=0
	v_add_f32_e32 v11, v11, v19
	v_add_f32_e32 v9, v9, v35
	s_set_vgpr_msb 1                        ;  msbs: dst=0 src0=1 src1=0 src2=0
	v_mul_f32_e32 v19, v27 /*v283*/, v163
	v_fmac_f32_e32 v39, v3 /*v259*/, v150
	v_dual_fma_f32 v23, v2 /*v258*/, v150, -v23 :: v_dual_fmac_f32 v41, v13 /*v269*/, v152
	s_set_vgpr_msb 0                        ;  msbs: dst=0 src0=0 src1=0 src2=0
	v_add_f32_e32 v11, v11, v21
	v_add_f32_e32 v9, v9, v37
	s_set_vgpr_msb 1                        ;  msbs: dst=0 src0=1 src1=0 src2=0
	v_dual_mul_f32 v21, v29 /*v285*/, v165 :: v_dual_fma_f32 v25, v12 /*v268*/, v152, -v25
	v_dual_mul_f32 v45, v16 /*v272*/, v157 :: v_dual_mul_f32 v47, v18 /*v274*/, v159
	s_set_vgpr_msb 0                        ;  msbs: dst=0 src0=0 src1=0 src2=0
	v_add_f32_e32 v11, v11, v23
	s_set_vgpr_msb 1                        ;  msbs: dst=0 src0=1 src1=0 src2=0
	v_mul_f32_e32 v23, v31 /*v287*/, v167
	s_set_vgpr_msb 0                        ;  msbs: dst=0 src0=0 src1=0 src2=0
	v_add_f32_e32 v9, v9, v39
	s_set_vgpr_msb 1                        ;  msbs: dst=0 src0=1 src1=0 src2=0
	v_dual_mul_f32 v13, v17 /*v273*/, v157 :: v_dual_mul_f32 v15, v19 /*v275*/, v159
	v_fmac_f32_e32 v43, v15 /*v271*/, v154
	v_dual_fma_f32 v27, v14 /*v270*/, v154, -v27 :: v_dual_fmac_f32 v45, v17 /*v273*/, v156
	s_set_vgpr_msb 0                        ;  msbs: dst=0 src0=0 src1=0 src2=0
	v_add_f32_e32 v11, v11, v25
	v_add_f32_e32 v9, v9, v41
	s_set_vgpr_msb 1                        ;  msbs: dst=0 src0=1 src1=0 src2=0
	v_dual_mul_f32 v25, v33 /*v289*/, v169 :: v_dual_fma_f32 v13, v16 /*v272*/, v156, -v13
	v_dual_mul_f32 v49, v24 /*v280*/, v161 :: v_dual_mul_f32 v51, v26 /*v282*/, v163
	s_set_vgpr_msb 0                        ;  msbs: dst=0 src0=0 src1=0 src2=0
	v_add_f32_e32 v11, v11, v27
	s_set_vgpr_msb 1                        ;  msbs: dst=0 src0=1 src1=0 src2=0
	v_mul_f32_e32 v27, v35 /*v291*/, v171
	s_set_vgpr_msb 0                        ;  msbs: dst=0 src0=0 src1=0 src2=0
	v_add_f32_e32 v9, v9, v43
	s_set_vgpr_msb 1                        ;  msbs: dst=0 src0=1 src1=0 src2=0
	v_fmac_f32_e32 v47, v19 /*v275*/, v158
	v_dual_fma_f32 v15, v18 /*v274*/, v158, -v15 :: v_dual_fmac_f32 v49, v25 /*v281*/, v160
	s_set_vgpr_msb 0                        ;  msbs: dst=0 src0=0 src1=0 src2=0
	v_add_f32_e32 v11, v11, v13
	v_add_f32_e32 v9, v9, v45
	s_set_vgpr_msb 1                        ;  msbs: dst=0 src0=1 src1=0 src2=0
	v_dual_mul_f32 v13, v37 /*v293*/, v173 :: v_dual_fma_f32 v17, v24 /*v280*/, v160, -v17
	v_dual_mul_f32 v53, v28 /*v284*/, v165 :: v_dual_mul_f32 v55, v30 /*v286*/, v167
	s_set_vgpr_msb 0                        ;  msbs: dst=0 src0=0 src1=0 src2=0
	v_add_f32_e32 v11, v11, v15
	s_set_vgpr_msb 1                        ;  msbs: dst=0 src0=1 src1=0 src2=0
	v_mul_f32_e32 v15, v39 /*v295*/, v175
	s_set_vgpr_msb 0                        ;  msbs: dst=0 src0=0 src1=0 src2=0
	v_add_f32_e32 v9, v9, v47
	s_set_vgpr_msb 1                        ;  msbs: dst=0 src0=1 src1=0 src2=0
	;; [unrolled: 15-line block ×10, first 2 shown]
	v_dual_fmac_f32 v83, v59 /*v315*/, v194 :: v_dual_fmac_f32 v85, v61 /*v317*/, v196
	v_dual_fma_f32 v19, v58 /*v314*/, v194, -v19 :: v_dual_fma_f32 v21, v60 /*v316*/, v196, -v21
	s_set_vgpr_msb 0                        ;  msbs: dst=0 src0=0 src1=0 src2=0
	v_add_f32_e32 v11, v11, v17
	v_add_f32_e32 v9, v9, v81
	s_set_vgpr_msb 1                        ;  msbs: dst=0 src0=1 src1=0 src2=0
	v_dual_mul_f32 v89, v64 /*v320*/, v201 :: v_dual_mul_f32 v91, v66 /*v322*/, v203
	s_wait_loadcnt 0x5
	s_set_vgpr_msb 0                        ;  msbs: dst=0 src0=0 src1=0 src2=0
	v_dual_mul_f32 v17, v249, v209 :: v_dual_add_f32 v11, v11, v19
	v_dual_add_f32 v9, v9, v83 :: v_dual_mov_b32 v120, v211
	s_set_vgpr_msb 1                        ;  msbs: dst=0 src0=1 src1=0 src2=0
	v_dual_fmac_f32 v87, v63 /*v319*/, v198 :: v_dual_fmac_f32 v89, v65 /*v321*/, v200
	v_fma_f32 v19, v62 /*v318*/, v198, -v23
	s_set_vgpr_msb 0                        ;  msbs: dst=0 src0=0 src1=0 src2=0
	v_add_f32_e32 v11, v11, v21
	s_set_vgpr_msb 1                        ;  msbs: dst=0 src0=1 src1=0 src2=0
	v_fma_f32 v21, v64 /*v320*/, v200, -v25
	s_set_vgpr_msb 0                        ;  msbs: dst=0 src0=0 src1=0 src2=0
	v_add_f32_e32 v9, v9, v85
	s_set_vgpr_msb 1                        ;  msbs: dst=0 src0=1 src1=0 src2=0
	v_dual_fmac_f32 v91, v67 /*v323*/, v202 :: v_dual_fmac_f32 v93, v69 /*v325*/, v204
	s_set_vgpr_msb 0                        ;  msbs: dst=0 src0=0 src1=0 src2=0
	v_add_f32_e32 v11, v11, v19
	s_set_vgpr_msb 1                        ;  msbs: dst=0 src0=1 src1=0 src2=0
	v_dual_fma_f32 v19, v66 /*v322*/, v202, -v27 :: v_dual_fma_f32 v13, v68 /*v324*/, v204, -v13
	s_wait_loadcnt 0x4
	s_set_vgpr_msb 0                        ;  msbs: dst=0 src0=0 src1=0 src2=0
	v_dual_add_f32 v9, v9, v87 :: v_dual_mov_b32 v124, v215
	s_set_vgpr_msb 0x41                     ;  msbs: dst=1 src0=1 src1=0 src2=0
	v_dual_mul_f32 v87 /*v343*/, v70 /*v326*/, v207 :: v_dual_fma_f32 v86 /*v342*/, v70 /*v326*/, v206, -v15
	s_set_vgpr_msb 1                        ;  msbs: dst=0 src0=1 src1=0 src2=0
	v_pk_mul_f32 v[120:121], v[78:79] /*v[334:335]*/, v[120:121] op_sel_hi:[1,0]
	s_set_vgpr_msb 0                        ;  msbs: dst=0 src0=0 src1=0 src2=0
	v_add_f32_e32 v9, v9, v89
	v_add_f32_e32 v11, v11, v21
	s_set_vgpr_msb 64                       ;  msbs: dst=1 src0=0 src1=0 src2=0
	v_dual_mul_f32 v89 /*v345*/, v248, v209 :: v_dual_fma_f32 v88 /*v344*/, v248, v208, -v17
	s_set_vgpr_msb 0x41                     ;  msbs: dst=1 src0=1 src1=0 src2=0
	v_fmac_f32_e32 v87 /*v343*/, v71 /*v327*/, v206
	s_set_vgpr_msb 0                        ;  msbs: dst=0 src0=0 src1=0 src2=0
	v_add_f32_e32 v9, v9, v91
	v_add_f32_e32 v11, v11, v19
	v_pk_fma_f32 v[132:133], v[250:251], v[210:211], v[120:121] op_sel_hi:[1,0,1]
	v_pk_fma_f32 v[120:121], v[250:251], v[210:211], v[120:121] neg_lo:[0,0,1] neg_hi:[0,0,1]
	s_set_vgpr_msb 1                        ;  msbs: dst=0 src0=1 src1=0 src2=0
	v_pk_mul_f32 v[122:123], v[4:5] /*v[260:261]*/, v[212:213] op_sel:[1,1] op_sel_hi:[0,1]
	s_set_vgpr_msb 0                        ;  msbs: dst=0 src0=0 src1=0 src2=0
	v_add_f32_e32 v129, v9, v93
	v_dual_add_f32 v128, v11, v13 :: v_dual_mov_b32 v121, v133
	s_set_vgpr_msb 64                       ;  msbs: dst=1 src0=0 src1=0 src2=0
	v_fmac_f32_e32 v89 /*v345*/, v249, v208
	s_set_vgpr_msb 1                        ;  msbs: dst=0 src0=1 src1=0 src2=0
	v_pk_fma_f32 v[134:135], v[4:5] /*v[260:261]*/, v[212:213], v[122:123] op_sel_hi:[1,0,1]
	v_pk_mul_f32 v[124:125], v[80:81] /*v[336:337]*/, v[124:125] op_sel_hi:[1,0]
	s_set_vgpr_msb 4                        ;  msbs: dst=0 src0=0 src1=1 src2=0
	v_pk_add_f32 v[128:129], v[128:129], v[86:87] /*v[342:343]*/
	s_set_vgpr_msb 1                        ;  msbs: dst=0 src0=1 src1=0 src2=0
	v_pk_fma_f32 v[122:123], v[4:5] /*v[260:261]*/, v[212:213], v[122:123] neg_lo:[0,0,1] neg_hi:[0,0,1]
	s_wait_loadcnt 0x3
	v_pk_mul_f32 v[126:127], v[8:9] /*v[264:265]*/, v[216:217] op_sel:[1,1] op_sel_hi:[0,1]
	s_set_vgpr_msb 4                        ;  msbs: dst=0 src0=0 src1=1 src2=0
	v_dual_mov_b32 v130, v219 :: v_dual_mov_b32 v123, v135
	v_pk_add_f32 v[128:129], v[128:129], v[88:89] /*v[344:345]*/
	s_set_vgpr_msb 1                        ;  msbs: dst=0 src0=1 src1=0 src2=0
	v_pk_fma_f32 v[134:135], v[6:7] /*v[262:263]*/, v[214:215], v[124:125] op_sel_hi:[1,0,1]
	v_pk_fma_f32 v[124:125], v[6:7] /*v[262:263]*/, v[214:215], v[124:125] neg_lo:[0,0,1] neg_hi:[0,0,1]
	v_pk_mul_f32 v[130:131], v[82:83] /*v[338:339]*/, v[130:131] op_sel_hi:[1,0]
	s_wait_loadcnt 0x2
	v_pk_mul_f32 v[132:133], v[20:21] /*v[276:277]*/, v[220:221] op_sel:[1,1] op_sel_hi:[0,1]
	s_set_vgpr_msb 0                        ;  msbs: dst=0 src0=0 src1=0 src2=0
	v_pk_add_f32 v[120:121], v[128:129], v[120:121]
	s_set_vgpr_msb 1                        ;  msbs: dst=0 src0=1 src1=0 src2=0
	v_pk_fma_f32 v[128:129], v[8:9] /*v[264:265]*/, v[216:217], v[126:127] op_sel_hi:[1,0,1]
	s_set_vgpr_msb 0                        ;  msbs: dst=0 src0=0 src1=0 src2=0
	v_mov_b32_e32 v125, v135
	s_set_vgpr_msb 1                        ;  msbs: dst=0 src0=1 src1=0 src2=0
	v_pk_fma_f32 v[126:127], v[8:9] /*v[264:265]*/, v[216:217], v[126:127] neg_lo:[0,0,1] neg_hi:[0,0,1]
	s_set_vgpr_msb 0                        ;  msbs: dst=0 src0=0 src1=0 src2=0
	v_pk_add_f32 v[120:121], v[120:121], v[122:123]
	v_dual_mov_b32 v122, v223 :: v_dual_mov_b32 v127, v129
	s_set_vgpr_msb 1                        ;  msbs: dst=0 src0=1 src1=0 src2=0
	v_pk_fma_f32 v[128:129], v[10:11] /*v[266:267]*/, v[218:219], v[130:131] op_sel_hi:[1,0,1]
	v_pk_fma_f32 v[130:131], v[10:11] /*v[266:267]*/, v[218:219], v[130:131] neg_lo:[0,0,1] neg_hi:[0,0,1]
	s_set_vgpr_msb 0                        ;  msbs: dst=0 src0=0 src1=0 src2=0
	v_pk_add_f32 v[120:121], v[120:121], v[124:125]
	s_set_vgpr_msb 1                        ;  msbs: dst=0 src0=1 src1=0 src2=0
	v_pk_fma_f32 v[124:125], v[20:21] /*v[276:277]*/, v[220:221], v[132:133] op_sel_hi:[1,0,1]
	v_pk_mul_f32 v[122:123], v[84:85] /*v[340:341]*/, v[122:123] op_sel_hi:[1,0]
	s_set_vgpr_msb 0                        ;  msbs: dst=0 src0=0 src1=0 src2=0
	v_mov_b32_e32 v131, v129
	s_wait_loadcnt_dscnt 0x100
	s_set_vgpr_msb 5                        ;  msbs: dst=0 src0=1 src1=1 src2=0
	v_pk_mul_f32 v[128:129], v[76:77] /*v[332:333]*/, v[72:73] /*v[328:329]*/ op_sel:[1,1] op_sel_hi:[0,1]
	s_set_vgpr_msb 0                        ;  msbs: dst=0 src0=0 src1=0 src2=0
	v_pk_add_f32 v[120:121], v[120:121], v[126:127]
	s_set_vgpr_msb 1                        ;  msbs: dst=0 src0=1 src1=0 src2=0
	v_pk_fma_f32 v[126:127], v[20:21] /*v[276:277]*/, v[220:221], v[132:133] neg_lo:[0,0,1] neg_hi:[0,0,1]
	s_set_vgpr_msb 0                        ;  msbs: dst=0 src0=0 src1=0 src2=0
	v_mov_b32_e32 v127, v125
	s_set_vgpr_msb 1                        ;  msbs: dst=0 src0=1 src1=0 src2=0
	v_pk_fma_f32 v[124:125], v[22:23] /*v[278:279]*/, v[222:223], v[122:123] op_sel_hi:[1,0,1]
	v_pk_fma_f32 v[122:123], v[22:23] /*v[278:279]*/, v[222:223], v[122:123] neg_lo:[0,0,1] neg_hi:[0,0,1]
	s_set_vgpr_msb 0                        ;  msbs: dst=0 src0=0 src1=0 src2=0
	v_pk_add_f32 v[120:121], v[120:121], v[130:131]
	s_delay_alu instid0(VALU_DEP_3)
	v_mov_b32_e32 v123, v125
	s_set_vgpr_msb 5                        ;  msbs: dst=0 src0=1 src1=1 src2=0
	v_pk_fma_f32 v[124:125], v[76:77] /*v[332:333]*/, v[72:73] /*v[328:329]*/, v[128:129] op_sel_hi:[1,0,1]
	s_set_vgpr_msb 0                        ;  msbs: dst=0 src0=0 src1=0 src2=0
	v_pk_add_f32 v[120:121], v[120:121], v[126:127]
	s_set_vgpr_msb 5                        ;  msbs: dst=0 src0=1 src1=1 src2=0
	v_pk_fma_f32 v[126:127], v[76:77] /*v[332:333]*/, v[72:73] /*v[328:329]*/, v[128:129] neg_lo:[0,0,1] neg_hi:[0,0,1]
	s_set_vgpr_msb 0                        ;  msbs: dst=0 src0=0 src1=0 src2=0
	v_mov_b32_e32 v127, v125
	v_pk_add_f32 v[120:121], v[120:121], v[122:123]
	s_delay_alu instid0(VALU_DEP_1) | instskip(SKIP_2) | instid1(VALU_DEP_1)
	v_pk_add_f32 v[120:121], v[120:121], v[126:127]
	s_wait_loadcnt 0x0
	s_set_vgpr_msb 1                        ;  msbs: dst=0 src0=1 src1=0 src2=0
	v_pk_add_f32 v[120:121], v[74:75] /*v[330:331]*/, v[120:121] neg_lo:[0,1] neg_hi:[0,1]
	scratch_store_b64 off, v[120:121], off offset:40
	s_wait_xcnt 0x0
	v_cmpx_lt_u32_e32 4, v0
	s_set_vgpr_msb 0                        ;  msbs: dst=0 src0=0 src1=0 src2=0
	s_cbranch_execz .LBB122_359
; %bb.358:
	scratch_load_b64 v[120:121], off, off offset:32
	v_mov_b64_e32 v[122:123], 0
	scratch_store_b64 off, v[122:123], off offset:32
	s_wait_loadcnt 0x0
	ds_store_b64 v1, v[120:121]
.LBB122_359:
	s_wait_xcnt 0x0
	s_or_b32 exec_lo, exec_lo, s0
	s_wait_storecnt_dscnt 0x0
	s_barrier_signal -1
	s_barrier_wait -1
	s_clause 0x19
	scratch_load_b128 v[120:123], off, off offset:40
	scratch_load_b128 v[124:127], off, off offset:56
	;; [unrolled: 1-line block ×26, first 2 shown]
	ds_load_2addr_b64 v[224:227], v7 offset0:65 offset1:66
	ds_load_2addr_b64 v[228:231], v7 offset0:67 offset1:68
	;; [unrolled: 1-line block ×8, first 2 shown]
	s_set_vgpr_msb 64                       ;  msbs: dst=1 src0=0 src1=0 src2=0
	ds_load_2addr_b64 v[0:3] /*v[256:259]*/, v7 offset0:109 offset1:110
	ds_load_2addr_b64 v[4:7] /*v[260:263]*/, v7 offset0:111 offset1:112
	;; [unrolled: 1-line block ×6, first 2 shown]
	scratch_load_b128 v[24:27] /*v[280:283]*/, off, off offset:456
	ds_load_2addr_b64 v[28:31] /*v[284:287]*/, v7 offset0:117 offset1:118
	ds_load_2addr_b64 v[32:35] /*v[288:291]*/, v7 offset0:85 offset1:86
	;; [unrolled: 1-line block ×13, first 2 shown]
	scratch_load_b64 v[80:81] /*v[336:337]*/, off, off offset:32
	s_mov_b32 s0, exec_lo
	s_wait_dscnt 0xc
	s_set_vgpr_msb 0x41                     ;  msbs: dst=1 src0=1 src1=0 src2=0
	v_dual_mov_b32 v88 /*v344*/, v31 /*v287*/ :: v_dual_mov_b32 v89 /*v345*/, v30 /*v286*/
	v_dual_mov_b32 v82 /*v338*/, v7 /*v263*/ :: v_dual_mov_b32 v83 /*v339*/, v6 /*v262*/
	;; [unrolled: 1-line block ×4, first 2 shown]
	s_wait_loadcnt 0x1b
	s_set_vgpr_msb 0                        ;  msbs: dst=0 src0=0 src1=0 src2=0
	v_dual_mul_f32 v7, v224, v121 :: v_dual_mul_f32 v9, v226, v123
	v_dual_mul_f32 v95, v225, v121 :: v_dual_mul_f32 v97, v227, v123
	s_wait_loadcnt 0x1a
	v_dual_mul_f32 v11, v228, v125 :: v_dual_mul_f32 v13, v230, v127
	s_delay_alu instid0(VALU_DEP_3) | instskip(SKIP_3) | instid1(VALU_DEP_3)
	v_dual_fmac_f32 v7, v225, v120 :: v_dual_fmac_f32 v9, v227, v122
	s_wait_loadcnt 0x18
	v_dual_fma_f32 v95, v224, v120, -v95 :: v_dual_mul_f32 v107, v237, v133
	v_dual_mul_f32 v99, v229, v125 :: v_dual_mul_f32 v101, v231, v127
	v_dual_fma_f32 v97, v226, v122, -v97 :: v_dual_add_f32 v7, 0, v7
	s_delay_alu instid0(VALU_DEP_3) | instskip(SKIP_1) | instid1(VALU_DEP_4)
	v_dual_add_f32 v95, 0, v95 :: v_dual_fmac_f32 v11, v229, v124
	v_dual_mul_f32 v15, v232, v129 :: v_dual_mul_f32 v17, v234, v131
	v_dual_mul_f32 v109, v239, v135 :: v_dual_fma_f32 v99, v228, v124, -v99
	s_delay_alu instid0(VALU_DEP_4) | instskip(NEXT) | instid1(VALU_DEP_3)
	v_add_f32_e32 v7, v7, v9
	v_dual_add_f32 v9, v95, v97 :: v_dual_fmac_f32 v15, v233, v128
	v_dual_mul_f32 v103, v233, v129 :: v_dual_mul_f32 v105, v235, v131
	s_wait_loadcnt 0x17
	v_dual_mul_f32 v95, v241, v137 :: v_dual_fmac_f32 v13, v231, v126
	v_dual_fma_f32 v97, v230, v126, -v101 :: v_dual_add_f32 v7, v7, v11
	s_delay_alu instid0(VALU_DEP_3) | instskip(SKIP_1) | instid1(VALU_DEP_3)
	v_dual_add_f32 v9, v9, v99 :: v_dual_fma_f32 v99, v232, v128, -v103
	v_dual_mul_f32 v19, v236, v133 :: v_dual_mul_f32 v21, v238, v135
	v_add_f32_e32 v7, v7, v13
	s_delay_alu instid0(VALU_DEP_3) | instskip(SKIP_2) | instid1(VALU_DEP_3)
	v_dual_mul_f32 v11, v243, v139 :: v_dual_add_f32 v9, v9, v97
	s_wait_loadcnt 0x16
	v_dual_mul_f32 v13, v245, v141 :: v_dual_fmac_f32 v17, v235, v130
	v_dual_fma_f32 v97, v234, v130, -v105 :: v_dual_add_f32 v7, v7, v15
	s_delay_alu instid0(VALU_DEP_3) | instskip(SKIP_1) | instid1(VALU_DEP_3)
	v_dual_add_f32 v9, v9, v99 :: v_dual_fma_f32 v99, v236, v132, -v107
	v_dual_mul_f32 v15, v247, v143 :: v_dual_fmac_f32 v19, v237, v132
	v_add_f32_e32 v7, v7, v17
	s_delay_alu instid0(VALU_DEP_3)
	v_dual_add_f32 v9, v9, v97 :: v_dual_fmac_f32 v21, v239, v134
	v_dual_mul_f32 v23, v240, v137 :: v_dual_mul_f32 v25, v242, v139
	s_wait_loadcnt 0x15
	v_dual_fma_f32 v97, v238, v134, -v109 :: v_dual_mul_f32 v17, v249, v145
	v_add_f32_e32 v7, v7, v19
	v_dual_add_f32 v9, v9, v99 :: v_dual_fma_f32 v95, v240, v136, -v95
	v_dual_mul_f32 v19, v251, v147 :: v_dual_fmac_f32 v23, v241, v136
	s_delay_alu instid0(VALU_DEP_3) | instskip(NEXT) | instid1(VALU_DEP_3)
	v_dual_add_f32 v7, v7, v21 :: v_dual_fma_f32 v11, v242, v138, -v11
	v_dual_add_f32 v9, v9, v97 :: v_dual_fmac_f32 v25, v243, v138
	v_dual_mul_f32 v27, v244, v141 :: v_dual_mul_f32 v29, v246, v143
	s_wait_loadcnt 0x14
	s_delay_alu instid0(VALU_DEP_3) | instskip(NEXT) | instid1(VALU_DEP_3)
	v_dual_mul_f32 v21, v253, v149 :: v_dual_add_f32 v7, v7, v23
	v_dual_add_f32 v9, v9, v95 :: v_dual_fma_f32 v13, v244, v140, -v13
	s_delay_alu instid0(VALU_DEP_3) | instskip(NEXT) | instid1(VALU_DEP_2)
	v_dual_mul_f32 v23, v255, v151 :: v_dual_fmac_f32 v27, v245, v140
	v_dual_add_f32 v7, v7, v25 :: v_dual_add_f32 v9, v9, v11
	v_dual_mul_f32 v31, v248, v145 :: v_dual_mul_f32 v33, v250, v147
	v_dual_fmac_f32 v29, v247, v142 :: v_dual_fma_f32 v15, v246, v142, -v15
	s_delay_alu instid0(VALU_DEP_3) | instskip(NEXT) | instid1(VALU_DEP_3)
	v_dual_add_f32 v7, v7, v27 :: v_dual_add_f32 v9, v9, v13
	v_dual_fmac_f32 v31, v249, v144 :: v_dual_fma_f32 v17, v248, v144, -v17
	v_dual_mul_f32 v35, v252, v149 :: v_dual_mul_f32 v37, v254, v151
	s_delay_alu instid0(VALU_DEP_3) | instskip(SKIP_1) | instid1(VALU_DEP_3)
	v_dual_add_f32 v7, v7, v29 :: v_dual_add_f32 v9, v9, v15
	v_dual_fmac_f32 v33, v251, v146 :: v_dual_fma_f32 v19, v250, v146, -v19
	v_dual_fmac_f32 v35, v253, v148 :: v_dual_fma_f32 v21, v252, v148, -v21
	s_delay_alu instid0(VALU_DEP_3)
	v_dual_add_f32 v7, v7, v31 :: v_dual_add_f32 v9, v9, v17
	s_wait_loadcnt 0x13
	s_set_vgpr_msb 1                        ;  msbs: dst=0 src0=1 src1=0 src2=0
	v_dual_mul_f32 v11, v13 /*v269*/, v153 :: v_dual_mul_f32 v13, v15 /*v271*/, v155
	s_set_vgpr_msb 0                        ;  msbs: dst=0 src0=0 src1=0 src2=0
	v_dual_fmac_f32 v37, v255, v150 :: v_dual_fma_f32 v23, v254, v150, -v23
	v_dual_add_f32 v7, v7, v33 :: v_dual_add_f32 v9, v9, v19
	s_set_vgpr_msb 1                        ;  msbs: dst=0 src0=1 src1=0 src2=0
	v_dual_mul_f32 v39, v12 /*v268*/, v153 :: v_dual_mul_f32 v41, v14 /*v270*/, v155
	v_fma_f32 v11, v12 /*v268*/, v152, -v11
	s_set_vgpr_msb 0                        ;  msbs: dst=0 src0=0 src1=0 src2=0
	v_dual_add_f32 v7, v7, v35 :: v_dual_add_f32 v9, v9, v21
	s_wait_loadcnt 0x12
	s_set_vgpr_msb 1                        ;  msbs: dst=0 src0=1 src1=0 src2=0
	v_dual_mul_f32 v15, v17 /*v273*/, v157 :: v_dual_mul_f32 v17, v19 /*v275*/, v159
	v_dual_fmac_f32 v39, v13 /*v269*/, v152 :: v_dual_fmac_f32 v41, v15 /*v271*/, v154
	s_set_vgpr_msb 0                        ;  msbs: dst=0 src0=0 src1=0 src2=0
	v_dual_add_f32 v7, v7, v37 :: v_dual_add_f32 v9, v9, v23
	s_wait_loadcnt_dscnt 0x100a
	s_set_vgpr_msb 1                        ;  msbs: dst=0 src0=1 src1=0 src2=0
	v_dual_mul_f32 v23, v37 /*v293*/, v165 :: v_dual_fma_f32 v13, v14 /*v270*/, v154, -v13
	v_dual_mul_f32 v43, v16 /*v272*/, v157 :: v_dual_mul_f32 v45, v18 /*v274*/, v159
	s_set_vgpr_msb 0                        ;  msbs: dst=0 src0=0 src1=0 src2=0
	v_add_f32_e32 v9, v9, v11
	s_set_vgpr_msb 1                        ;  msbs: dst=0 src0=1 src1=0 src2=0
	v_mul_f32_e32 v11, v39 /*v295*/, v167
	s_set_vgpr_msb 0                        ;  msbs: dst=0 src0=0 src1=0 src2=0
	v_add_f32_e32 v7, v7, v39
	s_set_vgpr_msb 1                        ;  msbs: dst=0 src0=1 src1=0 src2=0
	v_dual_fma_f32 v15, v16 /*v272*/, v156, -v15 :: v_dual_mul_f32 v19, v33 /*v289*/, v161
	v_mul_f32_e32 v21, v35 /*v291*/, v163
	s_set_vgpr_msb 0                        ;  msbs: dst=0 src0=0 src1=0 src2=0
	v_add_f32_e32 v9, v9, v13
	s_set_vgpr_msb 1                        ;  msbs: dst=0 src0=1 src1=0 src2=0
	v_dual_fmac_f32 v43, v17 /*v273*/, v156 :: v_dual_fmac_f32 v45, v19 /*v275*/, v158
	s_set_vgpr_msb 0                        ;  msbs: dst=0 src0=0 src1=0 src2=0
	v_add_f32_e32 v7, v7, v41
	s_wait_loadcnt_dscnt 0xf09
	s_set_vgpr_msb 1                        ;  msbs: dst=0 src0=1 src1=0 src2=0
	v_dual_mul_f32 v13, v41 /*v297*/, v169 :: v_dual_fma_f32 v17, v18 /*v274*/, v158, -v17
	s_set_vgpr_msb 0                        ;  msbs: dst=0 src0=0 src1=0 src2=0
	v_add_f32_e32 v9, v9, v15
	s_set_vgpr_msb 1                        ;  msbs: dst=0 src0=1 src1=0 src2=0
	v_dual_mul_f32 v47, v32 /*v288*/, v161 :: v_dual_mul_f32 v49, v34 /*v290*/, v163
	v_mul_f32_e32 v15, v43 /*v299*/, v171
	s_set_vgpr_msb 0                        ;  msbs: dst=0 src0=0 src1=0 src2=0
	v_dual_add_f32 v7, v7, v43 :: v_dual_add_f32 v9, v9, v17
	s_wait_loadcnt_dscnt 0xe08
	s_set_vgpr_msb 1                        ;  msbs: dst=0 src0=1 src1=0 src2=0
	v_dual_fma_f32 v19, v32 /*v288*/, v160, -v19 :: v_dual_mul_f32 v17, v45 /*v301*/, v173
	v_dual_fmac_f32 v47, v33 /*v289*/, v160 :: v_dual_fmac_f32 v49, v35 /*v291*/, v162
	s_set_vgpr_msb 0                        ;  msbs: dst=0 src0=0 src1=0 src2=0
	v_add_f32_e32 v7, v7, v45
	s_set_vgpr_msb 1                        ;  msbs: dst=0 src0=1 src1=0 src2=0
	v_fma_f32 v21, v34 /*v290*/, v162, -v21
	s_set_vgpr_msb 0                        ;  msbs: dst=0 src0=0 src1=0 src2=0
	v_add_f32_e32 v9, v9, v19
	s_set_vgpr_msb 1                        ;  msbs: dst=0 src0=1 src1=0 src2=0
	v_dual_mul_f32 v51, v36 /*v292*/, v165 :: v_dual_mul_f32 v53, v38 /*v294*/, v167
	v_mul_f32_e32 v19, v47 /*v303*/, v175
	s_set_vgpr_msb 0                        ;  msbs: dst=0 src0=0 src1=0 src2=0
	v_dual_add_f32 v7, v7, v47 :: v_dual_add_f32 v9, v9, v21
	s_wait_loadcnt_dscnt 0xd07
	s_set_vgpr_msb 1                        ;  msbs: dst=0 src0=1 src1=0 src2=0
	v_dual_fma_f32 v23, v36 /*v292*/, v164, -v23 :: v_dual_mul_f32 v21, v49 /*v305*/, v177
	v_dual_mul_f32 v55, v40 /*v296*/, v169 :: v_dual_mul_f32 v57, v42 /*v298*/, v171
	v_dual_mul_f32 v59, v44 /*v300*/, v173 :: v_dual_mul_f32 v61, v46 /*v302*/, v175
	v_dual_fmac_f32 v51, v37 /*v293*/, v164 :: v_dual_fmac_f32 v53, v39 /*v295*/, v166
	v_fma_f32 v11, v38 /*v294*/, v166, -v11
	s_set_vgpr_msb 0                        ;  msbs: dst=0 src0=0 src1=0 src2=0
	v_dual_add_f32 v9, v9, v23 :: v_dual_add_f32 v7, v7, v49
	s_set_vgpr_msb 1                        ;  msbs: dst=0 src0=1 src1=0 src2=0
	v_dual_mul_f32 v23, v51 /*v307*/, v179 :: v_dual_fmac_f32 v55, v41 /*v297*/, v168
	v_fma_f32 v13, v40 /*v296*/, v168, -v13
	v_dual_fmac_f32 v57, v43 /*v299*/, v170 :: v_dual_fmac_f32 v59, v45 /*v301*/, v172
	s_set_vgpr_msb 0                        ;  msbs: dst=0 src0=0 src1=0 src2=0
	v_add_f32_e32 v9, v9, v11
	s_set_vgpr_msb 1                        ;  msbs: dst=0 src0=1 src1=0 src2=0
	v_dual_mul_f32 v63, v48 /*v304*/, v177 :: v_dual_mul_f32 v65, v50 /*v306*/, v179
	s_set_vgpr_msb 0                        ;  msbs: dst=0 src0=0 src1=0 src2=0
	v_add_f32_e32 v7, v7, v51
	s_wait_loadcnt_dscnt 0xc06
	s_set_vgpr_msb 1                        ;  msbs: dst=0 src0=1 src1=0 src2=0
	v_dual_mul_f32 v11, v53 /*v309*/, v181 :: v_dual_fma_f32 v15, v42 /*v298*/, v170, -v15
	s_set_vgpr_msb 0                        ;  msbs: dst=0 src0=0 src1=0 src2=0
	v_add_f32_e32 v9, v9, v13
	s_set_vgpr_msb 1                        ;  msbs: dst=0 src0=1 src1=0 src2=0
	v_dual_mul_f32 v13, v55 /*v311*/, v183 :: v_dual_fma_f32 v17, v44 /*v300*/, v172, -v17
	s_set_vgpr_msb 0                        ;  msbs: dst=0 src0=0 src1=0 src2=0
	v_add_f32_e32 v7, v7, v53
	s_set_vgpr_msb 1                        ;  msbs: dst=0 src0=1 src1=0 src2=0
	v_dual_fmac_f32 v61, v47 /*v303*/, v174 :: v_dual_fmac_f32 v63, v49 /*v305*/, v176
	s_set_vgpr_msb 0                        ;  msbs: dst=0 src0=0 src1=0 src2=0
	v_add_f32_e32 v9, v9, v15
	s_set_vgpr_msb 1                        ;  msbs: dst=0 src0=1 src1=0 src2=0
	v_dual_mul_f32 v67, v52 /*v308*/, v181 :: v_dual_mul_f32 v69, v54 /*v310*/, v183
	s_set_vgpr_msb 0                        ;  msbs: dst=0 src0=0 src1=0 src2=0
	v_add_f32_e32 v7, v7, v55
	s_wait_loadcnt_dscnt 0xb05
	s_set_vgpr_msb 1                        ;  msbs: dst=0 src0=1 src1=0 src2=0
	v_dual_mul_f32 v15, v57 /*v313*/, v185 :: v_dual_fma_f32 v19, v46 /*v302*/, v174, -v19
	s_set_vgpr_msb 0                        ;  msbs: dst=0 src0=0 src1=0 src2=0
	v_add_f32_e32 v9, v9, v17
	s_set_vgpr_msb 1                        ;  msbs: dst=0 src0=1 src1=0 src2=0
	v_dual_mul_f32 v17, v59 /*v315*/, v187 :: v_dual_fma_f32 v21, v48 /*v304*/, v176, -v21
	s_set_vgpr_msb 0                        ;  msbs: dst=0 src0=0 src1=0 src2=0
	v_add_f32_e32 v7, v7, v57
	s_set_vgpr_msb 1                        ;  msbs: dst=0 src0=1 src1=0 src2=0
	v_dual_fmac_f32 v65, v51 /*v307*/, v178 :: v_dual_fmac_f32 v67, v53 /*v309*/, v180
	s_set_vgpr_msb 0                        ;  msbs: dst=0 src0=0 src1=0 src2=0
	v_add_f32_e32 v9, v9, v19
	s_set_vgpr_msb 1                        ;  msbs: dst=0 src0=1 src1=0 src2=0
	v_dual_mul_f32 v71, v56 /*v312*/, v185 :: v_dual_mul_f32 v73, v58 /*v314*/, v187
	s_set_vgpr_msb 0                        ;  msbs: dst=0 src0=0 src1=0 src2=0
	v_add_f32_e32 v7, v7, v59
	s_wait_loadcnt_dscnt 0xa04
	s_set_vgpr_msb 1                        ;  msbs: dst=0 src0=1 src1=0 src2=0
	v_dual_mul_f32 v19, v61 /*v317*/, v189 :: v_dual_fma_f32 v23, v50 /*v306*/, v178, -v23
	s_set_vgpr_msb 0                        ;  msbs: dst=0 src0=0 src1=0 src2=0
	v_add_f32_e32 v9, v9, v21
	s_set_vgpr_msb 1                        ;  msbs: dst=0 src0=1 src1=0 src2=0
	v_dual_mul_f32 v75, v60 /*v316*/, v189 :: v_dual_mul_f32 v77, v62 /*v318*/, v191
	v_dual_mul_f32 v21, v63 /*v319*/, v191 :: v_dual_fma_f32 v11, v52 /*v308*/, v180, -v11
	v_dual_fmac_f32 v69, v55 /*v311*/, v182 :: v_dual_fmac_f32 v71, v57 /*v313*/, v184
	s_set_vgpr_msb 0                        ;  msbs: dst=0 src0=0 src1=0 src2=0
	v_dual_add_f32 v9, v9, v23 :: v_dual_add_f32 v7, v7, v61
	s_wait_loadcnt_dscnt 0x903
	s_set_vgpr_msb 1                        ;  msbs: dst=0 src0=1 src1=0 src2=0
	v_dual_mul_f32 v23, v65 /*v321*/, v193 :: v_dual_fma_f32 v13, v54 /*v310*/, v182, -v13
	v_dual_fmac_f32 v73, v59 /*v315*/, v186 :: v_dual_fmac_f32 v75, v61 /*v317*/, v188
	s_set_vgpr_msb 0                        ;  msbs: dst=0 src0=0 src1=0 src2=0
	v_add_f32_e32 v9, v9, v11
	s_set_vgpr_msb 1                        ;  msbs: dst=0 src0=1 src1=0 src2=0
	v_dual_mul_f32 v79, v64 /*v320*/, v193 :: v_dual_mul_f32 v81, v66 /*v322*/, v195
	s_set_vgpr_msb 0                        ;  msbs: dst=0 src0=0 src1=0 src2=0
	v_add_f32_e32 v7, v7, v63
	s_set_vgpr_msb 1                        ;  msbs: dst=0 src0=1 src1=0 src2=0
	v_dual_mul_f32 v11, v67 /*v323*/, v195 :: v_dual_fma_f32 v15, v56 /*v312*/, v184, -v15
	s_set_vgpr_msb 0                        ;  msbs: dst=0 src0=0 src1=0 src2=0
	v_add_f32_e32 v9, v9, v13
	s_wait_loadcnt_dscnt 0x802
	s_set_vgpr_msb 1                        ;  msbs: dst=0 src0=1 src1=0 src2=0
	v_dual_mul_f32 v13, v69 /*v325*/, v197 :: v_dual_fma_f32 v17, v58 /*v314*/, v186, -v17
	s_set_vgpr_msb 0                        ;  msbs: dst=0 src0=0 src1=0 src2=0
	v_add_f32_e32 v7, v7, v65
	s_set_vgpr_msb 1                        ;  msbs: dst=0 src0=1 src1=0 src2=0
	v_dual_fmac_f32 v77, v63 /*v319*/, v190 :: v_dual_fmac_f32 v79, v65 /*v321*/, v192
	s_set_vgpr_msb 0                        ;  msbs: dst=0 src0=0 src1=0 src2=0
	v_add_f32_e32 v9, v9, v15
	s_set_vgpr_msb 1                        ;  msbs: dst=0 src0=1 src1=0 src2=0
	v_dual_mul_f32 v83, v68 /*v324*/, v197 :: v_dual_mul_f32 v85, v70 /*v326*/, v199
	s_set_vgpr_msb 0                        ;  msbs: dst=0 src0=0 src1=0 src2=0
	v_add_f32_e32 v7, v7, v67
	s_set_vgpr_msb 1                        ;  msbs: dst=0 src0=1 src1=0 src2=0
	v_dual_mul_f32 v15, v71 /*v327*/, v199 :: v_dual_fma_f32 v19, v60 /*v316*/, v188, -v19
	s_set_vgpr_msb 0                        ;  msbs: dst=0 src0=0 src1=0 src2=0
	v_add_f32_e32 v9, v9, v17
	s_wait_loadcnt_dscnt 0x701
	s_set_vgpr_msb 1                        ;  msbs: dst=0 src0=1 src1=0 src2=0
	v_dual_mul_f32 v17, v73 /*v329*/, v201 :: v_dual_fma_f32 v21, v62 /*v318*/, v190, -v21
	s_set_vgpr_msb 0                        ;  msbs: dst=0 src0=0 src1=0 src2=0
	v_add_f32_e32 v7, v7, v69
	s_set_vgpr_msb 1                        ;  msbs: dst=0 src0=1 src1=0 src2=0
	;; [unrolled: 17-line block ×3, first 2 shown]
	v_dual_fmac_f32 v85, v71 /*v327*/, v198 :: v_dual_fmac_f32 v87, v73 /*v329*/, v200
	s_set_vgpr_msb 0                        ;  msbs: dst=0 src0=0 src1=0 src2=0
	v_add_f32_e32 v9, v9, v23
	s_set_vgpr_msb 1                        ;  msbs: dst=0 src0=1 src1=0 src2=0
	v_dual_mul_f32 v23, v79 /*v335*/, v207 :: v_dual_fma_f32 v13, v68 /*v324*/, v196, -v13
	s_wait_loadcnt 0x4
	s_set_vgpr_msb 0                        ;  msbs: dst=0 src0=0 src1=0 src2=0
	v_mov_b32_e32 v122, v215
	s_set_vgpr_msb 1                        ;  msbs: dst=0 src0=1 src1=0 src2=0
	v_fma_f32 v15, v70 /*v326*/, v198, -v15
	s_set_vgpr_msb 0                        ;  msbs: dst=0 src0=0 src1=0 src2=0
	v_add_f32_e32 v9, v9, v11
	v_add_f32_e32 v7, v7, v75
	s_set_vgpr_msb 1                        ;  msbs: dst=0 src0=1 src1=0 src2=0
	v_dual_mul_f32 v11, v1 /*v257*/, v209 :: v_dual_fma_f32 v17, v72 /*v328*/, v200, -v17
	v_fmac_f32_e32 v89, v75 /*v331*/, v202
	s_set_vgpr_msb 0                        ;  msbs: dst=0 src0=0 src1=0 src2=0
	v_add_f32_e32 v9, v9, v13
	v_add_f32_e32 v7, v7, v77
	s_set_vgpr_msb 1                        ;  msbs: dst=0 src0=1 src1=0 src2=0
	v_dual_mul_f32 v13, v3 /*v259*/, v211 :: v_dual_mul_f32 v91, v76 /*v332*/, v205
	v_mul_f32_e32 v93, v78 /*v334*/, v207
	s_set_vgpr_msb 0                        ;  msbs: dst=0 src0=0 src1=0 src2=0
	v_add_f32_e32 v9, v9, v15
	v_add_f32_e32 v7, v7, v79
	s_set_vgpr_msb 1                        ;  msbs: dst=0 src0=1 src1=0 src2=0
	v_fma_f32 v15, v74 /*v330*/, v202, -v19
	v_fmac_f32_e32 v91, v77 /*v333*/, v204
	s_wait_loadcnt 0x3
	s_set_vgpr_msb 0                        ;  msbs: dst=0 src0=0 src1=0 src2=0
	v_dual_mov_b32 v126, v219 :: v_dual_add_f32 v9, v9, v17
	v_add_f32_e32 v7, v7, v81
	s_set_vgpr_msb 1                        ;  msbs: dst=0 src0=1 src1=0 src2=0
	v_fma_f32 v17, v76 /*v332*/, v204, -v21
	s_set_vgpr_msb 0x41                     ;  msbs: dst=1 src0=1 src1=0 src2=0
	v_dual_mul_f32 v91 /*v347*/, v0 /*v256*/, v209 :: v_dual_mul_f32 v93 /*v349*/, v2 /*v258*/, v211
	s_set_vgpr_msb 0                        ;  msbs: dst=0 src0=0 src1=0 src2=0
	v_add_f32_e32 v9, v9, v15
	v_add_f32_e32 v7, v7, v83
	s_set_vgpr_msb 1                        ;  msbs: dst=0 src0=1 src1=0 src2=0
	v_dual_fmac_f32 v93, v79 /*v335*/, v206 :: v_dual_fma_f32 v15, v78 /*v334*/, v206, -v23
	v_pk_mul_f32 v[120:121], v[4:5] /*v[260:261]*/, v[212:213] op_sel:[1,1] op_sel_hi:[0,1]
	s_set_vgpr_msb 0                        ;  msbs: dst=0 src0=0 src1=0 src2=0
	v_add_f32_e32 v9, v9, v17
	v_add_f32_e32 v7, v7, v85
	s_set_vgpr_msb 0x41                     ;  msbs: dst=1 src0=1 src1=0 src2=0
	v_dual_fmac_f32 v91 /*v347*/, v1 /*v257*/, v208 :: v_dual_fmac_f32 v93 /*v349*/, v3 /*v259*/, v210
	v_dual_fma_f32 v90 /*v346*/, v0 /*v256*/, v208, -v11 :: v_dual_fma_f32 v92 /*v348*/, v2 /*v258*/, v210, -v13
	s_set_vgpr_msb 0                        ;  msbs: dst=0 src0=0 src1=0 src2=0
	v_add_f32_e32 v7, v7, v87
	v_add_f32_e32 v128, v9, v15
	s_set_vgpr_msb 1                        ;  msbs: dst=0 src0=1 src1=0 src2=0
	v_pk_fma_f32 v[130:131], v[4:5] /*v[260:261]*/, v[212:213], v[120:121] op_sel_hi:[1,0,1]
	v_pk_mul_f32 v[122:123], v[82:83] /*v[338:339]*/, v[122:123] op_sel_hi:[1,0]
	v_pk_fma_f32 v[120:121], v[4:5] /*v[260:261]*/, v[212:213], v[120:121] neg_lo:[0,0,1] neg_hi:[0,0,1]
	s_set_vgpr_msb 0                        ;  msbs: dst=0 src0=0 src1=0 src2=0
	v_add_f32_e32 v7, v7, v89
	s_set_vgpr_msb 1                        ;  msbs: dst=0 src0=1 src1=0 src2=0
	v_pk_mul_f32 v[124:125], v[8:9] /*v[264:265]*/, v[216:217] op_sel:[1,1] op_sel_hi:[0,1]
	s_set_vgpr_msb 0                        ;  msbs: dst=0 src0=0 src1=0 src2=0
	v_mov_b32_e32 v121, v131
	s_set_vgpr_msb 1                        ;  msbs: dst=0 src0=1 src1=0 src2=0
	v_pk_fma_f32 v[130:131], v[6:7] /*v[262:263]*/, v[214:215], v[122:123] op_sel_hi:[1,0,1]
	v_pk_fma_f32 v[122:123], v[6:7] /*v[262:263]*/, v[214:215], v[122:123] neg_lo:[0,0,1] neg_hi:[0,0,1]
	s_set_vgpr_msb 0                        ;  msbs: dst=0 src0=0 src1=0 src2=0
	v_add_f32_e32 v7, v7, v91
	s_set_vgpr_msb 1                        ;  msbs: dst=0 src0=1 src1=0 src2=0
	v_pk_fma_f32 v[134:135], v[8:9] /*v[264:265]*/, v[216:217], v[124:125] op_sel_hi:[1,0,1]
	v_pk_mul_f32 v[126:127], v[84:85] /*v[340:341]*/, v[126:127] op_sel_hi:[1,0]
	s_set_vgpr_msb 0                        ;  msbs: dst=0 src0=0 src1=0 src2=0
	v_mov_b32_e32 v123, v131
	s_wait_loadcnt 0x2
	s_set_vgpr_msb 1                        ;  msbs: dst=0 src0=1 src1=0 src2=0
	v_pk_mul_f32 v[132:133], v[20:21] /*v[276:277]*/, v[220:221] op_sel:[1,1] op_sel_hi:[0,1]
	s_set_vgpr_msb 0                        ;  msbs: dst=0 src0=0 src1=0 src2=0
	v_add_f32_e32 v129, v7, v93
	s_set_vgpr_msb 1                        ;  msbs: dst=0 src0=1 src1=0 src2=0
	v_pk_fma_f32 v[124:125], v[8:9] /*v[264:265]*/, v[216:217], v[124:125] neg_lo:[0,0,1] neg_hi:[0,0,1]
	s_set_vgpr_msb 0                        ;  msbs: dst=0 src0=0 src1=0 src2=0
	v_mov_b32_e32 v125, v135
	s_set_vgpr_msb 1                        ;  msbs: dst=0 src0=1 src1=0 src2=0
	v_pk_fma_f32 v[130:131], v[10:11] /*v[266:267]*/, v[218:219], v[126:127] op_sel_hi:[1,0,1]
	v_pk_fma_f32 v[126:127], v[10:11] /*v[266:267]*/, v[218:219], v[126:127] neg_lo:[0,0,1] neg_hi:[0,0,1]
	s_set_vgpr_msb 4                        ;  msbs: dst=0 src0=0 src1=1 src2=0
	v_pk_add_f32 v[128:129], v[128:129], v[90:91] /*v[346:347]*/
	s_delay_alu instid0(VALU_DEP_1) | instskip(SKIP_1) | instid1(VALU_DEP_1)
	v_pk_add_f32 v[128:129], v[128:129], v[92:93] /*v[348:349]*/
	s_set_vgpr_msb 0                        ;  msbs: dst=0 src0=0 src1=0 src2=0
	v_pk_add_f32 v[120:121], v[128:129], v[120:121]
	v_mov_b32_e32 v128, v223
	s_delay_alu instid0(VALU_DEP_2) | instskip(SKIP_2) | instid1(VALU_DEP_3)
	v_pk_add_f32 v[120:121], v[120:121], v[122:123]
	s_set_vgpr_msb 1                        ;  msbs: dst=0 src0=1 src1=0 src2=0
	v_pk_fma_f32 v[122:123], v[20:21] /*v[276:277]*/, v[220:221], v[132:133] op_sel_hi:[1,0,1]
	v_pk_mul_f32 v[128:129], v[86:87] /*v[342:343]*/, v[128:129] op_sel_hi:[1,0]
	s_set_vgpr_msb 0                        ;  msbs: dst=0 src0=0 src1=0 src2=0
	v_mov_b32_e32 v127, v131
	s_set_vgpr_msb 1                        ;  msbs: dst=0 src0=1 src1=0 src2=0
	v_pk_fma_f32 v[130:131], v[20:21] /*v[276:277]*/, v[220:221], v[132:133] neg_lo:[0,0,1] neg_hi:[0,0,1]
	s_set_vgpr_msb 0                        ;  msbs: dst=0 src0=0 src1=0 src2=0
	v_pk_add_f32 v[120:121], v[120:121], v[124:125]
	v_mov_b32_e32 v131, v123
	s_set_vgpr_msb 1                        ;  msbs: dst=0 src0=1 src1=0 src2=0
	v_pk_fma_f32 v[122:123], v[22:23] /*v[278:279]*/, v[222:223], v[128:129] op_sel_hi:[1,0,1]
	s_wait_loadcnt 0x1
	s_set_vgpr_msb 5                        ;  msbs: dst=0 src0=1 src1=1 src2=0
	v_pk_mul_f32 v[124:125], v[28:29] /*v[284:285]*/, v[24:25] /*v[280:281]*/ op_sel:[1,1] op_sel_hi:[0,1]
	v_mov_b32_e32 v122, v27 /*v283*/
	s_set_vgpr_msb 0                        ;  msbs: dst=0 src0=0 src1=0 src2=0
	v_pk_add_f32 v[120:121], v[120:121], v[126:127]
	s_set_vgpr_msb 1                        ;  msbs: dst=0 src0=1 src1=0 src2=0
	v_pk_fma_f32 v[128:129], v[22:23] /*v[278:279]*/, v[222:223], v[128:129] neg_lo:[0,0,1] neg_hi:[0,0,1]
	s_set_vgpr_msb 5                        ;  msbs: dst=0 src0=1 src1=1 src2=0
	v_pk_fma_f32 v[126:127], v[28:29] /*v[284:285]*/, v[24:25] /*v[280:281]*/, v[124:125] op_sel_hi:[1,0,1]
	s_set_vgpr_msb 0                        ;  msbs: dst=0 src0=0 src1=0 src2=0
	v_mov_b32_e32 v129, v123
	v_pk_add_f32 v[120:121], v[120:121], v[130:131]
	s_set_vgpr_msb 1                        ;  msbs: dst=0 src0=1 src1=0 src2=0
	v_pk_mul_f32 v[122:123], v[88:89] /*v[344:345]*/, v[122:123] op_sel_hi:[1,0]
	s_set_vgpr_msb 5                        ;  msbs: dst=0 src0=1 src1=1 src2=0
	v_pk_fma_f32 v[124:125], v[28:29] /*v[284:285]*/, v[24:25] /*v[280:281]*/, v[124:125] neg_lo:[0,0,1] neg_hi:[0,0,1]
	s_set_vgpr_msb 0                        ;  msbs: dst=0 src0=0 src1=0 src2=0
	v_mov_b32_e32 v125, v127
	v_pk_add_f32 v[120:121], v[120:121], v[128:129]
	s_set_vgpr_msb 5                        ;  msbs: dst=0 src0=1 src1=1 src2=0
	v_pk_fma_f32 v[126:127], v[30:31] /*v[286:287]*/, v[26:27] /*v[282:283]*/, v[122:123] op_sel_hi:[1,0,1]
	v_pk_fma_f32 v[122:123], v[30:31] /*v[286:287]*/, v[26:27] /*v[282:283]*/, v[122:123] neg_lo:[0,0,1] neg_hi:[0,0,1]
	s_set_vgpr_msb 0                        ;  msbs: dst=0 src0=0 src1=0 src2=0
	v_pk_add_f32 v[120:121], v[120:121], v[124:125]
	s_delay_alu instid0(VALU_DEP_3) | instskip(NEXT) | instid1(VALU_DEP_1)
	v_mov_b32_e32 v123, v127
	v_pk_add_f32 v[120:121], v[120:121], v[122:123]
	s_wait_loadcnt 0x0
	s_set_vgpr_msb 1                        ;  msbs: dst=0 src0=1 src1=0 src2=0
	s_delay_alu instid0(VALU_DEP_1)
	v_pk_add_f32 v[120:121], v[80:81] /*v[336:337]*/, v[120:121] neg_lo:[0,1] neg_hi:[0,1]
	scratch_store_b64 off, v[120:121], off offset:32
	s_wait_xcnt 0x0
	v_cmpx_lt_u32_e32 3, v0
	s_set_vgpr_msb 0                        ;  msbs: dst=0 src0=0 src1=0 src2=0
	s_cbranch_execz .LBB122_361
; %bb.360:
	scratch_load_b64 v[120:121], off, off offset:24
	v_mov_b64_e32 v[122:123], 0
	scratch_store_b64 off, v[122:123], off offset:24
	s_wait_loadcnt 0x0
	ds_store_b64 v1, v[120:121]
.LBB122_361:
	s_wait_xcnt 0x0
	s_or_b32 exec_lo, exec_lo, s0
	v_mov_b32_e32 v7, 0
	s_wait_storecnt_dscnt 0x0
	s_barrier_signal -1
	s_barrier_wait -1
	ds_load_b128 v[120:123], v7 offset:512
	ds_load_b128 v[124:127], v7 offset:528
	;; [unrolled: 1-line block ×4, first 2 shown]
	s_clause 0x18
	scratch_load_b128 v[136:139], off, off offset:32
	scratch_load_b128 v[140:143], off, off offset:48
	;; [unrolled: 1-line block ×17, first 2 shown]
	s_set_vgpr_msb 64                       ;  msbs: dst=1 src0=0 src1=0 src2=0
	scratch_load_b128 v[4:7] /*v[260:263]*/, off, off offset:304
	scratch_load_b128 v[12:15] /*v[268:271]*/, off, off offset:320
	;; [unrolled: 1-line block ×7, first 2 shown]
	s_mov_b32 s0, exec_lo
	s_wait_loadcnt_dscnt 0x1703
	s_set_vgpr_msb 0                        ;  msbs: dst=0 src0=0 src1=0 src2=0
	v_mul_f32_e32 v9, v120, v137
	ds_load_b128 v[152:155], v7 offset:576
	ds_load_b128 v[160:163], v7 offset:592
	;; [unrolled: 1-line block ×4, first 2 shown]
	v_dual_fmac_f32 v9, v121, v136 :: v_dual_mul_f32 v11, v122, v139
	ds_load_b128 v[184:187], v7 offset:640
	ds_load_b128 v[192:195], v7 offset:656
	;; [unrolled: 1-line block ×4, first 2 shown]
	v_dual_add_f32 v9, 0, v9 :: v_dual_fmac_f32 v11, v123, v138
	ds_load_b128 v[216:219], v7 offset:704
	ds_load_b128 v[224:227], v7 offset:720
	;; [unrolled: 1-line block ×4, first 2 shown]
	s_wait_loadcnt_dscnt 0x160e
	v_dual_add_f32 v9, v9, v11 :: v_dual_mul_f32 v11, v124, v141
	ds_load_b128 v[248:251], v7 offset:768
	s_set_vgpr_msb 64                       ;  msbs: dst=1 src0=0 src1=0 src2=0
	ds_load_b128 v[0:3] /*v[256:259]*/, v7 offset:784
	ds_load_b128 v[8:11] /*v[264:267]*/, v7 offset:800
	;; [unrolled: 1-line block ×3, first 2 shown]
	s_set_vgpr_msb 0                        ;  msbs: dst=0 src0=0 src1=0 src2=0
	v_fmac_f32_e32 v11, v125, v140
	s_set_vgpr_msb 64                       ;  msbs: dst=1 src0=0 src1=0 src2=0
	ds_load_b128 v[40:43] /*v[296:299]*/, v7 offset:864
	ds_load_b128 v[48:51] /*v[304:307]*/, v7 offset:880
	;; [unrolled: 1-line block ×4, first 2 shown]
	s_set_vgpr_msb 0                        ;  msbs: dst=0 src0=0 src1=0 src2=0
	v_add_f32_e32 v9, v9, v11
	v_mul_f32_e32 v11, v126, v143
	s_set_vgpr_msb 64                       ;  msbs: dst=1 src0=0 src1=0 src2=0
	s_clause 0x3
	scratch_load_b128 v[56:59] /*v[312:315]*/, off, off offset:416
	scratch_load_b128 v[60:63] /*v[316:319]*/, off, off offset:432
	;; [unrolled: 1-line block ×3, first 2 shown]
	scratch_load_b64 v[74:75] /*v[330:331]*/, off, off offset:464
	s_set_vgpr_msb 0                        ;  msbs: dst=0 src0=0 src1=0 src2=0
	v_fmac_f32_e32 v11, v127, v142
	s_wait_loadcnt_dscnt 0x1915
	s_delay_alu instid0(VALU_DEP_1)
	v_dual_add_f32 v9, v9, v11 :: v_dual_mul_f32 v11, v128, v145
	s_wait_loadcnt_dscnt 0x402
	s_set_vgpr_msb 0x45                     ;  msbs: dst=1 src0=1 src1=1 src2=0
	v_dual_mul_f32 v71 /*v327*/, v42 /*v298*/, v47 /*v303*/ :: v_dual_mul_f32 v73 /*v329*/, v48 /*v304*/, v53 /*v309*/
	s_set_vgpr_msb 0                        ;  msbs: dst=0 src0=0 src1=0 src2=0
	v_fmac_f32_e32 v11, v129, v144
	s_set_vgpr_msb 0x45                     ;  msbs: dst=1 src0=1 src1=1 src2=0
	s_delay_alu instid0(VALU_DEP_2) | instskip(SKIP_1) | instid1(VALU_DEP_2)
	v_dual_fmac_f32 v71 /*v327*/, v43 /*v299*/, v46 /*v302*/ :: v_dual_fmac_f32 v73 /*v329*/, v49 /*v305*/, v52 /*v308*/
	s_set_vgpr_msb 0                        ;  msbs: dst=0 src0=0 src1=0 src2=0
	v_add_f32_e32 v9, v9, v11
	v_mul_f32_e32 v11, v130, v147
	s_delay_alu instid0(VALU_DEP_1) | instskip(NEXT) | instid1(VALU_DEP_1)
	v_fmac_f32_e32 v11, v131, v146
	v_dual_add_f32 v9, v9, v11 :: v_dual_mul_f32 v11, v132, v149
	s_delay_alu instid0(VALU_DEP_1) | instskip(NEXT) | instid1(VALU_DEP_1)
	v_fmac_f32_e32 v11, v133, v148
	v_add_f32_e32 v9, v9, v11
	v_mul_f32_e32 v11, v134, v151
	s_delay_alu instid0(VALU_DEP_1) | instskip(NEXT) | instid1(VALU_DEP_1)
	v_fmac_f32_e32 v11, v135, v150
	v_dual_add_f32 v9, v9, v11 :: v_dual_mul_f32 v11, v152, v157
	s_delay_alu instid0(VALU_DEP_1) | instskip(NEXT) | instid1(VALU_DEP_1)
	v_fmac_f32_e32 v11, v153, v156
	;; [unrolled: 7-line block ×14, first 2 shown]
	v_add_f32_e32 v9, v9, v11
	v_mul_f32_e32 v11, v250, v255
	s_delay_alu instid0(VALU_DEP_1) | instskip(NEXT) | instid1(VALU_DEP_1)
	v_fmac_f32_e32 v11, v251, v254
	v_add_f32_e32 v9, v9, v11
	s_set_vgpr_msb 5                        ;  msbs: dst=0 src0=1 src1=1 src2=0
	v_mul_f32_e32 v11, v0 /*v256*/, v5 /*v261*/
	s_delay_alu instid0(VALU_DEP_1) | instskip(SKIP_1) | instid1(VALU_DEP_1)
	v_fmac_f32_e32 v11, v1 /*v257*/, v4 /*v260*/
	s_set_vgpr_msb 0                        ;  msbs: dst=0 src0=0 src1=0 src2=0
	v_add_f32_e32 v9, v9, v11
	s_set_vgpr_msb 5                        ;  msbs: dst=0 src0=1 src1=1 src2=0
	v_mul_f32_e32 v11, v2 /*v258*/, v7 /*v263*/
	s_delay_alu instid0(VALU_DEP_1) | instskip(SKIP_1) | instid1(VALU_DEP_1)
	v_fmac_f32_e32 v11, v3 /*v259*/, v6 /*v262*/
	s_set_vgpr_msb 0                        ;  msbs: dst=0 src0=0 src1=0 src2=0
	v_add_f32_e32 v9, v9, v11
	s_set_vgpr_msb 5                        ;  msbs: dst=0 src0=1 src1=1 src2=0
	v_mul_f32_e32 v11, v8 /*v264*/, v13 /*v269*/
	s_delay_alu instid0(VALU_DEP_1) | instskip(SKIP_1) | instid1(VALU_DEP_1)
	v_fmac_f32_e32 v11, v9 /*v265*/, v12 /*v268*/
	s_set_vgpr_msb 0                        ;  msbs: dst=0 src0=0 src1=0 src2=0
	v_add_f32_e32 v9, v9, v11
	s_set_vgpr_msb 5                        ;  msbs: dst=0 src0=1 src1=1 src2=0
	v_mul_f32_e32 v11, v10 /*v266*/, v15 /*v271*/
	s_delay_alu instid0(VALU_DEP_1) | instskip(SKIP_1) | instid1(VALU_DEP_1)
	v_fmac_f32_e32 v11, v11 /*v267*/, v14 /*v270*/
	s_set_vgpr_msb 0                        ;  msbs: dst=0 src0=0 src1=0 src2=0
	v_add_f32_e32 v9, v9, v11
	s_set_vgpr_msb 5                        ;  msbs: dst=0 src0=1 src1=1 src2=0
	v_mul_f32_e32 v11, v16 /*v272*/, v21 /*v277*/
	s_delay_alu instid0(VALU_DEP_1) | instskip(SKIP_1) | instid1(VALU_DEP_1)
	v_fmac_f32_e32 v11, v17 /*v273*/, v20 /*v276*/
	s_set_vgpr_msb 0                        ;  msbs: dst=0 src0=0 src1=0 src2=0
	v_add_f32_e32 v9, v9, v11
	s_set_vgpr_msb 5                        ;  msbs: dst=0 src0=1 src1=1 src2=0
	v_mul_f32_e32 v11, v18 /*v274*/, v23 /*v279*/
	s_delay_alu instid0(VALU_DEP_1) | instskip(SKIP_1) | instid1(VALU_DEP_1)
	v_fmac_f32_e32 v11, v19 /*v275*/, v22 /*v278*/
	s_set_vgpr_msb 0                        ;  msbs: dst=0 src0=0 src1=0 src2=0
	v_add_f32_e32 v9, v9, v11
	s_wait_dscnt 0x1
	s_set_vgpr_msb 5                        ;  msbs: dst=0 src0=1 src1=1 src2=0
	v_mul_f32_e32 v11, v24 /*v280*/, v29 /*v285*/
	s_delay_alu instid0(VALU_DEP_1) | instskip(SKIP_1) | instid1(VALU_DEP_1)
	v_fmac_f32_e32 v11, v25 /*v281*/, v28 /*v284*/
	s_set_vgpr_msb 0                        ;  msbs: dst=0 src0=0 src1=0 src2=0
	v_add_f32_e32 v9, v9, v11
	s_set_vgpr_msb 5                        ;  msbs: dst=0 src0=1 src1=1 src2=0
	v_mul_f32_e32 v11, v26 /*v282*/, v31 /*v287*/
	s_delay_alu instid0(VALU_DEP_1) | instskip(SKIP_1) | instid1(VALU_DEP_1)
	v_fmac_f32_e32 v11, v27 /*v283*/, v30 /*v286*/
	s_set_vgpr_msb 0                        ;  msbs: dst=0 src0=0 src1=0 src2=0
	v_add_f32_e32 v9, v9, v11
	s_wait_dscnt 0x0
	s_set_vgpr_msb 5                        ;  msbs: dst=0 src0=1 src1=1 src2=0
	v_mul_f32_e32 v11, v32 /*v288*/, v37 /*v293*/
	s_delay_alu instid0(VALU_DEP_1) | instskip(SKIP_1) | instid1(VALU_DEP_1)
	v_fmac_f32_e32 v11, v33 /*v289*/, v36 /*v292*/
	s_set_vgpr_msb 0                        ;  msbs: dst=0 src0=0 src1=0 src2=0
	v_add_f32_e32 v9, v9, v11
	s_set_vgpr_msb 5                        ;  msbs: dst=0 src0=1 src1=1 src2=0
	v_mul_f32_e32 v11, v34 /*v290*/, v39 /*v295*/
	s_delay_alu instid0(VALU_DEP_1) | instskip(SKIP_1) | instid1(VALU_DEP_1)
	v_fmac_f32_e32 v11, v35 /*v291*/, v38 /*v294*/
	s_set_vgpr_msb 0                        ;  msbs: dst=0 src0=0 src1=0 src2=0
	v_add_f32_e32 v9, v9, v11
	s_set_vgpr_msb 5                        ;  msbs: dst=0 src0=1 src1=1 src2=0
	v_mul_f32_e32 v11, v40 /*v296*/, v45 /*v301*/
	s_delay_alu instid0(VALU_DEP_1) | instskip(SKIP_1) | instid1(VALU_DEP_1)
	v_fmac_f32_e32 v11, v41 /*v297*/, v44 /*v300*/
	s_set_vgpr_msb 64                       ;  msbs: dst=1 src0=0 src1=0 src2=0
	v_add_f32_e32 v69 /*v325*/, v9, v11
	s_set_vgpr_msb 0                        ;  msbs: dst=0 src0=0 src1=0 src2=0
	v_dual_mul_f32 v9, v121, v137 :: v_dual_mul_f32 v11, v123, v139
	s_set_vgpr_msb 1                        ;  msbs: dst=0 src0=1 src1=0 src2=0
	v_mov_b32_e32 v137, v50 /*v306*/
	s_set_vgpr_msb 0                        ;  msbs: dst=0 src0=0 src1=0 src2=0
	s_delay_alu instid0(VALU_DEP_2) | instskip(SKIP_2) | instid1(VALU_DEP_2)
	v_dual_fma_f32 v9, v120, v136, -v9 :: v_dual_fma_f32 v11, v122, v138, -v11
	s_set_vgpr_msb 1                        ;  msbs: dst=0 src0=1 src1=0 src2=0
	v_dual_mov_b32 v136, v51 /*v307*/ :: v_dual_mov_b32 v138, v55 /*v311*/
	v_add_f32_e32 v9, 0, v9
	s_set_vgpr_msb 0                        ;  msbs: dst=0 src0=0 src1=0 src2=0
	s_delay_alu instid0(VALU_DEP_2) | instskip(NEXT) | instid1(VALU_DEP_2)
	v_pk_mul_f32 v[136:137], v[136:137], v[138:139] op_sel_hi:[1,0]
	v_add_f32_e32 v9, v9, v11
	v_mul_f32_e32 v11, v125, v141
	s_set_vgpr_msb 5                        ;  msbs: dst=0 src0=1 src1=1 src2=0
	s_delay_alu instid0(VALU_DEP_3) | instskip(SKIP_2) | instid1(VALU_DEP_1)
	v_pk_fma_f32 v[138:139], v[50:51] /*v[306:307]*/, v[54:55] /*v[310:311]*/, v[136:137] neg_lo:[0,0,1] neg_hi:[0,0,1]
	v_pk_fma_f32 v[136:137], v[50:51] /*v[306:307]*/, v[54:55] /*v[310:311]*/, v[136:137] op_sel_hi:[1,0,1]
	s_set_vgpr_msb 0                        ;  msbs: dst=0 src0=0 src1=0 src2=0
	v_dual_fma_f32 v11, v124, v140, -v11 :: v_dual_mov_b32 v139, v137
	s_delay_alu instid0(VALU_DEP_1) | instskip(SKIP_1) | instid1(VALU_DEP_1)
	v_add_f32_e32 v9, v9, v11
	v_mul_f32_e32 v11, v127, v143
	v_fma_f32 v11, v126, v142, -v11
	s_delay_alu instid0(VALU_DEP_1) | instskip(SKIP_1) | instid1(VALU_DEP_1)
	v_add_f32_e32 v9, v9, v11
	v_mul_f32_e32 v11, v129, v145
	v_fma_f32 v11, v128, v144, -v11
	;; [unrolled: 4-line block ×4, first 2 shown]
	ds_load_b128 v[120:123], v7 offset:896
	ds_load_b128 v[124:127], v7 offset:912
	;; [unrolled: 1-line block ×3, first 2 shown]
	ds_load_b64 v[132:133], v7 offset:944
	v_add_f32_e32 v9, v9, v11
	v_mul_f32_e32 v11, v135, v151
	s_delay_alu instid0(VALU_DEP_1) | instskip(NEXT) | instid1(VALU_DEP_1)
	v_fma_f32 v11, v134, v150, -v11
	v_add_f32_e32 v9, v9, v11
	v_mul_f32_e32 v11, v153, v157
	s_wait_loadcnt_dscnt 0x303
	s_set_vgpr_msb 4                        ;  msbs: dst=0 src0=0 src1=1 src2=0
	v_pk_mul_f32 v[136:137], v[120:121], v[56:57] /*v[312:313]*/ op_sel:[1,1] op_sel_hi:[0,1]
	s_set_vgpr_msb 0                        ;  msbs: dst=0 src0=0 src1=0 src2=0
	v_fma_f32 v11, v152, v156, -v11
	s_delay_alu instid0(VALU_DEP_1) | instskip(SKIP_1) | instid1(VALU_DEP_1)
	v_add_f32_e32 v9, v9, v11
	v_mul_f32_e32 v11, v155, v159
	v_fma_f32 v11, v154, v158, -v11
	s_delay_alu instid0(VALU_DEP_1) | instskip(SKIP_1) | instid1(VALU_DEP_1)
	v_add_f32_e32 v9, v9, v11
	v_mul_f32_e32 v11, v161, v165
	;; [unrolled: 4-line block ×25, first 2 shown]
	v_fma_f32 v11, v250, v254, -v11
	s_delay_alu instid0(VALU_DEP_1) | instskip(SKIP_2) | instid1(VALU_DEP_1)
	v_add_f32_e32 v9, v9, v11
	s_set_vgpr_msb 5                        ;  msbs: dst=0 src0=1 src1=1 src2=0
	v_mul_f32_e32 v11, v1 /*v257*/, v5 /*v261*/
	v_fma_f32 v11, v0 /*v256*/, v4 /*v260*/, -v11
	s_set_vgpr_msb 0                        ;  msbs: dst=0 src0=0 src1=0 src2=0
	s_delay_alu instid0(VALU_DEP_1) | instskip(SKIP_2) | instid1(VALU_DEP_1)
	v_add_f32_e32 v9, v9, v11
	s_set_vgpr_msb 5                        ;  msbs: dst=0 src0=1 src1=1 src2=0
	v_mul_f32_e32 v11, v3 /*v259*/, v7 /*v263*/
	v_fma_f32 v11, v2 /*v258*/, v6 /*v262*/, -v11
	s_set_vgpr_msb 0                        ;  msbs: dst=0 src0=0 src1=0 src2=0
	;; [unrolled: 6-line block ×10, first 2 shown]
	s_delay_alu instid0(VALU_DEP_1) | instskip(SKIP_2) | instid1(VALU_DEP_1)
	v_add_f32_e32 v9, v9, v11
	s_set_vgpr_msb 5                        ;  msbs: dst=0 src0=1 src1=1 src2=0
	v_mul_f32_e32 v11, v41 /*v297*/, v45 /*v301*/
	v_fma_f32 v11, v40 /*v296*/, v44 /*v300*/, -v11
	s_set_vgpr_msb 64                       ;  msbs: dst=1 src0=0 src1=0 src2=0
	s_delay_alu instid0(VALU_DEP_1) | instskip(SKIP_3) | instid1(VALU_DEP_1)
	v_add_f32_e32 v68 /*v324*/, v9, v11
	s_set_vgpr_msb 5                        ;  msbs: dst=0 src0=1 src1=1 src2=0
	v_mul_f32_e32 v9, v43 /*v299*/, v47 /*v303*/
	s_set_vgpr_msb 0x45                     ;  msbs: dst=1 src0=1 src1=1 src2=0
	v_fma_f32 v70 /*v326*/, v42 /*v298*/, v46 /*v302*/, -v9
	s_set_vgpr_msb 5                        ;  msbs: dst=0 src0=1 src1=1 src2=0
	v_mul_f32_e32 v9, v49 /*v305*/, v53 /*v309*/
	s_set_vgpr_msb 0x45                     ;  msbs: dst=1 src0=1 src1=1 src2=0
	s_delay_alu instid0(VALU_DEP_1) | instskip(SKIP_3) | instid1(VALU_DEP_1)
	v_fma_f32 v72 /*v328*/, v48 /*v304*/, v52 /*v308*/, -v9
	s_set_vgpr_msb 5                        ;  msbs: dst=0 src0=1 src1=1 src2=0
	v_pk_add_f32 v[134:135], v[68:69] /*v[324:325]*/, v[70:71] /*v[326:327]*/
	s_set_vgpr_msb 4                        ;  msbs: dst=0 src0=0 src1=1 src2=0
	v_pk_add_f32 v[134:135], v[134:135], v[72:73] /*v[328:329]*/
	s_set_vgpr_msb 0                        ;  msbs: dst=0 src0=0 src1=0 src2=0
	s_delay_alu instid0(VALU_DEP_1)
	v_pk_add_f32 v[134:135], v[134:135], v[138:139]
	s_set_vgpr_msb 4                        ;  msbs: dst=0 src0=0 src1=1 src2=0
	v_pk_fma_f32 v[138:139], v[120:121], v[56:57] /*v[312:313]*/, v[136:137] neg_lo:[0,0,1] neg_hi:[0,0,1]
	v_pk_fma_f32 v[120:121], v[120:121], v[56:57] /*v[312:313]*/, v[136:137] op_sel_hi:[1,0,1]
	s_set_vgpr_msb 1                        ;  msbs: dst=0 src0=1 src1=0 src2=0
	v_mov_b32_e32 v136, v59 /*v315*/
	s_set_vgpr_msb 0                        ;  msbs: dst=0 src0=0 src1=0 src2=0
	s_delay_alu instid0(VALU_DEP_2) | instskip(NEXT) | instid1(VALU_DEP_1)
	v_mov_b32_e32 v139, v121
	v_pk_add_f32 v[120:121], v[134:135], v[138:139]
	v_dual_mov_b32 v134, v123 :: v_dual_mov_b32 v135, v122
	s_delay_alu instid0(VALU_DEP_1) | instskip(SKIP_1) | instid1(VALU_DEP_1)
	v_pk_mul_f32 v[134:135], v[134:135], v[136:137] op_sel_hi:[1,0]
	s_set_vgpr_msb 4                        ;  msbs: dst=0 src0=0 src1=1 src2=0
	v_pk_fma_f32 v[136:137], v[122:123], v[58:59] /*v[314:315]*/, v[134:135] neg_lo:[0,0,1] neg_hi:[0,0,1]
	v_pk_fma_f32 v[122:123], v[122:123], v[58:59] /*v[314:315]*/, v[134:135] op_sel_hi:[1,0,1]
	s_delay_alu instid0(VALU_DEP_1) | instskip(SKIP_3) | instid1(VALU_DEP_2)
	v_mov_b32_e32 v137, v123
	s_wait_loadcnt_dscnt 0x202
	v_pk_mul_f32 v[122:123], v[124:125], v[60:61] /*v[316:317]*/ op_sel:[1,1] op_sel_hi:[0,1]
	s_set_vgpr_msb 0                        ;  msbs: dst=0 src0=0 src1=0 src2=0
	v_pk_add_f32 v[120:121], v[120:121], v[136:137]
	s_set_vgpr_msb 4                        ;  msbs: dst=0 src0=0 src1=1 src2=0
	s_delay_alu instid0(VALU_DEP_2)
	v_pk_fma_f32 v[134:135], v[124:125], v[60:61] /*v[316:317]*/, v[122:123] neg_lo:[0,0,1] neg_hi:[0,0,1]
	v_pk_fma_f32 v[122:123], v[124:125], v[60:61] /*v[316:317]*/, v[122:123] op_sel_hi:[1,0,1]
	v_mov_b32_e32 v122, v127
	s_set_vgpr_msb 1                        ;  msbs: dst=0 src0=1 src1=0 src2=0
	v_mov_b32_e32 v124, v63 /*v319*/
	s_set_vgpr_msb 0                        ;  msbs: dst=0 src0=0 src1=0 src2=0
	v_dual_mov_b32 v135, v123 :: v_dual_mov_b32 v123, v126
	s_delay_alu instid0(VALU_DEP_1) | instskip(NEXT) | instid1(VALU_DEP_2)
	v_pk_add_f32 v[120:121], v[120:121], v[134:135]
	v_pk_mul_f32 v[122:123], v[122:123], v[124:125] op_sel_hi:[1,0]
	s_set_vgpr_msb 4                        ;  msbs: dst=0 src0=0 src1=1 src2=0
	s_delay_alu instid0(VALU_DEP_1) | instskip(SKIP_1) | instid1(VALU_DEP_1)
	v_pk_fma_f32 v[124:125], v[126:127], v[62:63] /*v[318:319]*/, v[122:123] neg_lo:[0,0,1] neg_hi:[0,0,1]
	v_pk_fma_f32 v[122:123], v[126:127], v[62:63] /*v[318:319]*/, v[122:123] op_sel_hi:[1,0,1]
	v_mov_b32_e32 v125, v123
	s_wait_loadcnt_dscnt 0x101
	v_pk_mul_f32 v[122:123], v[128:129], v[64:65] /*v[320:321]*/ op_sel:[1,1] op_sel_hi:[0,1]
	s_set_vgpr_msb 0                        ;  msbs: dst=0 src0=0 src1=0 src2=0
	s_delay_alu instid0(VALU_DEP_2) | instskip(SKIP_1) | instid1(VALU_DEP_2)
	v_pk_add_f32 v[120:121], v[120:121], v[124:125]
	s_set_vgpr_msb 4                        ;  msbs: dst=0 src0=0 src1=1 src2=0
	v_pk_fma_f32 v[124:125], v[128:129], v[64:65] /*v[320:321]*/, v[122:123] neg_lo:[0,0,1] neg_hi:[0,0,1]
	v_pk_fma_f32 v[122:123], v[128:129], v[64:65] /*v[320:321]*/, v[122:123] op_sel_hi:[1,0,1]
	s_delay_alu instid0(VALU_DEP_1) | instskip(SKIP_2) | instid1(VALU_DEP_2)
	v_dual_mov_b32 v122, v131 :: v_dual_mov_b32 v125, v123
	v_mov_b32_e32 v123, v130
	s_set_vgpr_msb 0                        ;  msbs: dst=0 src0=0 src1=0 src2=0
	v_pk_add_f32 v[120:121], v[120:121], v[124:125]
	s_set_vgpr_msb 1                        ;  msbs: dst=0 src0=1 src1=0 src2=0
	v_mov_b32_e32 v124, v67 /*v323*/
	s_set_vgpr_msb 0                        ;  msbs: dst=0 src0=0 src1=0 src2=0
	s_delay_alu instid0(VALU_DEP_1) | instskip(SKIP_1) | instid1(VALU_DEP_1)
	v_pk_mul_f32 v[122:123], v[122:123], v[124:125] op_sel_hi:[1,0]
	s_set_vgpr_msb 4                        ;  msbs: dst=0 src0=0 src1=1 src2=0
	v_pk_fma_f32 v[124:125], v[130:131], v[66:67] /*v[322:323]*/, v[122:123] neg_lo:[0,0,1] neg_hi:[0,0,1]
	v_pk_fma_f32 v[122:123], v[130:131], v[66:67] /*v[322:323]*/, v[122:123] op_sel_hi:[1,0,1]
	s_delay_alu instid0(VALU_DEP_1) | instskip(SKIP_3) | instid1(VALU_DEP_2)
	v_mov_b32_e32 v125, v123
	s_wait_loadcnt_dscnt 0x0
	v_pk_mul_f32 v[122:123], v[132:133], v[74:75] /*v[330:331]*/ op_sel:[1,1] op_sel_hi:[0,1]
	s_set_vgpr_msb 0                        ;  msbs: dst=0 src0=0 src1=0 src2=0
	v_pk_add_f32 v[120:121], v[120:121], v[124:125]
	s_set_vgpr_msb 4                        ;  msbs: dst=0 src0=0 src1=1 src2=0
	s_delay_alu instid0(VALU_DEP_2) | instskip(SKIP_1) | instid1(VALU_DEP_1)
	v_pk_fma_f32 v[124:125], v[132:133], v[74:75] /*v[330:331]*/, v[122:123] neg_lo:[0,0,1] neg_hi:[0,0,1]
	v_pk_fma_f32 v[122:123], v[132:133], v[74:75] /*v[330:331]*/, v[122:123] op_sel_hi:[1,0,1]
	v_mov_b32_e32 v125, v123
	scratch_load_b64 v[122:123], off, off offset:24
	s_set_vgpr_msb 0                        ;  msbs: dst=0 src0=0 src1=0 src2=0
	v_pk_add_f32 v[120:121], v[120:121], v[124:125]
	s_wait_loadcnt 0x0
	s_delay_alu instid0(VALU_DEP_1)
	v_pk_add_f32 v[120:121], v[122:123], v[120:121] neg_lo:[0,1] neg_hi:[0,1]
	scratch_store_b64 off, v[120:121], off offset:24
	s_wait_xcnt 0x0
	v_cmpx_lt_u32_e32 2, v0
	s_cbranch_execz .LBB122_363
; %bb.362:
	scratch_load_b64 v[120:121], off, off offset:16
	v_mov_b64_e32 v[122:123], 0
	scratch_store_b64 off, v[122:123], off offset:16
	s_wait_loadcnt 0x0
	ds_store_b64 v1, v[120:121]
.LBB122_363:
	s_wait_xcnt 0x0
	s_or_b32 exec_lo, exec_lo, s0
	s_wait_storecnt_dscnt 0x0
	s_barrier_signal -1
	s_barrier_wait -1
	s_clause 0xf
	scratch_load_b128 v[124:127], off, off offset:24
	scratch_load_b128 v[132:135], off, off offset:40
	;; [unrolled: 1-line block ×16, first 2 shown]
	ds_load_2addr_b64 v[120:123], v7 offset0:63 offset1:64
	ds_load_2addr_b64 v[128:131], v7 offset0:65 offset1:66
	s_clause 0x2
	scratch_load_b128 v[252:255], off, off offset:280
	s_set_vgpr_msb 64                       ;  msbs: dst=1 src0=0 src1=0 src2=0
	scratch_load_b128 v[4:7] /*v[260:263]*/, off, off offset:296
	s_set_vgpr_msb 0                        ;  msbs: dst=0 src0=0 src1=0 src2=0
	ds_load_2addr_b64 v[136:139], v7 offset0:67 offset1:68
	ds_load_2addr_b64 v[144:147], v7 offset0:69 offset1:70
	s_set_vgpr_msb 64                       ;  msbs: dst=1 src0=0 src1=0 src2=0
	s_clause 0x1
	scratch_load_b128 v[12:15] /*v[268:271]*/, off, off offset:312
	scratch_load_b128 v[20:23] /*v[276:279]*/, off, off offset:328
	s_set_vgpr_msb 0                        ;  msbs: dst=0 src0=0 src1=0 src2=0
	ds_load_2addr_b64 v[152:155], v7 offset0:71 offset1:72
	ds_load_2addr_b64 v[160:163], v7 offset0:73 offset1:74
	s_set_vgpr_msb 64                       ;  msbs: dst=1 src0=0 src1=0 src2=0
	s_clause 0x1
	scratch_load_b128 v[28:31] /*v[284:287]*/, off, off offset:344
	;; [unrolled: 7-line block ×3, first 2 shown]
	scratch_load_b128 v[52:55] /*v[308:311]*/, off, off offset:392
	s_set_vgpr_msb 0                        ;  msbs: dst=0 src0=0 src1=0 src2=0
	ds_load_2addr_b64 v[184:187], v7 offset0:79 offset1:80
	ds_load_2addr_b64 v[192:195], v7 offset0:81 offset1:82
	;; [unrolled: 1-line block ×9, first 2 shown]
	s_set_vgpr_msb 64                       ;  msbs: dst=1 src0=0 src1=0 src2=0
	ds_load_2addr_b64 v[0:3] /*v[256:259]*/, v7 offset0:97 offset1:98
	ds_load_2addr_b64 v[8:11] /*v[264:267]*/, v7 offset0:99 offset1:100
	;; [unrolled: 1-line block ×7, first 2 shown]
	s_clause 0x3
	scratch_load_b128 v[56:59] /*v[312:315]*/, off, off offset:408
	scratch_load_b128 v[60:63] /*v[316:319]*/, off, off offset:424
	;; [unrolled: 1-line block ×4, first 2 shown]
	s_mov_b32 s0, exec_lo
	s_wait_loadcnt_dscnt 0x1b17
	s_set_vgpr_msb 0                        ;  msbs: dst=0 src0=0 src1=0 src2=0
	v_dual_mul_f32 v9, v120, v125 :: v_dual_mul_f32 v11, v122, v127
	s_delay_alu instid0(VALU_DEP_1) | instskip(NEXT) | instid1(VALU_DEP_1)
	v_dual_fmac_f32 v9, v121, v124 :: v_dual_fmac_f32 v11, v123, v126
	v_add_f32_e32 v9, 0, v9
	s_wait_loadcnt_dscnt 0x1a16
	s_delay_alu instid0(VALU_DEP_1) | instskip(NEXT) | instid1(VALU_DEP_1)
	v_dual_add_f32 v9, v9, v11 :: v_dual_mul_f32 v11, v128, v133
	v_fmac_f32_e32 v11, v129, v132
	s_delay_alu instid0(VALU_DEP_1)
	v_add_f32_e32 v9, v9, v11
	v_mul_f32_e32 v11, v130, v135
	s_wait_loadcnt_dscnt 0x402
	s_set_vgpr_msb 0x45                     ;  msbs: dst=1 src0=1 src1=1 src2=0
	v_dual_mul_f32 v75 /*v331*/, v48 /*v304*/, v53 /*v309*/ :: v_dual_mul_f32 v77 /*v333*/, v50 /*v306*/, v55 /*v311*/
	s_set_vgpr_msb 0                        ;  msbs: dst=0 src0=0 src1=0 src2=0
	v_fmac_f32_e32 v11, v131, v134
	s_set_vgpr_msb 0x45                     ;  msbs: dst=1 src0=1 src1=1 src2=0
	s_delay_alu instid0(VALU_DEP_2) | instskip(SKIP_1) | instid1(VALU_DEP_2)
	v_dual_fmac_f32 v75 /*v331*/, v49 /*v305*/, v52 /*v308*/ :: v_dual_fmac_f32 v77 /*v333*/, v51 /*v307*/, v54 /*v310*/
	s_set_vgpr_msb 0                        ;  msbs: dst=0 src0=0 src1=0 src2=0
	v_dual_add_f32 v9, v9, v11 :: v_dual_mul_f32 v11, v136, v141
	s_delay_alu instid0(VALU_DEP_1) | instskip(NEXT) | instid1(VALU_DEP_1)
	v_fmac_f32_e32 v11, v137, v140
	v_add_f32_e32 v9, v9, v11
	v_mul_f32_e32 v11, v138, v143
	s_delay_alu instid0(VALU_DEP_1) | instskip(NEXT) | instid1(VALU_DEP_1)
	v_fmac_f32_e32 v11, v139, v142
	v_dual_add_f32 v9, v9, v11 :: v_dual_mul_f32 v11, v144, v149
	s_delay_alu instid0(VALU_DEP_1) | instskip(NEXT) | instid1(VALU_DEP_1)
	v_fmac_f32_e32 v11, v145, v148
	v_add_f32_e32 v9, v9, v11
	v_mul_f32_e32 v11, v146, v151
	s_delay_alu instid0(VALU_DEP_1) | instskip(NEXT) | instid1(VALU_DEP_1)
	v_fmac_f32_e32 v11, v147, v150
	;; [unrolled: 7-line block ×15, first 2 shown]
	v_add_f32_e32 v9, v9, v11
	s_set_vgpr_msb 5                        ;  msbs: dst=0 src0=1 src1=1 src2=0
	v_mul_f32_e32 v11, v0 /*v256*/, v5 /*v261*/
	s_delay_alu instid0(VALU_DEP_1) | instskip(SKIP_1) | instid1(VALU_DEP_1)
	v_fmac_f32_e32 v11, v1 /*v257*/, v4 /*v260*/
	s_set_vgpr_msb 0                        ;  msbs: dst=0 src0=0 src1=0 src2=0
	v_add_f32_e32 v9, v9, v11
	s_set_vgpr_msb 5                        ;  msbs: dst=0 src0=1 src1=1 src2=0
	v_mul_f32_e32 v11, v2 /*v258*/, v7 /*v263*/
	s_delay_alu instid0(VALU_DEP_1) | instskip(SKIP_1) | instid1(VALU_DEP_1)
	v_fmac_f32_e32 v11, v3 /*v259*/, v6 /*v262*/
	s_set_vgpr_msb 0                        ;  msbs: dst=0 src0=0 src1=0 src2=0
	;; [unrolled: 6-line block ×6, first 2 shown]
	v_add_f32_e32 v9, v9, v11
	s_wait_dscnt 0x1
	s_set_vgpr_msb 5                        ;  msbs: dst=0 src0=1 src1=1 src2=0
	v_mul_f32_e32 v11, v24 /*v280*/, v29 /*v285*/
	s_delay_alu instid0(VALU_DEP_1) | instskip(SKIP_1) | instid1(VALU_DEP_1)
	v_fmac_f32_e32 v11, v25 /*v281*/, v28 /*v284*/
	s_set_vgpr_msb 0                        ;  msbs: dst=0 src0=0 src1=0 src2=0
	v_add_f32_e32 v9, v9, v11
	s_set_vgpr_msb 5                        ;  msbs: dst=0 src0=1 src1=1 src2=0
	v_mul_f32_e32 v11, v26 /*v282*/, v31 /*v287*/
	s_delay_alu instid0(VALU_DEP_1) | instskip(SKIP_1) | instid1(VALU_DEP_1)
	v_fmac_f32_e32 v11, v27 /*v283*/, v30 /*v286*/
	s_set_vgpr_msb 0                        ;  msbs: dst=0 src0=0 src1=0 src2=0
	v_add_f32_e32 v9, v9, v11
	s_wait_dscnt 0x0
	s_set_vgpr_msb 5                        ;  msbs: dst=0 src0=1 src1=1 src2=0
	v_mul_f32_e32 v11, v32 /*v288*/, v37 /*v293*/
	s_delay_alu instid0(VALU_DEP_1) | instskip(SKIP_1) | instid1(VALU_DEP_1)
	v_fmac_f32_e32 v11, v33 /*v289*/, v36 /*v292*/
	s_set_vgpr_msb 0                        ;  msbs: dst=0 src0=0 src1=0 src2=0
	v_add_f32_e32 v9, v9, v11
	s_set_vgpr_msb 5                        ;  msbs: dst=0 src0=1 src1=1 src2=0
	v_mul_f32_e32 v11, v34 /*v290*/, v39 /*v295*/
	s_delay_alu instid0(VALU_DEP_1) | instskip(SKIP_1) | instid1(VALU_DEP_1)
	v_fmac_f32_e32 v11, v35 /*v291*/, v38 /*v294*/
	s_set_vgpr_msb 0                        ;  msbs: dst=0 src0=0 src1=0 src2=0
	v_add_f32_e32 v9, v9, v11
	;; [unrolled: 6-line block ×3, first 2 shown]
	s_set_vgpr_msb 5                        ;  msbs: dst=0 src0=1 src1=1 src2=0
	v_mul_f32_e32 v11, v42 /*v298*/, v47 /*v303*/
	s_delay_alu instid0(VALU_DEP_1) | instskip(SKIP_1) | instid1(VALU_DEP_1)
	v_fmac_f32_e32 v11, v43 /*v299*/, v46 /*v302*/
	s_set_vgpr_msb 64                       ;  msbs: dst=1 src0=0 src1=0 src2=0
	v_add_f32_e32 v73 /*v329*/, v9, v11
	s_set_vgpr_msb 0                        ;  msbs: dst=0 src0=0 src1=0 src2=0
	v_dual_mul_f32 v9, v121, v125 :: v_dual_mul_f32 v11, v123, v127
	s_delay_alu instid0(VALU_DEP_1) | instskip(NEXT) | instid1(VALU_DEP_1)
	v_dual_fma_f32 v9, v120, v124, -v9 :: v_dual_fma_f32 v11, v122, v126, -v11
	v_add_f32_e32 v9, 0, v9
	s_delay_alu instid0(VALU_DEP_1) | instskip(SKIP_1) | instid1(VALU_DEP_1)
	v_add_f32_e32 v9, v9, v11
	v_mul_f32_e32 v11, v129, v133
	v_fma_f32 v11, v128, v132, -v11
	s_delay_alu instid0(VALU_DEP_1) | instskip(SKIP_1) | instid1(VALU_DEP_1)
	v_add_f32_e32 v9, v9, v11
	v_mul_f32_e32 v11, v131, v135
	v_fma_f32 v11, v130, v134, -v11
	ds_load_2addr_b64 v[120:123], v7 offset0:111 offset1:112
	ds_load_2addr_b64 v[124:127], v7 offset0:113 offset1:114
	;; [unrolled: 1-line block ×4, first 2 shown]
	v_add_f32_e32 v9, v9, v11
	v_mul_f32_e32 v11, v137, v141
	s_delay_alu instid0(VALU_DEP_1) | instskip(NEXT) | instid1(VALU_DEP_1)
	v_fma_f32 v11, v136, v140, -v11
	v_add_f32_e32 v9, v9, v11
	v_mul_f32_e32 v11, v139, v143
	s_delay_alu instid0(VALU_DEP_1)
	v_fma_f32 v11, v138, v142, -v11
	s_wait_loadcnt_dscnt 0x303
	s_set_vgpr_msb 4                        ;  msbs: dst=0 src0=0 src1=1 src2=0
	v_pk_mul_f32 v[138:139], v[120:121], v[56:57] /*v[312:313]*/ op_sel:[1,1] op_sel_hi:[0,1]
	s_set_vgpr_msb 0                        ;  msbs: dst=0 src0=0 src1=0 src2=0
	v_add_f32_e32 v9, v9, v11
	v_mul_f32_e32 v11, v145, v149
	s_set_vgpr_msb 4                        ;  msbs: dst=0 src0=0 src1=1 src2=0
	v_pk_fma_f32 v[140:141], v[120:121], v[56:57] /*v[312:313]*/, v[138:139] neg_lo:[0,0,1] neg_hi:[0,0,1]
	v_pk_fma_f32 v[120:121], v[120:121], v[56:57] /*v[312:313]*/, v[138:139] op_sel_hi:[1,0,1]
	s_set_vgpr_msb 1                        ;  msbs: dst=0 src0=1 src1=0 src2=0
	v_mov_b32_e32 v138, v59 /*v315*/
	s_set_vgpr_msb 0                        ;  msbs: dst=0 src0=0 src1=0 src2=0
	s_delay_alu instid0(VALU_DEP_2) | instskip(NEXT) | instid1(VALU_DEP_1)
	v_dual_fma_f32 v11, v144, v148, -v11 :: v_dual_mov_b32 v141, v121
	v_add_f32_e32 v9, v9, v11
	v_mul_f32_e32 v11, v147, v151
	s_delay_alu instid0(VALU_DEP_1) | instskip(NEXT) | instid1(VALU_DEP_1)
	v_fma_f32 v11, v146, v150, -v11
	v_add_f32_e32 v9, v9, v11
	v_mul_f32_e32 v11, v153, v157
	s_delay_alu instid0(VALU_DEP_1) | instskip(NEXT) | instid1(VALU_DEP_1)
	v_fma_f32 v11, v152, v156, -v11
	;; [unrolled: 4-line block ×27, first 2 shown]
	v_add_f32_e32 v9, v9, v11
	s_set_vgpr_msb 5                        ;  msbs: dst=0 src0=1 src1=1 src2=0
	v_mul_f32_e32 v11, v1 /*v257*/, v5 /*v261*/
	s_delay_alu instid0(VALU_DEP_1) | instskip(SKIP_1) | instid1(VALU_DEP_1)
	v_fma_f32 v11, v0 /*v256*/, v4 /*v260*/, -v11
	s_set_vgpr_msb 0                        ;  msbs: dst=0 src0=0 src1=0 src2=0
	v_add_f32_e32 v9, v9, v11
	s_set_vgpr_msb 5                        ;  msbs: dst=0 src0=1 src1=1 src2=0
	v_mul_f32_e32 v11, v3 /*v259*/, v7 /*v263*/
	s_delay_alu instid0(VALU_DEP_1) | instskip(SKIP_1) | instid1(VALU_DEP_1)
	v_fma_f32 v11, v2 /*v258*/, v6 /*v262*/, -v11
	s_set_vgpr_msb 0                        ;  msbs: dst=0 src0=0 src1=0 src2=0
	;; [unrolled: 6-line block ×11, first 2 shown]
	v_add_f32_e32 v9, v9, v11
	s_set_vgpr_msb 5                        ;  msbs: dst=0 src0=1 src1=1 src2=0
	v_mul_f32_e32 v11, v43 /*v299*/, v47 /*v303*/
	s_delay_alu instid0(VALU_DEP_1) | instskip(SKIP_1) | instid1(VALU_DEP_1)
	v_fma_f32 v11, v42 /*v298*/, v46 /*v302*/, -v11
	s_set_vgpr_msb 64                       ;  msbs: dst=1 src0=0 src1=0 src2=0
	v_add_f32_e32 v72 /*v328*/, v9, v11
	s_set_vgpr_msb 5                        ;  msbs: dst=0 src0=1 src1=1 src2=0
	v_mul_f32_e32 v9, v49 /*v305*/, v53 /*v309*/
	s_set_vgpr_msb 0x45                     ;  msbs: dst=1 src0=1 src1=1 src2=0
	s_delay_alu instid0(VALU_DEP_1) | instskip(SKIP_3) | instid1(VALU_DEP_1)
	v_fma_f32 v74 /*v330*/, v48 /*v304*/, v52 /*v308*/, -v9
	s_set_vgpr_msb 5                        ;  msbs: dst=0 src0=1 src1=1 src2=0
	v_mul_f32_e32 v9, v51 /*v307*/, v55 /*v311*/
	s_set_vgpr_msb 0x45                     ;  msbs: dst=1 src0=1 src1=1 src2=0
	v_fma_f32 v76 /*v332*/, v50 /*v306*/, v54 /*v310*/, -v9
	s_set_vgpr_msb 5                        ;  msbs: dst=0 src0=1 src1=1 src2=0
	v_pk_add_f32 v[136:137], v[72:73] /*v[328:329]*/, v[74:75] /*v[330:331]*/
	s_set_vgpr_msb 4                        ;  msbs: dst=0 src0=0 src1=1 src2=0
	s_delay_alu instid0(VALU_DEP_1) | instskip(SKIP_1) | instid1(VALU_DEP_1)
	v_pk_add_f32 v[136:137], v[136:137], v[76:77] /*v[332:333]*/
	s_set_vgpr_msb 0                        ;  msbs: dst=0 src0=0 src1=0 src2=0
	v_pk_add_f32 v[120:121], v[136:137], v[140:141]
	v_dual_mov_b32 v136, v123 :: v_dual_mov_b32 v137, v122
	s_delay_alu instid0(VALU_DEP_1) | instskip(SKIP_1) | instid1(VALU_DEP_1)
	v_pk_mul_f32 v[136:137], v[136:137], v[138:139] op_sel_hi:[1,0]
	s_set_vgpr_msb 4                        ;  msbs: dst=0 src0=0 src1=1 src2=0
	v_pk_fma_f32 v[138:139], v[122:123], v[58:59] /*v[314:315]*/, v[136:137] neg_lo:[0,0,1] neg_hi:[0,0,1]
	v_pk_fma_f32 v[122:123], v[122:123], v[58:59] /*v[314:315]*/, v[136:137] op_sel_hi:[1,0,1]
	s_delay_alu instid0(VALU_DEP_1) | instskip(SKIP_3) | instid1(VALU_DEP_2)
	v_mov_b32_e32 v139, v123
	s_wait_loadcnt_dscnt 0x202
	v_pk_mul_f32 v[122:123], v[124:125], v[60:61] /*v[316:317]*/ op_sel:[1,1] op_sel_hi:[0,1]
	s_set_vgpr_msb 0                        ;  msbs: dst=0 src0=0 src1=0 src2=0
	v_pk_add_f32 v[120:121], v[120:121], v[138:139]
	s_set_vgpr_msb 4                        ;  msbs: dst=0 src0=0 src1=1 src2=0
	s_delay_alu instid0(VALU_DEP_2)
	v_pk_fma_f32 v[136:137], v[124:125], v[60:61] /*v[316:317]*/, v[122:123] neg_lo:[0,0,1] neg_hi:[0,0,1]
	v_pk_fma_f32 v[122:123], v[124:125], v[60:61] /*v[316:317]*/, v[122:123] op_sel_hi:[1,0,1]
	v_mov_b32_e32 v122, v127
	s_set_vgpr_msb 1                        ;  msbs: dst=0 src0=1 src1=0 src2=0
	v_mov_b32_e32 v124, v63 /*v319*/
	s_set_vgpr_msb 0                        ;  msbs: dst=0 src0=0 src1=0 src2=0
	v_dual_mov_b32 v137, v123 :: v_dual_mov_b32 v123, v126
	s_delay_alu instid0(VALU_DEP_1) | instskip(NEXT) | instid1(VALU_DEP_2)
	v_pk_add_f32 v[120:121], v[120:121], v[136:137]
	v_pk_mul_f32 v[122:123], v[122:123], v[124:125] op_sel_hi:[1,0]
	s_set_vgpr_msb 4                        ;  msbs: dst=0 src0=0 src1=1 src2=0
	s_delay_alu instid0(VALU_DEP_1) | instskip(SKIP_1) | instid1(VALU_DEP_1)
	v_pk_fma_f32 v[124:125], v[126:127], v[62:63] /*v[318:319]*/, v[122:123] neg_lo:[0,0,1] neg_hi:[0,0,1]
	v_pk_fma_f32 v[122:123], v[126:127], v[62:63] /*v[318:319]*/, v[122:123] op_sel_hi:[1,0,1]
	v_mov_b32_e32 v125, v123
	s_wait_loadcnt_dscnt 0x101
	v_pk_mul_f32 v[122:123], v[128:129], v[64:65] /*v[320:321]*/ op_sel:[1,1] op_sel_hi:[0,1]
	s_set_vgpr_msb 0                        ;  msbs: dst=0 src0=0 src1=0 src2=0
	s_delay_alu instid0(VALU_DEP_2) | instskip(SKIP_1) | instid1(VALU_DEP_2)
	v_pk_add_f32 v[120:121], v[120:121], v[124:125]
	s_set_vgpr_msb 4                        ;  msbs: dst=0 src0=0 src1=1 src2=0
	v_pk_fma_f32 v[124:125], v[128:129], v[64:65] /*v[320:321]*/, v[122:123] neg_lo:[0,0,1] neg_hi:[0,0,1]
	v_pk_fma_f32 v[122:123], v[128:129], v[64:65] /*v[320:321]*/, v[122:123] op_sel_hi:[1,0,1]
	s_delay_alu instid0(VALU_DEP_1) | instskip(SKIP_2) | instid1(VALU_DEP_2)
	v_dual_mov_b32 v122, v131 :: v_dual_mov_b32 v125, v123
	v_mov_b32_e32 v123, v130
	s_set_vgpr_msb 0                        ;  msbs: dst=0 src0=0 src1=0 src2=0
	v_pk_add_f32 v[120:121], v[120:121], v[124:125]
	s_set_vgpr_msb 1                        ;  msbs: dst=0 src0=1 src1=0 src2=0
	v_mov_b32_e32 v124, v67 /*v323*/
	s_set_vgpr_msb 0                        ;  msbs: dst=0 src0=0 src1=0 src2=0
	s_delay_alu instid0(VALU_DEP_1) | instskip(SKIP_1) | instid1(VALU_DEP_1)
	v_pk_mul_f32 v[122:123], v[122:123], v[124:125] op_sel_hi:[1,0]
	s_set_vgpr_msb 4                        ;  msbs: dst=0 src0=0 src1=1 src2=0
	v_pk_fma_f32 v[124:125], v[130:131], v[66:67] /*v[322:323]*/, v[122:123] neg_lo:[0,0,1] neg_hi:[0,0,1]
	v_pk_fma_f32 v[122:123], v[130:131], v[66:67] /*v[322:323]*/, v[122:123] op_sel_hi:[1,0,1]
	s_delay_alu instid0(VALU_DEP_1) | instskip(SKIP_3) | instid1(VALU_DEP_2)
	v_mov_b32_e32 v125, v123
	s_wait_loadcnt_dscnt 0x0
	v_pk_mul_f32 v[122:123], v[132:133], v[68:69] /*v[324:325]*/ op_sel:[1,1] op_sel_hi:[0,1]
	s_set_vgpr_msb 0                        ;  msbs: dst=0 src0=0 src1=0 src2=0
	v_pk_add_f32 v[120:121], v[120:121], v[124:125]
	s_set_vgpr_msb 4                        ;  msbs: dst=0 src0=0 src1=1 src2=0
	s_delay_alu instid0(VALU_DEP_2) | instskip(SKIP_1) | instid1(VALU_DEP_1)
	v_pk_fma_f32 v[124:125], v[132:133], v[68:69] /*v[324:325]*/, v[122:123] neg_lo:[0,0,1] neg_hi:[0,0,1]
	v_pk_fma_f32 v[122:123], v[132:133], v[68:69] /*v[324:325]*/, v[122:123] op_sel_hi:[1,0,1]
	v_dual_mov_b32 v122, v135 :: v_dual_mov_b32 v125, v123
	v_mov_b32_e32 v123, v134
	s_set_vgpr_msb 0                        ;  msbs: dst=0 src0=0 src1=0 src2=0
	s_delay_alu instid0(VALU_DEP_2) | instskip(SKIP_3) | instid1(VALU_DEP_1)
	v_pk_add_f32 v[120:121], v[120:121], v[124:125]
	s_set_vgpr_msb 1                        ;  msbs: dst=0 src0=1 src1=0 src2=0
	v_mov_b32_e32 v124, v71 /*v327*/
	s_set_vgpr_msb 0                        ;  msbs: dst=0 src0=0 src1=0 src2=0
	v_pk_mul_f32 v[122:123], v[122:123], v[124:125] op_sel_hi:[1,0]
	s_set_vgpr_msb 4                        ;  msbs: dst=0 src0=0 src1=1 src2=0
	s_delay_alu instid0(VALU_DEP_1) | instskip(SKIP_1) | instid1(VALU_DEP_1)
	v_pk_fma_f32 v[124:125], v[134:135], v[70:71] /*v[326:327]*/, v[122:123] neg_lo:[0,0,1] neg_hi:[0,0,1]
	v_pk_fma_f32 v[122:123], v[134:135], v[70:71] /*v[326:327]*/, v[122:123] op_sel_hi:[1,0,1]
	v_mov_b32_e32 v125, v123
	scratch_load_b64 v[122:123], off, off offset:16
	s_set_vgpr_msb 0                        ;  msbs: dst=0 src0=0 src1=0 src2=0
	v_pk_add_f32 v[120:121], v[120:121], v[124:125]
	s_wait_loadcnt 0x0
	s_delay_alu instid0(VALU_DEP_1)
	v_pk_add_f32 v[120:121], v[122:123], v[120:121] neg_lo:[0,1] neg_hi:[0,1]
	scratch_store_b64 off, v[120:121], off offset:16
	s_wait_xcnt 0x0
	v_cmpx_lt_u32_e32 1, v0
	s_cbranch_execz .LBB122_365
; %bb.364:
	scratch_load_b64 v[120:121], off, off offset:8
	v_mov_b64_e32 v[122:123], 0
	scratch_store_b64 off, v[122:123], off offset:8
	s_wait_loadcnt 0x0
	ds_store_b64 v1, v[120:121]
.LBB122_365:
	s_wait_xcnt 0x0
	s_or_b32 exec_lo, exec_lo, s0
	s_wait_storecnt_dscnt 0x0
	s_barrier_signal -1
	s_barrier_wait -1
	s_clause 0x1e
	scratch_load_b128 v[122:125], off, off offset:16
	scratch_load_b128 v[126:129], off, off offset:32
	;; [unrolled: 1-line block ×28, first 2 shown]
	s_set_vgpr_msb 64                       ;  msbs: dst=1 src0=0 src1=0 src2=0
	scratch_load_b64 v[90:91] /*v[346:347]*/, off, off offset:464
	scratch_load_b64 v[92:93] /*v[348:349]*/, off, off offset:8
	s_set_vgpr_msb 0                        ;  msbs: dst=0 src0=0 src1=0 src2=0
	v_dual_mov_b32 v120, 0 :: v_dual_ashrrev_i32 v95, 31, v94
	ds_load_b128 v[234:237], v120 offset:496
	ds_load_b128 v[238:241], v120 offset:512
	;; [unrolled: 1-line block ×6, first 2 shown]
	s_set_vgpr_msb 64                       ;  msbs: dst=1 src0=0 src1=0 src2=0
	ds_load_b128 v[2:5] /*v[258:261]*/, v120 offset:592
	ds_load_b128 v[6:9] /*v[262:265]*/, v120 offset:608
	;; [unrolled: 1-line block ×22, first 2 shown]
	ds_load_b64 v[94:95] /*v[350:351]*/, v120 offset:944
	s_wait_dscnt 0x14
	s_set_vgpr_msb 0x41                     ;  msbs: dst=1 src0=1 src1=0 src2=0
	v_dual_mov_b32 v96 /*v352*/, v13 /*v269*/ :: v_dual_mov_b32 v97 /*v353*/, v12 /*v268*/
	s_wait_dscnt 0x11
	v_dual_mov_b32 v98 /*v354*/, v25 /*v281*/ :: v_dual_mov_b32 v99 /*v355*/, v24 /*v280*/
	s_wait_dscnt 0x10
	;; [unrolled: 2-line block ×3, first 2 shown]
	v_dual_mov_b32 v102 /*v358*/, v41 /*v297*/ :: v_dual_mov_b32 v103 /*v359*/, v40 /*v296*/
	s_set_vgpr_msb 0                        ;  msbs: dst=0 src0=0 src1=0 src2=0
	v_dual_ashrrev_i32 v7, 31, v6 :: v_dual_ashrrev_i32 v9, 31, v8
	v_dual_ashrrev_i32 v11, 31, v10 :: v_dual_ashrrev_i32 v13, 31, v12
	;; [unrolled: 1-line block ×22, first 2 shown]
	s_mov_b32 s0, exec_lo
	s_wait_loadcnt 0x1d
	v_dual_mul_f32 v97, v234, v123 :: v_dual_mul_f32 v99, v236, v125
	v_dual_mul_f32 v101, v235, v123 :: v_dual_mul_f32 v103, v237, v125
	s_wait_loadcnt 0x1c
	v_dual_mul_f32 v105, v238, v127 :: v_dual_mul_f32 v107, v240, v129
	s_delay_alu instid0(VALU_DEP_3) | instskip(NEXT) | instid1(VALU_DEP_3)
	v_dual_fmac_f32 v97, v235, v122 :: v_dual_fmac_f32 v99, v237, v124
	v_dual_fma_f32 v101, v234, v122, -v101 :: v_dual_fma_f32 v103, v236, v124, -v103
	s_wait_loadcnt 0x1b
	v_dual_mul_f32 v109, v242, v131 :: v_dual_mul_f32 v111, v244, v133
	s_delay_alu instid0(VALU_DEP_3) | instskip(SKIP_1) | instid1(VALU_DEP_2)
	v_dual_add_f32 v97, 0, v97 :: v_dual_fmac_f32 v105, v239, v126
	v_dual_mul_f32 v113, v239, v127 :: v_dual_mul_f32 v115, v241, v129
	v_dual_add_f32 v101, 0, v101 :: v_dual_add_f32 v97, v97, v99
	v_dual_mul_f32 v117, v243, v131 :: v_dual_mul_f32 v119, v245, v133
	s_delay_alu instid0(VALU_DEP_2) | instskip(SKIP_1) | instid1(VALU_DEP_4)
	v_dual_fma_f32 v113, v238, v126, -v113 :: v_dual_add_f32 v99, v101, v103
	v_dual_fmac_f32 v109, v243, v130 :: v_dual_fmac_f32 v107, v241, v128
	v_dual_fma_f32 v103, v240, v128, -v115 :: v_dual_add_f32 v97, v97, v105
	s_delay_alu instid0(VALU_DEP_3) | instskip(SKIP_2) | instid1(VALU_DEP_3)
	v_dual_add_f32 v99, v99, v113 :: v_dual_fma_f32 v113, v242, v130, -v117
	s_wait_loadcnt 0x1a
	v_dual_mul_f32 v121, v246, v135 :: v_dual_mul_f32 v125, v248, v137
	v_dual_add_f32 v97, v97, v107 :: v_dual_fma_f32 v107, v244, v132, -v119
	s_delay_alu instid0(VALU_DEP_3) | instskip(SKIP_1) | instid1(VALU_DEP_3)
	v_dual_add_f32 v99, v99, v103 :: v_dual_fmac_f32 v111, v245, v132
	v_dual_mul_f32 v123, v247, v135 :: v_dual_mul_f32 v127, v249, v137
	v_dual_add_f32 v97, v97, v109 :: v_dual_fmac_f32 v121, v247, v134
	s_delay_alu instid0(VALU_DEP_2) | instskip(SKIP_2) | instid1(VALU_DEP_3)
	v_dual_add_f32 v99, v99, v113 :: v_dual_fma_f32 v113, v246, v134, -v123
	s_wait_loadcnt 0x19
	v_dual_mul_f32 v129, v250, v139 :: v_dual_mul_f32 v131, v252, v141
	v_dual_add_f32 v97, v97, v111 :: v_dual_fma_f32 v111, v248, v136, -v127
	v_dual_mul_f32 v133, v251, v139 :: v_dual_mul_f32 v135, v253, v141
	v_dual_add_f32 v99, v99, v107 :: v_dual_fmac_f32 v125, v249, v136
	s_delay_alu instid0(VALU_DEP_3) | instskip(SKIP_2) | instid1(VALU_DEP_3)
	v_dual_add_f32 v97, v97, v121 :: v_dual_fmac_f32 v129, v251, v138
	s_wait_loadcnt 0x18
	v_dual_mul_f32 v137, v254, v143 :: v_dual_mul_f32 v141, v255, v143
	v_dual_add_f32 v99, v99, v113 :: v_dual_fma_f32 v113, v250, v138, -v133
	s_delay_alu instid0(VALU_DEP_3)
	v_add_f32_e32 v97, v97, v125
	s_set_vgpr_msb 1                        ;  msbs: dst=0 src0=1 src1=0 src2=0
	v_dual_mul_f32 v139, v0 /*v256*/, v145 :: v_dual_mul_f32 v143, v1 /*v257*/, v145
	s_set_vgpr_msb 0                        ;  msbs: dst=0 src0=0 src1=0 src2=0
	v_dual_add_f32 v99, v99, v111 :: v_dual_fmac_f32 v131, v253, v140
	v_dual_fma_f32 v111, v252, v140, -v135 :: v_dual_add_f32 v97, v97, v129
	s_wait_loadcnt 0x17
	s_set_vgpr_msb 1                        ;  msbs: dst=0 src0=1 src1=0 src2=0
	v_dual_mul_f32 v145, v2 /*v258*/, v147 :: v_dual_mul_f32 v147, v3 /*v259*/, v147
	s_set_vgpr_msb 0                        ;  msbs: dst=0 src0=0 src1=0 src2=0
	v_add_f32_e32 v99, v99, v113
	v_dual_fmac_f32 v137, v255, v142 :: v_dual_add_f32 v97, v97, v131
	v_fma_f32 v115, v254, v142, -v141
	s_set_vgpr_msb 1                        ;  msbs: dst=0 src0=1 src1=0 src2=0
	v_fmac_f32_e32 v139, v1 /*v257*/, v144
	s_set_vgpr_msb 0                        ;  msbs: dst=0 src0=0 src1=0 src2=0
	v_add_f32_e32 v99, v99, v111
	s_wait_loadcnt 0x16
	s_set_vgpr_msb 0x41                     ;  msbs: dst=1 src0=1 src1=0 src2=0
	v_dual_mul_f32 v104 /*v360*/, v4 /*v260*/, v149 :: v_dual_mul_f32 v105 /*v361*/, v6 /*v262*/, v151
	s_set_vgpr_msb 0                        ;  msbs: dst=0 src0=0 src1=0 src2=0
	v_add_f32_e32 v97, v97, v137
	s_set_vgpr_msb 1                        ;  msbs: dst=0 src0=1 src1=0 src2=0
	v_dual_fma_f32 v117, v0 /*v256*/, v144, -v143 :: v_dual_fmac_f32 v145, v3 /*v259*/, v146
	s_set_vgpr_msb 0                        ;  msbs: dst=0 src0=0 src1=0 src2=0
	v_add_f32_e32 v99, v99, v115
	s_wait_loadcnt 0x14
	s_set_vgpr_msb 1                        ;  msbs: dst=0 src0=1 src1=0 src2=0
	v_mul_f32_e32 v115, v19 /*v275*/, v159
	s_set_vgpr_msb 0                        ;  msbs: dst=0 src0=0 src1=0 src2=0
	v_add_f32_e32 v97, v97, v139
	s_wait_loadcnt_dscnt 0xa05
	s_set_vgpr_msb 0x41                     ;  msbs: dst=1 src0=1 src1=0 src2=0
	v_dual_mul_f32 v130 /*v386*/, v72 /*v328*/, v201 :: v_dual_fmac_f32 v104 /*v360*/, v5 /*v261*/, v148
	s_set_vgpr_msb 1                        ;  msbs: dst=0 src0=1 src1=0 src2=0
	v_fma_f32 v119, v2 /*v258*/, v146, -v147
	s_set_vgpr_msb 0                        ;  msbs: dst=0 src0=0 src1=0 src2=0
	v_add_f32_e32 v99, v99, v117
	s_set_vgpr_msb 1                        ;  msbs: dst=0 src0=1 src1=0 src2=0
	v_mul_f32_e32 v117, v21 /*v277*/, v161
	s_set_vgpr_msb 0                        ;  msbs: dst=0 src0=0 src1=0 src2=0
	v_add_f32_e32 v97, v97, v145
	s_set_vgpr_msb 0x41                     ;  msbs: dst=1 src0=1 src1=0 src2=0
	v_dual_mul_f32 v106 /*v362*/, v8 /*v264*/, v153 :: v_dual_mul_f32 v107 /*v363*/, v14 /*v270*/, v155
	s_set_vgpr_msb 0                        ;  msbs: dst=0 src0=0 src1=0 src2=0
	v_add_f32_e32 v99, v99, v119
	s_set_vgpr_msb 0x41                     ;  msbs: dst=1 src0=1 src1=0 src2=0
	v_fmac_f32_e32 v105 /*v361*/, v7 /*v263*/, v150
	s_set_vgpr_msb 4                        ;  msbs: dst=0 src0=0 src1=1 src2=0
	v_add_f32_e32 v97, v97, v104 /*v360*/
	s_set_vgpr_msb 0x41                     ;  msbs: dst=1 src0=1 src1=0 src2=0
	v_dual_fmac_f32 v106 /*v362*/, v9 /*v265*/, v152 :: v_dual_mul_f32 v108 /*v364*/, v16 /*v272*/, v157
	v_dual_mul_f32 v109 /*v365*/, v18 /*v274*/, v159 :: v_dual_fmac_f32 v107 /*v363*/, v15 /*v271*/, v154
	s_set_vgpr_msb 4                        ;  msbs: dst=0 src0=0 src1=1 src2=0
	v_add_f32_e32 v97, v97, v105 /*v361*/
	s_set_vgpr_msb 0x41                     ;  msbs: dst=1 src0=1 src1=0 src2=0
	v_dual_mul_f32 v110 /*v366*/, v20 /*v276*/, v161 :: v_dual_mul_f32 v111 /*v367*/, v30 /*v286*/, v163
	v_dual_fmac_f32 v108 /*v364*/, v17 /*v273*/, v156 :: v_dual_fmac_f32 v109 /*v365*/, v19 /*v275*/, v158
	s_set_vgpr_msb 4                        ;  msbs: dst=0 src0=0 src1=1 src2=0
	v_add_f32_e32 v97, v97, v106 /*v362*/
	s_set_vgpr_msb 0x41                     ;  msbs: dst=1 src0=1 src1=0 src2=0
	v_dual_fmac_f32 v110 /*v366*/, v21 /*v277*/, v160 :: v_dual_mul_f32 v112 /*v368*/, v32 /*v288*/, v165
	v_dual_mul_f32 v113 /*v369*/, v34 /*v290*/, v167 :: v_dual_fmac_f32 v111 /*v367*/, v31 /*v287*/, v162
	s_set_vgpr_msb 4                        ;  msbs: dst=0 src0=0 src1=1 src2=0
	v_add_f32_e32 v97, v97, v107 /*v363*/
	s_set_vgpr_msb 0x41                     ;  msbs: dst=1 src0=1 src1=0 src2=0
	v_dual_mul_f32 v114 /*v370*/, v36 /*v292*/, v169 :: v_dual_mul_f32 v115 /*v371*/, v42 /*v298*/, v171
	v_dual_fmac_f32 v112 /*v368*/, v33 /*v289*/, v164 :: v_dual_fmac_f32 v113 /*v369*/, v35 /*v291*/, v166
	;; [unrolled: 10-line block ×5, first 2 shown]
	s_set_vgpr_msb 4                        ;  msbs: dst=0 src0=0 src1=1 src2=0
	v_add_f32_e32 v97, v97, v114 /*v370*/
	s_set_vgpr_msb 0x41                     ;  msbs: dst=1 src0=1 src1=0 src2=0
	v_dual_fmac_f32 v126 /*v382*/, v65 /*v321*/, v192 :: v_dual_mul_f32 v128 /*v384*/, v68 /*v324*/, v197
	v_dual_mul_f32 v129 /*v385*/, v70 /*v326*/, v199 :: v_dual_fmac_f32 v127 /*v383*/, v67 /*v323*/, v194
	s_set_vgpr_msb 4                        ;  msbs: dst=0 src0=0 src1=1 src2=0
	v_add_f32_e32 v97, v97, v115 /*v371*/
	s_set_vgpr_msb 1                        ;  msbs: dst=0 src0=1 src1=0 src2=0
	v_dual_mul_f32 v149, v5 /*v261*/, v149 :: v_dual_mul_f32 v151, v7 /*v263*/, v151
	s_set_vgpr_msb 0x41                     ;  msbs: dst=1 src0=1 src1=0 src2=0
	v_dual_fmac_f32 v128 /*v384*/, v69 /*v325*/, v196 :: v_dual_fmac_f32 v129 /*v385*/, v71 /*v327*/, v198
	v_fmac_f32_e32 v130 /*v386*/, v73 /*v329*/, v200
	s_set_vgpr_msb 4                        ;  msbs: dst=0 src0=0 src1=1 src2=0
	v_add_f32_e32 v97, v97, v116 /*v372*/
	s_wait_loadcnt_dscnt 0x904
	s_set_vgpr_msb 1                        ;  msbs: dst=0 src0=1 src1=0 src2=0
	v_dual_mul_f32 v153, v9 /*v265*/, v153 :: v_dual_mul_f32 v122, v74 /*v330*/, v203
	v_dual_fma_f32 v121, v4 /*v260*/, v148, -v149 :: v_dual_mul_f32 v119, v31 /*v287*/, v163
	s_set_vgpr_msb 4                        ;  msbs: dst=0 src0=0 src1=1 src2=0
	v_add_f32_e32 v97, v97, v117 /*v373*/
	s_wait_loadcnt_dscnt 0x803
	s_set_vgpr_msb 1                        ;  msbs: dst=0 src0=1 src1=0 src2=0
	v_dual_mul_f32 v124, v76 /*v332*/, v205 :: v_dual_mul_f32 v101, v78 /*v334*/, v207
	v_fma_f32 v126, v6 /*v262*/, v150, -v151
	v_fmac_f32_e32 v122, v75 /*v331*/, v202
	s_set_vgpr_msb 4                        ;  msbs: dst=0 src0=0 src1=1 src2=0
	v_add_f32_e32 v97, v97, v118 /*v374*/
	s_set_vgpr_msb 1                        ;  msbs: dst=0 src0=1 src1=0 src2=0
	v_dual_mul_f32 v113, v15 /*v271*/, v155 :: v_dual_mul_f32 v111, v17 /*v273*/, v157
	v_fma_f32 v127, v8 /*v264*/, v152, -v153
	v_fmac_f32_e32 v124, v77 /*v333*/, v204
	s_set_vgpr_msb 4                        ;  msbs: dst=0 src0=0 src1=1 src2=0
	v_add_f32_e32 v97, v97, v119 /*v375*/
	s_set_vgpr_msb 1                        ;  msbs: dst=0 src0=1 src1=0 src2=0
	v_dual_fma_f32 v113, v14 /*v270*/, v154, -v113 :: v_dual_fma_f32 v111, v16 /*v272*/, v156, -v111
	s_wait_loadcnt_dscnt 0x702
	v_dual_mul_f32 v105, v80 /*v336*/, v209 :: v_dual_mul_f32 v103, v82 /*v338*/, v211
	s_set_vgpr_msb 4                        ;  msbs: dst=0 src0=0 src1=1 src2=0
	v_add_f32_e32 v97, v97, v120 /*v376*/
	s_set_vgpr_msb 1                        ;  msbs: dst=0 src0=1 src1=0 src2=0
	v_fma_f32 v115, v18 /*v274*/, v158, -v115
	v_fmac_f32_e32 v101, v79 /*v335*/, v206
	v_fma_f32 v117, v20 /*v276*/, v160, -v117
	v_dual_fmac_f32 v105, v81 /*v337*/, v208 :: v_dual_fmac_f32 v103, v83 /*v339*/, v210
	s_set_vgpr_msb 4                        ;  msbs: dst=0 src0=0 src1=1 src2=0
	v_add_f32_e32 v97, v97, v121 /*v377*/
	s_wait_loadcnt_dscnt 0x601
	s_set_vgpr_msb 1                        ;  msbs: dst=0 src0=1 src1=0 src2=0
	v_dual_mul_f32 v109, v84 /*v340*/, v213 :: v_dual_mul_f32 v107, v86 /*v342*/, v215
	v_dual_fma_f32 v119, v30 /*v286*/, v162, -v119 :: v_dual_mul_f32 v123, v88 /*v344*/, v217
	s_wait_loadcnt 0x5
	v_mul_f32_e32 v125, v10 /*v266*/, v219
	s_set_vgpr_msb 4                        ;  msbs: dst=0 src0=0 src1=1 src2=0
	v_add_f32_e32 v97, v97, v122 /*v378*/
	s_set_vgpr_msb 1                        ;  msbs: dst=0 src0=1 src1=0 src2=0
	v_dual_fmac_f32 v109, v85 /*v341*/, v212 :: v_dual_fmac_f32 v107, v87 /*v343*/, v214
	s_wait_loadcnt 0x3
	v_pk_mul_f32 v[130:131], v[26:27] /*v[282:283]*/, v[226:227] op_sel:[1,1] op_sel_hi:[0,1]
	s_set_vgpr_msb 4                        ;  msbs: dst=0 src0=0 src1=1 src2=0
	v_mov_b32_e32 v128, v225
	v_add_f32_e32 v97, v97, v123 /*v379*/
	v_mov_b32_e32 v136, v229
	s_set_vgpr_msb 1                        ;  msbs: dst=0 src0=1 src1=0 src2=0
	v_dual_mul_f32 v129, v87 /*v343*/, v215 :: v_dual_fmac_f32 v123, v89 /*v345*/, v216
	s_set_vgpr_msb 4                        ;  msbs: dst=0 src0=0 src1=1 src2=0
	v_add_f32_e32 v97, v97, v124 /*v380*/
	s_set_vgpr_msb 1                        ;  msbs: dst=0 src0=1 src1=0 src2=0
	v_pk_mul_f32 v[136:137], v[100:101] /*v[356:357]*/, v[136:137] op_sel_hi:[1,0]
	s_set_vgpr_msb 4                        ;  msbs: dst=0 src0=0 src1=1 src2=0
	s_delay_alu instid0(VALU_DEP_2) | instskip(NEXT) | instid1(VALU_DEP_1)
	v_add_f32_e32 v97, v97, v125 /*v381*/
	v_add_f32_e32 v97, v97, v126 /*v382*/
	s_delay_alu instid0(VALU_DEP_1) | instskip(NEXT) | instid1(VALU_DEP_1)
	v_add_f32_e32 v97, v97, v127 /*v383*/
	v_add_f32_e32 v97, v97, v128 /*v384*/
	s_delay_alu instid0(VALU_DEP_1) | instskip(NEXT) | instid1(VALU_DEP_1)
	v_add_f32_e32 v97, v97, v129 /*v385*/
	v_add_f32_e32 v97, v97, v130 /*v386*/
	s_set_vgpr_msb 0                        ;  msbs: dst=0 src0=0 src1=0 src2=0
	v_add_f32_e32 v99, v99, v121
	s_set_vgpr_msb 1                        ;  msbs: dst=0 src0=1 src1=0 src2=0
	v_mul_f32_e32 v121, v33 /*v289*/, v165
	s_set_vgpr_msb 0                        ;  msbs: dst=0 src0=0 src1=0 src2=0
	v_add_f32_e32 v97, v97, v122
	v_add_f32_e32 v99, v99, v126
	s_set_vgpr_msb 1                        ;  msbs: dst=0 src0=1 src1=0 src2=0
	v_dual_mul_f32 v126, v35 /*v291*/, v167 :: v_dual_fma_f32 v121, v32 /*v288*/, v164, -v121
	s_set_vgpr_msb 0                        ;  msbs: dst=0 src0=0 src1=0 src2=0
	s_delay_alu instid0(VALU_DEP_2)
	v_dual_add_f32 v97, v97, v124 :: v_dual_add_f32 v99, v99, v127
	v_mov_b32_e32 v124, v221
	s_set_vgpr_msb 1                        ;  msbs: dst=0 src0=1 src1=0 src2=0
	v_dual_mul_f32 v127, v37 /*v293*/, v169 :: v_dual_fma_f32 v126, v34 /*v290*/, v166, -v126
	s_set_vgpr_msb 0                        ;  msbs: dst=0 src0=0 src1=0 src2=0
	v_add_f32_e32 v97, v97, v101
	v_add_f32_e32 v99, v99, v113
	s_set_vgpr_msb 1                        ;  msbs: dst=0 src0=1 src1=0 src2=0
	v_dual_mul_f32 v113, v43 /*v299*/, v171 :: v_dual_fma_f32 v127, v36 /*v292*/, v168, -v127
	s_set_vgpr_msb 0                        ;  msbs: dst=0 src0=0 src1=0 src2=0
	s_delay_alu instid0(VALU_DEP_2) | instskip(SKIP_1) | instid1(VALU_DEP_2)
	v_dual_add_f32 v97, v97, v105 :: v_dual_add_f32 v99, v99, v111
	s_set_vgpr_msb 1                        ;  msbs: dst=0 src0=1 src1=0 src2=0
	v_dual_mul_f32 v111, v45 /*v301*/, v173 :: v_dual_fma_f32 v113, v42 /*v298*/, v170, -v113
	s_set_vgpr_msb 0                        ;  msbs: dst=0 src0=0 src1=0 src2=0
	s_delay_alu instid0(VALU_DEP_2)
	v_add_f32_e32 v97, v97, v103
	v_add_f32_e32 v99, v99, v115
	s_set_vgpr_msb 1                        ;  msbs: dst=0 src0=1 src1=0 src2=0
	v_dual_mul_f32 v115, v47 /*v303*/, v175 :: v_dual_fma_f32 v111, v44 /*v300*/, v172, -v111
	s_set_vgpr_msb 0                        ;  msbs: dst=0 src0=0 src1=0 src2=0
	v_dual_ashrrev_i32 v103, 31, v102 :: v_dual_add_f32 v97, v97, v109
	v_add_f32_e32 v99, v99, v117
	s_set_vgpr_msb 1                        ;  msbs: dst=0 src0=1 src1=0 src2=0
	v_dual_mul_f32 v117, v49 /*v305*/, v177 :: v_dual_fma_f32 v115, v46 /*v302*/, v174, -v115
	s_set_vgpr_msb 0                        ;  msbs: dst=0 src0=0 src1=0 src2=0
	v_dual_ashrrev_i32 v109, 31, v108 :: v_dual_add_f32 v135, v97, v107
	v_add_f32_e32 v99, v99, v119
	s_set_vgpr_msb 1                        ;  msbs: dst=0 src0=1 src1=0 src2=0
	v_dual_mul_f32 v119, v51 /*v307*/, v179 :: v_dual_fma_f32 v117, v48 /*v304*/, v176, -v117
	v_dual_ashrrev_i32 v97, 31, v96 :: v_dual_ashrrev_i32 v107, 31, v106
	s_set_vgpr_msb 0                        ;  msbs: dst=0 src0=0 src1=0 src2=0
	v_add_f32_e32 v99, v99, v121
	s_set_vgpr_msb 1                        ;  msbs: dst=0 src0=1 src1=0 src2=0
	v_dual_mul_f32 v121, v53 /*v309*/, v181 :: v_dual_fma_f32 v119, v50 /*v306*/, v178, -v119
	s_set_vgpr_msb 0                        ;  msbs: dst=0 src0=0 src1=0 src2=0
	s_delay_alu instid0(VALU_DEP_2) | instskip(SKIP_1) | instid1(VALU_DEP_2)
	v_add_f32_e32 v99, v99, v126
	s_set_vgpr_msb 1                        ;  msbs: dst=0 src0=1 src1=0 src2=0
	v_dual_mul_f32 v126, v55 /*v311*/, v183 :: v_dual_fma_f32 v121, v52 /*v308*/, v180, -v121
	s_set_vgpr_msb 0                        ;  msbs: dst=0 src0=0 src1=0 src2=0
	s_delay_alu instid0(VALU_DEP_2) | instskip(SKIP_1) | instid1(VALU_DEP_2)
	;; [unrolled: 5-line block ×12, first 2 shown]
	v_add_f32_e32 v99, v99, v111
	s_set_vgpr_msb 1                        ;  msbs: dst=0 src0=1 src1=0 src2=0
	v_dual_mul_f32 v111, v77 /*v333*/, v205 :: v_dual_fma_f32 v113, v74 /*v330*/, v202, -v113
	v_mul_f32_e32 v132, v89 /*v345*/, v217
	s_set_vgpr_msb 0                        ;  msbs: dst=0 src0=0 src1=0 src2=0
	v_add_f32_e32 v99, v99, v115
	s_set_vgpr_msb 1                        ;  msbs: dst=0 src0=1 src1=0 src2=0
	v_dual_mul_f32 v115, v79 /*v335*/, v207 :: v_dual_fma_f32 v111, v76 /*v332*/, v204, -v111
	v_fma_f32 v122, v88 /*v344*/, v216, -v132
	v_pk_mul_f32 v[132:133], v[96:97] /*v[352:353]*/, v[124:125] op_sel_hi:[1,0]
	s_set_vgpr_msb 0                        ;  msbs: dst=0 src0=0 src1=0 src2=0
	v_add_f32_e32 v99, v99, v117
	s_set_vgpr_msb 1                        ;  msbs: dst=0 src0=1 src1=0 src2=0
	v_dual_mul_f32 v117, v81 /*v337*/, v209 :: v_dual_fma_f32 v115, v78 /*v334*/, v206, -v115
	v_fmac_f32_e32 v125, v11 /*v267*/, v218
	v_pk_fma_f32 v[138:139], v[12:13] /*v[268:269]*/, v[220:221], v[132:133] op_sel_hi:[1,0,1]
	s_set_vgpr_msb 0                        ;  msbs: dst=0 src0=0 src1=0 src2=0
	v_add_f32_e32 v99, v99, v119
	s_set_vgpr_msb 1                        ;  msbs: dst=0 src0=1 src1=0 src2=0
	v_mul_f32_e32 v119, v83 /*v339*/, v211
	v_pk_fma_f32 v[132:133], v[12:13] /*v[268:269]*/, v[220:221], v[132:133] neg_lo:[0,0,1] neg_hi:[0,0,1]
	s_set_vgpr_msb 0                        ;  msbs: dst=0 src0=0 src1=0 src2=0
	v_mov_b32_e32 v133, v139
	v_add_f32_e32 v99, v99, v121
	s_set_vgpr_msb 1                        ;  msbs: dst=0 src0=1 src1=0 src2=0
	v_dual_mul_f32 v121, v85 /*v341*/, v213 :: v_dual_fma_f32 v101, v82 /*v338*/, v210, -v119
	v_ashrrev_i32_e32 v119, 31, v118
	s_set_vgpr_msb 0                        ;  msbs: dst=0 src0=0 src1=0 src2=0
	v_add_f32_e32 v99, v99, v126
	s_set_vgpr_msb 1                        ;  msbs: dst=0 src0=1 src1=0 src2=0
	v_fma_f32 v105, v84 /*v340*/, v212, -v121
	s_set_vgpr_msb 0                        ;  msbs: dst=0 src0=0 src1=0 src2=0
	s_delay_alu instid0(VALU_DEP_2) | instskip(SKIP_3) | instid1(VALU_DEP_2)
	v_add_f32_e32 v99, v99, v127
	s_set_vgpr_msb 1                        ;  msbs: dst=0 src0=1 src1=0 src2=0
	v_pk_mul_f32 v[126:127], v[22:23] /*v[278:279]*/, v[222:223] op_sel:[1,1] op_sel_hi:[0,1]
	s_set_vgpr_msb 0                        ;  msbs: dst=0 src0=0 src1=0 src2=0
	v_add_f32_e32 v99, v99, v113
	s_set_vgpr_msb 1                        ;  msbs: dst=0 src0=1 src1=0 src2=0
	v_mul_f32_e32 v113, v11 /*v267*/, v219
	s_set_vgpr_msb 0                        ;  msbs: dst=0 src0=0 src1=0 src2=0
	s_delay_alu instid0(VALU_DEP_2)
	v_add_f32_e32 v99, v99, v111
	s_set_vgpr_msb 1                        ;  msbs: dst=0 src0=1 src1=0 src2=0
	v_fma_f32 v111, v80 /*v336*/, v208, -v117
	v_dual_fma_f32 v124, v10 /*v266*/, v218, -v113 :: v_dual_ashrrev_i32 v113, 31, v112
	s_set_vgpr_msb 0                        ;  msbs: dst=0 src0=0 src1=0 src2=0
	v_dual_ashrrev_i32 v117, 31, v116 :: v_dual_add_f32 v99, v99, v115
	s_delay_alu instid0(VALU_DEP_1) | instskip(NEXT) | instid1(VALU_DEP_1)
	v_dual_ashrrev_i32 v115, 31, v114 :: v_dual_add_f32 v99, v99, v111
	v_dual_ashrrev_i32 v111, 31, v110 :: v_dual_add_f32 v99, v99, v101
	s_set_vgpr_msb 1                        ;  msbs: dst=0 src0=1 src1=0 src2=0
	v_fma_f32 v101, v86 /*v342*/, v214, -v129
	v_pk_mul_f32 v[128:129], v[98:99] /*v[354:355]*/, v[128:129] op_sel_hi:[1,0]
	s_set_vgpr_msb 0                        ;  msbs: dst=0 src0=0 src1=0 src2=0
	v_dual_add_f32 v99, v99, v105 :: v_dual_ashrrev_i32 v105, 31, v104
	s_delay_alu instid0(VALU_DEP_1) | instskip(SKIP_1) | instid1(VALU_DEP_2)
	v_dual_add_f32 v134, v99, v101 :: v_dual_ashrrev_i32 v99, 31, v98
	v_ashrrev_i32_e32 v101, 31, v100
	v_pk_add_f32 v[122:123], v[134:135], v[122:123]
	s_set_vgpr_msb 1                        ;  msbs: dst=0 src0=1 src1=0 src2=0
	v_pk_fma_f32 v[134:135], v[22:23] /*v[278:279]*/, v[222:223], v[126:127] op_sel_hi:[1,0,1]
	v_pk_fma_f32 v[126:127], v[22:23] /*v[278:279]*/, v[222:223], v[126:127] neg_lo:[0,0,1] neg_hi:[0,0,1]
	s_set_vgpr_msb 0                        ;  msbs: dst=0 src0=0 src1=0 src2=0
	v_pk_add_f32 v[122:123], v[122:123], v[124:125]
	s_delay_alu instid0(VALU_DEP_3)
	v_mov_b32_e32 v127, v135
	s_set_vgpr_msb 1                        ;  msbs: dst=0 src0=1 src1=0 src2=0
	v_pk_fma_f32 v[134:135], v[24:25] /*v[280:281]*/, v[224:225], v[128:129] op_sel_hi:[1,0,1]
	v_pk_fma_f32 v[128:129], v[24:25] /*v[280:281]*/, v[224:225], v[128:129] neg_lo:[0,0,1] neg_hi:[0,0,1]
	s_wait_loadcnt 0x2
	v_pk_mul_f32 v[124:125], v[38:39] /*v[294:295]*/, v[230:231] op_sel:[1,1] op_sel_hi:[0,1]
	s_set_vgpr_msb 0                        ;  msbs: dst=0 src0=0 src1=0 src2=0
	v_pk_add_f32 v[122:123], v[122:123], v[132:133]
	s_set_vgpr_msb 1                        ;  msbs: dst=0 src0=1 src1=0 src2=0
	v_pk_fma_f32 v[132:133], v[26:27] /*v[282:283]*/, v[226:227], v[130:131] op_sel_hi:[1,0,1]
	s_set_vgpr_msb 0                        ;  msbs: dst=0 src0=0 src1=0 src2=0
	v_mov_b32_e32 v129, v135
	s_set_vgpr_msb 1                        ;  msbs: dst=0 src0=1 src1=0 src2=0
	v_pk_fma_f32 v[130:131], v[26:27] /*v[282:283]*/, v[226:227], v[130:131] neg_lo:[0,0,1] neg_hi:[0,0,1]
	v_pk_fma_f32 v[134:135], v[28:29] /*v[284:285]*/, v[228:229], v[136:137] neg_lo:[0,0,1] neg_hi:[0,0,1]
	s_set_vgpr_msb 0                        ;  msbs: dst=0 src0=0 src1=0 src2=0
	v_pk_add_f32 v[122:123], v[122:123], v[126:127]
	v_dual_mov_b32 v126, v233 :: v_dual_mov_b32 v131, v133
	s_set_vgpr_msb 1                        ;  msbs: dst=0 src0=1 src1=0 src2=0
	v_pk_fma_f32 v[132:133], v[28:29] /*v[284:285]*/, v[228:229], v[136:137] op_sel_hi:[1,0,1]
	s_set_vgpr_msb 0                        ;  msbs: dst=0 src0=0 src1=0 src2=0
	v_pk_add_f32 v[122:123], v[122:123], v[128:129]
	s_set_vgpr_msb 1                        ;  msbs: dst=0 src0=1 src1=0 src2=0
	v_pk_fma_f32 v[128:129], v[38:39] /*v[294:295]*/, v[230:231], v[124:125] op_sel_hi:[1,0,1]
	v_pk_mul_f32 v[126:127], v[102:103] /*v[358:359]*/, v[126:127] op_sel_hi:[1,0]
	s_set_vgpr_msb 0                        ;  msbs: dst=0 src0=0 src1=0 src2=0
	v_mov_b32_e32 v135, v133
	s_set_vgpr_msb 1                        ;  msbs: dst=0 src0=1 src1=0 src2=0
	v_pk_fma_f32 v[124:125], v[38:39] /*v[294:295]*/, v[230:231], v[124:125] neg_lo:[0,0,1] neg_hi:[0,0,1]
	s_set_vgpr_msb 0                        ;  msbs: dst=0 src0=0 src1=0 src2=0
	v_pk_add_f32 v[122:123], v[122:123], v[130:131]
	v_mov_b32_e32 v125, v129
	s_set_vgpr_msb 1                        ;  msbs: dst=0 src0=1 src1=0 src2=0
	v_pk_fma_f32 v[128:129], v[40:41] /*v[296:297]*/, v[232:233], v[126:127] op_sel_hi:[1,0,1]
	s_wait_loadcnt_dscnt 0x100
	s_set_vgpr_msb 5                        ;  msbs: dst=0 src0=1 src1=1 src2=0
	v_pk_mul_f32 v[130:131], v[94:95] /*v[350:351]*/, v[90:91] /*v[346:347]*/ op_sel:[1,1] op_sel_hi:[0,1]
	s_set_vgpr_msb 1                        ;  msbs: dst=0 src0=1 src1=0 src2=0
	v_pk_fma_f32 v[126:127], v[40:41] /*v[296:297]*/, v[232:233], v[126:127] neg_lo:[0,0,1] neg_hi:[0,0,1]
	s_set_vgpr_msb 0                        ;  msbs: dst=0 src0=0 src1=0 src2=0
	v_pk_add_f32 v[122:123], v[122:123], v[134:135]
	v_mov_b32_e32 v127, v129
	s_set_vgpr_msb 5                        ;  msbs: dst=0 src0=1 src1=1 src2=0
	v_pk_fma_f32 v[128:129], v[94:95] /*v[350:351]*/, v[90:91] /*v[346:347]*/, v[130:131] neg_lo:[0,0,1] neg_hi:[0,0,1]
	s_set_vgpr_msb 0                        ;  msbs: dst=0 src0=0 src1=0 src2=0
	v_pk_add_f32 v[122:123], v[122:123], v[124:125]
	s_set_vgpr_msb 5                        ;  msbs: dst=0 src0=1 src1=1 src2=0
	v_pk_fma_f32 v[124:125], v[94:95] /*v[350:351]*/, v[90:91] /*v[346:347]*/, v[130:131] op_sel_hi:[1,0,1]
	s_set_vgpr_msb 0                        ;  msbs: dst=0 src0=0 src1=0 src2=0
	s_delay_alu instid0(VALU_DEP_2) | instskip(NEXT) | instid1(VALU_DEP_2)
	v_pk_add_f32 v[122:123], v[122:123], v[126:127]
	v_mov_b32_e32 v129, v125
	s_delay_alu instid0(VALU_DEP_1) | instskip(SKIP_2) | instid1(VALU_DEP_1)
	v_pk_add_f32 v[122:123], v[122:123], v[128:129]
	s_wait_loadcnt 0x0
	s_set_vgpr_msb 1                        ;  msbs: dst=0 src0=1 src1=0 src2=0
	v_pk_add_f32 v[122:123], v[92:93] /*v[348:349]*/, v[122:123] neg_lo:[0,1] neg_hi:[0,1]
	scratch_store_b64 off, v[122:123], off offset:8
	s_wait_xcnt 0x0
	v_cmpx_ne_u32_e32 0, v0
	s_set_vgpr_msb 0                        ;  msbs: dst=0 src0=0 src1=0 src2=0
	s_cbranch_execz .LBB122_367
; %bb.366:
	scratch_load_b64 v[122:123], off, off
	v_mov_b64_e32 v[124:125], 0
	scratch_store_b64 off, v[124:125], off
	s_wait_loadcnt 0x0
	ds_store_b64 v1, v[122:123]
.LBB122_367:
	s_wait_xcnt 0x0
	s_or_b32 exec_lo, exec_lo, s0
	s_wait_storecnt_dscnt 0x0
	s_barrier_signal -1
	s_barrier_wait -1
	s_clause 0x19
	scratch_load_b128 v[122:125], off, off offset:8
	scratch_load_b128 v[126:129], off, off offset:24
	;; [unrolled: 1-line block ×26, first 2 shown]
	ds_load_2addr_b64 v[226:229], v120 offset0:61 offset1:62
	ds_load_2addr_b64 v[230:233], v120 offset0:63 offset1:64
	;; [unrolled: 1-line block ×4, first 2 shown]
	scratch_load_b128 v[242:245], off, off offset:424
	ds_load_2addr_b64 v[246:249], v120 offset0:69 offset1:70
	ds_load_2addr_b64 v[250:253], v120 offset0:71 offset1:72
	;; [unrolled: 1-line block ×3, first 2 shown]
	s_set_vgpr_msb 64                       ;  msbs: dst=1 src0=0 src1=0 src2=0
	ds_load_2addr_b64 v[2:5] /*v[258:261]*/, v120 offset0:75 offset1:76
	ds_load_2addr_b64 v[6:9] /*v[262:265]*/, v120 offset0:77 offset1:78
	;; [unrolled: 1-line block ×3, first 2 shown]
	scratch_load_b128 v[14:17] /*v[270:273]*/, off, off offset:440
	ds_load_2addr_b64 v[18:21] /*v[274:277]*/, v120 offset0:109 offset1:110
	ds_load_2addr_b64 v[22:25] /*v[278:281]*/, v120 offset0:111 offset1:112
	;; [unrolled: 1-line block ×19, first 2 shown]
	s_clause 0x2
	scratch_load_b128 v[94:97] /*v[350:353]*/, off, off offset:456
	s_set_vgpr_msb 1                        ;  msbs: dst=0 src0=1 src1=0 src2=0
	scratch_load_b64 v[0:1], off, off
	s_and_b32 vcc_lo, exec_lo, s12
	s_wait_dscnt 0x11
	v_dual_mov_b32 v120, v25 /*v281*/ :: v_dual_mov_b32 v121, v24 /*v280*/
	s_wait_dscnt 0x10
	s_set_vgpr_msb 0x41                     ;  msbs: dst=1 src0=1 src1=0 src2=0
	v_dual_mov_b32 v98 /*v354*/, v29 /*v285*/ :: v_dual_mov_b32 v99 /*v355*/, v28 /*v284*/
	s_wait_dscnt 0xd
	v_dual_mov_b32 v100 /*v356*/, v41 /*v297*/ :: v_dual_mov_b32 v101 /*v357*/, v40 /*v296*/
	s_wait_dscnt 0xc
	v_dual_mov_b32 v102 /*v358*/, v45 /*v301*/ :: v_dual_mov_b32 v103 /*v359*/, v44 /*v300*/
	s_wait_loadcnt 0x1d
	s_set_vgpr_msb 64                       ;  msbs: dst=1 src0=0 src1=0 src2=0
	v_dual_mul_f32 v104 /*v360*/, v226, v123 :: v_dual_mul_f32 v106 /*v362*/, v228, v125
	s_set_vgpr_msb 0                        ;  msbs: dst=0 src0=0 src1=0 src2=0
	v_dual_mul_f32 v123, v227, v123 :: v_dual_mul_f32 v125, v229, v125
	s_wait_loadcnt 0x1a
	s_set_vgpr_msb 64                       ;  msbs: dst=1 src0=0 src1=0 src2=0
	v_dual_mul_f32 v112 /*v368*/, v238, v135 :: v_dual_mul_f32 v113 /*v369*/, v240, v137
	s_wait_loadcnt 0x17
	v_dual_mul_f32 v118 /*v374*/, v254, v147 :: v_dual_fmac_f32 v104 /*v360*/, v227, v122
	s_set_vgpr_msb 0                        ;  msbs: dst=0 src0=0 src1=0 src2=0
	v_dual_mul_f32 v135, v239, v135 :: v_dual_fma_f32 v122, v226, v122, -v123
	s_set_vgpr_msb 64                       ;  msbs: dst=1 src0=0 src1=0 src2=0
	v_dual_mul_f32 v108 /*v364*/, v230, v127 :: v_dual_mul_f32 v109 /*v365*/, v232, v129
	s_set_vgpr_msb 0                        ;  msbs: dst=0 src0=0 src1=0 src2=0
	v_dual_mul_f32 v127, v231, v127 :: v_dual_mul_f32 v129, v233, v129
	v_mul_f32_e32 v123, v241, v137
	s_set_vgpr_msb 64                       ;  msbs: dst=1 src0=0 src1=0 src2=0
	v_dual_fmac_f32 v106 /*v362*/, v229, v124 :: v_dual_fmac_f32 v108 /*v364*/, v231, v126
	s_set_vgpr_msb 0                        ;  msbs: dst=0 src0=0 src1=0 src2=0
	v_dual_fma_f32 v124, v228, v124, -v125 :: v_dual_add_f32 v122, 0, v122
	v_dual_mul_f32 v137, v247, v139 :: v_dual_fma_f32 v126, v230, v126, -v127
	s_set_vgpr_msb 64                       ;  msbs: dst=1 src0=0 src1=0 src2=0
	v_dual_mul_f32 v110 /*v366*/, v234, v131 :: v_dual_mul_f32 v111 /*v367*/, v236, v133
	s_set_vgpr_msb 0                        ;  msbs: dst=0 src0=0 src1=0 src2=0
	v_dual_add_f32 v122, v122, v124 :: v_dual_mul_f32 v131, v235, v131
	v_mul_f32_e32 v133, v237, v133
	v_dual_mul_f32 v124, v249, v141 :: v_dual_fma_f32 v127, v232, v128, -v129
	s_delay_alu instid0(VALU_DEP_3)
	v_add_f32_e32 v122, v122, v126
	s_set_vgpr_msb 64                       ;  msbs: dst=1 src0=0 src1=0 src2=0
	v_dual_fmac_f32 v109 /*v365*/, v233, v128 :: v_dual_fmac_f32 v110 /*v366*/, v235, v130
	s_set_vgpr_msb 0                        ;  msbs: dst=0 src0=0 src1=0 src2=0
	v_dual_fma_f32 v128, v234, v130, -v131 :: v_dual_fma_f32 v129, v236, v132, -v133
	v_dual_add_f32 v122, v122, v127 :: v_dual_mul_f32 v127, v253, v145
	v_dual_fma_f32 v130, v238, v134, -v135 :: v_dual_fma_f32 v124, v248, v140, -v124
	v_fma_f32 v123, v240, v136, -v123
	s_delay_alu instid0(VALU_DEP_3) | instskip(NEXT) | instid1(VALU_DEP_4)
	v_dual_add_f32 v122, v122, v128 :: v_dual_mul_f32 v128, v255, v147
	v_dual_fma_f32 v131, v246, v138, -v137 :: v_dual_fma_f32 v127, v252, v144, -v127
	s_delay_alu instid0(VALU_DEP_2)
	v_dual_mul_f32 v126, v251, v143 :: v_dual_add_f32 v122, v122, v129
	s_set_vgpr_msb 64                       ;  msbs: dst=1 src0=0 src1=0 src2=0
	v_dual_fmac_f32 v111 /*v367*/, v237, v132 :: v_dual_fmac_f32 v112 /*v368*/, v239, v134
	s_wait_loadcnt_dscnt 0x600
	s_set_vgpr_msb 1                        ;  msbs: dst=0 src0=1 src1=0 src2=0
	v_mul_f32_e32 v132, v93 /*v349*/, v217
	v_mul_f32_e32 v129, v1 /*v257*/, v149
	s_set_vgpr_msb 0                        ;  msbs: dst=0 src0=0 src1=0 src2=0
	v_add_f32_e32 v122, v122, v130
	v_fma_f32 v128, v254, v146, -v128
	s_set_vgpr_msb 1                        ;  msbs: dst=0 src0=1 src1=0 src2=0
	v_dual_mul_f32 v130, v3 /*v259*/, v151 :: v_dual_fma_f32 v132, v92 /*v348*/, v216, -v132
	s_set_vgpr_msb 0                        ;  msbs: dst=0 src0=0 src1=0 src2=0
	v_fma_f32 v126, v250, v142, -v126
	v_add_f32_e32 v122, v122, v123
	s_set_vgpr_msb 1                        ;  msbs: dst=0 src0=1 src1=0 src2=0
	v_mul_f32_e32 v123, v5 /*v261*/, v153
	s_set_vgpr_msb 0x41                     ;  msbs: dst=1 src0=1 src1=0 src2=0
	v_dual_mul_f32 v145 /*v401*/, v76 /*v332*/, v201 :: v_dual_mul_f32 v146 /*v402*/, v78 /*v334*/, v203
	v_dual_mul_f32 v147 /*v403*/, v80 /*v336*/, v205 :: v_dual_mul_f32 v148 /*v404*/, v82 /*v338*/, v207
	s_set_vgpr_msb 0                        ;  msbs: dst=0 src0=0 src1=0 src2=0
	v_add_f32_e32 v122, v122, v131
	s_set_vgpr_msb 1                        ;  msbs: dst=0 src0=1 src1=0 src2=0
	v_mul_f32_e32 v131, v7 /*v263*/, v155
	s_set_vgpr_msb 0x41                     ;  msbs: dst=1 src0=1 src1=0 src2=0
	v_dual_mul_f32 v149 /*v405*/, v84 /*v340*/, v209 :: v_dual_mul_f32 v150 /*v406*/, v86 /*v342*/, v211
	s_set_vgpr_msb 1                        ;  msbs: dst=0 src0=1 src1=0 src2=0
	v_fma_f32 v129, v0 /*v256*/, v148, -v129
	s_set_vgpr_msb 0                        ;  msbs: dst=0 src0=0 src1=0 src2=0
	v_add_f32_e32 v122, v122, v124
	s_set_vgpr_msb 1                        ;  msbs: dst=0 src0=1 src1=0 src2=0
	v_mul_f32_e32 v124, v9 /*v265*/, v157
	s_set_vgpr_msb 0x41                     ;  msbs: dst=1 src0=1 src1=0 src2=0
	v_dual_fmac_f32 v146 /*v402*/, v79 /*v335*/, v202 :: v_dual_fmac_f32 v147 /*v403*/, v81 /*v337*/, v204
	s_set_vgpr_msb 1                        ;  msbs: dst=0 src0=1 src1=0 src2=0
	v_fma_f32 v130, v2 /*v258*/, v150, -v130
	s_set_vgpr_msb 0                        ;  msbs: dst=0 src0=0 src1=0 src2=0
	v_add_f32_e32 v122, v122, v126
	s_set_vgpr_msb 1                        ;  msbs: dst=0 src0=1 src1=0 src2=0
	v_mul_f32_e32 v126, v11 /*v267*/, v159
	s_set_vgpr_msb 4                        ;  msbs: dst=0 src0=0 src1=1 src2=0
	v_add_f32_e32 v125, 0, v104 /*v360*/
	s_set_vgpr_msb 1                        ;  msbs: dst=0 src0=1 src1=0 src2=0
	v_fma_f32 v123, v4 /*v260*/, v152, -v123
	s_set_vgpr_msb 0x41                     ;  msbs: dst=1 src0=1 src1=0 src2=0
	v_dual_fmac_f32 v148 /*v404*/, v83 /*v339*/, v206 :: v_dual_fmac_f32 v149 /*v405*/, v85 /*v341*/, v208
	s_set_vgpr_msb 0                        ;  msbs: dst=0 src0=0 src1=0 src2=0
	v_add_f32_e32 v122, v122, v127
	s_set_vgpr_msb 1                        ;  msbs: dst=0 src0=1 src1=0 src2=0
	v_dual_mul_f32 v127, v13 /*v269*/, v161 :: v_dual_fma_f32 v131, v6 /*v262*/, v154, -v131
	s_set_vgpr_msb 4                        ;  msbs: dst=0 src0=0 src1=1 src2=0
	v_add_f32_e32 v125, v125, v106 /*v362*/
	s_set_vgpr_msb 0x41                     ;  msbs: dst=1 src0=1 src1=0 src2=0
	v_dual_mul_f32 v151 /*v407*/, v88 /*v344*/, v213 :: v_dual_mul_f32 v152 /*v408*/, v90 /*v346*/, v215
	s_set_vgpr_msb 0                        ;  msbs: dst=0 src0=0 src1=0 src2=0
	v_add_f32_e32 v122, v122, v128
	s_set_vgpr_msb 1                        ;  msbs: dst=0 src0=1 src1=0 src2=0
	v_dual_mul_f32 v128, v31 /*v287*/, v163 :: v_dual_fma_f32 v124, v8 /*v264*/, v156, -v124
	s_set_vgpr_msb 4                        ;  msbs: dst=0 src0=0 src1=1 src2=0
	v_add_f32_e32 v125, v125, v108 /*v364*/
	s_set_vgpr_msb 0x41                     ;  msbs: dst=1 src0=1 src1=0 src2=0
	v_dual_fmac_f32 v150 /*v406*/, v87 /*v343*/, v210 :: v_dual_fmac_f32 v151 /*v407*/, v89 /*v345*/, v212
	s_set_vgpr_msb 0                        ;  msbs: dst=0 src0=0 src1=0 src2=0
	v_add_f32_e32 v122, v122, v129
	s_set_vgpr_msb 1                        ;  msbs: dst=0 src0=1 src1=0 src2=0
	v_dual_mul_f32 v129, v33 /*v289*/, v165 :: v_dual_fma_f32 v126, v10 /*v266*/, v158, -v126
	s_set_vgpr_msb 4                        ;  msbs: dst=0 src0=0 src1=1 src2=0
	v_add_f32_e32 v125, v125, v109 /*v365*/
	s_wait_loadcnt 0x5
	s_set_vgpr_msb 0x41                     ;  msbs: dst=1 src0=1 src1=0 src2=0
	v_dual_mul_f32 v153 /*v409*/, v92 /*v348*/, v217 :: v_dual_mul_f32 v105 /*v361*/, v18 /*v274*/, v219
	s_set_vgpr_msb 0                        ;  msbs: dst=0 src0=0 src1=0 src2=0
	v_add_f32_e32 v122, v122, v130
	s_set_vgpr_msb 1                        ;  msbs: dst=0 src0=1 src1=0 src2=0
	v_dual_mul_f32 v130, v35 /*v291*/, v167 :: v_dual_fma_f32 v127, v12 /*v268*/, v160, -v127
	s_set_vgpr_msb 4                        ;  msbs: dst=0 src0=0 src1=1 src2=0
	v_add_f32_e32 v125, v125, v110 /*v366*/
	s_set_vgpr_msb 1                        ;  msbs: dst=0 src0=1 src1=0 src2=0
	v_fma_f32 v128, v30 /*v286*/, v162, -v128
	s_set_vgpr_msb 0                        ;  msbs: dst=0 src0=0 src1=0 src2=0
	v_add_f32_e32 v122, v122, v123
	s_set_vgpr_msb 1                        ;  msbs: dst=0 src0=1 src1=0 src2=0
	v_mul_f32_e32 v123, v37 /*v293*/, v169
	s_set_vgpr_msb 0x41                     ;  msbs: dst=1 src0=1 src1=0 src2=0
	v_dual_fmac_f32 v152 /*v408*/, v91 /*v347*/, v214 :: v_dual_fmac_f32 v153 /*v409*/, v93 /*v349*/, v216
	s_set_vgpr_msb 1                        ;  msbs: dst=0 src0=1 src1=0 src2=0
	v_fma_f32 v129, v32 /*v288*/, v164, -v129
	s_set_vgpr_msb 0                        ;  msbs: dst=0 src0=0 src1=0 src2=0
	v_add_f32_e32 v122, v122, v131
	s_set_vgpr_msb 1                        ;  msbs: dst=0 src0=1 src1=0 src2=0
	v_mul_f32_e32 v131, v47 /*v303*/, v171
	s_set_vgpr_msb 4                        ;  msbs: dst=0 src0=0 src1=1 src2=0
	v_add_f32_e32 v125, v125, v111 /*v367*/
	s_set_vgpr_msb 64                       ;  msbs: dst=1 src0=0 src1=0 src2=0
	v_dual_mul_f32 v114 /*v370*/, v246, v139 :: v_dual_mul_f32 v115 /*v371*/, v248, v141
	s_set_vgpr_msb 0                        ;  msbs: dst=0 src0=0 src1=0 src2=0
	v_add_f32_e32 v122, v122, v124
	s_set_vgpr_msb 1                        ;  msbs: dst=0 src0=1 src1=0 src2=0
	v_dual_mul_f32 v124, v49 /*v305*/, v173 :: v_dual_fma_f32 v130, v34 /*v290*/, v166, -v130
	s_set_vgpr_msb 64                       ;  msbs: dst=1 src0=0 src1=0 src2=0
	v_dual_fmac_f32 v113 /*v369*/, v241, v136 :: v_dual_fmac_f32 v114 /*v370*/, v247, v138
	s_set_vgpr_msb 0                        ;  msbs: dst=0 src0=0 src1=0 src2=0
	v_add_f32_e32 v122, v122, v126
	s_set_vgpr_msb 1                        ;  msbs: dst=0 src0=1 src1=0 src2=0
	v_dual_mul_f32 v126, v51 /*v307*/, v175 :: v_dual_fma_f32 v123, v36 /*v292*/, v168, -v123
	s_set_vgpr_msb 64                       ;  msbs: dst=1 src0=0 src1=0 src2=0
	v_dual_mul_f32 v116 /*v372*/, v250, v143 :: v_dual_mul_f32 v117 /*v373*/, v252, v145
	s_set_vgpr_msb 0                        ;  msbs: dst=0 src0=0 src1=0 src2=0
	v_add_f32_e32 v122, v122, v127
	s_set_vgpr_msb 1                        ;  msbs: dst=0 src0=1 src1=0 src2=0
	v_dual_mul_f32 v127, v53 /*v309*/, v177 :: v_dual_fma_f32 v131, v46 /*v302*/, v170, -v131
	s_set_vgpr_msb 64                       ;  msbs: dst=1 src0=0 src1=0 src2=0
	v_dual_fmac_f32 v115 /*v371*/, v249, v140 :: v_dual_fmac_f32 v116 /*v372*/, v251, v142
	s_set_vgpr_msb 0                        ;  msbs: dst=0 src0=0 src1=0 src2=0
	v_add_f32_e32 v122, v122, v128
	s_set_vgpr_msb 1                        ;  msbs: dst=0 src0=1 src1=0 src2=0
	v_dual_mul_f32 v128, v55 /*v311*/, v179 :: v_dual_fma_f32 v124, v48 /*v304*/, v172, -v124
	s_set_vgpr_msb 64                       ;  msbs: dst=1 src0=0 src1=0 src2=0
	v_dual_fmac_f32 v117 /*v373*/, v253, v144 :: v_dual_fmac_f32 v118 /*v374*/, v255, v146
	s_set_vgpr_msb 0                        ;  msbs: dst=0 src0=0 src1=0 src2=0
	v_add_f32_e32 v122, v122, v129
	s_set_vgpr_msb 1                        ;  msbs: dst=0 src0=1 src1=0 src2=0
	v_dual_mul_f32 v129, v57 /*v313*/, v181 :: v_dual_fma_f32 v126, v50 /*v306*/, v174, -v126
	s_set_vgpr_msb 0x41                     ;  msbs: dst=1 src0=1 src1=0 src2=0
	v_dual_mul_f32 v119 /*v375*/, v0 /*v256*/, v149 :: v_dual_mul_f32 v120 /*v376*/, v2 /*v258*/, v151
	s_set_vgpr_msb 0                        ;  msbs: dst=0 src0=0 src1=0 src2=0
	v_add_f32_e32 v122, v122, v130
	s_set_vgpr_msb 1                        ;  msbs: dst=0 src0=1 src1=0 src2=0
	v_dual_mul_f32 v130, v59 /*v315*/, v183 :: v_dual_fma_f32 v127, v52 /*v308*/, v176, -v127
	s_set_vgpr_msb 0x41                     ;  msbs: dst=1 src0=1 src1=0 src2=0
	v_dual_mul_f32 v107 /*v363*/, v20 /*v276*/, v221 :: v_dual_fmac_f32 v119 /*v375*/, v1 /*v257*/, v148
	s_set_vgpr_msb 0                        ;  msbs: dst=0 src0=0 src1=0 src2=0
	v_add_f32_e32 v122, v122, v123
	s_set_vgpr_msb 1                        ;  msbs: dst=0 src0=1 src1=0 src2=0
	v_dual_mul_f32 v123, v61 /*v317*/, v185 :: v_dual_fma_f32 v128, v54 /*v310*/, v178, -v128
	s_set_vgpr_msb 0x41                     ;  msbs: dst=1 src0=1 src1=0 src2=0
	v_dual_mul_f32 v121 /*v377*/, v4 /*v260*/, v153 :: v_dual_mul_f32 v122 /*v378*/, v6 /*v262*/, v155
	s_set_vgpr_msb 0                        ;  msbs: dst=0 src0=0 src1=0 src2=0
	v_add_f32_e32 v122, v122, v131
	s_set_vgpr_msb 1                        ;  msbs: dst=0 src0=1 src1=0 src2=0
	v_dual_mul_f32 v131, v63 /*v319*/, v187 :: v_dual_fma_f32 v129, v56 /*v312*/, v180, -v129
	s_set_vgpr_msb 0x41                     ;  msbs: dst=1 src0=1 src1=0 src2=0
	v_dual_fmac_f32 v120 /*v376*/, v3 /*v259*/, v150 :: v_dual_fmac_f32 v121 /*v377*/, v5 /*v261*/, v152
	s_set_vgpr_msb 0                        ;  msbs: dst=0 src0=0 src1=0 src2=0
	v_add_f32_e32 v122, v122, v124
	s_set_vgpr_msb 1                        ;  msbs: dst=0 src0=1 src1=0 src2=0
	v_dual_mul_f32 v124, v65 /*v321*/, v189 :: v_dual_fma_f32 v130, v58 /*v314*/, v182, -v130
	s_set_vgpr_msb 0x41                     ;  msbs: dst=1 src0=1 src1=0 src2=0
	v_dual_mul_f32 v123 /*v379*/, v8 /*v264*/, v157 :: v_dual_mul_f32 v124 /*v380*/, v10 /*v266*/, v159
	s_set_vgpr_msb 0                        ;  msbs: dst=0 src0=0 src1=0 src2=0
	v_add_f32_e32 v122, v122, v126
	s_set_vgpr_msb 1                        ;  msbs: dst=0 src0=1 src1=0 src2=0
	v_dual_mul_f32 v126, v67 /*v323*/, v191 :: v_dual_fma_f32 v123, v60 /*v316*/, v184, -v123
	s_set_vgpr_msb 0x41                     ;  msbs: dst=1 src0=1 src1=0 src2=0
	v_dual_fmac_f32 v122 /*v378*/, v7 /*v263*/, v154 :: v_dual_fmac_f32 v123 /*v379*/, v9 /*v265*/, v156
	;; [unrolled: 12-line block ×4, first 2 shown]
	s_set_vgpr_msb 0                        ;  msbs: dst=0 src0=0 src1=0 src2=0
	v_add_f32_e32 v122, v122, v123
	s_set_vgpr_msb 1                        ;  msbs: dst=0 src0=1 src1=0 src2=0
	v_dual_mul_f32 v123, v77 /*v333*/, v201 :: v_dual_fma_f32 v128, v70 /*v326*/, v194, -v128
	s_set_vgpr_msb 0x41                     ;  msbs: dst=1 src0=1 src1=0 src2=0
	v_dual_mul_f32 v129 /*v385*/, v36 /*v292*/, v169 :: v_dual_mul_f32 v130 /*v386*/, v46 /*v302*/, v171
	s_set_vgpr_msb 0                        ;  msbs: dst=0 src0=0 src1=0 src2=0
	v_add_f32_e32 v122, v122, v131
	s_set_vgpr_msb 1                        ;  msbs: dst=0 src0=1 src1=0 src2=0
	v_dual_mul_f32 v131, v79 /*v335*/, v203 :: v_dual_fma_f32 v129, v72 /*v328*/, v196, -v129
	v_dual_mul_f32 v134, v21 /*v277*/, v221 :: v_dual_fma_f32 v130, v74 /*v330*/, v198, -v130
	s_set_vgpr_msb 0                        ;  msbs: dst=0 src0=0 src1=0 src2=0
	v_add_f32_e32 v122, v122, v124
	s_set_vgpr_msb 1                        ;  msbs: dst=0 src0=1 src1=0 src2=0
	v_mul_f32_e32 v124, v81 /*v337*/, v205
	s_set_vgpr_msb 0x41                     ;  msbs: dst=1 src0=1 src1=0 src2=0
	v_dual_fmac_f32 v128 /*v384*/, v35 /*v291*/, v166 :: v_dual_fmac_f32 v129 /*v385*/, v37 /*v293*/, v168
	s_set_vgpr_msb 1                        ;  msbs: dst=0 src0=1 src1=0 src2=0
	v_fma_f32 v123, v76 /*v332*/, v200, -v123
	s_set_vgpr_msb 0                        ;  msbs: dst=0 src0=0 src1=0 src2=0
	v_add_f32_e32 v122, v122, v126
	s_set_vgpr_msb 1                        ;  msbs: dst=0 src0=1 src1=0 src2=0
	v_mul_f32_e32 v126, v83 /*v339*/, v207
	s_set_vgpr_msb 0x41                     ;  msbs: dst=1 src0=1 src1=0 src2=0
	v_fma_f32 v106 /*v362*/, v20 /*v276*/, v220, -v134
	v_dual_mul_f32 v131 /*v387*/, v48 /*v304*/, v173 :: v_dual_mul_f32 v132 /*v388*/, v50 /*v306*/, v175
	s_set_vgpr_msb 0                        ;  msbs: dst=0 src0=0 src1=0 src2=0
	v_add_f32_e32 v122, v122, v127
	s_set_vgpr_msb 1                        ;  msbs: dst=0 src0=1 src1=0 src2=0
	v_dual_mul_f32 v127, v85 /*v341*/, v209 :: v_dual_fma_f32 v131, v78 /*v334*/, v202, -v131
	v_fma_f32 v126, v82 /*v338*/, v206, -v126
	s_set_vgpr_msb 0x41                     ;  msbs: dst=1 src0=1 src1=0 src2=0
	v_dual_fmac_f32 v130 /*v386*/, v47 /*v303*/, v170 :: v_dual_fmac_f32 v131 /*v387*/, v49 /*v305*/, v172
	s_set_vgpr_msb 0                        ;  msbs: dst=0 src0=0 src1=0 src2=0
	v_add_f32_e32 v122, v122, v128
	s_set_vgpr_msb 1                        ;  msbs: dst=0 src0=1 src1=0 src2=0
	v_mul_f32_e32 v128, v87 /*v343*/, v211
	s_set_vgpr_msb 0x41                     ;  msbs: dst=1 src0=1 src1=0 src2=0
	v_dual_mul_f32 v133 /*v389*/, v52 /*v308*/, v177 :: v_dual_mul_f32 v134 /*v390*/, v54 /*v310*/, v179
	v_fmac_f32_e32 v132 /*v388*/, v51 /*v307*/, v174
	s_set_vgpr_msb 0                        ;  msbs: dst=0 src0=0 src1=0 src2=0
	v_add_f32_e32 v122, v122, v129
	s_set_vgpr_msb 1                        ;  msbs: dst=0 src0=1 src1=0 src2=0
	v_mul_f32_e32 v129, v89 /*v345*/, v213
	s_set_vgpr_msb 0x41                     ;  msbs: dst=1 src0=1 src1=0 src2=0
	v_dual_fmac_f32 v133 /*v389*/, v53 /*v309*/, v176 :: v_dual_mul_f32 v135 /*v391*/, v56 /*v312*/, v181
	v_mul_f32_e32 v136 /*v392*/, v58 /*v314*/, v183
	s_set_vgpr_msb 0                        ;  msbs: dst=0 src0=0 src1=0 src2=0
	v_add_f32_e32 v122, v122, v130
	s_set_vgpr_msb 1                        ;  msbs: dst=0 src0=1 src1=0 src2=0
	v_mul_f32_e32 v130, v91 /*v347*/, v215
	s_set_vgpr_msb 0x41                     ;  msbs: dst=1 src0=1 src1=0 src2=0
	v_dual_fmac_f32 v134 /*v390*/, v55 /*v311*/, v178 :: v_dual_fmac_f32 v135 /*v391*/, v57 /*v313*/, v180
	v_dual_mul_f32 v137 /*v393*/, v60 /*v316*/, v185 :: v_dual_mul_f32 v138 /*v394*/, v62 /*v318*/, v187
	s_set_vgpr_msb 0                        ;  msbs: dst=0 src0=0 src1=0 src2=0
	v_add_f32_e32 v122, v122, v123
	s_set_vgpr_msb 1                        ;  msbs: dst=0 src0=1 src1=0 src2=0
	v_fma_f32 v123, v80 /*v336*/, v204, -v124
	s_set_vgpr_msb 0x41                     ;  msbs: dst=1 src0=1 src1=0 src2=0
	v_dual_fmac_f32 v136 /*v392*/, v59 /*v315*/, v182 :: v_dual_fmac_f32 v137 /*v393*/, v61 /*v317*/, v184
	v_dual_mul_f32 v139 /*v395*/, v64 /*v320*/, v189 :: v_dual_mul_f32 v140 /*v396*/, v66 /*v322*/, v191
	s_set_vgpr_msb 0                        ;  msbs: dst=0 src0=0 src1=0 src2=0
	v_add_f32_e32 v122, v122, v131
	s_set_vgpr_msb 0x41                     ;  msbs: dst=1 src0=1 src1=0 src2=0
	v_dual_fmac_f32 v138 /*v394*/, v63 /*v319*/, v186 :: v_dual_mul_f32 v141 /*v397*/, v68 /*v324*/, v193
	v_dual_mul_f32 v142 /*v398*/, v70 /*v326*/, v195 :: v_dual_fmac_f32 v139 /*v395*/, v65 /*v321*/, v188
	s_set_vgpr_msb 0                        ;  msbs: dst=0 src0=0 src1=0 src2=0
	v_add_f32_e32 v122, v122, v123
	s_set_vgpr_msb 0x41                     ;  msbs: dst=1 src0=1 src1=0 src2=0
	v_dual_fmac_f32 v140 /*v396*/, v67 /*v323*/, v190 :: v_dual_fmac_f32 v141 /*v397*/, v69 /*v325*/, v192
	v_dual_mul_f32 v143 /*v399*/, v72 /*v328*/, v197 :: v_dual_mul_f32 v144 /*v400*/, v74 /*v330*/, v199
	s_set_vgpr_msb 0                        ;  msbs: dst=0 src0=0 src1=0 src2=0
	v_add_f32_e32 v126, v122, v126
	s_wait_loadcnt 0x4
	s_set_vgpr_msb 1                        ;  msbs: dst=0 src0=1 src1=0 src2=0
	v_pk_mul_f32 v[122:123], v[22:23] /*v[278:279]*/, v[222:223] op_sel:[1,1] op_sel_hi:[0,1]
	s_set_vgpr_msb 0x41                     ;  msbs: dst=1 src0=1 src1=0 src2=0
	v_dual_fmac_f32 v142 /*v398*/, v71 /*v327*/, v194 :: v_dual_fmac_f32 v143 /*v399*/, v73 /*v329*/, v196
	v_dual_fmac_f32 v144 /*v400*/, v75 /*v331*/, v198 :: v_dual_fmac_f32 v145 /*v401*/, v77 /*v333*/, v200
	s_set_vgpr_msb 1                        ;  msbs: dst=0 src0=1 src1=0 src2=0
	v_pk_fma_f32 v[134:135], v[22:23] /*v[278:279]*/, v[222:223], v[122:123] op_sel_hi:[1,0,1]
	s_set_vgpr_msb 4                        ;  msbs: dst=0 src0=0 src1=1 src2=0
	v_add_f32_e32 v125, v125, v112 /*v368*/
	s_set_vgpr_msb 1                        ;  msbs: dst=0 src0=1 src1=0 src2=0
	v_pk_fma_f32 v[122:123], v[22:23] /*v[278:279]*/, v[222:223], v[122:123] neg_lo:[0,0,1] neg_hi:[0,0,1]
	v_dual_fma_f32 v128, v86 /*v342*/, v210, -v128 :: v_dual_fma_f32 v129, v88 /*v344*/, v212, -v129
	s_set_vgpr_msb 4                        ;  msbs: dst=0 src0=0 src1=1 src2=0
	v_dual_mov_b32 v123, v135 :: v_dual_add_f32 v125, v125, v113 /*v369*/
	s_set_vgpr_msb 1                        ;  msbs: dst=0 src0=1 src1=0 src2=0
	v_fma_f32 v130, v90 /*v346*/, v214, -v130
	s_set_vgpr_msb 0x41                     ;  msbs: dst=1 src0=1 src1=0 src2=0
	v_dual_fmac_f32 v105 /*v361*/, v19 /*v275*/, v218 :: v_dual_fmac_f32 v107 /*v363*/, v21 /*v277*/, v220
	s_set_vgpr_msb 1                        ;  msbs: dst=0 src0=1 src1=0 src2=0
	v_fma_f32 v127, v84 /*v340*/, v208, -v127
	s_set_vgpr_msb 4                        ;  msbs: dst=0 src0=0 src1=1 src2=0
	v_add_f32_e32 v125, v125, v114 /*v370*/
	s_set_vgpr_msb 0                        ;  msbs: dst=0 src0=0 src1=0 src2=0
	s_delay_alu instid0(VALU_DEP_2) | instskip(SKIP_1) | instid1(VALU_DEP_2)
	v_add_f32_e32 v126, v126, v127
	s_set_vgpr_msb 4                        ;  msbs: dst=0 src0=0 src1=1 src2=0
	v_add_f32_e32 v125, v125, v115 /*v371*/
	s_set_vgpr_msb 0                        ;  msbs: dst=0 src0=0 src1=0 src2=0
	s_delay_alu instid0(VALU_DEP_2) | instskip(SKIP_1) | instid1(VALU_DEP_2)
	v_add_f32_e32 v128, v126, v128
	s_set_vgpr_msb 4                        ;  msbs: dst=0 src0=0 src1=1 src2=0
	v_add_f32_e32 v125, v125, v116 /*v372*/
	s_wait_loadcnt 0x3
	s_set_vgpr_msb 1                        ;  msbs: dst=0 src0=1 src1=0 src2=0
	v_pk_mul_f32 v[126:127], v[26:27] /*v[282:283]*/, v[242:243] op_sel:[1,1] op_sel_hi:[0,1]
	s_set_vgpr_msb 0                        ;  msbs: dst=0 src0=0 src1=0 src2=0
	v_add_f32_e32 v129, v128, v129
	s_set_vgpr_msb 4                        ;  msbs: dst=0 src0=0 src1=1 src2=0
	v_add_f32_e32 v125, v125, v117 /*v373*/
	v_mov_b32_e32 v128, v245
	s_set_vgpr_msb 1                        ;  msbs: dst=0 src0=1 src1=0 src2=0
	v_pk_fma_f32 v[136:137], v[26:27] /*v[282:283]*/, v[242:243], v[126:127] op_sel_hi:[1,0,1]
	v_pk_fma_f32 v[126:127], v[26:27] /*v[282:283]*/, v[242:243], v[126:127] neg_lo:[0,0,1] neg_hi:[0,0,1]
	s_set_vgpr_msb 0                        ;  msbs: dst=0 src0=0 src1=0 src2=0
	v_add_f32_e32 v129, v129, v130
	s_set_vgpr_msb 4                        ;  msbs: dst=0 src0=0 src1=1 src2=0
	v_add_f32_e32 v125, v125, v118 /*v374*/
	v_mov_b32_e32 v127, v137
	s_set_vgpr_msb 0                        ;  msbs: dst=0 src0=0 src1=0 src2=0
	v_add_f32_e32 v132, v129, v132
	s_set_vgpr_msb 4                        ;  msbs: dst=0 src0=0 src1=1 src2=0
	v_add_f32_e32 v125, v125, v119 /*v375*/
	s_set_vgpr_msb 1                        ;  msbs: dst=0 src0=1 src1=0 src2=0
	v_pk_mul_f32 v[128:129], v[98:99] /*v[354:355]*/, v[128:129] op_sel_hi:[1,0]
	s_set_vgpr_msb 4                        ;  msbs: dst=0 src0=0 src1=1 src2=0
	s_delay_alu instid0(VALU_DEP_2) | instskip(NEXT) | instid1(VALU_DEP_1)
	v_add_f32_e32 v125, v125, v120 /*v376*/
	v_add_f32_e32 v125, v125, v121 /*v377*/
	s_delay_alu instid0(VALU_DEP_1) | instskip(NEXT) | instid1(VALU_DEP_1)
	v_add_f32_e32 v125, v125, v122 /*v378*/
	v_add_f32_e32 v125, v125, v123 /*v379*/
	s_delay_alu instid0(VALU_DEP_1) | instskip(NEXT) | instid1(VALU_DEP_1)
	;; [unrolled: 3-line block ×12, first 2 shown]
	v_add_f32_e32 v125, v125, v144 /*v400*/
	v_add_f32_e32 v125, v125, v145 /*v401*/
	s_delay_alu instid0(VALU_DEP_1) | instskip(SKIP_3) | instid1(VALU_DEP_2)
	v_add_f32_e32 v124, v125, v146 /*v402*/
	s_set_vgpr_msb 1                        ;  msbs: dst=0 src0=1 src1=0 src2=0
	v_mul_f32_e32 v125, v19 /*v275*/, v219
	s_set_vgpr_msb 4                        ;  msbs: dst=0 src0=0 src1=1 src2=0
	v_add_f32_e32 v124, v124, v147 /*v403*/
	s_set_vgpr_msb 0x41                     ;  msbs: dst=1 src0=1 src1=0 src2=0
	s_delay_alu instid0(VALU_DEP_2) | instskip(SKIP_1) | instid1(VALU_DEP_2)
	v_fma_f32 v104 /*v360*/, v18 /*v274*/, v218, -v125
	s_set_vgpr_msb 4                        ;  msbs: dst=0 src0=0 src1=1 src2=0
	v_add_f32_e32 v124, v124, v148 /*v404*/
	s_delay_alu instid0(VALU_DEP_1) | instskip(NEXT) | instid1(VALU_DEP_1)
	v_dual_add_f32 v131, v124, v149 /*v405*/ :: v_dual_mov_b32 v124, v225
	v_add_f32_e32 v131, v131, v150 /*v406*/
	s_set_vgpr_msb 0                        ;  msbs: dst=0 src0=0 src1=0 src2=0
	s_delay_alu instid0(VALU_DEP_2) | instskip(SKIP_1) | instid1(VALU_DEP_2)
	v_pk_mul_f32 v[120:121], v[120:121], v[124:125] op_sel_hi:[1,0]
	s_set_vgpr_msb 4                        ;  msbs: dst=0 src0=0 src1=1 src2=0
	v_add_f32_e32 v131, v131, v151 /*v407*/
	s_set_vgpr_msb 1                        ;  msbs: dst=0 src0=1 src1=0 src2=0
	s_delay_alu instid0(VALU_DEP_2) | instskip(SKIP_3) | instid1(VALU_DEP_3)
	v_pk_fma_f32 v[134:135], v[24:25] /*v[280:281]*/, v[224:225], v[120:121] op_sel_hi:[1,0,1]
	v_pk_fma_f32 v[120:121], v[24:25] /*v[280:281]*/, v[224:225], v[120:121] neg_lo:[0,0,1] neg_hi:[0,0,1]
	s_set_vgpr_msb 4                        ;  msbs: dst=0 src0=0 src1=1 src2=0
	v_add_f32_e32 v133, v131, v152 /*v408*/
	v_mov_b32_e32 v121, v135
	s_wait_loadcnt 0x2
	s_set_vgpr_msb 5                        ;  msbs: dst=0 src0=1 src1=1 src2=0
	v_pk_mul_f32 v[130:131], v[38:39] /*v[294:295]*/, v[14:15] /*v[270:271]*/ op_sel:[1,1] op_sel_hi:[0,1]
	s_set_vgpr_msb 1                        ;  msbs: dst=0 src0=1 src1=0 src2=0
	v_pk_fma_f32 v[134:135], v[28:29] /*v[284:285]*/, v[244:245], v[128:129] op_sel_hi:[1,0,1]
	v_pk_fma_f32 v[128:129], v[28:29] /*v[284:285]*/, v[244:245], v[128:129] neg_lo:[0,0,1] neg_hi:[0,0,1]
	s_set_vgpr_msb 4                        ;  msbs: dst=0 src0=0 src1=1 src2=0
	s_delay_alu instid0(VALU_DEP_2) | instskip(NEXT) | instid1(VALU_DEP_1)
	v_dual_add_f32 v133, v133, v153 /*v409*/ :: v_dual_mov_b32 v129, v135
	v_pk_add_f32 v[124:125], v[132:133], v[104:105] /*v[360:361]*/
	s_set_vgpr_msb 1                        ;  msbs: dst=0 src0=1 src1=0 src2=0
	v_mov_b32_e32 v132, v17 /*v273*/
	s_set_vgpr_msb 4                        ;  msbs: dst=0 src0=0 src1=1 src2=0
	s_delay_alu instid0(VALU_DEP_2) | instskip(SKIP_1) | instid1(VALU_DEP_2)
	v_pk_add_f32 v[124:125], v[124:125], v[106:107] /*v[362:363]*/
	s_set_vgpr_msb 1                        ;  msbs: dst=0 src0=1 src1=0 src2=0
	v_pk_mul_f32 v[132:133], v[100:101] /*v[356:357]*/, v[132:133] op_sel_hi:[1,0]
	s_set_vgpr_msb 0                        ;  msbs: dst=0 src0=0 src1=0 src2=0
	s_delay_alu instid0(VALU_DEP_2)
	v_pk_add_f32 v[122:123], v[124:125], v[122:123]
	s_wait_loadcnt 0x1
	s_set_vgpr_msb 5                        ;  msbs: dst=0 src0=1 src1=1 src2=0
	v_pk_mul_f32 v[124:125], v[42:43] /*v[298:299]*/, v[94:95] /*v[350:351]*/ op_sel:[1,1] op_sel_hi:[0,1]
	s_set_vgpr_msb 0                        ;  msbs: dst=0 src0=0 src1=0 src2=0
	v_pk_add_f32 v[120:121], v[122:123], v[120:121]
	s_set_vgpr_msb 5                        ;  msbs: dst=0 src0=1 src1=1 src2=0
	v_pk_fma_f32 v[122:123], v[38:39] /*v[294:295]*/, v[14:15] /*v[270:271]*/, v[130:131] op_sel_hi:[1,0,1]
	v_mov_b32_e32 v122, v97 /*v353*/
	s_set_vgpr_msb 0                        ;  msbs: dst=0 src0=0 src1=0 src2=0
	v_pk_add_f32 v[120:121], v[120:121], v[126:127]
	s_set_vgpr_msb 5                        ;  msbs: dst=0 src0=1 src1=1 src2=0
	v_pk_fma_f32 v[126:127], v[38:39] /*v[294:295]*/, v[14:15] /*v[270:271]*/, v[130:131] neg_lo:[0,0,1] neg_hi:[0,0,1]
	s_set_vgpr_msb 0                        ;  msbs: dst=0 src0=0 src1=0 src2=0
	v_mov_b32_e32 v127, v123
	s_set_vgpr_msb 5                        ;  msbs: dst=0 src0=1 src1=1 src2=0
	v_pk_fma_f32 v[130:131], v[40:41] /*v[296:297]*/, v[16:17] /*v[272:273]*/, v[132:133] op_sel_hi:[1,0,1]
	v_pk_fma_f32 v[132:133], v[40:41] /*v[296:297]*/, v[16:17] /*v[272:273]*/, v[132:133] neg_lo:[0,0,1] neg_hi:[0,0,1]
	s_set_vgpr_msb 0                        ;  msbs: dst=0 src0=0 src1=0 src2=0
	v_pk_add_f32 v[120:121], v[120:121], v[128:129]
	s_set_vgpr_msb 5                        ;  msbs: dst=0 src0=1 src1=1 src2=0
	v_pk_fma_f32 v[128:129], v[42:43] /*v[298:299]*/, v[94:95] /*v[350:351]*/, v[124:125] op_sel_hi:[1,0,1]
	s_set_vgpr_msb 1                        ;  msbs: dst=0 src0=1 src1=0 src2=0
	v_pk_mul_f32 v[122:123], v[102:103] /*v[358:359]*/, v[122:123] op_sel_hi:[1,0]
	s_set_vgpr_msb 0                        ;  msbs: dst=0 src0=0 src1=0 src2=0
	v_mov_b32_e32 v133, v131
	s_set_vgpr_msb 5                        ;  msbs: dst=0 src0=1 src1=1 src2=0
	v_pk_fma_f32 v[124:125], v[42:43] /*v[298:299]*/, v[94:95] /*v[350:351]*/, v[124:125] neg_lo:[0,0,1] neg_hi:[0,0,1]
	s_set_vgpr_msb 0                        ;  msbs: dst=0 src0=0 src1=0 src2=0
	v_pk_add_f32 v[120:121], v[120:121], v[126:127]
	v_mov_b32_e32 v125, v129
	s_set_vgpr_msb 5                        ;  msbs: dst=0 src0=1 src1=1 src2=0
	v_pk_fma_f32 v[126:127], v[44:45] /*v[300:301]*/, v[96:97] /*v[352:353]*/, v[122:123] op_sel_hi:[1,0,1]
	v_pk_fma_f32 v[122:123], v[44:45] /*v[300:301]*/, v[96:97] /*v[352:353]*/, v[122:123] neg_lo:[0,0,1] neg_hi:[0,0,1]
	s_set_vgpr_msb 0                        ;  msbs: dst=0 src0=0 src1=0 src2=0
	v_pk_add_f32 v[120:121], v[120:121], v[132:133]
	s_delay_alu instid0(VALU_DEP_3) | instskip(NEXT) | instid1(VALU_DEP_2)
	v_mov_b32_e32 v123, v127
	v_pk_add_f32 v[120:121], v[120:121], v[124:125]
	s_delay_alu instid0(VALU_DEP_1) | instskip(SKIP_1) | instid1(VALU_DEP_1)
	v_pk_add_f32 v[120:121], v[120:121], v[122:123]
	s_wait_loadcnt 0x0
	v_pk_add_f32 v[128:129], v[0:1], v[120:121] neg_lo:[0,1] neg_hi:[0,1]
	scratch_store_b64 off, v[128:129], off
	s_cbranch_vccz .LBB122_484
; %bb.368:
	v_mov_b32_e32 v0, 0
	global_load_b32 v1, v0, s[8:9] offset:228
	s_wait_loadcnt 0x0
	v_cmp_ne_u32_e32 vcc_lo, 58, v1
	s_cbranch_vccz .LBB122_370
; %bb.369:
	v_lshlrev_b32_e32 v1, 3, v1
	scratch_load_b64 v[120:121], v1, off offset:-8
	scratch_load_b64 v[122:123], off, off offset:456
	s_wait_loadcnt 0x1
	scratch_store_b64 off, v[120:121], off offset:456
	s_wait_loadcnt 0x0
	scratch_store_b64 v1, v[122:123], off offset:-8
.LBB122_370:
	global_load_b32 v0, v0, s[8:9] offset:224
	s_wait_loadcnt 0x0
	v_cmp_eq_u32_e32 vcc_lo, 57, v0
	s_cbranch_vccnz .LBB122_372
; %bb.371:
	s_wait_xcnt 0x0
	v_lshlrev_b32_e32 v0, 3, v0
	s_delay_alu instid0(VALU_DEP_1)
	v_mov_b32_e32 v122, v0
	scratch_load_b64 v[0:1], v122, off offset:-8
	scratch_load_b64 v[120:121], off, off offset:448
	s_wait_loadcnt 0x1
	scratch_store_b64 off, v[0:1], off offset:448
	s_wait_loadcnt 0x0
	scratch_store_b64 v122, v[120:121], off offset:-8
.LBB122_372:
	s_wait_xcnt 0x0
	v_mov_b32_e32 v0, 0
	global_load_b32 v1, v0, s[8:9] offset:220
	s_wait_loadcnt 0x0
	v_cmp_eq_u32_e32 vcc_lo, 56, v1
	s_cbranch_vccnz .LBB122_374
; %bb.373:
	v_lshlrev_b32_e32 v1, 3, v1
	scratch_load_b64 v[120:121], v1, off offset:-8
	scratch_load_b64 v[122:123], off, off offset:440
	s_wait_loadcnt 0x1
	scratch_store_b64 off, v[120:121], off offset:440
	s_wait_loadcnt 0x0
	scratch_store_b64 v1, v[122:123], off offset:-8
.LBB122_374:
	global_load_b32 v0, v0, s[8:9] offset:216
	s_wait_loadcnt 0x0
	v_cmp_eq_u32_e32 vcc_lo, 55, v0
	s_cbranch_vccnz .LBB122_376
; %bb.375:
	s_wait_xcnt 0x0
	v_lshlrev_b32_e32 v0, 3, v0
	s_delay_alu instid0(VALU_DEP_1)
	v_mov_b32_e32 v122, v0
	scratch_load_b64 v[0:1], v122, off offset:-8
	scratch_load_b64 v[120:121], off, off offset:432
	s_wait_loadcnt 0x1
	scratch_store_b64 off, v[0:1], off offset:432
	s_wait_loadcnt 0x0
	scratch_store_b64 v122, v[120:121], off offset:-8
.LBB122_376:
	s_wait_xcnt 0x0
	v_mov_b32_e32 v0, 0
	global_load_b32 v1, v0, s[8:9] offset:212
	s_wait_loadcnt 0x0
	v_cmp_eq_u32_e32 vcc_lo, 54, v1
	s_cbranch_vccnz .LBB122_378
; %bb.377:
	v_lshlrev_b32_e32 v1, 3, v1
	scratch_load_b64 v[120:121], v1, off offset:-8
	scratch_load_b64 v[122:123], off, off offset:424
	s_wait_loadcnt 0x1
	scratch_store_b64 off, v[120:121], off offset:424
	s_wait_loadcnt 0x0
	scratch_store_b64 v1, v[122:123], off offset:-8
.LBB122_378:
	;; [unrolled: 31-line block ×28, first 2 shown]
	global_load_b32 v0, v0, s[8:9]
	scratch_load_b64 v[128:129], off, off
	s_wait_loadcnt 0x1
	v_cmp_eq_u32_e32 vcc_lo, 1, v0
	s_cbranch_vccnz .LBB122_484
; %bb.483:
	s_wait_xcnt 0x1
	v_lshlrev_b32_e32 v0, 3, v0
	s_delay_alu instid0(VALU_DEP_1)
	v_mov_b32_e32 v120, v0
	scratch_load_b64 v[0:1], v120, off offset:-8
	s_wait_loadcnt 0x0
	scratch_store_b64 off, v[0:1], off
	scratch_store_b64 v120, v[128:129], off offset:-8
	scratch_load_b64 v[128:129], off, off
.LBB122_484:
	s_wait_loadcnt 0x0
	flat_store_b64 v[2:3], v[128:129]
	scratch_load_b64 v[2:3], off, off offset:8
	v_lshl_add_u64 v[176:177], v[6:7], 3, s[2:3]
	v_lshl_add_u64 v[174:175], v[8:9], 3, s[2:3]
	;; [unrolled: 1-line block ×57, first 2 shown]
	s_wait_loadcnt 0x0
	flat_store_b64 v[4:5], v[2:3]
	scratch_load_b64 v[2:3], off, off offset:16
	s_wait_loadcnt 0x0
	flat_store_b64 v[176:177], v[2:3]
	scratch_load_b64 v[2:3], off, off offset:24
	s_wait_loadcnt 0x0
	flat_store_b64 v[174:175], v[2:3]
	scratch_load_b64 v[2:3], off, off offset:32
	s_wait_loadcnt 0x0
	flat_store_b64 v[172:173], v[2:3]
	scratch_load_b64 v[2:3], off, off offset:40
	s_wait_loadcnt 0x0
	flat_store_b64 v[170:171], v[2:3]
	scratch_load_b64 v[2:3], off, off offset:48
	s_wait_loadcnt 0x0
	flat_store_b64 v[168:169], v[2:3]
	scratch_load_b64 v[2:3], off, off offset:56
	s_wait_loadcnt 0x0
	flat_store_b64 v[166:167], v[2:3]
	scratch_load_b64 v[2:3], off, off offset:64
	s_wait_loadcnt 0x0
	flat_store_b64 v[164:165], v[2:3]
	scratch_load_b64 v[2:3], off, off offset:72
	s_wait_loadcnt 0x0
	flat_store_b64 v[162:163], v[2:3]
	scratch_load_b64 v[2:3], off, off offset:80
	s_wait_loadcnt 0x0
	flat_store_b64 v[160:161], v[2:3]
	scratch_load_b64 v[2:3], off, off offset:88
	s_wait_loadcnt 0x0
	flat_store_b64 v[158:159], v[2:3]
	scratch_load_b64 v[2:3], off, off offset:96
	s_wait_loadcnt 0x0
	flat_store_b64 v[156:157], v[2:3]
	scratch_load_b64 v[2:3], off, off offset:104
	s_wait_loadcnt 0x0
	flat_store_b64 v[154:155], v[2:3]
	scratch_load_b64 v[2:3], off, off offset:112
	s_wait_loadcnt 0x0
	flat_store_b64 v[152:153], v[2:3]
	scratch_load_b64 v[2:3], off, off offset:120
	s_wait_loadcnt 0x0
	flat_store_b64 v[150:151], v[2:3]
	scratch_load_b64 v[2:3], off, off offset:128
	s_wait_loadcnt 0x0
	flat_store_b64 v[148:149], v[2:3]
	scratch_load_b64 v[2:3], off, off offset:136
	s_wait_loadcnt 0x0
	flat_store_b64 v[146:147], v[2:3]
	scratch_load_b64 v[2:3], off, off offset:144
	s_wait_loadcnt 0x0
	flat_store_b64 v[144:145], v[2:3]
	scratch_load_b64 v[2:3], off, off offset:152
	s_wait_loadcnt 0x0
	flat_store_b64 v[142:143], v[2:3]
	scratch_load_b64 v[2:3], off, off offset:160
	s_wait_loadcnt 0x0
	flat_store_b64 v[140:141], v[2:3]
	scratch_load_b64 v[2:3], off, off offset:168
	s_wait_loadcnt 0x0
	flat_store_b64 v[138:139], v[2:3]
	scratch_load_b64 v[2:3], off, off offset:176
	s_wait_loadcnt 0x0
	flat_store_b64 v[136:137], v[2:3]
	scratch_load_b64 v[2:3], off, off offset:184
	s_wait_loadcnt 0x0
	flat_store_b64 v[134:135], v[2:3]
	scratch_load_b64 v[2:3], off, off offset:192
	s_wait_loadcnt 0x0
	flat_store_b64 v[132:133], v[2:3]
	scratch_load_b64 v[2:3], off, off offset:200
	s_wait_loadcnt 0x0
	flat_store_b64 v[130:131], v[2:3]
	scratch_load_b64 v[2:3], off, off offset:208
	s_wait_loadcnt 0x0
	flat_store_b64 v[126:127], v[2:3]
	scratch_load_b64 v[2:3], off, off offset:216
	s_wait_loadcnt 0x0
	flat_store_b64 v[124:125], v[2:3]
	scratch_load_b64 v[2:3], off, off offset:224
	s_wait_loadcnt 0x0
	flat_store_b64 v[122:123], v[2:3]
	scratch_load_b64 v[2:3], off, off offset:232
	s_wait_loadcnt 0x0
	flat_store_b64 v[120:121], v[2:3]
	scratch_load_b64 v[2:3], off, off offset:240
	s_wait_loadcnt 0x0
	flat_store_b64 v[60:61], v[2:3]
	scratch_load_b64 v[2:3], off, off offset:248
	s_wait_loadcnt 0x0
	flat_store_b64 v[58:59], v[2:3]
	scratch_load_b64 v[2:3], off, off offset:256
	s_wait_loadcnt 0x0
	flat_store_b64 v[56:57], v[2:3]
	scratch_load_b64 v[2:3], off, off offset:264
	s_wait_loadcnt 0x0
	flat_store_b64 v[54:55], v[2:3]
	scratch_load_b64 v[2:3], off, off offset:272
	s_wait_loadcnt 0x0
	flat_store_b64 v[52:53], v[2:3]
	scratch_load_b64 v[2:3], off, off offset:280
	s_wait_loadcnt 0x0
	flat_store_b64 v[50:51], v[2:3]
	scratch_load_b64 v[2:3], off, off offset:288
	s_wait_loadcnt 0x0
	flat_store_b64 v[48:49], v[2:3]
	scratch_load_b64 v[2:3], off, off offset:296
	s_wait_loadcnt 0x0
	flat_store_b64 v[46:47], v[2:3]
	scratch_load_b64 v[2:3], off, off offset:304
	s_wait_loadcnt 0x0
	flat_store_b64 v[44:45], v[2:3]
	scratch_load_b64 v[2:3], off, off offset:312
	s_wait_loadcnt 0x0
	flat_store_b64 v[42:43], v[2:3]
	scratch_load_b64 v[2:3], off, off offset:320
	s_wait_loadcnt 0x0
	flat_store_b64 v[40:41], v[2:3]
	scratch_load_b64 v[2:3], off, off offset:328
	s_wait_loadcnt 0x0
	flat_store_b64 v[38:39], v[2:3]
	scratch_load_b64 v[2:3], off, off offset:336
	s_wait_loadcnt 0x0
	flat_store_b64 v[36:37], v[2:3]
	scratch_load_b64 v[2:3], off, off offset:344
	s_wait_loadcnt 0x0
	flat_store_b64 v[34:35], v[2:3]
	scratch_load_b64 v[2:3], off, off offset:352
	s_wait_loadcnt 0x0
	flat_store_b64 v[32:33], v[2:3]
	scratch_load_b64 v[2:3], off, off offset:360
	s_wait_loadcnt 0x0
	flat_store_b64 v[30:31], v[2:3]
	scratch_load_b64 v[2:3], off, off offset:368
	s_wait_loadcnt 0x0
	flat_store_b64 v[28:29], v[2:3]
	scratch_load_b64 v[2:3], off, off offset:376
	s_wait_loadcnt 0x0
	flat_store_b64 v[26:27], v[2:3]
	scratch_load_b64 v[2:3], off, off offset:384
	s_wait_loadcnt 0x0
	flat_store_b64 v[24:25], v[2:3]
	scratch_load_b64 v[2:3], off, off offset:392
	s_wait_loadcnt 0x0
	flat_store_b64 v[22:23], v[2:3]
	scratch_load_b64 v[2:3], off, off offset:400
	s_wait_loadcnt 0x0
	flat_store_b64 v[20:21], v[2:3]
	scratch_load_b64 v[2:3], off, off offset:408
	s_wait_loadcnt 0x0
	flat_store_b64 v[18:19], v[2:3]
	scratch_load_b64 v[2:3], off, off offset:416
	s_wait_loadcnt 0x0
	flat_store_b64 v[16:17], v[2:3]
	scratch_load_b64 v[2:3], off, off offset:424
	s_wait_loadcnt 0x0
	flat_store_b64 v[14:15], v[2:3]
	scratch_load_b64 v[2:3], off, off offset:432
	s_wait_loadcnt 0x0
	flat_store_b64 v[12:13], v[2:3]
	scratch_load_b64 v[2:3], off, off offset:440
	s_wait_loadcnt 0x0
	flat_store_b64 v[10:11], v[2:3]
	scratch_load_b64 v[2:3], off, off offset:448
	s_wait_loadcnt 0x0
	flat_store_b64 v[8:9], v[2:3]
	scratch_load_b64 v[2:3], off, off offset:456
	s_wait_loadcnt 0x0
	flat_store_b64 v[6:7], v[2:3]
	scratch_load_b64 v[2:3], off, off offset:464
	s_wait_loadcnt 0x0
	flat_store_b64 v[0:1], v[2:3]
	s_sendmsg sendmsg(MSG_DEALLOC_VGPRS)
	s_endpgm
	.section	.rodata,"a",@progbits
	.p2align	6, 0x0
	.amdhsa_kernel _ZN9rocsolver6v33100L18getri_kernel_smallILi59E19rocblas_complex_numIfEPKPS3_EEvT1_iilPiilS8_bb
		.amdhsa_group_segment_fixed_size 952
		.amdhsa_private_segment_fixed_size 480
		.amdhsa_kernarg_size 60
		.amdhsa_user_sgpr_count 2
		.amdhsa_user_sgpr_dispatch_ptr 0
		.amdhsa_user_sgpr_queue_ptr 0
		.amdhsa_user_sgpr_kernarg_segment_ptr 1
		.amdhsa_user_sgpr_dispatch_id 0
		.amdhsa_user_sgpr_kernarg_preload_length 0
		.amdhsa_user_sgpr_kernarg_preload_offset 0
		.amdhsa_user_sgpr_private_segment_size 0
		.amdhsa_wavefront_size32 1
		.amdhsa_uses_dynamic_stack 0
		.amdhsa_enable_private_segment 1
		.amdhsa_system_sgpr_workgroup_id_x 1
		.amdhsa_system_sgpr_workgroup_id_y 0
		.amdhsa_system_sgpr_workgroup_id_z 0
		.amdhsa_system_sgpr_workgroup_info 0
		.amdhsa_system_vgpr_workitem_id 0
		.amdhsa_next_free_vgpr 410
		.amdhsa_next_free_sgpr 19
		.amdhsa_named_barrier_count 0
		.amdhsa_reserve_vcc 1
		.amdhsa_float_round_mode_32 0
		.amdhsa_float_round_mode_16_64 0
		.amdhsa_float_denorm_mode_32 3
		.amdhsa_float_denorm_mode_16_64 3
		.amdhsa_fp16_overflow 0
		.amdhsa_memory_ordered 1
		.amdhsa_forward_progress 1
		.amdhsa_inst_pref_size 255
		.amdhsa_round_robin_scheduling 0
		.amdhsa_exception_fp_ieee_invalid_op 0
		.amdhsa_exception_fp_denorm_src 0
		.amdhsa_exception_fp_ieee_div_zero 0
		.amdhsa_exception_fp_ieee_overflow 0
		.amdhsa_exception_fp_ieee_underflow 0
		.amdhsa_exception_fp_ieee_inexact 0
		.amdhsa_exception_int_div_zero 0
	.end_amdhsa_kernel
	.section	.text._ZN9rocsolver6v33100L18getri_kernel_smallILi59E19rocblas_complex_numIfEPKPS3_EEvT1_iilPiilS8_bb,"axG",@progbits,_ZN9rocsolver6v33100L18getri_kernel_smallILi59E19rocblas_complex_numIfEPKPS3_EEvT1_iilPiilS8_bb,comdat
.Lfunc_end122:
	.size	_ZN9rocsolver6v33100L18getri_kernel_smallILi59E19rocblas_complex_numIfEPKPS3_EEvT1_iilPiilS8_bb, .Lfunc_end122-_ZN9rocsolver6v33100L18getri_kernel_smallILi59E19rocblas_complex_numIfEPKPS3_EEvT1_iilPiilS8_bb
                                        ; -- End function
	.set _ZN9rocsolver6v33100L18getri_kernel_smallILi59E19rocblas_complex_numIfEPKPS3_EEvT1_iilPiilS8_bb.num_vgpr, 410
	.set _ZN9rocsolver6v33100L18getri_kernel_smallILi59E19rocblas_complex_numIfEPKPS3_EEvT1_iilPiilS8_bb.num_agpr, 0
	.set _ZN9rocsolver6v33100L18getri_kernel_smallILi59E19rocblas_complex_numIfEPKPS3_EEvT1_iilPiilS8_bb.numbered_sgpr, 19
	.set _ZN9rocsolver6v33100L18getri_kernel_smallILi59E19rocblas_complex_numIfEPKPS3_EEvT1_iilPiilS8_bb.num_named_barrier, 0
	.set _ZN9rocsolver6v33100L18getri_kernel_smallILi59E19rocblas_complex_numIfEPKPS3_EEvT1_iilPiilS8_bb.private_seg_size, 480
	.set _ZN9rocsolver6v33100L18getri_kernel_smallILi59E19rocblas_complex_numIfEPKPS3_EEvT1_iilPiilS8_bb.uses_vcc, 1
	.set _ZN9rocsolver6v33100L18getri_kernel_smallILi59E19rocblas_complex_numIfEPKPS3_EEvT1_iilPiilS8_bb.uses_flat_scratch, 1
	.set _ZN9rocsolver6v33100L18getri_kernel_smallILi59E19rocblas_complex_numIfEPKPS3_EEvT1_iilPiilS8_bb.has_dyn_sized_stack, 0
	.set _ZN9rocsolver6v33100L18getri_kernel_smallILi59E19rocblas_complex_numIfEPKPS3_EEvT1_iilPiilS8_bb.has_recursion, 0
	.set _ZN9rocsolver6v33100L18getri_kernel_smallILi59E19rocblas_complex_numIfEPKPS3_EEvT1_iilPiilS8_bb.has_indirect_call, 0
	.section	.AMDGPU.csdata,"",@progbits
; Kernel info:
; codeLenInByte = 127816
; TotalNumSgprs: 21
; NumVgprs: 410
; ScratchSize: 480
; MemoryBound: 0
; FloatMode: 240
; IeeeMode: 1
; LDSByteSize: 952 bytes/workgroup (compile time only)
; SGPRBlocks: 0
; VGPRBlocks: 25
; NumSGPRsForWavesPerEU: 21
; NumVGPRsForWavesPerEU: 410
; NamedBarCnt: 0
; Occupancy: 2
; WaveLimiterHint : 1
; COMPUTE_PGM_RSRC2:SCRATCH_EN: 1
; COMPUTE_PGM_RSRC2:USER_SGPR: 2
; COMPUTE_PGM_RSRC2:TRAP_HANDLER: 0
; COMPUTE_PGM_RSRC2:TGID_X_EN: 1
; COMPUTE_PGM_RSRC2:TGID_Y_EN: 0
; COMPUTE_PGM_RSRC2:TGID_Z_EN: 0
; COMPUTE_PGM_RSRC2:TIDIG_COMP_CNT: 0
	.section	.text._ZN9rocsolver6v33100L18getri_kernel_smallILi60E19rocblas_complex_numIfEPKPS3_EEvT1_iilPiilS8_bb,"axG",@progbits,_ZN9rocsolver6v33100L18getri_kernel_smallILi60E19rocblas_complex_numIfEPKPS3_EEvT1_iilPiilS8_bb,comdat
	.globl	_ZN9rocsolver6v33100L18getri_kernel_smallILi60E19rocblas_complex_numIfEPKPS3_EEvT1_iilPiilS8_bb ; -- Begin function _ZN9rocsolver6v33100L18getri_kernel_smallILi60E19rocblas_complex_numIfEPKPS3_EEvT1_iilPiilS8_bb
	.p2align	8
	.type	_ZN9rocsolver6v33100L18getri_kernel_smallILi60E19rocblas_complex_numIfEPKPS3_EEvT1_iilPiilS8_bb,@function
_ZN9rocsolver6v33100L18getri_kernel_smallILi60E19rocblas_complex_numIfEPKPS3_EEvT1_iilPiilS8_bb: ; @_ZN9rocsolver6v33100L18getri_kernel_smallILi60E19rocblas_complex_numIfEPKPS3_EEvT1_iilPiilS8_bb
; %bb.0:
	s_mov_b32 s2, exec_lo
	v_cmpx_gt_u32_e32 60, v0
	s_cbranch_execz .LBB123_254
; %bb.1:
	s_clause 0x1
	s_load_b32 s13, s[0:1], 0x38
	s_load_b64 s[2:3], s[0:1], 0x0
	s_getreg_b32 s6, hwreg(HW_REG_IB_STS2, 6, 4)
	s_wait_kmcnt 0x0
	s_bitcmp1_b32 s13, 8
	s_cselect_b32 s12, -1, 0
	s_bfe_u32 s4, ttmp6, 0x4000c
	s_and_b32 s5, ttmp6, 15
	s_add_co_i32 s4, s4, 1
	s_delay_alu instid0(SALU_CYCLE_1) | instskip(NEXT) | instid1(SALU_CYCLE_1)
	s_mul_i32 s4, ttmp9, s4
	s_add_co_i32 s5, s5, s4
	s_cmp_eq_u32 s6, 0
	s_cselect_b32 s10, ttmp9, s5
	s_load_b128 s[4:7], s[0:1], 0x28
	s_ashr_i32 s11, s10, 31
	s_delay_alu instid0(SALU_CYCLE_1) | instskip(NEXT) | instid1(SALU_CYCLE_1)
	s_lshl_b64 s[8:9], s[10:11], 3
	s_add_nc_u64 s[2:3], s[2:3], s[8:9]
	s_bfe_u32 s8, s13, 0x10008
	s_load_b64 s[2:3], s[2:3], 0x0
	s_cmp_eq_u32 s8, 0
                                        ; implicit-def: $sgpr8_sgpr9
	s_cbranch_scc1 .LBB123_3
; %bb.2:
	s_load_b96 s[16:18], s[0:1], 0x18
	s_wait_kmcnt 0x0
	s_mul_u64 s[4:5], s[4:5], s[10:11]
	s_delay_alu instid0(SALU_CYCLE_1) | instskip(SKIP_4) | instid1(SALU_CYCLE_1)
	s_lshl_b64 s[4:5], s[4:5], 2
	s_ashr_i32 s9, s18, 31
	s_mov_b32 s8, s18
	s_add_nc_u64 s[4:5], s[16:17], s[4:5]
	s_lshl_b64 s[8:9], s[8:9], 2
	s_add_nc_u64 s[8:9], s[4:5], s[8:9]
.LBB123_3:
	s_wait_kmcnt 0x0
	s_clause 0x1
	s_load_b64 s[4:5], s[0:1], 0x8
	s_load_b32 s13, s[0:1], 0x38
	v_dual_mov_b32 v123, 0 :: v_dual_lshlrev_b32 v122, 3, v0
	s_wait_kmcnt 0x0
	s_ashr_i32 s1, s4, 31
	s_mov_b32 s0, s4
	s_delay_alu instid0(SALU_CYCLE_1) | instskip(NEXT) | instid1(SALU_CYCLE_1)
	s_lshl_b64 s[0:1], s[0:1], 3
	s_add_nc_u64 s[2:3], s[2:3], s[0:1]
	s_ashr_i32 s1, s5, 31
	flat_load_b64 v[6:7], v0, s[2:3] scale_offset
	v_add_nc_u64_e32 v[2:3], s[2:3], v[122:123]
	s_mov_b32 s0, s5
	s_bitcmp0_b32 s13, 0
	s_delay_alu instid0(VALU_DEP_1)
	v_lshl_add_u64 v[4:5], s[0:1], 3, v[2:3]
	s_mov_b32 s1, -1
	s_wait_loadcnt_dscnt 0x0
	scratch_store_b64 off, v[6:7], off
	flat_load_b64 v[8:9], v[4:5]
	s_wait_xcnt 0x1
	v_add3_u32 v6, s5, s5, v0
	s_wait_loadcnt_dscnt 0x0
	scratch_store_b64 off, v[8:9], off offset:8
	flat_load_b64 v[10:11], v6, s[2:3] scale_offset
	s_wait_xcnt 0x1
	v_add_nc_u32_e32 v8, s5, v6
	s_wait_loadcnt_dscnt 0x0
	scratch_store_b64 off, v[10:11], off offset:16
	flat_load_b64 v[12:13], v8, s[2:3] scale_offset
	s_wait_xcnt 0x1
	v_add_nc_u32_e32 v10, s5, v8
	;; [unrolled: 5-line block ×57, first 2 shown]
	s_wait_loadcnt_dscnt 0x0
	scratch_store_b64 off, v[124:125], off offset:464
	flat_load_b64 v[124:125], v120, s[2:3] scale_offset
	s_wait_loadcnt_dscnt 0x0
	scratch_store_b64 off, v[124:125], off offset:472
	s_cbranch_scc1 .LBB123_252
; %bb.4:
	v_cmp_eq_u32_e64 s0, 0, v0
	s_wait_xcnt 0x0
	s_and_saveexec_b32 s1, s0
; %bb.5:
	v_mov_b32_e32 v1, 0
	ds_store_b32 v1, v1 offset:960
; %bb.6:
	s_or_b32 exec_lo, exec_lo, s1
	s_wait_storecnt_dscnt 0x0
	s_barrier_signal -1
	s_barrier_wait -1
	scratch_load_b64 v[124:125], v0, off scale_offset
	s_wait_loadcnt 0x0
	v_cmp_eq_f32_e32 vcc_lo, 0, v124
	v_cmp_eq_f32_e64 s1, 0, v125
	s_and_b32 s1, vcc_lo, s1
	s_delay_alu instid0(SALU_CYCLE_1)
	s_and_saveexec_b32 s4, s1
	s_cbranch_execz .LBB123_10
; %bb.7:
	v_mov_b32_e32 v1, 0
	s_mov_b32 s5, 0
	ds_load_b32 v7, v1 offset:960
	s_wait_dscnt 0x0
	v_readfirstlane_b32 s1, v7
	v_add_nc_u32_e32 v7, 1, v0
	s_cmp_eq_u32 s1, 0
	s_delay_alu instid0(VALU_DEP_1) | instskip(SKIP_1) | instid1(SALU_CYCLE_1)
	v_cmp_gt_i32_e32 vcc_lo, s1, v7
	s_cselect_b32 s13, -1, 0
	s_or_b32 s13, s13, vcc_lo
	s_delay_alu instid0(SALU_CYCLE_1)
	s_and_b32 exec_lo, exec_lo, s13
	s_cbranch_execz .LBB123_10
; %bb.8:
	v_mov_b32_e32 v9, s1
.LBB123_9:                              ; =>This Inner Loop Header: Depth=1
	ds_cmpstore_rtn_b32 v9, v1, v7, v9 offset:960
	s_wait_dscnt 0x0
	v_cmp_ne_u32_e32 vcc_lo, 0, v9
	v_cmp_le_i32_e64 s1, v9, v7
	s_and_b32 s1, vcc_lo, s1
	s_delay_alu instid0(SALU_CYCLE_1) | instskip(NEXT) | instid1(SALU_CYCLE_1)
	s_and_b32 s1, exec_lo, s1
	s_or_b32 s5, s1, s5
	s_delay_alu instid0(SALU_CYCLE_1)
	s_and_not1_b32 exec_lo, exec_lo, s5
	s_cbranch_execnz .LBB123_9
.LBB123_10:
	s_or_b32 exec_lo, exec_lo, s4
	v_mov_b32_e32 v1, 0
	s_barrier_signal -1
	s_barrier_wait -1
	ds_load_b32 v7, v1 offset:960
	s_and_saveexec_b32 s1, s0
	s_cbranch_execz .LBB123_12
; %bb.11:
	s_lshl_b64 s[4:5], s[10:11], 2
	s_delay_alu instid0(SALU_CYCLE_1)
	s_add_nc_u64 s[4:5], s[6:7], s[4:5]
	s_wait_dscnt 0x0
	global_store_b32 v1, v7, s[4:5]
.LBB123_12:
	s_wait_xcnt 0x0
	s_or_b32 exec_lo, exec_lo, s1
	s_wait_dscnt 0x0
	v_cmp_ne_u32_e32 vcc_lo, 0, v7
	s_mov_b32 s1, 0
	s_cbranch_vccnz .LBB123_252
; %bb.13:
	v_lshl_add_u32 v7, v0, 3, 0
                                        ; implicit-def: $vgpr127
                                        ; implicit-def: $vgpr128
	scratch_load_b64 v[124:125], v7, off
	s_wait_loadcnt 0x0
	v_cmp_ngt_f32_e64 s1, |v124|, |v125|
	s_wait_xcnt 0x0
	s_and_saveexec_b32 s4, s1
	s_delay_alu instid0(SALU_CYCLE_1)
	s_xor_b32 s1, exec_lo, s4
	s_cbranch_execz .LBB123_15
; %bb.14:
	v_div_scale_f32 v1, null, v125, v125, v124
	v_div_scale_f32 v13, vcc_lo, v124, v125, v124
	s_delay_alu instid0(VALU_DEP_2) | instskip(SKIP_1) | instid1(TRANS32_DEP_1)
	v_rcp_f32_e32 v9, v1
	v_nop
	v_fma_f32 v11, -v1, v9, 1.0
	s_delay_alu instid0(VALU_DEP_1) | instskip(NEXT) | instid1(VALU_DEP_1)
	v_fmac_f32_e32 v9, v11, v9
	v_mul_f32_e32 v11, v13, v9
	s_delay_alu instid0(VALU_DEP_1) | instskip(NEXT) | instid1(VALU_DEP_1)
	v_fma_f32 v15, -v1, v11, v13
	v_fmac_f32_e32 v11, v15, v9
	s_delay_alu instid0(VALU_DEP_1) | instskip(NEXT) | instid1(VALU_DEP_1)
	v_fma_f32 v1, -v1, v11, v13
	v_div_fmas_f32 v1, v1, v9, v11
	s_delay_alu instid0(VALU_DEP_1) | instskip(NEXT) | instid1(VALU_DEP_1)
	v_div_fixup_f32 v1, v1, v125, v124
	v_fmac_f32_e32 v125, v124, v1
	s_delay_alu instid0(VALU_DEP_1) | instskip(NEXT) | instid1(VALU_DEP_1)
	v_div_scale_f32 v9, null, v125, v125, -1.0
	v_rcp_f32_e32 v11, v9
	v_nop
	s_delay_alu instid0(TRANS32_DEP_1) | instskip(NEXT) | instid1(VALU_DEP_1)
	v_fma_f32 v13, -v9, v11, 1.0
	v_fmac_f32_e32 v11, v13, v11
	v_div_scale_f32 v13, vcc_lo, -1.0, v125, -1.0
	s_delay_alu instid0(VALU_DEP_1) | instskip(NEXT) | instid1(VALU_DEP_1)
	v_mul_f32_e32 v15, v13, v11
	v_fma_f32 v17, -v9, v15, v13
	s_delay_alu instid0(VALU_DEP_1) | instskip(NEXT) | instid1(VALU_DEP_1)
	v_fmac_f32_e32 v15, v17, v11
	v_fma_f32 v9, -v9, v15, v13
	s_delay_alu instid0(VALU_DEP_1) | instskip(NEXT) | instid1(VALU_DEP_1)
	v_div_fmas_f32 v9, v9, v11, v15
	v_div_fixup_f32 v127, v9, v125, -1.0
                                        ; implicit-def: $vgpr124_vgpr125
	s_delay_alu instid0(VALU_DEP_1) | instskip(NEXT) | instid1(VALU_DEP_1)
	v_mul_f32_e32 v128, v1, v127
	v_xor_b32_e32 v126, 0x80000000, v128
.LBB123_15:
	s_and_not1_saveexec_b32 s1, s1
	s_cbranch_execz .LBB123_17
; %bb.16:
	v_div_scale_f32 v1, null, v124, v124, v125
	v_div_scale_f32 v13, vcc_lo, v125, v124, v125
	s_delay_alu instid0(VALU_DEP_2) | instskip(SKIP_1) | instid1(TRANS32_DEP_1)
	v_rcp_f32_e32 v9, v1
	v_nop
	v_fma_f32 v11, -v1, v9, 1.0
	s_delay_alu instid0(VALU_DEP_1) | instskip(NEXT) | instid1(VALU_DEP_1)
	v_fmac_f32_e32 v9, v11, v9
	v_mul_f32_e32 v11, v13, v9
	s_delay_alu instid0(VALU_DEP_1) | instskip(NEXT) | instid1(VALU_DEP_1)
	v_fma_f32 v15, -v1, v11, v13
	v_fmac_f32_e32 v11, v15, v9
	s_delay_alu instid0(VALU_DEP_1) | instskip(NEXT) | instid1(VALU_DEP_1)
	v_fma_f32 v1, -v1, v11, v13
	v_div_fmas_f32 v1, v1, v9, v11
	s_delay_alu instid0(VALU_DEP_1) | instskip(NEXT) | instid1(VALU_DEP_1)
	v_div_fixup_f32 v1, v1, v124, v125
	v_fmac_f32_e32 v124, v125, v1
	s_delay_alu instid0(VALU_DEP_1) | instskip(SKIP_1) | instid1(VALU_DEP_2)
	v_div_scale_f32 v9, null, v124, v124, 1.0
	v_div_scale_f32 v15, vcc_lo, 1.0, v124, 1.0
	v_rcp_f32_e32 v11, v9
	v_nop
	s_delay_alu instid0(TRANS32_DEP_1) | instskip(NEXT) | instid1(VALU_DEP_1)
	v_fma_f32 v13, -v9, v11, 1.0
	v_fmac_f32_e32 v11, v13, v11
	s_delay_alu instid0(VALU_DEP_1) | instskip(NEXT) | instid1(VALU_DEP_1)
	v_mul_f32_e32 v13, v15, v11
	v_fma_f32 v17, -v9, v13, v15
	s_delay_alu instid0(VALU_DEP_1) | instskip(NEXT) | instid1(VALU_DEP_1)
	v_fmac_f32_e32 v13, v17, v11
	v_fma_f32 v9, -v9, v13, v15
	s_delay_alu instid0(VALU_DEP_1) | instskip(NEXT) | instid1(VALU_DEP_1)
	v_div_fmas_f32 v9, v9, v11, v13
	v_div_fixup_f32 v126, v9, v124, 1.0
	s_delay_alu instid0(VALU_DEP_1)
	v_xor_b32_e32 v128, 0x80000000, v126
	v_mul_f32_e64 v127, v1, -v126
.LBB123_17:
	s_or_b32 exec_lo, exec_lo, s1
	scratch_store_b64 v7, v[126:127], off
	scratch_load_b64 v[124:125], off, off offset:8
	v_xor_b32_e32 v129, 0x80000000, v127
	v_add_nc_u32_e32 v1, 0x1e0, v122
	s_wait_loadcnt 0x0
	ds_store_2addr_b64 v122, v[128:129], v[124:125] offset1:60
	s_wait_storecnt_dscnt 0x0
	s_barrier_signal -1
	s_barrier_wait -1
	s_wait_xcnt 0x0
	s_and_saveexec_b32 s1, s0
	s_cbranch_execz .LBB123_19
; %bb.18:
	scratch_load_b64 v[124:125], v7, off
	ds_load_b64 v[126:127], v1
	s_wait_loadcnt_dscnt 0x0
	v_pk_mul_f32 v[130:131], v[126:127], v[124:125] op_sel:[1,1] op_sel_hi:[0,1]
	s_delay_alu instid0(VALU_DEP_1) | instskip(SKIP_2) | instid1(VALU_DEP_3)
	v_pk_fma_f32 v[132:133], v[126:127], v[124:125], v[130:131] op_sel_hi:[1,0,1]
	v_mov_b32_e32 v9, 0
	v_pk_fma_f32 v[124:125], v[126:127], v[124:125], v[130:131] neg_lo:[0,0,1] neg_hi:[0,0,1]
	v_mov_b32_e32 v125, v133
	ds_load_b64 v[128:129], v9 offset:8
	v_pk_add_f32 v[124:125], v[124:125], 0 op_sel_hi:[1,0]
	s_wait_dscnt 0x0
	s_delay_alu instid0(VALU_DEP_1) | instskip(NEXT) | instid1(VALU_DEP_1)
	v_pk_mul_f32 v[126:127], v[124:125], v[128:129] op_sel:[1,1] op_sel_hi:[0,1]
	v_pk_fma_f32 v[130:131], v[124:125], v[128:129], v[126:127] op_sel_hi:[1,0,1]
	v_pk_fma_f32 v[124:125], v[124:125], v[128:129], v[126:127] neg_lo:[0,0,1] neg_hi:[0,0,1]
	s_delay_alu instid0(VALU_DEP_2)
	v_mov_b32_e32 v125, v131
	scratch_store_b64 off, v[124:125], off offset:8
.LBB123_19:
	s_wait_xcnt 0x0
	s_or_b32 exec_lo, exec_lo, s1
	s_wait_storecnt 0x0
	s_barrier_signal -1
	s_barrier_wait -1
	scratch_load_b64 v[124:125], off, off offset:16
	s_mov_b32 s1, exec_lo
	s_wait_loadcnt 0x0
	ds_store_b64 v1, v[124:125]
	s_wait_dscnt 0x0
	s_barrier_signal -1
	s_barrier_wait -1
	v_cmpx_gt_u32_e32 2, v0
	s_cbranch_execz .LBB123_23
; %bb.20:
	scratch_load_b64 v[124:125], v7, off
	ds_load_b64 v[126:127], v1
	s_wait_loadcnt_dscnt 0x0
	v_pk_mul_f32 v[128:129], v[126:127], v[124:125] op_sel:[1,1] op_sel_hi:[0,1]
	s_delay_alu instid0(VALU_DEP_1) | instskip(SKIP_1) | instid1(VALU_DEP_2)
	v_pk_fma_f32 v[130:131], v[126:127], v[124:125], v[128:129] op_sel_hi:[1,0,1]
	v_pk_fma_f32 v[124:125], v[126:127], v[124:125], v[128:129] neg_lo:[0,0,1] neg_hi:[0,0,1]
	v_mov_b32_e32 v125, v131
	s_delay_alu instid0(VALU_DEP_1)
	v_pk_add_f32 v[124:125], v[124:125], 0 op_sel_hi:[1,0]
	s_and_saveexec_b32 s4, s0
	s_cbranch_execz .LBB123_22
; %bb.21:
	scratch_load_b64 v[126:127], off, off offset:8
	v_mov_b32_e32 v7, 0
	ds_load_b64 v[128:129], v7 offset:488
	s_wait_loadcnt_dscnt 0x0
	v_pk_mul_f32 v[130:131], v[128:129], v[126:127] op_sel:[1,1] op_sel_hi:[0,1]
	s_delay_alu instid0(VALU_DEP_1) | instskip(SKIP_1) | instid1(VALU_DEP_2)
	v_pk_fma_f32 v[132:133], v[128:129], v[126:127], v[130:131] op_sel_hi:[1,0,1]
	v_pk_fma_f32 v[126:127], v[128:129], v[126:127], v[130:131] neg_lo:[0,0,1] neg_hi:[0,0,1]
	v_mov_b32_e32 v127, v133
	s_delay_alu instid0(VALU_DEP_1)
	v_pk_add_f32 v[124:125], v[124:125], v[126:127]
.LBB123_22:
	s_or_b32 exec_lo, exec_lo, s4
	v_mov_b32_e32 v7, 0
	ds_load_b64 v[126:127], v7 offset:16
	s_wait_dscnt 0x0
	v_pk_mul_f32 v[128:129], v[124:125], v[126:127] op_sel:[1,1] op_sel_hi:[0,1]
	s_delay_alu instid0(VALU_DEP_1) | instskip(SKIP_1) | instid1(VALU_DEP_2)
	v_pk_fma_f32 v[130:131], v[124:125], v[126:127], v[128:129] op_sel_hi:[1,0,1]
	v_pk_fma_f32 v[124:125], v[124:125], v[126:127], v[128:129] neg_lo:[0,0,1] neg_hi:[0,0,1]
	v_mov_b32_e32 v125, v131
	scratch_store_b64 off, v[124:125], off offset:16
.LBB123_23:
	s_wait_xcnt 0x0
	s_or_b32 exec_lo, exec_lo, s1
	s_wait_storecnt 0x0
	s_barrier_signal -1
	s_barrier_wait -1
	scratch_load_b64 v[124:125], off, off offset:24
	v_add_nc_u32_e32 v7, -1, v0
	s_mov_b32 s0, exec_lo
	s_wait_loadcnt 0x0
	ds_store_b64 v1, v[124:125]
	s_wait_dscnt 0x0
	s_barrier_signal -1
	s_barrier_wait -1
	v_cmpx_gt_u32_e32 3, v0
	s_cbranch_execz .LBB123_27
; %bb.24:
	v_dual_mov_b32 v124, 0 :: v_dual_add_nc_u32 v9, -1, v0
	v_add_nc_u32_e32 v11, 0x1e0, v122
	v_mov_b32_e32 v13, v122
	s_mov_b32 s1, 0
	s_delay_alu instid0(VALU_DEP_3)
	v_mov_b32_e32 v125, v124
.LBB123_25:                             ; =>This Inner Loop Header: Depth=1
	scratch_load_b64 v[126:127], v13, off
	ds_load_b64 v[128:129], v11
	s_wait_xcnt 0x0
	v_dual_add_nc_u32 v11, 8, v11 :: v_dual_add_nc_u32 v13, 8, v13
	s_wait_loadcnt_dscnt 0x0
	v_pk_mul_f32 v[130:131], v[128:129], v[126:127] op_sel:[1,1] op_sel_hi:[0,1]
	s_delay_alu instid0(VALU_DEP_1) | instskip(SKIP_2) | instid1(VALU_DEP_3)
	v_pk_fma_f32 v[132:133], v[128:129], v[126:127], v[130:131] op_sel_hi:[1,0,1]
	v_add_nc_u32_e32 v9, 1, v9
	v_pk_fma_f32 v[126:127], v[128:129], v[126:127], v[130:131] neg_lo:[0,0,1] neg_hi:[0,0,1]
	v_mov_b32_e32 v127, v133
	s_delay_alu instid0(VALU_DEP_3) | instskip(NEXT) | instid1(VALU_DEP_2)
	v_cmp_lt_u32_e32 vcc_lo, 1, v9
	v_pk_add_f32 v[124:125], v[124:125], v[126:127]
	s_or_b32 s1, vcc_lo, s1
	s_delay_alu instid0(SALU_CYCLE_1)
	s_and_not1_b32 exec_lo, exec_lo, s1
	s_cbranch_execnz .LBB123_25
; %bb.26:
	s_or_b32 exec_lo, exec_lo, s1
	v_mov_b32_e32 v9, 0
	ds_load_b64 v[126:127], v9 offset:24
	s_wait_dscnt 0x0
	v_pk_mul_f32 v[128:129], v[124:125], v[126:127] op_sel:[1,1] op_sel_hi:[0,1]
	s_delay_alu instid0(VALU_DEP_1) | instskip(SKIP_1) | instid1(VALU_DEP_2)
	v_pk_fma_f32 v[130:131], v[124:125], v[126:127], v[128:129] op_sel_hi:[1,0,1]
	v_pk_fma_f32 v[124:125], v[124:125], v[126:127], v[128:129] neg_lo:[0,0,1] neg_hi:[0,0,1]
	v_mov_b32_e32 v125, v131
	scratch_store_b64 off, v[124:125], off offset:24
.LBB123_27:
	s_wait_xcnt 0x0
	s_or_b32 exec_lo, exec_lo, s0
	s_wait_storecnt 0x0
	s_barrier_signal -1
	s_barrier_wait -1
	scratch_load_b64 v[124:125], off, off offset:32
	s_mov_b32 s0, exec_lo
	s_wait_loadcnt 0x0
	ds_store_b64 v1, v[124:125]
	s_wait_dscnt 0x0
	s_barrier_signal -1
	s_barrier_wait -1
	v_cmpx_gt_u32_e32 4, v0
	s_cbranch_execz .LBB123_31
; %bb.28:
	v_dual_mov_b32 v124, 0 :: v_dual_add_nc_u32 v9, -1, v0
	v_add_nc_u32_e32 v11, 0x1e0, v122
	v_mov_b32_e32 v13, v122
	s_mov_b32 s1, 0
	s_delay_alu instid0(VALU_DEP_3)
	v_mov_b32_e32 v125, v124
.LBB123_29:                             ; =>This Inner Loop Header: Depth=1
	scratch_load_b64 v[126:127], v13, off
	ds_load_b64 v[128:129], v11
	s_wait_xcnt 0x0
	v_dual_add_nc_u32 v11, 8, v11 :: v_dual_add_nc_u32 v13, 8, v13
	s_wait_loadcnt_dscnt 0x0
	v_pk_mul_f32 v[130:131], v[128:129], v[126:127] op_sel:[1,1] op_sel_hi:[0,1]
	s_delay_alu instid0(VALU_DEP_1) | instskip(SKIP_2) | instid1(VALU_DEP_3)
	v_pk_fma_f32 v[132:133], v[128:129], v[126:127], v[130:131] op_sel_hi:[1,0,1]
	v_add_nc_u32_e32 v9, 1, v9
	v_pk_fma_f32 v[126:127], v[128:129], v[126:127], v[130:131] neg_lo:[0,0,1] neg_hi:[0,0,1]
	v_mov_b32_e32 v127, v133
	s_delay_alu instid0(VALU_DEP_3) | instskip(NEXT) | instid1(VALU_DEP_2)
	v_cmp_lt_u32_e32 vcc_lo, 2, v9
	v_pk_add_f32 v[124:125], v[124:125], v[126:127]
	s_or_b32 s1, vcc_lo, s1
	s_delay_alu instid0(SALU_CYCLE_1)
	s_and_not1_b32 exec_lo, exec_lo, s1
	s_cbranch_execnz .LBB123_29
; %bb.30:
	s_or_b32 exec_lo, exec_lo, s1
	v_mov_b32_e32 v9, 0
	ds_load_b64 v[126:127], v9 offset:32
	s_wait_dscnt 0x0
	v_pk_mul_f32 v[128:129], v[124:125], v[126:127] op_sel:[1,1] op_sel_hi:[0,1]
	s_delay_alu instid0(VALU_DEP_1) | instskip(SKIP_1) | instid1(VALU_DEP_2)
	v_pk_fma_f32 v[130:131], v[124:125], v[126:127], v[128:129] op_sel_hi:[1,0,1]
	v_pk_fma_f32 v[124:125], v[124:125], v[126:127], v[128:129] neg_lo:[0,0,1] neg_hi:[0,0,1]
	v_mov_b32_e32 v125, v131
	scratch_store_b64 off, v[124:125], off offset:32
.LBB123_31:
	s_wait_xcnt 0x0
	s_or_b32 exec_lo, exec_lo, s0
	s_wait_storecnt 0x0
	s_barrier_signal -1
	s_barrier_wait -1
	scratch_load_b64 v[124:125], off, off offset:40
	;; [unrolled: 52-line block ×19, first 2 shown]
	s_mov_b32 s0, exec_lo
	s_wait_loadcnt 0x0
	ds_store_b64 v1, v[124:125]
	s_wait_dscnt 0x0
	s_barrier_signal -1
	s_barrier_wait -1
	v_cmpx_gt_u32_e32 22, v0
	s_cbranch_execz .LBB123_103
; %bb.100:
	v_dual_mov_b32 v124, 0 :: v_dual_add_nc_u32 v9, -1, v0
	v_add_nc_u32_e32 v11, 0x1e0, v122
	v_mov_b32_e32 v13, v122
	s_mov_b32 s1, 0
	s_delay_alu instid0(VALU_DEP_3)
	v_mov_b32_e32 v125, v124
.LBB123_101:                            ; =>This Inner Loop Header: Depth=1
	scratch_load_b64 v[126:127], v13, off
	ds_load_b64 v[128:129], v11
	s_wait_xcnt 0x0
	v_dual_add_nc_u32 v11, 8, v11 :: v_dual_add_nc_u32 v13, 8, v13
	s_wait_loadcnt_dscnt 0x0
	v_pk_mul_f32 v[130:131], v[128:129], v[126:127] op_sel:[1,1] op_sel_hi:[0,1]
	s_delay_alu instid0(VALU_DEP_1) | instskip(SKIP_2) | instid1(VALU_DEP_3)
	v_pk_fma_f32 v[132:133], v[128:129], v[126:127], v[130:131] op_sel_hi:[1,0,1]
	v_add_nc_u32_e32 v9, 1, v9
	v_pk_fma_f32 v[126:127], v[128:129], v[126:127], v[130:131] neg_lo:[0,0,1] neg_hi:[0,0,1]
	v_mov_b32_e32 v127, v133
	s_delay_alu instid0(VALU_DEP_3) | instskip(NEXT) | instid1(VALU_DEP_2)
	v_cmp_lt_u32_e32 vcc_lo, 20, v9
	v_pk_add_f32 v[124:125], v[124:125], v[126:127]
	s_or_b32 s1, vcc_lo, s1
	s_delay_alu instid0(SALU_CYCLE_1)
	s_and_not1_b32 exec_lo, exec_lo, s1
	s_cbranch_execnz .LBB123_101
; %bb.102:
	s_or_b32 exec_lo, exec_lo, s1
	v_mov_b32_e32 v9, 0
	ds_load_b64 v[126:127], v9 offset:176
	s_wait_dscnt 0x0
	v_pk_mul_f32 v[128:129], v[124:125], v[126:127] op_sel:[1,1] op_sel_hi:[0,1]
	s_delay_alu instid0(VALU_DEP_1) | instskip(SKIP_1) | instid1(VALU_DEP_2)
	v_pk_fma_f32 v[130:131], v[124:125], v[126:127], v[128:129] op_sel_hi:[1,0,1]
	v_pk_fma_f32 v[124:125], v[124:125], v[126:127], v[128:129] neg_lo:[0,0,1] neg_hi:[0,0,1]
	v_mov_b32_e32 v125, v131
	scratch_store_b64 off, v[124:125], off offset:176
.LBB123_103:
	s_wait_xcnt 0x0
	s_or_b32 exec_lo, exec_lo, s0
	s_wait_storecnt 0x0
	s_barrier_signal -1
	s_barrier_wait -1
	scratch_load_b64 v[124:125], off, off offset:184
	s_mov_b32 s0, exec_lo
	s_wait_loadcnt 0x0
	ds_store_b64 v1, v[124:125]
	s_wait_dscnt 0x0
	s_barrier_signal -1
	s_barrier_wait -1
	v_cmpx_gt_u32_e32 23, v0
	s_cbranch_execz .LBB123_107
; %bb.104:
	v_dual_mov_b32 v124, 0 :: v_dual_add_nc_u32 v9, -1, v0
	v_add_nc_u32_e32 v11, 0x1e0, v122
	v_mov_b32_e32 v13, v122
	s_mov_b32 s1, 0
	s_delay_alu instid0(VALU_DEP_3)
	v_mov_b32_e32 v125, v124
.LBB123_105:                            ; =>This Inner Loop Header: Depth=1
	scratch_load_b64 v[126:127], v13, off
	ds_load_b64 v[128:129], v11
	s_wait_xcnt 0x0
	v_dual_add_nc_u32 v11, 8, v11 :: v_dual_add_nc_u32 v13, 8, v13
	s_wait_loadcnt_dscnt 0x0
	v_pk_mul_f32 v[130:131], v[128:129], v[126:127] op_sel:[1,1] op_sel_hi:[0,1]
	s_delay_alu instid0(VALU_DEP_1) | instskip(SKIP_2) | instid1(VALU_DEP_3)
	v_pk_fma_f32 v[132:133], v[128:129], v[126:127], v[130:131] op_sel_hi:[1,0,1]
	v_add_nc_u32_e32 v9, 1, v9
	v_pk_fma_f32 v[126:127], v[128:129], v[126:127], v[130:131] neg_lo:[0,0,1] neg_hi:[0,0,1]
	v_mov_b32_e32 v127, v133
	s_delay_alu instid0(VALU_DEP_3) | instskip(NEXT) | instid1(VALU_DEP_2)
	v_cmp_lt_u32_e32 vcc_lo, 21, v9
	v_pk_add_f32 v[124:125], v[124:125], v[126:127]
	s_or_b32 s1, vcc_lo, s1
	s_delay_alu instid0(SALU_CYCLE_1)
	s_and_not1_b32 exec_lo, exec_lo, s1
	s_cbranch_execnz .LBB123_105
; %bb.106:
	s_or_b32 exec_lo, exec_lo, s1
	v_mov_b32_e32 v9, 0
	ds_load_b64 v[126:127], v9 offset:184
	s_wait_dscnt 0x0
	v_pk_mul_f32 v[128:129], v[124:125], v[126:127] op_sel:[1,1] op_sel_hi:[0,1]
	s_delay_alu instid0(VALU_DEP_1) | instskip(SKIP_1) | instid1(VALU_DEP_2)
	v_pk_fma_f32 v[130:131], v[124:125], v[126:127], v[128:129] op_sel_hi:[1,0,1]
	v_pk_fma_f32 v[124:125], v[124:125], v[126:127], v[128:129] neg_lo:[0,0,1] neg_hi:[0,0,1]
	v_mov_b32_e32 v125, v131
	scratch_store_b64 off, v[124:125], off offset:184
.LBB123_107:
	s_wait_xcnt 0x0
	s_or_b32 exec_lo, exec_lo, s0
	s_wait_storecnt 0x0
	s_barrier_signal -1
	s_barrier_wait -1
	scratch_load_b64 v[124:125], off, off offset:192
	;; [unrolled: 52-line block ×37, first 2 shown]
	s_mov_b32 s0, exec_lo
	s_wait_loadcnt 0x0
	ds_store_b64 v1, v[124:125]
	s_wait_dscnt 0x0
	s_barrier_signal -1
	s_barrier_wait -1
	v_cmpx_ne_u32_e32 59, v0
	s_cbranch_execz .LBB123_251
; %bb.248:
	v_dual_mov_b32 v124, 0 :: v_dual_mov_b32 v9, v122
	s_mov_b32 s1, 0
	s_delay_alu instid0(VALU_DEP_1)
	v_mov_b32_e32 v125, v124
.LBB123_249:                            ; =>This Inner Loop Header: Depth=1
	scratch_load_b64 v[122:123], v9, off
	ds_load_b64 v[126:127], v1
	v_add_nc_u32_e32 v1, 8, v1
	s_wait_xcnt 0x0
	v_add_nc_u32_e32 v9, 8, v9
	s_wait_loadcnt_dscnt 0x0
	v_pk_mul_f32 v[128:129], v[126:127], v[122:123] op_sel:[1,1] op_sel_hi:[0,1]
	s_delay_alu instid0(VALU_DEP_1) | instskip(SKIP_2) | instid1(VALU_DEP_3)
	v_pk_fma_f32 v[130:131], v[126:127], v[122:123], v[128:129] op_sel_hi:[1,0,1]
	v_add_nc_u32_e32 v7, 1, v7
	v_pk_fma_f32 v[122:123], v[126:127], v[122:123], v[128:129] neg_lo:[0,0,1] neg_hi:[0,0,1]
	v_mov_b32_e32 v123, v131
	s_delay_alu instid0(VALU_DEP_3) | instskip(NEXT) | instid1(VALU_DEP_2)
	v_cmp_lt_u32_e32 vcc_lo, 57, v7
	v_pk_add_f32 v[124:125], v[124:125], v[122:123]
	s_or_b32 s1, vcc_lo, s1
	s_delay_alu instid0(SALU_CYCLE_1)
	s_and_not1_b32 exec_lo, exec_lo, s1
	s_cbranch_execnz .LBB123_249
; %bb.250:
	s_or_b32 exec_lo, exec_lo, s1
	v_mov_b32_e32 v1, 0
	ds_load_b64 v[122:123], v1 offset:472
	s_wait_dscnt 0x0
	v_pk_mul_f32 v[126:127], v[124:125], v[122:123] op_sel:[1,1] op_sel_hi:[0,1]
	s_delay_alu instid0(VALU_DEP_1) | instskip(SKIP_1) | instid1(VALU_DEP_2)
	v_pk_fma_f32 v[128:129], v[124:125], v[122:123], v[126:127] op_sel_hi:[1,0,1]
	v_pk_fma_f32 v[122:123], v[124:125], v[122:123], v[126:127] neg_lo:[0,0,1] neg_hi:[0,0,1]
	v_mov_b32_e32 v123, v129
	scratch_store_b64 off, v[122:123], off offset:472
.LBB123_251:
	s_wait_xcnt 0x0
	s_or_b32 exec_lo, exec_lo, s0
	s_mov_b32 s1, -1
	s_wait_storecnt 0x0
	s_barrier_signal -1
	s_barrier_wait -1
.LBB123_252:
	s_and_b32 vcc_lo, exec_lo, s1
	s_cbranch_vccz .LBB123_254
; %bb.253:
	v_mov_b32_e32 v1, 0
	s_lshl_b64 s[0:1], s[10:11], 2
	s_delay_alu instid0(SALU_CYCLE_1)
	s_add_nc_u64 s[0:1], s[6:7], s[0:1]
	global_load_b32 v1, v1, s[0:1]
	s_wait_loadcnt 0x0
	v_cmp_ne_u32_e32 vcc_lo, 0, v1
	s_cbranch_vccz .LBB123_255
.LBB123_254:
	s_sendmsg sendmsg(MSG_DEALLOC_VGPRS)
	s_endpgm
.LBB123_255:
	s_wait_xcnt 0x0
	v_lshl_add_u32 v1, v0, 3, 0x1e0
	s_mov_b32 s0, exec_lo
	v_cmpx_eq_u32_e32 59, v0
	s_cbranch_execz .LBB123_257
; %bb.256:
	scratch_load_b64 v[122:123], off, off offset:464
	v_mov_b64_e32 v[124:125], 0
	scratch_store_b64 off, v[124:125], off offset:464
	s_wait_loadcnt 0x0
	ds_store_b64 v1, v[122:123]
.LBB123_257:
	s_wait_xcnt 0x0
	s_or_b32 exec_lo, exec_lo, s0
	s_wait_storecnt_dscnt 0x0
	s_barrier_signal -1
	s_barrier_wait -1
	s_clause 0x1
	scratch_load_b64 v[122:123], off, off offset:472
	scratch_load_b64 v[124:125], off, off offset:464
	v_mov_b32_e32 v7, 0
	s_mov_b32 s0, exec_lo
	ds_load_b64 v[126:127], v7 offset:952
	s_wait_loadcnt_dscnt 0x100
	v_pk_mul_f32 v[128:129], v[126:127], v[122:123] op_sel:[1,1] op_sel_hi:[0,1]
	s_delay_alu instid0(VALU_DEP_1) | instskip(SKIP_1) | instid1(VALU_DEP_2)
	v_pk_fma_f32 v[130:131], v[126:127], v[122:123], v[128:129] op_sel_hi:[1,0,1]
	v_pk_fma_f32 v[122:123], v[126:127], v[122:123], v[128:129] neg_lo:[0,0,1] neg_hi:[0,0,1]
	v_mov_b32_e32 v123, v131
	s_delay_alu instid0(VALU_DEP_1) | instskip(SKIP_1) | instid1(VALU_DEP_1)
	v_pk_add_f32 v[122:123], v[122:123], 0 op_sel_hi:[1,0]
	s_wait_loadcnt 0x0
	v_pk_add_f32 v[122:123], v[124:125], v[122:123] neg_lo:[0,1] neg_hi:[0,1]
	scratch_store_b64 off, v[122:123], off offset:464
	s_wait_xcnt 0x0
	v_cmpx_lt_u32_e32 57, v0
	s_cbranch_execz .LBB123_259
; %bb.258:
	scratch_load_b64 v[122:123], off, off offset:456
	v_mov_b64_e32 v[124:125], 0
	scratch_store_b64 off, v[124:125], off offset:456
	s_wait_loadcnt 0x0
	ds_store_b64 v1, v[122:123]
.LBB123_259:
	s_wait_xcnt 0x0
	s_or_b32 exec_lo, exec_lo, s0
	s_wait_storecnt_dscnt 0x0
	s_barrier_signal -1
	s_barrier_wait -1
	s_clause 0x1
	scratch_load_b128 v[122:125], off, off offset:464
	scratch_load_b64 v[130:131], off, off offset:456
	ds_load_b128 v[126:129], v7 offset:944
	s_mov_b32 s0, exec_lo
	s_wait_dscnt 0x0
	v_dual_mov_b32 v132, v129 :: v_dual_mov_b32 v133, v128
	s_wait_loadcnt 0x1
	v_pk_mul_f32 v[134:135], v[126:127], v[122:123] op_sel:[1,1] op_sel_hi:[0,1]
	s_delay_alu instid0(VALU_DEP_1) | instskip(SKIP_2) | instid1(VALU_DEP_3)
	v_pk_fma_f32 v[138:139], v[126:127], v[122:123], v[134:135] op_sel_hi:[1,0,1]
	v_mov_b32_e32 v136, v125
	v_pk_fma_f32 v[122:123], v[126:127], v[122:123], v[134:135] neg_lo:[0,0,1] neg_hi:[0,0,1]
	v_mov_b32_e32 v123, v139
	s_delay_alu instid0(VALU_DEP_3) | instskip(NEXT) | instid1(VALU_DEP_2)
	v_pk_mul_f32 v[132:133], v[132:133], v[136:137] op_sel_hi:[1,0]
	v_pk_add_f32 v[122:123], v[122:123], 0 op_sel_hi:[1,0]
	s_delay_alu instid0(VALU_DEP_2) | instskip(SKIP_1) | instid1(VALU_DEP_2)
	v_pk_fma_f32 v[126:127], v[128:129], v[124:125], v[132:133] op_sel_hi:[1,0,1]
	v_pk_fma_f32 v[124:125], v[128:129], v[124:125], v[132:133] neg_lo:[0,0,1] neg_hi:[0,0,1]
	v_mov_b32_e32 v125, v127
	s_delay_alu instid0(VALU_DEP_1) | instskip(SKIP_1) | instid1(VALU_DEP_1)
	v_pk_add_f32 v[122:123], v[122:123], v[124:125]
	s_wait_loadcnt 0x0
	v_pk_add_f32 v[122:123], v[130:131], v[122:123] neg_lo:[0,1] neg_hi:[0,1]
	scratch_store_b64 off, v[122:123], off offset:456
	s_wait_xcnt 0x0
	v_cmpx_lt_u32_e32 56, v0
	s_cbranch_execz .LBB123_261
; %bb.260:
	scratch_load_b64 v[122:123], off, off offset:448
	v_mov_b64_e32 v[124:125], 0
	scratch_store_b64 off, v[124:125], off offset:448
	s_wait_loadcnt 0x0
	ds_store_b64 v1, v[122:123]
.LBB123_261:
	s_wait_xcnt 0x0
	s_or_b32 exec_lo, exec_lo, s0
	s_wait_storecnt_dscnt 0x0
	s_barrier_signal -1
	s_barrier_wait -1
	s_clause 0x2
	scratch_load_b128 v[122:125], off, off offset:456
	scratch_load_b64 v[130:131], off, off offset:472
	scratch_load_b64 v[132:133], off, off offset:448
	v_mov_b32_e32 v7, 0
	ds_load_2addr_b64 v[126:129], v7 offset0:117 offset1:118
	ds_load_b64 v[134:135], v7 offset:952
	s_mov_b32 s0, exec_lo
	s_wait_dscnt 0x1
	v_dual_mov_b32 v136, v129 :: v_dual_mov_b32 v137, v128
	s_wait_loadcnt 0x2
	v_mov_b32_e32 v140, v125
	v_pk_mul_f32 v[138:139], v[126:127], v[122:123] op_sel:[1,1] op_sel_hi:[0,1]
	s_delay_alu instid0(VALU_DEP_2) | instskip(NEXT) | instid1(VALU_DEP_2)
	v_pk_mul_f32 v[136:137], v[136:137], v[140:141] op_sel_hi:[1,0]
	v_pk_fma_f32 v[142:143], v[126:127], v[122:123], v[138:139] op_sel_hi:[1,0,1]
	v_pk_fma_f32 v[122:123], v[126:127], v[122:123], v[138:139] neg_lo:[0,0,1] neg_hi:[0,0,1]
	s_wait_loadcnt_dscnt 0x100
	v_pk_mul_f32 v[138:139], v[134:135], v[130:131] op_sel:[1,1] op_sel_hi:[0,1]
	v_pk_fma_f32 v[126:127], v[128:129], v[124:125], v[136:137] op_sel_hi:[1,0,1]
	v_mov_b32_e32 v123, v143
	v_pk_fma_f32 v[124:125], v[128:129], v[124:125], v[136:137] neg_lo:[0,0,1] neg_hi:[0,0,1]
	s_delay_alu instid0(VALU_DEP_4) | instskip(NEXT) | instid1(VALU_DEP_4)
	v_pk_fma_f32 v[128:129], v[134:135], v[130:131], v[138:139] neg_lo:[0,0,1] neg_hi:[0,0,1]
	v_mov_b32_e32 v125, v127
	s_delay_alu instid0(VALU_DEP_4) | instskip(SKIP_1) | instid1(VALU_DEP_2)
	v_pk_add_f32 v[122:123], v[122:123], 0 op_sel_hi:[1,0]
	v_pk_fma_f32 v[126:127], v[134:135], v[130:131], v[138:139] op_sel_hi:[1,0,1]
	v_pk_add_f32 v[122:123], v[122:123], v[124:125]
	s_delay_alu instid0(VALU_DEP_2) | instskip(NEXT) | instid1(VALU_DEP_1)
	v_mov_b32_e32 v129, v127
	v_pk_add_f32 v[122:123], v[122:123], v[128:129]
	s_wait_loadcnt 0x0
	s_delay_alu instid0(VALU_DEP_1)
	v_pk_add_f32 v[122:123], v[132:133], v[122:123] neg_lo:[0,1] neg_hi:[0,1]
	scratch_store_b64 off, v[122:123], off offset:448
	s_wait_xcnt 0x0
	v_cmpx_lt_u32_e32 55, v0
	s_cbranch_execz .LBB123_263
; %bb.262:
	scratch_load_b64 v[122:123], off, off offset:440
	v_mov_b64_e32 v[124:125], 0
	scratch_store_b64 off, v[124:125], off offset:440
	s_wait_loadcnt 0x0
	ds_store_b64 v1, v[122:123]
.LBB123_263:
	s_wait_xcnt 0x0
	s_or_b32 exec_lo, exec_lo, s0
	s_wait_storecnt_dscnt 0x0
	s_barrier_signal -1
	s_barrier_wait -1
	s_clause 0x2
	scratch_load_b128 v[122:125], off, off offset:448
	scratch_load_b128 v[126:129], off, off offset:464
	scratch_load_b64 v[138:139], off, off offset:440
	ds_load_b128 v[130:133], v7 offset:928
	ds_load_b128 v[134:137], v7 offset:944
	s_mov_b32 s0, exec_lo
	s_wait_dscnt 0x1
	v_dual_mov_b32 v140, v133 :: v_dual_mov_b32 v141, v132
	s_wait_loadcnt_dscnt 0x200
	v_dual_mov_b32 v146, v137 :: v_dual_mov_b32 v144, v125
	v_pk_mul_f32 v[142:143], v[130:131], v[122:123] op_sel:[1,1] op_sel_hi:[0,1]
	s_delay_alu instid0(VALU_DEP_2) | instskip(NEXT) | instid1(VALU_DEP_2)
	v_pk_mul_f32 v[140:141], v[140:141], v[144:145] op_sel_hi:[1,0]
	v_pk_fma_f32 v[148:149], v[130:131], v[122:123], v[142:143] op_sel_hi:[1,0,1]
	v_pk_fma_f32 v[122:123], v[130:131], v[122:123], v[142:143] neg_lo:[0,0,1] neg_hi:[0,0,1]
	v_mov_b32_e32 v147, v136
	s_wait_loadcnt 0x1
	v_pk_mul_f32 v[144:145], v[134:135], v[126:127] op_sel:[1,1] op_sel_hi:[0,1]
	v_pk_fma_f32 v[130:131], v[132:133], v[124:125], v[140:141] op_sel_hi:[1,0,1]
	v_dual_mov_b32 v123, v149 :: v_dual_mov_b32 v130, v129
	v_pk_fma_f32 v[124:125], v[132:133], v[124:125], v[140:141] neg_lo:[0,0,1] neg_hi:[0,0,1]
	s_delay_alu instid0(VALU_DEP_4) | instskip(NEXT) | instid1(VALU_DEP_4)
	v_pk_fma_f32 v[142:143], v[134:135], v[126:127], v[144:145] op_sel_hi:[1,0,1]
	v_mov_b32_e32 v125, v131
	s_delay_alu instid0(VALU_DEP_4) | instskip(SKIP_2) | instid1(VALU_DEP_3)
	v_pk_add_f32 v[122:123], v[122:123], 0 op_sel_hi:[1,0]
	v_pk_mul_f32 v[130:131], v[146:147], v[130:131] op_sel_hi:[1,0]
	v_pk_fma_f32 v[126:127], v[134:135], v[126:127], v[144:145] neg_lo:[0,0,1] neg_hi:[0,0,1]
	v_pk_add_f32 v[122:123], v[122:123], v[124:125]
	s_delay_alu instid0(VALU_DEP_3) | instskip(SKIP_2) | instid1(VALU_DEP_3)
	v_pk_fma_f32 v[124:125], v[136:137], v[128:129], v[130:131] op_sel_hi:[1,0,1]
	v_mov_b32_e32 v127, v143
	v_pk_fma_f32 v[128:129], v[136:137], v[128:129], v[130:131] neg_lo:[0,0,1] neg_hi:[0,0,1]
	v_mov_b32_e32 v129, v125
	s_delay_alu instid0(VALU_DEP_3) | instskip(NEXT) | instid1(VALU_DEP_1)
	v_pk_add_f32 v[122:123], v[122:123], v[126:127]
	v_pk_add_f32 v[122:123], v[122:123], v[128:129]
	s_wait_loadcnt 0x0
	s_delay_alu instid0(VALU_DEP_1)
	v_pk_add_f32 v[122:123], v[138:139], v[122:123] neg_lo:[0,1] neg_hi:[0,1]
	scratch_store_b64 off, v[122:123], off offset:440
	s_wait_xcnt 0x0
	v_cmpx_lt_u32_e32 54, v0
	s_cbranch_execz .LBB123_265
; %bb.264:
	scratch_load_b64 v[122:123], off, off offset:432
	v_mov_b64_e32 v[124:125], 0
	scratch_store_b64 off, v[124:125], off offset:432
	s_wait_loadcnt 0x0
	ds_store_b64 v1, v[122:123]
.LBB123_265:
	s_wait_xcnt 0x0
	s_or_b32 exec_lo, exec_lo, s0
	s_wait_storecnt_dscnt 0x0
	s_barrier_signal -1
	s_barrier_wait -1
	s_clause 0x3
	scratch_load_b128 v[122:125], off, off offset:440
	scratch_load_b128 v[126:129], off, off offset:456
	scratch_load_b64 v[138:139], off, off offset:472
	scratch_load_b64 v[140:141], off, off offset:432
	v_mov_b32_e32 v7, 0
	ds_load_2addr_b64 v[130:133], v7 offset0:115 offset1:116
	ds_load_2addr_b64 v[134:137], v7 offset0:117 offset1:118
	s_mov_b32 s0, exec_lo
	s_wait_dscnt 0x1
	v_dual_mov_b32 v142, v133 :: v_dual_mov_b32 v143, v132
	ds_load_b64 v[148:149], v7 offset:952
	s_wait_dscnt 0x1
	v_dual_mov_b32 v150, v137 :: v_dual_mov_b32 v151, v136
	s_wait_loadcnt 0x3
	v_pk_mul_f32 v[144:145], v[130:131], v[122:123] op_sel:[1,1] op_sel_hi:[0,1]
	v_mov_b32_e32 v146, v125
	s_delay_alu instid0(VALU_DEP_2) | instskip(NEXT) | instid1(VALU_DEP_2)
	v_pk_fma_f32 v[152:153], v[130:131], v[122:123], v[144:145] op_sel_hi:[1,0,1]
	v_pk_mul_f32 v[142:143], v[142:143], v[146:147] op_sel_hi:[1,0]
	v_pk_fma_f32 v[122:123], v[130:131], v[122:123], v[144:145] neg_lo:[0,0,1] neg_hi:[0,0,1]
	s_wait_loadcnt 0x2
	v_pk_mul_f32 v[146:147], v[134:135], v[126:127] op_sel:[1,1] op_sel_hi:[0,1]
	v_dual_mov_b32 v152, v129 :: v_dual_mov_b32 v123, v153
	v_pk_fma_f32 v[130:131], v[132:133], v[124:125], v[142:143] op_sel_hi:[1,0,1]
	v_pk_fma_f32 v[124:125], v[132:133], v[124:125], v[142:143] neg_lo:[0,0,1] neg_hi:[0,0,1]
	s_delay_alu instid0(VALU_DEP_4) | instskip(NEXT) | instid1(VALU_DEP_4)
	v_pk_fma_f32 v[144:145], v[134:135], v[126:127], v[146:147] op_sel_hi:[1,0,1]
	v_pk_mul_f32 v[150:151], v[150:151], v[152:153] op_sel_hi:[1,0]
	v_pk_add_f32 v[122:123], v[122:123], 0 op_sel_hi:[1,0]
	v_mov_b32_e32 v125, v131
	v_pk_fma_f32 v[126:127], v[134:135], v[126:127], v[146:147] neg_lo:[0,0,1] neg_hi:[0,0,1]
	v_mov_b32_e32 v127, v145
	v_pk_fma_f32 v[130:131], v[136:137], v[128:129], v[150:151] op_sel_hi:[1,0,1]
	v_pk_fma_f32 v[128:129], v[136:137], v[128:129], v[150:151] neg_lo:[0,0,1] neg_hi:[0,0,1]
	v_pk_add_f32 v[122:123], v[122:123], v[124:125]
	s_wait_loadcnt_dscnt 0x100
	v_pk_mul_f32 v[124:125], v[148:149], v[138:139] op_sel:[1,1] op_sel_hi:[0,1]
	s_delay_alu instid0(VALU_DEP_2) | instskip(NEXT) | instid1(VALU_DEP_2)
	v_pk_add_f32 v[122:123], v[122:123], v[126:127]
	v_pk_fma_f32 v[126:127], v[148:149], v[138:139], v[124:125] op_sel_hi:[1,0,1]
	v_mov_b32_e32 v129, v131
	v_pk_fma_f32 v[124:125], v[148:149], v[138:139], v[124:125] neg_lo:[0,0,1] neg_hi:[0,0,1]
	s_delay_alu instid0(VALU_DEP_3) | instskip(NEXT) | instid1(VALU_DEP_3)
	v_mov_b32_e32 v125, v127
	v_pk_add_f32 v[122:123], v[122:123], v[128:129]
	s_delay_alu instid0(VALU_DEP_1) | instskip(SKIP_1) | instid1(VALU_DEP_1)
	v_pk_add_f32 v[122:123], v[122:123], v[124:125]
	s_wait_loadcnt 0x0
	v_pk_add_f32 v[122:123], v[140:141], v[122:123] neg_lo:[0,1] neg_hi:[0,1]
	scratch_store_b64 off, v[122:123], off offset:432
	s_wait_xcnt 0x0
	v_cmpx_lt_u32_e32 53, v0
	s_cbranch_execz .LBB123_267
; %bb.266:
	scratch_load_b64 v[122:123], off, off offset:424
	v_mov_b64_e32 v[124:125], 0
	scratch_store_b64 off, v[124:125], off offset:424
	s_wait_loadcnt 0x0
	ds_store_b64 v1, v[122:123]
.LBB123_267:
	s_wait_xcnt 0x0
	s_or_b32 exec_lo, exec_lo, s0
	s_wait_storecnt_dscnt 0x0
	s_barrier_signal -1
	s_barrier_wait -1
	s_clause 0x3
	scratch_load_b128 v[122:125], off, off offset:432
	scratch_load_b128 v[126:129], off, off offset:448
	;; [unrolled: 1-line block ×3, first 2 shown]
	scratch_load_b64 v[146:147], off, off offset:424
	ds_load_b128 v[134:137], v7 offset:912
	ds_load_b128 v[138:141], v7 offset:928
	;; [unrolled: 1-line block ×3, first 2 shown]
	s_mov_b32 s0, exec_lo
	s_wait_dscnt 0x2
	v_dual_mov_b32 v148, v137 :: v_dual_mov_b32 v149, v136
	s_wait_dscnt 0x1
	v_dual_mov_b32 v150, v141 :: v_dual_mov_b32 v151, v140
	;; [unrolled: 2-line block ×3, first 2 shown]
	s_wait_loadcnt 0x3
	v_pk_mul_f32 v[152:153], v[134:135], v[122:123] op_sel:[1,1] op_sel_hi:[0,1]
	v_mov_b32_e32 v154, v125
	s_delay_alu instid0(VALU_DEP_2) | instskip(NEXT) | instid1(VALU_DEP_2)
	v_pk_fma_f32 v[158:159], v[134:135], v[122:123], v[152:153] op_sel_hi:[1,0,1]
	v_pk_mul_f32 v[148:149], v[148:149], v[154:155] op_sel_hi:[1,0]
	v_pk_fma_f32 v[122:123], v[134:135], v[122:123], v[152:153] neg_lo:[0,0,1] neg_hi:[0,0,1]
	s_wait_loadcnt 0x2
	v_pk_mul_f32 v[154:155], v[138:139], v[126:127] op_sel:[1,1] op_sel_hi:[0,1]
	v_mov_b32_e32 v158, v129
	v_pk_fma_f32 v[134:135], v[136:137], v[124:125], v[148:149] op_sel_hi:[1,0,1]
	v_mov_b32_e32 v123, v159
	v_pk_fma_f32 v[124:125], v[136:137], v[124:125], v[148:149] neg_lo:[0,0,1] neg_hi:[0,0,1]
	v_pk_fma_f32 v[152:153], v[138:139], v[126:127], v[154:155] op_sel_hi:[1,0,1]
	v_pk_mul_f32 v[150:151], v[150:151], v[158:159] op_sel_hi:[1,0]
	v_mov_b32_e32 v125, v135
	v_pk_add_f32 v[122:123], v[122:123], 0 op_sel_hi:[1,0]
	v_pk_fma_f32 v[126:127], v[138:139], v[126:127], v[154:155] neg_lo:[0,0,1] neg_hi:[0,0,1]
	s_wait_loadcnt 0x1
	v_pk_mul_f32 v[134:135], v[142:143], v[130:131] op_sel:[1,1] op_sel_hi:[0,1]
	v_mov_b32_e32 v127, v153
	v_pk_fma_f32 v[136:137], v[140:141], v[128:129], v[150:151] op_sel_hi:[1,0,1]
	v_pk_add_f32 v[122:123], v[122:123], v[124:125]
	v_mov_b32_e32 v124, v133
	v_pk_fma_f32 v[128:129], v[140:141], v[128:129], v[150:151] neg_lo:[0,0,1] neg_hi:[0,0,1]
	v_pk_fma_f32 v[138:139], v[142:143], v[130:131], v[134:135] op_sel_hi:[1,0,1]
	v_mov_b32_e32 v129, v137
	v_pk_add_f32 v[122:123], v[122:123], v[126:127]
	v_pk_mul_f32 v[124:125], v[156:157], v[124:125] op_sel_hi:[1,0]
	v_pk_fma_f32 v[126:127], v[142:143], v[130:131], v[134:135] neg_lo:[0,0,1] neg_hi:[0,0,1]
	v_mov_b32_e32 v127, v139
	s_delay_alu instid0(VALU_DEP_4) | instskip(NEXT) | instid1(VALU_DEP_4)
	v_pk_add_f32 v[122:123], v[122:123], v[128:129]
	v_pk_fma_f32 v[128:129], v[144:145], v[132:133], v[124:125] op_sel_hi:[1,0,1]
	v_pk_fma_f32 v[124:125], v[144:145], v[132:133], v[124:125] neg_lo:[0,0,1] neg_hi:[0,0,1]
	s_delay_alu instid0(VALU_DEP_3) | instskip(NEXT) | instid1(VALU_DEP_3)
	v_pk_add_f32 v[122:123], v[122:123], v[126:127]
	v_mov_b32_e32 v125, v129
	s_delay_alu instid0(VALU_DEP_1) | instskip(SKIP_1) | instid1(VALU_DEP_1)
	v_pk_add_f32 v[122:123], v[122:123], v[124:125]
	s_wait_loadcnt 0x0
	v_pk_add_f32 v[122:123], v[146:147], v[122:123] neg_lo:[0,1] neg_hi:[0,1]
	scratch_store_b64 off, v[122:123], off offset:424
	s_wait_xcnt 0x0
	v_cmpx_lt_u32_e32 52, v0
	s_cbranch_execz .LBB123_269
; %bb.268:
	scratch_load_b64 v[122:123], off, off offset:416
	v_mov_b64_e32 v[124:125], 0
	scratch_store_b64 off, v[124:125], off offset:416
	s_wait_loadcnt 0x0
	ds_store_b64 v1, v[122:123]
.LBB123_269:
	s_wait_xcnt 0x0
	s_or_b32 exec_lo, exec_lo, s0
	s_wait_storecnt_dscnt 0x0
	s_barrier_signal -1
	s_barrier_wait -1
	s_clause 0x4
	scratch_load_b128 v[122:125], off, off offset:424
	scratch_load_b128 v[126:129], off, off offset:440
	;; [unrolled: 1-line block ×3, first 2 shown]
	scratch_load_b64 v[146:147], off, off offset:472
	scratch_load_b64 v[148:149], off, off offset:416
	v_mov_b32_e32 v7, 0
	ds_load_2addr_b64 v[134:137], v7 offset0:113 offset1:114
	ds_load_2addr_b64 v[138:141], v7 offset0:115 offset1:116
	;; [unrolled: 1-line block ×3, first 2 shown]
	ds_load_b64 v[150:151], v7 offset:952
	s_mov_b32 s0, exec_lo
	s_wait_dscnt 0x3
	v_dual_mov_b32 v152, v137 :: v_dual_mov_b32 v153, v136
	s_wait_dscnt 0x2
	v_dual_mov_b32 v154, v141 :: v_dual_mov_b32 v155, v140
	;; [unrolled: 2-line block ×3, first 2 shown]
	s_wait_loadcnt 0x4
	v_pk_mul_f32 v[156:157], v[134:135], v[122:123] op_sel:[1,1] op_sel_hi:[0,1]
	v_mov_b32_e32 v158, v125
	s_wait_loadcnt 0x3
	v_pk_mul_f32 v[162:163], v[138:139], v[126:127] op_sel:[1,1] op_sel_hi:[0,1]
	s_wait_loadcnt 0x2
	v_pk_mul_f32 v[166:167], v[142:143], v[130:131] op_sel:[1,1] op_sel_hi:[0,1]
	v_pk_fma_f32 v[164:165], v[134:135], v[122:123], v[156:157] op_sel_hi:[1,0,1]
	v_pk_mul_f32 v[152:153], v[152:153], v[158:159] op_sel_hi:[1,0]
	v_pk_fma_f32 v[122:123], v[134:135], v[122:123], v[156:157] neg_lo:[0,0,1] neg_hi:[0,0,1]
	v_mov_b32_e32 v158, v129
	v_pk_fma_f32 v[156:157], v[138:139], v[126:127], v[162:163] op_sel_hi:[1,0,1]
	v_mov_b32_e32 v123, v165
	v_pk_fma_f32 v[134:135], v[136:137], v[124:125], v[152:153] op_sel_hi:[1,0,1]
	v_pk_fma_f32 v[124:125], v[136:137], v[124:125], v[152:153] neg_lo:[0,0,1] neg_hi:[0,0,1]
	v_pk_mul_f32 v[154:155], v[154:155], v[158:159] op_sel_hi:[1,0]
	v_pk_fma_f32 v[126:127], v[138:139], v[126:127], v[162:163] neg_lo:[0,0,1] neg_hi:[0,0,1]
	v_pk_add_f32 v[122:123], v[122:123], 0 op_sel_hi:[1,0]
	v_dual_mov_b32 v125, v135 :: v_dual_mov_b32 v134, v133
	s_delay_alu instid0(VALU_DEP_4) | instskip(SKIP_2) | instid1(VALU_DEP_4)
	v_pk_fma_f32 v[136:137], v[140:141], v[128:129], v[154:155] op_sel_hi:[1,0,1]
	v_mov_b32_e32 v127, v157
	v_pk_fma_f32 v[128:129], v[140:141], v[128:129], v[154:155] neg_lo:[0,0,1] neg_hi:[0,0,1]
	v_pk_add_f32 v[122:123], v[122:123], v[124:125]
	v_pk_fma_f32 v[124:125], v[142:143], v[130:131], v[166:167] op_sel_hi:[1,0,1]
	v_pk_mul_f32 v[134:135], v[160:161], v[134:135] op_sel_hi:[1,0]
	v_mov_b32_e32 v129, v137
	s_delay_alu instid0(VALU_DEP_4)
	v_pk_add_f32 v[122:123], v[122:123], v[126:127]
	v_pk_fma_f32 v[126:127], v[142:143], v[130:131], v[166:167] neg_lo:[0,0,1] neg_hi:[0,0,1]
	v_mov_b32_e32 v127, v125
	v_pk_fma_f32 v[124:125], v[144:145], v[132:133], v[134:135] op_sel_hi:[1,0,1]
	v_pk_fma_f32 v[130:131], v[144:145], v[132:133], v[134:135] neg_lo:[0,0,1] neg_hi:[0,0,1]
	v_pk_add_f32 v[122:123], v[122:123], v[128:129]
	s_wait_loadcnt_dscnt 0x100
	v_pk_mul_f32 v[128:129], v[150:151], v[146:147] op_sel:[1,1] op_sel_hi:[0,1]
	v_mov_b32_e32 v131, v125
	s_delay_alu instid0(VALU_DEP_3) | instskip(NEXT) | instid1(VALU_DEP_3)
	v_pk_add_f32 v[122:123], v[122:123], v[126:127]
	v_pk_fma_f32 v[124:125], v[150:151], v[146:147], v[128:129] op_sel_hi:[1,0,1]
	v_pk_fma_f32 v[126:127], v[150:151], v[146:147], v[128:129] neg_lo:[0,0,1] neg_hi:[0,0,1]
	s_delay_alu instid0(VALU_DEP_3) | instskip(NEXT) | instid1(VALU_DEP_3)
	v_pk_add_f32 v[122:123], v[122:123], v[130:131]
	v_mov_b32_e32 v127, v125
	s_delay_alu instid0(VALU_DEP_1) | instskip(SKIP_1) | instid1(VALU_DEP_1)
	v_pk_add_f32 v[122:123], v[122:123], v[126:127]
	s_wait_loadcnt 0x0
	v_pk_add_f32 v[122:123], v[148:149], v[122:123] neg_lo:[0,1] neg_hi:[0,1]
	scratch_store_b64 off, v[122:123], off offset:416
	s_wait_xcnt 0x0
	v_cmpx_lt_u32_e32 51, v0
	s_cbranch_execz .LBB123_271
; %bb.270:
	scratch_load_b64 v[122:123], off, off offset:408
	v_mov_b64_e32 v[124:125], 0
	scratch_store_b64 off, v[124:125], off offset:408
	s_wait_loadcnt 0x0
	ds_store_b64 v1, v[122:123]
.LBB123_271:
	s_wait_xcnt 0x0
	s_or_b32 exec_lo, exec_lo, s0
	s_wait_storecnt_dscnt 0x0
	s_barrier_signal -1
	s_barrier_wait -1
	s_clause 0x4
	scratch_load_b128 v[122:125], off, off offset:416
	scratch_load_b128 v[126:129], off, off offset:432
	;; [unrolled: 1-line block ×4, first 2 shown]
	scratch_load_b64 v[154:155], off, off offset:408
	ds_load_b128 v[138:141], v7 offset:896
	ds_load_b128 v[142:145], v7 offset:912
	ds_load_b128 v[146:149], v7 offset:928
	ds_load_b128 v[150:153], v7 offset:944
	s_mov_b32 s0, exec_lo
	s_wait_dscnt 0x3
	v_dual_mov_b32 v156, v141 :: v_dual_mov_b32 v157, v140
	s_wait_dscnt 0x2
	v_dual_mov_b32 v158, v145 :: v_dual_mov_b32 v159, v144
	;; [unrolled: 2-line block ×3, first 2 shown]
	v_dual_mov_b32 v161, v148 :: v_dual_mov_b32 v166, v153
	s_wait_loadcnt 0x4
	v_mov_b32_e32 v164, v125
	v_pk_mul_f32 v[162:163], v[138:139], v[122:123] op_sel:[1,1] op_sel_hi:[0,1]
	s_wait_loadcnt 0x3
	v_pk_mul_f32 v[168:169], v[142:143], v[126:127] op_sel:[1,1] op_sel_hi:[0,1]
	s_wait_loadcnt 0x2
	v_pk_mul_f32 v[172:173], v[146:147], v[130:131] op_sel:[1,1] op_sel_hi:[0,1]
	v_pk_mul_f32 v[156:157], v[156:157], v[164:165] op_sel_hi:[1,0]
	v_pk_fma_f32 v[170:171], v[138:139], v[122:123], v[162:163] op_sel_hi:[1,0,1]
	v_pk_fma_f32 v[122:123], v[138:139], v[122:123], v[162:163] neg_lo:[0,0,1] neg_hi:[0,0,1]
	v_mov_b32_e32 v164, v129
	v_pk_fma_f32 v[162:163], v[142:143], v[126:127], v[168:169] op_sel_hi:[1,0,1]
	v_pk_fma_f32 v[138:139], v[140:141], v[124:125], v[156:157] op_sel_hi:[1,0,1]
	v_mov_b32_e32 v123, v171
	v_pk_fma_f32 v[124:125], v[140:141], v[124:125], v[156:157] neg_lo:[0,0,1] neg_hi:[0,0,1]
	v_pk_mul_f32 v[158:159], v[158:159], v[164:165] op_sel_hi:[1,0]
	s_delay_alu instid0(VALU_DEP_4) | instskip(NEXT) | instid1(VALU_DEP_4)
	v_dual_mov_b32 v138, v133 :: v_dual_mov_b32 v125, v139
	v_pk_add_f32 v[122:123], v[122:123], 0 op_sel_hi:[1,0]
	v_pk_fma_f32 v[126:127], v[142:143], v[126:127], v[168:169] neg_lo:[0,0,1] neg_hi:[0,0,1]
	v_mov_b32_e32 v127, v163
	v_pk_fma_f32 v[140:141], v[144:145], v[128:129], v[158:159] op_sel_hi:[1,0,1]
	v_pk_mul_f32 v[138:139], v[160:161], v[138:139] op_sel_hi:[1,0]
	v_pk_add_f32 v[122:123], v[122:123], v[124:125]
	v_pk_fma_f32 v[124:125], v[146:147], v[130:131], v[172:173] op_sel_hi:[1,0,1]
	v_pk_fma_f32 v[128:129], v[144:145], v[128:129], v[158:159] neg_lo:[0,0,1] neg_hi:[0,0,1]
	v_mov_b32_e32 v129, v141
	v_pk_fma_f32 v[130:131], v[146:147], v[130:131], v[172:173] neg_lo:[0,0,1] neg_hi:[0,0,1]
	v_pk_add_f32 v[122:123], v[122:123], v[126:127]
	v_mov_b32_e32 v131, v125
	v_pk_fma_f32 v[124:125], v[148:149], v[132:133], v[138:139] op_sel_hi:[1,0,1]
	s_wait_loadcnt 0x1
	v_pk_mul_f32 v[126:127], v[150:151], v[134:135] op_sel:[1,1] op_sel_hi:[0,1]
	v_mov_b32_e32 v124, v137
	v_pk_add_f32 v[122:123], v[122:123], v[128:129]
	v_pk_fma_f32 v[132:133], v[148:149], v[132:133], v[138:139] neg_lo:[0,0,1] neg_hi:[0,0,1]
	v_mov_b32_e32 v133, v125
	v_pk_fma_f32 v[128:129], v[150:151], v[134:135], v[126:127] op_sel_hi:[1,0,1]
	v_pk_mul_f32 v[124:125], v[166:167], v[124:125] op_sel_hi:[1,0]
	v_pk_add_f32 v[122:123], v[122:123], v[130:131]
	v_pk_fma_f32 v[126:127], v[150:151], v[134:135], v[126:127] neg_lo:[0,0,1] neg_hi:[0,0,1]
	s_delay_alu instid0(VALU_DEP_4) | instskip(NEXT) | instid1(VALU_DEP_4)
	v_mov_b32_e32 v127, v129
	v_pk_fma_f32 v[128:129], v[152:153], v[136:137], v[124:125] op_sel_hi:[1,0,1]
	s_delay_alu instid0(VALU_DEP_4) | instskip(SKIP_1) | instid1(VALU_DEP_3)
	v_pk_add_f32 v[122:123], v[122:123], v[132:133]
	v_pk_fma_f32 v[124:125], v[152:153], v[136:137], v[124:125] neg_lo:[0,0,1] neg_hi:[0,0,1]
	v_mov_b32_e32 v125, v129
	s_delay_alu instid0(VALU_DEP_3) | instskip(NEXT) | instid1(VALU_DEP_1)
	v_pk_add_f32 v[122:123], v[122:123], v[126:127]
	v_pk_add_f32 v[122:123], v[122:123], v[124:125]
	s_wait_loadcnt 0x0
	s_delay_alu instid0(VALU_DEP_1)
	v_pk_add_f32 v[122:123], v[154:155], v[122:123] neg_lo:[0,1] neg_hi:[0,1]
	scratch_store_b64 off, v[122:123], off offset:408
	s_wait_xcnt 0x0
	v_cmpx_lt_u32_e32 50, v0
	s_cbranch_execz .LBB123_273
; %bb.272:
	scratch_load_b64 v[122:123], off, off offset:400
	v_mov_b64_e32 v[124:125], 0
	scratch_store_b64 off, v[124:125], off offset:400
	s_wait_loadcnt 0x0
	ds_store_b64 v1, v[122:123]
.LBB123_273:
	s_wait_xcnt 0x0
	s_or_b32 exec_lo, exec_lo, s0
	s_wait_storecnt_dscnt 0x0
	s_barrier_signal -1
	s_barrier_wait -1
	s_clause 0x5
	scratch_load_b128 v[122:125], off, off offset:408
	scratch_load_b128 v[126:129], off, off offset:424
	;; [unrolled: 1-line block ×4, first 2 shown]
	scratch_load_b64 v[154:155], off, off offset:472
	scratch_load_b64 v[156:157], off, off offset:400
	v_mov_b32_e32 v7, 0
	ds_load_2addr_b64 v[138:141], v7 offset0:111 offset1:112
	ds_load_2addr_b64 v[142:145], v7 offset0:113 offset1:114
	;; [unrolled: 1-line block ×4, first 2 shown]
	ds_load_b64 v[158:159], v7 offset:952
	s_mov_b32 s0, exec_lo
	s_wait_dscnt 0x4
	v_dual_mov_b32 v160, v141 :: v_dual_mov_b32 v161, v140
	s_wait_dscnt 0x1
	v_dual_mov_b32 v162, v145 :: v_dual_mov_b32 v167, v152
	v_dual_mov_b32 v163, v144 :: v_dual_mov_b32 v164, v149
	;; [unrolled: 1-line block ×3, first 2 shown]
	s_wait_loadcnt 0x5
	v_dual_mov_b32 v168, v125 :: v_dual_mul_f32 v169, v138, v123
	v_mul_f32_e32 v9, v139, v123
	s_wait_loadcnt 0x4
	v_pk_mul_f32 v[170:171], v[142:143], v[126:127] op_sel:[1,1] op_sel_hi:[0,1]
	v_mov_b32_e32 v172, v129
	s_wait_loadcnt 0x3
	v_pk_mul_f32 v[174:175], v[146:147], v[130:131] op_sel:[1,1] op_sel_hi:[0,1]
	v_pk_mul_f32 v[160:161], v[160:161], v[168:169] op_sel_hi:[1,0]
	v_fmac_f32_e32 v169, v139, v122
	v_dual_fma_f32 v168, v138, v122, -v9 :: v_dual_mov_b32 v122, v133
	v_pk_fma_f32 v[176:177], v[142:143], v[126:127], v[170:171] op_sel_hi:[1,0,1]
	s_delay_alu instid0(VALU_DEP_4)
	v_pk_fma_f32 v[138:139], v[140:141], v[124:125], v[160:161] op_sel_hi:[1,0,1]
	v_pk_fma_f32 v[124:125], v[140:141], v[124:125], v[160:161] neg_lo:[0,0,1] neg_hi:[0,0,1]
	v_pk_mul_f32 v[162:163], v[162:163], v[172:173] op_sel_hi:[1,0]
	v_pk_add_f32 v[168:169], v[168:169], 0 op_sel_hi:[1,0]
	v_pk_fma_f32 v[126:127], v[142:143], v[126:127], v[170:171] neg_lo:[0,0,1] neg_hi:[0,0,1]
	v_dual_mov_b32 v125, v139 :: v_dual_mov_b32 v127, v177
	s_delay_alu instid0(VALU_DEP_4) | instskip(SKIP_2) | instid1(VALU_DEP_4)
	v_pk_fma_f32 v[140:141], v[144:145], v[128:129], v[162:163] op_sel_hi:[1,0,1]
	v_pk_fma_f32 v[128:129], v[144:145], v[128:129], v[162:163] neg_lo:[0,0,1] neg_hi:[0,0,1]
	v_pk_fma_f32 v[142:143], v[146:147], v[130:131], v[174:175] op_sel_hi:[1,0,1]
	v_pk_add_f32 v[124:125], v[168:169], v[124:125]
	v_pk_mul_f32 v[122:123], v[164:165], v[122:123] op_sel_hi:[1,0]
	v_mov_b32_e32 v129, v141
	v_pk_fma_f32 v[130:131], v[146:147], v[130:131], v[174:175] neg_lo:[0,0,1] neg_hi:[0,0,1]
	s_wait_loadcnt 0x2
	v_pk_mul_f32 v[138:139], v[150:151], v[134:135] op_sel:[1,1] op_sel_hi:[0,1]
	v_pk_add_f32 v[124:125], v[124:125], v[126:127]
	v_mov_b32_e32 v126, v137
	v_pk_fma_f32 v[140:141], v[148:149], v[132:133], v[122:123] op_sel_hi:[1,0,1]
	v_mov_b32_e32 v131, v143
	v_pk_fma_f32 v[122:123], v[148:149], v[132:133], v[122:123] neg_lo:[0,0,1] neg_hi:[0,0,1]
	v_pk_add_f32 v[124:125], v[124:125], v[128:129]
	v_pk_fma_f32 v[128:129], v[150:151], v[134:135], v[138:139] op_sel_hi:[1,0,1]
	v_pk_mul_f32 v[126:127], v[166:167], v[126:127] op_sel_hi:[1,0]
	v_mov_b32_e32 v123, v141
	s_delay_alu instid0(VALU_DEP_4)
	v_pk_add_f32 v[124:125], v[124:125], v[130:131]
	v_pk_fma_f32 v[130:131], v[150:151], v[134:135], v[138:139] neg_lo:[0,0,1] neg_hi:[0,0,1]
	v_mov_b32_e32 v131, v129
	v_pk_fma_f32 v[128:129], v[152:153], v[136:137], v[126:127] op_sel_hi:[1,0,1]
	v_pk_fma_f32 v[126:127], v[152:153], v[136:137], v[126:127] neg_lo:[0,0,1] neg_hi:[0,0,1]
	v_pk_add_f32 v[122:123], v[124:125], v[122:123]
	s_wait_loadcnt_dscnt 0x100
	v_pk_mul_f32 v[124:125], v[158:159], v[154:155] op_sel:[1,1] op_sel_hi:[0,1]
	v_mov_b32_e32 v127, v129
	s_delay_alu instid0(VALU_DEP_3) | instskip(NEXT) | instid1(VALU_DEP_3)
	v_pk_add_f32 v[122:123], v[122:123], v[130:131]
	v_pk_fma_f32 v[128:129], v[158:159], v[154:155], v[124:125] op_sel_hi:[1,0,1]
	v_pk_fma_f32 v[124:125], v[158:159], v[154:155], v[124:125] neg_lo:[0,0,1] neg_hi:[0,0,1]
	s_delay_alu instid0(VALU_DEP_3) | instskip(NEXT) | instid1(VALU_DEP_3)
	v_pk_add_f32 v[122:123], v[122:123], v[126:127]
	v_mov_b32_e32 v125, v129
	s_delay_alu instid0(VALU_DEP_1) | instskip(SKIP_1) | instid1(VALU_DEP_1)
	v_pk_add_f32 v[122:123], v[122:123], v[124:125]
	s_wait_loadcnt 0x0
	v_pk_add_f32 v[122:123], v[156:157], v[122:123] neg_lo:[0,1] neg_hi:[0,1]
	scratch_store_b64 off, v[122:123], off offset:400
	s_wait_xcnt 0x0
	v_cmpx_lt_u32_e32 49, v0
	s_cbranch_execz .LBB123_275
; %bb.274:
	scratch_load_b64 v[122:123], off, off offset:392
	v_mov_b64_e32 v[124:125], 0
	scratch_store_b64 off, v[124:125], off offset:392
	s_wait_loadcnt 0x0
	ds_store_b64 v1, v[122:123]
.LBB123_275:
	s_wait_xcnt 0x0
	s_or_b32 exec_lo, exec_lo, s0
	s_wait_storecnt_dscnt 0x0
	s_barrier_signal -1
	s_barrier_wait -1
	s_clause 0x5
	scratch_load_b128 v[122:125], off, off offset:400
	scratch_load_b128 v[126:129], off, off offset:416
	;; [unrolled: 1-line block ×5, first 2 shown]
	scratch_load_b64 v[162:163], off, off offset:392
	ds_load_b128 v[142:145], v7 offset:896
	ds_load_b128 v[146:149], v7 offset:912
	;; [unrolled: 1-line block ×5, first 2 shown]
	s_mov_b32 s0, exec_lo
	s_wait_dscnt 0x4
	v_dual_mov_b32 v164, v145 :: v_dual_mov_b32 v165, v144
	s_wait_dscnt 0x3
	v_dual_mov_b32 v166, v149 :: v_dual_mov_b32 v167, v148
	;; [unrolled: 2-line block ×4, first 2 shown]
	s_wait_loadcnt_dscnt 0x500
	v_dual_mul_f32 v173, v158, v123 :: v_dual_mul_f32 v175, v160, v125
	v_dual_mul_f32 v7, v159, v123 :: v_dual_mul_f32 v9, v161, v125
	s_wait_loadcnt 0x4
	v_pk_mul_f32 v[176:177], v[142:143], v[126:127] op_sel:[1,1] op_sel_hi:[0,1]
	s_wait_loadcnt 0x3
	v_dual_mov_b32 v178, v129 :: v_dual_mov_b32 v182, v133
	v_dual_fmac_f32 v173, v159, v122 :: v_dual_fma_f32 v172, v158, v122, -v7
	v_dual_fmac_f32 v175, v161, v124 :: v_dual_fma_f32 v174, v160, v124, -v9
	v_pk_fma_f32 v[122:123], v[142:143], v[126:127], v[176:177] op_sel_hi:[1,0,1]
	s_delay_alu instid0(VALU_DEP_4) | instskip(NEXT) | instid1(VALU_DEP_4)
	v_pk_mul_f32 v[124:125], v[164:165], v[178:179] op_sel_hi:[1,0]
	v_pk_add_f32 v[158:159], v[172:173], 0 op_sel_hi:[1,0]
	v_pk_fma_f32 v[126:127], v[142:143], v[126:127], v[176:177] neg_lo:[0,0,1] neg_hi:[0,0,1]
	v_pk_mul_f32 v[180:181], v[146:147], v[130:131] op_sel:[1,1] op_sel_hi:[0,1]
	v_mov_b32_e32 v127, v123
	v_pk_fma_f32 v[122:123], v[144:145], v[128:129], v[124:125] op_sel_hi:[1,0,1]
	v_pk_add_f32 v[142:143], v[158:159], v[174:175]
	v_pk_fma_f32 v[124:125], v[144:145], v[128:129], v[124:125] neg_lo:[0,0,1] neg_hi:[0,0,1]
	v_pk_fma_f32 v[158:159], v[146:147], v[130:131], v[180:181] op_sel_hi:[1,0,1]
	v_pk_mul_f32 v[164:165], v[166:167], v[182:183] op_sel_hi:[1,0]
	v_mov_b32_e32 v125, v123
	v_pk_add_f32 v[122:123], v[142:143], v[126:127]
	s_wait_loadcnt 0x2
	v_pk_mul_f32 v[160:161], v[150:151], v[134:135] op_sel:[1,1] op_sel_hi:[0,1]
	v_mov_b32_e32 v126, v137
	v_pk_fma_f32 v[128:129], v[146:147], v[130:131], v[180:181] neg_lo:[0,0,1] neg_hi:[0,0,1]
	v_mov_b32_e32 v129, v159
	v_pk_fma_f32 v[130:131], v[148:149], v[132:133], v[164:165] op_sel_hi:[1,0,1]
	v_pk_add_f32 v[122:123], v[122:123], v[124:125]
	v_pk_fma_f32 v[124:125], v[150:151], v[134:135], v[160:161] op_sel_hi:[1,0,1]
	v_pk_mul_f32 v[126:127], v[168:169], v[126:127] op_sel_hi:[1,0]
	v_pk_fma_f32 v[132:133], v[148:149], v[132:133], v[164:165] neg_lo:[0,0,1] neg_hi:[0,0,1]
	v_mov_b32_e32 v133, v131
	v_pk_add_f32 v[122:123], v[122:123], v[128:129]
	v_pk_fma_f32 v[130:131], v[150:151], v[134:135], v[160:161] neg_lo:[0,0,1] neg_hi:[0,0,1]
	v_mov_b32_e32 v131, v125
	v_pk_fma_f32 v[124:125], v[152:153], v[136:137], v[126:127] op_sel_hi:[1,0,1]
	s_wait_loadcnt 0x1
	v_pk_mul_f32 v[128:129], v[154:155], v[138:139] op_sel:[1,1] op_sel_hi:[0,1]
	v_pk_add_f32 v[122:123], v[122:123], v[132:133]
	v_mov_b32_e32 v124, v141
	v_pk_fma_f32 v[126:127], v[152:153], v[136:137], v[126:127] neg_lo:[0,0,1] neg_hi:[0,0,1]
	v_mov_b32_e32 v127, v125
	v_pk_fma_f32 v[132:133], v[154:155], v[138:139], v[128:129] op_sel_hi:[1,0,1]
	v_pk_add_f32 v[122:123], v[122:123], v[130:131]
	v_pk_mul_f32 v[124:125], v[170:171], v[124:125] op_sel_hi:[1,0]
	v_pk_fma_f32 v[128:129], v[154:155], v[138:139], v[128:129] neg_lo:[0,0,1] neg_hi:[0,0,1]
	s_delay_alu instid0(VALU_DEP_3) | instskip(NEXT) | instid1(VALU_DEP_3)
	v_pk_add_f32 v[122:123], v[122:123], v[126:127]
	v_pk_fma_f32 v[126:127], v[156:157], v[140:141], v[124:125] op_sel_hi:[1,0,1]
	v_mov_b32_e32 v129, v133
	v_pk_fma_f32 v[124:125], v[156:157], v[140:141], v[124:125] neg_lo:[0,0,1] neg_hi:[0,0,1]
	s_delay_alu instid0(VALU_DEP_3) | instskip(NEXT) | instid1(VALU_DEP_3)
	v_mov_b32_e32 v125, v127
	v_pk_add_f32 v[122:123], v[122:123], v[128:129]
	s_delay_alu instid0(VALU_DEP_1) | instskip(SKIP_1) | instid1(VALU_DEP_1)
	v_pk_add_f32 v[122:123], v[122:123], v[124:125]
	s_wait_loadcnt 0x0
	v_pk_add_f32 v[122:123], v[162:163], v[122:123] neg_lo:[0,1] neg_hi:[0,1]
	scratch_store_b64 off, v[122:123], off offset:392
	s_wait_xcnt 0x0
	v_cmpx_lt_u32_e32 48, v0
	s_cbranch_execz .LBB123_277
; %bb.276:
	scratch_load_b64 v[122:123], off, off offset:384
	v_mov_b64_e32 v[124:125], 0
	scratch_store_b64 off, v[124:125], off offset:384
	s_wait_loadcnt 0x0
	ds_store_b64 v1, v[122:123]
.LBB123_277:
	s_wait_xcnt 0x0
	s_or_b32 exec_lo, exec_lo, s0
	s_wait_storecnt_dscnt 0x0
	s_barrier_signal -1
	s_barrier_wait -1
	s_clause 0x6
	scratch_load_b128 v[122:125], off, off offset:392
	scratch_load_b128 v[126:129], off, off offset:408
	;; [unrolled: 1-line block ×5, first 2 shown]
	scratch_load_b64 v[162:163], off, off offset:472
	scratch_load_b64 v[164:165], off, off offset:384
	v_mov_b32_e32 v7, 0
	ds_load_2addr_b64 v[142:145], v7 offset0:111 offset1:112
	ds_load_2addr_b64 v[146:149], v7 offset0:113 offset1:114
	;; [unrolled: 1-line block ×5, first 2 shown]
	ds_load_b64 v[166:167], v7 offset:952
	s_mov_b32 s0, exec_lo
	s_wait_dscnt 0x5
	v_dual_mov_b32 v168, v145 :: v_dual_mov_b32 v169, v144
	s_wait_dscnt 0x2
	v_dual_mov_b32 v170, v149 :: v_dual_mov_b32 v175, v156
	v_dual_mov_b32 v171, v148 :: v_dual_mov_b32 v172, v153
	;; [unrolled: 1-line block ×3, first 2 shown]
	s_wait_loadcnt_dscnt 0x601
	v_dual_mul_f32 v9, v158, v123 :: v_dual_mul_f32 v11, v159, v123
	v_dual_mul_f32 v13, v161, v125 :: v_dual_mul_f32 v177, v160, v125
	s_wait_loadcnt 0x5
	v_dual_mul_f32 v179, v142, v127 :: v_dual_mul_f32 v15, v143, v127
	s_wait_loadcnt 0x4
	v_dual_mov_b32 v178, v129 :: v_dual_mov_b32 v182, v133
	v_dual_fmac_f32 v9, v159, v122 :: v_dual_fma_f32 v11, v158, v122, -v11
	v_fmac_f32_e32 v177, v161, v124
	v_pk_mul_f32 v[180:181], v[146:147], v[130:131] op_sel:[1,1] op_sel_hi:[0,1]
	s_delay_alu instid0(VALU_DEP_3)
	v_dual_fma_f32 v176, v160, v124, -v13 :: v_dual_add_f32 v125, 0, v9
	v_pk_mul_f32 v[122:123], v[168:169], v[178:179] op_sel_hi:[1,0]
	s_wait_loadcnt 0x3
	v_dual_add_f32 v124, 0, v11 :: v_dual_mov_b32 v158, v137
	v_fmac_f32_e32 v179, v143, v126
	v_fma_f32 v178, v142, v126, -v15
	v_pk_fma_f32 v[126:127], v[144:145], v[128:129], v[122:123] op_sel_hi:[1,0,1]
	s_delay_alu instid0(VALU_DEP_4) | instskip(SKIP_4) | instid1(VALU_DEP_4)
	v_pk_add_f32 v[124:125], v[124:125], v[176:177]
	v_pk_fma_f32 v[142:143], v[146:147], v[130:131], v[180:181] op_sel_hi:[1,0,1]
	v_pk_fma_f32 v[122:123], v[144:145], v[128:129], v[122:123] neg_lo:[0,0,1] neg_hi:[0,0,1]
	v_pk_fma_f32 v[128:129], v[146:147], v[130:131], v[180:181] neg_lo:[0,0,1] neg_hi:[0,0,1]
	v_pk_mul_f32 v[160:161], v[170:171], v[182:183] op_sel_hi:[1,0]
	v_dual_mov_b32 v123, v127 :: v_dual_mov_b32 v129, v143
	v_pk_add_f32 v[124:125], v[124:125], v[178:179]
	v_pk_mul_f32 v[184:185], v[150:151], v[134:135] op_sel:[1,1] op_sel_hi:[0,1]
	s_delay_alu instid0(VALU_DEP_4)
	v_pk_fma_f32 v[130:131], v[148:149], v[132:133], v[160:161] op_sel_hi:[1,0,1]
	v_pk_fma_f32 v[132:133], v[148:149], v[132:133], v[160:161] neg_lo:[0,0,1] neg_hi:[0,0,1]
	v_pk_mul_f32 v[142:143], v[172:173], v[158:159] op_sel_hi:[1,0]
	v_pk_add_f32 v[122:123], v[124:125], v[122:123]
	v_pk_fma_f32 v[124:125], v[150:151], v[134:135], v[184:185] op_sel_hi:[1,0,1]
	s_wait_loadcnt 0x2
	v_dual_mov_b32 v133, v131 :: v_dual_mov_b32 v124, v141
	v_pk_mul_f32 v[126:127], v[154:155], v[138:139] op_sel:[1,1] op_sel_hi:[0,1]
	v_pk_add_f32 v[122:123], v[122:123], v[128:129]
	v_pk_fma_f32 v[128:129], v[150:151], v[134:135], v[184:185] neg_lo:[0,0,1] neg_hi:[0,0,1]
	v_pk_fma_f32 v[130:131], v[152:153], v[136:137], v[142:143] op_sel_hi:[1,0,1]
	v_mov_b32_e32 v129, v125
	v_pk_fma_f32 v[134:135], v[152:153], v[136:137], v[142:143] neg_lo:[0,0,1] neg_hi:[0,0,1]
	v_pk_add_f32 v[122:123], v[122:123], v[132:133]
	v_pk_fma_f32 v[132:133], v[154:155], v[138:139], v[126:127] op_sel_hi:[1,0,1]
	v_pk_mul_f32 v[124:125], v[174:175], v[124:125] op_sel_hi:[1,0]
	v_mov_b32_e32 v135, v131
	v_pk_fma_f32 v[126:127], v[154:155], v[138:139], v[126:127] neg_lo:[0,0,1] neg_hi:[0,0,1]
	v_pk_add_f32 v[122:123], v[122:123], v[128:129]
	s_wait_loadcnt_dscnt 0x100
	v_pk_mul_f32 v[130:131], v[166:167], v[162:163] op_sel:[1,1] op_sel_hi:[0,1]
	v_pk_fma_f32 v[128:129], v[156:157], v[140:141], v[124:125] op_sel_hi:[1,0,1]
	v_mov_b32_e32 v127, v133
	v_pk_fma_f32 v[124:125], v[156:157], v[140:141], v[124:125] neg_lo:[0,0,1] neg_hi:[0,0,1]
	v_pk_add_f32 v[122:123], v[122:123], v[134:135]
	s_delay_alu instid0(VALU_DEP_4) | instskip(SKIP_1) | instid1(VALU_DEP_3)
	v_mov_b32_e32 v125, v129
	v_pk_fma_f32 v[128:129], v[166:167], v[162:163], v[130:131] neg_lo:[0,0,1] neg_hi:[0,0,1]
	v_pk_add_f32 v[122:123], v[122:123], v[126:127]
	v_pk_fma_f32 v[126:127], v[166:167], v[162:163], v[130:131] op_sel_hi:[1,0,1]
	s_delay_alu instid0(VALU_DEP_2) | instskip(NEXT) | instid1(VALU_DEP_2)
	v_pk_add_f32 v[122:123], v[122:123], v[124:125]
	v_mov_b32_e32 v129, v127
	s_delay_alu instid0(VALU_DEP_1) | instskip(SKIP_1) | instid1(VALU_DEP_1)
	v_pk_add_f32 v[122:123], v[122:123], v[128:129]
	s_wait_loadcnt 0x0
	v_pk_add_f32 v[122:123], v[164:165], v[122:123] neg_lo:[0,1] neg_hi:[0,1]
	scratch_store_b64 off, v[122:123], off offset:384
	s_wait_xcnt 0x0
	v_cmpx_lt_u32_e32 47, v0
	s_cbranch_execz .LBB123_279
; %bb.278:
	scratch_load_b64 v[122:123], off, off offset:376
	v_mov_b64_e32 v[124:125], 0
	scratch_store_b64 off, v[124:125], off offset:376
	s_wait_loadcnt 0x0
	ds_store_b64 v1, v[122:123]
.LBB123_279:
	s_wait_xcnt 0x0
	s_or_b32 exec_lo, exec_lo, s0
	s_wait_storecnt_dscnt 0x0
	s_barrier_signal -1
	s_barrier_wait -1
	s_clause 0x6
	scratch_load_b128 v[122:125], off, off offset:384
	scratch_load_b128 v[126:129], off, off offset:400
	;; [unrolled: 1-line block ×6, first 2 shown]
	scratch_load_b64 v[170:171], off, off offset:376
	ds_load_b128 v[146:149], v7 offset:896
	ds_load_b128 v[150:153], v7 offset:912
	;; [unrolled: 1-line block ×6, first 2 shown]
	s_mov_b32 s0, exec_lo
	s_wait_dscnt 0x5
	v_dual_mov_b32 v172, v149 :: v_dual_mov_b32 v173, v148
	s_wait_dscnt 0x4
	v_dual_mov_b32 v174, v153 :: v_dual_mov_b32 v175, v152
	;; [unrolled: 2-line block ×4, first 2 shown]
	s_wait_loadcnt_dscnt 0x601
	v_dual_mul_f32 v7, v162, v123 :: v_dual_mul_f32 v9, v164, v125
	v_dual_mul_f32 v11, v163, v123 :: v_dual_mul_f32 v13, v165, v125
	s_wait_loadcnt 0x4
	s_delay_alu instid0(VALU_DEP_2)
	v_dual_mov_b32 v186, v133 :: v_dual_fmac_f32 v7, v163, v122
	s_wait_dscnt 0x0
	v_dual_mul_f32 v181, v166, v127 :: v_dual_mul_f32 v183, v168, v129
	v_dual_fma_f32 v11, v162, v122, -v11 :: v_dual_fmac_f32 v9, v165, v124
	v_dual_mul_f32 v15, v167, v127 :: v_dual_mul_f32 v17, v169, v129
	v_dual_fma_f32 v13, v164, v124, -v13 :: v_dual_add_f32 v7, 0, v7
	s_wait_loadcnt 0x3
	s_delay_alu instid0(VALU_DEP_3) | instskip(SKIP_3) | instid1(VALU_DEP_4)
	v_dual_add_f32 v11, 0, v11 :: v_dual_mov_b32 v124, v137
	v_pk_mul_f32 v[184:185], v[146:147], v[130:131] op_sel:[1,1] op_sel_hi:[0,1]
	v_dual_fmac_f32 v181, v167, v126 :: v_dual_fma_f32 v180, v166, v126, -v15
	v_dual_add_f32 v127, v7, v9 :: v_dual_fmac_f32 v183, v169, v128
	v_dual_add_f32 v126, v11, v13 :: v_dual_fma_f32 v182, v168, v128, -v17
	s_delay_alu instid0(VALU_DEP_4) | instskip(SKIP_2) | instid1(VALU_DEP_4)
	v_pk_fma_f32 v[128:129], v[146:147], v[130:131], v[184:185] op_sel_hi:[1,0,1]
	v_pk_mul_f32 v[162:163], v[172:173], v[186:187] op_sel_hi:[1,0]
	v_pk_fma_f32 v[130:131], v[146:147], v[130:131], v[184:185] neg_lo:[0,0,1] neg_hi:[0,0,1]
	v_pk_add_f32 v[126:127], v[126:127], v[180:181]
	v_pk_mul_f32 v[122:123], v[150:151], v[134:135] op_sel:[1,1] op_sel_hi:[0,1]
	v_mov_b32_e32 v131, v129
	v_pk_fma_f32 v[128:129], v[148:149], v[132:133], v[162:163] op_sel_hi:[1,0,1]
	v_pk_fma_f32 v[132:133], v[148:149], v[132:133], v[162:163] neg_lo:[0,0,1] neg_hi:[0,0,1]
	v_pk_add_f32 v[126:127], v[126:127], v[182:183]
	v_pk_fma_f32 v[146:147], v[150:151], v[134:135], v[122:123] op_sel_hi:[1,0,1]
	v_pk_mul_f32 v[124:125], v[174:175], v[124:125] op_sel_hi:[1,0]
	v_mov_b32_e32 v133, v129
	v_pk_fma_f32 v[122:123], v[150:151], v[134:135], v[122:123] neg_lo:[0,0,1] neg_hi:[0,0,1]
	v_pk_add_f32 v[126:127], v[126:127], v[130:131]
	s_wait_loadcnt 0x2
	v_pk_mul_f32 v[164:165], v[154:155], v[138:139] op_sel:[1,1] op_sel_hi:[0,1]
	v_dual_mov_b32 v128, v141 :: v_dual_mov_b32 v123, v147
	v_pk_fma_f32 v[130:131], v[152:153], v[136:137], v[124:125] op_sel_hi:[1,0,1]
	v_pk_add_f32 v[126:127], v[126:127], v[132:133]
	v_pk_fma_f32 v[124:125], v[152:153], v[136:137], v[124:125] neg_lo:[0,0,1] neg_hi:[0,0,1]
	v_pk_fma_f32 v[132:133], v[154:155], v[138:139], v[164:165] op_sel_hi:[1,0,1]
	v_pk_mul_f32 v[128:129], v[176:177], v[128:129] op_sel_hi:[1,0]
	v_mov_b32_e32 v125, v131
	v_pk_add_f32 v[122:123], v[126:127], v[122:123]
	v_pk_fma_f32 v[130:131], v[154:155], v[138:139], v[164:165] neg_lo:[0,0,1] neg_hi:[0,0,1]
	s_wait_loadcnt 0x1
	v_pk_mul_f32 v[126:127], v[158:159], v[142:143] op_sel:[1,1] op_sel_hi:[0,1]
	v_mov_b32_e32 v131, v133
	v_pk_fma_f32 v[132:133], v[156:157], v[140:141], v[128:129] op_sel_hi:[1,0,1]
	v_pk_add_f32 v[122:123], v[122:123], v[124:125]
	v_mov_b32_e32 v124, v145
	v_pk_fma_f32 v[128:129], v[156:157], v[140:141], v[128:129] neg_lo:[0,0,1] neg_hi:[0,0,1]
	v_pk_fma_f32 v[134:135], v[158:159], v[142:143], v[126:127] op_sel_hi:[1,0,1]
	v_mov_b32_e32 v129, v133
	v_pk_add_f32 v[122:123], v[122:123], v[130:131]
	v_pk_mul_f32 v[124:125], v[178:179], v[124:125] op_sel_hi:[1,0]
	v_pk_fma_f32 v[126:127], v[158:159], v[142:143], v[126:127] neg_lo:[0,0,1] neg_hi:[0,0,1]
	s_delay_alu instid0(VALU_DEP_3) | instskip(NEXT) | instid1(VALU_DEP_3)
	v_pk_add_f32 v[122:123], v[122:123], v[128:129]
	v_pk_fma_f32 v[128:129], v[160:161], v[144:145], v[124:125] op_sel_hi:[1,0,1]
	v_mov_b32_e32 v127, v135
	v_pk_fma_f32 v[124:125], v[160:161], v[144:145], v[124:125] neg_lo:[0,0,1] neg_hi:[0,0,1]
	s_delay_alu instid0(VALU_DEP_3) | instskip(NEXT) | instid1(VALU_DEP_3)
	v_mov_b32_e32 v125, v129
	v_pk_add_f32 v[122:123], v[122:123], v[126:127]
	s_delay_alu instid0(VALU_DEP_1) | instskip(SKIP_1) | instid1(VALU_DEP_1)
	v_pk_add_f32 v[122:123], v[122:123], v[124:125]
	s_wait_loadcnt 0x0
	v_pk_add_f32 v[122:123], v[170:171], v[122:123] neg_lo:[0,1] neg_hi:[0,1]
	scratch_store_b64 off, v[122:123], off offset:376
	s_wait_xcnt 0x0
	v_cmpx_lt_u32_e32 46, v0
	s_cbranch_execz .LBB123_281
; %bb.280:
	scratch_load_b64 v[122:123], off, off offset:368
	v_mov_b64_e32 v[124:125], 0
	scratch_store_b64 off, v[124:125], off offset:368
	s_wait_loadcnt 0x0
	ds_store_b64 v1, v[122:123]
.LBB123_281:
	s_wait_xcnt 0x0
	s_or_b32 exec_lo, exec_lo, s0
	s_wait_storecnt_dscnt 0x0
	s_barrier_signal -1
	s_barrier_wait -1
	s_clause 0x7
	scratch_load_b128 v[122:125], off, off offset:376
	scratch_load_b128 v[126:129], off, off offset:392
	;; [unrolled: 1-line block ×6, first 2 shown]
	scratch_load_b64 v[170:171], off, off offset:472
	scratch_load_b64 v[172:173], off, off offset:368
	v_mov_b32_e32 v7, 0
	ds_load_2addr_b64 v[146:149], v7 offset0:111 offset1:112
	ds_load_2addr_b64 v[150:153], v7 offset0:113 offset1:114
	;; [unrolled: 1-line block ×6, first 2 shown]
	ds_load_b64 v[174:175], v7 offset:952
	s_mov_b32 s0, exec_lo
	s_wait_dscnt 0x6
	v_dual_mov_b32 v176, v149 :: v_dual_mov_b32 v177, v148
	s_wait_dscnt 0x3
	v_dual_mov_b32 v178, v153 :: v_dual_mov_b32 v183, v160
	v_dual_mov_b32 v179, v152 :: v_dual_mov_b32 v180, v157
	;; [unrolled: 1-line block ×3, first 2 shown]
	s_wait_loadcnt_dscnt 0x702
	v_dual_mul_f32 v9, v162, v123 :: v_dual_mul_f32 v15, v163, v123
	v_dual_mul_f32 v17, v165, v125 :: v_dual_mul_f32 v11, v164, v125
	s_wait_loadcnt_dscnt 0x601
	s_delay_alu instid0(VALU_DEP_2) | instskip(NEXT) | instid1(VALU_DEP_3)
	v_dual_mul_f32 v13, v166, v127 :: v_dual_fmac_f32 v9, v163, v122
	v_dual_fma_f32 v15, v162, v122, -v15 :: v_dual_mul_f32 v19, v167, v127
	v_mul_f32_e32 v21, v169, v129
	s_wait_loadcnt 0x4
	v_dual_mov_b32 v122, v137 :: v_dual_fma_f32 v17, v164, v124, -v17
	v_dual_fmac_f32 v11, v165, v124 :: v_dual_add_f32 v9, 0, v9
	v_dual_add_f32 v15, 0, v15 :: v_dual_fmac_f32 v13, v167, v126
	v_dual_mul_f32 v185, v168, v129 :: v_dual_mul_f32 v187, v146, v131
	v_dual_mul_f32 v23, v147, v131 :: v_dual_mov_b32 v186, v133
	s_delay_alu instid0(VALU_DEP_4) | instskip(NEXT) | instid1(VALU_DEP_3)
	v_dual_fma_f32 v19, v166, v126, -v19 :: v_dual_add_f32 v9, v9, v11
	v_dual_add_f32 v11, v15, v17 :: v_dual_fmac_f32 v185, v169, v128
	v_pk_mul_f32 v[188:189], v[150:151], v[134:135] op_sel:[1,1] op_sel_hi:[0,1]
	s_delay_alu instid0(VALU_DEP_3)
	v_dual_fma_f32 v184, v168, v128, -v21 :: v_dual_add_f32 v129, v9, v13
	v_pk_mul_f32 v[126:127], v[176:177], v[186:187] op_sel_hi:[1,0]
	s_wait_loadcnt 0x3
	v_dual_add_f32 v128, v11, v19 :: v_dual_mov_b32 v162, v141
	v_fmac_f32_e32 v187, v147, v130
	v_fma_f32 v186, v146, v130, -v23
	v_pk_fma_f32 v[130:131], v[148:149], v[132:133], v[126:127] op_sel_hi:[1,0,1]
	s_delay_alu instid0(VALU_DEP_4) | instskip(SKIP_4) | instid1(VALU_DEP_4)
	v_pk_add_f32 v[128:129], v[128:129], v[184:185]
	v_pk_fma_f32 v[146:147], v[150:151], v[134:135], v[188:189] op_sel_hi:[1,0,1]
	v_pk_fma_f32 v[126:127], v[148:149], v[132:133], v[126:127] neg_lo:[0,0,1] neg_hi:[0,0,1]
	v_pk_fma_f32 v[132:133], v[150:151], v[134:135], v[188:189] neg_lo:[0,0,1] neg_hi:[0,0,1]
	v_pk_mul_f32 v[122:123], v[178:179], v[122:123] op_sel_hi:[1,0]
	v_dual_mov_b32 v127, v131 :: v_dual_mov_b32 v133, v147
	v_pk_add_f32 v[128:129], v[128:129], v[186:187]
	v_pk_mul_f32 v[124:125], v[154:155], v[138:139] op_sel:[1,1] op_sel_hi:[0,1]
	s_delay_alu instid0(VALU_DEP_4)
	v_pk_fma_f32 v[134:135], v[152:153], v[136:137], v[122:123] op_sel_hi:[1,0,1]
	v_pk_fma_f32 v[122:123], v[152:153], v[136:137], v[122:123] neg_lo:[0,0,1] neg_hi:[0,0,1]
	v_pk_mul_f32 v[146:147], v[180:181], v[162:163] op_sel_hi:[1,0]
	v_pk_add_f32 v[126:127], v[128:129], v[126:127]
	v_pk_fma_f32 v[128:129], v[154:155], v[138:139], v[124:125] op_sel_hi:[1,0,1]
	s_wait_loadcnt 0x2
	v_dual_mov_b32 v123, v135 :: v_dual_mov_b32 v128, v145
	v_pk_fma_f32 v[124:125], v[154:155], v[138:139], v[124:125] neg_lo:[0,0,1] neg_hi:[0,0,1]
	v_pk_add_f32 v[126:127], v[126:127], v[132:133]
	v_pk_mul_f32 v[130:131], v[158:159], v[142:143] op_sel:[1,1] op_sel_hi:[0,1]
	v_pk_fma_f32 v[132:133], v[156:157], v[140:141], v[146:147] op_sel_hi:[1,0,1]
	v_mov_b32_e32 v125, v129
	v_pk_fma_f32 v[134:135], v[156:157], v[140:141], v[146:147] neg_lo:[0,0,1] neg_hi:[0,0,1]
	v_pk_add_f32 v[122:123], v[126:127], v[122:123]
	v_pk_fma_f32 v[126:127], v[158:159], v[142:143], v[130:131] op_sel_hi:[1,0,1]
	v_pk_mul_f32 v[128:129], v[182:183], v[128:129] op_sel_hi:[1,0]
	v_mov_b32_e32 v135, v133
	s_delay_alu instid0(VALU_DEP_4)
	v_pk_add_f32 v[122:123], v[122:123], v[124:125]
	v_pk_fma_f32 v[124:125], v[158:159], v[142:143], v[130:131] neg_lo:[0,0,1] neg_hi:[0,0,1]
	v_mov_b32_e32 v125, v127
	v_pk_fma_f32 v[126:127], v[160:161], v[144:145], v[128:129] op_sel_hi:[1,0,1]
	s_wait_loadcnt_dscnt 0x100
	v_pk_mul_f32 v[130:131], v[174:175], v[170:171] op_sel:[1,1] op_sel_hi:[0,1]
	v_pk_add_f32 v[122:123], v[122:123], v[134:135]
	v_pk_fma_f32 v[128:129], v[160:161], v[144:145], v[128:129] neg_lo:[0,0,1] neg_hi:[0,0,1]
	v_mov_b32_e32 v129, v127
	s_delay_alu instid0(VALU_DEP_4) | instskip(NEXT) | instid1(VALU_DEP_4)
	v_pk_fma_f32 v[126:127], v[174:175], v[170:171], v[130:131] neg_lo:[0,0,1] neg_hi:[0,0,1]
	v_pk_add_f32 v[122:123], v[122:123], v[124:125]
	v_pk_fma_f32 v[124:125], v[174:175], v[170:171], v[130:131] op_sel_hi:[1,0,1]
	s_delay_alu instid0(VALU_DEP_2) | instskip(NEXT) | instid1(VALU_DEP_2)
	v_pk_add_f32 v[122:123], v[122:123], v[128:129]
	v_mov_b32_e32 v127, v125
	s_delay_alu instid0(VALU_DEP_1) | instskip(SKIP_1) | instid1(VALU_DEP_1)
	v_pk_add_f32 v[122:123], v[122:123], v[126:127]
	s_wait_loadcnt 0x0
	v_pk_add_f32 v[122:123], v[172:173], v[122:123] neg_lo:[0,1] neg_hi:[0,1]
	scratch_store_b64 off, v[122:123], off offset:368
	s_wait_xcnt 0x0
	v_cmpx_lt_u32_e32 45, v0
	s_cbranch_execz .LBB123_283
; %bb.282:
	scratch_load_b64 v[122:123], off, off offset:360
	v_mov_b64_e32 v[124:125], 0
	scratch_store_b64 off, v[124:125], off offset:360
	s_wait_loadcnt 0x0
	ds_store_b64 v1, v[122:123]
.LBB123_283:
	s_wait_xcnt 0x0
	s_or_b32 exec_lo, exec_lo, s0
	s_wait_storecnt_dscnt 0x0
	s_barrier_signal -1
	s_barrier_wait -1
	s_clause 0x7
	scratch_load_b128 v[122:125], off, off offset:368
	scratch_load_b128 v[126:129], off, off offset:384
	;; [unrolled: 1-line block ×7, first 2 shown]
	scratch_load_b64 v[178:179], off, off offset:360
	ds_load_b128 v[150:153], v7 offset:896
	ds_load_b128 v[154:157], v7 offset:912
	;; [unrolled: 1-line block ×7, first 2 shown]
	s_mov_b32 s0, exec_lo
	s_wait_dscnt 0x6
	v_dual_mov_b32 v180, v153 :: v_dual_mov_b32 v181, v152
	s_wait_dscnt 0x5
	v_dual_mov_b32 v182, v157 :: v_dual_mov_b32 v183, v156
	;; [unrolled: 2-line block ×4, first 2 shown]
	s_wait_loadcnt_dscnt 0x702
	v_dual_mul_f32 v7, v166, v123 :: v_dual_mul_f32 v9, v168, v125
	v_dual_mul_f32 v15, v167, v123 :: v_dual_mul_f32 v17, v169, v125
	s_wait_loadcnt_dscnt 0x601
	v_dual_mul_f32 v11, v170, v127 :: v_dual_mul_f32 v13, v172, v129
	s_delay_alu instid0(VALU_DEP_3) | instskip(NEXT) | instid1(VALU_DEP_3)
	v_dual_fmac_f32 v7, v167, v122 :: v_dual_fmac_f32 v9, v169, v124
	v_dual_fma_f32 v15, v166, v122, -v15 :: v_dual_fma_f32 v17, v168, v124, -v17
	v_dual_mul_f32 v19, v171, v127 :: v_dual_mul_f32 v21, v173, v129
	s_wait_loadcnt 0x4
	s_delay_alu instid0(VALU_DEP_3) | instskip(NEXT) | instid1(VALU_DEP_3)
	v_dual_add_f32 v7, 0, v7 :: v_dual_mov_b32 v124, v137
	v_dual_add_f32 v15, 0, v15 :: v_dual_fmac_f32 v11, v171, v126
	s_delay_alu instid0(VALU_DEP_2) | instskip(SKIP_2) | instid1(VALU_DEP_3)
	v_dual_fma_f32 v19, v170, v126, -v19 :: v_dual_add_f32 v7, v7, v9
	s_wait_dscnt 0x0
	v_dual_mul_f32 v189, v174, v131 :: v_dual_mul_f32 v191, v176, v133
	v_dual_add_f32 v9, v15, v17 :: v_dual_fmac_f32 v13, v173, v128
	v_dual_mul_f32 v23, v175, v131 :: v_dual_mul_f32 v25, v177, v133
	v_dual_fma_f32 v15, v172, v128, -v21 :: v_dual_add_f32 v7, v7, v11
	s_delay_alu instid0(VALU_DEP_3) | instskip(SKIP_3) | instid1(VALU_DEP_3)
	v_dual_add_f32 v9, v9, v19 :: v_dual_fmac_f32 v189, v175, v130
	v_pk_mul_f32 v[122:123], v[150:151], v[134:135] op_sel:[1,1] op_sel_hi:[0,1]
	s_wait_loadcnt 0x3
	v_dual_mov_b32 v128, v141 :: v_dual_fma_f32 v188, v174, v130, -v23
	v_dual_add_f32 v131, v7, v13 :: v_dual_add_f32 v130, v9, v15
	v_dual_fmac_f32 v191, v177, v132 :: v_dual_fma_f32 v190, v176, v132, -v25
	v_pk_fma_f32 v[132:133], v[150:151], v[134:135], v[122:123] op_sel_hi:[1,0,1]
	v_pk_mul_f32 v[124:125], v[180:181], v[124:125] op_sel_hi:[1,0]
	s_delay_alu instid0(VALU_DEP_4)
	v_pk_add_f32 v[130:131], v[130:131], v[188:189]
	v_pk_fma_f32 v[122:123], v[150:151], v[134:135], v[122:123] neg_lo:[0,0,1] neg_hi:[0,0,1]
	v_pk_mul_f32 v[126:127], v[154:155], v[138:139] op_sel:[1,1] op_sel_hi:[0,1]
	v_mov_b32_e32 v123, v133
	v_pk_fma_f32 v[132:133], v[152:153], v[136:137], v[124:125] op_sel_hi:[1,0,1]
	v_pk_add_f32 v[130:131], v[130:131], v[190:191]
	v_pk_fma_f32 v[124:125], v[152:153], v[136:137], v[124:125] neg_lo:[0,0,1] neg_hi:[0,0,1]
	v_pk_fma_f32 v[134:135], v[154:155], v[138:139], v[126:127] op_sel_hi:[1,0,1]
	v_pk_mul_f32 v[128:129], v[182:183], v[128:129] op_sel_hi:[1,0]
	v_mov_b32_e32 v125, v133
	v_pk_add_f32 v[122:123], v[130:131], v[122:123]
	s_wait_loadcnt 0x2
	v_pk_mul_f32 v[166:167], v[158:159], v[142:143] op_sel:[1,1] op_sel_hi:[0,1]
	v_mov_b32_e32 v130, v145
	v_pk_fma_f32 v[126:127], v[154:155], v[138:139], v[126:127] neg_lo:[0,0,1] neg_hi:[0,0,1]
	v_mov_b32_e32 v127, v135
	v_pk_fma_f32 v[132:133], v[156:157], v[140:141], v[128:129] op_sel_hi:[1,0,1]
	v_pk_add_f32 v[122:123], v[122:123], v[124:125]
	v_pk_fma_f32 v[124:125], v[158:159], v[142:143], v[166:167] op_sel_hi:[1,0,1]
	v_pk_mul_f32 v[130:131], v[184:185], v[130:131] op_sel_hi:[1,0]
	v_pk_fma_f32 v[128:129], v[156:157], v[140:141], v[128:129] neg_lo:[0,0,1] neg_hi:[0,0,1]
	v_mov_b32_e32 v129, v133
	v_pk_add_f32 v[122:123], v[122:123], v[126:127]
	v_pk_fma_f32 v[132:133], v[158:159], v[142:143], v[166:167] neg_lo:[0,0,1] neg_hi:[0,0,1]
	v_mov_b32_e32 v133, v125
	v_pk_fma_f32 v[124:125], v[160:161], v[144:145], v[130:131] op_sel_hi:[1,0,1]
	s_wait_loadcnt 0x1
	v_pk_mul_f32 v[126:127], v[162:163], v[146:147] op_sel:[1,1] op_sel_hi:[0,1]
	v_pk_add_f32 v[122:123], v[122:123], v[128:129]
	v_mov_b32_e32 v124, v149
	v_pk_fma_f32 v[130:131], v[160:161], v[144:145], v[130:131] neg_lo:[0,0,1] neg_hi:[0,0,1]
	v_mov_b32_e32 v131, v125
	v_pk_fma_f32 v[128:129], v[162:163], v[146:147], v[126:127] op_sel_hi:[1,0,1]
	v_pk_add_f32 v[122:123], v[122:123], v[132:133]
	v_pk_mul_f32 v[124:125], v[186:187], v[124:125] op_sel_hi:[1,0]
	v_pk_fma_f32 v[126:127], v[162:163], v[146:147], v[126:127] neg_lo:[0,0,1] neg_hi:[0,0,1]
	s_delay_alu instid0(VALU_DEP_4) | instskip(NEXT) | instid1(VALU_DEP_4)
	v_mov_b32_e32 v127, v129
	v_pk_add_f32 v[122:123], v[122:123], v[130:131]
	s_delay_alu instid0(VALU_DEP_4) | instskip(SKIP_1) | instid1(VALU_DEP_2)
	v_pk_fma_f32 v[128:129], v[164:165], v[148:149], v[124:125] op_sel_hi:[1,0,1]
	v_pk_fma_f32 v[124:125], v[164:165], v[148:149], v[124:125] neg_lo:[0,0,1] neg_hi:[0,0,1]
	v_mov_b32_e32 v125, v129
	s_delay_alu instid0(VALU_DEP_4) | instskip(NEXT) | instid1(VALU_DEP_1)
	v_pk_add_f32 v[122:123], v[122:123], v[126:127]
	v_pk_add_f32 v[122:123], v[122:123], v[124:125]
	s_wait_loadcnt 0x0
	s_delay_alu instid0(VALU_DEP_1)
	v_pk_add_f32 v[122:123], v[178:179], v[122:123] neg_lo:[0,1] neg_hi:[0,1]
	scratch_store_b64 off, v[122:123], off offset:360
	s_wait_xcnt 0x0
	v_cmpx_lt_u32_e32 44, v0
	s_cbranch_execz .LBB123_285
; %bb.284:
	scratch_load_b64 v[122:123], off, off offset:352
	v_mov_b64_e32 v[124:125], 0
	scratch_store_b64 off, v[124:125], off offset:352
	s_wait_loadcnt 0x0
	ds_store_b64 v1, v[122:123]
.LBB123_285:
	s_wait_xcnt 0x0
	s_or_b32 exec_lo, exec_lo, s0
	s_wait_storecnt_dscnt 0x0
	s_barrier_signal -1
	s_barrier_wait -1
	s_clause 0x8
	scratch_load_b128 v[122:125], off, off offset:360
	scratch_load_b128 v[126:129], off, off offset:376
	;; [unrolled: 1-line block ×7, first 2 shown]
	scratch_load_b64 v[178:179], off, off offset:472
	scratch_load_b64 v[180:181], off, off offset:352
	v_mov_b32_e32 v7, 0
	ds_load_2addr_b64 v[150:153], v7 offset0:111 offset1:112
	ds_load_2addr_b64 v[154:157], v7 offset0:113 offset1:114
	;; [unrolled: 1-line block ×7, first 2 shown]
	ds_load_b64 v[182:183], v7 offset:952
	s_mov_b32 s0, exec_lo
	s_wait_dscnt 0x7
	v_dual_mov_b32 v184, v153 :: v_dual_mov_b32 v185, v152
	s_wait_dscnt 0x4
	v_dual_mov_b32 v186, v157 :: v_dual_mov_b32 v191, v164
	v_dual_mov_b32 v187, v156 :: v_dual_mov_b32 v188, v161
	;; [unrolled: 1-line block ×3, first 2 shown]
	s_wait_loadcnt_dscnt 0x803
	v_dual_mul_f32 v9, v166, v123 :: v_dual_mul_f32 v19, v167, v123
	v_dual_mul_f32 v21, v169, v125 :: v_dual_mul_f32 v11, v168, v125
	s_wait_loadcnt_dscnt 0x702
	v_mul_f32_e32 v13, v170, v127
	s_wait_loadcnt 0x5
	v_dual_mul_f32 v31, v151, v135 :: v_dual_fma_f32 v19, v166, v122, -v19
	v_dual_fmac_f32 v9, v167, v122 :: v_dual_mov_b32 v122, v137
	v_dual_mul_f32 v23, v171, v127 :: v_dual_mul_f32 v25, v173, v129
	v_dual_fmac_f32 v11, v169, v124 :: v_dual_fma_f32 v21, v168, v124, -v21
	s_delay_alu instid0(VALU_DEP_3) | instskip(SKIP_3) | instid1(VALU_DEP_3)
	v_dual_add_f32 v9, 0, v9 :: v_dual_add_f32 v19, 0, v19
	s_wait_dscnt 0x1
	v_dual_mul_f32 v15, v172, v129 :: v_dual_mul_f32 v17, v174, v131
	v_dual_fmac_f32 v13, v171, v126 :: v_dual_fma_f32 v23, v170, v126, -v23
	v_dual_add_f32 v9, v9, v11 :: v_dual_add_f32 v11, v19, v21
	v_dual_mul_f32 v27, v175, v131 :: v_dual_mul_f32 v29, v177, v133
	s_wait_loadcnt 0x4
	v_dual_mov_b32 v126, v141 :: v_dual_fma_f32 v19, v172, v128, -v25
	s_delay_alu instid0(VALU_DEP_3) | instskip(SKIP_2) | instid1(VALU_DEP_2)
	v_dual_fmac_f32 v15, v173, v128 :: v_dual_add_f32 v11, v11, v23
	v_dual_add_f32 v9, v9, v13 :: v_dual_fmac_f32 v17, v175, v130
	v_dual_mul_f32 v193, v176, v133 :: v_dual_mul_f32 v195, v150, v135
	v_dual_fma_f32 v13, v174, v130, -v27 :: v_dual_add_f32 v9, v9, v15
	s_delay_alu instid0(VALU_DEP_2) | instskip(SKIP_1) | instid1(VALU_DEP_3)
	v_dual_add_f32 v11, v11, v19 :: v_dual_fmac_f32 v193, v177, v132
	v_pk_mul_f32 v[124:125], v[154:155], v[138:139] op_sel:[1,1] op_sel_hi:[0,1]
	v_dual_fma_f32 v192, v176, v132, -v29 :: v_dual_add_f32 v131, v9, v17
	v_pk_mul_f32 v[122:123], v[184:185], v[122:123] op_sel_hi:[1,0]
	s_wait_loadcnt 0x3
	v_dual_add_f32 v130, v11, v13 :: v_dual_mov_b32 v132, v145
	v_fmac_f32_e32 v195, v151, v134
	v_fma_f32 v194, v150, v134, -v31
	v_pk_fma_f32 v[134:135], v[152:153], v[136:137], v[122:123] op_sel_hi:[1,0,1]
	s_delay_alu instid0(VALU_DEP_4) | instskip(SKIP_4) | instid1(VALU_DEP_4)
	v_pk_add_f32 v[130:131], v[130:131], v[192:193]
	v_pk_fma_f32 v[150:151], v[154:155], v[138:139], v[124:125] op_sel_hi:[1,0,1]
	v_pk_fma_f32 v[122:123], v[152:153], v[136:137], v[122:123] neg_lo:[0,0,1] neg_hi:[0,0,1]
	v_pk_fma_f32 v[124:125], v[154:155], v[138:139], v[124:125] neg_lo:[0,0,1] neg_hi:[0,0,1]
	v_pk_mul_f32 v[126:127], v[186:187], v[126:127] op_sel_hi:[1,0]
	v_dual_mov_b32 v123, v135 :: v_dual_mov_b32 v125, v151
	v_pk_add_f32 v[130:131], v[130:131], v[194:195]
	v_pk_mul_f32 v[128:129], v[158:159], v[142:143] op_sel:[1,1] op_sel_hi:[0,1]
	s_delay_alu instid0(VALU_DEP_4)
	v_pk_fma_f32 v[136:137], v[156:157], v[140:141], v[126:127] op_sel_hi:[1,0,1]
	v_pk_fma_f32 v[126:127], v[156:157], v[140:141], v[126:127] neg_lo:[0,0,1] neg_hi:[0,0,1]
	v_pk_mul_f32 v[132:133], v[188:189], v[132:133] op_sel_hi:[1,0]
	v_pk_add_f32 v[122:123], v[130:131], v[122:123]
	v_pk_fma_f32 v[130:131], v[158:159], v[142:143], v[128:129] op_sel_hi:[1,0,1]
	v_mov_b32_e32 v127, v137
	v_pk_fma_f32 v[128:129], v[158:159], v[142:143], v[128:129] neg_lo:[0,0,1] neg_hi:[0,0,1]
	s_wait_loadcnt 0x2
	v_pk_mul_f32 v[134:135], v[162:163], v[146:147] op_sel:[1,1] op_sel_hi:[0,1]
	v_pk_add_f32 v[122:123], v[122:123], v[124:125]
	v_dual_mov_b32 v124, v149 :: v_dual_mov_b32 v129, v131
	v_pk_fma_f32 v[130:131], v[160:161], v[144:145], v[132:133] op_sel_hi:[1,0,1]
	v_pk_fma_f32 v[132:133], v[160:161], v[144:145], v[132:133] neg_lo:[0,0,1] neg_hi:[0,0,1]
	s_delay_alu instid0(VALU_DEP_4)
	v_pk_add_f32 v[122:123], v[122:123], v[126:127]
	v_pk_fma_f32 v[126:127], v[162:163], v[146:147], v[134:135] op_sel_hi:[1,0,1]
	v_pk_mul_f32 v[124:125], v[190:191], v[124:125] op_sel_hi:[1,0]
	v_mov_b32_e32 v133, v131
	s_wait_loadcnt_dscnt 0x100
	v_pk_mul_f32 v[130:131], v[182:183], v[178:179] op_sel:[1,1] op_sel_hi:[0,1]
	v_pk_add_f32 v[122:123], v[122:123], v[128:129]
	v_pk_fma_f32 v[128:129], v[162:163], v[146:147], v[134:135] neg_lo:[0,0,1] neg_hi:[0,0,1]
	v_mov_b32_e32 v129, v127
	v_pk_fma_f32 v[126:127], v[164:165], v[148:149], v[124:125] op_sel_hi:[1,0,1]
	v_pk_fma_f32 v[124:125], v[164:165], v[148:149], v[124:125] neg_lo:[0,0,1] neg_hi:[0,0,1]
	v_pk_add_f32 v[122:123], v[122:123], v[132:133]
	s_delay_alu instid0(VALU_DEP_3) | instskip(SKIP_1) | instid1(VALU_DEP_3)
	v_mov_b32_e32 v125, v127
	v_pk_fma_f32 v[126:127], v[182:183], v[178:179], v[130:131] op_sel_hi:[1,0,1]
	v_pk_add_f32 v[122:123], v[122:123], v[128:129]
	v_pk_fma_f32 v[128:129], v[182:183], v[178:179], v[130:131] neg_lo:[0,0,1] neg_hi:[0,0,1]
	s_delay_alu instid0(VALU_DEP_3) | instskip(NEXT) | instid1(VALU_DEP_3)
	v_mov_b32_e32 v129, v127
	v_pk_add_f32 v[122:123], v[122:123], v[124:125]
	s_delay_alu instid0(VALU_DEP_1) | instskip(SKIP_1) | instid1(VALU_DEP_1)
	v_pk_add_f32 v[122:123], v[122:123], v[128:129]
	s_wait_loadcnt 0x0
	v_pk_add_f32 v[122:123], v[180:181], v[122:123] neg_lo:[0,1] neg_hi:[0,1]
	scratch_store_b64 off, v[122:123], off offset:352
	s_wait_xcnt 0x0
	v_cmpx_lt_u32_e32 43, v0
	s_cbranch_execz .LBB123_287
; %bb.286:
	scratch_load_b64 v[122:123], off, off offset:344
	v_mov_b64_e32 v[124:125], 0
	scratch_store_b64 off, v[124:125], off offset:344
	s_wait_loadcnt 0x0
	ds_store_b64 v1, v[122:123]
.LBB123_287:
	s_wait_xcnt 0x0
	s_or_b32 exec_lo, exec_lo, s0
	s_wait_storecnt_dscnt 0x0
	s_barrier_signal -1
	s_barrier_wait -1
	s_clause 0x8
	scratch_load_b128 v[122:125], off, off offset:352
	scratch_load_b128 v[126:129], off, off offset:368
	;; [unrolled: 1-line block ×8, first 2 shown]
	scratch_load_b64 v[186:187], off, off offset:344
	ds_load_b128 v[154:157], v7 offset:896
	ds_load_b128 v[158:161], v7 offset:912
	;; [unrolled: 1-line block ×8, first 2 shown]
	s_mov_b32 s0, exec_lo
	s_wait_dscnt 0x7
	v_dual_mov_b32 v188, v157 :: v_dual_mov_b32 v189, v156
	s_wait_dscnt 0x6
	v_dual_mov_b32 v190, v161 :: v_dual_mov_b32 v191, v160
	;; [unrolled: 2-line block ×4, first 2 shown]
	s_wait_loadcnt_dscnt 0x803
	v_dual_mul_f32 v7, v170, v123 :: v_dual_mul_f32 v9, v172, v125
	v_dual_mul_f32 v19, v171, v123 :: v_dual_mul_f32 v21, v173, v125
	s_wait_loadcnt_dscnt 0x702
	v_dual_mul_f32 v11, v174, v127 :: v_dual_mul_f32 v13, v176, v129
	s_delay_alu instid0(VALU_DEP_3) | instskip(SKIP_3) | instid1(VALU_DEP_3)
	v_dual_fmac_f32 v7, v171, v122 :: v_dual_fmac_f32 v9, v173, v124
	s_wait_loadcnt_dscnt 0x500
	v_dual_fma_f32 v19, v170, v122, -v19 :: v_dual_mul_f32 v31, v183, v135
	v_dual_mul_f32 v23, v175, v127 :: v_dual_mul_f32 v25, v177, v129
	v_dual_fma_f32 v21, v172, v124, -v21 :: v_dual_add_f32 v7, 0, v7
	s_delay_alu instid0(VALU_DEP_3) | instskip(SKIP_1) | instid1(VALU_DEP_3)
	v_dual_add_f32 v19, 0, v19 :: v_dual_mul_f32 v33, v185, v137
	v_dual_fmac_f32 v11, v175, v126 :: v_dual_fmac_f32 v13, v177, v128
	v_dual_fma_f32 v23, v174, v126, -v23 :: v_dual_add_f32 v7, v7, v9
	s_delay_alu instid0(VALU_DEP_3) | instskip(SKIP_4) | instid1(VALU_DEP_3)
	v_dual_add_f32 v9, v19, v21 :: v_dual_fma_f32 v19, v176, v128, -v25
	v_dual_mul_f32 v15, v178, v131 :: v_dual_mul_f32 v17, v180, v133
	v_dual_mul_f32 v27, v179, v131 :: v_dual_mul_f32 v29, v181, v133
	s_wait_loadcnt 0x4
	v_dual_add_f32 v7, v7, v11 :: v_dual_mov_b32 v124, v141
	v_dual_add_f32 v9, v9, v23 :: v_dual_fmac_f32 v15, v179, v130
	s_delay_alu instid0(VALU_DEP_2) | instskip(SKIP_1) | instid1(VALU_DEP_3)
	v_dual_fma_f32 v11, v178, v130, -v27 :: v_dual_add_f32 v7, v7, v13
	v_dual_mul_f32 v197, v182, v135 :: v_dual_mul_f32 v199, v184, v137
	v_dual_add_f32 v9, v9, v19 :: v_dual_fma_f32 v13, v180, v132, -v29
	s_delay_alu instid0(VALU_DEP_3) | instskip(SKIP_1) | instid1(VALU_DEP_3)
	v_dual_fmac_f32 v17, v181, v132 :: v_dual_add_f32 v7, v7, v15
	v_pk_mul_f32 v[122:123], v[154:155], v[138:139] op_sel:[1,1] op_sel_hi:[0,1]
	v_dual_add_f32 v9, v9, v11 :: v_dual_fmac_f32 v197, v183, v134
	s_wait_loadcnt 0x3
	v_dual_mov_b32 v128, v145 :: v_dual_fma_f32 v196, v182, v134, -v31
	v_dual_add_f32 v131, v7, v17 :: v_dual_fmac_f32 v199, v185, v136
	s_delay_alu instid0(VALU_DEP_3) | instskip(SKIP_3) | instid1(VALU_DEP_4)
	v_dual_add_f32 v130, v9, v13 :: v_dual_fma_f32 v198, v184, v136, -v33
	v_pk_fma_f32 v[132:133], v[154:155], v[138:139], v[122:123] op_sel_hi:[1,0,1]
	v_pk_mul_f32 v[124:125], v[188:189], v[124:125] op_sel_hi:[1,0]
	v_pk_fma_f32 v[122:123], v[154:155], v[138:139], v[122:123] neg_lo:[0,0,1] neg_hi:[0,0,1]
	v_pk_add_f32 v[130:131], v[130:131], v[196:197]
	v_pk_mul_f32 v[126:127], v[158:159], v[142:143] op_sel:[1,1] op_sel_hi:[0,1]
	v_mov_b32_e32 v123, v133
	v_pk_fma_f32 v[132:133], v[156:157], v[140:141], v[124:125] op_sel_hi:[1,0,1]
	v_pk_fma_f32 v[124:125], v[156:157], v[140:141], v[124:125] neg_lo:[0,0,1] neg_hi:[0,0,1]
	v_pk_add_f32 v[130:131], v[130:131], v[198:199]
	v_pk_fma_f32 v[136:137], v[158:159], v[142:143], v[126:127] op_sel_hi:[1,0,1]
	v_pk_mul_f32 v[128:129], v[190:191], v[128:129] op_sel_hi:[1,0]
	v_mov_b32_e32 v125, v133
	s_wait_loadcnt 0x2
	v_pk_mul_f32 v[134:135], v[162:163], v[146:147] op_sel:[1,1] op_sel_hi:[0,1]
	v_pk_add_f32 v[122:123], v[130:131], v[122:123]
	v_mov_b32_e32 v130, v149
	v_pk_fma_f32 v[126:127], v[158:159], v[142:143], v[126:127] neg_lo:[0,0,1] neg_hi:[0,0,1]
	v_mov_b32_e32 v127, v137
	v_pk_fma_f32 v[132:133], v[160:161], v[144:145], v[128:129] op_sel_hi:[1,0,1]
	v_pk_add_f32 v[122:123], v[122:123], v[124:125]
	v_pk_fma_f32 v[124:125], v[162:163], v[146:147], v[134:135] op_sel_hi:[1,0,1]
	v_pk_mul_f32 v[130:131], v[192:193], v[130:131] op_sel_hi:[1,0]
	v_pk_fma_f32 v[128:129], v[160:161], v[144:145], v[128:129] neg_lo:[0,0,1] neg_hi:[0,0,1]
	v_mov_b32_e32 v129, v133
	v_pk_add_f32 v[122:123], v[122:123], v[126:127]
	v_pk_fma_f32 v[132:133], v[162:163], v[146:147], v[134:135] neg_lo:[0,0,1] neg_hi:[0,0,1]
	v_mov_b32_e32 v133, v125
	v_pk_fma_f32 v[124:125], v[164:165], v[148:149], v[130:131] op_sel_hi:[1,0,1]
	s_wait_loadcnt 0x1
	v_pk_mul_f32 v[126:127], v[166:167], v[150:151] op_sel:[1,1] op_sel_hi:[0,1]
	v_pk_add_f32 v[122:123], v[122:123], v[128:129]
	v_mov_b32_e32 v124, v153
	v_pk_fma_f32 v[130:131], v[164:165], v[148:149], v[130:131] neg_lo:[0,0,1] neg_hi:[0,0,1]
	v_mov_b32_e32 v131, v125
	v_pk_fma_f32 v[128:129], v[166:167], v[150:151], v[126:127] op_sel_hi:[1,0,1]
	v_pk_add_f32 v[122:123], v[122:123], v[132:133]
	v_pk_mul_f32 v[124:125], v[194:195], v[124:125] op_sel_hi:[1,0]
	v_pk_fma_f32 v[126:127], v[166:167], v[150:151], v[126:127] neg_lo:[0,0,1] neg_hi:[0,0,1]
	s_delay_alu instid0(VALU_DEP_4) | instskip(NEXT) | instid1(VALU_DEP_4)
	v_mov_b32_e32 v127, v129
	v_pk_add_f32 v[122:123], v[122:123], v[130:131]
	s_delay_alu instid0(VALU_DEP_4) | instskip(SKIP_1) | instid1(VALU_DEP_2)
	v_pk_fma_f32 v[128:129], v[168:169], v[152:153], v[124:125] op_sel_hi:[1,0,1]
	v_pk_fma_f32 v[124:125], v[168:169], v[152:153], v[124:125] neg_lo:[0,0,1] neg_hi:[0,0,1]
	v_mov_b32_e32 v125, v129
	s_delay_alu instid0(VALU_DEP_4) | instskip(NEXT) | instid1(VALU_DEP_1)
	v_pk_add_f32 v[122:123], v[122:123], v[126:127]
	v_pk_add_f32 v[122:123], v[122:123], v[124:125]
	s_wait_loadcnt 0x0
	s_delay_alu instid0(VALU_DEP_1)
	v_pk_add_f32 v[122:123], v[186:187], v[122:123] neg_lo:[0,1] neg_hi:[0,1]
	scratch_store_b64 off, v[122:123], off offset:344
	s_wait_xcnt 0x0
	v_cmpx_lt_u32_e32 42, v0
	s_cbranch_execz .LBB123_289
; %bb.288:
	scratch_load_b64 v[122:123], off, off offset:336
	v_mov_b64_e32 v[124:125], 0
	scratch_store_b64 off, v[124:125], off offset:336
	s_wait_loadcnt 0x0
	ds_store_b64 v1, v[122:123]
.LBB123_289:
	s_wait_xcnt 0x0
	s_or_b32 exec_lo, exec_lo, s0
	s_wait_storecnt_dscnt 0x0
	s_barrier_signal -1
	s_barrier_wait -1
	s_clause 0x9
	scratch_load_b128 v[122:125], off, off offset:344
	scratch_load_b128 v[126:129], off, off offset:360
	;; [unrolled: 1-line block ×8, first 2 shown]
	scratch_load_b64 v[186:187], off, off offset:472
	scratch_load_b64 v[188:189], off, off offset:336
	v_mov_b32_e32 v7, 0
	ds_load_2addr_b64 v[154:157], v7 offset0:111 offset1:112
	ds_load_2addr_b64 v[158:161], v7 offset0:113 offset1:114
	;; [unrolled: 1-line block ×8, first 2 shown]
	ds_load_b64 v[190:191], v7 offset:952
	s_mov_b32 s0, exec_lo
	s_wait_dscnt 0x8
	v_dual_mov_b32 v192, v157 :: v_dual_mov_b32 v193, v156
	s_wait_dscnt 0x5
	v_dual_mov_b32 v194, v161 :: v_dual_mov_b32 v199, v168
	v_dual_mov_b32 v195, v160 :: v_dual_mov_b32 v196, v165
	;; [unrolled: 1-line block ×3, first 2 shown]
	s_wait_loadcnt_dscnt 0x904
	v_dual_mul_f32 v9, v170, v123 :: v_dual_mul_f32 v23, v171, v123
	v_dual_mul_f32 v25, v173, v125 :: v_dual_mul_f32 v11, v172, v125
	s_wait_loadcnt_dscnt 0x803
	v_mul_f32_e32 v13, v174, v127
	s_wait_loadcnt_dscnt 0x601
	v_dual_mul_f32 v35, v183, v135 :: v_dual_fma_f32 v23, v170, v122, -v23
	v_dual_fmac_f32 v9, v171, v122 :: v_dual_mul_f32 v37, v185, v137
	v_dual_mul_f32 v27, v175, v127 :: v_dual_mul_f32 v29, v177, v129
	v_dual_fmac_f32 v11, v173, v124 :: v_dual_fma_f32 v25, v172, v124, -v25
	s_delay_alu instid0(VALU_DEP_3) | instskip(SKIP_3) | instid1(VALU_DEP_3)
	v_dual_add_f32 v9, 0, v9 :: v_dual_add_f32 v23, 0, v23
	v_dual_mul_f32 v15, v176, v129 :: v_dual_mul_f32 v17, v178, v131
	s_wait_loadcnt 0x5
	v_dual_mul_f32 v39, v155, v139 :: v_dual_fma_f32 v27, v174, v126, -v27
	v_dual_fmac_f32 v13, v175, v126 :: v_dual_add_f32 v9, v9, v11
	v_dual_add_f32 v11, v23, v25 :: v_dual_mov_b32 v122, v141
	v_dual_mul_f32 v31, v179, v131 :: v_dual_mul_f32 v33, v181, v133
	v_dual_fmac_f32 v15, v177, v128 :: v_dual_fma_f32 v23, v176, v128, -v29
	s_delay_alu instid0(VALU_DEP_3) | instskip(SKIP_1) | instid1(VALU_DEP_4)
	v_dual_add_f32 v9, v9, v13 :: v_dual_add_f32 v11, v11, v27
	v_dual_mul_f32 v19, v180, v133 :: v_dual_mul_f32 v21, v182, v135
	v_dual_fmac_f32 v17, v179, v130 :: v_dual_fma_f32 v13, v178, v130, -v31
	s_delay_alu instid0(VALU_DEP_3) | instskip(SKIP_3) | instid1(VALU_DEP_3)
	v_dual_add_f32 v9, v9, v15 :: v_dual_fma_f32 v15, v180, v132, -v33
	s_wait_loadcnt 0x4
	v_dual_add_f32 v11, v11, v23 :: v_dual_mov_b32 v126, v145
	v_fmac_f32_e32 v19, v181, v132
	v_dual_add_f32 v9, v9, v17 :: v_dual_fmac_f32 v21, v183, v134
	s_delay_alu instid0(VALU_DEP_3) | instskip(SKIP_1) | instid1(VALU_DEP_3)
	v_add_f32_e32 v11, v11, v13
	v_dual_mul_f32 v201, v184, v137 :: v_dual_mul_f32 v203, v154, v139
	v_dual_fma_f32 v13, v182, v134, -v35 :: v_dual_add_f32 v9, v9, v19
	s_delay_alu instid0(VALU_DEP_2) | instskip(SKIP_1) | instid1(VALU_DEP_3)
	v_dual_add_f32 v11, v11, v15 :: v_dual_fmac_f32 v201, v185, v136
	v_pk_mul_f32 v[124:125], v[158:159], v[142:143] op_sel:[1,1] op_sel_hi:[0,1]
	v_dual_fma_f32 v200, v184, v136, -v37 :: v_dual_add_f32 v131, v9, v21
	v_pk_mul_f32 v[122:123], v[192:193], v[122:123] op_sel_hi:[1,0]
	s_wait_loadcnt 0x3
	v_dual_add_f32 v130, v11, v13 :: v_dual_mov_b32 v132, v149
	v_pk_fma_f32 v[136:137], v[158:159], v[142:143], v[124:125] op_sel_hi:[1,0,1]
	v_fmac_f32_e32 v203, v155, v138
	v_pk_fma_f32 v[134:135], v[156:157], v[140:141], v[122:123] op_sel_hi:[1,0,1]
	v_fma_f32 v202, v154, v138, -v39
	v_pk_add_f32 v[130:131], v[130:131], v[200:201]
	v_pk_fma_f32 v[122:123], v[156:157], v[140:141], v[122:123] neg_lo:[0,0,1] neg_hi:[0,0,1]
	v_pk_fma_f32 v[124:125], v[158:159], v[142:143], v[124:125] neg_lo:[0,0,1] neg_hi:[0,0,1]
	v_pk_mul_f32 v[126:127], v[194:195], v[126:127] op_sel_hi:[1,0]
	v_dual_mov_b32 v123, v135 :: v_dual_mov_b32 v125, v137
	v_pk_add_f32 v[130:131], v[130:131], v[202:203]
	v_pk_mul_f32 v[128:129], v[162:163], v[146:147] op_sel:[1,1] op_sel_hi:[0,1]
	s_delay_alu instid0(VALU_DEP_4)
	v_pk_fma_f32 v[136:137], v[160:161], v[144:145], v[126:127] op_sel_hi:[1,0,1]
	v_pk_fma_f32 v[126:127], v[160:161], v[144:145], v[126:127] neg_lo:[0,0,1] neg_hi:[0,0,1]
	v_pk_mul_f32 v[132:133], v[196:197], v[132:133] op_sel_hi:[1,0]
	v_pk_add_f32 v[122:123], v[130:131], v[122:123]
	v_pk_fma_f32 v[130:131], v[162:163], v[146:147], v[128:129] op_sel_hi:[1,0,1]
	v_mov_b32_e32 v127, v137
	v_pk_fma_f32 v[128:129], v[162:163], v[146:147], v[128:129] neg_lo:[0,0,1] neg_hi:[0,0,1]
	s_wait_loadcnt 0x2
	v_pk_mul_f32 v[134:135], v[166:167], v[150:151] op_sel:[1,1] op_sel_hi:[0,1]
	v_pk_add_f32 v[122:123], v[122:123], v[124:125]
	v_dual_mov_b32 v124, v153 :: v_dual_mov_b32 v129, v131
	v_pk_fma_f32 v[130:131], v[164:165], v[148:149], v[132:133] op_sel_hi:[1,0,1]
	v_pk_fma_f32 v[132:133], v[164:165], v[148:149], v[132:133] neg_lo:[0,0,1] neg_hi:[0,0,1]
	s_delay_alu instid0(VALU_DEP_4)
	v_pk_add_f32 v[122:123], v[122:123], v[126:127]
	v_pk_fma_f32 v[126:127], v[166:167], v[150:151], v[134:135] op_sel_hi:[1,0,1]
	v_pk_mul_f32 v[124:125], v[198:199], v[124:125] op_sel_hi:[1,0]
	v_mov_b32_e32 v133, v131
	s_wait_loadcnt_dscnt 0x100
	v_pk_mul_f32 v[130:131], v[190:191], v[186:187] op_sel:[1,1] op_sel_hi:[0,1]
	v_pk_add_f32 v[122:123], v[122:123], v[128:129]
	v_pk_fma_f32 v[128:129], v[166:167], v[150:151], v[134:135] neg_lo:[0,0,1] neg_hi:[0,0,1]
	v_mov_b32_e32 v129, v127
	v_pk_fma_f32 v[126:127], v[168:169], v[152:153], v[124:125] op_sel_hi:[1,0,1]
	v_pk_fma_f32 v[124:125], v[168:169], v[152:153], v[124:125] neg_lo:[0,0,1] neg_hi:[0,0,1]
	v_pk_add_f32 v[122:123], v[122:123], v[132:133]
	s_delay_alu instid0(VALU_DEP_3) | instskip(SKIP_1) | instid1(VALU_DEP_3)
	v_mov_b32_e32 v125, v127
	v_pk_fma_f32 v[126:127], v[190:191], v[186:187], v[130:131] op_sel_hi:[1,0,1]
	v_pk_add_f32 v[122:123], v[122:123], v[128:129]
	v_pk_fma_f32 v[128:129], v[190:191], v[186:187], v[130:131] neg_lo:[0,0,1] neg_hi:[0,0,1]
	s_delay_alu instid0(VALU_DEP_3) | instskip(NEXT) | instid1(VALU_DEP_3)
	v_mov_b32_e32 v129, v127
	v_pk_add_f32 v[122:123], v[122:123], v[124:125]
	s_delay_alu instid0(VALU_DEP_1) | instskip(SKIP_1) | instid1(VALU_DEP_1)
	v_pk_add_f32 v[122:123], v[122:123], v[128:129]
	s_wait_loadcnt 0x0
	v_pk_add_f32 v[122:123], v[188:189], v[122:123] neg_lo:[0,1] neg_hi:[0,1]
	scratch_store_b64 off, v[122:123], off offset:336
	s_wait_xcnt 0x0
	v_cmpx_lt_u32_e32 41, v0
	s_cbranch_execz .LBB123_291
; %bb.290:
	scratch_load_b64 v[122:123], off, off offset:328
	v_mov_b64_e32 v[124:125], 0
	scratch_store_b64 off, v[124:125], off offset:328
	s_wait_loadcnt 0x0
	ds_store_b64 v1, v[122:123]
.LBB123_291:
	s_wait_xcnt 0x0
	s_or_b32 exec_lo, exec_lo, s0
	s_wait_storecnt_dscnt 0x0
	s_barrier_signal -1
	s_barrier_wait -1
	s_clause 0x9
	scratch_load_b128 v[122:125], off, off offset:336
	scratch_load_b128 v[126:129], off, off offset:352
	;; [unrolled: 1-line block ×9, first 2 shown]
	scratch_load_b64 v[194:195], off, off offset:328
	ds_load_b128 v[158:161], v7 offset:896
	ds_load_b128 v[162:165], v7 offset:912
	;; [unrolled: 1-line block ×9, first 2 shown]
	s_mov_b32 s0, exec_lo
	s_wait_dscnt 0x8
	v_dual_mov_b32 v196, v161 :: v_dual_mov_b32 v197, v160
	s_wait_dscnt 0x7
	v_dual_mov_b32 v198, v165 :: v_dual_mov_b32 v199, v164
	;; [unrolled: 2-line block ×4, first 2 shown]
	s_wait_loadcnt_dscnt 0x904
	v_dual_mul_f32 v7, v174, v123 :: v_dual_mul_f32 v9, v176, v125
	v_dual_mul_f32 v23, v175, v123 :: v_dual_mul_f32 v25, v177, v125
	s_wait_loadcnt_dscnt 0x803
	v_dual_mul_f32 v11, v178, v127 :: v_dual_mul_f32 v13, v180, v129
	s_delay_alu instid0(VALU_DEP_3) | instskip(SKIP_3) | instid1(VALU_DEP_3)
	v_dual_fmac_f32 v7, v175, v122 :: v_dual_fmac_f32 v9, v177, v124
	s_wait_loadcnt_dscnt 0x601
	v_dual_fma_f32 v23, v174, v122, -v23 :: v_dual_mul_f32 v35, v187, v135
	v_dual_mul_f32 v27, v179, v127 :: v_dual_mul_f32 v29, v181, v129
	v_dual_fma_f32 v25, v176, v124, -v25 :: v_dual_add_f32 v7, 0, v7
	s_delay_alu instid0(VALU_DEP_3) | instskip(SKIP_1) | instid1(VALU_DEP_3)
	v_dual_add_f32 v23, 0, v23 :: v_dual_mul_f32 v37, v189, v137
	v_dual_fmac_f32 v11, v179, v126 :: v_dual_fmac_f32 v13, v181, v128
	v_dual_fma_f32 v27, v178, v126, -v27 :: v_dual_add_f32 v7, v7, v9
	s_delay_alu instid0(VALU_DEP_3) | instskip(SKIP_2) | instid1(VALU_DEP_4)
	v_dual_add_f32 v9, v23, v25 :: v_dual_fma_f32 v25, v180, v128, -v29
	v_dual_mul_f32 v15, v182, v131 :: v_dual_mul_f32 v17, v184, v133
	v_dual_mul_f32 v31, v183, v131 :: v_dual_mul_f32 v33, v185, v133
	v_add_f32_e32 v7, v7, v11
	s_delay_alu instid0(VALU_DEP_3) | instskip(NEXT) | instid1(VALU_DEP_3)
	v_dual_add_f32 v9, v9, v27 :: v_dual_fmac_f32 v15, v183, v130
	v_fma_f32 v27, v182, v130, -v31
	v_dual_mul_f32 v19, v186, v135 :: v_dual_mul_f32 v21, v188, v137
	s_delay_alu instid0(VALU_DEP_4) | instskip(NEXT) | instid1(VALU_DEP_4)
	v_dual_add_f32 v7, v7, v13 :: v_dual_fmac_f32 v17, v185, v132
	v_dual_add_f32 v9, v9, v25 :: v_dual_fma_f32 v13, v184, v132, -v33
	s_wait_loadcnt 0x4
	s_delay_alu instid0(VALU_DEP_2) | instskip(NEXT) | instid1(VALU_DEP_2)
	v_dual_mov_b32 v124, v145 :: v_dual_add_f32 v7, v7, v15
	v_dual_fmac_f32 v19, v187, v134 :: v_dual_add_f32 v9, v9, v27
	v_fma_f32 v15, v186, v134, -v35
	s_wait_dscnt 0x0
	v_dual_mul_f32 v205, v190, v139 :: v_dual_mul_f32 v207, v192, v141
	v_add_f32_e32 v7, v7, v17
	v_dual_add_f32 v9, v9, v13 :: v_dual_fma_f32 v13, v188, v136, -v37
	v_dual_mul_f32 v23, v191, v139 :: v_dual_mul_f32 v11, v193, v141
	s_delay_alu instid0(VALU_DEP_3) | instskip(NEXT) | instid1(VALU_DEP_3)
	v_dual_fmac_f32 v21, v189, v136 :: v_dual_add_f32 v7, v7, v19
	v_dual_add_f32 v9, v9, v15 :: v_dual_fmac_f32 v205, v191, v138
	v_pk_mul_f32 v[122:123], v[158:159], v[142:143] op_sel:[1,1] op_sel_hi:[0,1]
	s_wait_loadcnt 0x3
	v_dual_mov_b32 v128, v149 :: v_dual_fma_f32 v204, v190, v138, -v23
	v_dual_add_f32 v131, v7, v21 :: v_dual_fmac_f32 v207, v193, v140
	v_dual_add_f32 v130, v9, v13 :: v_dual_fma_f32 v206, v192, v140, -v11
	v_pk_fma_f32 v[132:133], v[158:159], v[142:143], v[122:123] op_sel_hi:[1,0,1]
	v_pk_mul_f32 v[124:125], v[196:197], v[124:125] op_sel_hi:[1,0]
	v_pk_fma_f32 v[122:123], v[158:159], v[142:143], v[122:123] neg_lo:[0,0,1] neg_hi:[0,0,1]
	s_delay_alu instid0(VALU_DEP_4)
	v_pk_add_f32 v[130:131], v[130:131], v[204:205]
	v_pk_mul_f32 v[126:127], v[162:163], v[146:147] op_sel:[1,1] op_sel_hi:[0,1]
	v_mov_b32_e32 v123, v133
	v_pk_fma_f32 v[132:133], v[160:161], v[144:145], v[124:125] op_sel_hi:[1,0,1]
	v_pk_fma_f32 v[124:125], v[160:161], v[144:145], v[124:125] neg_lo:[0,0,1] neg_hi:[0,0,1]
	v_pk_add_f32 v[130:131], v[130:131], v[206:207]
	v_pk_fma_f32 v[136:137], v[162:163], v[146:147], v[126:127] op_sel_hi:[1,0,1]
	v_pk_mul_f32 v[128:129], v[198:199], v[128:129] op_sel_hi:[1,0]
	v_mov_b32_e32 v125, v133
	s_wait_loadcnt 0x2
	v_pk_mul_f32 v[134:135], v[166:167], v[150:151] op_sel:[1,1] op_sel_hi:[0,1]
	v_pk_add_f32 v[122:123], v[130:131], v[122:123]
	v_mov_b32_e32 v130, v153
	v_pk_fma_f32 v[126:127], v[162:163], v[146:147], v[126:127] neg_lo:[0,0,1] neg_hi:[0,0,1]
	v_mov_b32_e32 v127, v137
	v_pk_fma_f32 v[132:133], v[164:165], v[148:149], v[128:129] op_sel_hi:[1,0,1]
	v_pk_add_f32 v[122:123], v[122:123], v[124:125]
	v_pk_fma_f32 v[124:125], v[166:167], v[150:151], v[134:135] op_sel_hi:[1,0,1]
	v_pk_mul_f32 v[130:131], v[200:201], v[130:131] op_sel_hi:[1,0]
	v_pk_fma_f32 v[128:129], v[164:165], v[148:149], v[128:129] neg_lo:[0,0,1] neg_hi:[0,0,1]
	v_mov_b32_e32 v129, v133
	v_pk_add_f32 v[122:123], v[122:123], v[126:127]
	v_pk_fma_f32 v[132:133], v[166:167], v[150:151], v[134:135] neg_lo:[0,0,1] neg_hi:[0,0,1]
	v_mov_b32_e32 v133, v125
	v_pk_fma_f32 v[124:125], v[168:169], v[152:153], v[130:131] op_sel_hi:[1,0,1]
	s_wait_loadcnt 0x1
	v_pk_mul_f32 v[126:127], v[170:171], v[154:155] op_sel:[1,1] op_sel_hi:[0,1]
	v_pk_add_f32 v[122:123], v[122:123], v[128:129]
	v_mov_b32_e32 v124, v157
	v_pk_fma_f32 v[130:131], v[168:169], v[152:153], v[130:131] neg_lo:[0,0,1] neg_hi:[0,0,1]
	v_mov_b32_e32 v131, v125
	v_pk_fma_f32 v[128:129], v[170:171], v[154:155], v[126:127] op_sel_hi:[1,0,1]
	v_pk_add_f32 v[122:123], v[122:123], v[132:133]
	v_pk_mul_f32 v[124:125], v[202:203], v[124:125] op_sel_hi:[1,0]
	v_pk_fma_f32 v[126:127], v[170:171], v[154:155], v[126:127] neg_lo:[0,0,1] neg_hi:[0,0,1]
	s_delay_alu instid0(VALU_DEP_4) | instskip(NEXT) | instid1(VALU_DEP_4)
	v_mov_b32_e32 v127, v129
	v_pk_add_f32 v[122:123], v[122:123], v[130:131]
	s_delay_alu instid0(VALU_DEP_4) | instskip(SKIP_1) | instid1(VALU_DEP_2)
	v_pk_fma_f32 v[128:129], v[172:173], v[156:157], v[124:125] op_sel_hi:[1,0,1]
	v_pk_fma_f32 v[124:125], v[172:173], v[156:157], v[124:125] neg_lo:[0,0,1] neg_hi:[0,0,1]
	v_mov_b32_e32 v125, v129
	s_delay_alu instid0(VALU_DEP_4) | instskip(NEXT) | instid1(VALU_DEP_1)
	v_pk_add_f32 v[122:123], v[122:123], v[126:127]
	v_pk_add_f32 v[122:123], v[122:123], v[124:125]
	s_wait_loadcnt 0x0
	s_delay_alu instid0(VALU_DEP_1)
	v_pk_add_f32 v[122:123], v[194:195], v[122:123] neg_lo:[0,1] neg_hi:[0,1]
	scratch_store_b64 off, v[122:123], off offset:328
	s_wait_xcnt 0x0
	v_cmpx_lt_u32_e32 40, v0
	s_cbranch_execz .LBB123_293
; %bb.292:
	scratch_load_b64 v[122:123], off, off offset:320
	v_mov_b64_e32 v[124:125], 0
	scratch_store_b64 off, v[124:125], off offset:320
	s_wait_loadcnt 0x0
	ds_store_b64 v1, v[122:123]
.LBB123_293:
	s_wait_xcnt 0x0
	s_or_b32 exec_lo, exec_lo, s0
	s_wait_storecnt_dscnt 0x0
	s_barrier_signal -1
	s_barrier_wait -1
	s_clause 0xa
	scratch_load_b128 v[122:125], off, off offset:328
	scratch_load_b128 v[126:129], off, off offset:344
	;; [unrolled: 1-line block ×9, first 2 shown]
	scratch_load_b64 v[194:195], off, off offset:472
	scratch_load_b64 v[196:197], off, off offset:320
	v_mov_b32_e32 v7, 0
	ds_load_2addr_b64 v[158:161], v7 offset0:111 offset1:112
	ds_load_2addr_b64 v[162:165], v7 offset0:113 offset1:114
	;; [unrolled: 1-line block ×9, first 2 shown]
	ds_load_b64 v[198:199], v7 offset:952
	s_mov_b32 s0, exec_lo
	s_wait_dscnt 0x9
	v_dual_mov_b32 v200, v161 :: v_dual_mov_b32 v201, v160
	s_wait_dscnt 0x6
	v_dual_mov_b32 v202, v165 :: v_dual_mov_b32 v207, v172
	v_dual_mov_b32 v203, v164 :: v_dual_mov_b32 v204, v169
	;; [unrolled: 1-line block ×3, first 2 shown]
	s_wait_loadcnt_dscnt 0xa05
	v_dual_mul_f32 v9, v174, v123 :: v_dual_mul_f32 v27, v175, v123
	v_dual_mul_f32 v29, v177, v125 :: v_dual_mul_f32 v11, v176, v125
	s_wait_loadcnt_dscnt 0x904
	v_mul_f32_e32 v13, v178, v127
	s_wait_loadcnt_dscnt 0x702
	v_dual_mul_f32 v39, v187, v135 :: v_dual_fma_f32 v27, v174, v122, -v27
	v_dual_fmac_f32 v9, v175, v122 :: v_dual_mul_f32 v41, v189, v137
	v_dual_mul_f32 v31, v179, v127 :: v_dual_mul_f32 v33, v181, v129
	v_dual_fmac_f32 v11, v177, v124 :: v_dual_fma_f32 v29, v176, v124, -v29
	s_delay_alu instid0(VALU_DEP_3) | instskip(SKIP_3) | instid1(VALU_DEP_3)
	v_dual_add_f32 v9, 0, v9 :: v_dual_add_f32 v27, 0, v27
	v_dual_mul_f32 v15, v180, v129 :: v_dual_mul_f32 v17, v182, v131
	s_wait_loadcnt_dscnt 0x601
	v_dual_mul_f32 v43, v191, v139 :: v_dual_fma_f32 v31, v178, v126, -v31
	v_dual_fmac_f32 v13, v179, v126 :: v_dual_add_f32 v9, v9, v11
	s_delay_alu instid0(VALU_DEP_3) | instskip(SKIP_2) | instid1(VALU_DEP_3)
	v_dual_add_f32 v11, v27, v29 :: v_dual_fmac_f32 v15, v181, v128
	v_dual_mul_f32 v35, v183, v131 :: v_dual_mul_f32 v37, v185, v133
	v_dual_mul_f32 v27, v193, v141 :: v_dual_fma_f32 v29, v180, v128, -v33
	v_dual_add_f32 v9, v9, v13 :: v_dual_add_f32 v11, v11, v31
	v_dual_mul_f32 v19, v184, v133 :: v_dual_mul_f32 v21, v186, v135
	s_wait_loadcnt 0x5
	v_dual_mul_f32 v13, v159, v143 :: v_dual_fma_f32 v31, v182, v130, -v35
	s_delay_alu instid0(VALU_DEP_3) | instskip(SKIP_2) | instid1(VALU_DEP_2)
	v_dual_fmac_f32 v17, v183, v130 :: v_dual_add_f32 v9, v9, v15
	v_dual_add_f32 v11, v11, v29 :: v_dual_mov_b32 v122, v145
	v_dual_fmac_f32 v19, v185, v132 :: v_dual_fma_f32 v15, v184, v132, -v37
	v_dual_add_f32 v9, v9, v17 :: v_dual_add_f32 v11, v11, v31
	v_dual_mul_f32 v23, v188, v137 :: v_dual_mul_f32 v25, v190, v139
	v_dual_fmac_f32 v21, v187, v134 :: v_dual_fma_f32 v17, v186, v134, -v39
	s_delay_alu instid0(VALU_DEP_3) | instskip(SKIP_3) | instid1(VALU_DEP_3)
	v_add_f32_e32 v9, v9, v19
	s_wait_loadcnt 0x4
	v_dual_add_f32 v11, v11, v15 :: v_dual_mov_b32 v126, v149
	v_dual_fmac_f32 v23, v189, v136 :: v_dual_fma_f32 v15, v188, v136, -v41
	v_dual_add_f32 v9, v9, v21 :: v_dual_fmac_f32 v25, v191, v138
	s_delay_alu instid0(VALU_DEP_3) | instskip(SKIP_1) | instid1(VALU_DEP_3)
	v_add_f32_e32 v11, v11, v17
	v_dual_mul_f32 v209, v192, v141 :: v_dual_mul_f32 v211, v158, v143
	v_dual_fma_f32 v17, v190, v138, -v43 :: v_dual_add_f32 v9, v9, v23
	s_delay_alu instid0(VALU_DEP_2) | instskip(SKIP_2) | instid1(VALU_DEP_4)
	v_dual_add_f32 v11, v11, v15 :: v_dual_fmac_f32 v209, v193, v140
	v_fma_f32 v208, v192, v140, -v27
	v_pk_mul_f32 v[122:123], v[200:201], v[122:123] op_sel_hi:[1,0]
	v_add_f32_e32 v131, v9, v25
	s_wait_loadcnt 0x3
	v_dual_add_f32 v130, v11, v17 :: v_dual_mov_b32 v132, v153
	v_pk_mul_f32 v[124:125], v[162:163], v[146:147] op_sel:[1,1] op_sel_hi:[0,1]
	v_dual_fmac_f32 v211, v159, v142 :: v_dual_fma_f32 v210, v158, v142, -v13
	v_pk_fma_f32 v[134:135], v[160:161], v[144:145], v[122:123] op_sel_hi:[1,0,1]
	s_delay_alu instid0(VALU_DEP_4)
	v_pk_add_f32 v[130:131], v[130:131], v[208:209]
	v_pk_fma_f32 v[122:123], v[160:161], v[144:145], v[122:123] neg_lo:[0,0,1] neg_hi:[0,0,1]
	v_pk_fma_f32 v[136:137], v[162:163], v[146:147], v[124:125] op_sel_hi:[1,0,1]
	v_pk_mul_f32 v[126:127], v[202:203], v[126:127] op_sel_hi:[1,0]
	v_mov_b32_e32 v123, v135
	v_pk_add_f32 v[130:131], v[130:131], v[210:211]
	v_pk_fma_f32 v[124:125], v[162:163], v[146:147], v[124:125] neg_lo:[0,0,1] neg_hi:[0,0,1]
	v_pk_mul_f32 v[128:129], v[166:167], v[150:151] op_sel:[1,1] op_sel_hi:[0,1]
	v_mov_b32_e32 v125, v137
	v_pk_fma_f32 v[136:137], v[164:165], v[148:149], v[126:127] op_sel_hi:[1,0,1]
	v_pk_add_f32 v[122:123], v[130:131], v[122:123]
	v_pk_fma_f32 v[126:127], v[164:165], v[148:149], v[126:127] neg_lo:[0,0,1] neg_hi:[0,0,1]
	v_pk_fma_f32 v[130:131], v[166:167], v[150:151], v[128:129] op_sel_hi:[1,0,1]
	v_pk_mul_f32 v[132:133], v[204:205], v[132:133] op_sel_hi:[1,0]
	v_mov_b32_e32 v127, v137
	v_pk_add_f32 v[122:123], v[122:123], v[124:125]
	v_pk_fma_f32 v[128:129], v[166:167], v[150:151], v[128:129] neg_lo:[0,0,1] neg_hi:[0,0,1]
	s_wait_loadcnt 0x2
	v_pk_mul_f32 v[134:135], v[170:171], v[154:155] op_sel:[1,1] op_sel_hi:[0,1]
	v_dual_mov_b32 v124, v157 :: v_dual_mov_b32 v129, v131
	v_pk_fma_f32 v[130:131], v[168:169], v[152:153], v[132:133] op_sel_hi:[1,0,1]
	v_pk_add_f32 v[122:123], v[122:123], v[126:127]
	v_pk_fma_f32 v[132:133], v[168:169], v[152:153], v[132:133] neg_lo:[0,0,1] neg_hi:[0,0,1]
	v_pk_fma_f32 v[126:127], v[170:171], v[154:155], v[134:135] op_sel_hi:[1,0,1]
	v_pk_mul_f32 v[124:125], v[206:207], v[124:125] op_sel_hi:[1,0]
	v_mov_b32_e32 v133, v131
	v_pk_add_f32 v[122:123], v[122:123], v[128:129]
	v_pk_fma_f32 v[128:129], v[170:171], v[154:155], v[134:135] neg_lo:[0,0,1] neg_hi:[0,0,1]
	v_mov_b32_e32 v129, v127
	v_pk_fma_f32 v[126:127], v[172:173], v[156:157], v[124:125] op_sel_hi:[1,0,1]
	s_wait_loadcnt_dscnt 0x100
	v_pk_mul_f32 v[130:131], v[198:199], v[194:195] op_sel:[1,1] op_sel_hi:[0,1]
	v_pk_add_f32 v[122:123], v[122:123], v[132:133]
	v_pk_fma_f32 v[124:125], v[172:173], v[156:157], v[124:125] neg_lo:[0,0,1] neg_hi:[0,0,1]
	v_mov_b32_e32 v125, v127
	s_delay_alu instid0(VALU_DEP_4) | instskip(NEXT) | instid1(VALU_DEP_4)
	v_pk_fma_f32 v[126:127], v[198:199], v[194:195], v[130:131] op_sel_hi:[1,0,1]
	v_pk_add_f32 v[122:123], v[122:123], v[128:129]
	v_pk_fma_f32 v[128:129], v[198:199], v[194:195], v[130:131] neg_lo:[0,0,1] neg_hi:[0,0,1]
	s_delay_alu instid0(VALU_DEP_3) | instskip(NEXT) | instid1(VALU_DEP_3)
	v_mov_b32_e32 v129, v127
	v_pk_add_f32 v[122:123], v[122:123], v[124:125]
	s_delay_alu instid0(VALU_DEP_1) | instskip(SKIP_1) | instid1(VALU_DEP_1)
	v_pk_add_f32 v[122:123], v[122:123], v[128:129]
	s_wait_loadcnt 0x0
	v_pk_add_f32 v[122:123], v[196:197], v[122:123] neg_lo:[0,1] neg_hi:[0,1]
	scratch_store_b64 off, v[122:123], off offset:320
	s_wait_xcnt 0x0
	v_cmpx_lt_u32_e32 39, v0
	s_cbranch_execz .LBB123_295
; %bb.294:
	scratch_load_b64 v[122:123], off, off offset:312
	v_mov_b64_e32 v[124:125], 0
	scratch_store_b64 off, v[124:125], off offset:312
	s_wait_loadcnt 0x0
	ds_store_b64 v1, v[122:123]
.LBB123_295:
	s_wait_xcnt 0x0
	s_or_b32 exec_lo, exec_lo, s0
	s_wait_storecnt_dscnt 0x0
	s_barrier_signal -1
	s_barrier_wait -1
	s_clause 0xa
	scratch_load_b128 v[122:125], off, off offset:320
	scratch_load_b128 v[126:129], off, off offset:336
	;; [unrolled: 1-line block ×10, first 2 shown]
	scratch_load_b64 v[202:203], off, off offset:312
	ds_load_b128 v[162:165], v7 offset:896
	ds_load_b128 v[166:169], v7 offset:912
	;; [unrolled: 1-line block ×10, first 2 shown]
	s_mov_b32 s0, exec_lo
	s_wait_dscnt 0x9
	v_dual_mov_b32 v204, v165 :: v_dual_mov_b32 v205, v164
	s_wait_dscnt 0x8
	v_dual_mov_b32 v206, v169 :: v_dual_mov_b32 v207, v168
	;; [unrolled: 2-line block ×4, first 2 shown]
	s_wait_loadcnt_dscnt 0xa05
	v_dual_mul_f32 v7, v178, v123 :: v_dual_mul_f32 v9, v180, v125
	v_dual_mul_f32 v27, v179, v123 :: v_dual_mul_f32 v29, v181, v125
	s_wait_loadcnt_dscnt 0x904
	v_dual_mul_f32 v11, v182, v127 :: v_dual_mul_f32 v13, v184, v129
	s_delay_alu instid0(VALU_DEP_3) | instskip(SKIP_3) | instid1(VALU_DEP_3)
	v_dual_fmac_f32 v7, v179, v122 :: v_dual_fmac_f32 v9, v181, v124
	s_wait_loadcnt_dscnt 0x702
	v_dual_fma_f32 v27, v178, v122, -v27 :: v_dual_mul_f32 v39, v191, v135
	v_dual_mul_f32 v31, v183, v127 :: v_dual_mul_f32 v33, v185, v129
	v_dual_fma_f32 v29, v180, v124, -v29 :: v_dual_add_f32 v7, 0, v7
	s_delay_alu instid0(VALU_DEP_3) | instskip(SKIP_1) | instid1(VALU_DEP_3)
	v_dual_add_f32 v27, 0, v27 :: v_dual_mul_f32 v41, v193, v137
	v_dual_fmac_f32 v11, v183, v126 :: v_dual_fmac_f32 v13, v185, v128
	v_dual_fma_f32 v31, v182, v126, -v31 :: v_dual_add_f32 v7, v7, v9
	s_delay_alu instid0(VALU_DEP_3) | instskip(SKIP_2) | instid1(VALU_DEP_4)
	v_dual_add_f32 v9, v27, v29 :: v_dual_fma_f32 v29, v184, v128, -v33
	v_dual_mul_f32 v15, v186, v131 :: v_dual_mul_f32 v17, v188, v133
	v_dual_mul_f32 v35, v187, v131 :: v_dual_mul_f32 v37, v189, v133
	v_add_f32_e32 v7, v7, v11
	s_delay_alu instid0(VALU_DEP_3) | instskip(NEXT) | instid1(VALU_DEP_3)
	v_dual_add_f32 v9, v9, v31 :: v_dual_fmac_f32 v15, v187, v130
	v_fma_f32 v31, v186, v130, -v35
	v_dual_mul_f32 v19, v190, v135 :: v_dual_mul_f32 v21, v192, v137
	s_delay_alu instid0(VALU_DEP_4) | instskip(SKIP_2) | instid1(VALU_DEP_2)
	v_dual_add_f32 v7, v7, v13 :: v_dual_fmac_f32 v17, v189, v132
	s_wait_loadcnt_dscnt 0x500
	v_dual_add_f32 v9, v9, v29 :: v_dual_mul_f32 v13, v199, v143
	v_dual_fma_f32 v29, v188, v132, -v37 :: v_dual_add_f32 v7, v7, v15
	v_mul_f32_e32 v15, v201, v145
	s_delay_alu instid0(VALU_DEP_3) | instskip(NEXT) | instid1(VALU_DEP_3)
	v_dual_add_f32 v9, v9, v31 :: v_dual_fmac_f32 v19, v191, v134
	v_dual_fma_f32 v31, v190, v134, -v39 :: v_dual_add_f32 v7, v7, v17
	v_fmac_f32_e32 v21, v193, v136
	s_delay_alu instid0(VALU_DEP_3) | instskip(SKIP_4) | instid1(VALU_DEP_3)
	v_dual_add_f32 v9, v9, v29 :: v_dual_fma_f32 v17, v192, v136, -v41
	v_dual_mul_f32 v23, v194, v139 :: v_dual_mul_f32 v25, v196, v141
	v_dual_mul_f32 v27, v195, v139 :: v_dual_mul_f32 v11, v197, v141
	s_wait_loadcnt 0x4
	v_dual_add_f32 v7, v7, v19 :: v_dual_mov_b32 v124, v149
	v_dual_add_f32 v9, v9, v31 :: v_dual_fmac_f32 v23, v195, v138
	s_delay_alu instid0(VALU_DEP_2) | instskip(SKIP_1) | instid1(VALU_DEP_3)
	v_dual_fma_f32 v19, v194, v138, -v27 :: v_dual_add_f32 v7, v7, v21
	v_dual_mul_f32 v213, v198, v143 :: v_dual_mul_f32 v215, v200, v145
	v_dual_add_f32 v9, v9, v17 :: v_dual_fma_f32 v11, v196, v140, -v11
	s_delay_alu instid0(VALU_DEP_3) | instskip(SKIP_1) | instid1(VALU_DEP_3)
	v_dual_fmac_f32 v25, v197, v140 :: v_dual_add_f32 v7, v7, v23
	v_pk_mul_f32 v[122:123], v[162:163], v[146:147] op_sel:[1,1] op_sel_hi:[0,1]
	v_dual_add_f32 v9, v9, v19 :: v_dual_fmac_f32 v213, v199, v142
	s_wait_loadcnt 0x3
	v_dual_mov_b32 v128, v153 :: v_dual_fma_f32 v212, v198, v142, -v13
	s_delay_alu instid0(VALU_DEP_2)
	v_dual_add_f32 v131, v7, v25 :: v_dual_add_f32 v130, v9, v11
	v_fmac_f32_e32 v215, v201, v144
	v_pk_fma_f32 v[132:133], v[162:163], v[146:147], v[122:123] op_sel_hi:[1,0,1]
	v_fma_f32 v214, v200, v144, -v15
	v_pk_mul_f32 v[124:125], v[204:205], v[124:125] op_sel_hi:[1,0]
	v_pk_add_f32 v[130:131], v[130:131], v[212:213]
	v_pk_fma_f32 v[122:123], v[162:163], v[146:147], v[122:123] neg_lo:[0,0,1] neg_hi:[0,0,1]
	v_pk_mul_f32 v[126:127], v[166:167], v[150:151] op_sel:[1,1] op_sel_hi:[0,1]
	v_mov_b32_e32 v123, v133
	v_pk_fma_f32 v[132:133], v[164:165], v[148:149], v[124:125] op_sel_hi:[1,0,1]
	v_pk_add_f32 v[130:131], v[130:131], v[214:215]
	v_pk_fma_f32 v[124:125], v[164:165], v[148:149], v[124:125] neg_lo:[0,0,1] neg_hi:[0,0,1]
	v_pk_fma_f32 v[136:137], v[166:167], v[150:151], v[126:127] op_sel_hi:[1,0,1]
	v_pk_mul_f32 v[128:129], v[206:207], v[128:129] op_sel_hi:[1,0]
	v_mov_b32_e32 v125, v133
	v_pk_add_f32 v[122:123], v[130:131], v[122:123]
	s_wait_loadcnt 0x2
	v_pk_mul_f32 v[134:135], v[170:171], v[154:155] op_sel:[1,1] op_sel_hi:[0,1]
	v_mov_b32_e32 v130, v157
	v_pk_fma_f32 v[126:127], v[166:167], v[150:151], v[126:127] neg_lo:[0,0,1] neg_hi:[0,0,1]
	v_pk_fma_f32 v[132:133], v[168:169], v[152:153], v[128:129] op_sel_hi:[1,0,1]
	v_mov_b32_e32 v127, v137
	v_pk_add_f32 v[122:123], v[122:123], v[124:125]
	v_pk_fma_f32 v[124:125], v[170:171], v[154:155], v[134:135] op_sel_hi:[1,0,1]
	v_pk_mul_f32 v[130:131], v[208:209], v[130:131] op_sel_hi:[1,0]
	v_pk_fma_f32 v[128:129], v[168:169], v[152:153], v[128:129] neg_lo:[0,0,1] neg_hi:[0,0,1]
	v_mov_b32_e32 v129, v133
	v_pk_add_f32 v[122:123], v[122:123], v[126:127]
	v_pk_fma_f32 v[132:133], v[170:171], v[154:155], v[134:135] neg_lo:[0,0,1] neg_hi:[0,0,1]
	v_mov_b32_e32 v133, v125
	v_pk_fma_f32 v[124:125], v[172:173], v[156:157], v[130:131] op_sel_hi:[1,0,1]
	s_wait_loadcnt 0x1
	v_pk_mul_f32 v[126:127], v[174:175], v[158:159] op_sel:[1,1] op_sel_hi:[0,1]
	v_pk_add_f32 v[122:123], v[122:123], v[128:129]
	v_mov_b32_e32 v124, v161
	v_pk_fma_f32 v[130:131], v[172:173], v[156:157], v[130:131] neg_lo:[0,0,1] neg_hi:[0,0,1]
	s_delay_alu instid0(VALU_DEP_4)
	v_pk_fma_f32 v[128:129], v[174:175], v[158:159], v[126:127] op_sel_hi:[1,0,1]
	v_mov_b32_e32 v131, v125
	v_pk_add_f32 v[122:123], v[122:123], v[132:133]
	v_pk_mul_f32 v[124:125], v[210:211], v[124:125] op_sel_hi:[1,0]
	v_pk_fma_f32 v[126:127], v[174:175], v[158:159], v[126:127] neg_lo:[0,0,1] neg_hi:[0,0,1]
	v_mov_b32_e32 v127, v129
	s_delay_alu instid0(VALU_DEP_4) | instskip(NEXT) | instid1(VALU_DEP_4)
	v_pk_add_f32 v[122:123], v[122:123], v[130:131]
	v_pk_fma_f32 v[128:129], v[176:177], v[160:161], v[124:125] op_sel_hi:[1,0,1]
	v_pk_fma_f32 v[124:125], v[176:177], v[160:161], v[124:125] neg_lo:[0,0,1] neg_hi:[0,0,1]
	s_delay_alu instid0(VALU_DEP_3) | instskip(NEXT) | instid1(VALU_DEP_3)
	v_pk_add_f32 v[122:123], v[122:123], v[126:127]
	v_mov_b32_e32 v125, v129
	s_delay_alu instid0(VALU_DEP_1) | instskip(SKIP_1) | instid1(VALU_DEP_1)
	v_pk_add_f32 v[122:123], v[122:123], v[124:125]
	s_wait_loadcnt 0x0
	v_pk_add_f32 v[122:123], v[202:203], v[122:123] neg_lo:[0,1] neg_hi:[0,1]
	scratch_store_b64 off, v[122:123], off offset:312
	s_wait_xcnt 0x0
	v_cmpx_lt_u32_e32 38, v0
	s_cbranch_execz .LBB123_297
; %bb.296:
	scratch_load_b64 v[122:123], off, off offset:304
	v_mov_b64_e32 v[124:125], 0
	scratch_store_b64 off, v[124:125], off offset:304
	s_wait_loadcnt 0x0
	ds_store_b64 v1, v[122:123]
.LBB123_297:
	s_wait_xcnt 0x0
	s_or_b32 exec_lo, exec_lo, s0
	s_wait_storecnt_dscnt 0x0
	s_barrier_signal -1
	s_barrier_wait -1
	s_clause 0xb
	scratch_load_b128 v[122:125], off, off offset:312
	scratch_load_b128 v[126:129], off, off offset:328
	;; [unrolled: 1-line block ×10, first 2 shown]
	scratch_load_b64 v[202:203], off, off offset:472
	scratch_load_b64 v[204:205], off, off offset:304
	v_mov_b32_e32 v7, 0
	ds_load_2addr_b64 v[162:165], v7 offset0:111 offset1:112
	ds_load_2addr_b64 v[166:169], v7 offset0:113 offset1:114
	;; [unrolled: 1-line block ×10, first 2 shown]
	ds_load_b64 v[206:207], v7 offset:952
	s_mov_b32 s0, exec_lo
	s_wait_dscnt 0xa
	v_dual_mov_b32 v208, v165 :: v_dual_mov_b32 v209, v164
	s_wait_dscnt 0x7
	v_dual_mov_b32 v210, v169 :: v_dual_mov_b32 v215, v176
	v_dual_mov_b32 v211, v168 :: v_dual_mov_b32 v212, v173
	;; [unrolled: 1-line block ×3, first 2 shown]
	s_wait_loadcnt_dscnt 0xb06
	v_dual_mul_f32 v9, v178, v123 :: v_dual_mul_f32 v31, v179, v123
	v_dual_mul_f32 v33, v181, v125 :: v_dual_mul_f32 v11, v180, v125
	s_wait_loadcnt_dscnt 0xa05
	v_mul_f32_e32 v13, v182, v127
	s_wait_loadcnt_dscnt 0x803
	v_dual_mul_f32 v43, v191, v135 :: v_dual_fma_f32 v31, v178, v122, -v31
	v_dual_fmac_f32 v9, v179, v122 :: v_dual_mul_f32 v45, v193, v137
	v_dual_mul_f32 v35, v183, v127 :: v_dual_mul_f32 v37, v185, v129
	v_dual_fmac_f32 v11, v181, v124 :: v_dual_fma_f32 v33, v180, v124, -v33
	s_delay_alu instid0(VALU_DEP_3) | instskip(SKIP_3) | instid1(VALU_DEP_3)
	v_dual_add_f32 v9, 0, v9 :: v_dual_add_f32 v31, 0, v31
	v_dual_mul_f32 v15, v184, v129 :: v_dual_mul_f32 v17, v186, v131
	s_wait_loadcnt_dscnt 0x702
	v_dual_mul_f32 v47, v195, v139 :: v_dual_fma_f32 v35, v182, v126, -v35
	v_dual_fmac_f32 v13, v183, v126 :: v_dual_add_f32 v9, v9, v11
	s_delay_alu instid0(VALU_DEP_3) | instskip(SKIP_2) | instid1(VALU_DEP_3)
	v_dual_add_f32 v11, v31, v33 :: v_dual_fmac_f32 v15, v185, v128
	v_dual_mul_f32 v39, v187, v131 :: v_dual_mul_f32 v41, v189, v133
	v_dual_mul_f32 v31, v197, v141 :: v_dual_fma_f32 v33, v184, v128, -v37
	v_dual_add_f32 v9, v9, v13 :: v_dual_add_f32 v11, v11, v35
	v_dual_mul_f32 v19, v188, v133 :: v_dual_mul_f32 v21, v190, v135
	s_wait_loadcnt_dscnt 0x601
	v_dual_mul_f32 v13, v199, v143 :: v_dual_fma_f32 v35, v186, v130, -v39
	s_delay_alu instid0(VALU_DEP_3) | instskip(NEXT) | instid1(VALU_DEP_3)
	v_dual_fmac_f32 v17, v187, v130 :: v_dual_add_f32 v9, v9, v15
	v_dual_add_f32 v11, v11, v33 :: v_dual_fmac_f32 v19, v189, v132
	v_dual_mul_f32 v15, v201, v145 :: v_dual_fma_f32 v33, v188, v132, -v41
	s_delay_alu instid0(VALU_DEP_2) | instskip(SKIP_3) | instid1(VALU_DEP_3)
	v_dual_add_f32 v9, v9, v17 :: v_dual_add_f32 v11, v11, v35
	v_dual_mul_f32 v23, v192, v137 :: v_dual_mul_f32 v25, v194, v139
	s_wait_loadcnt 0x5
	v_dual_mul_f32 v17, v163, v147 :: v_dual_fma_f32 v35, v190, v134, -v43
	v_dual_fmac_f32 v21, v191, v134 :: v_dual_add_f32 v9, v9, v19
	v_dual_add_f32 v11, v11, v33 :: v_dual_mov_b32 v122, v149
	v_dual_fmac_f32 v23, v193, v136 :: v_dual_fma_f32 v19, v192, v136, -v45
	s_delay_alu instid0(VALU_DEP_2) | instskip(SKIP_2) | instid1(VALU_DEP_3)
	v_dual_add_f32 v9, v9, v21 :: v_dual_add_f32 v11, v11, v35
	v_dual_mul_f32 v27, v196, v141 :: v_dual_mul_f32 v29, v198, v143
	v_dual_fmac_f32 v25, v195, v138 :: v_dual_fma_f32 v21, v194, v138, -v47
	v_add_f32_e32 v9, v9, v23
	s_wait_loadcnt 0x4
	v_dual_add_f32 v11, v11, v19 :: v_dual_mov_b32 v126, v153
	v_fmac_f32_e32 v27, v197, v140
	s_delay_alu instid0(VALU_DEP_3) | instskip(SKIP_1) | instid1(VALU_DEP_4)
	v_dual_fma_f32 v19, v196, v140, -v31 :: v_dual_add_f32 v9, v9, v25
	v_fmac_f32_e32 v29, v199, v142
	v_add_f32_e32 v11, v11, v21
	v_dual_mul_f32 v217, v200, v145 :: v_dual_mul_f32 v219, v162, v147
	s_delay_alu instid0(VALU_DEP_4) | instskip(NEXT) | instid1(VALU_DEP_2)
	v_dual_fma_f32 v13, v198, v142, -v13 :: v_dual_add_f32 v9, v9, v27
	v_dual_add_f32 v11, v11, v19 :: v_dual_fmac_f32 v217, v201, v144
	v_fma_f32 v216, v200, v144, -v15
	v_pk_mul_f32 v[122:123], v[208:209], v[122:123] op_sel_hi:[1,0]
	s_delay_alu instid0(VALU_DEP_4)
	v_add_f32_e32 v131, v9, v29
	s_wait_loadcnt 0x3
	v_dual_add_f32 v130, v11, v13 :: v_dual_mov_b32 v132, v157
	v_pk_mul_f32 v[124:125], v[166:167], v[150:151] op_sel:[1,1] op_sel_hi:[0,1]
	v_dual_fmac_f32 v219, v163, v146 :: v_dual_fma_f32 v218, v162, v146, -v17
	v_pk_fma_f32 v[134:135], v[164:165], v[148:149], v[122:123] op_sel_hi:[1,0,1]
	s_delay_alu instid0(VALU_DEP_4)
	v_pk_add_f32 v[130:131], v[130:131], v[216:217]
	v_pk_fma_f32 v[122:123], v[164:165], v[148:149], v[122:123] neg_lo:[0,0,1] neg_hi:[0,0,1]
	v_pk_fma_f32 v[136:137], v[166:167], v[150:151], v[124:125] op_sel_hi:[1,0,1]
	v_pk_mul_f32 v[126:127], v[210:211], v[126:127] op_sel_hi:[1,0]
	v_mov_b32_e32 v123, v135
	v_pk_add_f32 v[130:131], v[130:131], v[218:219]
	v_pk_fma_f32 v[124:125], v[166:167], v[150:151], v[124:125] neg_lo:[0,0,1] neg_hi:[0,0,1]
	v_pk_mul_f32 v[128:129], v[170:171], v[154:155] op_sel:[1,1] op_sel_hi:[0,1]
	v_mov_b32_e32 v125, v137
	v_pk_fma_f32 v[136:137], v[168:169], v[152:153], v[126:127] op_sel_hi:[1,0,1]
	v_pk_add_f32 v[122:123], v[130:131], v[122:123]
	v_pk_fma_f32 v[126:127], v[168:169], v[152:153], v[126:127] neg_lo:[0,0,1] neg_hi:[0,0,1]
	v_pk_fma_f32 v[130:131], v[170:171], v[154:155], v[128:129] op_sel_hi:[1,0,1]
	v_pk_mul_f32 v[132:133], v[212:213], v[132:133] op_sel_hi:[1,0]
	v_mov_b32_e32 v127, v137
	v_pk_add_f32 v[122:123], v[122:123], v[124:125]
	v_pk_fma_f32 v[128:129], v[170:171], v[154:155], v[128:129] neg_lo:[0,0,1] neg_hi:[0,0,1]
	s_wait_loadcnt 0x2
	v_pk_mul_f32 v[134:135], v[174:175], v[158:159] op_sel:[1,1] op_sel_hi:[0,1]
	v_dual_mov_b32 v124, v161 :: v_dual_mov_b32 v129, v131
	v_pk_fma_f32 v[130:131], v[172:173], v[156:157], v[132:133] op_sel_hi:[1,0,1]
	v_pk_add_f32 v[122:123], v[122:123], v[126:127]
	v_pk_fma_f32 v[132:133], v[172:173], v[156:157], v[132:133] neg_lo:[0,0,1] neg_hi:[0,0,1]
	v_pk_fma_f32 v[126:127], v[174:175], v[158:159], v[134:135] op_sel_hi:[1,0,1]
	v_pk_mul_f32 v[124:125], v[214:215], v[124:125] op_sel_hi:[1,0]
	v_mov_b32_e32 v133, v131
	v_pk_add_f32 v[122:123], v[122:123], v[128:129]
	v_pk_fma_f32 v[128:129], v[174:175], v[158:159], v[134:135] neg_lo:[0,0,1] neg_hi:[0,0,1]
	v_mov_b32_e32 v129, v127
	v_pk_fma_f32 v[126:127], v[176:177], v[160:161], v[124:125] op_sel_hi:[1,0,1]
	s_wait_loadcnt_dscnt 0x100
	v_pk_mul_f32 v[130:131], v[206:207], v[202:203] op_sel:[1,1] op_sel_hi:[0,1]
	v_pk_add_f32 v[122:123], v[122:123], v[132:133]
	v_pk_fma_f32 v[124:125], v[176:177], v[160:161], v[124:125] neg_lo:[0,0,1] neg_hi:[0,0,1]
	v_mov_b32_e32 v125, v127
	s_delay_alu instid0(VALU_DEP_4) | instskip(NEXT) | instid1(VALU_DEP_4)
	v_pk_fma_f32 v[126:127], v[206:207], v[202:203], v[130:131] op_sel_hi:[1,0,1]
	v_pk_add_f32 v[122:123], v[122:123], v[128:129]
	v_pk_fma_f32 v[128:129], v[206:207], v[202:203], v[130:131] neg_lo:[0,0,1] neg_hi:[0,0,1]
	s_delay_alu instid0(VALU_DEP_3) | instskip(NEXT) | instid1(VALU_DEP_3)
	v_mov_b32_e32 v129, v127
	v_pk_add_f32 v[122:123], v[122:123], v[124:125]
	s_delay_alu instid0(VALU_DEP_1) | instskip(SKIP_1) | instid1(VALU_DEP_1)
	v_pk_add_f32 v[122:123], v[122:123], v[128:129]
	s_wait_loadcnt 0x0
	v_pk_add_f32 v[122:123], v[204:205], v[122:123] neg_lo:[0,1] neg_hi:[0,1]
	scratch_store_b64 off, v[122:123], off offset:304
	s_wait_xcnt 0x0
	v_cmpx_lt_u32_e32 37, v0
	s_cbranch_execz .LBB123_299
; %bb.298:
	scratch_load_b64 v[122:123], off, off offset:296
	v_mov_b64_e32 v[124:125], 0
	scratch_store_b64 off, v[124:125], off offset:296
	s_wait_loadcnt 0x0
	ds_store_b64 v1, v[122:123]
.LBB123_299:
	s_wait_xcnt 0x0
	s_or_b32 exec_lo, exec_lo, s0
	s_wait_storecnt_dscnt 0x0
	s_barrier_signal -1
	s_barrier_wait -1
	s_clause 0xb
	scratch_load_b128 v[122:125], off, off offset:304
	scratch_load_b128 v[126:129], off, off offset:320
	;; [unrolled: 1-line block ×11, first 2 shown]
	scratch_load_b64 v[210:211], off, off offset:296
	ds_load_b128 v[166:169], v7 offset:896
	ds_load_b128 v[170:173], v7 offset:912
	;; [unrolled: 1-line block ×11, first 2 shown]
	s_mov_b32 s0, exec_lo
	s_wait_dscnt 0xa
	v_dual_mov_b32 v212, v169 :: v_dual_mov_b32 v213, v168
	s_wait_dscnt 0x9
	v_dual_mov_b32 v214, v173 :: v_dual_mov_b32 v215, v172
	;; [unrolled: 2-line block ×4, first 2 shown]
	s_wait_loadcnt_dscnt 0xb06
	v_dual_mul_f32 v7, v182, v123 :: v_dual_mul_f32 v9, v184, v125
	v_dual_mul_f32 v31, v183, v123 :: v_dual_mul_f32 v33, v185, v125
	s_wait_loadcnt_dscnt 0xa05
	v_dual_mul_f32 v11, v186, v127 :: v_dual_mul_f32 v13, v188, v129
	s_delay_alu instid0(VALU_DEP_3) | instskip(SKIP_3) | instid1(VALU_DEP_3)
	v_dual_fmac_f32 v7, v183, v122 :: v_dual_fmac_f32 v9, v185, v124
	s_wait_loadcnt_dscnt 0x803
	v_dual_fma_f32 v31, v182, v122, -v31 :: v_dual_mul_f32 v43, v195, v135
	v_dual_mul_f32 v35, v187, v127 :: v_dual_mul_f32 v37, v189, v129
	v_dual_fma_f32 v33, v184, v124, -v33 :: v_dual_add_f32 v7, 0, v7
	s_delay_alu instid0(VALU_DEP_3) | instskip(SKIP_1) | instid1(VALU_DEP_3)
	v_dual_add_f32 v31, 0, v31 :: v_dual_mul_f32 v45, v197, v137
	v_dual_fmac_f32 v11, v187, v126 :: v_dual_fmac_f32 v13, v189, v128
	v_dual_fma_f32 v35, v186, v126, -v35 :: v_dual_add_f32 v7, v7, v9
	s_delay_alu instid0(VALU_DEP_3) | instskip(SKIP_2) | instid1(VALU_DEP_4)
	v_dual_add_f32 v9, v31, v33 :: v_dual_fma_f32 v33, v188, v128, -v37
	v_dual_mul_f32 v15, v190, v131 :: v_dual_mul_f32 v17, v192, v133
	v_dual_mul_f32 v39, v191, v131 :: v_dual_mul_f32 v41, v193, v133
	v_add_f32_e32 v7, v7, v11
	s_delay_alu instid0(VALU_DEP_3) | instskip(NEXT) | instid1(VALU_DEP_3)
	v_dual_add_f32 v9, v9, v35 :: v_dual_fmac_f32 v15, v191, v130
	v_fma_f32 v35, v190, v130, -v39
	v_dual_mul_f32 v19, v194, v135 :: v_dual_mul_f32 v21, v196, v137
	s_delay_alu instid0(VALU_DEP_4) | instskip(SKIP_2) | instid1(VALU_DEP_2)
	v_dual_add_f32 v7, v7, v13 :: v_dual_fmac_f32 v17, v193, v132
	s_wait_loadcnt_dscnt 0x601
	v_dual_add_f32 v9, v9, v33 :: v_dual_mul_f32 v13, v203, v143
	v_dual_fma_f32 v33, v192, v132, -v41 :: v_dual_add_f32 v7, v7, v15
	v_mul_f32_e32 v15, v205, v145
	s_delay_alu instid0(VALU_DEP_3) | instskip(NEXT) | instid1(VALU_DEP_3)
	v_dual_add_f32 v9, v9, v35 :: v_dual_fmac_f32 v19, v195, v134
	v_dual_fma_f32 v35, v194, v134, -v43 :: v_dual_add_f32 v7, v7, v17
	v_fmac_f32_e32 v21, v197, v136
	s_wait_loadcnt_dscnt 0x500
	s_delay_alu instid0(VALU_DEP_3) | instskip(SKIP_3) | instid1(VALU_DEP_3)
	v_dual_add_f32 v9, v9, v33 :: v_dual_mul_f32 v17, v207, v147
	v_dual_mul_f32 v23, v198, v139 :: v_dual_mul_f32 v25, v200, v141
	v_dual_mul_f32 v31, v199, v139 :: v_dual_mul_f32 v11, v201, v141
	v_dual_fma_f32 v33, v196, v136, -v45 :: v_dual_add_f32 v7, v7, v19
	v_dual_add_f32 v9, v9, v35 :: v_dual_fmac_f32 v23, v199, v138
	s_delay_alu instid0(VALU_DEP_3) | instskip(NEXT) | instid1(VALU_DEP_3)
	v_dual_mul_f32 v19, v209, v149 :: v_dual_fma_f32 v31, v198, v138, -v31
	v_dual_add_f32 v7, v7, v21 :: v_dual_fmac_f32 v25, v201, v140
	s_delay_alu instid0(VALU_DEP_3) | instskip(SKIP_2) | instid1(VALU_DEP_3)
	v_dual_add_f32 v9, v9, v33 :: v_dual_fma_f32 v11, v200, v140, -v11
	v_dual_mul_f32 v27, v202, v143 :: v_dual_mul_f32 v29, v204, v145
	s_wait_loadcnt 0x4
	v_dual_add_f32 v7, v7, v23 :: v_dual_mov_b32 v124, v153
	s_delay_alu instid0(VALU_DEP_2) | instskip(NEXT) | instid1(VALU_DEP_2)
	v_dual_add_f32 v9, v9, v31 :: v_dual_fmac_f32 v27, v203, v142
	v_dual_fma_f32 v13, v202, v142, -v13 :: v_dual_add_f32 v7, v7, v25
	v_dual_mul_f32 v221, v206, v147 :: v_dual_mul_f32 v223, v208, v149
	s_delay_alu instid0(VALU_DEP_3) | instskip(NEXT) | instid1(VALU_DEP_3)
	v_dual_add_f32 v9, v9, v11 :: v_dual_fma_f32 v11, v204, v144, -v15
	v_dual_fmac_f32 v29, v205, v144 :: v_dual_add_f32 v7, v7, v27
	v_pk_mul_f32 v[122:123], v[166:167], v[150:151] op_sel:[1,1] op_sel_hi:[0,1]
	s_delay_alu instid0(VALU_DEP_3) | instskip(SKIP_2) | instid1(VALU_DEP_2)
	v_dual_add_f32 v9, v9, v13 :: v_dual_fmac_f32 v221, v207, v146
	s_wait_loadcnt 0x3
	v_dual_mov_b32 v128, v157 :: v_dual_fma_f32 v220, v206, v146, -v17
	v_dual_add_f32 v131, v7, v29 :: v_dual_add_f32 v130, v9, v11
	v_fmac_f32_e32 v223, v209, v148
	v_pk_fma_f32 v[132:133], v[166:167], v[150:151], v[122:123] op_sel_hi:[1,0,1]
	v_fma_f32 v222, v208, v148, -v19
	v_pk_mul_f32 v[124:125], v[212:213], v[124:125] op_sel_hi:[1,0]
	v_pk_add_f32 v[130:131], v[130:131], v[220:221]
	v_pk_fma_f32 v[122:123], v[166:167], v[150:151], v[122:123] neg_lo:[0,0,1] neg_hi:[0,0,1]
	v_pk_mul_f32 v[126:127], v[170:171], v[154:155] op_sel:[1,1] op_sel_hi:[0,1]
	v_mov_b32_e32 v123, v133
	v_pk_fma_f32 v[132:133], v[168:169], v[152:153], v[124:125] op_sel_hi:[1,0,1]
	v_pk_add_f32 v[130:131], v[130:131], v[222:223]
	v_pk_fma_f32 v[124:125], v[168:169], v[152:153], v[124:125] neg_lo:[0,0,1] neg_hi:[0,0,1]
	v_pk_fma_f32 v[136:137], v[170:171], v[154:155], v[126:127] op_sel_hi:[1,0,1]
	v_pk_mul_f32 v[128:129], v[214:215], v[128:129] op_sel_hi:[1,0]
	v_mov_b32_e32 v125, v133
	v_pk_add_f32 v[122:123], v[130:131], v[122:123]
	s_wait_loadcnt 0x2
	v_pk_mul_f32 v[134:135], v[174:175], v[158:159] op_sel:[1,1] op_sel_hi:[0,1]
	v_mov_b32_e32 v130, v161
	v_pk_fma_f32 v[126:127], v[170:171], v[154:155], v[126:127] neg_lo:[0,0,1] neg_hi:[0,0,1]
	v_pk_fma_f32 v[132:133], v[172:173], v[156:157], v[128:129] op_sel_hi:[1,0,1]
	v_mov_b32_e32 v127, v137
	v_pk_add_f32 v[122:123], v[122:123], v[124:125]
	v_pk_fma_f32 v[124:125], v[174:175], v[158:159], v[134:135] op_sel_hi:[1,0,1]
	v_pk_mul_f32 v[130:131], v[216:217], v[130:131] op_sel_hi:[1,0]
	v_pk_fma_f32 v[128:129], v[172:173], v[156:157], v[128:129] neg_lo:[0,0,1] neg_hi:[0,0,1]
	v_mov_b32_e32 v129, v133
	v_pk_add_f32 v[122:123], v[122:123], v[126:127]
	v_pk_fma_f32 v[132:133], v[174:175], v[158:159], v[134:135] neg_lo:[0,0,1] neg_hi:[0,0,1]
	v_mov_b32_e32 v133, v125
	v_pk_fma_f32 v[124:125], v[176:177], v[160:161], v[130:131] op_sel_hi:[1,0,1]
	s_wait_loadcnt 0x1
	v_pk_mul_f32 v[126:127], v[178:179], v[162:163] op_sel:[1,1] op_sel_hi:[0,1]
	v_pk_add_f32 v[122:123], v[122:123], v[128:129]
	v_mov_b32_e32 v124, v165
	v_pk_fma_f32 v[130:131], v[176:177], v[160:161], v[130:131] neg_lo:[0,0,1] neg_hi:[0,0,1]
	s_delay_alu instid0(VALU_DEP_4)
	v_pk_fma_f32 v[128:129], v[178:179], v[162:163], v[126:127] op_sel_hi:[1,0,1]
	v_mov_b32_e32 v131, v125
	v_pk_add_f32 v[122:123], v[122:123], v[132:133]
	v_pk_mul_f32 v[124:125], v[218:219], v[124:125] op_sel_hi:[1,0]
	v_pk_fma_f32 v[126:127], v[178:179], v[162:163], v[126:127] neg_lo:[0,0,1] neg_hi:[0,0,1]
	v_mov_b32_e32 v127, v129
	s_delay_alu instid0(VALU_DEP_4) | instskip(NEXT) | instid1(VALU_DEP_4)
	v_pk_add_f32 v[122:123], v[122:123], v[130:131]
	v_pk_fma_f32 v[128:129], v[180:181], v[164:165], v[124:125] op_sel_hi:[1,0,1]
	v_pk_fma_f32 v[124:125], v[180:181], v[164:165], v[124:125] neg_lo:[0,0,1] neg_hi:[0,0,1]
	s_delay_alu instid0(VALU_DEP_3) | instskip(NEXT) | instid1(VALU_DEP_3)
	v_pk_add_f32 v[122:123], v[122:123], v[126:127]
	v_mov_b32_e32 v125, v129
	s_delay_alu instid0(VALU_DEP_1) | instskip(SKIP_1) | instid1(VALU_DEP_1)
	v_pk_add_f32 v[122:123], v[122:123], v[124:125]
	s_wait_loadcnt 0x0
	v_pk_add_f32 v[122:123], v[210:211], v[122:123] neg_lo:[0,1] neg_hi:[0,1]
	scratch_store_b64 off, v[122:123], off offset:296
	s_wait_xcnt 0x0
	v_cmpx_lt_u32_e32 36, v0
	s_cbranch_execz .LBB123_301
; %bb.300:
	scratch_load_b64 v[122:123], off, off offset:288
	v_mov_b64_e32 v[124:125], 0
	scratch_store_b64 off, v[124:125], off offset:288
	s_wait_loadcnt 0x0
	ds_store_b64 v1, v[122:123]
.LBB123_301:
	s_wait_xcnt 0x0
	s_or_b32 exec_lo, exec_lo, s0
	s_wait_storecnt_dscnt 0x0
	s_barrier_signal -1
	s_barrier_wait -1
	s_clause 0xc
	scratch_load_b128 v[122:125], off, off offset:296
	scratch_load_b128 v[126:129], off, off offset:312
	;; [unrolled: 1-line block ×11, first 2 shown]
	scratch_load_b64 v[210:211], off, off offset:472
	scratch_load_b64 v[212:213], off, off offset:288
	v_mov_b32_e32 v7, 0
	ds_load_2addr_b64 v[166:169], v7 offset0:111 offset1:112
	ds_load_2addr_b64 v[170:173], v7 offset0:113 offset1:114
	;; [unrolled: 1-line block ×11, first 2 shown]
	ds_load_b64 v[214:215], v7 offset:952
	s_mov_b32 s0, exec_lo
	s_wait_dscnt 0xb
	v_dual_mov_b32 v216, v169 :: v_dual_mov_b32 v217, v168
	s_wait_dscnt 0x8
	v_dual_mov_b32 v218, v173 :: v_dual_mov_b32 v223, v180
	v_dual_mov_b32 v219, v172 :: v_dual_mov_b32 v220, v177
	;; [unrolled: 1-line block ×3, first 2 shown]
	s_wait_loadcnt_dscnt 0xc07
	v_dual_mul_f32 v9, v182, v123 :: v_dual_mul_f32 v35, v183, v123
	v_dual_mul_f32 v37, v185, v125 :: v_dual_mul_f32 v11, v184, v125
	s_wait_loadcnt_dscnt 0xb06
	v_mul_f32_e32 v13, v186, v127
	s_wait_loadcnt_dscnt 0x904
	v_dual_mul_f32 v47, v195, v135 :: v_dual_fma_f32 v35, v182, v122, -v35
	v_dual_fmac_f32 v9, v183, v122 :: v_dual_mul_f32 v49, v197, v137
	v_dual_mul_f32 v39, v187, v127 :: v_dual_mul_f32 v41, v189, v129
	v_dual_fmac_f32 v11, v185, v124 :: v_dual_fma_f32 v37, v184, v124, -v37
	s_delay_alu instid0(VALU_DEP_3) | instskip(SKIP_3) | instid1(VALU_DEP_3)
	v_dual_add_f32 v9, 0, v9 :: v_dual_add_f32 v35, 0, v35
	v_dual_mul_f32 v15, v188, v129 :: v_dual_mul_f32 v17, v190, v131
	s_wait_loadcnt_dscnt 0x803
	v_dual_mul_f32 v51, v199, v139 :: v_dual_fma_f32 v39, v186, v126, -v39
	v_dual_fmac_f32 v13, v187, v126 :: v_dual_add_f32 v9, v9, v11
	s_delay_alu instid0(VALU_DEP_3) | instskip(SKIP_2) | instid1(VALU_DEP_3)
	v_dual_add_f32 v11, v35, v37 :: v_dual_fmac_f32 v15, v189, v128
	v_dual_mul_f32 v43, v191, v131 :: v_dual_mul_f32 v45, v193, v133
	v_dual_mul_f32 v35, v201, v141 :: v_dual_fma_f32 v37, v188, v128, -v41
	v_dual_add_f32 v9, v9, v13 :: v_dual_add_f32 v11, v11, v39
	v_dual_mul_f32 v19, v192, v133 :: v_dual_mul_f32 v21, v194, v135
	s_wait_loadcnt_dscnt 0x701
	v_dual_mul_f32 v13, v207, v143 :: v_dual_fma_f32 v39, v190, v130, -v43
	s_delay_alu instid0(VALU_DEP_3) | instskip(NEXT) | instid1(VALU_DEP_3)
	v_dual_fmac_f32 v17, v191, v130 :: v_dual_add_f32 v9, v9, v15
	v_dual_add_f32 v11, v11, v37 :: v_dual_fmac_f32 v19, v193, v132
	v_dual_mul_f32 v15, v209, v145 :: v_dual_fma_f32 v37, v192, v132, -v45
	s_delay_alu instid0(VALU_DEP_2) | instskip(SKIP_3) | instid1(VALU_DEP_3)
	v_dual_add_f32 v9, v9, v17 :: v_dual_add_f32 v11, v11, v39
	v_dual_mul_f32 v23, v196, v137 :: v_dual_mul_f32 v25, v198, v139
	s_wait_loadcnt 0x6
	v_dual_mul_f32 v17, v203, v147 :: v_dual_fma_f32 v39, v194, v134, -v47
	v_dual_fmac_f32 v21, v195, v134 :: v_dual_add_f32 v9, v9, v19
	s_delay_alu instid0(VALU_DEP_3) | instskip(SKIP_1) | instid1(VALU_DEP_2)
	v_dual_add_f32 v11, v11, v37 :: v_dual_fmac_f32 v23, v197, v136
	v_dual_mul_f32 v19, v205, v149 :: v_dual_fma_f32 v37, v196, v136, -v49
	v_dual_add_f32 v9, v9, v21 :: v_dual_add_f32 v11, v11, v39
	v_dual_mul_f32 v27, v200, v141 :: v_dual_mul_f32 v29, v206, v143
	s_wait_loadcnt 0x5
	v_dual_mul_f32 v21, v167, v151 :: v_dual_fma_f32 v39, v198, v138, -v51
	s_delay_alu instid0(VALU_DEP_3) | instskip(SKIP_2) | instid1(VALU_DEP_3)
	v_dual_fmac_f32 v25, v199, v138 :: v_dual_add_f32 v9, v9, v23
	v_dual_add_f32 v11, v11, v37 :: v_dual_mov_b32 v122, v153
	v_fmac_f32_e32 v27, v201, v140
	v_dual_fma_f32 v23, v200, v140, -v35 :: v_dual_add_f32 v9, v9, v25
	s_delay_alu instid0(VALU_DEP_3) | instskip(SKIP_1) | instid1(VALU_DEP_3)
	v_dual_add_f32 v11, v11, v39 :: v_dual_mul_f32 v31, v208, v145
	v_dual_mul_f32 v33, v202, v147 :: v_dual_fmac_f32 v29, v207, v142
	v_dual_add_f32 v9, v9, v27 :: v_dual_fma_f32 v13, v206, v142, -v13
	s_wait_loadcnt 0x4
	s_delay_alu instid0(VALU_DEP_3) | instskip(SKIP_3) | instid1(VALU_DEP_4)
	v_dual_add_f32 v11, v11, v23 :: v_dual_mov_b32 v126, v157
	v_fma_f32 v15, v208, v144, -v15
	v_fmac_f32_e32 v31, v209, v144
	v_dual_add_f32 v9, v9, v29 :: v_dual_fmac_f32 v33, v203, v146
	v_add_f32_e32 v11, v11, v13
	v_dual_mul_f32 v225, v204, v149 :: v_dual_mul_f32 v227, v166, v151
	s_delay_alu instid0(VALU_DEP_3) | instskip(NEXT) | instid1(VALU_DEP_2)
	v_dual_fma_f32 v13, v202, v146, -v17 :: v_dual_add_f32 v9, v9, v31
	v_dual_add_f32 v11, v11, v15 :: v_dual_fmac_f32 v225, v205, v148
	v_fma_f32 v224, v204, v148, -v19
	v_pk_mul_f32 v[122:123], v[216:217], v[122:123] op_sel_hi:[1,0]
	s_delay_alu instid0(VALU_DEP_4)
	v_add_f32_e32 v131, v9, v33
	s_wait_loadcnt 0x3
	v_dual_add_f32 v130, v11, v13 :: v_dual_mov_b32 v132, v161
	v_pk_mul_f32 v[124:125], v[170:171], v[154:155] op_sel:[1,1] op_sel_hi:[0,1]
	v_dual_fmac_f32 v227, v167, v150 :: v_dual_fma_f32 v226, v166, v150, -v21
	v_pk_fma_f32 v[134:135], v[168:169], v[152:153], v[122:123] op_sel_hi:[1,0,1]
	s_delay_alu instid0(VALU_DEP_4)
	v_pk_add_f32 v[130:131], v[130:131], v[224:225]
	v_pk_fma_f32 v[122:123], v[168:169], v[152:153], v[122:123] neg_lo:[0,0,1] neg_hi:[0,0,1]
	v_pk_fma_f32 v[136:137], v[170:171], v[154:155], v[124:125] op_sel_hi:[1,0,1]
	v_pk_mul_f32 v[126:127], v[218:219], v[126:127] op_sel_hi:[1,0]
	v_mov_b32_e32 v123, v135
	v_pk_add_f32 v[130:131], v[130:131], v[226:227]
	v_pk_fma_f32 v[124:125], v[170:171], v[154:155], v[124:125] neg_lo:[0,0,1] neg_hi:[0,0,1]
	v_pk_mul_f32 v[128:129], v[174:175], v[158:159] op_sel:[1,1] op_sel_hi:[0,1]
	v_mov_b32_e32 v125, v137
	v_pk_fma_f32 v[136:137], v[172:173], v[156:157], v[126:127] op_sel_hi:[1,0,1]
	v_pk_add_f32 v[122:123], v[130:131], v[122:123]
	v_pk_fma_f32 v[126:127], v[172:173], v[156:157], v[126:127] neg_lo:[0,0,1] neg_hi:[0,0,1]
	v_pk_fma_f32 v[130:131], v[174:175], v[158:159], v[128:129] op_sel_hi:[1,0,1]
	v_pk_mul_f32 v[132:133], v[220:221], v[132:133] op_sel_hi:[1,0]
	v_mov_b32_e32 v127, v137
	v_pk_add_f32 v[122:123], v[122:123], v[124:125]
	v_pk_fma_f32 v[128:129], v[174:175], v[158:159], v[128:129] neg_lo:[0,0,1] neg_hi:[0,0,1]
	s_wait_loadcnt 0x2
	v_pk_mul_f32 v[134:135], v[178:179], v[162:163] op_sel:[1,1] op_sel_hi:[0,1]
	v_dual_mov_b32 v124, v165 :: v_dual_mov_b32 v129, v131
	v_pk_fma_f32 v[130:131], v[176:177], v[160:161], v[132:133] op_sel_hi:[1,0,1]
	v_pk_add_f32 v[122:123], v[122:123], v[126:127]
	v_pk_fma_f32 v[132:133], v[176:177], v[160:161], v[132:133] neg_lo:[0,0,1] neg_hi:[0,0,1]
	v_pk_fma_f32 v[126:127], v[178:179], v[162:163], v[134:135] op_sel_hi:[1,0,1]
	v_pk_mul_f32 v[124:125], v[222:223], v[124:125] op_sel_hi:[1,0]
	v_mov_b32_e32 v133, v131
	v_pk_add_f32 v[122:123], v[122:123], v[128:129]
	v_pk_fma_f32 v[128:129], v[178:179], v[162:163], v[134:135] neg_lo:[0,0,1] neg_hi:[0,0,1]
	v_mov_b32_e32 v129, v127
	v_pk_fma_f32 v[126:127], v[180:181], v[164:165], v[124:125] op_sel_hi:[1,0,1]
	s_wait_loadcnt_dscnt 0x100
	v_pk_mul_f32 v[130:131], v[214:215], v[210:211] op_sel:[1,1] op_sel_hi:[0,1]
	v_pk_add_f32 v[122:123], v[122:123], v[132:133]
	v_pk_fma_f32 v[124:125], v[180:181], v[164:165], v[124:125] neg_lo:[0,0,1] neg_hi:[0,0,1]
	v_mov_b32_e32 v125, v127
	s_delay_alu instid0(VALU_DEP_4) | instskip(NEXT) | instid1(VALU_DEP_4)
	v_pk_fma_f32 v[126:127], v[214:215], v[210:211], v[130:131] op_sel_hi:[1,0,1]
	v_pk_add_f32 v[122:123], v[122:123], v[128:129]
	v_pk_fma_f32 v[128:129], v[214:215], v[210:211], v[130:131] neg_lo:[0,0,1] neg_hi:[0,0,1]
	s_delay_alu instid0(VALU_DEP_3) | instskip(NEXT) | instid1(VALU_DEP_3)
	v_mov_b32_e32 v129, v127
	v_pk_add_f32 v[122:123], v[122:123], v[124:125]
	s_delay_alu instid0(VALU_DEP_1) | instskip(SKIP_1) | instid1(VALU_DEP_1)
	v_pk_add_f32 v[122:123], v[122:123], v[128:129]
	s_wait_loadcnt 0x0
	v_pk_add_f32 v[122:123], v[212:213], v[122:123] neg_lo:[0,1] neg_hi:[0,1]
	scratch_store_b64 off, v[122:123], off offset:288
	s_wait_xcnt 0x0
	v_cmpx_lt_u32_e32 35, v0
	s_cbranch_execz .LBB123_303
; %bb.302:
	scratch_load_b64 v[122:123], off, off offset:280
	v_mov_b64_e32 v[124:125], 0
	scratch_store_b64 off, v[124:125], off offset:280
	s_wait_loadcnt 0x0
	ds_store_b64 v1, v[122:123]
.LBB123_303:
	s_wait_xcnt 0x0
	s_or_b32 exec_lo, exec_lo, s0
	s_wait_storecnt_dscnt 0x0
	s_barrier_signal -1
	s_barrier_wait -1
	s_clause 0xc
	scratch_load_b128 v[122:125], off, off offset:288
	scratch_load_b128 v[126:129], off, off offset:304
	scratch_load_b128 v[130:133], off, off offset:320
	scratch_load_b128 v[134:137], off, off offset:336
	scratch_load_b128 v[138:141], off, off offset:352
	scratch_load_b128 v[142:145], off, off offset:368
	scratch_load_b128 v[146:149], off, off offset:384
	scratch_load_b128 v[150:153], off, off offset:400
	scratch_load_b128 v[154:157], off, off offset:416
	scratch_load_b128 v[158:161], off, off offset:432
	scratch_load_b128 v[162:165], off, off offset:448
	scratch_load_b128 v[166:169], off, off offset:464
	scratch_load_b64 v[218:219], off, off offset:280
	ds_load_b128 v[170:173], v7 offset:896
	ds_load_b128 v[174:177], v7 offset:912
	;; [unrolled: 1-line block ×12, first 2 shown]
	s_mov_b32 s0, exec_lo
	s_wait_dscnt 0xb
	v_dual_mov_b32 v220, v173 :: v_dual_mov_b32 v221, v172
	s_wait_dscnt 0xa
	v_dual_mov_b32 v222, v177 :: v_dual_mov_b32 v223, v176
	;; [unrolled: 2-line block ×4, first 2 shown]
	s_wait_loadcnt_dscnt 0xc07
	v_dual_mul_f32 v7, v186, v123 :: v_dual_mul_f32 v9, v188, v125
	v_dual_mul_f32 v35, v187, v123 :: v_dual_mul_f32 v37, v189, v125
	s_wait_loadcnt_dscnt 0xb06
	v_dual_mul_f32 v11, v190, v127 :: v_dual_mul_f32 v13, v192, v129
	s_delay_alu instid0(VALU_DEP_3) | instskip(SKIP_3) | instid1(VALU_DEP_3)
	v_dual_fmac_f32 v7, v187, v122 :: v_dual_fmac_f32 v9, v189, v124
	s_wait_loadcnt_dscnt 0x904
	v_dual_fma_f32 v35, v186, v122, -v35 :: v_dual_mul_f32 v47, v199, v135
	v_dual_mul_f32 v39, v191, v127 :: v_dual_mul_f32 v41, v193, v129
	v_dual_fma_f32 v37, v188, v124, -v37 :: v_dual_add_f32 v7, 0, v7
	s_delay_alu instid0(VALU_DEP_3) | instskip(SKIP_1) | instid1(VALU_DEP_3)
	v_dual_add_f32 v35, 0, v35 :: v_dual_mul_f32 v49, v201, v137
	v_dual_fmac_f32 v11, v191, v126 :: v_dual_fmac_f32 v13, v193, v128
	v_dual_fma_f32 v39, v190, v126, -v39 :: v_dual_add_f32 v7, v7, v9
	s_delay_alu instid0(VALU_DEP_3) | instskip(SKIP_2) | instid1(VALU_DEP_4)
	v_dual_add_f32 v9, v35, v37 :: v_dual_fma_f32 v37, v192, v128, -v41
	v_dual_mul_f32 v15, v194, v131 :: v_dual_mul_f32 v17, v196, v133
	v_dual_mul_f32 v43, v195, v131 :: v_dual_mul_f32 v45, v197, v133
	v_add_f32_e32 v7, v7, v11
	s_delay_alu instid0(VALU_DEP_3) | instskip(NEXT) | instid1(VALU_DEP_3)
	v_dual_add_f32 v9, v9, v39 :: v_dual_fmac_f32 v15, v195, v130
	v_fma_f32 v39, v194, v130, -v43
	v_dual_mul_f32 v19, v198, v135 :: v_dual_mul_f32 v21, v200, v137
	s_delay_alu instid0(VALU_DEP_4) | instskip(SKIP_2) | instid1(VALU_DEP_2)
	v_dual_add_f32 v7, v7, v13 :: v_dual_fmac_f32 v17, v197, v132
	s_wait_loadcnt_dscnt 0x702
	v_dual_add_f32 v9, v9, v37 :: v_dual_mul_f32 v13, v207, v143
	v_dual_fma_f32 v37, v196, v132, -v45 :: v_dual_add_f32 v7, v7, v15
	v_mul_f32_e32 v15, v209, v145
	s_delay_alu instid0(VALU_DEP_3) | instskip(NEXT) | instid1(VALU_DEP_3)
	v_dual_add_f32 v9, v9, v39 :: v_dual_fmac_f32 v19, v199, v134
	v_dual_fma_f32 v39, v198, v134, -v47 :: v_dual_add_f32 v7, v7, v17
	v_fmac_f32_e32 v21, v201, v136
	s_wait_loadcnt_dscnt 0x601
	s_delay_alu instid0(VALU_DEP_3) | instskip(SKIP_3) | instid1(VALU_DEP_3)
	v_dual_add_f32 v9, v9, v37 :: v_dual_mul_f32 v17, v211, v147
	v_dual_mul_f32 v23, v202, v139 :: v_dual_mul_f32 v25, v204, v141
	v_dual_mul_f32 v35, v203, v139 :: v_dual_mul_f32 v11, v205, v141
	v_dual_fma_f32 v37, v200, v136, -v49 :: v_dual_add_f32 v7, v7, v19
	v_dual_add_f32 v9, v9, v39 :: v_dual_fmac_f32 v23, v203, v138
	s_delay_alu instid0(VALU_DEP_3) | instskip(NEXT) | instid1(VALU_DEP_3)
	v_dual_mul_f32 v19, v213, v149 :: v_dual_fma_f32 v35, v202, v138, -v35
	v_dual_add_f32 v7, v7, v21 :: v_dual_fmac_f32 v25, v205, v140
	s_wait_loadcnt_dscnt 0x500
	s_delay_alu instid0(VALU_DEP_3) | instskip(SKIP_1) | instid1(VALU_DEP_3)
	v_dual_add_f32 v9, v9, v37 :: v_dual_mul_f32 v21, v215, v151
	v_dual_mul_f32 v27, v206, v143 :: v_dual_mul_f32 v29, v208, v145
	v_dual_fma_f32 v11, v204, v140, -v11 :: v_dual_add_f32 v7, v7, v23
	s_delay_alu instid0(VALU_DEP_2) | instskip(SKIP_1) | instid1(VALU_DEP_2)
	v_dual_add_f32 v9, v9, v35 :: v_dual_fmac_f32 v27, v207, v142
	v_dual_mul_f32 v23, v217, v153 :: v_dual_fma_f32 v13, v206, v142, -v13
	v_dual_add_f32 v7, v7, v25 :: v_dual_add_f32 v9, v9, v11
	v_dual_mul_f32 v31, v210, v147 :: v_dual_mul_f32 v33, v212, v149
	v_dual_fmac_f32 v29, v209, v144 :: v_dual_fma_f32 v11, v208, v144, -v15
	s_delay_alu instid0(VALU_DEP_3) | instskip(SKIP_1) | instid1(VALU_DEP_3)
	v_dual_add_f32 v7, v7, v27 :: v_dual_add_f32 v9, v9, v13
	s_wait_loadcnt 0x4
	v_dual_mov_b32 v124, v157 :: v_dual_fmac_f32 v31, v211, v146
	s_delay_alu instid0(VALU_DEP_2) | instskip(NEXT) | instid1(VALU_DEP_3)
	v_dual_fma_f32 v13, v210, v146, -v17 :: v_dual_add_f32 v7, v7, v29
	v_dual_add_f32 v9, v9, v11 :: v_dual_fma_f32 v11, v212, v148, -v19
	v_dual_mul_f32 v229, v214, v151 :: v_dual_mul_f32 v231, v216, v153
	s_delay_alu instid0(VALU_DEP_3) | instskip(NEXT) | instid1(VALU_DEP_2)
	v_dual_fmac_f32 v33, v213, v148 :: v_dual_add_f32 v7, v7, v31
	v_dual_add_f32 v9, v9, v13 :: v_dual_fmac_f32 v229, v215, v150
	v_pk_mul_f32 v[122:123], v[170:171], v[154:155] op_sel:[1,1] op_sel_hi:[0,1]
	s_wait_loadcnt 0x3
	v_dual_mov_b32 v128, v161 :: v_dual_fma_f32 v228, v214, v150, -v21
	s_delay_alu instid0(VALU_DEP_3)
	v_dual_add_f32 v131, v7, v33 :: v_dual_add_f32 v130, v9, v11
	v_fmac_f32_e32 v231, v217, v152
	v_pk_fma_f32 v[132:133], v[170:171], v[154:155], v[122:123] op_sel_hi:[1,0,1]
	v_fma_f32 v230, v216, v152, -v23
	v_pk_mul_f32 v[124:125], v[220:221], v[124:125] op_sel_hi:[1,0]
	v_pk_add_f32 v[130:131], v[130:131], v[228:229]
	v_pk_fma_f32 v[122:123], v[170:171], v[154:155], v[122:123] neg_lo:[0,0,1] neg_hi:[0,0,1]
	v_pk_mul_f32 v[126:127], v[174:175], v[158:159] op_sel:[1,1] op_sel_hi:[0,1]
	v_mov_b32_e32 v123, v133
	v_pk_fma_f32 v[132:133], v[172:173], v[156:157], v[124:125] op_sel_hi:[1,0,1]
	v_pk_add_f32 v[130:131], v[130:131], v[230:231]
	v_pk_fma_f32 v[124:125], v[172:173], v[156:157], v[124:125] neg_lo:[0,0,1] neg_hi:[0,0,1]
	v_pk_fma_f32 v[136:137], v[174:175], v[158:159], v[126:127] op_sel_hi:[1,0,1]
	v_pk_mul_f32 v[128:129], v[222:223], v[128:129] op_sel_hi:[1,0]
	v_mov_b32_e32 v125, v133
	v_pk_add_f32 v[122:123], v[130:131], v[122:123]
	s_wait_loadcnt 0x2
	v_pk_mul_f32 v[134:135], v[178:179], v[162:163] op_sel:[1,1] op_sel_hi:[0,1]
	v_mov_b32_e32 v130, v165
	v_pk_fma_f32 v[126:127], v[174:175], v[158:159], v[126:127] neg_lo:[0,0,1] neg_hi:[0,0,1]
	v_pk_fma_f32 v[132:133], v[176:177], v[160:161], v[128:129] op_sel_hi:[1,0,1]
	v_mov_b32_e32 v127, v137
	v_pk_add_f32 v[122:123], v[122:123], v[124:125]
	v_pk_fma_f32 v[124:125], v[178:179], v[162:163], v[134:135] op_sel_hi:[1,0,1]
	v_pk_mul_f32 v[130:131], v[224:225], v[130:131] op_sel_hi:[1,0]
	v_pk_fma_f32 v[128:129], v[176:177], v[160:161], v[128:129] neg_lo:[0,0,1] neg_hi:[0,0,1]
	v_mov_b32_e32 v129, v133
	v_pk_add_f32 v[122:123], v[122:123], v[126:127]
	v_pk_fma_f32 v[132:133], v[178:179], v[162:163], v[134:135] neg_lo:[0,0,1] neg_hi:[0,0,1]
	v_mov_b32_e32 v133, v125
	v_pk_fma_f32 v[124:125], v[180:181], v[164:165], v[130:131] op_sel_hi:[1,0,1]
	s_wait_loadcnt 0x1
	v_pk_mul_f32 v[126:127], v[182:183], v[166:167] op_sel:[1,1] op_sel_hi:[0,1]
	v_pk_add_f32 v[122:123], v[122:123], v[128:129]
	v_mov_b32_e32 v124, v169
	v_pk_fma_f32 v[130:131], v[180:181], v[164:165], v[130:131] neg_lo:[0,0,1] neg_hi:[0,0,1]
	s_delay_alu instid0(VALU_DEP_4)
	v_pk_fma_f32 v[128:129], v[182:183], v[166:167], v[126:127] op_sel_hi:[1,0,1]
	v_mov_b32_e32 v131, v125
	v_pk_add_f32 v[122:123], v[122:123], v[132:133]
	v_pk_mul_f32 v[124:125], v[226:227], v[124:125] op_sel_hi:[1,0]
	v_pk_fma_f32 v[126:127], v[182:183], v[166:167], v[126:127] neg_lo:[0,0,1] neg_hi:[0,0,1]
	v_mov_b32_e32 v127, v129
	s_delay_alu instid0(VALU_DEP_4) | instskip(NEXT) | instid1(VALU_DEP_4)
	v_pk_add_f32 v[122:123], v[122:123], v[130:131]
	v_pk_fma_f32 v[128:129], v[184:185], v[168:169], v[124:125] op_sel_hi:[1,0,1]
	v_pk_fma_f32 v[124:125], v[184:185], v[168:169], v[124:125] neg_lo:[0,0,1] neg_hi:[0,0,1]
	s_delay_alu instid0(VALU_DEP_3) | instskip(NEXT) | instid1(VALU_DEP_3)
	v_pk_add_f32 v[122:123], v[122:123], v[126:127]
	v_mov_b32_e32 v125, v129
	s_delay_alu instid0(VALU_DEP_1) | instskip(SKIP_1) | instid1(VALU_DEP_1)
	v_pk_add_f32 v[122:123], v[122:123], v[124:125]
	s_wait_loadcnt 0x0
	v_pk_add_f32 v[122:123], v[218:219], v[122:123] neg_lo:[0,1] neg_hi:[0,1]
	scratch_store_b64 off, v[122:123], off offset:280
	s_wait_xcnt 0x0
	v_cmpx_lt_u32_e32 34, v0
	s_cbranch_execz .LBB123_305
; %bb.304:
	scratch_load_b64 v[122:123], off, off offset:272
	v_mov_b64_e32 v[124:125], 0
	scratch_store_b64 off, v[124:125], off offset:272
	s_wait_loadcnt 0x0
	ds_store_b64 v1, v[122:123]
.LBB123_305:
	s_wait_xcnt 0x0
	s_or_b32 exec_lo, exec_lo, s0
	s_wait_storecnt_dscnt 0x0
	s_barrier_signal -1
	s_barrier_wait -1
	s_clause 0xd
	scratch_load_b128 v[122:125], off, off offset:280
	scratch_load_b128 v[126:129], off, off offset:296
	;; [unrolled: 1-line block ×12, first 2 shown]
	scratch_load_b64 v[218:219], off, off offset:472
	scratch_load_b64 v[220:221], off, off offset:272
	v_mov_b32_e32 v7, 0
	ds_load_2addr_b64 v[170:173], v7 offset0:111 offset1:112
	ds_load_2addr_b64 v[174:177], v7 offset0:113 offset1:114
	;; [unrolled: 1-line block ×12, first 2 shown]
	ds_load_b64 v[222:223], v7 offset:952
	s_mov_b32 s0, exec_lo
	s_wait_dscnt 0xc
	v_dual_mov_b32 v224, v173 :: v_dual_mov_b32 v225, v172
	s_wait_dscnt 0x9
	v_dual_mov_b32 v226, v177 :: v_dual_mov_b32 v231, v184
	v_dual_mov_b32 v227, v176 :: v_dual_mov_b32 v228, v181
	;; [unrolled: 1-line block ×3, first 2 shown]
	s_wait_loadcnt_dscnt 0xd08
	v_dual_mul_f32 v9, v186, v123 :: v_dual_mul_f32 v39, v187, v123
	v_dual_mul_f32 v41, v189, v125 :: v_dual_mul_f32 v11, v188, v125
	s_wait_loadcnt_dscnt 0xc07
	v_mul_f32_e32 v13, v190, v127
	s_wait_loadcnt_dscnt 0xa05
	v_dual_mul_f32 v51, v199, v135 :: v_dual_fma_f32 v39, v186, v122, -v39
	v_dual_fmac_f32 v9, v187, v122 :: v_dual_mul_f32 v53, v201, v137
	v_dual_mul_f32 v43, v191, v127 :: v_dual_mul_f32 v45, v193, v129
	v_dual_fmac_f32 v11, v189, v124 :: v_dual_fma_f32 v41, v188, v124, -v41
	s_delay_alu instid0(VALU_DEP_3) | instskip(SKIP_3) | instid1(VALU_DEP_3)
	v_dual_add_f32 v9, 0, v9 :: v_dual_add_f32 v39, 0, v39
	v_dual_mul_f32 v15, v192, v129 :: v_dual_mul_f32 v17, v194, v131
	s_wait_loadcnt_dscnt 0x904
	v_dual_mul_f32 v55, v203, v139 :: v_dual_fma_f32 v43, v190, v126, -v43
	v_dual_fmac_f32 v13, v191, v126 :: v_dual_add_f32 v9, v9, v11
	s_delay_alu instid0(VALU_DEP_3) | instskip(SKIP_2) | instid1(VALU_DEP_3)
	v_dual_add_f32 v11, v39, v41 :: v_dual_fmac_f32 v15, v193, v128
	v_dual_mul_f32 v47, v195, v131 :: v_dual_mul_f32 v49, v197, v133
	v_dual_mul_f32 v39, v205, v141 :: v_dual_fma_f32 v41, v192, v128, -v45
	v_dual_add_f32 v9, v9, v13 :: v_dual_add_f32 v11, v11, v43
	v_dual_mul_f32 v19, v196, v133 :: v_dual_mul_f32 v21, v198, v135
	s_wait_loadcnt_dscnt 0x803
	v_dual_mul_f32 v13, v207, v143 :: v_dual_fma_f32 v43, v194, v130, -v47
	s_delay_alu instid0(VALU_DEP_3) | instskip(NEXT) | instid1(VALU_DEP_3)
	v_dual_fmac_f32 v17, v195, v130 :: v_dual_add_f32 v9, v9, v15
	v_dual_add_f32 v11, v11, v41 :: v_dual_fmac_f32 v19, v197, v132
	v_dual_mul_f32 v15, v209, v145 :: v_dual_fma_f32 v41, v196, v132, -v49
	s_delay_alu instid0(VALU_DEP_2) | instskip(SKIP_3) | instid1(VALU_DEP_3)
	v_dual_add_f32 v9, v9, v17 :: v_dual_add_f32 v11, v11, v43
	v_dual_mul_f32 v23, v200, v137 :: v_dual_mul_f32 v25, v202, v139
	s_wait_loadcnt_dscnt 0x702
	v_dual_mul_f32 v17, v211, v147 :: v_dual_fma_f32 v43, v198, v134, -v51
	v_dual_fmac_f32 v21, v199, v134 :: v_dual_add_f32 v9, v9, v19
	s_delay_alu instid0(VALU_DEP_3) | instskip(SKIP_1) | instid1(VALU_DEP_2)
	v_dual_add_f32 v11, v11, v41 :: v_dual_fmac_f32 v23, v201, v136
	v_dual_mul_f32 v19, v213, v149 :: v_dual_fma_f32 v41, v200, v136, -v53
	v_dual_add_f32 v9, v9, v21 :: v_dual_add_f32 v11, v11, v43
	v_dual_mul_f32 v27, v204, v141 :: v_dual_mul_f32 v29, v206, v143
	s_wait_loadcnt_dscnt 0x601
	v_dual_mul_f32 v21, v215, v151 :: v_dual_fma_f32 v43, v202, v138, -v55
	s_delay_alu instid0(VALU_DEP_3) | instskip(NEXT) | instid1(VALU_DEP_3)
	v_dual_fmac_f32 v25, v203, v138 :: v_dual_add_f32 v9, v9, v23
	v_dual_add_f32 v11, v11, v41 :: v_dual_fmac_f32 v27, v205, v140
	v_dual_mul_f32 v23, v217, v153 :: v_dual_fma_f32 v39, v204, v140, -v39
	s_delay_alu instid0(VALU_DEP_2) | instskip(SKIP_3) | instid1(VALU_DEP_3)
	v_dual_add_f32 v9, v9, v25 :: v_dual_add_f32 v11, v11, v43
	v_dual_mul_f32 v31, v208, v145 :: v_dual_mul_f32 v33, v210, v147
	s_wait_loadcnt 0x5
	v_dual_mul_f32 v25, v171, v155 :: v_dual_fma_f32 v13, v206, v142, -v13
	v_dual_fmac_f32 v29, v207, v142 :: v_dual_add_f32 v9, v9, v27
	v_dual_add_f32 v11, v11, v39 :: v_dual_mov_b32 v122, v157
	v_fmac_f32_e32 v31, v209, v144
	s_delay_alu instid0(VALU_DEP_3) | instskip(NEXT) | instid1(VALU_DEP_3)
	v_dual_fma_f32 v15, v208, v144, -v15 :: v_dual_add_f32 v9, v9, v29
	v_add_f32_e32 v11, v11, v13
	v_dual_mul_f32 v35, v212, v149 :: v_dual_mul_f32 v37, v214, v151
	s_delay_alu instid0(VALU_DEP_3) | instskip(NEXT) | instid1(VALU_DEP_3)
	v_dual_fmac_f32 v33, v211, v146 :: v_dual_add_f32 v9, v9, v31
	v_dual_fma_f32 v13, v210, v146, -v17 :: v_dual_add_f32 v11, v11, v15
	s_wait_loadcnt 0x4
	v_dual_mov_b32 v126, v161 :: v_dual_fma_f32 v15, v212, v148, -v19
	v_fmac_f32_e32 v35, v213, v148
	v_dual_add_f32 v9, v9, v33 :: v_dual_fmac_f32 v37, v215, v150
	v_add_f32_e32 v11, v11, v13
	v_dual_mul_f32 v233, v216, v153 :: v_dual_mul_f32 v235, v170, v155
	s_delay_alu instid0(VALU_DEP_3) | instskip(NEXT) | instid1(VALU_DEP_2)
	v_dual_fma_f32 v13, v214, v150, -v21 :: v_dual_add_f32 v9, v9, v35
	v_dual_add_f32 v11, v11, v15 :: v_dual_fmac_f32 v233, v217, v152
	v_fma_f32 v232, v216, v152, -v23
	v_pk_mul_f32 v[122:123], v[224:225], v[122:123] op_sel_hi:[1,0]
	s_delay_alu instid0(VALU_DEP_4)
	v_add_f32_e32 v131, v9, v37
	s_wait_loadcnt 0x3
	v_dual_add_f32 v130, v11, v13 :: v_dual_mov_b32 v132, v165
	v_pk_mul_f32 v[124:125], v[174:175], v[158:159] op_sel:[1,1] op_sel_hi:[0,1]
	v_dual_fmac_f32 v235, v171, v154 :: v_dual_fma_f32 v234, v170, v154, -v25
	v_pk_fma_f32 v[134:135], v[172:173], v[156:157], v[122:123] op_sel_hi:[1,0,1]
	s_delay_alu instid0(VALU_DEP_4)
	v_pk_add_f32 v[130:131], v[130:131], v[232:233]
	v_pk_fma_f32 v[122:123], v[172:173], v[156:157], v[122:123] neg_lo:[0,0,1] neg_hi:[0,0,1]
	v_pk_fma_f32 v[136:137], v[174:175], v[158:159], v[124:125] op_sel_hi:[1,0,1]
	v_pk_mul_f32 v[126:127], v[226:227], v[126:127] op_sel_hi:[1,0]
	v_mov_b32_e32 v123, v135
	v_pk_add_f32 v[130:131], v[130:131], v[234:235]
	v_pk_fma_f32 v[124:125], v[174:175], v[158:159], v[124:125] neg_lo:[0,0,1] neg_hi:[0,0,1]
	v_pk_mul_f32 v[128:129], v[178:179], v[162:163] op_sel:[1,1] op_sel_hi:[0,1]
	v_mov_b32_e32 v125, v137
	v_pk_fma_f32 v[136:137], v[176:177], v[160:161], v[126:127] op_sel_hi:[1,0,1]
	v_pk_add_f32 v[122:123], v[130:131], v[122:123]
	v_pk_fma_f32 v[126:127], v[176:177], v[160:161], v[126:127] neg_lo:[0,0,1] neg_hi:[0,0,1]
	v_pk_fma_f32 v[130:131], v[178:179], v[162:163], v[128:129] op_sel_hi:[1,0,1]
	v_pk_mul_f32 v[132:133], v[228:229], v[132:133] op_sel_hi:[1,0]
	v_mov_b32_e32 v127, v137
	v_pk_add_f32 v[122:123], v[122:123], v[124:125]
	v_pk_fma_f32 v[128:129], v[178:179], v[162:163], v[128:129] neg_lo:[0,0,1] neg_hi:[0,0,1]
	s_wait_loadcnt 0x2
	v_pk_mul_f32 v[134:135], v[182:183], v[166:167] op_sel:[1,1] op_sel_hi:[0,1]
	v_dual_mov_b32 v124, v169 :: v_dual_mov_b32 v129, v131
	v_pk_fma_f32 v[130:131], v[180:181], v[164:165], v[132:133] op_sel_hi:[1,0,1]
	v_pk_add_f32 v[122:123], v[122:123], v[126:127]
	v_pk_fma_f32 v[132:133], v[180:181], v[164:165], v[132:133] neg_lo:[0,0,1] neg_hi:[0,0,1]
	v_pk_fma_f32 v[126:127], v[182:183], v[166:167], v[134:135] op_sel_hi:[1,0,1]
	v_pk_mul_f32 v[124:125], v[230:231], v[124:125] op_sel_hi:[1,0]
	v_mov_b32_e32 v133, v131
	v_pk_add_f32 v[122:123], v[122:123], v[128:129]
	v_pk_fma_f32 v[128:129], v[182:183], v[166:167], v[134:135] neg_lo:[0,0,1] neg_hi:[0,0,1]
	v_mov_b32_e32 v129, v127
	v_pk_fma_f32 v[126:127], v[184:185], v[168:169], v[124:125] op_sel_hi:[1,0,1]
	s_wait_loadcnt_dscnt 0x100
	v_pk_mul_f32 v[130:131], v[222:223], v[218:219] op_sel:[1,1] op_sel_hi:[0,1]
	v_pk_add_f32 v[122:123], v[122:123], v[132:133]
	v_pk_fma_f32 v[124:125], v[184:185], v[168:169], v[124:125] neg_lo:[0,0,1] neg_hi:[0,0,1]
	v_mov_b32_e32 v125, v127
	s_delay_alu instid0(VALU_DEP_4) | instskip(NEXT) | instid1(VALU_DEP_4)
	v_pk_fma_f32 v[126:127], v[222:223], v[218:219], v[130:131] op_sel_hi:[1,0,1]
	v_pk_add_f32 v[122:123], v[122:123], v[128:129]
	v_pk_fma_f32 v[128:129], v[222:223], v[218:219], v[130:131] neg_lo:[0,0,1] neg_hi:[0,0,1]
	s_delay_alu instid0(VALU_DEP_3) | instskip(NEXT) | instid1(VALU_DEP_3)
	v_mov_b32_e32 v129, v127
	v_pk_add_f32 v[122:123], v[122:123], v[124:125]
	s_delay_alu instid0(VALU_DEP_1) | instskip(SKIP_1) | instid1(VALU_DEP_1)
	v_pk_add_f32 v[122:123], v[122:123], v[128:129]
	s_wait_loadcnt 0x0
	v_pk_add_f32 v[122:123], v[220:221], v[122:123] neg_lo:[0,1] neg_hi:[0,1]
	scratch_store_b64 off, v[122:123], off offset:272
	s_wait_xcnt 0x0
	v_cmpx_lt_u32_e32 33, v0
	s_cbranch_execz .LBB123_307
; %bb.306:
	scratch_load_b64 v[122:123], off, off offset:264
	v_mov_b64_e32 v[124:125], 0
	scratch_store_b64 off, v[124:125], off offset:264
	s_wait_loadcnt 0x0
	ds_store_b64 v1, v[122:123]
.LBB123_307:
	s_wait_xcnt 0x0
	s_or_b32 exec_lo, exec_lo, s0
	s_wait_storecnt_dscnt 0x0
	s_barrier_signal -1
	s_barrier_wait -1
	s_clause 0xd
	scratch_load_b128 v[122:125], off, off offset:272
	scratch_load_b128 v[126:129], off, off offset:288
	scratch_load_b128 v[130:133], off, off offset:304
	scratch_load_b128 v[134:137], off, off offset:320
	scratch_load_b128 v[138:141], off, off offset:336
	scratch_load_b128 v[142:145], off, off offset:352
	scratch_load_b128 v[146:149], off, off offset:368
	scratch_load_b128 v[150:153], off, off offset:384
	scratch_load_b128 v[154:157], off, off offset:400
	scratch_load_b128 v[158:161], off, off offset:416
	scratch_load_b128 v[162:165], off, off offset:432
	scratch_load_b128 v[166:169], off, off offset:448
	scratch_load_b128 v[170:173], off, off offset:464
	scratch_load_b64 v[226:227], off, off offset:264
	ds_load_b128 v[174:177], v7 offset:896
	ds_load_b128 v[178:181], v7 offset:912
	ds_load_b128 v[182:185], v7 offset:928
	ds_load_b128 v[186:189], v7 offset:944
	ds_load_b128 v[190:193], v7 offset:752
	ds_load_b128 v[194:197], v7 offset:768
	ds_load_b128 v[198:201], v7 offset:784
	ds_load_b128 v[202:205], v7 offset:800
	ds_load_b128 v[206:209], v7 offset:880
	ds_load_b128 v[210:213], v7 offset:816
	ds_load_b128 v[214:217], v7 offset:832
	ds_load_b128 v[218:221], v7 offset:848
	ds_load_b128 v[222:225], v7 offset:864
	s_mov_b32 s0, exec_lo
	s_wait_dscnt 0xc
	v_dual_mov_b32 v228, v177 :: v_dual_mov_b32 v229, v176
	s_wait_dscnt 0xb
	v_dual_mov_b32 v230, v181 :: v_dual_mov_b32 v231, v180
	;; [unrolled: 2-line block ×4, first 2 shown]
	s_wait_loadcnt_dscnt 0xd08
	v_dual_mul_f32 v7, v190, v123 :: v_dual_mul_f32 v9, v192, v125
	v_dual_mul_f32 v39, v191, v123 :: v_dual_mul_f32 v41, v193, v125
	s_wait_loadcnt_dscnt 0xc07
	v_dual_mul_f32 v11, v194, v127 :: v_dual_mul_f32 v13, v196, v129
	s_delay_alu instid0(VALU_DEP_3) | instskip(SKIP_3) | instid1(VALU_DEP_3)
	v_dual_fmac_f32 v7, v191, v122 :: v_dual_fmac_f32 v9, v193, v124
	s_wait_loadcnt_dscnt 0xa05
	v_dual_fma_f32 v39, v190, v122, -v39 :: v_dual_mul_f32 v51, v203, v135
	v_dual_mul_f32 v43, v195, v127 :: v_dual_mul_f32 v45, v197, v129
	v_dual_fma_f32 v41, v192, v124, -v41 :: v_dual_add_f32 v7, 0, v7
	s_delay_alu instid0(VALU_DEP_3) | instskip(SKIP_1) | instid1(VALU_DEP_3)
	v_dual_add_f32 v39, 0, v39 :: v_dual_mul_f32 v53, v205, v137
	v_dual_fmac_f32 v11, v195, v126 :: v_dual_fmac_f32 v13, v197, v128
	v_dual_fma_f32 v43, v194, v126, -v43 :: v_dual_add_f32 v7, v7, v9
	s_delay_alu instid0(VALU_DEP_3) | instskip(SKIP_2) | instid1(VALU_DEP_4)
	v_dual_add_f32 v9, v39, v41 :: v_dual_fma_f32 v41, v196, v128, -v45
	v_dual_mul_f32 v15, v198, v131 :: v_dual_mul_f32 v17, v200, v133
	v_dual_mul_f32 v47, v199, v131 :: v_dual_mul_f32 v49, v201, v133
	v_add_f32_e32 v7, v7, v11
	s_delay_alu instid0(VALU_DEP_3) | instskip(NEXT) | instid1(VALU_DEP_3)
	v_dual_add_f32 v9, v9, v43 :: v_dual_fmac_f32 v15, v199, v130
	v_fma_f32 v43, v198, v130, -v47
	v_dual_mul_f32 v19, v202, v135 :: v_dual_mul_f32 v21, v204, v137
	s_delay_alu instid0(VALU_DEP_4) | instskip(SKIP_2) | instid1(VALU_DEP_2)
	v_dual_add_f32 v7, v7, v13 :: v_dual_fmac_f32 v17, v201, v132
	s_wait_loadcnt_dscnt 0x802
	v_dual_add_f32 v9, v9, v41 :: v_dual_mul_f32 v13, v215, v143
	v_dual_fma_f32 v41, v200, v132, -v49 :: v_dual_add_f32 v7, v7, v15
	v_mul_f32_e32 v15, v217, v145
	s_delay_alu instid0(VALU_DEP_3) | instskip(NEXT) | instid1(VALU_DEP_3)
	v_dual_add_f32 v9, v9, v43 :: v_dual_fmac_f32 v19, v203, v134
	v_dual_fma_f32 v43, v202, v134, -v51 :: v_dual_add_f32 v7, v7, v17
	v_fmac_f32_e32 v21, v205, v136
	s_wait_loadcnt_dscnt 0x701
	s_delay_alu instid0(VALU_DEP_3) | instskip(SKIP_3) | instid1(VALU_DEP_3)
	v_dual_add_f32 v9, v9, v41 :: v_dual_mul_f32 v17, v219, v147
	v_dual_mul_f32 v23, v210, v139 :: v_dual_mul_f32 v25, v212, v141
	v_dual_mul_f32 v39, v211, v139 :: v_dual_mul_f32 v11, v213, v141
	v_dual_fma_f32 v41, v204, v136, -v53 :: v_dual_add_f32 v7, v7, v19
	v_dual_add_f32 v9, v9, v43 :: v_dual_fmac_f32 v23, v211, v138
	s_delay_alu instid0(VALU_DEP_3) | instskip(NEXT) | instid1(VALU_DEP_3)
	v_dual_mul_f32 v19, v221, v149 :: v_dual_fma_f32 v39, v210, v138, -v39
	v_dual_add_f32 v7, v7, v21 :: v_dual_fmac_f32 v25, v213, v140
	s_wait_loadcnt_dscnt 0x600
	s_delay_alu instid0(VALU_DEP_3) | instskip(SKIP_1) | instid1(VALU_DEP_3)
	v_dual_add_f32 v9, v9, v41 :: v_dual_mul_f32 v21, v223, v151
	v_dual_mul_f32 v27, v214, v143 :: v_dual_mul_f32 v29, v216, v145
	v_dual_fma_f32 v11, v212, v140, -v11 :: v_dual_add_f32 v7, v7, v23
	s_delay_alu instid0(VALU_DEP_2) | instskip(SKIP_1) | instid1(VALU_DEP_2)
	v_dual_add_f32 v9, v9, v39 :: v_dual_fmac_f32 v27, v215, v142
	v_dual_mul_f32 v23, v225, v153 :: v_dual_fma_f32 v13, v214, v142, -v13
	v_dual_add_f32 v7, v7, v25 :: v_dual_add_f32 v9, v9, v11
	v_dual_mul_f32 v31, v218, v147 :: v_dual_mul_f32 v33, v220, v149
	s_wait_loadcnt 0x5
	v_dual_mul_f32 v11, v207, v155 :: v_dual_fmac_f32 v29, v217, v144
	s_delay_alu instid0(VALU_DEP_3) | instskip(NEXT) | instid1(VALU_DEP_3)
	v_dual_fma_f32 v15, v216, v144, -v15 :: v_dual_add_f32 v7, v7, v27
	v_dual_add_f32 v9, v9, v13 :: v_dual_fmac_f32 v31, v219, v146
	v_dual_mul_f32 v13, v209, v157 :: v_dual_fma_f32 v17, v218, v146, -v17
	s_delay_alu instid0(VALU_DEP_2) | instskip(SKIP_2) | instid1(VALU_DEP_3)
	v_dual_add_f32 v7, v7, v29 :: v_dual_add_f32 v9, v9, v15
	v_dual_mul_f32 v35, v222, v151 :: v_dual_mul_f32 v37, v224, v153
	v_dual_fmac_f32 v33, v221, v148 :: v_dual_fma_f32 v15, v220, v148, -v19
	v_dual_add_f32 v7, v7, v31 :: v_dual_add_f32 v9, v9, v17
	s_wait_loadcnt 0x4
	s_delay_alu instid0(VALU_DEP_3) | instskip(NEXT) | instid1(VALU_DEP_2)
	v_dual_mov_b32 v124, v161 :: v_dual_fmac_f32 v35, v223, v150
	v_dual_fma_f32 v17, v222, v150, -v21 :: v_dual_add_f32 v7, v7, v33
	s_delay_alu instid0(VALU_DEP_3) | instskip(SKIP_1) | instid1(VALU_DEP_3)
	v_dual_add_f32 v9, v9, v15 :: v_dual_fma_f32 v15, v224, v152, -v23
	v_dual_mul_f32 v237, v206, v155 :: v_dual_mul_f32 v239, v208, v157
	v_dual_fmac_f32 v37, v225, v152 :: v_dual_add_f32 v7, v7, v35
	s_delay_alu instid0(VALU_DEP_2) | instskip(SKIP_3) | instid1(VALU_DEP_3)
	v_dual_add_f32 v9, v9, v17 :: v_dual_fmac_f32 v237, v207, v154
	v_pk_mul_f32 v[122:123], v[174:175], v[158:159] op_sel:[1,1] op_sel_hi:[0,1]
	s_wait_loadcnt 0x3
	v_dual_mov_b32 v128, v165 :: v_dual_fma_f32 v236, v206, v154, -v11
	v_dual_add_f32 v131, v7, v37 :: v_dual_add_f32 v130, v9, v15
	v_dual_fmac_f32 v239, v209, v156 :: v_dual_fma_f32 v238, v208, v156, -v13
	v_pk_fma_f32 v[132:133], v[174:175], v[158:159], v[122:123] op_sel_hi:[1,0,1]
	v_pk_mul_f32 v[124:125], v[228:229], v[124:125] op_sel_hi:[1,0]
	s_delay_alu instid0(VALU_DEP_4)
	v_pk_add_f32 v[130:131], v[130:131], v[236:237]
	v_pk_fma_f32 v[122:123], v[174:175], v[158:159], v[122:123] neg_lo:[0,0,1] neg_hi:[0,0,1]
	v_pk_mul_f32 v[126:127], v[178:179], v[162:163] op_sel:[1,1] op_sel_hi:[0,1]
	v_mov_b32_e32 v123, v133
	v_pk_fma_f32 v[132:133], v[176:177], v[160:161], v[124:125] op_sel_hi:[1,0,1]
	v_pk_add_f32 v[130:131], v[130:131], v[238:239]
	v_pk_fma_f32 v[124:125], v[176:177], v[160:161], v[124:125] neg_lo:[0,0,1] neg_hi:[0,0,1]
	v_pk_fma_f32 v[136:137], v[178:179], v[162:163], v[126:127] op_sel_hi:[1,0,1]
	v_pk_mul_f32 v[128:129], v[230:231], v[128:129] op_sel_hi:[1,0]
	v_mov_b32_e32 v125, v133
	v_pk_add_f32 v[122:123], v[130:131], v[122:123]
	s_wait_loadcnt 0x2
	v_pk_mul_f32 v[134:135], v[182:183], v[166:167] op_sel:[1,1] op_sel_hi:[0,1]
	v_mov_b32_e32 v130, v169
	v_pk_fma_f32 v[126:127], v[178:179], v[162:163], v[126:127] neg_lo:[0,0,1] neg_hi:[0,0,1]
	v_mov_b32_e32 v127, v137
	v_pk_fma_f32 v[132:133], v[180:181], v[164:165], v[128:129] op_sel_hi:[1,0,1]
	v_pk_add_f32 v[122:123], v[122:123], v[124:125]
	v_pk_fma_f32 v[124:125], v[182:183], v[166:167], v[134:135] op_sel_hi:[1,0,1]
	v_pk_mul_f32 v[130:131], v[232:233], v[130:131] op_sel_hi:[1,0]
	v_pk_fma_f32 v[128:129], v[180:181], v[164:165], v[128:129] neg_lo:[0,0,1] neg_hi:[0,0,1]
	v_mov_b32_e32 v129, v133
	v_pk_add_f32 v[122:123], v[122:123], v[126:127]
	v_pk_fma_f32 v[132:133], v[182:183], v[166:167], v[134:135] neg_lo:[0,0,1] neg_hi:[0,0,1]
	v_mov_b32_e32 v133, v125
	v_pk_fma_f32 v[124:125], v[184:185], v[168:169], v[130:131] op_sel_hi:[1,0,1]
	s_wait_loadcnt 0x1
	v_pk_mul_f32 v[126:127], v[186:187], v[170:171] op_sel:[1,1] op_sel_hi:[0,1]
	v_pk_add_f32 v[122:123], v[122:123], v[128:129]
	v_mov_b32_e32 v124, v173
	v_pk_fma_f32 v[130:131], v[184:185], v[168:169], v[130:131] neg_lo:[0,0,1] neg_hi:[0,0,1]
	v_mov_b32_e32 v131, v125
	v_pk_fma_f32 v[128:129], v[186:187], v[170:171], v[126:127] op_sel_hi:[1,0,1]
	v_pk_add_f32 v[122:123], v[122:123], v[132:133]
	v_pk_mul_f32 v[124:125], v[234:235], v[124:125] op_sel_hi:[1,0]
	v_pk_fma_f32 v[126:127], v[186:187], v[170:171], v[126:127] neg_lo:[0,0,1] neg_hi:[0,0,1]
	s_delay_alu instid0(VALU_DEP_4) | instskip(NEXT) | instid1(VALU_DEP_4)
	v_mov_b32_e32 v127, v129
	v_pk_add_f32 v[122:123], v[122:123], v[130:131]
	s_delay_alu instid0(VALU_DEP_4) | instskip(SKIP_1) | instid1(VALU_DEP_2)
	v_pk_fma_f32 v[128:129], v[188:189], v[172:173], v[124:125] op_sel_hi:[1,0,1]
	v_pk_fma_f32 v[124:125], v[188:189], v[172:173], v[124:125] neg_lo:[0,0,1] neg_hi:[0,0,1]
	v_mov_b32_e32 v125, v129
	s_delay_alu instid0(VALU_DEP_4) | instskip(NEXT) | instid1(VALU_DEP_1)
	v_pk_add_f32 v[122:123], v[122:123], v[126:127]
	v_pk_add_f32 v[122:123], v[122:123], v[124:125]
	s_wait_loadcnt 0x0
	s_delay_alu instid0(VALU_DEP_1)
	v_pk_add_f32 v[122:123], v[226:227], v[122:123] neg_lo:[0,1] neg_hi:[0,1]
	scratch_store_b64 off, v[122:123], off offset:264
	s_wait_xcnt 0x0
	v_cmpx_lt_u32_e32 32, v0
	s_cbranch_execz .LBB123_309
; %bb.308:
	scratch_load_b64 v[122:123], off, off offset:256
	v_mov_b64_e32 v[124:125], 0
	scratch_store_b64 off, v[124:125], off offset:256
	s_wait_loadcnt 0x0
	ds_store_b64 v1, v[122:123]
.LBB123_309:
	s_wait_xcnt 0x0
	s_or_b32 exec_lo, exec_lo, s0
	s_wait_storecnt_dscnt 0x0
	s_barrier_signal -1
	s_barrier_wait -1
	s_clause 0xe
	scratch_load_b128 v[122:125], off, off offset:264
	scratch_load_b128 v[126:129], off, off offset:280
	;; [unrolled: 1-line block ×13, first 2 shown]
	scratch_load_b64 v[226:227], off, off offset:472
	scratch_load_b64 v[228:229], off, off offset:256
	v_mov_b32_e32 v7, 0
	ds_load_2addr_b64 v[174:177], v7 offset0:111 offset1:112
	ds_load_2addr_b64 v[178:181], v7 offset0:113 offset1:114
	;; [unrolled: 1-line block ×13, first 2 shown]
	ds_load_b64 v[230:231], v7 offset:952
	s_mov_b32 s0, exec_lo
	s_wait_dscnt 0xd
	v_dual_mov_b32 v232, v177 :: v_dual_mov_b32 v233, v176
	s_wait_dscnt 0xa
	v_dual_mov_b32 v234, v181 :: v_dual_mov_b32 v239, v188
	v_dual_mov_b32 v235, v180 :: v_dual_mov_b32 v236, v185
	;; [unrolled: 1-line block ×3, first 2 shown]
	s_wait_loadcnt_dscnt 0xe09
	v_dual_mul_f32 v9, v190, v123 :: v_dual_mul_f32 v43, v191, v123
	v_dual_mul_f32 v45, v193, v125 :: v_dual_mul_f32 v11, v192, v125
	s_wait_loadcnt_dscnt 0xd08
	v_mul_f32_e32 v13, v194, v127
	s_wait_loadcnt_dscnt 0xb05
	v_dual_mul_f32 v55, v207, v135 :: v_dual_fma_f32 v43, v190, v122, -v43
	v_dual_fmac_f32 v9, v191, v122 :: v_dual_mul_f32 v57, v209, v137
	v_dual_mul_f32 v47, v195, v127 :: v_dual_mul_f32 v49, v197, v129
	v_dual_fmac_f32 v11, v193, v124 :: v_dual_fma_f32 v45, v192, v124, -v45
	s_delay_alu instid0(VALU_DEP_3) | instskip(SKIP_3) | instid1(VALU_DEP_3)
	v_dual_add_f32 v9, 0, v9 :: v_dual_add_f32 v43, 0, v43
	v_dual_mul_f32 v15, v196, v129 :: v_dual_mul_f32 v17, v198, v131
	s_wait_loadcnt_dscnt 0xa04
	v_dual_mul_f32 v59, v211, v139 :: v_dual_fma_f32 v47, v194, v126, -v47
	v_dual_fmac_f32 v13, v195, v126 :: v_dual_add_f32 v9, v9, v11
	s_delay_alu instid0(VALU_DEP_3) | instskip(SKIP_2) | instid1(VALU_DEP_3)
	v_dual_add_f32 v11, v43, v45 :: v_dual_fmac_f32 v15, v197, v128
	v_dual_mul_f32 v51, v199, v131 :: v_dual_mul_f32 v53, v201, v133
	v_dual_mul_f32 v43, v213, v141 :: v_dual_fma_f32 v45, v196, v128, -v49
	v_dual_add_f32 v9, v9, v13 :: v_dual_add_f32 v11, v11, v47
	v_dual_mul_f32 v19, v200, v133 :: v_dual_mul_f32 v21, v206, v135
	s_wait_loadcnt_dscnt 0x903
	v_dual_mul_f32 v13, v215, v143 :: v_dual_fma_f32 v47, v198, v130, -v51
	s_delay_alu instid0(VALU_DEP_3) | instskip(NEXT) | instid1(VALU_DEP_3)
	v_dual_fmac_f32 v17, v199, v130 :: v_dual_add_f32 v9, v9, v15
	v_dual_add_f32 v11, v11, v45 :: v_dual_fmac_f32 v19, v201, v132
	v_dual_mul_f32 v15, v217, v145 :: v_dual_fma_f32 v45, v200, v132, -v53
	s_delay_alu instid0(VALU_DEP_2) | instskip(SKIP_3) | instid1(VALU_DEP_3)
	v_dual_add_f32 v9, v9, v17 :: v_dual_add_f32 v11, v11, v47
	v_dual_mul_f32 v23, v208, v137 :: v_dual_mul_f32 v25, v210, v139
	s_wait_loadcnt_dscnt 0x802
	v_dual_mul_f32 v17, v219, v147 :: v_dual_fma_f32 v47, v206, v134, -v55
	v_dual_fmac_f32 v21, v207, v134 :: v_dual_add_f32 v9, v9, v19
	s_delay_alu instid0(VALU_DEP_3) | instskip(SKIP_1) | instid1(VALU_DEP_2)
	v_dual_add_f32 v11, v11, v45 :: v_dual_fmac_f32 v23, v209, v136
	v_dual_mul_f32 v19, v221, v149 :: v_dual_fma_f32 v45, v208, v136, -v57
	v_dual_add_f32 v9, v9, v21 :: v_dual_add_f32 v11, v11, v47
	v_dual_mul_f32 v27, v212, v141 :: v_dual_mul_f32 v29, v214, v143
	s_wait_loadcnt_dscnt 0x701
	v_dual_mul_f32 v21, v223, v151 :: v_dual_fma_f32 v47, v210, v138, -v59
	s_delay_alu instid0(VALU_DEP_3) | instskip(NEXT) | instid1(VALU_DEP_3)
	v_dual_fmac_f32 v25, v211, v138 :: v_dual_add_f32 v9, v9, v23
	v_dual_add_f32 v11, v11, v45 :: v_dual_fmac_f32 v27, v213, v140
	v_dual_mul_f32 v23, v225, v153 :: v_dual_fma_f32 v43, v212, v140, -v43
	s_delay_alu instid0(VALU_DEP_2) | instskip(SKIP_3) | instid1(VALU_DEP_3)
	v_dual_add_f32 v9, v9, v25 :: v_dual_add_f32 v11, v11, v47
	v_dual_mul_f32 v31, v216, v145 :: v_dual_mul_f32 v33, v218, v147
	s_wait_loadcnt 0x6
	v_dual_mul_f32 v25, v203, v155 :: v_dual_fma_f32 v13, v214, v142, -v13
	v_dual_fmac_f32 v29, v215, v142 :: v_dual_add_f32 v9, v9, v27
	v_dual_add_f32 v11, v11, v43 :: v_dual_mul_f32 v27, v205, v157
	v_fmac_f32_e32 v31, v217, v144
	s_delay_alu instid0(VALU_DEP_3) | instskip(NEXT) | instid1(VALU_DEP_3)
	v_dual_fma_f32 v15, v216, v144, -v15 :: v_dual_add_f32 v9, v9, v29
	v_add_f32_e32 v11, v11, v13
	v_dual_mul_f32 v35, v220, v149 :: v_dual_mul_f32 v37, v222, v151
	s_wait_loadcnt 0x5
	v_dual_mul_f32 v13, v175, v159 :: v_dual_fma_f32 v17, v218, v146, -v17
	v_dual_fmac_f32 v33, v219, v146 :: v_dual_add_f32 v9, v9, v31
	v_dual_add_f32 v11, v11, v15 :: v_dual_mov_b32 v122, v161
	v_fmac_f32_e32 v35, v221, v148
	s_delay_alu instid0(VALU_DEP_3) | instskip(NEXT) | instid1(VALU_DEP_3)
	v_dual_fma_f32 v15, v220, v148, -v19 :: v_dual_add_f32 v9, v9, v33
	v_add_f32_e32 v11, v11, v17
	v_dual_mul_f32 v39, v224, v153 :: v_dual_mul_f32 v41, v202, v155
	s_delay_alu instid0(VALU_DEP_3) | instskip(NEXT) | instid1(VALU_DEP_3)
	v_dual_fmac_f32 v37, v223, v150 :: v_dual_add_f32 v9, v9, v35
	v_dual_fma_f32 v17, v222, v150, -v21 :: v_dual_add_f32 v11, v11, v15
	s_wait_loadcnt 0x4
	v_dual_mov_b32 v126, v165 :: v_dual_fma_f32 v15, v224, v152, -v23
	v_fmac_f32_e32 v39, v225, v152
	v_dual_add_f32 v9, v9, v37 :: v_dual_fmac_f32 v41, v203, v154
	v_add_f32_e32 v11, v11, v17
	v_dual_mul_f32 v241, v204, v157 :: v_dual_mul_f32 v243, v174, v159
	s_delay_alu instid0(VALU_DEP_3) | instskip(NEXT) | instid1(VALU_DEP_2)
	v_dual_fma_f32 v17, v202, v154, -v25 :: v_dual_add_f32 v9, v9, v39
	v_dual_add_f32 v11, v11, v15 :: v_dual_fmac_f32 v241, v205, v156
	v_fma_f32 v240, v204, v156, -v27
	v_pk_mul_f32 v[122:123], v[232:233], v[122:123] op_sel_hi:[1,0]
	s_delay_alu instid0(VALU_DEP_4)
	v_add_f32_e32 v131, v9, v41
	s_wait_loadcnt 0x3
	v_dual_add_f32 v130, v11, v17 :: v_dual_mov_b32 v132, v169
	v_pk_mul_f32 v[124:125], v[178:179], v[162:163] op_sel:[1,1] op_sel_hi:[0,1]
	v_dual_fmac_f32 v243, v175, v158 :: v_dual_fma_f32 v242, v174, v158, -v13
	v_pk_fma_f32 v[134:135], v[176:177], v[160:161], v[122:123] op_sel_hi:[1,0,1]
	s_delay_alu instid0(VALU_DEP_4)
	v_pk_add_f32 v[130:131], v[130:131], v[240:241]
	v_pk_fma_f32 v[122:123], v[176:177], v[160:161], v[122:123] neg_lo:[0,0,1] neg_hi:[0,0,1]
	v_pk_fma_f32 v[136:137], v[178:179], v[162:163], v[124:125] op_sel_hi:[1,0,1]
	v_pk_mul_f32 v[126:127], v[234:235], v[126:127] op_sel_hi:[1,0]
	v_mov_b32_e32 v123, v135
	v_pk_add_f32 v[130:131], v[130:131], v[242:243]
	v_pk_fma_f32 v[124:125], v[178:179], v[162:163], v[124:125] neg_lo:[0,0,1] neg_hi:[0,0,1]
	v_pk_mul_f32 v[128:129], v[182:183], v[166:167] op_sel:[1,1] op_sel_hi:[0,1]
	v_mov_b32_e32 v125, v137
	v_pk_fma_f32 v[136:137], v[180:181], v[164:165], v[126:127] op_sel_hi:[1,0,1]
	v_pk_add_f32 v[122:123], v[130:131], v[122:123]
	v_pk_fma_f32 v[126:127], v[180:181], v[164:165], v[126:127] neg_lo:[0,0,1] neg_hi:[0,0,1]
	v_pk_fma_f32 v[130:131], v[182:183], v[166:167], v[128:129] op_sel_hi:[1,0,1]
	v_pk_mul_f32 v[132:133], v[236:237], v[132:133] op_sel_hi:[1,0]
	v_mov_b32_e32 v127, v137
	v_pk_add_f32 v[122:123], v[122:123], v[124:125]
	v_pk_fma_f32 v[128:129], v[182:183], v[166:167], v[128:129] neg_lo:[0,0,1] neg_hi:[0,0,1]
	s_wait_loadcnt 0x2
	v_pk_mul_f32 v[134:135], v[186:187], v[170:171] op_sel:[1,1] op_sel_hi:[0,1]
	v_dual_mov_b32 v124, v173 :: v_dual_mov_b32 v129, v131
	v_pk_fma_f32 v[130:131], v[184:185], v[168:169], v[132:133] op_sel_hi:[1,0,1]
	v_pk_add_f32 v[122:123], v[122:123], v[126:127]
	v_pk_fma_f32 v[132:133], v[184:185], v[168:169], v[132:133] neg_lo:[0,0,1] neg_hi:[0,0,1]
	v_pk_fma_f32 v[126:127], v[186:187], v[170:171], v[134:135] op_sel_hi:[1,0,1]
	v_pk_mul_f32 v[124:125], v[238:239], v[124:125] op_sel_hi:[1,0]
	v_mov_b32_e32 v133, v131
	v_pk_add_f32 v[122:123], v[122:123], v[128:129]
	v_pk_fma_f32 v[128:129], v[186:187], v[170:171], v[134:135] neg_lo:[0,0,1] neg_hi:[0,0,1]
	v_mov_b32_e32 v129, v127
	v_pk_fma_f32 v[126:127], v[188:189], v[172:173], v[124:125] op_sel_hi:[1,0,1]
	s_wait_loadcnt_dscnt 0x100
	v_pk_mul_f32 v[130:131], v[230:231], v[226:227] op_sel:[1,1] op_sel_hi:[0,1]
	v_pk_add_f32 v[122:123], v[122:123], v[132:133]
	v_pk_fma_f32 v[124:125], v[188:189], v[172:173], v[124:125] neg_lo:[0,0,1] neg_hi:[0,0,1]
	v_mov_b32_e32 v125, v127
	s_delay_alu instid0(VALU_DEP_4) | instskip(NEXT) | instid1(VALU_DEP_4)
	v_pk_fma_f32 v[126:127], v[230:231], v[226:227], v[130:131] op_sel_hi:[1,0,1]
	v_pk_add_f32 v[122:123], v[122:123], v[128:129]
	v_pk_fma_f32 v[128:129], v[230:231], v[226:227], v[130:131] neg_lo:[0,0,1] neg_hi:[0,0,1]
	s_delay_alu instid0(VALU_DEP_3) | instskip(NEXT) | instid1(VALU_DEP_3)
	v_mov_b32_e32 v129, v127
	v_pk_add_f32 v[122:123], v[122:123], v[124:125]
	s_delay_alu instid0(VALU_DEP_1) | instskip(SKIP_1) | instid1(VALU_DEP_1)
	v_pk_add_f32 v[122:123], v[122:123], v[128:129]
	s_wait_loadcnt 0x0
	v_pk_add_f32 v[122:123], v[228:229], v[122:123] neg_lo:[0,1] neg_hi:[0,1]
	scratch_store_b64 off, v[122:123], off offset:256
	s_wait_xcnt 0x0
	v_cmpx_lt_u32_e32 31, v0
	s_cbranch_execz .LBB123_311
; %bb.310:
	scratch_load_b64 v[122:123], off, off offset:248
	v_mov_b64_e32 v[124:125], 0
	scratch_store_b64 off, v[124:125], off offset:248
	s_wait_loadcnt 0x0
	ds_store_b64 v1, v[122:123]
.LBB123_311:
	s_wait_xcnt 0x0
	s_or_b32 exec_lo, exec_lo, s0
	s_wait_storecnt_dscnt 0x0
	s_barrier_signal -1
	s_barrier_wait -1
	s_clause 0xe
	scratch_load_b128 v[122:125], off, off offset:256
	scratch_load_b128 v[126:129], off, off offset:272
	;; [unrolled: 1-line block ×14, first 2 shown]
	scratch_load_b64 v[234:235], off, off offset:248
	ds_load_b128 v[178:181], v7 offset:896
	ds_load_b128 v[182:185], v7 offset:912
	;; [unrolled: 1-line block ×14, first 2 shown]
	s_mov_b32 s0, exec_lo
	s_wait_dscnt 0xd
	v_dual_mov_b32 v236, v181 :: v_dual_mov_b32 v237, v180
	s_wait_dscnt 0xc
	v_dual_mov_b32 v238, v185 :: v_dual_mov_b32 v239, v184
	;; [unrolled: 2-line block ×4, first 2 shown]
	s_wait_loadcnt_dscnt 0xe09
	v_dual_mul_f32 v7, v194, v123 :: v_dual_mul_f32 v9, v196, v125
	v_dual_mul_f32 v43, v195, v123 :: v_dual_mul_f32 v45, v197, v125
	s_wait_loadcnt_dscnt 0xd08
	v_dual_mul_f32 v11, v198, v127 :: v_dual_mul_f32 v13, v200, v129
	s_delay_alu instid0(VALU_DEP_3) | instskip(SKIP_3) | instid1(VALU_DEP_3)
	v_dual_fmac_f32 v7, v195, v122 :: v_dual_fmac_f32 v9, v197, v124
	s_wait_loadcnt_dscnt 0xb06
	v_dual_fma_f32 v43, v194, v122, -v43 :: v_dual_mul_f32 v55, v207, v135
	v_dual_mul_f32 v47, v199, v127 :: v_dual_mul_f32 v49, v201, v129
	v_dual_fma_f32 v45, v196, v124, -v45 :: v_dual_add_f32 v7, 0, v7
	s_delay_alu instid0(VALU_DEP_3) | instskip(SKIP_1) | instid1(VALU_DEP_3)
	v_dual_add_f32 v43, 0, v43 :: v_dual_mul_f32 v57, v209, v137
	v_dual_fmac_f32 v11, v199, v126 :: v_dual_fmac_f32 v13, v201, v128
	v_dual_fma_f32 v47, v198, v126, -v47 :: v_dual_add_f32 v7, v7, v9
	s_delay_alu instid0(VALU_DEP_3) | instskip(SKIP_2) | instid1(VALU_DEP_4)
	v_dual_add_f32 v9, v43, v45 :: v_dual_fma_f32 v45, v200, v128, -v49
	v_dual_mul_f32 v15, v202, v131 :: v_dual_mul_f32 v17, v204, v133
	v_dual_mul_f32 v51, v203, v131 :: v_dual_mul_f32 v53, v205, v133
	v_add_f32_e32 v7, v7, v11
	s_delay_alu instid0(VALU_DEP_3) | instskip(NEXT) | instid1(VALU_DEP_3)
	v_dual_add_f32 v9, v9, v47 :: v_dual_fmac_f32 v15, v203, v130
	v_fma_f32 v47, v202, v130, -v51
	v_dual_mul_f32 v19, v206, v135 :: v_dual_mul_f32 v21, v208, v137
	s_delay_alu instid0(VALU_DEP_4) | instskip(SKIP_2) | instid1(VALU_DEP_2)
	v_dual_add_f32 v7, v7, v13 :: v_dual_fmac_f32 v17, v205, v132
	s_wait_loadcnt_dscnt 0x904
	v_dual_add_f32 v9, v9, v45 :: v_dual_mul_f32 v13, v215, v143
	v_dual_fma_f32 v45, v204, v132, -v53 :: v_dual_add_f32 v7, v7, v15
	v_mul_f32_e32 v15, v217, v145
	s_delay_alu instid0(VALU_DEP_3) | instskip(NEXT) | instid1(VALU_DEP_3)
	v_dual_add_f32 v9, v9, v47 :: v_dual_fmac_f32 v19, v207, v134
	v_dual_fma_f32 v47, v206, v134, -v55 :: v_dual_add_f32 v7, v7, v17
	v_fmac_f32_e32 v21, v209, v136
	s_wait_loadcnt_dscnt 0x803
	s_delay_alu instid0(VALU_DEP_3) | instskip(SKIP_3) | instid1(VALU_DEP_3)
	v_dual_add_f32 v9, v9, v45 :: v_dual_mul_f32 v17, v219, v147
	v_dual_mul_f32 v23, v210, v139 :: v_dual_mul_f32 v25, v212, v141
	v_dual_mul_f32 v43, v211, v139 :: v_dual_mul_f32 v11, v213, v141
	v_dual_fma_f32 v45, v208, v136, -v57 :: v_dual_add_f32 v7, v7, v19
	v_dual_add_f32 v9, v9, v47 :: v_dual_fmac_f32 v23, v211, v138
	s_delay_alu instid0(VALU_DEP_3) | instskip(NEXT) | instid1(VALU_DEP_3)
	v_dual_mul_f32 v19, v221, v149 :: v_dual_fma_f32 v43, v210, v138, -v43
	v_dual_add_f32 v7, v7, v21 :: v_dual_fmac_f32 v25, v213, v140
	s_wait_loadcnt_dscnt 0x702
	s_delay_alu instid0(VALU_DEP_3) | instskip(SKIP_1) | instid1(VALU_DEP_3)
	v_dual_add_f32 v9, v9, v45 :: v_dual_mul_f32 v21, v223, v151
	v_dual_mul_f32 v27, v214, v143 :: v_dual_mul_f32 v29, v216, v145
	v_dual_fma_f32 v11, v212, v140, -v11 :: v_dual_add_f32 v7, v7, v23
	s_delay_alu instid0(VALU_DEP_2) | instskip(SKIP_1) | instid1(VALU_DEP_2)
	v_dual_add_f32 v9, v9, v43 :: v_dual_fmac_f32 v27, v215, v142
	v_dual_mul_f32 v23, v225, v153 :: v_dual_fma_f32 v13, v214, v142, -v13
	v_dual_add_f32 v7, v7, v25 :: v_dual_add_f32 v9, v9, v11
	v_dual_mul_f32 v31, v218, v147 :: v_dual_mul_f32 v33, v220, v149
	s_wait_loadcnt_dscnt 0x601
	v_dual_mul_f32 v11, v227, v155 :: v_dual_fmac_f32 v29, v217, v144
	s_delay_alu instid0(VALU_DEP_3) | instskip(NEXT) | instid1(VALU_DEP_3)
	v_dual_fma_f32 v15, v216, v144, -v15 :: v_dual_add_f32 v7, v7, v27
	v_dual_add_f32 v9, v9, v13 :: v_dual_fmac_f32 v31, v219, v146
	v_dual_mul_f32 v13, v229, v157 :: v_dual_fma_f32 v17, v218, v146, -v17
	s_delay_alu instid0(VALU_DEP_2) | instskip(SKIP_3) | instid1(VALU_DEP_3)
	v_dual_add_f32 v7, v7, v29 :: v_dual_add_f32 v9, v9, v15
	v_dual_mul_f32 v35, v222, v151 :: v_dual_mul_f32 v37, v224, v153
	s_wait_loadcnt_dscnt 0x500
	v_dual_mul_f32 v15, v231, v159 :: v_dual_fmac_f32 v33, v221, v148
	v_dual_fma_f32 v19, v220, v148, -v19 :: v_dual_add_f32 v7, v7, v31
	s_delay_alu instid0(VALU_DEP_3) | instskip(SKIP_1) | instid1(VALU_DEP_2)
	v_dual_add_f32 v9, v9, v17 :: v_dual_fmac_f32 v35, v223, v150
	v_dual_mul_f32 v17, v233, v161 :: v_dual_fma_f32 v21, v222, v150, -v21
	v_dual_add_f32 v7, v7, v33 :: v_dual_add_f32 v9, v9, v19
	v_dual_mul_f32 v39, v226, v155 :: v_dual_mul_f32 v41, v228, v157
	v_dual_fmac_f32 v37, v225, v152 :: v_dual_fma_f32 v19, v224, v152, -v23
	s_delay_alu instid0(VALU_DEP_3) | instskip(SKIP_1) | instid1(VALU_DEP_3)
	v_dual_add_f32 v7, v7, v35 :: v_dual_add_f32 v9, v9, v21
	s_wait_loadcnt 0x4
	v_dual_mov_b32 v124, v165 :: v_dual_fmac_f32 v39, v227, v154
	s_delay_alu instid0(VALU_DEP_2) | instskip(NEXT) | instid1(VALU_DEP_3)
	v_dual_fma_f32 v11, v226, v154, -v11 :: v_dual_add_f32 v7, v7, v37
	v_dual_add_f32 v9, v9, v19 :: v_dual_fma_f32 v13, v228, v156, -v13
	v_dual_mul_f32 v245, v230, v159 :: v_dual_mul_f32 v247, v232, v161
	s_delay_alu instid0(VALU_DEP_3) | instskip(NEXT) | instid1(VALU_DEP_2)
	v_dual_fmac_f32 v41, v229, v156 :: v_dual_add_f32 v7, v7, v39
	v_dual_add_f32 v9, v9, v11 :: v_dual_fmac_f32 v245, v231, v158
	v_pk_mul_f32 v[122:123], v[178:179], v[162:163] op_sel:[1,1] op_sel_hi:[0,1]
	s_wait_loadcnt 0x3
	v_dual_mov_b32 v128, v169 :: v_dual_fma_f32 v244, v230, v158, -v15
	v_dual_add_f32 v131, v7, v41 :: v_dual_fmac_f32 v247, v233, v160
	v_dual_add_f32 v130, v9, v13 :: v_dual_fma_f32 v246, v232, v160, -v17
	v_pk_fma_f32 v[132:133], v[178:179], v[162:163], v[122:123] op_sel_hi:[1,0,1]
	v_pk_mul_f32 v[124:125], v[236:237], v[124:125] op_sel_hi:[1,0]
	v_pk_fma_f32 v[122:123], v[178:179], v[162:163], v[122:123] neg_lo:[0,0,1] neg_hi:[0,0,1]
	s_delay_alu instid0(VALU_DEP_4)
	v_pk_add_f32 v[130:131], v[130:131], v[244:245]
	v_pk_mul_f32 v[126:127], v[182:183], v[166:167] op_sel:[1,1] op_sel_hi:[0,1]
	v_mov_b32_e32 v123, v133
	v_pk_fma_f32 v[132:133], v[180:181], v[164:165], v[124:125] op_sel_hi:[1,0,1]
	v_pk_fma_f32 v[124:125], v[180:181], v[164:165], v[124:125] neg_lo:[0,0,1] neg_hi:[0,0,1]
	v_pk_add_f32 v[130:131], v[130:131], v[246:247]
	v_pk_fma_f32 v[136:137], v[182:183], v[166:167], v[126:127] op_sel_hi:[1,0,1]
	v_pk_mul_f32 v[128:129], v[238:239], v[128:129] op_sel_hi:[1,0]
	v_mov_b32_e32 v125, v133
	s_wait_loadcnt 0x2
	v_pk_mul_f32 v[134:135], v[186:187], v[170:171] op_sel:[1,1] op_sel_hi:[0,1]
	v_pk_add_f32 v[122:123], v[130:131], v[122:123]
	v_mov_b32_e32 v130, v173
	v_pk_fma_f32 v[126:127], v[182:183], v[166:167], v[126:127] neg_lo:[0,0,1] neg_hi:[0,0,1]
	v_mov_b32_e32 v127, v137
	v_pk_fma_f32 v[132:133], v[184:185], v[168:169], v[128:129] op_sel_hi:[1,0,1]
	v_pk_add_f32 v[122:123], v[122:123], v[124:125]
	v_pk_fma_f32 v[124:125], v[186:187], v[170:171], v[134:135] op_sel_hi:[1,0,1]
	v_pk_mul_f32 v[130:131], v[240:241], v[130:131] op_sel_hi:[1,0]
	v_pk_fma_f32 v[128:129], v[184:185], v[168:169], v[128:129] neg_lo:[0,0,1] neg_hi:[0,0,1]
	v_mov_b32_e32 v129, v133
	v_pk_add_f32 v[122:123], v[122:123], v[126:127]
	v_pk_fma_f32 v[132:133], v[186:187], v[170:171], v[134:135] neg_lo:[0,0,1] neg_hi:[0,0,1]
	v_mov_b32_e32 v133, v125
	v_pk_fma_f32 v[124:125], v[188:189], v[172:173], v[130:131] op_sel_hi:[1,0,1]
	s_wait_loadcnt 0x1
	v_pk_mul_f32 v[126:127], v[190:191], v[174:175] op_sel:[1,1] op_sel_hi:[0,1]
	v_pk_add_f32 v[122:123], v[122:123], v[128:129]
	v_mov_b32_e32 v124, v177
	v_pk_fma_f32 v[130:131], v[188:189], v[172:173], v[130:131] neg_lo:[0,0,1] neg_hi:[0,0,1]
	v_mov_b32_e32 v131, v125
	v_pk_fma_f32 v[128:129], v[190:191], v[174:175], v[126:127] op_sel_hi:[1,0,1]
	v_pk_add_f32 v[122:123], v[122:123], v[132:133]
	v_pk_mul_f32 v[124:125], v[242:243], v[124:125] op_sel_hi:[1,0]
	v_pk_fma_f32 v[126:127], v[190:191], v[174:175], v[126:127] neg_lo:[0,0,1] neg_hi:[0,0,1]
	s_delay_alu instid0(VALU_DEP_4) | instskip(NEXT) | instid1(VALU_DEP_4)
	v_mov_b32_e32 v127, v129
	v_pk_add_f32 v[122:123], v[122:123], v[130:131]
	s_delay_alu instid0(VALU_DEP_4) | instskip(SKIP_1) | instid1(VALU_DEP_2)
	v_pk_fma_f32 v[128:129], v[192:193], v[176:177], v[124:125] op_sel_hi:[1,0,1]
	v_pk_fma_f32 v[124:125], v[192:193], v[176:177], v[124:125] neg_lo:[0,0,1] neg_hi:[0,0,1]
	v_mov_b32_e32 v125, v129
	s_delay_alu instid0(VALU_DEP_4) | instskip(NEXT) | instid1(VALU_DEP_1)
	v_pk_add_f32 v[122:123], v[122:123], v[126:127]
	v_pk_add_f32 v[122:123], v[122:123], v[124:125]
	s_wait_loadcnt 0x0
	s_delay_alu instid0(VALU_DEP_1)
	v_pk_add_f32 v[122:123], v[234:235], v[122:123] neg_lo:[0,1] neg_hi:[0,1]
	scratch_store_b64 off, v[122:123], off offset:248
	s_wait_xcnt 0x0
	v_cmpx_lt_u32_e32 30, v0
	s_cbranch_execz .LBB123_313
; %bb.312:
	scratch_load_b64 v[122:123], off, off offset:240
	v_mov_b64_e32 v[124:125], 0
	scratch_store_b64 off, v[124:125], off offset:240
	s_wait_loadcnt 0x0
	ds_store_b64 v1, v[122:123]
.LBB123_313:
	s_wait_xcnt 0x0
	s_or_b32 exec_lo, exec_lo, s0
	s_wait_storecnt_dscnt 0x0
	s_barrier_signal -1
	s_barrier_wait -1
	s_clause 0xf
	scratch_load_b128 v[122:125], off, off offset:248
	scratch_load_b128 v[126:129], off, off offset:264
	;; [unrolled: 1-line block ×14, first 2 shown]
	scratch_load_b64 v[234:235], off, off offset:472
	scratch_load_b64 v[236:237], off, off offset:240
	v_mov_b32_e32 v7, 0
	ds_load_2addr_b64 v[178:181], v7 offset0:111 offset1:112
	ds_load_2addr_b64 v[182:185], v7 offset0:113 offset1:114
	;; [unrolled: 1-line block ×14, first 2 shown]
	ds_load_b64 v[238:239], v7 offset:952
	s_mov_b32 s0, exec_lo
	s_wait_dscnt 0xe
	v_dual_mov_b32 v240, v181 :: v_dual_mov_b32 v241, v180
	s_wait_dscnt 0xb
	v_dual_mov_b32 v242, v185 :: v_dual_mov_b32 v247, v192
	v_dual_mov_b32 v243, v184 :: v_dual_mov_b32 v244, v189
	;; [unrolled: 1-line block ×3, first 2 shown]
	s_wait_loadcnt_dscnt 0xf0a
	v_dual_mul_f32 v9, v194, v123 :: v_dual_mul_f32 v47, v195, v123
	v_dual_mul_f32 v49, v197, v125 :: v_dual_mul_f32 v11, v196, v125
	s_wait_loadcnt_dscnt 0xe09
	v_mul_f32_e32 v13, v198, v127
	s_wait_loadcnt_dscnt 0xc07
	v_dual_mul_f32 v59, v207, v135 :: v_dual_fma_f32 v47, v194, v122, -v47
	v_dual_fmac_f32 v9, v195, v122 :: v_dual_mul_f32 v61, v209, v137
	v_dual_mul_f32 v51, v199, v127 :: v_dual_mul_f32 v53, v201, v129
	v_dual_fmac_f32 v11, v197, v124 :: v_dual_fma_f32 v49, v196, v124, -v49
	s_delay_alu instid0(VALU_DEP_3) | instskip(SKIP_3) | instid1(VALU_DEP_3)
	v_dual_add_f32 v9, 0, v9 :: v_dual_add_f32 v47, 0, v47
	v_dual_mul_f32 v15, v200, v129 :: v_dual_mul_f32 v17, v202, v131
	s_wait_loadcnt_dscnt 0xb06
	v_dual_mul_f32 v63, v211, v139 :: v_dual_fma_f32 v51, v198, v126, -v51
	v_dual_fmac_f32 v13, v199, v126 :: v_dual_add_f32 v9, v9, v11
	s_delay_alu instid0(VALU_DEP_3) | instskip(SKIP_2) | instid1(VALU_DEP_3)
	v_dual_add_f32 v11, v47, v49 :: v_dual_fmac_f32 v15, v201, v128
	v_dual_mul_f32 v55, v203, v131 :: v_dual_mul_f32 v57, v205, v133
	v_dual_mul_f32 v47, v213, v141 :: v_dual_fma_f32 v49, v200, v128, -v53
	v_dual_add_f32 v9, v9, v13 :: v_dual_add_f32 v11, v11, v51
	v_dual_mul_f32 v19, v204, v133 :: v_dual_mul_f32 v21, v206, v135
	s_wait_loadcnt_dscnt 0xa05
	v_dual_mul_f32 v13, v215, v143 :: v_dual_fma_f32 v51, v202, v130, -v55
	s_delay_alu instid0(VALU_DEP_3) | instskip(NEXT) | instid1(VALU_DEP_3)
	v_dual_fmac_f32 v17, v203, v130 :: v_dual_add_f32 v9, v9, v15
	v_dual_add_f32 v11, v11, v49 :: v_dual_fmac_f32 v19, v205, v132
	v_dual_mul_f32 v15, v217, v145 :: v_dual_fma_f32 v49, v204, v132, -v57
	s_delay_alu instid0(VALU_DEP_2) | instskip(SKIP_3) | instid1(VALU_DEP_3)
	v_dual_add_f32 v9, v9, v17 :: v_dual_add_f32 v11, v11, v51
	v_dual_mul_f32 v23, v208, v137 :: v_dual_mul_f32 v25, v210, v139
	s_wait_loadcnt_dscnt 0x904
	v_dual_mul_f32 v17, v219, v147 :: v_dual_fma_f32 v51, v206, v134, -v59
	v_dual_fmac_f32 v21, v207, v134 :: v_dual_add_f32 v9, v9, v19
	s_delay_alu instid0(VALU_DEP_3) | instskip(SKIP_1) | instid1(VALU_DEP_2)
	v_dual_add_f32 v11, v11, v49 :: v_dual_fmac_f32 v23, v209, v136
	v_dual_mul_f32 v19, v221, v149 :: v_dual_fma_f32 v49, v208, v136, -v61
	v_dual_add_f32 v9, v9, v21 :: v_dual_add_f32 v11, v11, v51
	v_dual_mul_f32 v27, v212, v141 :: v_dual_mul_f32 v29, v214, v143
	s_wait_loadcnt_dscnt 0x803
	v_dual_mul_f32 v21, v223, v151 :: v_dual_fma_f32 v51, v210, v138, -v63
	s_delay_alu instid0(VALU_DEP_3) | instskip(NEXT) | instid1(VALU_DEP_3)
	v_dual_fmac_f32 v25, v211, v138 :: v_dual_add_f32 v9, v9, v23
	v_dual_add_f32 v11, v11, v49 :: v_dual_fmac_f32 v27, v213, v140
	v_dual_mul_f32 v23, v225, v153 :: v_dual_fma_f32 v47, v212, v140, -v47
	s_delay_alu instid0(VALU_DEP_2) | instskip(SKIP_3) | instid1(VALU_DEP_3)
	v_dual_add_f32 v9, v9, v25 :: v_dual_add_f32 v11, v11, v51
	v_dual_mul_f32 v31, v216, v145 :: v_dual_mul_f32 v33, v218, v147
	s_wait_loadcnt_dscnt 0x702
	v_dual_mul_f32 v25, v227, v155 :: v_dual_fma_f32 v13, v214, v142, -v13
	v_dual_fmac_f32 v29, v215, v142 :: v_dual_add_f32 v9, v9, v27
	v_dual_add_f32 v11, v11, v47 :: v_dual_mul_f32 v27, v229, v157
	v_fmac_f32_e32 v31, v217, v144
	s_delay_alu instid0(VALU_DEP_3) | instskip(NEXT) | instid1(VALU_DEP_3)
	v_dual_fma_f32 v15, v216, v144, -v15 :: v_dual_add_f32 v9, v9, v29
	v_add_f32_e32 v11, v11, v13
	v_dual_mul_f32 v35, v220, v149 :: v_dual_mul_f32 v37, v222, v151
	s_wait_loadcnt_dscnt 0x601
	v_dual_mul_f32 v13, v231, v159 :: v_dual_fma_f32 v17, v218, v146, -v17
	v_dual_fmac_f32 v33, v219, v146 :: v_dual_add_f32 v9, v9, v31
	v_dual_add_f32 v11, v11, v15 :: v_dual_mul_f32 v15, v233, v161
	v_fmac_f32_e32 v35, v221, v148
	s_delay_alu instid0(VALU_DEP_3) | instskip(NEXT) | instid1(VALU_DEP_3)
	v_dual_fma_f32 v19, v220, v148, -v19 :: v_dual_add_f32 v9, v9, v33
	v_add_f32_e32 v11, v11, v17
	v_dual_mul_f32 v39, v224, v153 :: v_dual_mul_f32 v41, v226, v155
	s_wait_loadcnt 0x5
	v_dual_mul_f32 v17, v179, v163 :: v_dual_fma_f32 v21, v222, v150, -v21
	v_dual_fmac_f32 v37, v223, v150 :: v_dual_add_f32 v9, v9, v35
	v_dual_add_f32 v11, v11, v19 :: v_dual_mov_b32 v122, v165
	v_fmac_f32_e32 v39, v225, v152
	s_delay_alu instid0(VALU_DEP_3) | instskip(NEXT) | instid1(VALU_DEP_3)
	v_dual_fma_f32 v19, v224, v152, -v23 :: v_dual_add_f32 v9, v9, v37
	v_add_f32_e32 v11, v11, v21
	v_dual_mul_f32 v43, v228, v157 :: v_dual_mul_f32 v45, v230, v159
	s_delay_alu instid0(VALU_DEP_3) | instskip(NEXT) | instid1(VALU_DEP_3)
	v_dual_fmac_f32 v41, v227, v154 :: v_dual_add_f32 v9, v9, v39
	v_dual_fma_f32 v21, v226, v154, -v25 :: v_dual_add_f32 v11, v11, v19
	s_wait_loadcnt 0x4
	v_dual_mov_b32 v126, v169 :: v_dual_fma_f32 v19, v228, v156, -v27
	v_fmac_f32_e32 v43, v229, v156
	v_dual_add_f32 v9, v9, v41 :: v_dual_fmac_f32 v45, v231, v158
	v_add_f32_e32 v11, v11, v21
	v_dual_mul_f32 v249, v232, v161 :: v_dual_mul_f32 v251, v178, v163
	s_delay_alu instid0(VALU_DEP_3) | instskip(NEXT) | instid1(VALU_DEP_2)
	v_dual_fma_f32 v13, v230, v158, -v13 :: v_dual_add_f32 v9, v9, v43
	v_dual_add_f32 v11, v11, v19 :: v_dual_fmac_f32 v249, v233, v160
	v_fma_f32 v248, v232, v160, -v15
	v_pk_mul_f32 v[122:123], v[240:241], v[122:123] op_sel_hi:[1,0]
	s_delay_alu instid0(VALU_DEP_4)
	v_add_f32_e32 v131, v9, v45
	s_wait_loadcnt 0x3
	v_dual_add_f32 v130, v11, v13 :: v_dual_mov_b32 v132, v173
	v_pk_mul_f32 v[124:125], v[182:183], v[166:167] op_sel:[1,1] op_sel_hi:[0,1]
	v_dual_fmac_f32 v251, v179, v162 :: v_dual_fma_f32 v250, v178, v162, -v17
	v_pk_fma_f32 v[134:135], v[180:181], v[164:165], v[122:123] op_sel_hi:[1,0,1]
	s_delay_alu instid0(VALU_DEP_4)
	v_pk_add_f32 v[130:131], v[130:131], v[248:249]
	v_pk_fma_f32 v[122:123], v[180:181], v[164:165], v[122:123] neg_lo:[0,0,1] neg_hi:[0,0,1]
	v_pk_fma_f32 v[136:137], v[182:183], v[166:167], v[124:125] op_sel_hi:[1,0,1]
	v_pk_mul_f32 v[126:127], v[242:243], v[126:127] op_sel_hi:[1,0]
	v_mov_b32_e32 v123, v135
	v_pk_add_f32 v[130:131], v[130:131], v[250:251]
	v_pk_fma_f32 v[124:125], v[182:183], v[166:167], v[124:125] neg_lo:[0,0,1] neg_hi:[0,0,1]
	v_pk_mul_f32 v[128:129], v[186:187], v[170:171] op_sel:[1,1] op_sel_hi:[0,1]
	v_mov_b32_e32 v125, v137
	v_pk_fma_f32 v[136:137], v[184:185], v[168:169], v[126:127] op_sel_hi:[1,0,1]
	v_pk_add_f32 v[122:123], v[130:131], v[122:123]
	v_pk_fma_f32 v[126:127], v[184:185], v[168:169], v[126:127] neg_lo:[0,0,1] neg_hi:[0,0,1]
	v_pk_fma_f32 v[130:131], v[186:187], v[170:171], v[128:129] op_sel_hi:[1,0,1]
	v_pk_mul_f32 v[132:133], v[244:245], v[132:133] op_sel_hi:[1,0]
	v_mov_b32_e32 v127, v137
	v_pk_add_f32 v[122:123], v[122:123], v[124:125]
	v_pk_fma_f32 v[128:129], v[186:187], v[170:171], v[128:129] neg_lo:[0,0,1] neg_hi:[0,0,1]
	s_wait_loadcnt 0x2
	v_pk_mul_f32 v[134:135], v[190:191], v[174:175] op_sel:[1,1] op_sel_hi:[0,1]
	v_dual_mov_b32 v124, v177 :: v_dual_mov_b32 v129, v131
	v_pk_fma_f32 v[130:131], v[188:189], v[172:173], v[132:133] op_sel_hi:[1,0,1]
	v_pk_add_f32 v[122:123], v[122:123], v[126:127]
	v_pk_fma_f32 v[132:133], v[188:189], v[172:173], v[132:133] neg_lo:[0,0,1] neg_hi:[0,0,1]
	v_pk_fma_f32 v[126:127], v[190:191], v[174:175], v[134:135] op_sel_hi:[1,0,1]
	v_pk_mul_f32 v[124:125], v[246:247], v[124:125] op_sel_hi:[1,0]
	v_mov_b32_e32 v133, v131
	v_pk_add_f32 v[122:123], v[122:123], v[128:129]
	v_pk_fma_f32 v[128:129], v[190:191], v[174:175], v[134:135] neg_lo:[0,0,1] neg_hi:[0,0,1]
	v_mov_b32_e32 v129, v127
	v_pk_fma_f32 v[126:127], v[192:193], v[176:177], v[124:125] op_sel_hi:[1,0,1]
	s_wait_loadcnt_dscnt 0x100
	v_pk_mul_f32 v[130:131], v[238:239], v[234:235] op_sel:[1,1] op_sel_hi:[0,1]
	v_pk_add_f32 v[122:123], v[122:123], v[132:133]
	v_pk_fma_f32 v[124:125], v[192:193], v[176:177], v[124:125] neg_lo:[0,0,1] neg_hi:[0,0,1]
	v_mov_b32_e32 v125, v127
	s_delay_alu instid0(VALU_DEP_4) | instskip(NEXT) | instid1(VALU_DEP_4)
	v_pk_fma_f32 v[126:127], v[238:239], v[234:235], v[130:131] op_sel_hi:[1,0,1]
	v_pk_add_f32 v[122:123], v[122:123], v[128:129]
	v_pk_fma_f32 v[128:129], v[238:239], v[234:235], v[130:131] neg_lo:[0,0,1] neg_hi:[0,0,1]
	s_delay_alu instid0(VALU_DEP_3) | instskip(NEXT) | instid1(VALU_DEP_3)
	v_mov_b32_e32 v129, v127
	v_pk_add_f32 v[122:123], v[122:123], v[124:125]
	s_delay_alu instid0(VALU_DEP_1) | instskip(SKIP_1) | instid1(VALU_DEP_1)
	v_pk_add_f32 v[122:123], v[122:123], v[128:129]
	s_wait_loadcnt 0x0
	v_pk_add_f32 v[122:123], v[236:237], v[122:123] neg_lo:[0,1] neg_hi:[0,1]
	scratch_store_b64 off, v[122:123], off offset:240
	s_wait_xcnt 0x0
	v_cmpx_lt_u32_e32 29, v0
	s_cbranch_execz .LBB123_315
; %bb.314:
	scratch_load_b64 v[122:123], off, off offset:232
	v_mov_b64_e32 v[124:125], 0
	scratch_store_b64 off, v[124:125], off offset:232
	s_wait_loadcnt 0x0
	ds_store_b64 v1, v[122:123]
.LBB123_315:
	s_wait_xcnt 0x0
	s_or_b32 exec_lo, exec_lo, s0
	s_wait_storecnt_dscnt 0x0
	s_barrier_signal -1
	s_barrier_wait -1
	s_clause 0xf
	scratch_load_b128 v[122:125], off, off offset:240
	scratch_load_b128 v[126:129], off, off offset:256
	;; [unrolled: 1-line block ×15, first 2 shown]
	scratch_load_b64 v[242:243], off, off offset:232
	ds_load_b128 v[182:185], v7 offset:896
	ds_load_b128 v[186:189], v7 offset:912
	;; [unrolled: 1-line block ×15, first 2 shown]
	s_mov_b32 s0, exec_lo
	s_wait_dscnt 0xe
	v_dual_mov_b32 v244, v185 :: v_dual_mov_b32 v245, v184
	s_wait_dscnt 0xd
	v_dual_mov_b32 v246, v189 :: v_dual_mov_b32 v247, v188
	;; [unrolled: 2-line block ×4, first 2 shown]
	s_wait_loadcnt_dscnt 0xf0a
	v_dual_mul_f32 v7, v198, v123 :: v_dual_mul_f32 v9, v200, v125
	v_dual_mul_f32 v47, v199, v123 :: v_dual_mul_f32 v49, v201, v125
	s_wait_loadcnt_dscnt 0xe09
	v_dual_mul_f32 v11, v202, v127 :: v_dual_mul_f32 v13, v204, v129
	s_delay_alu instid0(VALU_DEP_3) | instskip(SKIP_3) | instid1(VALU_DEP_3)
	v_dual_fmac_f32 v7, v199, v122 :: v_dual_fmac_f32 v9, v201, v124
	s_wait_loadcnt_dscnt 0xc06
	v_dual_fma_f32 v47, v198, v122, -v47 :: v_dual_mul_f32 v59, v215, v135
	v_dual_mul_f32 v51, v203, v127 :: v_dual_mul_f32 v53, v205, v129
	v_dual_fma_f32 v49, v200, v124, -v49 :: v_dual_add_f32 v7, 0, v7
	s_delay_alu instid0(VALU_DEP_3) | instskip(SKIP_1) | instid1(VALU_DEP_3)
	v_dual_add_f32 v47, 0, v47 :: v_dual_mul_f32 v61, v217, v137
	v_dual_fmac_f32 v11, v203, v126 :: v_dual_fmac_f32 v13, v205, v128
	v_dual_fma_f32 v51, v202, v126, -v51 :: v_dual_add_f32 v7, v7, v9
	s_delay_alu instid0(VALU_DEP_3) | instskip(SKIP_2) | instid1(VALU_DEP_4)
	v_dual_add_f32 v9, v47, v49 :: v_dual_fma_f32 v49, v204, v128, -v53
	v_dual_mul_f32 v15, v210, v131 :: v_dual_mul_f32 v17, v212, v133
	v_dual_mul_f32 v55, v211, v131 :: v_dual_mul_f32 v57, v213, v133
	v_add_f32_e32 v7, v7, v11
	s_delay_alu instid0(VALU_DEP_3) | instskip(NEXT) | instid1(VALU_DEP_3)
	v_dual_add_f32 v9, v9, v51 :: v_dual_fmac_f32 v15, v211, v130
	v_fma_f32 v51, v210, v130, -v55
	v_dual_mul_f32 v19, v214, v135 :: v_dual_mul_f32 v21, v216, v137
	s_delay_alu instid0(VALU_DEP_4) | instskip(SKIP_2) | instid1(VALU_DEP_2)
	v_dual_add_f32 v7, v7, v13 :: v_dual_fmac_f32 v17, v213, v132
	s_wait_loadcnt_dscnt 0xa04
	v_dual_add_f32 v9, v9, v49 :: v_dual_mul_f32 v13, v223, v143
	v_dual_fma_f32 v49, v212, v132, -v57 :: v_dual_add_f32 v7, v7, v15
	v_mul_f32_e32 v15, v225, v145
	s_delay_alu instid0(VALU_DEP_3) | instskip(NEXT) | instid1(VALU_DEP_3)
	v_dual_add_f32 v9, v9, v51 :: v_dual_fmac_f32 v19, v215, v134
	v_dual_fma_f32 v51, v214, v134, -v59 :: v_dual_add_f32 v7, v7, v17
	v_fmac_f32_e32 v21, v217, v136
	s_wait_loadcnt_dscnt 0x903
	s_delay_alu instid0(VALU_DEP_3) | instskip(SKIP_3) | instid1(VALU_DEP_3)
	v_dual_add_f32 v9, v9, v49 :: v_dual_mul_f32 v17, v227, v147
	v_dual_mul_f32 v23, v218, v139 :: v_dual_mul_f32 v25, v220, v141
	v_dual_mul_f32 v47, v219, v139 :: v_dual_mul_f32 v11, v221, v141
	v_dual_fma_f32 v49, v216, v136, -v61 :: v_dual_add_f32 v7, v7, v19
	v_dual_add_f32 v9, v9, v51 :: v_dual_fmac_f32 v23, v219, v138
	s_delay_alu instid0(VALU_DEP_3) | instskip(NEXT) | instid1(VALU_DEP_3)
	v_dual_mul_f32 v19, v229, v149 :: v_dual_fma_f32 v47, v218, v138, -v47
	v_dual_add_f32 v7, v7, v21 :: v_dual_fmac_f32 v25, v221, v140
	s_wait_loadcnt_dscnt 0x802
	s_delay_alu instid0(VALU_DEP_3) | instskip(SKIP_1) | instid1(VALU_DEP_3)
	v_dual_add_f32 v9, v9, v49 :: v_dual_mul_f32 v21, v231, v151
	v_dual_mul_f32 v27, v222, v143 :: v_dual_mul_f32 v29, v224, v145
	v_dual_fma_f32 v11, v220, v140, -v11 :: v_dual_add_f32 v7, v7, v23
	s_delay_alu instid0(VALU_DEP_2) | instskip(SKIP_1) | instid1(VALU_DEP_2)
	v_dual_add_f32 v9, v9, v47 :: v_dual_fmac_f32 v27, v223, v142
	v_dual_mul_f32 v23, v233, v153 :: v_dual_fma_f32 v13, v222, v142, -v13
	v_dual_add_f32 v7, v7, v25 :: v_dual_add_f32 v9, v9, v11
	v_dual_mul_f32 v31, v226, v147 :: v_dual_mul_f32 v33, v228, v149
	s_wait_loadcnt_dscnt 0x701
	v_dual_mul_f32 v11, v235, v155 :: v_dual_fmac_f32 v29, v225, v144
	s_delay_alu instid0(VALU_DEP_3) | instskip(NEXT) | instid1(VALU_DEP_3)
	v_dual_fma_f32 v15, v224, v144, -v15 :: v_dual_add_f32 v7, v7, v27
	v_dual_add_f32 v9, v9, v13 :: v_dual_fmac_f32 v31, v227, v146
	v_dual_mul_f32 v13, v237, v157 :: v_dual_fma_f32 v17, v226, v146, -v17
	s_delay_alu instid0(VALU_DEP_2) | instskip(SKIP_3) | instid1(VALU_DEP_3)
	v_dual_add_f32 v7, v7, v29 :: v_dual_add_f32 v9, v9, v15
	v_dual_mul_f32 v35, v230, v151 :: v_dual_mul_f32 v37, v232, v153
	s_wait_loadcnt_dscnt 0x600
	v_dual_mul_f32 v15, v239, v159 :: v_dual_fmac_f32 v33, v229, v148
	v_dual_fma_f32 v19, v228, v148, -v19 :: v_dual_add_f32 v7, v7, v31
	s_delay_alu instid0(VALU_DEP_3) | instskip(SKIP_1) | instid1(VALU_DEP_2)
	v_dual_add_f32 v9, v9, v17 :: v_dual_fmac_f32 v35, v231, v150
	v_dual_mul_f32 v17, v241, v161 :: v_dual_fma_f32 v21, v230, v150, -v21
	v_dual_add_f32 v7, v7, v33 :: v_dual_add_f32 v9, v9, v19
	v_dual_mul_f32 v39, v234, v155 :: v_dual_mul_f32 v41, v236, v157
	s_wait_loadcnt 0x5
	v_dual_mul_f32 v19, v207, v163 :: v_dual_fmac_f32 v37, v233, v152
	s_delay_alu instid0(VALU_DEP_3) | instskip(NEXT) | instid1(VALU_DEP_3)
	v_dual_fma_f32 v23, v232, v152, -v23 :: v_dual_add_f32 v7, v7, v35
	v_dual_add_f32 v9, v9, v21 :: v_dual_fmac_f32 v39, v235, v154
	v_dual_mul_f32 v21, v209, v165 :: v_dual_fma_f32 v11, v234, v154, -v11
	s_delay_alu instid0(VALU_DEP_2) | instskip(SKIP_1) | instid1(VALU_DEP_2)
	v_dual_add_f32 v7, v7, v37 :: v_dual_add_f32 v9, v9, v23
	v_dual_mul_f32 v43, v238, v159 :: v_dual_mul_f32 v45, v240, v161
	v_dual_fmac_f32 v41, v237, v156 :: v_dual_add_f32 v7, v7, v39
	s_delay_alu instid0(VALU_DEP_3) | instskip(SKIP_1) | instid1(VALU_DEP_3)
	v_dual_fma_f32 v13, v236, v156, -v13 :: v_dual_add_f32 v9, v9, v11
	s_wait_loadcnt 0x4
	v_dual_mov_b32 v124, v169 :: v_dual_fmac_f32 v43, v239, v158
	s_delay_alu instid0(VALU_DEP_3) | instskip(NEXT) | instid1(VALU_DEP_3)
	v_dual_fma_f32 v11, v238, v158, -v15 :: v_dual_add_f32 v7, v7, v41
	v_dual_add_f32 v9, v9, v13 :: v_dual_fma_f32 v13, v240, v160, -v17
	v_dual_mul_f32 v253, v206, v163 :: v_dual_mul_f32 v255, v208, v165
	s_delay_alu instid0(VALU_DEP_3) | instskip(NEXT) | instid1(VALU_DEP_2)
	v_dual_fmac_f32 v45, v241, v160 :: v_dual_add_f32 v7, v7, v43
	v_dual_add_f32 v9, v9, v11 :: v_dual_fmac_f32 v253, v207, v162
	v_pk_mul_f32 v[122:123], v[182:183], v[166:167] op_sel:[1,1] op_sel_hi:[0,1]
	s_wait_loadcnt 0x3
	v_dual_mov_b32 v128, v173 :: v_dual_fma_f32 v252, v206, v162, -v19
	v_dual_add_f32 v131, v7, v45 :: v_dual_fmac_f32 v255, v209, v164
	v_dual_add_f32 v130, v9, v13 :: v_dual_fma_f32 v254, v208, v164, -v21
	v_pk_fma_f32 v[132:133], v[182:183], v[166:167], v[122:123] op_sel_hi:[1,0,1]
	v_pk_mul_f32 v[124:125], v[244:245], v[124:125] op_sel_hi:[1,0]
	v_pk_fma_f32 v[122:123], v[182:183], v[166:167], v[122:123] neg_lo:[0,0,1] neg_hi:[0,0,1]
	s_delay_alu instid0(VALU_DEP_4)
	v_pk_add_f32 v[130:131], v[130:131], v[252:253]
	v_pk_mul_f32 v[126:127], v[186:187], v[170:171] op_sel:[1,1] op_sel_hi:[0,1]
	v_mov_b32_e32 v123, v133
	v_pk_fma_f32 v[132:133], v[184:185], v[168:169], v[124:125] op_sel_hi:[1,0,1]
	v_pk_fma_f32 v[124:125], v[184:185], v[168:169], v[124:125] neg_lo:[0,0,1] neg_hi:[0,0,1]
	v_pk_add_f32 v[130:131], v[130:131], v[254:255]
	v_pk_fma_f32 v[136:137], v[186:187], v[170:171], v[126:127] op_sel_hi:[1,0,1]
	v_pk_mul_f32 v[128:129], v[246:247], v[128:129] op_sel_hi:[1,0]
	v_mov_b32_e32 v125, v133
	s_wait_loadcnt 0x2
	v_pk_mul_f32 v[134:135], v[190:191], v[174:175] op_sel:[1,1] op_sel_hi:[0,1]
	v_pk_add_f32 v[122:123], v[130:131], v[122:123]
	v_mov_b32_e32 v130, v177
	v_pk_fma_f32 v[126:127], v[186:187], v[170:171], v[126:127] neg_lo:[0,0,1] neg_hi:[0,0,1]
	v_mov_b32_e32 v127, v137
	v_pk_fma_f32 v[132:133], v[188:189], v[172:173], v[128:129] op_sel_hi:[1,0,1]
	v_pk_add_f32 v[122:123], v[122:123], v[124:125]
	v_pk_fma_f32 v[124:125], v[190:191], v[174:175], v[134:135] op_sel_hi:[1,0,1]
	v_pk_mul_f32 v[130:131], v[248:249], v[130:131] op_sel_hi:[1,0]
	v_pk_fma_f32 v[128:129], v[188:189], v[172:173], v[128:129] neg_lo:[0,0,1] neg_hi:[0,0,1]
	v_mov_b32_e32 v129, v133
	v_pk_add_f32 v[122:123], v[122:123], v[126:127]
	v_pk_fma_f32 v[132:133], v[190:191], v[174:175], v[134:135] neg_lo:[0,0,1] neg_hi:[0,0,1]
	v_mov_b32_e32 v133, v125
	v_pk_fma_f32 v[124:125], v[192:193], v[176:177], v[130:131] op_sel_hi:[1,0,1]
	s_wait_loadcnt 0x1
	v_pk_mul_f32 v[126:127], v[194:195], v[178:179] op_sel:[1,1] op_sel_hi:[0,1]
	v_pk_add_f32 v[122:123], v[122:123], v[128:129]
	v_mov_b32_e32 v124, v181
	v_pk_fma_f32 v[130:131], v[192:193], v[176:177], v[130:131] neg_lo:[0,0,1] neg_hi:[0,0,1]
	v_mov_b32_e32 v131, v125
	v_pk_fma_f32 v[128:129], v[194:195], v[178:179], v[126:127] op_sel_hi:[1,0,1]
	v_pk_add_f32 v[122:123], v[122:123], v[132:133]
	v_pk_mul_f32 v[124:125], v[250:251], v[124:125] op_sel_hi:[1,0]
	v_pk_fma_f32 v[126:127], v[194:195], v[178:179], v[126:127] neg_lo:[0,0,1] neg_hi:[0,0,1]
	s_delay_alu instid0(VALU_DEP_4) | instskip(NEXT) | instid1(VALU_DEP_4)
	v_mov_b32_e32 v127, v129
	v_pk_add_f32 v[122:123], v[122:123], v[130:131]
	s_delay_alu instid0(VALU_DEP_4) | instskip(SKIP_1) | instid1(VALU_DEP_2)
	v_pk_fma_f32 v[128:129], v[196:197], v[180:181], v[124:125] op_sel_hi:[1,0,1]
	v_pk_fma_f32 v[124:125], v[196:197], v[180:181], v[124:125] neg_lo:[0,0,1] neg_hi:[0,0,1]
	v_mov_b32_e32 v125, v129
	s_delay_alu instid0(VALU_DEP_4) | instskip(NEXT) | instid1(VALU_DEP_1)
	v_pk_add_f32 v[122:123], v[122:123], v[126:127]
	v_pk_add_f32 v[122:123], v[122:123], v[124:125]
	s_wait_loadcnt 0x0
	s_delay_alu instid0(VALU_DEP_1)
	v_pk_add_f32 v[122:123], v[242:243], v[122:123] neg_lo:[0,1] neg_hi:[0,1]
	scratch_store_b64 off, v[122:123], off offset:232
	s_wait_xcnt 0x0
	v_cmpx_lt_u32_e32 28, v0
	s_cbranch_execz .LBB123_317
; %bb.316:
	scratch_load_b64 v[122:123], off, off offset:224
	v_mov_b64_e32 v[124:125], 0
	scratch_store_b64 off, v[124:125], off offset:224
	s_wait_loadcnt 0x0
	ds_store_b64 v1, v[122:123]
.LBB123_317:
	s_wait_xcnt 0x0
	s_or_b32 exec_lo, exec_lo, s0
	s_wait_storecnt_dscnt 0x0
	s_barrier_signal -1
	s_barrier_wait -1
	s_clause 0x10
	scratch_load_b128 v[122:125], off, off offset:232
	scratch_load_b128 v[126:129], off, off offset:248
	scratch_load_b128 v[130:133], off, off offset:264
	scratch_load_b128 v[134:137], off, off offset:280
	scratch_load_b128 v[138:141], off, off offset:296
	scratch_load_b128 v[142:145], off, off offset:312
	scratch_load_b128 v[146:149], off, off offset:328
	scratch_load_b128 v[150:153], off, off offset:344
	scratch_load_b128 v[154:157], off, off offset:360
	scratch_load_b128 v[158:161], off, off offset:376
	scratch_load_b128 v[162:165], off, off offset:392
	scratch_load_b128 v[166:169], off, off offset:408
	scratch_load_b128 v[170:173], off, off offset:424
	scratch_load_b128 v[174:177], off, off offset:440
	scratch_load_b128 v[178:181], off, off offset:456
	scratch_load_b64 v[242:243], off, off offset:472
	scratch_load_b64 v[244:245], off, off offset:224
	v_mov_b32_e32 v7, 0
	ds_load_2addr_b64 v[182:185], v7 offset0:111 offset1:112
	ds_load_2addr_b64 v[186:189], v7 offset0:113 offset1:114
	;; [unrolled: 1-line block ×15, first 2 shown]
	ds_load_b64 v[246:247], v7 offset:952
	s_mov_b32 s0, exec_lo
	s_wait_dscnt 0xf
	v_dual_mov_b32 v248, v185 :: v_dual_mov_b32 v249, v184
	s_wait_dscnt 0xc
	v_dual_mov_b32 v250, v189 :: v_dual_mov_b32 v255, v196
	v_dual_mov_b32 v251, v188 :: v_dual_mov_b32 v252, v193
	v_dual_mov_b32 v253, v192 :: v_dual_mov_b32 v254, v197
	s_wait_loadcnt_dscnt 0x100b
	v_dual_mul_f32 v9, v198, v123 :: v_dual_mul_f32 v51, v199, v123
	v_dual_mul_f32 v53, v201, v125 :: v_dual_mul_f32 v11, v200, v125
	s_wait_loadcnt_dscnt 0xf09
	v_mul_f32_e32 v13, v206, v127
	s_wait_loadcnt_dscnt 0xd07
	v_dual_mul_f32 v63, v215, v135 :: v_dual_fma_f32 v51, v198, v122, -v51
	v_dual_fmac_f32 v9, v199, v122 :: v_dual_mul_f32 v65, v217, v137
	v_dual_mul_f32 v55, v207, v127 :: v_dual_mul_f32 v57, v209, v129
	v_dual_fmac_f32 v11, v201, v124 :: v_dual_fma_f32 v53, v200, v124, -v53
	s_delay_alu instid0(VALU_DEP_3) | instskip(SKIP_3) | instid1(VALU_DEP_3)
	v_dual_add_f32 v9, 0, v9 :: v_dual_add_f32 v51, 0, v51
	v_dual_mul_f32 v15, v208, v129 :: v_dual_mul_f32 v17, v210, v131
	s_wait_loadcnt_dscnt 0xc06
	v_dual_mul_f32 v67, v219, v139 :: v_dual_fma_f32 v55, v206, v126, -v55
	v_dual_fmac_f32 v13, v207, v126 :: v_dual_add_f32 v9, v9, v11
	s_delay_alu instid0(VALU_DEP_3) | instskip(SKIP_2) | instid1(VALU_DEP_3)
	v_dual_add_f32 v11, v51, v53 :: v_dual_fmac_f32 v15, v209, v128
	v_dual_mul_f32 v59, v211, v131 :: v_dual_mul_f32 v61, v213, v133
	v_dual_mul_f32 v51, v221, v141 :: v_dual_fma_f32 v53, v208, v128, -v57
	v_dual_add_f32 v9, v9, v13 :: v_dual_add_f32 v11, v11, v55
	v_dual_mul_f32 v19, v212, v133 :: v_dual_mul_f32 v21, v214, v135
	s_wait_loadcnt_dscnt 0xb05
	v_dual_mul_f32 v13, v223, v143 :: v_dual_fma_f32 v55, v210, v130, -v59
	s_delay_alu instid0(VALU_DEP_3) | instskip(NEXT) | instid1(VALU_DEP_3)
	v_dual_fmac_f32 v17, v211, v130 :: v_dual_add_f32 v9, v9, v15
	v_dual_add_f32 v11, v11, v53 :: v_dual_fmac_f32 v19, v213, v132
	v_dual_mul_f32 v15, v225, v145 :: v_dual_fma_f32 v53, v212, v132, -v61
	s_delay_alu instid0(VALU_DEP_2) | instskip(SKIP_3) | instid1(VALU_DEP_3)
	v_dual_add_f32 v9, v9, v17 :: v_dual_add_f32 v11, v11, v55
	v_dual_mul_f32 v23, v216, v137 :: v_dual_mul_f32 v25, v218, v139
	s_wait_loadcnt_dscnt 0xa04
	v_dual_mul_f32 v17, v227, v147 :: v_dual_fma_f32 v55, v214, v134, -v63
	v_dual_fmac_f32 v21, v215, v134 :: v_dual_add_f32 v9, v9, v19
	s_delay_alu instid0(VALU_DEP_3) | instskip(SKIP_1) | instid1(VALU_DEP_2)
	v_dual_add_f32 v11, v11, v53 :: v_dual_fmac_f32 v23, v217, v136
	v_dual_mul_f32 v19, v229, v149 :: v_dual_fma_f32 v53, v216, v136, -v65
	v_dual_add_f32 v9, v9, v21 :: v_dual_add_f32 v11, v11, v55
	v_dual_mul_f32 v27, v220, v141 :: v_dual_mul_f32 v29, v222, v143
	s_wait_loadcnt_dscnt 0x903
	v_dual_mul_f32 v21, v231, v151 :: v_dual_fma_f32 v55, v218, v138, -v67
	s_delay_alu instid0(VALU_DEP_3) | instskip(NEXT) | instid1(VALU_DEP_3)
	v_dual_fmac_f32 v25, v219, v138 :: v_dual_add_f32 v9, v9, v23
	v_dual_add_f32 v11, v11, v53 :: v_dual_fmac_f32 v27, v221, v140
	v_dual_mul_f32 v23, v233, v153 :: v_dual_fma_f32 v51, v220, v140, -v51
	s_delay_alu instid0(VALU_DEP_2) | instskip(SKIP_3) | instid1(VALU_DEP_3)
	v_dual_add_f32 v9, v9, v25 :: v_dual_add_f32 v11, v11, v55
	v_dual_mul_f32 v31, v224, v145 :: v_dual_mul_f32 v33, v226, v147
	s_wait_loadcnt_dscnt 0x802
	v_dual_mul_f32 v25, v235, v155 :: v_dual_fma_f32 v13, v222, v142, -v13
	v_dual_fmac_f32 v29, v223, v142 :: v_dual_add_f32 v9, v9, v27
	v_dual_add_f32 v11, v11, v51 :: v_dual_mul_f32 v27, v237, v157
	v_fmac_f32_e32 v31, v225, v144
	s_delay_alu instid0(VALU_DEP_3) | instskip(NEXT) | instid1(VALU_DEP_3)
	v_dual_fma_f32 v15, v224, v144, -v15 :: v_dual_add_f32 v9, v9, v29
	v_add_f32_e32 v11, v11, v13
	v_dual_mul_f32 v35, v228, v149 :: v_dual_mul_f32 v37, v230, v151
	s_wait_loadcnt_dscnt 0x701
	v_dual_mul_f32 v13, v239, v159 :: v_dual_fma_f32 v17, v226, v146, -v17
	v_dual_fmac_f32 v33, v227, v146 :: v_dual_add_f32 v9, v9, v31
	v_dual_add_f32 v11, v11, v15 :: v_dual_mul_f32 v15, v241, v161
	v_fmac_f32_e32 v35, v229, v148
	s_delay_alu instid0(VALU_DEP_3) | instskip(NEXT) | instid1(VALU_DEP_3)
	v_dual_fma_f32 v19, v228, v148, -v19 :: v_dual_add_f32 v9, v9, v33
	v_add_f32_e32 v11, v11, v17
	v_dual_mul_f32 v39, v232, v153 :: v_dual_mul_f32 v41, v234, v155
	s_wait_loadcnt 0x6
	v_dual_mul_f32 v17, v203, v163 :: v_dual_fma_f32 v21, v230, v150, -v21
	v_dual_fmac_f32 v37, v231, v150 :: v_dual_add_f32 v9, v9, v35
	v_dual_add_f32 v11, v11, v19 :: v_dual_mul_f32 v19, v205, v165
	v_fmac_f32_e32 v39, v233, v152
	s_delay_alu instid0(VALU_DEP_3) | instskip(NEXT) | instid1(VALU_DEP_3)
	v_dual_fma_f32 v23, v232, v152, -v23 :: v_dual_add_f32 v9, v9, v37
	v_add_f32_e32 v11, v11, v21
	v_dual_mul_f32 v43, v236, v157 :: v_dual_mul_f32 v45, v238, v159
	s_wait_loadcnt 0x5
	v_dual_mul_f32 v21, v183, v167 :: v_dual_fma_f32 v25, v234, v154, -v25
	v_dual_fmac_f32 v41, v235, v154 :: v_dual_add_f32 v9, v9, v39
	v_dual_add_f32 v11, v11, v23 :: v_dual_mov_b32 v122, v169
	v_fmac_f32_e32 v43, v237, v156
	s_delay_alu instid0(VALU_DEP_3) | instskip(NEXT) | instid1(VALU_DEP_3)
	v_dual_fma_f32 v23, v236, v156, -v27 :: v_dual_add_f32 v9, v9, v41
	v_add_f32_e32 v11, v11, v25
	v_dual_mul_f32 v47, v240, v161 :: v_dual_mul_f32 v49, v202, v163
	s_delay_alu instid0(VALU_DEP_3) | instskip(NEXT) | instid1(VALU_DEP_3)
	v_dual_fmac_f32 v45, v239, v158 :: v_dual_add_f32 v9, v9, v43
	v_dual_fma_f32 v13, v238, v158, -v13 :: v_dual_add_f32 v11, v11, v23
	s_wait_loadcnt 0x4
	v_dual_mov_b32 v126, v173 :: v_dual_fma_f32 v15, v240, v160, -v15
	v_fmac_f32_e32 v47, v241, v160
	v_dual_add_f32 v9, v9, v45 :: v_dual_fmac_f32 v49, v203, v162
	v_add_f32_e32 v11, v11, v13
	s_set_vgpr_msb 64                       ;  msbs: dst=1 src0=0 src1=0 src2=0
	v_dual_mul_f32 v1 /*v257*/, v204, v165 :: v_dual_mul_f32 v3 /*v259*/, v182, v167
	s_set_vgpr_msb 0                        ;  msbs: dst=0 src0=0 src1=0 src2=0
	v_dual_fma_f32 v13, v202, v162, -v17 :: v_dual_add_f32 v9, v9, v47
	v_add_f32_e32 v11, v11, v15
	s_set_vgpr_msb 64                       ;  msbs: dst=1 src0=0 src1=0 src2=0
	v_dual_fmac_f32 v1 /*v257*/, v205, v164 :: v_dual_fmac_f32 v3 /*v259*/, v183, v166
	v_dual_fma_f32 v0 /*v256*/, v204, v164, -v19 :: v_dual_fma_f32 v2 /*v258*/, v182, v166, -v21
	s_set_vgpr_msb 0                        ;  msbs: dst=0 src0=0 src1=0 src2=0
	v_pk_mul_f32 v[122:123], v[248:249], v[122:123] op_sel_hi:[1,0]
	v_add_f32_e32 v131, v9, v49
	s_wait_loadcnt 0x3
	v_dual_add_f32 v130, v11, v13 :: v_dual_mov_b32 v132, v177
	v_pk_mul_f32 v[124:125], v[186:187], v[170:171] op_sel:[1,1] op_sel_hi:[0,1]
	v_pk_fma_f32 v[134:135], v[184:185], v[168:169], v[122:123] op_sel_hi:[1,0,1]
	v_pk_fma_f32 v[122:123], v[184:185], v[168:169], v[122:123] neg_lo:[0,0,1] neg_hi:[0,0,1]
	s_set_vgpr_msb 4                        ;  msbs: dst=0 src0=0 src1=1 src2=0
	v_pk_add_f32 v[130:131], v[130:131], v[0:1] /*v[256:257]*/
	s_set_vgpr_msb 0                        ;  msbs: dst=0 src0=0 src1=0 src2=0
	v_pk_mul_f32 v[126:127], v[250:251], v[126:127] op_sel_hi:[1,0]
	v_pk_fma_f32 v[136:137], v[186:187], v[170:171], v[124:125] op_sel_hi:[1,0,1]
	v_mov_b32_e32 v123, v135
	v_pk_fma_f32 v[124:125], v[186:187], v[170:171], v[124:125] neg_lo:[0,0,1] neg_hi:[0,0,1]
	s_set_vgpr_msb 4                        ;  msbs: dst=0 src0=0 src1=1 src2=0
	v_pk_add_f32 v[130:131], v[130:131], v[2:3] /*v[258:259]*/
	s_set_vgpr_msb 0                        ;  msbs: dst=0 src0=0 src1=0 src2=0
	v_pk_mul_f32 v[128:129], v[190:191], v[174:175] op_sel:[1,1] op_sel_hi:[0,1]
	v_mov_b32_e32 v125, v137
	v_pk_fma_f32 v[136:137], v[188:189], v[172:173], v[126:127] op_sel_hi:[1,0,1]
	v_pk_fma_f32 v[126:127], v[188:189], v[172:173], v[126:127] neg_lo:[0,0,1] neg_hi:[0,0,1]
	v_pk_add_f32 v[122:123], v[130:131], v[122:123]
	v_pk_fma_f32 v[130:131], v[190:191], v[174:175], v[128:129] op_sel_hi:[1,0,1]
	v_pk_mul_f32 v[132:133], v[252:253], v[132:133] op_sel_hi:[1,0]
	v_mov_b32_e32 v127, v137
	v_pk_fma_f32 v[128:129], v[190:191], v[174:175], v[128:129] neg_lo:[0,0,1] neg_hi:[0,0,1]
	v_pk_add_f32 v[122:123], v[122:123], v[124:125]
	s_wait_loadcnt 0x2
	v_pk_mul_f32 v[134:135], v[194:195], v[178:179] op_sel:[1,1] op_sel_hi:[0,1]
	v_dual_mov_b32 v124, v181 :: v_dual_mov_b32 v129, v131
	v_pk_fma_f32 v[130:131], v[192:193], v[176:177], v[132:133] op_sel_hi:[1,0,1]
	v_pk_add_f32 v[122:123], v[122:123], v[126:127]
	v_pk_fma_f32 v[132:133], v[192:193], v[176:177], v[132:133] neg_lo:[0,0,1] neg_hi:[0,0,1]
	v_pk_fma_f32 v[126:127], v[194:195], v[178:179], v[134:135] op_sel_hi:[1,0,1]
	v_pk_mul_f32 v[124:125], v[254:255], v[124:125] op_sel_hi:[1,0]
	v_mov_b32_e32 v133, v131
	v_pk_add_f32 v[122:123], v[122:123], v[128:129]
	v_pk_fma_f32 v[128:129], v[194:195], v[178:179], v[134:135] neg_lo:[0,0,1] neg_hi:[0,0,1]
	v_mov_b32_e32 v129, v127
	v_pk_fma_f32 v[126:127], v[196:197], v[180:181], v[124:125] op_sel_hi:[1,0,1]
	s_wait_loadcnt_dscnt 0x100
	v_pk_mul_f32 v[130:131], v[246:247], v[242:243] op_sel:[1,1] op_sel_hi:[0,1]
	v_pk_add_f32 v[122:123], v[122:123], v[132:133]
	v_pk_fma_f32 v[124:125], v[196:197], v[180:181], v[124:125] neg_lo:[0,0,1] neg_hi:[0,0,1]
	v_mov_b32_e32 v125, v127
	s_delay_alu instid0(VALU_DEP_4) | instskip(NEXT) | instid1(VALU_DEP_4)
	v_pk_fma_f32 v[126:127], v[246:247], v[242:243], v[130:131] op_sel_hi:[1,0,1]
	v_pk_add_f32 v[122:123], v[122:123], v[128:129]
	v_pk_fma_f32 v[128:129], v[246:247], v[242:243], v[130:131] neg_lo:[0,0,1] neg_hi:[0,0,1]
	s_delay_alu instid0(VALU_DEP_3) | instskip(NEXT) | instid1(VALU_DEP_3)
	v_mov_b32_e32 v129, v127
	v_pk_add_f32 v[122:123], v[122:123], v[124:125]
	s_delay_alu instid0(VALU_DEP_1) | instskip(SKIP_1) | instid1(VALU_DEP_1)
	v_pk_add_f32 v[122:123], v[122:123], v[128:129]
	s_wait_loadcnt 0x0
	v_pk_add_f32 v[122:123], v[244:245], v[122:123] neg_lo:[0,1] neg_hi:[0,1]
	scratch_store_b64 off, v[122:123], off offset:224
	s_wait_xcnt 0x0
	v_cmpx_lt_u32_e32 27, v0
	s_cbranch_execz .LBB123_319
; %bb.318:
	scratch_load_b64 v[122:123], off, off offset:216
	v_mov_b64_e32 v[124:125], 0
	scratch_store_b64 off, v[124:125], off offset:216
	s_wait_loadcnt 0x0
	ds_store_b64 v1, v[122:123]
.LBB123_319:
	s_wait_xcnt 0x0
	s_or_b32 exec_lo, exec_lo, s0
	s_wait_storecnt_dscnt 0x0
	s_barrier_signal -1
	s_barrier_wait -1
	s_clause 0x10
	scratch_load_b128 v[122:125], off, off offset:224
	scratch_load_b128 v[126:129], off, off offset:240
	;; [unrolled: 1-line block ×16, first 2 shown]
	scratch_load_b64 v[250:251], off, off offset:216
	ds_load_b128 v[186:189], v7 offset:896
	ds_load_b128 v[190:193], v7 offset:912
	;; [unrolled: 1-line block ×16, first 2 shown]
	s_mov_b32 s0, exec_lo
	s_wait_dscnt 0xf
	v_dual_mov_b32 v252, v189 :: v_dual_mov_b32 v253, v188
	s_wait_dscnt 0xe
	v_dual_mov_b32 v254, v193 :: v_dual_mov_b32 v255, v192
	s_wait_dscnt 0xd
	s_set_vgpr_msb 64                       ;  msbs: dst=1 src0=0 src1=0 src2=0
	v_dual_mov_b32 v0 /*v256*/, v197 :: v_dual_mov_b32 v1 /*v257*/, v196
	s_wait_dscnt 0xc
	v_dual_mov_b32 v2 /*v258*/, v201 :: v_dual_mov_b32 v3 /*v259*/, v200
	s_wait_loadcnt_dscnt 0x100b
	s_set_vgpr_msb 0                        ;  msbs: dst=0 src0=0 src1=0 src2=0
	v_dual_mul_f32 v7, v202, v123 :: v_dual_mul_f32 v9, v204, v125
	v_dual_mul_f32 v51, v203, v123 :: v_dual_mul_f32 v53, v205, v125
	s_wait_loadcnt_dscnt 0xf0a
	v_dual_mul_f32 v11, v206, v127 :: v_dual_mul_f32 v13, v208, v129
	s_delay_alu instid0(VALU_DEP_3) | instskip(SKIP_3) | instid1(VALU_DEP_3)
	v_dual_fmac_f32 v7, v203, v122 :: v_dual_fmac_f32 v9, v205, v124
	s_wait_loadcnt_dscnt 0xd08
	v_dual_fma_f32 v51, v202, v122, -v51 :: v_dual_mul_f32 v63, v215, v135
	v_dual_mul_f32 v55, v207, v127 :: v_dual_mul_f32 v57, v209, v129
	v_dual_fma_f32 v53, v204, v124, -v53 :: v_dual_add_f32 v7, 0, v7
	s_delay_alu instid0(VALU_DEP_3) | instskip(SKIP_1) | instid1(VALU_DEP_3)
	v_dual_add_f32 v51, 0, v51 :: v_dual_mul_f32 v65, v217, v137
	v_dual_fmac_f32 v11, v207, v126 :: v_dual_fmac_f32 v13, v209, v128
	v_dual_fma_f32 v55, v206, v126, -v55 :: v_dual_add_f32 v7, v7, v9
	s_delay_alu instid0(VALU_DEP_3) | instskip(SKIP_2) | instid1(VALU_DEP_4)
	v_dual_add_f32 v9, v51, v53 :: v_dual_fma_f32 v53, v208, v128, -v57
	v_dual_mul_f32 v15, v210, v131 :: v_dual_mul_f32 v17, v212, v133
	v_dual_mul_f32 v59, v211, v131 :: v_dual_mul_f32 v61, v213, v133
	v_add_f32_e32 v7, v7, v11
	s_delay_alu instid0(VALU_DEP_3) | instskip(NEXT) | instid1(VALU_DEP_3)
	v_dual_add_f32 v9, v9, v55 :: v_dual_fmac_f32 v15, v211, v130
	v_fma_f32 v55, v210, v130, -v59
	v_dual_mul_f32 v19, v214, v135 :: v_dual_mul_f32 v21, v216, v137
	s_delay_alu instid0(VALU_DEP_4) | instskip(SKIP_2) | instid1(VALU_DEP_2)
	v_dual_add_f32 v7, v7, v13 :: v_dual_fmac_f32 v17, v213, v132
	s_wait_loadcnt_dscnt 0xb06
	v_dual_add_f32 v9, v9, v53 :: v_dual_mul_f32 v13, v223, v143
	v_dual_fma_f32 v53, v212, v132, -v61 :: v_dual_add_f32 v7, v7, v15
	v_mul_f32_e32 v15, v225, v145
	s_delay_alu instid0(VALU_DEP_3) | instskip(NEXT) | instid1(VALU_DEP_3)
	v_dual_add_f32 v9, v9, v55 :: v_dual_fmac_f32 v19, v215, v134
	v_dual_fma_f32 v55, v214, v134, -v63 :: v_dual_add_f32 v7, v7, v17
	v_fmac_f32_e32 v21, v217, v136
	s_wait_loadcnt_dscnt 0xa05
	s_delay_alu instid0(VALU_DEP_3) | instskip(SKIP_3) | instid1(VALU_DEP_3)
	v_dual_add_f32 v9, v9, v53 :: v_dual_mul_f32 v17, v227, v147
	v_dual_mul_f32 v23, v218, v139 :: v_dual_mul_f32 v25, v220, v141
	v_dual_mul_f32 v51, v219, v139 :: v_dual_mul_f32 v11, v221, v141
	v_dual_fma_f32 v53, v216, v136, -v65 :: v_dual_add_f32 v7, v7, v19
	v_dual_add_f32 v9, v9, v55 :: v_dual_fmac_f32 v23, v219, v138
	s_delay_alu instid0(VALU_DEP_3) | instskip(NEXT) | instid1(VALU_DEP_3)
	v_dual_mul_f32 v19, v229, v149 :: v_dual_fma_f32 v51, v218, v138, -v51
	v_dual_add_f32 v7, v7, v21 :: v_dual_fmac_f32 v25, v221, v140
	s_wait_loadcnt_dscnt 0x904
	s_delay_alu instid0(VALU_DEP_3) | instskip(SKIP_1) | instid1(VALU_DEP_3)
	v_dual_add_f32 v9, v9, v53 :: v_dual_mul_f32 v21, v231, v151
	v_dual_mul_f32 v27, v222, v143 :: v_dual_mul_f32 v29, v224, v145
	v_dual_fma_f32 v11, v220, v140, -v11 :: v_dual_add_f32 v7, v7, v23
	s_delay_alu instid0(VALU_DEP_2) | instskip(SKIP_1) | instid1(VALU_DEP_2)
	v_dual_add_f32 v9, v9, v51 :: v_dual_fmac_f32 v27, v223, v142
	v_dual_mul_f32 v23, v233, v153 :: v_dual_fma_f32 v13, v222, v142, -v13
	v_dual_add_f32 v7, v7, v25 :: v_dual_add_f32 v9, v9, v11
	v_dual_mul_f32 v31, v226, v147 :: v_dual_mul_f32 v33, v228, v149
	s_wait_loadcnt_dscnt 0x803
	v_dual_mul_f32 v11, v235, v155 :: v_dual_fmac_f32 v29, v225, v144
	s_delay_alu instid0(VALU_DEP_3) | instskip(NEXT) | instid1(VALU_DEP_3)
	v_dual_fma_f32 v15, v224, v144, -v15 :: v_dual_add_f32 v7, v7, v27
	v_dual_add_f32 v9, v9, v13 :: v_dual_fmac_f32 v31, v227, v146
	v_dual_mul_f32 v13, v237, v157 :: v_dual_fma_f32 v17, v226, v146, -v17
	s_delay_alu instid0(VALU_DEP_2) | instskip(SKIP_3) | instid1(VALU_DEP_3)
	v_dual_add_f32 v7, v7, v29 :: v_dual_add_f32 v9, v9, v15
	v_dual_mul_f32 v35, v230, v151 :: v_dual_mul_f32 v37, v232, v153
	s_wait_loadcnt_dscnt 0x702
	v_dual_mul_f32 v15, v239, v159 :: v_dual_fmac_f32 v33, v229, v148
	v_dual_fma_f32 v19, v228, v148, -v19 :: v_dual_add_f32 v7, v7, v31
	s_delay_alu instid0(VALU_DEP_3) | instskip(SKIP_1) | instid1(VALU_DEP_2)
	v_dual_add_f32 v9, v9, v17 :: v_dual_fmac_f32 v35, v231, v150
	v_dual_mul_f32 v17, v241, v161 :: v_dual_fma_f32 v21, v230, v150, -v21
	v_dual_add_f32 v7, v7, v33 :: v_dual_add_f32 v9, v9, v19
	v_dual_mul_f32 v39, v234, v155 :: v_dual_mul_f32 v41, v236, v157
	s_wait_loadcnt_dscnt 0x601
	v_dual_mul_f32 v19, v243, v163 :: v_dual_fmac_f32 v37, v233, v152
	s_delay_alu instid0(VALU_DEP_3) | instskip(NEXT) | instid1(VALU_DEP_3)
	v_dual_fma_f32 v23, v232, v152, -v23 :: v_dual_add_f32 v7, v7, v35
	v_dual_add_f32 v9, v9, v21 :: v_dual_fmac_f32 v39, v235, v154
	v_dual_mul_f32 v21, v245, v165 :: v_dual_fma_f32 v11, v234, v154, -v11
	s_delay_alu instid0(VALU_DEP_2) | instskip(SKIP_3) | instid1(VALU_DEP_3)
	v_dual_add_f32 v7, v7, v37 :: v_dual_add_f32 v9, v9, v23
	v_dual_mul_f32 v43, v238, v159 :: v_dual_mul_f32 v45, v240, v161
	s_wait_loadcnt_dscnt 0x500
	v_dual_mul_f32 v23, v247, v167 :: v_dual_fmac_f32 v41, v237, v156
	v_dual_fma_f32 v13, v236, v156, -v13 :: v_dual_add_f32 v7, v7, v39
	s_delay_alu instid0(VALU_DEP_3) | instskip(SKIP_1) | instid1(VALU_DEP_3)
	v_dual_add_f32 v9, v9, v11 :: v_dual_fmac_f32 v43, v239, v158
	v_dual_mul_f32 v11, v249, v169 :: v_dual_fma_f32 v15, v238, v158, -v15
	v_dual_add_f32 v7, v7, v41 :: v_dual_fmac_f32 v45, v241, v160
	s_delay_alu instid0(VALU_DEP_3) | instskip(SKIP_2) | instid1(VALU_DEP_3)
	v_dual_add_f32 v9, v9, v13 :: v_dual_fma_f32 v13, v240, v160, -v17
	v_dual_mul_f32 v47, v242, v163 :: v_dual_mul_f32 v49, v244, v165
	s_wait_loadcnt 0x4
	v_dual_add_f32 v7, v7, v43 :: v_dual_mov_b32 v124, v173
	s_delay_alu instid0(VALU_DEP_2) | instskip(NEXT) | instid1(VALU_DEP_2)
	v_dual_add_f32 v9, v9, v15 :: v_dual_fmac_f32 v47, v243, v162
	v_dual_fma_f32 v15, v242, v162, -v19 :: v_dual_add_f32 v7, v7, v45
	s_set_vgpr_msb 64                       ;  msbs: dst=1 src0=0 src1=0 src2=0
	v_dual_mul_f32 v5 /*v261*/, v246, v167 :: v_dual_mul_f32 v7 /*v263*/, v248, v169
	s_set_vgpr_msb 0                        ;  msbs: dst=0 src0=0 src1=0 src2=0
	v_dual_add_f32 v9, v9, v13 :: v_dual_fma_f32 v13, v244, v164, -v21
	v_dual_fmac_f32 v49, v245, v164 :: v_dual_add_f32 v7, v7, v47
	v_pk_mul_f32 v[122:123], v[186:187], v[170:171] op_sel:[1,1] op_sel_hi:[0,1]
	s_delay_alu instid0(VALU_DEP_3)
	v_add_f32_e32 v9, v9, v15
	s_set_vgpr_msb 64                       ;  msbs: dst=1 src0=0 src1=0 src2=0
	v_dual_fmac_f32 v5 /*v261*/, v247, v166 :: v_dual_fmac_f32 v7 /*v263*/, v249, v168
	v_fma_f32 v4 /*v260*/, v246, v166, -v23
	s_set_vgpr_msb 0                        ;  msbs: dst=0 src0=0 src1=0 src2=0
	v_add_f32_e32 v131, v7, v49
	v_add_f32_e32 v130, v9, v13
	s_set_vgpr_msb 64                       ;  msbs: dst=1 src0=0 src1=0 src2=0
	v_fma_f32 v6 /*v262*/, v248, v168, -v11
	s_set_vgpr_msb 0                        ;  msbs: dst=0 src0=0 src1=0 src2=0
	v_pk_fma_f32 v[132:133], v[186:187], v[170:171], v[122:123] op_sel_hi:[1,0,1]
	v_pk_mul_f32 v[124:125], v[252:253], v[124:125] op_sel_hi:[1,0]
	v_pk_fma_f32 v[122:123], v[186:187], v[170:171], v[122:123] neg_lo:[0,0,1] neg_hi:[0,0,1]
	s_set_vgpr_msb 4                        ;  msbs: dst=0 src0=0 src1=1 src2=0
	v_pk_add_f32 v[130:131], v[130:131], v[4:5] /*v[260:261]*/
	s_wait_loadcnt 0x3
	s_set_vgpr_msb 0                        ;  msbs: dst=0 src0=0 src1=0 src2=0
	v_pk_mul_f32 v[126:127], v[190:191], v[174:175] op_sel:[1,1] op_sel_hi:[0,1]
	v_dual_mov_b32 v128, v177 :: v_dual_mov_b32 v123, v133
	v_pk_fma_f32 v[132:133], v[188:189], v[172:173], v[124:125] op_sel_hi:[1,0,1]
	s_set_vgpr_msb 4                        ;  msbs: dst=0 src0=0 src1=1 src2=0
	v_pk_add_f32 v[130:131], v[130:131], v[6:7] /*v[262:263]*/
	s_set_vgpr_msb 0                        ;  msbs: dst=0 src0=0 src1=0 src2=0
	v_pk_fma_f32 v[124:125], v[188:189], v[172:173], v[124:125] neg_lo:[0,0,1] neg_hi:[0,0,1]
	v_pk_fma_f32 v[136:137], v[190:191], v[174:175], v[126:127] op_sel_hi:[1,0,1]
	v_pk_mul_f32 v[128:129], v[254:255], v[128:129] op_sel_hi:[1,0]
	v_mov_b32_e32 v125, v133
	v_pk_add_f32 v[122:123], v[130:131], v[122:123]
	s_wait_loadcnt 0x2
	v_pk_mul_f32 v[134:135], v[194:195], v[178:179] op_sel:[1,1] op_sel_hi:[0,1]
	v_mov_b32_e32 v130, v181
	v_pk_fma_f32 v[126:127], v[190:191], v[174:175], v[126:127] neg_lo:[0,0,1] neg_hi:[0,0,1]
	v_pk_fma_f32 v[132:133], v[192:193], v[176:177], v[128:129] op_sel_hi:[1,0,1]
	v_mov_b32_e32 v127, v137
	v_pk_add_f32 v[122:123], v[122:123], v[124:125]
	v_pk_fma_f32 v[124:125], v[194:195], v[178:179], v[134:135] op_sel_hi:[1,0,1]
	s_set_vgpr_msb 1                        ;  msbs: dst=0 src0=1 src1=0 src2=0
	v_pk_mul_f32 v[130:131], v[0:1] /*v[256:257]*/, v[130:131] op_sel_hi:[1,0]
	s_set_vgpr_msb 0                        ;  msbs: dst=0 src0=0 src1=0 src2=0
	v_pk_fma_f32 v[128:129], v[192:193], v[176:177], v[128:129] neg_lo:[0,0,1] neg_hi:[0,0,1]
	v_mov_b32_e32 v129, v133
	v_pk_add_f32 v[122:123], v[122:123], v[126:127]
	v_pk_fma_f32 v[132:133], v[194:195], v[178:179], v[134:135] neg_lo:[0,0,1] neg_hi:[0,0,1]
	v_mov_b32_e32 v133, v125
	v_pk_fma_f32 v[124:125], v[196:197], v[180:181], v[130:131] op_sel_hi:[1,0,1]
	s_wait_loadcnt 0x1
	v_pk_mul_f32 v[126:127], v[198:199], v[182:183] op_sel:[1,1] op_sel_hi:[0,1]
	v_pk_add_f32 v[122:123], v[122:123], v[128:129]
	v_mov_b32_e32 v124, v185
	v_pk_fma_f32 v[130:131], v[196:197], v[180:181], v[130:131] neg_lo:[0,0,1] neg_hi:[0,0,1]
	s_delay_alu instid0(VALU_DEP_4)
	v_pk_fma_f32 v[128:129], v[198:199], v[182:183], v[126:127] op_sel_hi:[1,0,1]
	v_mov_b32_e32 v131, v125
	v_pk_add_f32 v[122:123], v[122:123], v[132:133]
	s_set_vgpr_msb 1                        ;  msbs: dst=0 src0=1 src1=0 src2=0
	v_pk_mul_f32 v[124:125], v[2:3] /*v[258:259]*/, v[124:125] op_sel_hi:[1,0]
	s_set_vgpr_msb 0                        ;  msbs: dst=0 src0=0 src1=0 src2=0
	v_pk_fma_f32 v[126:127], v[198:199], v[182:183], v[126:127] neg_lo:[0,0,1] neg_hi:[0,0,1]
	v_mov_b32_e32 v127, v129
	v_pk_add_f32 v[122:123], v[122:123], v[130:131]
	v_pk_fma_f32 v[128:129], v[200:201], v[184:185], v[124:125] op_sel_hi:[1,0,1]
	v_pk_fma_f32 v[124:125], v[200:201], v[184:185], v[124:125] neg_lo:[0,0,1] neg_hi:[0,0,1]
	s_delay_alu instid0(VALU_DEP_3) | instskip(NEXT) | instid1(VALU_DEP_3)
	v_pk_add_f32 v[122:123], v[122:123], v[126:127]
	v_mov_b32_e32 v125, v129
	s_delay_alu instid0(VALU_DEP_1) | instskip(SKIP_1) | instid1(VALU_DEP_1)
	v_pk_add_f32 v[122:123], v[122:123], v[124:125]
	s_wait_loadcnt 0x0
	v_pk_add_f32 v[122:123], v[250:251], v[122:123] neg_lo:[0,1] neg_hi:[0,1]
	scratch_store_b64 off, v[122:123], off offset:216
	s_wait_xcnt 0x0
	v_cmpx_lt_u32_e32 26, v0
	s_cbranch_execz .LBB123_321
; %bb.320:
	scratch_load_b64 v[122:123], off, off offset:208
	v_mov_b64_e32 v[124:125], 0
	scratch_store_b64 off, v[124:125], off offset:208
	s_wait_loadcnt 0x0
	ds_store_b64 v1, v[122:123]
.LBB123_321:
	s_wait_xcnt 0x0
	s_or_b32 exec_lo, exec_lo, s0
	s_wait_storecnt_dscnt 0x0
	s_barrier_signal -1
	s_barrier_wait -1
	s_clause 0x11
	scratch_load_b128 v[122:125], off, off offset:216
	scratch_load_b128 v[126:129], off, off offset:232
	;; [unrolled: 1-line block ×16, first 2 shown]
	scratch_load_b64 v[250:251], off, off offset:472
	scratch_load_b64 v[252:253], off, off offset:208
	v_mov_b32_e32 v7, 0
	ds_load_2addr_b64 v[186:189], v7 offset0:111 offset1:112
	ds_load_2addr_b64 v[190:193], v7 offset0:113 offset1:114
	;; [unrolled: 1-line block ×16, first 2 shown]
	ds_load_b64 v[254:255], v7 offset:952
	s_mov_b32 s0, exec_lo
	s_wait_dscnt 0x10
	s_set_vgpr_msb 64                       ;  msbs: dst=1 src0=0 src1=0 src2=0
	v_dual_mov_b32 v0 /*v256*/, v189 :: v_dual_mov_b32 v1 /*v257*/, v188
	s_wait_dscnt 0xf
	v_dual_mov_b32 v2 /*v258*/, v193 :: v_dual_mov_b32 v3 /*v259*/, v192
	s_wait_dscnt 0xe
	;; [unrolled: 2-line block ×3, first 2 shown]
	v_dual_mov_b32 v6 /*v262*/, v201 :: v_dual_mov_b32 v7 /*v263*/, v200
	s_wait_loadcnt_dscnt 0x110c
	s_set_vgpr_msb 0                        ;  msbs: dst=0 src0=0 src1=0 src2=0
	v_dual_mul_f32 v9, v202, v123 :: v_dual_mul_f32 v55, v203, v123
	v_dual_mul_f32 v57, v205, v125 :: v_dual_mul_f32 v11, v204, v125
	s_wait_loadcnt_dscnt 0x100b
	v_mul_f32_e32 v13, v206, v127
	s_wait_loadcnt_dscnt 0xe09
	v_dual_mul_f32 v67, v215, v135 :: v_dual_fma_f32 v55, v202, v122, -v55
	v_dual_fmac_f32 v9, v203, v122 :: v_dual_mul_f32 v69, v217, v137
	v_dual_mul_f32 v59, v207, v127 :: v_dual_mul_f32 v61, v209, v129
	v_dual_fmac_f32 v11, v205, v124 :: v_dual_fma_f32 v57, v204, v124, -v57
	s_delay_alu instid0(VALU_DEP_3) | instskip(SKIP_3) | instid1(VALU_DEP_3)
	v_dual_add_f32 v9, 0, v9 :: v_dual_add_f32 v55, 0, v55
	v_dual_mul_f32 v15, v208, v129 :: v_dual_mul_f32 v17, v210, v131
	s_wait_loadcnt_dscnt 0xd08
	v_dual_mul_f32 v71, v219, v139 :: v_dual_fma_f32 v59, v206, v126, -v59
	v_dual_fmac_f32 v13, v207, v126 :: v_dual_add_f32 v9, v9, v11
	s_delay_alu instid0(VALU_DEP_3) | instskip(SKIP_2) | instid1(VALU_DEP_3)
	v_dual_add_f32 v11, v55, v57 :: v_dual_fmac_f32 v15, v209, v128
	v_dual_mul_f32 v63, v211, v131 :: v_dual_mul_f32 v65, v213, v133
	v_dual_mul_f32 v55, v221, v141 :: v_dual_fma_f32 v57, v208, v128, -v61
	v_dual_add_f32 v9, v9, v13 :: v_dual_add_f32 v11, v11, v59
	v_dual_mul_f32 v19, v212, v133 :: v_dual_mul_f32 v21, v214, v135
	s_wait_loadcnt_dscnt 0xc07
	v_dual_mul_f32 v13, v223, v143 :: v_dual_fma_f32 v59, v210, v130, -v63
	s_delay_alu instid0(VALU_DEP_3) | instskip(NEXT) | instid1(VALU_DEP_3)
	v_dual_fmac_f32 v17, v211, v130 :: v_dual_add_f32 v9, v9, v15
	v_dual_add_f32 v11, v11, v57 :: v_dual_fmac_f32 v19, v213, v132
	v_dual_mul_f32 v15, v225, v145 :: v_dual_fma_f32 v57, v212, v132, -v65
	s_delay_alu instid0(VALU_DEP_2) | instskip(SKIP_3) | instid1(VALU_DEP_3)
	v_dual_add_f32 v9, v9, v17 :: v_dual_add_f32 v11, v11, v59
	v_dual_mul_f32 v23, v216, v137 :: v_dual_mul_f32 v25, v218, v139
	s_wait_loadcnt_dscnt 0xb06
	v_dual_mul_f32 v17, v227, v147 :: v_dual_fma_f32 v59, v214, v134, -v67
	v_dual_fmac_f32 v21, v215, v134 :: v_dual_add_f32 v9, v9, v19
	s_delay_alu instid0(VALU_DEP_3) | instskip(SKIP_1) | instid1(VALU_DEP_2)
	v_dual_add_f32 v11, v11, v57 :: v_dual_fmac_f32 v23, v217, v136
	v_dual_mul_f32 v19, v229, v149 :: v_dual_fma_f32 v57, v216, v136, -v69
	v_dual_add_f32 v9, v9, v21 :: v_dual_add_f32 v11, v11, v59
	v_dual_mul_f32 v27, v220, v141 :: v_dual_mul_f32 v29, v222, v143
	s_wait_loadcnt_dscnt 0xa05
	v_dual_mul_f32 v21, v231, v151 :: v_dual_fma_f32 v59, v218, v138, -v71
	s_delay_alu instid0(VALU_DEP_3) | instskip(NEXT) | instid1(VALU_DEP_3)
	v_dual_fmac_f32 v25, v219, v138 :: v_dual_add_f32 v9, v9, v23
	v_dual_add_f32 v11, v11, v57 :: v_dual_fmac_f32 v27, v221, v140
	v_dual_mul_f32 v23, v233, v153 :: v_dual_fma_f32 v55, v220, v140, -v55
	s_delay_alu instid0(VALU_DEP_2) | instskip(SKIP_3) | instid1(VALU_DEP_3)
	v_dual_add_f32 v9, v9, v25 :: v_dual_add_f32 v11, v11, v59
	v_dual_mul_f32 v31, v224, v145 :: v_dual_mul_f32 v33, v226, v147
	s_wait_loadcnt_dscnt 0x904
	v_dual_mul_f32 v25, v235, v155 :: v_dual_fma_f32 v13, v222, v142, -v13
	v_dual_fmac_f32 v29, v223, v142 :: v_dual_add_f32 v9, v9, v27
	v_dual_add_f32 v11, v11, v55 :: v_dual_mul_f32 v27, v237, v157
	v_fmac_f32_e32 v31, v225, v144
	s_delay_alu instid0(VALU_DEP_3) | instskip(NEXT) | instid1(VALU_DEP_3)
	v_dual_fma_f32 v15, v224, v144, -v15 :: v_dual_add_f32 v9, v9, v29
	v_add_f32_e32 v11, v11, v13
	v_dual_mul_f32 v35, v228, v149 :: v_dual_mul_f32 v37, v230, v151
	s_wait_loadcnt_dscnt 0x803
	v_dual_mul_f32 v13, v239, v159 :: v_dual_fma_f32 v17, v226, v146, -v17
	v_dual_fmac_f32 v33, v227, v146 :: v_dual_add_f32 v9, v9, v31
	v_dual_add_f32 v11, v11, v15 :: v_dual_mul_f32 v15, v241, v161
	v_fmac_f32_e32 v35, v229, v148
	s_delay_alu instid0(VALU_DEP_3) | instskip(NEXT) | instid1(VALU_DEP_3)
	v_dual_fma_f32 v19, v228, v148, -v19 :: v_dual_add_f32 v9, v9, v33
	v_add_f32_e32 v11, v11, v17
	;; [unrolled: 9-line block ×4, first 2 shown]
	v_dual_mul_f32 v47, v240, v161 :: v_dual_mul_f32 v49, v242, v163
	s_wait_loadcnt 0x5
	v_dual_mul_f32 v25, v187, v171 :: v_dual_fma_f32 v13, v238, v158, -v13
	v_dual_fmac_f32 v45, v239, v158 :: v_dual_add_f32 v9, v9, v43
	v_dual_add_f32 v11, v11, v27 :: v_dual_mov_b32 v122, v173
	v_fmac_f32_e32 v47, v241, v160
	s_delay_alu instid0(VALU_DEP_3) | instskip(NEXT) | instid1(VALU_DEP_3)
	v_dual_fma_f32 v15, v240, v160, -v15 :: v_dual_add_f32 v9, v9, v45
	v_add_f32_e32 v11, v11, v13
	v_dual_mul_f32 v51, v244, v165 :: v_dual_mul_f32 v53, v246, v167
	s_delay_alu instid0(VALU_DEP_3) | instskip(NEXT) | instid1(VALU_DEP_3)
	v_dual_fmac_f32 v49, v243, v162 :: v_dual_add_f32 v9, v9, v47
	v_dual_fma_f32 v13, v242, v162, -v17 :: v_dual_add_f32 v11, v11, v15
	s_wait_loadcnt 0x4
	v_dual_mov_b32 v126, v177 :: v_dual_fma_f32 v15, v244, v164, -v19
	v_fmac_f32_e32 v51, v245, v164
	v_dual_add_f32 v9, v9, v49 :: v_dual_fmac_f32 v53, v247, v166
	v_add_f32_e32 v11, v11, v13
	s_set_vgpr_msb 64                       ;  msbs: dst=1 src0=0 src1=0 src2=0
	v_dual_mul_f32 v9 /*v265*/, v248, v169 :: v_dual_mul_f32 v11 /*v267*/, v186, v171
	s_set_vgpr_msb 0                        ;  msbs: dst=0 src0=0 src1=0 src2=0
	v_dual_fma_f32 v13, v246, v166, -v21 :: v_dual_add_f32 v9, v9, v51
	v_add_f32_e32 v11, v11, v15
	s_set_vgpr_msb 64                       ;  msbs: dst=1 src0=0 src1=0 src2=0
	v_dual_fmac_f32 v9 /*v265*/, v249, v168 :: v_dual_fmac_f32 v11 /*v267*/, v187, v170
	v_dual_fma_f32 v8 /*v264*/, v248, v168, -v23 :: v_dual_fma_f32 v10 /*v266*/, v186, v170, -v25
	s_set_vgpr_msb 1                        ;  msbs: dst=0 src0=1 src1=0 src2=0
	v_pk_mul_f32 v[122:123], v[0:1] /*v[256:257]*/, v[122:123] op_sel_hi:[1,0]
	s_set_vgpr_msb 0                        ;  msbs: dst=0 src0=0 src1=0 src2=0
	v_add_f32_e32 v131, v9, v53
	s_wait_loadcnt 0x3
	v_dual_add_f32 v130, v11, v13 :: v_dual_mov_b32 v132, v181
	v_pk_mul_f32 v[124:125], v[190:191], v[174:175] op_sel:[1,1] op_sel_hi:[0,1]
	v_pk_fma_f32 v[134:135], v[188:189], v[172:173], v[122:123] op_sel_hi:[1,0,1]
	v_pk_fma_f32 v[122:123], v[188:189], v[172:173], v[122:123] neg_lo:[0,0,1] neg_hi:[0,0,1]
	s_set_vgpr_msb 4                        ;  msbs: dst=0 src0=0 src1=1 src2=0
	v_pk_add_f32 v[130:131], v[130:131], v[8:9] /*v[264:265]*/
	s_set_vgpr_msb 1                        ;  msbs: dst=0 src0=1 src1=0 src2=0
	v_pk_mul_f32 v[126:127], v[2:3] /*v[258:259]*/, v[126:127] op_sel_hi:[1,0]
	s_set_vgpr_msb 0                        ;  msbs: dst=0 src0=0 src1=0 src2=0
	v_pk_fma_f32 v[136:137], v[190:191], v[174:175], v[124:125] op_sel_hi:[1,0,1]
	v_mov_b32_e32 v123, v135
	v_pk_fma_f32 v[124:125], v[190:191], v[174:175], v[124:125] neg_lo:[0,0,1] neg_hi:[0,0,1]
	s_set_vgpr_msb 4                        ;  msbs: dst=0 src0=0 src1=1 src2=0
	v_pk_add_f32 v[130:131], v[130:131], v[10:11] /*v[266:267]*/
	s_set_vgpr_msb 0                        ;  msbs: dst=0 src0=0 src1=0 src2=0
	v_pk_mul_f32 v[128:129], v[194:195], v[178:179] op_sel:[1,1] op_sel_hi:[0,1]
	v_mov_b32_e32 v125, v137
	v_pk_fma_f32 v[136:137], v[192:193], v[176:177], v[126:127] op_sel_hi:[1,0,1]
	v_pk_fma_f32 v[126:127], v[192:193], v[176:177], v[126:127] neg_lo:[0,0,1] neg_hi:[0,0,1]
	v_pk_add_f32 v[122:123], v[130:131], v[122:123]
	v_pk_fma_f32 v[130:131], v[194:195], v[178:179], v[128:129] op_sel_hi:[1,0,1]
	s_set_vgpr_msb 1                        ;  msbs: dst=0 src0=1 src1=0 src2=0
	v_pk_mul_f32 v[132:133], v[4:5] /*v[260:261]*/, v[132:133] op_sel_hi:[1,0]
	s_set_vgpr_msb 0                        ;  msbs: dst=0 src0=0 src1=0 src2=0
	v_mov_b32_e32 v127, v137
	v_pk_fma_f32 v[128:129], v[194:195], v[178:179], v[128:129] neg_lo:[0,0,1] neg_hi:[0,0,1]
	v_pk_add_f32 v[122:123], v[122:123], v[124:125]
	s_wait_loadcnt 0x2
	v_pk_mul_f32 v[134:135], v[198:199], v[182:183] op_sel:[1,1] op_sel_hi:[0,1]
	v_dual_mov_b32 v124, v185 :: v_dual_mov_b32 v129, v131
	v_pk_fma_f32 v[130:131], v[196:197], v[180:181], v[132:133] op_sel_hi:[1,0,1]
	v_pk_add_f32 v[122:123], v[122:123], v[126:127]
	v_pk_fma_f32 v[132:133], v[196:197], v[180:181], v[132:133] neg_lo:[0,0,1] neg_hi:[0,0,1]
	v_pk_fma_f32 v[126:127], v[198:199], v[182:183], v[134:135] op_sel_hi:[1,0,1]
	s_set_vgpr_msb 1                        ;  msbs: dst=0 src0=1 src1=0 src2=0
	v_pk_mul_f32 v[124:125], v[6:7] /*v[262:263]*/, v[124:125] op_sel_hi:[1,0]
	s_set_vgpr_msb 0                        ;  msbs: dst=0 src0=0 src1=0 src2=0
	v_mov_b32_e32 v133, v131
	v_pk_add_f32 v[122:123], v[122:123], v[128:129]
	v_pk_fma_f32 v[128:129], v[198:199], v[182:183], v[134:135] neg_lo:[0,0,1] neg_hi:[0,0,1]
	v_mov_b32_e32 v129, v127
	v_pk_fma_f32 v[126:127], v[200:201], v[184:185], v[124:125] op_sel_hi:[1,0,1]
	s_wait_loadcnt_dscnt 0x100
	v_pk_mul_f32 v[130:131], v[254:255], v[250:251] op_sel:[1,1] op_sel_hi:[0,1]
	v_pk_add_f32 v[122:123], v[122:123], v[132:133]
	v_pk_fma_f32 v[124:125], v[200:201], v[184:185], v[124:125] neg_lo:[0,0,1] neg_hi:[0,0,1]
	v_mov_b32_e32 v125, v127
	s_delay_alu instid0(VALU_DEP_4) | instskip(NEXT) | instid1(VALU_DEP_4)
	v_pk_fma_f32 v[126:127], v[254:255], v[250:251], v[130:131] op_sel_hi:[1,0,1]
	v_pk_add_f32 v[122:123], v[122:123], v[128:129]
	v_pk_fma_f32 v[128:129], v[254:255], v[250:251], v[130:131] neg_lo:[0,0,1] neg_hi:[0,0,1]
	s_delay_alu instid0(VALU_DEP_3) | instskip(NEXT) | instid1(VALU_DEP_3)
	v_mov_b32_e32 v129, v127
	v_pk_add_f32 v[122:123], v[122:123], v[124:125]
	s_delay_alu instid0(VALU_DEP_1) | instskip(SKIP_1) | instid1(VALU_DEP_1)
	v_pk_add_f32 v[122:123], v[122:123], v[128:129]
	s_wait_loadcnt 0x0
	v_pk_add_f32 v[122:123], v[252:253], v[122:123] neg_lo:[0,1] neg_hi:[0,1]
	scratch_store_b64 off, v[122:123], off offset:208
	s_wait_xcnt 0x0
	v_cmpx_lt_u32_e32 25, v0
	s_cbranch_execz .LBB123_323
; %bb.322:
	scratch_load_b64 v[122:123], off, off offset:200
	v_mov_b64_e32 v[124:125], 0
	scratch_store_b64 off, v[124:125], off offset:200
	s_wait_loadcnt 0x0
	ds_store_b64 v1, v[122:123]
.LBB123_323:
	s_wait_xcnt 0x0
	s_or_b32 exec_lo, exec_lo, s0
	s_wait_storecnt_dscnt 0x0
	s_barrier_signal -1
	s_barrier_wait -1
	s_clause 0x12
	scratch_load_b128 v[122:125], off, off offset:208
	scratch_load_b128 v[126:129], off, off offset:224
	;; [unrolled: 1-line block ×17, first 2 shown]
	s_set_vgpr_msb 64                       ;  msbs: dst=1 src0=0 src1=0 src2=0
	scratch_load_b64 v[2:3] /*v[258:259]*/, off, off offset:200
	s_set_vgpr_msb 0                        ;  msbs: dst=0 src0=0 src1=0 src2=0
	ds_load_b128 v[190:193], v7 offset:896
	ds_load_b128 v[194:197], v7 offset:912
	;; [unrolled: 1-line block ×17, first 2 shown]
	s_mov_b32 s0, exec_lo
	s_wait_dscnt 0x10
	s_set_vgpr_msb 64                       ;  msbs: dst=1 src0=0 src1=0 src2=0
	v_dual_mov_b32 v4 /*v260*/, v193 :: v_dual_mov_b32 v5 /*v261*/, v192
	s_wait_dscnt 0xf
	v_dual_mov_b32 v6 /*v262*/, v197 :: v_dual_mov_b32 v7 /*v263*/, v196
	s_wait_dscnt 0xe
	;; [unrolled: 2-line block ×3, first 2 shown]
	v_dual_mov_b32 v10 /*v266*/, v205 :: v_dual_mov_b32 v11 /*v267*/, v204
	s_wait_loadcnt_dscnt 0x110b
	s_set_vgpr_msb 0                        ;  msbs: dst=0 src0=0 src1=0 src2=0
	v_dual_mul_f32 v7, v210, v123 :: v_dual_mul_f32 v9, v212, v125
	s_wait_loadcnt_dscnt 0x100a
	v_dual_mul_f32 v55, v211, v123 :: v_dual_mul_f32 v61, v217, v129
	s_wait_loadcnt_dscnt 0xf09
	v_mul_f32_e32 v63, v219, v131
	v_dual_fmac_f32 v7, v211, v122 :: v_dual_fmac_f32 v9, v213, v124
	s_delay_alu instid0(VALU_DEP_3)
	v_dual_mul_f32 v57, v213, v125 :: v_dual_fma_f32 v55, v210, v122, -v55
	v_dual_mul_f32 v11, v214, v127 :: v_dual_mul_f32 v13, v216, v129
	s_wait_loadcnt_dscnt 0x600
	v_mul_f32_e32 v51, v254, v167
	s_set_vgpr_msb 1                        ;  msbs: dst=0 src0=1 src1=0 src2=0
	v_dual_mul_f32 v53, v0 /*v256*/, v169 :: v_dual_add_f32 v7, 0, v7
	s_set_vgpr_msb 0                        ;  msbs: dst=0 src0=0 src1=0 src2=0
	v_dual_mul_f32 v59, v215, v127 :: v_dual_mul_f32 v65, v221, v133
	v_dual_mul_f32 v67, v223, v135 :: v_dual_fma_f32 v57, v212, v124, -v57
	v_dual_add_f32 v55, 0, v55 :: v_dual_mul_f32 v69, v225, v137
	v_dual_fmac_f32 v11, v215, v126 :: v_dual_fmac_f32 v13, v217, v128
	s_delay_alu instid0(VALU_DEP_4) | instskip(NEXT) | instid1(VALU_DEP_3)
	v_dual_fma_f32 v59, v214, v126, -v59 :: v_dual_add_f32 v7, v7, v9
	v_dual_add_f32 v9, v55, v57 :: v_dual_fma_f32 v57, v216, v128, -v61
	v_dual_mul_f32 v15, v218, v131 :: v_dual_mul_f32 v17, v220, v133
	s_delay_alu instid0(VALU_DEP_3) | instskip(NEXT) | instid1(VALU_DEP_3)
	v_add_f32_e32 v7, v7, v11
	v_dual_add_f32 v9, v9, v59 :: v_dual_fma_f32 v59, v218, v130, -v63
	s_delay_alu instid0(VALU_DEP_3) | instskip(SKIP_1) | instid1(VALU_DEP_4)
	v_dual_fmac_f32 v15, v219, v130 :: v_dual_mul_f32 v19, v222, v135
	v_mul_f32_e32 v21, v224, v137
	v_dual_add_f32 v7, v7, v13 :: v_dual_fmac_f32 v17, v221, v132
	s_delay_alu instid0(VALU_DEP_4) | instskip(NEXT) | instid1(VALU_DEP_2)
	v_dual_add_f32 v9, v9, v57 :: v_dual_mul_f32 v13, v231, v143
	v_dual_fma_f32 v57, v220, v132, -v65 :: v_dual_add_f32 v7, v7, v15
	v_mul_f32_e32 v15, v233, v145
	s_delay_alu instid0(VALU_DEP_3) | instskip(NEXT) | instid1(VALU_DEP_3)
	v_dual_add_f32 v9, v9, v59 :: v_dual_fmac_f32 v19, v223, v134
	v_dual_fma_f32 v59, v222, v134, -v67 :: v_dual_add_f32 v7, v7, v17
	v_fmac_f32_e32 v21, v225, v136
	s_delay_alu instid0(VALU_DEP_3) | instskip(SKIP_3) | instid1(VALU_DEP_3)
	v_dual_add_f32 v9, v9, v57 :: v_dual_mul_f32 v17, v235, v147
	v_dual_mul_f32 v23, v226, v139 :: v_dual_mul_f32 v25, v228, v141
	v_dual_mul_f32 v55, v227, v139 :: v_dual_mul_f32 v11, v229, v141
	v_dual_fma_f32 v57, v224, v136, -v69 :: v_dual_add_f32 v7, v7, v19
	v_dual_add_f32 v9, v9, v59 :: v_dual_fmac_f32 v23, v227, v138
	s_delay_alu instid0(VALU_DEP_3) | instskip(NEXT) | instid1(VALU_DEP_3)
	v_dual_mul_f32 v19, v237, v149 :: v_dual_fma_f32 v55, v226, v138, -v55
	v_dual_add_f32 v7, v7, v21 :: v_dual_fmac_f32 v25, v229, v140
	s_delay_alu instid0(VALU_DEP_3) | instskip(SKIP_1) | instid1(VALU_DEP_3)
	v_dual_add_f32 v9, v9, v57 :: v_dual_mul_f32 v21, v239, v151
	v_dual_mul_f32 v27, v230, v143 :: v_dual_mul_f32 v29, v232, v145
	v_dual_fma_f32 v11, v228, v140, -v11 :: v_dual_add_f32 v7, v7, v23
	s_delay_alu instid0(VALU_DEP_2) | instskip(SKIP_1) | instid1(VALU_DEP_2)
	v_dual_add_f32 v9, v9, v55 :: v_dual_fmac_f32 v27, v231, v142
	v_dual_mul_f32 v23, v241, v153 :: v_dual_fma_f32 v13, v230, v142, -v13
	v_dual_add_f32 v7, v7, v25 :: v_dual_add_f32 v9, v9, v11
	v_dual_mul_f32 v31, v234, v147 :: v_dual_mul_f32 v33, v236, v149
	v_dual_mul_f32 v11, v243, v155 :: v_dual_fmac_f32 v29, v233, v144
	s_delay_alu instid0(VALU_DEP_3) | instskip(NEXT) | instid1(VALU_DEP_3)
	v_dual_fma_f32 v15, v232, v144, -v15 :: v_dual_add_f32 v7, v7, v27
	v_dual_add_f32 v9, v9, v13 :: v_dual_fmac_f32 v31, v235, v146
	v_dual_mul_f32 v13, v245, v157 :: v_dual_fma_f32 v17, v234, v146, -v17
	s_delay_alu instid0(VALU_DEP_2) | instskip(SKIP_2) | instid1(VALU_DEP_3)
	v_dual_add_f32 v7, v7, v29 :: v_dual_add_f32 v9, v9, v15
	v_dual_mul_f32 v35, v238, v151 :: v_dual_mul_f32 v37, v240, v153
	v_dual_mul_f32 v15, v247, v159 :: v_dual_fmac_f32 v33, v237, v148
	v_dual_fma_f32 v19, v236, v148, -v19 :: v_dual_add_f32 v7, v7, v31
	s_delay_alu instid0(VALU_DEP_3) | instskip(SKIP_1) | instid1(VALU_DEP_2)
	v_dual_add_f32 v9, v9, v17 :: v_dual_fmac_f32 v35, v239, v150
	v_dual_mul_f32 v17, v249, v161 :: v_dual_fma_f32 v21, v238, v150, -v21
	v_dual_add_f32 v7, v7, v33 :: v_dual_add_f32 v9, v9, v19
	v_dual_mul_f32 v39, v242, v155 :: v_dual_mul_f32 v41, v244, v157
	v_dual_mul_f32 v19, v251, v163 :: v_dual_fmac_f32 v37, v241, v152
	s_delay_alu instid0(VALU_DEP_3) | instskip(NEXT) | instid1(VALU_DEP_3)
	v_dual_fma_f32 v23, v240, v152, -v23 :: v_dual_add_f32 v7, v7, v35
	v_dual_add_f32 v9, v9, v21 :: v_dual_fmac_f32 v39, v243, v154
	v_dual_mul_f32 v21, v253, v165 :: v_dual_fma_f32 v11, v242, v154, -v11
	s_delay_alu instid0(VALU_DEP_2) | instskip(SKIP_2) | instid1(VALU_DEP_3)
	v_dual_add_f32 v7, v7, v37 :: v_dual_add_f32 v9, v9, v23
	v_dual_mul_f32 v43, v246, v159 :: v_dual_mul_f32 v45, v248, v161
	v_dual_mul_f32 v23, v255, v167 :: v_dual_fmac_f32 v41, v245, v156
	v_dual_fma_f32 v13, v244, v156, -v13 :: v_dual_add_f32 v7, v7, v39
	s_delay_alu instid0(VALU_DEP_3) | instskip(SKIP_2) | instid1(VALU_DEP_4)
	v_dual_add_f32 v9, v9, v11 :: v_dual_fmac_f32 v43, v247, v158
	v_fma_f32 v15, v246, v158, -v15
	v_dual_mul_f32 v47, v250, v163 :: v_dual_mul_f32 v49, v252, v165
	v_add_f32_e32 v7, v7, v41
	s_wait_loadcnt 0x5
	v_dual_add_f32 v9, v9, v13 :: v_dual_mul_f32 v13, v207, v171
	v_fmac_f32_e32 v45, v249, v160
	s_delay_alu instid0(VALU_DEP_3) | instskip(NEXT) | instid1(VALU_DEP_3)
	v_dual_fma_f32 v17, v248, v160, -v17 :: v_dual_add_f32 v7, v7, v43
	v_add_f32_e32 v9, v9, v15
	v_dual_mul_f32 v15, v209, v173 :: v_dual_fmac_f32 v47, v251, v162
	s_delay_alu instid0(VALU_DEP_3) | instskip(NEXT) | instid1(VALU_DEP_3)
	v_dual_fma_f32 v19, v250, v162, -v19 :: v_dual_add_f32 v7, v7, v45
	v_dual_add_f32 v9, v9, v17 :: v_dual_fma_f32 v17, v252, v164, -v21
	v_fmac_f32_e32 v49, v253, v164
	s_set_vgpr_msb 1                        ;  msbs: dst=0 src0=1 src1=0 src2=0
	v_dual_mul_f32 v11, v1 /*v257*/, v169 :: v_dual_fmac_f32 v53, v1 /*v257*/, v168
	s_set_vgpr_msb 0                        ;  msbs: dst=0 src0=0 src1=0 src2=0
	v_add_f32_e32 v7, v7, v47
	v_dual_add_f32 v9, v9, v19 :: v_dual_fmac_f32 v51, v255, v166
	s_wait_loadcnt 0x4
	v_dual_mov_b32 v124, v177 :: v_dual_fma_f32 v19, v254, v166, -v23
	s_set_vgpr_msb 64                       ;  msbs: dst=1 src0=0 src1=0 src2=0
	v_dual_mul_f32 v13 /*v269*/, v206, v171 :: v_dual_mul_f32 v15 /*v271*/, v208, v173
	s_set_vgpr_msb 0                        ;  msbs: dst=0 src0=0 src1=0 src2=0
	v_add_f32_e32 v9, v9, v17
	v_add_f32_e32 v7, v7, v49
	s_set_vgpr_msb 1                        ;  msbs: dst=0 src0=1 src1=0 src2=0
	v_fma_f32 v11, v0 /*v256*/, v168, -v11
	s_set_vgpr_msb 0                        ;  msbs: dst=0 src0=0 src1=0 src2=0
	v_pk_mul_f32 v[122:123], v[190:191], v[174:175] op_sel:[1,1] op_sel_hi:[0,1]
	s_set_vgpr_msb 64                       ;  msbs: dst=1 src0=0 src1=0 src2=0
	v_dual_fmac_f32 v13 /*v269*/, v207, v170 :: v_dual_fmac_f32 v15 /*v271*/, v209, v172
	s_set_vgpr_msb 0                        ;  msbs: dst=0 src0=0 src1=0 src2=0
	v_add_f32_e32 v9, v9, v19
	s_wait_loadcnt 0x3
	v_dual_add_f32 v7, v7, v51 :: v_dual_mov_b32 v128, v181
	s_set_vgpr_msb 64                       ;  msbs: dst=1 src0=0 src1=0 src2=0
	v_dual_fma_f32 v12 /*v268*/, v206, v170, -v13 :: v_dual_fma_f32 v14 /*v270*/, v208, v172, -v15
	s_set_vgpr_msb 0                        ;  msbs: dst=0 src0=0 src1=0 src2=0
	s_delay_alu instid0(VALU_DEP_2)
	v_dual_add_f32 v130, v9, v11 :: v_dual_add_f32 v131, v7, v53
	v_pk_fma_f32 v[132:133], v[190:191], v[174:175], v[122:123] op_sel_hi:[1,0,1]
	s_set_vgpr_msb 1                        ;  msbs: dst=0 src0=1 src1=0 src2=0
	v_pk_mul_f32 v[124:125], v[4:5] /*v[260:261]*/, v[124:125] op_sel_hi:[1,0]
	s_set_vgpr_msb 0                        ;  msbs: dst=0 src0=0 src1=0 src2=0
	v_pk_fma_f32 v[122:123], v[190:191], v[174:175], v[122:123] neg_lo:[0,0,1] neg_hi:[0,0,1]
	v_pk_mul_f32 v[126:127], v[194:195], v[178:179] op_sel:[1,1] op_sel_hi:[0,1]
	s_set_vgpr_msb 4                        ;  msbs: dst=0 src0=0 src1=1 src2=0
	v_pk_add_f32 v[130:131], v[130:131], v[12:13] /*v[268:269]*/
	v_mov_b32_e32 v123, v133
	s_set_vgpr_msb 0                        ;  msbs: dst=0 src0=0 src1=0 src2=0
	v_pk_fma_f32 v[132:133], v[192:193], v[176:177], v[124:125] op_sel_hi:[1,0,1]
	v_pk_fma_f32 v[124:125], v[192:193], v[176:177], v[124:125] neg_lo:[0,0,1] neg_hi:[0,0,1]
	v_pk_fma_f32 v[136:137], v[194:195], v[178:179], v[126:127] op_sel_hi:[1,0,1]
	s_set_vgpr_msb 4                        ;  msbs: dst=0 src0=0 src1=1 src2=0
	v_pk_add_f32 v[130:131], v[130:131], v[14:15] /*v[270:271]*/
	s_set_vgpr_msb 1                        ;  msbs: dst=0 src0=1 src1=0 src2=0
	v_pk_mul_f32 v[128:129], v[6:7] /*v[262:263]*/, v[128:129] op_sel_hi:[1,0]
	s_set_vgpr_msb 0                        ;  msbs: dst=0 src0=0 src1=0 src2=0
	v_mov_b32_e32 v125, v133
	s_wait_loadcnt 0x2
	v_pk_mul_f32 v[134:135], v[198:199], v[182:183] op_sel:[1,1] op_sel_hi:[0,1]
	v_pk_fma_f32 v[126:127], v[194:195], v[178:179], v[126:127] neg_lo:[0,0,1] neg_hi:[0,0,1]
	v_pk_add_f32 v[122:123], v[130:131], v[122:123]
	v_dual_mov_b32 v130, v185 :: v_dual_mov_b32 v127, v137
	v_pk_fma_f32 v[132:133], v[196:197], v[180:181], v[128:129] op_sel_hi:[1,0,1]
	v_pk_fma_f32 v[128:129], v[196:197], v[180:181], v[128:129] neg_lo:[0,0,1] neg_hi:[0,0,1]
	s_delay_alu instid0(VALU_DEP_4)
	v_pk_add_f32 v[122:123], v[122:123], v[124:125]
	v_pk_fma_f32 v[124:125], v[198:199], v[182:183], v[134:135] op_sel_hi:[1,0,1]
	s_set_vgpr_msb 1                        ;  msbs: dst=0 src0=1 src1=0 src2=0
	v_pk_mul_f32 v[130:131], v[8:9] /*v[264:265]*/, v[130:131] op_sel_hi:[1,0]
	s_set_vgpr_msb 0                        ;  msbs: dst=0 src0=0 src1=0 src2=0
	v_mov_b32_e32 v129, v133
	v_pk_fma_f32 v[132:133], v[198:199], v[182:183], v[134:135] neg_lo:[0,0,1] neg_hi:[0,0,1]
	v_pk_add_f32 v[122:123], v[122:123], v[126:127]
	v_mov_b32_e32 v133, v125
	v_pk_fma_f32 v[124:125], v[200:201], v[184:185], v[130:131] op_sel_hi:[1,0,1]
	s_wait_loadcnt 0x1
	v_pk_mul_f32 v[126:127], v[202:203], v[186:187] op_sel:[1,1] op_sel_hi:[0,1]
	v_mov_b32_e32 v124, v189
	v_pk_add_f32 v[122:123], v[122:123], v[128:129]
	v_pk_fma_f32 v[130:131], v[200:201], v[184:185], v[130:131] neg_lo:[0,0,1] neg_hi:[0,0,1]
	v_mov_b32_e32 v131, v125
	v_pk_fma_f32 v[128:129], v[202:203], v[186:187], v[126:127] op_sel_hi:[1,0,1]
	s_set_vgpr_msb 1                        ;  msbs: dst=0 src0=1 src1=0 src2=0
	v_pk_mul_f32 v[124:125], v[10:11] /*v[266:267]*/, v[124:125] op_sel_hi:[1,0]
	s_set_vgpr_msb 0                        ;  msbs: dst=0 src0=0 src1=0 src2=0
	v_pk_add_f32 v[122:123], v[122:123], v[132:133]
	v_pk_fma_f32 v[126:127], v[202:203], v[186:187], v[126:127] neg_lo:[0,0,1] neg_hi:[0,0,1]
	v_mov_b32_e32 v127, v129
	v_pk_fma_f32 v[128:129], v[204:205], v[188:189], v[124:125] op_sel_hi:[1,0,1]
	s_delay_alu instid0(VALU_DEP_4) | instskip(SKIP_1) | instid1(VALU_DEP_3)
	v_pk_add_f32 v[122:123], v[122:123], v[130:131]
	v_pk_fma_f32 v[124:125], v[204:205], v[188:189], v[124:125] neg_lo:[0,0,1] neg_hi:[0,0,1]
	v_mov_b32_e32 v125, v129
	s_delay_alu instid0(VALU_DEP_3) | instskip(NEXT) | instid1(VALU_DEP_1)
	v_pk_add_f32 v[122:123], v[122:123], v[126:127]
	v_pk_add_f32 v[122:123], v[122:123], v[124:125]
	s_wait_loadcnt 0x0
	s_set_vgpr_msb 1                        ;  msbs: dst=0 src0=1 src1=0 src2=0
	s_delay_alu instid0(VALU_DEP_1)
	v_pk_add_f32 v[122:123], v[2:3] /*v[258:259]*/, v[122:123] neg_lo:[0,1] neg_hi:[0,1]
	scratch_store_b64 off, v[122:123], off offset:200
	s_wait_xcnt 0x0
	v_cmpx_lt_u32_e32 24, v0
	s_set_vgpr_msb 0                        ;  msbs: dst=0 src0=0 src1=0 src2=0
	s_cbranch_execz .LBB123_325
; %bb.324:
	scratch_load_b64 v[122:123], off, off offset:192
	v_mov_b64_e32 v[124:125], 0
	scratch_store_b64 off, v[124:125], off offset:192
	s_wait_loadcnt 0x0
	ds_store_b64 v1, v[122:123]
.LBB123_325:
	s_wait_xcnt 0x0
	s_or_b32 exec_lo, exec_lo, s0
	s_wait_storecnt_dscnt 0x0
	s_barrier_signal -1
	s_barrier_wait -1
	s_clause 0x13
	scratch_load_b128 v[122:125], off, off offset:200
	scratch_load_b128 v[126:129], off, off offset:216
	;; [unrolled: 1-line block ×17, first 2 shown]
	s_set_vgpr_msb 64                       ;  msbs: dst=1 src0=0 src1=0 src2=0
	scratch_load_b64 v[2:3] /*v[258:259]*/, off, off offset:472
	scratch_load_b64 v[4:5] /*v[260:261]*/, off, off offset:192
	s_set_vgpr_msb 0                        ;  msbs: dst=0 src0=0 src1=0 src2=0
	v_mov_b32_e32 v7, 0
	ds_load_2addr_b64 v[190:193], v7 offset0:111 offset1:112
	ds_load_2addr_b64 v[194:197], v7 offset0:113 offset1:114
	;; [unrolled: 1-line block ×17, first 2 shown]
	s_set_vgpr_msb 64                       ;  msbs: dst=1 src0=0 src1=0 src2=0
	ds_load_b64 v[6:7] /*v[262:263]*/, v7 offset:952
	s_mov_b32 s0, exec_lo
	s_wait_dscnt 0x11
	v_dual_mov_b32 v8 /*v264*/, v193 :: v_dual_mov_b32 v9 /*v265*/, v192
	s_wait_dscnt 0x10
	v_dual_mov_b32 v10 /*v266*/, v197 :: v_dual_mov_b32 v11 /*v267*/, v196
	;; [unrolled: 2-line block ×4, first 2 shown]
	s_wait_loadcnt_dscnt 0x120c
	s_set_vgpr_msb 0                        ;  msbs: dst=0 src0=0 src1=0 src2=0
	v_dual_mul_f32 v9, v210, v123 :: v_dual_mul_f32 v59, v211, v123
	s_wait_loadcnt_dscnt 0x110b
	v_mul_f32_e32 v65, v217, v129
	v_dual_mul_f32 v11, v212, v125 :: v_dual_mul_f32 v13, v214, v127
	s_wait_loadcnt_dscnt 0x100a
	v_dual_mul_f32 v67, v219, v131 :: v_dual_fma_f32 v59, v210, v122, -v59
	s_delay_alu instid0(VALU_DEP_2)
	v_dual_fmac_f32 v9, v211, v122 :: v_dual_fmac_f32 v11, v213, v124
	v_dual_mul_f32 v61, v213, v125 :: v_dual_mul_f32 v63, v215, v127
	s_wait_loadcnt 0x6
	v_dual_mul_f32 v69, v221, v133 :: v_dual_mul_f32 v57, v202, v171
	s_wait_dscnt 0x1
	s_set_vgpr_msb 1                        ;  msbs: dst=0 src0=1 src1=0 src2=0
	v_dual_mul_f32 v55, v0 /*v256*/, v169 :: v_dual_add_f32 v59, 0, v59
	s_set_vgpr_msb 0                        ;  msbs: dst=0 src0=0 src1=0 src2=0
	v_dual_fma_f32 v61, v212, v124, -v61 :: v_dual_add_f32 v9, 0, v9
	v_dual_mul_f32 v15, v216, v129 :: v_dual_mul_f32 v17, v218, v131
	v_dual_mul_f32 v75, v227, v139 :: v_dual_fma_f32 v63, v214, v126, -v63
	s_delay_alu instid0(VALU_DEP_3) | instskip(NEXT) | instid1(VALU_DEP_3)
	v_dual_fmac_f32 v13, v215, v126 :: v_dual_add_f32 v9, v9, v11
	v_dual_add_f32 v11, v59, v61 :: v_dual_fmac_f32 v15, v217, v128
	v_dual_mul_f32 v59, v229, v141 :: v_dual_fma_f32 v61, v216, v128, -v65
	s_delay_alu instid0(VALU_DEP_2) | instskip(SKIP_2) | instid1(VALU_DEP_3)
	v_dual_add_f32 v9, v9, v13 :: v_dual_add_f32 v11, v11, v63
	v_dual_mul_f32 v19, v220, v133 :: v_dual_mul_f32 v21, v222, v135
	v_dual_mul_f32 v13, v231, v143 :: v_dual_fma_f32 v63, v218, v130, -v67
	v_dual_fmac_f32 v17, v219, v130 :: v_dual_add_f32 v9, v9, v15
	s_delay_alu instid0(VALU_DEP_3) | instskip(SKIP_2) | instid1(VALU_DEP_3)
	v_dual_add_f32 v11, v11, v61 :: v_dual_fmac_f32 v19, v221, v132
	v_dual_mul_f32 v71, v223, v135 :: v_dual_mul_f32 v73, v225, v137
	v_dual_mul_f32 v15, v233, v145 :: v_dual_fma_f32 v61, v220, v132, -v69
	v_dual_add_f32 v9, v9, v17 :: v_dual_add_f32 v11, v11, v63
	v_dual_mul_f32 v23, v224, v137 :: v_dual_mul_f32 v25, v226, v139
	s_delay_alu instid0(VALU_DEP_4) | instskip(NEXT) | instid1(VALU_DEP_3)
	v_dual_mul_f32 v17, v235, v147 :: v_dual_fma_f32 v63, v222, v134, -v71
	v_dual_fmac_f32 v21, v223, v134 :: v_dual_add_f32 v9, v9, v19
	s_delay_alu instid0(VALU_DEP_3) | instskip(SKIP_1) | instid1(VALU_DEP_2)
	v_dual_add_f32 v11, v11, v61 :: v_dual_fmac_f32 v23, v225, v136
	v_dual_mul_f32 v19, v237, v149 :: v_dual_fma_f32 v61, v224, v136, -v73
	v_dual_add_f32 v9, v9, v21 :: v_dual_add_f32 v11, v11, v63
	v_dual_mul_f32 v27, v228, v141 :: v_dual_mul_f32 v29, v230, v143
	v_dual_mul_f32 v21, v239, v151 :: v_dual_fma_f32 v63, v226, v138, -v75
	s_delay_alu instid0(VALU_DEP_3) | instskip(NEXT) | instid1(VALU_DEP_3)
	v_dual_fmac_f32 v25, v227, v138 :: v_dual_add_f32 v9, v9, v23
	v_dual_add_f32 v11, v11, v61 :: v_dual_fmac_f32 v27, v229, v140
	v_dual_mul_f32 v23, v241, v153 :: v_dual_fma_f32 v59, v228, v140, -v59
	s_delay_alu instid0(VALU_DEP_2) | instskip(SKIP_2) | instid1(VALU_DEP_3)
	v_dual_add_f32 v9, v9, v25 :: v_dual_add_f32 v11, v11, v63
	v_dual_mul_f32 v31, v232, v145 :: v_dual_mul_f32 v33, v234, v147
	v_dual_mul_f32 v25, v243, v155 :: v_dual_fma_f32 v13, v230, v142, -v13
	v_dual_fmac_f32 v29, v231, v142 :: v_dual_add_f32 v9, v9, v27
	s_delay_alu instid0(VALU_DEP_4) | instskip(NEXT) | instid1(VALU_DEP_4)
	v_dual_add_f32 v11, v11, v59 :: v_dual_mul_f32 v27, v245, v157
	v_fmac_f32_e32 v31, v233, v144
	s_delay_alu instid0(VALU_DEP_3) | instskip(NEXT) | instid1(VALU_DEP_3)
	v_dual_fma_f32 v15, v232, v144, -v15 :: v_dual_add_f32 v9, v9, v29
	v_add_f32_e32 v11, v11, v13
	v_dual_mul_f32 v35, v236, v149 :: v_dual_mul_f32 v37, v238, v151
	v_dual_mul_f32 v13, v247, v159 :: v_dual_fma_f32 v17, v234, v146, -v17
	s_delay_alu instid0(VALU_DEP_4) | instskip(NEXT) | instid1(VALU_DEP_4)
	v_dual_fmac_f32 v33, v235, v146 :: v_dual_add_f32 v9, v9, v31
	v_dual_add_f32 v11, v11, v15 :: v_dual_mul_f32 v15, v249, v161
	s_delay_alu instid0(VALU_DEP_4) | instskip(NEXT) | instid1(VALU_DEP_3)
	v_fmac_f32_e32 v35, v237, v148
	v_dual_fma_f32 v19, v236, v148, -v19 :: v_dual_add_f32 v9, v9, v33
	s_delay_alu instid0(VALU_DEP_3) | instskip(SKIP_2) | instid1(VALU_DEP_4)
	v_add_f32_e32 v11, v11, v17
	v_dual_mul_f32 v39, v240, v153 :: v_dual_mul_f32 v41, v242, v155
	v_dual_mul_f32 v17, v251, v163 :: v_dual_fma_f32 v21, v238, v150, -v21
	v_dual_fmac_f32 v37, v239, v150 :: v_dual_add_f32 v9, v9, v35
	s_delay_alu instid0(VALU_DEP_4) | instskip(NEXT) | instid1(VALU_DEP_4)
	v_dual_add_f32 v11, v11, v19 :: v_dual_mul_f32 v19, v253, v165
	v_fmac_f32_e32 v39, v241, v152
	s_delay_alu instid0(VALU_DEP_3) | instskip(NEXT) | instid1(VALU_DEP_3)
	v_dual_fma_f32 v23, v240, v152, -v23 :: v_dual_add_f32 v9, v9, v37
	v_add_f32_e32 v11, v11, v21
	v_dual_mul_f32 v43, v244, v157 :: v_dual_mul_f32 v45, v246, v159
	v_dual_mul_f32 v21, v255, v167 :: v_dual_fma_f32 v25, v242, v154, -v25
	s_delay_alu instid0(VALU_DEP_4) | instskip(NEXT) | instid1(VALU_DEP_3)
	v_dual_fmac_f32 v41, v243, v154 :: v_dual_add_f32 v9, v9, v39
	v_dual_add_f32 v11, v11, v23 :: v_dual_fmac_f32 v43, v245, v156
	v_fma_f32 v27, v244, v156, -v27
	v_dual_mul_f32 v47, v248, v161 :: v_dual_mul_f32 v49, v250, v163
	s_delay_alu instid0(VALU_DEP_4) | instskip(NEXT) | instid1(VALU_DEP_4)
	v_add_f32_e32 v9, v9, v41
	v_dual_add_f32 v11, v11, v25 :: v_dual_fma_f32 v13, v246, v158, -v13
	s_delay_alu instid0(VALU_DEP_3) | instskip(NEXT) | instid1(VALU_DEP_3)
	v_dual_fmac_f32 v45, v247, v158 :: v_dual_fmac_f32 v47, v249, v160
	v_add_f32_e32 v9, v9, v43
	s_delay_alu instid0(VALU_DEP_3) | instskip(SKIP_1) | instid1(VALU_DEP_3)
	v_dual_add_f32 v11, v11, v27 :: v_dual_fma_f32 v15, v248, v160, -v15
	v_dual_mul_f32 v51, v252, v165 :: v_dual_mul_f32 v53, v254, v167
	v_add_f32_e32 v9, v9, v45
	s_delay_alu instid0(VALU_DEP_3) | instskip(NEXT) | instid1(VALU_DEP_3)
	v_dual_add_f32 v11, v11, v13 :: v_dual_fma_f32 v17, v250, v162, -v17
	v_dual_fmac_f32 v49, v251, v162 :: v_dual_fmac_f32 v51, v253, v164
	s_delay_alu instid0(VALU_DEP_3) | instskip(NEXT) | instid1(VALU_DEP_3)
	v_add_f32_e32 v9, v9, v47
	v_dual_add_f32 v11, v11, v15 :: v_dual_fma_f32 v15, v252, v164, -v19
	s_set_vgpr_msb 1                        ;  msbs: dst=0 src0=1 src1=0 src2=0
	v_dual_mul_f32 v23, v1 /*v257*/, v169 :: v_dual_fmac_f32 v55, v1 /*v257*/, v168
	s_set_vgpr_msb 0                        ;  msbs: dst=0 src0=0 src1=0 src2=0
	v_add_f32_e32 v9, v9, v49
	v_dual_add_f32 v11, v11, v17 :: v_dual_fma_f32 v17, v254, v166, -v21
	v_fmac_f32_e32 v53, v255, v166
	v_dual_mul_f32 v25, v203, v171 :: v_dual_mul_f32 v27, v205, v173
	s_delay_alu instid0(VALU_DEP_4)
	v_add_f32_e32 v9, v9, v51
	s_wait_loadcnt 0x4
	v_dual_add_f32 v11, v11, v15 :: v_dual_mov_b32 v126, v181
	s_set_vgpr_msb 1                        ;  msbs: dst=0 src0=1 src1=0 src2=0
	v_fma_f32 v15, v0 /*v256*/, v168, -v23
	s_set_vgpr_msb 64                       ;  msbs: dst=1 src0=0 src1=0 src2=0
	v_dual_mul_f32 v17 /*v273*/, v204, v173 :: v_dual_mul_f32 v19 /*v275*/, v190, v175
	s_set_vgpr_msb 0                        ;  msbs: dst=0 src0=0 src1=0 src2=0
	v_dual_add_f32 v9, v9, v53 :: v_dual_fmac_f32 v57, v203, v170
	v_dual_add_f32 v11, v11, v17 :: v_dual_fma_f32 v17, v202, v170, -v25
	v_dual_mul_f32 v13, v191, v175 :: v_dual_mov_b32 v122, v177
	s_set_vgpr_msb 64                       ;  msbs: dst=1 src0=0 src1=0 src2=0
	v_dual_fmac_f32 v17 /*v273*/, v205, v172 :: v_dual_fmac_f32 v19 /*v275*/, v191, v174
	s_set_vgpr_msb 0                        ;  msbs: dst=0 src0=0 src1=0 src2=0
	v_add_f32_e32 v11, v11, v15
	v_add_f32_e32 v9, v9, v55
	s_set_vgpr_msb 64                       ;  msbs: dst=1 src0=0 src1=0 src2=0
	v_dual_fma_f32 v16 /*v272*/, v204, v172, -v27 :: v_dual_fma_f32 v18 /*v274*/, v190, v174, -v13
	s_set_vgpr_msb 1                        ;  msbs: dst=0 src0=1 src1=0 src2=0
	v_pk_mul_f32 v[122:123], v[8:9] /*v[264:265]*/, v[122:123] op_sel_hi:[1,0]
	s_set_vgpr_msb 0                        ;  msbs: dst=0 src0=0 src1=0 src2=0
	v_add_f32_e32 v130, v11, v17
	v_add_f32_e32 v131, v9, v57
	v_pk_mul_f32 v[124:125], v[194:195], v[178:179] op_sel:[1,1] op_sel_hi:[0,1]
	s_set_vgpr_msb 1                        ;  msbs: dst=0 src0=1 src1=0 src2=0
	v_pk_mul_f32 v[126:127], v[10:11] /*v[266:267]*/, v[126:127] op_sel_hi:[1,0]
	s_set_vgpr_msb 0                        ;  msbs: dst=0 src0=0 src1=0 src2=0
	v_pk_fma_f32 v[134:135], v[192:193], v[176:177], v[122:123] op_sel_hi:[1,0,1]
	v_pk_fma_f32 v[122:123], v[192:193], v[176:177], v[122:123] neg_lo:[0,0,1] neg_hi:[0,0,1]
	s_set_vgpr_msb 4                        ;  msbs: dst=0 src0=0 src1=1 src2=0
	v_pk_add_f32 v[130:131], v[130:131], v[16:17] /*v[272:273]*/
	s_wait_loadcnt 0x3
	v_mov_b32_e32 v132, v185
	s_set_vgpr_msb 0                        ;  msbs: dst=0 src0=0 src1=0 src2=0
	v_pk_fma_f32 v[136:137], v[194:195], v[178:179], v[124:125] op_sel_hi:[1,0,1]
	v_mov_b32_e32 v123, v135
	v_pk_fma_f32 v[124:125], v[194:195], v[178:179], v[124:125] neg_lo:[0,0,1] neg_hi:[0,0,1]
	s_set_vgpr_msb 4                        ;  msbs: dst=0 src0=0 src1=1 src2=0
	v_pk_add_f32 v[130:131], v[130:131], v[18:19] /*v[274:275]*/
	s_set_vgpr_msb 0                        ;  msbs: dst=0 src0=0 src1=0 src2=0
	v_pk_mul_f32 v[128:129], v[198:199], v[182:183] op_sel:[1,1] op_sel_hi:[0,1]
	v_mov_b32_e32 v125, v137
	v_pk_fma_f32 v[136:137], v[196:197], v[180:181], v[126:127] op_sel_hi:[1,0,1]
	v_pk_fma_f32 v[126:127], v[196:197], v[180:181], v[126:127] neg_lo:[0,0,1] neg_hi:[0,0,1]
	v_pk_add_f32 v[122:123], v[130:131], v[122:123]
	v_pk_fma_f32 v[130:131], v[198:199], v[182:183], v[128:129] op_sel_hi:[1,0,1]
	s_set_vgpr_msb 1                        ;  msbs: dst=0 src0=1 src1=0 src2=0
	v_pk_mul_f32 v[132:133], v[12:13] /*v[268:269]*/, v[132:133] op_sel_hi:[1,0]
	s_set_vgpr_msb 0                        ;  msbs: dst=0 src0=0 src1=0 src2=0
	v_mov_b32_e32 v127, v137
	v_pk_fma_f32 v[128:129], v[198:199], v[182:183], v[128:129] neg_lo:[0,0,1] neg_hi:[0,0,1]
	v_pk_add_f32 v[122:123], v[122:123], v[124:125]
	s_wait_loadcnt 0x2
	v_pk_mul_f32 v[134:135], v[206:207], v[186:187] op_sel:[1,1] op_sel_hi:[0,1]
	v_dual_mov_b32 v124, v189 :: v_dual_mov_b32 v129, v131
	v_pk_fma_f32 v[130:131], v[200:201], v[184:185], v[132:133] op_sel_hi:[1,0,1]
	v_pk_add_f32 v[122:123], v[122:123], v[126:127]
	v_pk_fma_f32 v[132:133], v[200:201], v[184:185], v[132:133] neg_lo:[0,0,1] neg_hi:[0,0,1]
	v_pk_fma_f32 v[126:127], v[206:207], v[186:187], v[134:135] op_sel_hi:[1,0,1]
	s_set_vgpr_msb 1                        ;  msbs: dst=0 src0=1 src1=0 src2=0
	v_pk_mul_f32 v[124:125], v[14:15] /*v[270:271]*/, v[124:125] op_sel_hi:[1,0]
	s_set_vgpr_msb 0                        ;  msbs: dst=0 src0=0 src1=0 src2=0
	v_mov_b32_e32 v133, v131
	v_pk_add_f32 v[122:123], v[122:123], v[128:129]
	v_pk_fma_f32 v[128:129], v[206:207], v[186:187], v[134:135] neg_lo:[0,0,1] neg_hi:[0,0,1]
	v_mov_b32_e32 v129, v127
	v_pk_fma_f32 v[126:127], v[208:209], v[188:189], v[124:125] op_sel_hi:[1,0,1]
	s_wait_loadcnt_dscnt 0x100
	s_set_vgpr_msb 5                        ;  msbs: dst=0 src0=1 src1=1 src2=0
	v_pk_mul_f32 v[130:131], v[6:7] /*v[262:263]*/, v[2:3] /*v[258:259]*/ op_sel:[1,1] op_sel_hi:[0,1]
	s_set_vgpr_msb 0                        ;  msbs: dst=0 src0=0 src1=0 src2=0
	v_pk_add_f32 v[122:123], v[122:123], v[132:133]
	v_pk_fma_f32 v[124:125], v[208:209], v[188:189], v[124:125] neg_lo:[0,0,1] neg_hi:[0,0,1]
	v_mov_b32_e32 v125, v127
	s_set_vgpr_msb 5                        ;  msbs: dst=0 src0=1 src1=1 src2=0
	v_pk_fma_f32 v[126:127], v[6:7] /*v[262:263]*/, v[2:3] /*v[258:259]*/, v[130:131] op_sel_hi:[1,0,1]
	s_set_vgpr_msb 0                        ;  msbs: dst=0 src0=0 src1=0 src2=0
	v_pk_add_f32 v[122:123], v[122:123], v[128:129]
	s_set_vgpr_msb 5                        ;  msbs: dst=0 src0=1 src1=1 src2=0
	v_pk_fma_f32 v[128:129], v[6:7] /*v[262:263]*/, v[2:3] /*v[258:259]*/, v[130:131] neg_lo:[0,0,1] neg_hi:[0,0,1]
	s_set_vgpr_msb 0                        ;  msbs: dst=0 src0=0 src1=0 src2=0
	v_mov_b32_e32 v129, v127
	v_pk_add_f32 v[122:123], v[122:123], v[124:125]
	s_delay_alu instid0(VALU_DEP_1) | instskip(SKIP_2) | instid1(VALU_DEP_1)
	v_pk_add_f32 v[122:123], v[122:123], v[128:129]
	s_wait_loadcnt 0x0
	s_set_vgpr_msb 1                        ;  msbs: dst=0 src0=1 src1=0 src2=0
	v_pk_add_f32 v[122:123], v[4:5] /*v[260:261]*/, v[122:123] neg_lo:[0,1] neg_hi:[0,1]
	scratch_store_b64 off, v[122:123], off offset:192
	s_wait_xcnt 0x0
	v_cmpx_lt_u32_e32 23, v0
	s_set_vgpr_msb 0                        ;  msbs: dst=0 src0=0 src1=0 src2=0
	s_cbranch_execz .LBB123_327
; %bb.326:
	scratch_load_b64 v[122:123], off, off offset:184
	v_mov_b64_e32 v[124:125], 0
	scratch_store_b64 off, v[124:125], off offset:184
	s_wait_loadcnt 0x0
	ds_store_b64 v1, v[122:123]
.LBB123_327:
	s_wait_xcnt 0x0
	s_or_b32 exec_lo, exec_lo, s0
	s_wait_storecnt_dscnt 0x0
	s_barrier_signal -1
	s_barrier_wait -1
	s_clause 0x13
	scratch_load_b128 v[122:125], off, off offset:192
	scratch_load_b128 v[126:129], off, off offset:208
	;; [unrolled: 1-line block ×18, first 2 shown]
	s_set_vgpr_msb 64                       ;  msbs: dst=1 src0=0 src1=0 src2=0
	scratch_load_b64 v[10:11] /*v[266:267]*/, off, off offset:184
	s_set_vgpr_msb 0                        ;  msbs: dst=0 src0=0 src1=0 src2=0
	ds_load_b128 v[194:197], v7 offset:896
	ds_load_b128 v[198:201], v7 offset:912
	ds_load_b128 v[202:205], v7 offset:928
	ds_load_b128 v[206:209], v7 offset:944
	ds_load_b128 v[210:213], v7 offset:672
	ds_load_b128 v[214:217], v7 offset:688
	ds_load_b128 v[218:221], v7 offset:704
	ds_load_b128 v[222:225], v7 offset:720
	ds_load_b128 v[226:229], v7 offset:736
	ds_load_b128 v[230:233], v7 offset:752
	ds_load_b128 v[234:237], v7 offset:768
	ds_load_b128 v[238:241], v7 offset:784
	ds_load_b128 v[242:245], v7 offset:800
	ds_load_b128 v[246:249], v7 offset:816
	ds_load_b128 v[250:253], v7 offset:832
	ds_load_b128 v[254:257], v7 offset:848
	s_set_vgpr_msb 64                       ;  msbs: dst=1 src0=0 src1=0 src2=0
	ds_load_b128 v[2:5] /*v[258:261]*/, v7 offset:864
	ds_load_b128 v[6:9] /*v[262:265]*/, v7 offset:880
	s_mov_b32 s0, exec_lo
	s_wait_dscnt 0x11
	v_dual_mov_b32 v12 /*v268*/, v197 :: v_dual_mov_b32 v13 /*v269*/, v196
	s_wait_dscnt 0x10
	v_dual_mov_b32 v14 /*v270*/, v201 :: v_dual_mov_b32 v15 /*v271*/, v200
	s_wait_dscnt 0xf
	v_dual_mov_b32 v16 /*v272*/, v205 :: v_dual_mov_b32 v17 /*v273*/, v204
	s_wait_dscnt 0xe
	v_dual_mov_b32 v18 /*v274*/, v209 :: v_dual_mov_b32 v19 /*v275*/, v208
	s_wait_loadcnt_dscnt 0x120d
	s_set_vgpr_msb 0                        ;  msbs: dst=0 src0=0 src1=0 src2=0
	v_dual_mul_f32 v7, v210, v123 :: v_dual_mul_f32 v9, v212, v125
	s_wait_loadcnt_dscnt 0x110c
	v_dual_mul_f32 v59, v211, v123 :: v_dual_mul_f32 v65, v217, v129
	v_dual_mul_f32 v11, v214, v127 :: v_dual_mul_f32 v13, v216, v129
	s_delay_alu instid0(VALU_DEP_3)
	v_dual_fmac_f32 v7, v211, v122 :: v_dual_fmac_f32 v9, v213, v124
	v_dual_mul_f32 v61, v213, v125 :: v_dual_mul_f32 v63, v215, v127
	s_wait_loadcnt_dscnt 0x702
	v_dual_mul_f32 v69, v221, v133 :: v_dual_mul_f32 v51, v254, v167
	s_wait_loadcnt_dscnt 0x601
	s_set_vgpr_msb 1                        ;  msbs: dst=0 src0=1 src1=0 src2=0
	v_dual_mul_f32 v57, v4 /*v260*/, v173 :: v_dual_add_f32 v7, 0, v7
	s_set_vgpr_msb 0                        ;  msbs: dst=0 src0=0 src1=0 src2=0
	v_dual_mul_f32 v67, v219, v131 :: v_dual_fma_f32 v59, v210, v122, -v59
	v_dual_mul_f32 v71, v223, v135 :: v_dual_fma_f32 v61, v212, v124, -v61
	v_dual_fmac_f32 v11, v215, v126 :: v_dual_fmac_f32 v13, v217, v128
	s_delay_alu instid0(VALU_DEP_3) | instskip(SKIP_2) | instid1(VALU_DEP_3)
	v_dual_add_f32 v59, 0, v59 :: v_dual_mul_f32 v73, v225, v137
	v_dual_fma_f32 v63, v214, v126, -v63 :: v_dual_add_f32 v7, v7, v9
	v_dual_mul_f32 v15, v218, v131 :: v_dual_mul_f32 v17, v220, v133
	v_dual_add_f32 v9, v59, v61 :: v_dual_fma_f32 v61, v216, v128, -v65
	s_delay_alu instid0(VALU_DEP_3) | instskip(NEXT) | instid1(VALU_DEP_3)
	v_add_f32_e32 v7, v7, v11
	v_dual_fmac_f32 v15, v219, v130 :: v_dual_mul_f32 v19, v222, v135
	s_delay_alu instid0(VALU_DEP_3) | instskip(NEXT) | instid1(VALU_DEP_3)
	v_dual_mul_f32 v21, v224, v137 :: v_dual_add_f32 v9, v9, v63
	v_dual_fma_f32 v63, v218, v130, -v67 :: v_dual_add_f32 v7, v7, v13
	v_dual_fmac_f32 v17, v221, v132 :: v_dual_mul_f32 v13, v231, v143
	s_delay_alu instid0(VALU_DEP_3) | instskip(NEXT) | instid1(VALU_DEP_3)
	v_dual_add_f32 v9, v9, v61 :: v_dual_fma_f32 v61, v220, v132, -v69
	v_add_f32_e32 v7, v7, v15
	v_dual_fmac_f32 v19, v223, v134 :: v_dual_mul_f32 v23, v226, v139
	s_delay_alu instid0(VALU_DEP_3) | instskip(NEXT) | instid1(VALU_DEP_3)
	v_dual_mul_f32 v25, v228, v141 :: v_dual_add_f32 v9, v9, v63
	v_dual_add_f32 v7, v7, v17 :: v_dual_fmac_f32 v21, v225, v136
	v_dual_mul_f32 v15, v233, v145 :: v_dual_fma_f32 v63, v222, v134, -v71
	s_delay_alu instid0(VALU_DEP_3) | instskip(NEXT) | instid1(VALU_DEP_3)
	v_dual_add_f32 v9, v9, v61 :: v_dual_mul_f32 v17, v235, v147
	v_dual_fma_f32 v61, v224, v136, -v73 :: v_dual_add_f32 v7, v7, v19
	v_dual_mul_f32 v59, v227, v139 :: v_dual_mul_f32 v11, v229, v141
	s_delay_alu instid0(VALU_DEP_3) | instskip(NEXT) | instid1(VALU_DEP_3)
	v_dual_add_f32 v9, v9, v63 :: v_dual_fmac_f32 v23, v227, v138
	v_dual_add_f32 v7, v7, v21 :: v_dual_fmac_f32 v25, v229, v140
	v_dual_mul_f32 v27, v230, v143 :: v_dual_mul_f32 v29, v232, v145
	s_delay_alu instid0(VALU_DEP_4) | instskip(NEXT) | instid1(VALU_DEP_4)
	v_dual_mul_f32 v19, v237, v149 :: v_dual_fma_f32 v59, v226, v138, -v59
	v_dual_add_f32 v9, v9, v61 :: v_dual_mul_f32 v21, v239, v151
	s_delay_alu instid0(VALU_DEP_4) | instskip(NEXT) | instid1(VALU_DEP_2)
	v_dual_fma_f32 v11, v228, v140, -v11 :: v_dual_add_f32 v7, v7, v23
	v_dual_fmac_f32 v27, v231, v142 :: v_dual_add_f32 v9, v9, v59
	v_dual_mul_f32 v31, v234, v147 :: v_dual_mul_f32 v33, v236, v149
	s_delay_alu instid0(VALU_DEP_3) | instskip(SKIP_1) | instid1(VALU_DEP_4)
	v_add_f32_e32 v7, v7, v25
	v_dual_mul_f32 v23, v241, v153 :: v_dual_fma_f32 v13, v230, v142, -v13
	v_add_f32_e32 v9, v9, v11
	v_dual_mul_f32 v11, v243, v155 :: v_dual_fmac_f32 v29, v233, v144
	s_delay_alu instid0(VALU_DEP_4) | instskip(NEXT) | instid1(VALU_DEP_3)
	v_dual_fma_f32 v15, v232, v144, -v15 :: v_dual_add_f32 v7, v7, v27
	v_dual_add_f32 v9, v9, v13 :: v_dual_fmac_f32 v31, v235, v146
	v_dual_mul_f32 v35, v238, v151 :: v_dual_mul_f32 v37, v240, v153
	s_delay_alu instid0(VALU_DEP_2) | instskip(SKIP_2) | instid1(VALU_DEP_3)
	v_dual_add_f32 v7, v7, v29 :: v_dual_add_f32 v9, v9, v15
	v_dual_mul_f32 v13, v245, v157 :: v_dual_fma_f32 v17, v234, v146, -v17
	v_dual_mul_f32 v15, v247, v159 :: v_dual_fmac_f32 v33, v237, v148
	v_dual_fma_f32 v19, v236, v148, -v19 :: v_dual_add_f32 v7, v7, v31
	s_delay_alu instid0(VALU_DEP_3) | instskip(SKIP_1) | instid1(VALU_DEP_2)
	v_dual_add_f32 v9, v9, v17 :: v_dual_fmac_f32 v35, v239, v150
	v_dual_mul_f32 v39, v242, v155 :: v_dual_mul_f32 v41, v244, v157
	v_dual_add_f32 v7, v7, v33 :: v_dual_add_f32 v9, v9, v19
	v_dual_mul_f32 v17, v249, v161 :: v_dual_fma_f32 v21, v238, v150, -v21
	v_dual_mul_f32 v19, v251, v163 :: v_dual_fmac_f32 v37, v241, v152
	s_delay_alu instid0(VALU_DEP_3) | instskip(NEXT) | instid1(VALU_DEP_3)
	v_dual_fma_f32 v23, v240, v152, -v23 :: v_dual_add_f32 v7, v7, v35
	v_dual_add_f32 v9, v9, v21 :: v_dual_fmac_f32 v39, v243, v154
	v_dual_mul_f32 v43, v246, v159 :: v_dual_mul_f32 v45, v248, v161
	s_delay_alu instid0(VALU_DEP_2) | instskip(SKIP_2) | instid1(VALU_DEP_3)
	v_dual_add_f32 v7, v7, v37 :: v_dual_add_f32 v9, v9, v23
	v_dual_mul_f32 v21, v253, v165 :: v_dual_fma_f32 v11, v242, v154, -v11
	v_dual_mul_f32 v23, v255, v167 :: v_dual_fmac_f32 v41, v245, v156
	v_dual_fma_f32 v13, v244, v156, -v13 :: v_dual_add_f32 v7, v7, v39
	s_delay_alu instid0(VALU_DEP_3) | instskip(SKIP_2) | instid1(VALU_DEP_4)
	v_dual_add_f32 v9, v9, v11 :: v_dual_fmac_f32 v43, v247, v158
	v_fma_f32 v15, v246, v158, -v15
	v_dual_mul_f32 v47, v250, v163 :: v_dual_mul_f32 v49, v252, v165
	v_add_f32_e32 v7, v7, v41
	s_delay_alu instid0(VALU_DEP_4) | instskip(NEXT) | instid1(VALU_DEP_3)
	v_dual_add_f32 v9, v9, v13 :: v_dual_fma_f32 v17, v248, v160, -v17
	v_dual_fmac_f32 v45, v249, v160 :: v_dual_fmac_f32 v47, v251, v162
	s_delay_alu instid0(VALU_DEP_3) | instskip(NEXT) | instid1(VALU_DEP_3)
	v_add_f32_e32 v7, v7, v43
	v_dual_add_f32 v9, v9, v15 :: v_dual_fma_f32 v19, v250, v162, -v19
	s_set_vgpr_msb 1                        ;  msbs: dst=0 src0=1 src1=0 src2=0
	v_dual_mul_f32 v53, v0 /*v256*/, v169 :: v_dual_mul_f32 v55, v2 /*v258*/, v171
	s_set_vgpr_msb 0                        ;  msbs: dst=0 src0=0 src1=0 src2=0
	v_add_f32_e32 v7, v7, v45
	v_dual_add_f32 v9, v9, v17 :: v_dual_fma_f32 v21, v252, v164, -v21
	v_dual_fmac_f32 v49, v253, v164 :: v_dual_fmac_f32 v51, v255, v166
	s_delay_alu instid0(VALU_DEP_3) | instskip(NEXT) | instid1(VALU_DEP_3)
	v_add_f32_e32 v7, v7, v47
	v_dual_add_f32 v9, v9, v19 :: v_dual_fma_f32 v23, v254, v166, -v23
	s_set_vgpr_msb 1                        ;  msbs: dst=0 src0=1 src1=0 src2=0
	v_dual_mul_f32 v11, v1 /*v257*/, v169 :: v_dual_mul_f32 v13, v3 /*v259*/, v171
	s_set_vgpr_msb 0                        ;  msbs: dst=0 src0=0 src1=0 src2=0
	v_add_f32_e32 v7, v7, v49
	v_add_f32_e32 v9, v9, v21
	s_set_vgpr_msb 1                        ;  msbs: dst=0 src0=1 src1=0 src2=0
	v_dual_fmac_f32 v53, v1 /*v257*/, v168 :: v_dual_fmac_f32 v55, v3 /*v259*/, v170
	s_wait_loadcnt_dscnt 0x500
	v_dual_mul_f32 v19, v9 /*v265*/, v177 :: v_dual_fma_f32 v11, v0 /*v256*/, v168, -v11
	s_set_vgpr_msb 0                        ;  msbs: dst=0 src0=0 src1=0 src2=0
	v_add_f32_e32 v7, v7, v51
	v_add_f32_e32 v9, v9, v23
	s_set_vgpr_msb 1                        ;  msbs: dst=0 src0=1 src1=0 src2=0
	v_dual_mul_f32 v15, v5 /*v261*/, v173 :: v_dual_mul_f32 v17, v7 /*v263*/, v175
	v_fma_f32 v13, v2 /*v258*/, v170, -v13
	s_wait_loadcnt 0x4
	s_set_vgpr_msb 0                        ;  msbs: dst=0 src0=0 src1=0 src2=0
	v_dual_add_f32 v7, v7, v53 :: v_dual_mov_b32 v124, v181
	s_set_vgpr_msb 1                        ;  msbs: dst=0 src0=1 src1=0 src2=0
	v_fmac_f32_e32 v57, v5 /*v261*/, v172
	s_set_vgpr_msb 0x41                     ;  msbs: dst=1 src0=1 src1=0 src2=0
	v_dual_mul_f32 v21 /*v277*/, v6 /*v262*/, v175 :: v_dual_mul_f32 v23 /*v279*/, v8 /*v264*/, v177
	s_set_vgpr_msb 0                        ;  msbs: dst=0 src0=0 src1=0 src2=0
	v_add_f32_e32 v7, v7, v55
	v_add_f32_e32 v9, v9, v11
	s_set_vgpr_msb 1                        ;  msbs: dst=0 src0=1 src1=0 src2=0
	v_fma_f32 v11, v4 /*v260*/, v172, -v15
	s_set_vgpr_msb 0                        ;  msbs: dst=0 src0=0 src1=0 src2=0
	v_pk_mul_f32 v[122:123], v[194:195], v[178:179] op_sel:[1,1] op_sel_hi:[0,1]
	s_set_vgpr_msb 0x41                     ;  msbs: dst=1 src0=1 src1=0 src2=0
	v_dual_fmac_f32 v21 /*v277*/, v7 /*v263*/, v174 :: v_dual_fmac_f32 v23 /*v279*/, v9 /*v265*/, v176
	s_set_vgpr_msb 0                        ;  msbs: dst=0 src0=0 src1=0 src2=0
	v_add_f32_e32 v131, v7, v57
	v_add_f32_e32 v9, v9, v13
	s_set_vgpr_msb 0x41                     ;  msbs: dst=1 src0=1 src1=0 src2=0
	v_dual_fma_f32 v20 /*v276*/, v6 /*v262*/, v174, -v17 :: v_dual_fma_f32 v22 /*v278*/, v8 /*v264*/, v176, -v19
	s_set_vgpr_msb 0                        ;  msbs: dst=0 src0=0 src1=0 src2=0
	v_pk_fma_f32 v[132:133], v[194:195], v[178:179], v[122:123] op_sel_hi:[1,0,1]
	s_set_vgpr_msb 1                        ;  msbs: dst=0 src0=1 src1=0 src2=0
	v_pk_mul_f32 v[124:125], v[12:13] /*v[268:269]*/, v[124:125] op_sel_hi:[1,0]
	s_set_vgpr_msb 0                        ;  msbs: dst=0 src0=0 src1=0 src2=0
	v_add_f32_e32 v130, v9, v11
	v_pk_fma_f32 v[122:123], v[194:195], v[178:179], v[122:123] neg_lo:[0,0,1] neg_hi:[0,0,1]
	s_wait_loadcnt 0x3
	v_pk_mul_f32 v[126:127], v[198:199], v[182:183] op_sel:[1,1] op_sel_hi:[0,1]
	v_dual_mov_b32 v128, v185 :: v_dual_mov_b32 v123, v133
	s_set_vgpr_msb 4                        ;  msbs: dst=0 src0=0 src1=1 src2=0
	v_pk_add_f32 v[130:131], v[130:131], v[20:21] /*v[276:277]*/
	s_set_vgpr_msb 0                        ;  msbs: dst=0 src0=0 src1=0 src2=0
	v_pk_fma_f32 v[132:133], v[196:197], v[180:181], v[124:125] op_sel_hi:[1,0,1]
	v_pk_fma_f32 v[124:125], v[196:197], v[180:181], v[124:125] neg_lo:[0,0,1] neg_hi:[0,0,1]
	v_pk_fma_f32 v[136:137], v[198:199], v[182:183], v[126:127] op_sel_hi:[1,0,1]
	s_set_vgpr_msb 1                        ;  msbs: dst=0 src0=1 src1=0 src2=0
	v_pk_mul_f32 v[128:129], v[14:15] /*v[270:271]*/, v[128:129] op_sel_hi:[1,0]
	s_set_vgpr_msb 4                        ;  msbs: dst=0 src0=0 src1=1 src2=0
	v_pk_add_f32 v[130:131], v[130:131], v[22:23] /*v[278:279]*/
	v_mov_b32_e32 v125, v133
	s_wait_loadcnt 0x2
	s_set_vgpr_msb 0                        ;  msbs: dst=0 src0=0 src1=0 src2=0
	v_pk_mul_f32 v[134:135], v[202:203], v[186:187] op_sel:[1,1] op_sel_hi:[0,1]
	v_pk_fma_f32 v[126:127], v[198:199], v[182:183], v[126:127] neg_lo:[0,0,1] neg_hi:[0,0,1]
	v_pk_fma_f32 v[132:133], v[200:201], v[184:185], v[128:129] op_sel_hi:[1,0,1]
	v_pk_add_f32 v[122:123], v[130:131], v[122:123]
	v_dual_mov_b32 v130, v189 :: v_dual_mov_b32 v127, v137
	v_pk_fma_f32 v[128:129], v[200:201], v[184:185], v[128:129] neg_lo:[0,0,1] neg_hi:[0,0,1]
	s_delay_alu instid0(VALU_DEP_4) | instskip(NEXT) | instid1(VALU_DEP_4)
	v_mov_b32_e32 v129, v133
	v_pk_add_f32 v[122:123], v[122:123], v[124:125]
	v_pk_fma_f32 v[124:125], v[202:203], v[186:187], v[134:135] op_sel_hi:[1,0,1]
	s_set_vgpr_msb 1                        ;  msbs: dst=0 src0=1 src1=0 src2=0
	v_pk_mul_f32 v[130:131], v[16:17] /*v[272:273]*/, v[130:131] op_sel_hi:[1,0]
	s_set_vgpr_msb 0                        ;  msbs: dst=0 src0=0 src1=0 src2=0
	v_pk_fma_f32 v[132:133], v[202:203], v[186:187], v[134:135] neg_lo:[0,0,1] neg_hi:[0,0,1]
	v_pk_add_f32 v[122:123], v[122:123], v[126:127]
	v_mov_b32_e32 v133, v125
	v_pk_fma_f32 v[124:125], v[204:205], v[188:189], v[130:131] op_sel_hi:[1,0,1]
	s_wait_loadcnt 0x1
	v_pk_mul_f32 v[126:127], v[206:207], v[190:191] op_sel:[1,1] op_sel_hi:[0,1]
	v_mov_b32_e32 v124, v193
	v_pk_add_f32 v[122:123], v[122:123], v[128:129]
	v_pk_fma_f32 v[130:131], v[204:205], v[188:189], v[130:131] neg_lo:[0,0,1] neg_hi:[0,0,1]
	s_delay_alu instid0(VALU_DEP_4) | instskip(SKIP_1) | instid1(VALU_DEP_4)
	v_pk_fma_f32 v[128:129], v[206:207], v[190:191], v[126:127] op_sel_hi:[1,0,1]
	v_mov_b32_e32 v131, v125
	v_pk_add_f32 v[122:123], v[122:123], v[132:133]
	s_set_vgpr_msb 1                        ;  msbs: dst=0 src0=1 src1=0 src2=0
	v_pk_mul_f32 v[124:125], v[18:19] /*v[274:275]*/, v[124:125] op_sel_hi:[1,0]
	s_set_vgpr_msb 0                        ;  msbs: dst=0 src0=0 src1=0 src2=0
	v_pk_fma_f32 v[126:127], v[206:207], v[190:191], v[126:127] neg_lo:[0,0,1] neg_hi:[0,0,1]
	v_mov_b32_e32 v127, v129
	v_pk_add_f32 v[122:123], v[122:123], v[130:131]
	v_pk_fma_f32 v[128:129], v[208:209], v[192:193], v[124:125] op_sel_hi:[1,0,1]
	v_pk_fma_f32 v[124:125], v[208:209], v[192:193], v[124:125] neg_lo:[0,0,1] neg_hi:[0,0,1]
	s_delay_alu instid0(VALU_DEP_3) | instskip(NEXT) | instid1(VALU_DEP_3)
	v_pk_add_f32 v[122:123], v[122:123], v[126:127]
	v_mov_b32_e32 v125, v129
	s_delay_alu instid0(VALU_DEP_1) | instskip(SKIP_2) | instid1(VALU_DEP_1)
	v_pk_add_f32 v[122:123], v[122:123], v[124:125]
	s_wait_loadcnt 0x0
	s_set_vgpr_msb 1                        ;  msbs: dst=0 src0=1 src1=0 src2=0
	v_pk_add_f32 v[122:123], v[10:11] /*v[266:267]*/, v[122:123] neg_lo:[0,1] neg_hi:[0,1]
	scratch_store_b64 off, v[122:123], off offset:184
	s_wait_xcnt 0x0
	v_cmpx_lt_u32_e32 22, v0
	s_set_vgpr_msb 0                        ;  msbs: dst=0 src0=0 src1=0 src2=0
	s_cbranch_execz .LBB123_329
; %bb.328:
	scratch_load_b64 v[122:123], off, off offset:176
	v_mov_b64_e32 v[124:125], 0
	scratch_store_b64 off, v[124:125], off offset:176
	s_wait_loadcnt 0x0
	ds_store_b64 v1, v[122:123]
.LBB123_329:
	s_wait_xcnt 0x0
	s_or_b32 exec_lo, exec_lo, s0
	s_wait_storecnt_dscnt 0x0
	s_barrier_signal -1
	s_barrier_wait -1
	s_clause 0x14
	scratch_load_b128 v[122:125], off, off offset:184
	scratch_load_b128 v[126:129], off, off offset:200
	;; [unrolled: 1-line block ×18, first 2 shown]
	s_set_vgpr_msb 64                       ;  msbs: dst=1 src0=0 src1=0 src2=0
	scratch_load_b64 v[10:11] /*v[266:267]*/, off, off offset:472
	scratch_load_b64 v[12:13] /*v[268:269]*/, off, off offset:176
	s_set_vgpr_msb 0                        ;  msbs: dst=0 src0=0 src1=0 src2=0
	v_mov_b32_e32 v7, 0
	ds_load_2addr_b64 v[194:197], v7 offset0:111 offset1:112
	ds_load_2addr_b64 v[198:201], v7 offset0:113 offset1:114
	;; [unrolled: 1-line block ×16, first 2 shown]
	s_set_vgpr_msb 64                       ;  msbs: dst=1 src0=0 src1=0 src2=0
	ds_load_2addr_b64 v[2:5] /*v[258:261]*/, v7 offset0:107 offset1:108
	ds_load_2addr_b64 v[6:9] /*v[262:265]*/, v7 offset0:109 offset1:110
	ds_load_b64 v[14:15] /*v[270:271]*/, v7 offset:952
	s_mov_b32 s0, exec_lo
	s_wait_dscnt 0x12
	v_dual_mov_b32 v16 /*v272*/, v197 :: v_dual_mov_b32 v17 /*v273*/, v196
	s_wait_dscnt 0x11
	v_dual_mov_b32 v18 /*v274*/, v201 :: v_dual_mov_b32 v19 /*v275*/, v200
	;; [unrolled: 2-line block ×4, first 2 shown]
	s_wait_loadcnt 0x13
	s_set_vgpr_msb 0                        ;  msbs: dst=0 src0=0 src1=0 src2=0
	v_dual_mul_f32 v9, v206, v123 :: v_dual_mul_f32 v63, v207, v123
	v_dual_mul_f32 v65, v209, v125 :: v_dual_mul_f32 v11, v208, v125
	s_wait_loadcnt 0x12
	v_mul_f32_e32 v13, v210, v127
	s_wait_loadcnt_dscnt 0x100b
	v_dual_mul_f32 v75, v223, v135 :: v_dual_fma_f32 v63, v206, v122, -v63
	v_dual_fmac_f32 v9, v207, v122 :: v_dual_mul_f32 v77, v225, v137
	v_dual_mul_f32 v67, v211, v127 :: v_dual_mul_f32 v69, v213, v129
	v_dual_fmac_f32 v11, v209, v124 :: v_dual_fma_f32 v65, v208, v124, -v65
	s_delay_alu instid0(VALU_DEP_3) | instskip(SKIP_3) | instid1(VALU_DEP_3)
	v_dual_add_f32 v9, 0, v9 :: v_dual_add_f32 v63, 0, v63
	v_dual_mul_f32 v15, v212, v129 :: v_dual_mul_f32 v17, v218, v131
	s_wait_loadcnt_dscnt 0xf0a
	v_dual_mul_f32 v79, v227, v139 :: v_dual_fma_f32 v67, v210, v126, -v67
	v_dual_fmac_f32 v13, v211, v126 :: v_dual_add_f32 v9, v9, v11
	s_delay_alu instid0(VALU_DEP_3) | instskip(SKIP_2) | instid1(VALU_DEP_3)
	v_dual_add_f32 v11, v63, v65 :: v_dual_fmac_f32 v15, v213, v128
	v_dual_mul_f32 v71, v219, v131 :: v_dual_mul_f32 v73, v221, v133
	v_dual_mul_f32 v63, v229, v141 :: v_dual_fma_f32 v65, v212, v128, -v69
	v_dual_add_f32 v9, v9, v13 :: v_dual_add_f32 v11, v11, v67
	v_dual_mul_f32 v19, v220, v133 :: v_dual_mul_f32 v21, v222, v135
	s_wait_loadcnt_dscnt 0xe09
	v_dual_mul_f32 v13, v231, v143 :: v_dual_fma_f32 v67, v218, v130, -v71
	s_delay_alu instid0(VALU_DEP_3) | instskip(NEXT) | instid1(VALU_DEP_3)
	v_dual_fmac_f32 v17, v219, v130 :: v_dual_add_f32 v9, v9, v15
	v_dual_add_f32 v11, v11, v65 :: v_dual_fmac_f32 v19, v221, v132
	v_dual_mul_f32 v15, v233, v145 :: v_dual_fma_f32 v65, v220, v132, -v73
	s_delay_alu instid0(VALU_DEP_2) | instskip(SKIP_3) | instid1(VALU_DEP_3)
	v_dual_add_f32 v9, v9, v17 :: v_dual_add_f32 v11, v11, v67
	v_dual_mul_f32 v23, v224, v137 :: v_dual_mul_f32 v25, v226, v139
	s_wait_loadcnt_dscnt 0xd08
	v_dual_mul_f32 v17, v235, v147 :: v_dual_fma_f32 v67, v222, v134, -v75
	v_dual_fmac_f32 v21, v223, v134 :: v_dual_add_f32 v9, v9, v19
	s_delay_alu instid0(VALU_DEP_3) | instskip(SKIP_1) | instid1(VALU_DEP_2)
	v_dual_add_f32 v11, v11, v65 :: v_dual_fmac_f32 v23, v225, v136
	v_dual_mul_f32 v19, v237, v149 :: v_dual_fma_f32 v65, v224, v136, -v77
	v_dual_add_f32 v9, v9, v21 :: v_dual_add_f32 v11, v11, v67
	v_dual_mul_f32 v27, v228, v141 :: v_dual_mul_f32 v29, v230, v143
	s_wait_loadcnt_dscnt 0xc07
	v_dual_mul_f32 v21, v239, v151 :: v_dual_fma_f32 v67, v226, v138, -v79
	s_delay_alu instid0(VALU_DEP_3) | instskip(NEXT) | instid1(VALU_DEP_3)
	v_dual_fmac_f32 v25, v227, v138 :: v_dual_add_f32 v9, v9, v23
	v_dual_add_f32 v11, v11, v65 :: v_dual_fmac_f32 v27, v229, v140
	v_dual_mul_f32 v23, v241, v153 :: v_dual_fma_f32 v63, v228, v140, -v63
	s_delay_alu instid0(VALU_DEP_2) | instskip(SKIP_3) | instid1(VALU_DEP_3)
	v_dual_add_f32 v9, v9, v25 :: v_dual_add_f32 v11, v11, v67
	v_dual_mul_f32 v31, v232, v145 :: v_dual_mul_f32 v33, v234, v147
	s_wait_loadcnt_dscnt 0xb06
	v_dual_mul_f32 v25, v243, v155 :: v_dual_fma_f32 v13, v230, v142, -v13
	v_dual_fmac_f32 v29, v231, v142 :: v_dual_add_f32 v9, v9, v27
	v_dual_add_f32 v11, v11, v63 :: v_dual_mul_f32 v27, v245, v157
	v_fmac_f32_e32 v31, v233, v144
	s_delay_alu instid0(VALU_DEP_3) | instskip(NEXT) | instid1(VALU_DEP_3)
	v_dual_fma_f32 v15, v232, v144, -v15 :: v_dual_add_f32 v9, v9, v29
	v_add_f32_e32 v11, v11, v13
	v_dual_mul_f32 v35, v236, v149 :: v_dual_mul_f32 v37, v238, v151
	s_wait_loadcnt_dscnt 0xa05
	v_dual_mul_f32 v13, v247, v159 :: v_dual_fma_f32 v17, v234, v146, -v17
	v_dual_fmac_f32 v33, v235, v146 :: v_dual_add_f32 v9, v9, v31
	v_dual_add_f32 v11, v11, v15 :: v_dual_mul_f32 v15, v249, v161
	v_fmac_f32_e32 v35, v237, v148
	s_delay_alu instid0(VALU_DEP_3) | instskip(NEXT) | instid1(VALU_DEP_3)
	v_dual_fma_f32 v19, v236, v148, -v19 :: v_dual_add_f32 v9, v9, v33
	v_add_f32_e32 v11, v11, v17
	;; [unrolled: 9-line block ×3, first 2 shown]
	v_dual_mul_f32 v43, v244, v157 :: v_dual_mul_f32 v45, v246, v159
	s_wait_loadcnt_dscnt 0x803
	v_dual_mul_f32 v21, v255, v167 :: v_dual_fma_f32 v25, v242, v154, -v25
	v_dual_fmac_f32 v41, v243, v154 :: v_dual_add_f32 v9, v9, v39
	s_delay_alu instid0(VALU_DEP_3) | instskip(SKIP_2) | instid1(VALU_DEP_4)
	v_dual_add_f32 v11, v11, v23 :: v_dual_fmac_f32 v43, v245, v156
	v_fma_f32 v27, v244, v156, -v27
	v_dual_mul_f32 v47, v248, v161 :: v_dual_mul_f32 v49, v250, v163
	v_add_f32_e32 v9, v9, v41
	s_delay_alu instid0(VALU_DEP_4) | instskip(NEXT) | instid1(VALU_DEP_3)
	v_dual_add_f32 v11, v11, v25 :: v_dual_fma_f32 v13, v246, v158, -v13
	v_dual_fmac_f32 v45, v247, v158 :: v_dual_fmac_f32 v47, v249, v160
	s_delay_alu instid0(VALU_DEP_3) | instskip(NEXT) | instid1(VALU_DEP_3)
	v_add_f32_e32 v9, v9, v43
	v_dual_add_f32 v11, v11, v27 :: v_dual_fma_f32 v15, v248, v160, -v15
	v_dual_mul_f32 v51, v252, v165 :: v_dual_mul_f32 v53, v254, v167
	s_delay_alu instid0(VALU_DEP_3) | instskip(NEXT) | instid1(VALU_DEP_3)
	v_add_f32_e32 v9, v9, v45
	v_dual_add_f32 v11, v11, v13 :: v_dual_fma_f32 v17, v250, v162, -v17
	s_delay_alu instid0(VALU_DEP_3) | instskip(NEXT) | instid1(VALU_DEP_3)
	v_dual_fmac_f32 v49, v251, v162 :: v_dual_fmac_f32 v51, v253, v164
	v_add_f32_e32 v9, v9, v47
	s_delay_alu instid0(VALU_DEP_3)
	v_dual_add_f32 v11, v11, v15 :: v_dual_fma_f32 v19, v252, v164, -v19
	s_wait_loadcnt_dscnt 0x702
	s_set_vgpr_msb 1                        ;  msbs: dst=0 src0=1 src1=0 src2=0
	v_dual_mul_f32 v55, v0 /*v256*/, v169 :: v_dual_mul_f32 v57, v2 /*v258*/, v171
	s_set_vgpr_msb 0                        ;  msbs: dst=0 src0=0 src1=0 src2=0
	v_add_f32_e32 v9, v9, v49
	v_dual_add_f32 v11, v11, v17 :: v_dual_fma_f32 v21, v254, v166, -v21
	s_set_vgpr_msb 1                        ;  msbs: dst=0 src0=1 src1=0 src2=0
	v_dual_mul_f32 v23, v1 /*v257*/, v169 :: v_dual_mul_f32 v25, v3 /*v259*/, v171
	s_set_vgpr_msb 0                        ;  msbs: dst=0 src0=0 src1=0 src2=0
	v_dual_fmac_f32 v53, v255, v166 :: v_dual_add_f32 v9, v9, v51
	v_add_f32_e32 v11, v11, v19
	s_wait_loadcnt_dscnt 0x601
	s_set_vgpr_msb 1                        ;  msbs: dst=0 src0=1 src1=0 src2=0
	v_dual_mul_f32 v15, v9 /*v265*/, v177 :: v_dual_fma_f32 v19, v0 /*v256*/, v168, -v23
	v_dual_fmac_f32 v55, v1 /*v257*/, v168 :: v_dual_fmac_f32 v57, v3 /*v259*/, v170
	s_set_vgpr_msb 0                        ;  msbs: dst=0 src0=0 src1=0 src2=0
	v_add_f32_e32 v9, v9, v53
	v_add_f32_e32 v11, v11, v21
	s_set_vgpr_msb 1                        ;  msbs: dst=0 src0=1 src1=0 src2=0
	v_dual_mul_f32 v59, v4 /*v260*/, v173 :: v_dual_mul_f32 v61, v6 /*v262*/, v175
	v_dual_mul_f32 v27, v5 /*v261*/, v173 :: v_dual_mul_f32 v13, v7 /*v263*/, v175
	s_delay_alu instid0(VALU_DEP_2)
	v_dual_fma_f32 v21, v2 /*v258*/, v170, -v25 :: v_dual_fmac_f32 v59, v5 /*v261*/, v172
	s_set_vgpr_msb 0                        ;  msbs: dst=0 src0=0 src1=0 src2=0
	v_add_f32_e32 v9, v9, v55
	s_wait_loadcnt 0x4
	v_dual_add_f32 v11, v11, v19 :: v_dual_mov_b32 v126, v185
	v_dual_mul_f32 v17, v195, v179 :: v_dual_mov_b32 v122, v181
	s_set_vgpr_msb 1                        ;  msbs: dst=0 src0=1 src1=0 src2=0
	v_dual_fma_f32 v19, v4 /*v260*/, v172, -v27 :: v_dual_fmac_f32 v61, v7 /*v263*/, v174
	s_set_vgpr_msb 0                        ;  msbs: dst=0 src0=0 src1=0 src2=0
	v_add_f32_e32 v11, v11, v21
	v_add_f32_e32 v9, v9, v57
	s_set_vgpr_msb 0x41                     ;  msbs: dst=1 src0=1 src1=0 src2=0
	v_dual_mul_f32 v25 /*v281*/, v8 /*v264*/, v177 :: v_dual_fma_f32 v24 /*v280*/, v8 /*v264*/, v176, -v15
	s_set_vgpr_msb 1                        ;  msbs: dst=0 src0=1 src1=0 src2=0
	v_fma_f32 v13, v6 /*v262*/, v174, -v13
	s_set_vgpr_msb 0                        ;  msbs: dst=0 src0=0 src1=0 src2=0
	v_add_f32_e32 v11, v11, v19
	v_add_f32_e32 v9, v9, v59
	s_set_vgpr_msb 1                        ;  msbs: dst=0 src0=1 src1=0 src2=0
	v_pk_mul_f32 v[122:123], v[16:17] /*v[272:273]*/, v[122:123] op_sel_hi:[1,0]
	s_set_vgpr_msb 64                       ;  msbs: dst=1 src0=0 src1=0 src2=0
	v_dual_mul_f32 v27 /*v283*/, v194, v179 :: v_dual_fma_f32 v26 /*v282*/, v194, v178, -v17
	s_set_vgpr_msb 0x41                     ;  msbs: dst=1 src0=1 src1=0 src2=0
	v_fmac_f32_e32 v25 /*v281*/, v9 /*v265*/, v176
	s_wait_loadcnt 0x3
	s_set_vgpr_msb 0                        ;  msbs: dst=0 src0=0 src1=0 src2=0
	v_dual_add_f32 v130, v11, v13 :: v_dual_mov_b32 v132, v189
	v_pk_fma_f32 v[134:135], v[196:197], v[180:181], v[122:123] op_sel_hi:[1,0,1]
	v_add_f32_e32 v131, v9, v61
	v_pk_fma_f32 v[122:123], v[196:197], v[180:181], v[122:123] neg_lo:[0,0,1] neg_hi:[0,0,1]
	v_pk_mul_f32 v[124:125], v[198:199], v[182:183] op_sel:[1,1] op_sel_hi:[0,1]
	s_set_vgpr_msb 64                       ;  msbs: dst=1 src0=0 src1=0 src2=0
	v_fmac_f32_e32 v27 /*v283*/, v195, v178
	s_set_vgpr_msb 4                        ;  msbs: dst=0 src0=0 src1=1 src2=0
	v_mov_b32_e32 v123, v135
	v_pk_add_f32 v[130:131], v[130:131], v[24:25] /*v[280:281]*/
	s_set_vgpr_msb 1                        ;  msbs: dst=0 src0=1 src1=0 src2=0
	v_pk_mul_f32 v[126:127], v[18:19] /*v[274:275]*/, v[126:127] op_sel_hi:[1,0]
	s_set_vgpr_msb 0                        ;  msbs: dst=0 src0=0 src1=0 src2=0
	v_pk_fma_f32 v[136:137], v[198:199], v[182:183], v[124:125] op_sel_hi:[1,0,1]
	v_pk_fma_f32 v[124:125], v[198:199], v[182:183], v[124:125] neg_lo:[0,0,1] neg_hi:[0,0,1]
	v_pk_mul_f32 v[128:129], v[202:203], v[186:187] op_sel:[1,1] op_sel_hi:[0,1]
	s_set_vgpr_msb 4                        ;  msbs: dst=0 src0=0 src1=1 src2=0
	v_pk_add_f32 v[130:131], v[130:131], v[26:27] /*v[282:283]*/
	s_set_vgpr_msb 1                        ;  msbs: dst=0 src0=1 src1=0 src2=0
	v_pk_mul_f32 v[132:133], v[20:21] /*v[276:277]*/, v[132:133] op_sel_hi:[1,0]
	s_set_vgpr_msb 0                        ;  msbs: dst=0 src0=0 src1=0 src2=0
	v_mov_b32_e32 v125, v137
	v_pk_fma_f32 v[136:137], v[200:201], v[184:185], v[126:127] op_sel_hi:[1,0,1]
	v_pk_fma_f32 v[126:127], v[200:201], v[184:185], v[126:127] neg_lo:[0,0,1] neg_hi:[0,0,1]
	v_pk_add_f32 v[122:123], v[130:131], v[122:123]
	v_pk_fma_f32 v[130:131], v[202:203], v[186:187], v[128:129] op_sel_hi:[1,0,1]
	v_pk_fma_f32 v[128:129], v[202:203], v[186:187], v[128:129] neg_lo:[0,0,1] neg_hi:[0,0,1]
	v_mov_b32_e32 v127, v137
	s_wait_loadcnt 0x2
	v_pk_mul_f32 v[134:135], v[214:215], v[190:191] op_sel:[1,1] op_sel_hi:[0,1]
	v_pk_add_f32 v[122:123], v[122:123], v[124:125]
	v_dual_mov_b32 v124, v193 :: v_dual_mov_b32 v129, v131
	v_pk_fma_f32 v[130:131], v[204:205], v[188:189], v[132:133] op_sel_hi:[1,0,1]
	v_pk_fma_f32 v[132:133], v[204:205], v[188:189], v[132:133] neg_lo:[0,0,1] neg_hi:[0,0,1]
	s_delay_alu instid0(VALU_DEP_4)
	v_pk_add_f32 v[122:123], v[122:123], v[126:127]
	v_pk_fma_f32 v[126:127], v[214:215], v[190:191], v[134:135] op_sel_hi:[1,0,1]
	s_set_vgpr_msb 1                        ;  msbs: dst=0 src0=1 src1=0 src2=0
	v_pk_mul_f32 v[124:125], v[22:23] /*v[278:279]*/, v[124:125] op_sel_hi:[1,0]
	s_set_vgpr_msb 0                        ;  msbs: dst=0 src0=0 src1=0 src2=0
	v_mov_b32_e32 v133, v131
	s_wait_loadcnt_dscnt 0x100
	s_set_vgpr_msb 5                        ;  msbs: dst=0 src0=1 src1=1 src2=0
	v_pk_mul_f32 v[130:131], v[14:15] /*v[270:271]*/, v[10:11] /*v[266:267]*/ op_sel:[1,1] op_sel_hi:[0,1]
	s_set_vgpr_msb 0                        ;  msbs: dst=0 src0=0 src1=0 src2=0
	v_pk_add_f32 v[122:123], v[122:123], v[128:129]
	v_pk_fma_f32 v[128:129], v[214:215], v[190:191], v[134:135] neg_lo:[0,0,1] neg_hi:[0,0,1]
	v_mov_b32_e32 v129, v127
	v_pk_fma_f32 v[126:127], v[216:217], v[192:193], v[124:125] op_sel_hi:[1,0,1]
	v_pk_fma_f32 v[124:125], v[216:217], v[192:193], v[124:125] neg_lo:[0,0,1] neg_hi:[0,0,1]
	v_pk_add_f32 v[122:123], v[122:123], v[132:133]
	s_delay_alu instid0(VALU_DEP_3)
	v_mov_b32_e32 v125, v127
	s_set_vgpr_msb 5                        ;  msbs: dst=0 src0=1 src1=1 src2=0
	v_pk_fma_f32 v[126:127], v[14:15] /*v[270:271]*/, v[10:11] /*v[266:267]*/, v[130:131] op_sel_hi:[1,0,1]
	s_set_vgpr_msb 0                        ;  msbs: dst=0 src0=0 src1=0 src2=0
	v_pk_add_f32 v[122:123], v[122:123], v[128:129]
	s_set_vgpr_msb 5                        ;  msbs: dst=0 src0=1 src1=1 src2=0
	v_pk_fma_f32 v[128:129], v[14:15] /*v[270:271]*/, v[10:11] /*v[266:267]*/, v[130:131] neg_lo:[0,0,1] neg_hi:[0,0,1]
	s_set_vgpr_msb 0                        ;  msbs: dst=0 src0=0 src1=0 src2=0
	v_mov_b32_e32 v129, v127
	v_pk_add_f32 v[122:123], v[122:123], v[124:125]
	s_delay_alu instid0(VALU_DEP_1) | instskip(SKIP_2) | instid1(VALU_DEP_1)
	v_pk_add_f32 v[122:123], v[122:123], v[128:129]
	s_wait_loadcnt 0x0
	s_set_vgpr_msb 1                        ;  msbs: dst=0 src0=1 src1=0 src2=0
	v_pk_add_f32 v[122:123], v[12:13] /*v[268:269]*/, v[122:123] neg_lo:[0,1] neg_hi:[0,1]
	scratch_store_b64 off, v[122:123], off offset:176
	s_wait_xcnt 0x0
	v_cmpx_lt_u32_e32 21, v0
	s_set_vgpr_msb 0                        ;  msbs: dst=0 src0=0 src1=0 src2=0
	s_cbranch_execz .LBB123_331
; %bb.330:
	scratch_load_b64 v[122:123], off, off offset:168
	v_mov_b64_e32 v[124:125], 0
	scratch_store_b64 off, v[124:125], off offset:168
	s_wait_loadcnt 0x0
	ds_store_b64 v1, v[122:123]
.LBB123_331:
	s_wait_xcnt 0x0
	s_or_b32 exec_lo, exec_lo, s0
	s_wait_storecnt_dscnt 0x0
	s_barrier_signal -1
	s_barrier_wait -1
	ds_load_b128 v[122:125], v7 offset:656
	ds_load_b128 v[126:129], v7 offset:672
	;; [unrolled: 1-line block ×4, first 2 shown]
	s_clause 0xe
	scratch_load_b128 v[138:141], off, off offset:176
	scratch_load_b128 v[142:145], off, off offset:192
	;; [unrolled: 1-line block ×15, first 2 shown]
	ds_load_b128 v[154:157], v7 offset:720
	ds_load_b128 v[162:165], v7 offset:736
	;; [unrolled: 1-line block ×11, first 2 shown]
	s_clause 0x3
	scratch_load_b128 v[242:245], off, off offset:416
	scratch_load_b128 v[246:249], off, off offset:432
	;; [unrolled: 1-line block ×4, first 2 shown]
	s_mov_b32 s0, exec_lo
	s_wait_loadcnt_dscnt 0x120e
	v_dual_mul_f32 v9, v122, v139 :: v_dual_mul_f32 v11, v124, v141
	s_delay_alu instid0(VALU_DEP_1) | instskip(NEXT) | instid1(VALU_DEP_1)
	v_dual_fmac_f32 v9, v123, v138 :: v_dual_fmac_f32 v11, v125, v140
	v_add_f32_e32 v9, 0, v9
	s_wait_loadcnt_dscnt 0x408
	s_set_vgpr_msb 64                       ;  msbs: dst=1 src0=0 src1=0 src2=0
	v_dual_mul_f32 v5 /*v261*/, v234, v239 :: v_dual_mul_f32 v7 /*v263*/, v236, v241
	s_set_vgpr_msb 0                        ;  msbs: dst=0 src0=0 src1=0 src2=0
	v_add_f32_e32 v9, v9, v11
	v_mul_f32_e32 v11, v126, v143
	s_set_vgpr_msb 64                       ;  msbs: dst=1 src0=0 src1=0 src2=0
	v_dual_fmac_f32 v5 /*v261*/, v235, v238 :: v_dual_fmac_f32 v7 /*v263*/, v237, v240
	s_set_vgpr_msb 0                        ;  msbs: dst=0 src0=0 src1=0 src2=0
	s_delay_alu instid0(VALU_DEP_2) | instskip(NEXT) | instid1(VALU_DEP_1)
	v_fmac_f32_e32 v11, v127, v142
	v_dual_add_f32 v9, v9, v11 :: v_dual_mul_f32 v11, v128, v145
	s_delay_alu instid0(VALU_DEP_1) | instskip(NEXT) | instid1(VALU_DEP_1)
	v_fmac_f32_e32 v11, v129, v144
	v_add_f32_e32 v9, v9, v11
	v_mul_f32_e32 v11, v130, v147
	s_delay_alu instid0(VALU_DEP_1) | instskip(NEXT) | instid1(VALU_DEP_1)
	v_fmac_f32_e32 v11, v131, v146
	v_dual_add_f32 v9, v9, v11 :: v_dual_mul_f32 v11, v132, v149
	s_delay_alu instid0(VALU_DEP_1) | instskip(NEXT) | instid1(VALU_DEP_1)
	v_fmac_f32_e32 v11, v133, v148
	v_add_f32_e32 v9, v9, v11
	v_mul_f32_e32 v11, v134, v151
	s_delay_alu instid0(VALU_DEP_1) | instskip(NEXT) | instid1(VALU_DEP_1)
	;; [unrolled: 7-line block ×4, first 2 shown]
	v_fmac_f32_e32 v11, v163, v166
	v_dual_add_f32 v9, v9, v11 :: v_dual_mul_f32 v11, v164, v169
	s_delay_alu instid0(VALU_DEP_1) | instskip(NEXT) | instid1(VALU_DEP_1)
	v_fmac_f32_e32 v11, v165, v168
	v_add_f32_e32 v9, v9, v11
	s_wait_dscnt 0x7
	v_mul_f32_e32 v11, v170, v175
	s_delay_alu instid0(VALU_DEP_1) | instskip(NEXT) | instid1(VALU_DEP_1)
	v_fmac_f32_e32 v11, v171, v174
	v_dual_add_f32 v9, v9, v11 :: v_dual_mul_f32 v11, v172, v177
	s_delay_alu instid0(VALU_DEP_1) | instskip(NEXT) | instid1(VALU_DEP_1)
	v_fmac_f32_e32 v11, v173, v176
	v_add_f32_e32 v9, v9, v11
	s_wait_dscnt 0x6
	v_mul_f32_e32 v11, v178, v183
	s_delay_alu instid0(VALU_DEP_1) | instskip(NEXT) | instid1(VALU_DEP_1)
	;; [unrolled: 8-line block ×8, first 2 shown]
	v_fmac_f32_e32 v11, v227, v230
	v_dual_add_f32 v9, v9, v11 :: v_dual_mul_f32 v11, v228, v233
	s_delay_alu instid0(VALU_DEP_1) | instskip(SKIP_1) | instid1(VALU_DEP_1)
	v_fmac_f32_e32 v11, v229, v232
	s_set_vgpr_msb 64                       ;  msbs: dst=1 src0=0 src1=0 src2=0
	v_add_f32_e32 v3 /*v259*/, v9, v11
	s_set_vgpr_msb 0                        ;  msbs: dst=0 src0=0 src1=0 src2=0
	v_dual_mul_f32 v9, v123, v139 :: v_dual_mul_f32 v11, v125, v141
	s_delay_alu instid0(VALU_DEP_1) | instskip(NEXT) | instid1(VALU_DEP_1)
	v_dual_fma_f32 v9, v122, v138, -v9 :: v_dual_fma_f32 v11, v124, v140, -v11
	v_add_f32_e32 v9, 0, v9
	s_delay_alu instid0(VALU_DEP_1) | instskip(SKIP_1) | instid1(VALU_DEP_1)
	v_add_f32_e32 v9, v9, v11
	v_mul_f32_e32 v11, v127, v143
	v_fma_f32 v11, v126, v142, -v11
	s_delay_alu instid0(VALU_DEP_1) | instskip(SKIP_1) | instid1(VALU_DEP_1)
	v_add_f32_e32 v9, v9, v11
	v_mul_f32_e32 v11, v129, v145
	v_fma_f32 v11, v128, v144, -v11
	;; [unrolled: 4-line block ×6, first 2 shown]
	ds_load_b128 v[122:125], v7 offset:896
	ds_load_b128 v[126:129], v7 offset:912
	;; [unrolled: 1-line block ×4, first 2 shown]
	v_add_f32_e32 v9, v9, v11
	v_mul_f32_e32 v11, v155, v159
	s_delay_alu instid0(VALU_DEP_1) | instskip(NEXT) | instid1(VALU_DEP_1)
	v_fma_f32 v11, v154, v158, -v11
	v_add_f32_e32 v9, v9, v11
	v_mul_f32_e32 v11, v157, v161
	s_wait_loadcnt_dscnt 0x303
	v_pk_mul_f32 v[140:141], v[122:123], v[242:243] op_sel:[1,1] op_sel_hi:[0,1]
	s_delay_alu instid0(VALU_DEP_2) | instskip(NEXT) | instid1(VALU_DEP_2)
	v_fma_f32 v11, v156, v160, -v11
	v_pk_fma_f32 v[142:143], v[122:123], v[242:243], v[140:141] neg_lo:[0,0,1] neg_hi:[0,0,1]
	v_pk_fma_f32 v[122:123], v[122:123], v[242:243], v[140:141] op_sel_hi:[1,0,1]
	v_mov_b32_e32 v140, v245
	s_delay_alu instid0(VALU_DEP_4) | instskip(SKIP_1) | instid1(VALU_DEP_1)
	v_add_f32_e32 v9, v9, v11
	v_mul_f32_e32 v11, v163, v167
	v_dual_mov_b32 v143, v123 :: v_dual_fma_f32 v11, v162, v166, -v11
	s_delay_alu instid0(VALU_DEP_1) | instskip(SKIP_1) | instid1(VALU_DEP_1)
	v_add_f32_e32 v9, v9, v11
	v_mul_f32_e32 v11, v165, v169
	v_fma_f32 v11, v164, v168, -v11
	s_delay_alu instid0(VALU_DEP_1) | instskip(SKIP_1) | instid1(VALU_DEP_1)
	v_add_f32_e32 v9, v9, v11
	v_mul_f32_e32 v11, v171, v175
	v_fma_f32 v11, v170, v174, -v11
	;; [unrolled: 4-line block ×17, first 2 shown]
	s_set_vgpr_msb 64                       ;  msbs: dst=1 src0=0 src1=0 src2=0
	s_delay_alu instid0(VALU_DEP_1) | instskip(SKIP_3) | instid1(VALU_DEP_1)
	v_add_f32_e32 v2 /*v258*/, v9, v11
	s_set_vgpr_msb 0                        ;  msbs: dst=0 src0=0 src1=0 src2=0
	v_mul_f32_e32 v9, v235, v239
	s_set_vgpr_msb 64                       ;  msbs: dst=1 src0=0 src1=0 src2=0
	v_fma_f32 v4 /*v260*/, v234, v238, -v9
	s_set_vgpr_msb 0                        ;  msbs: dst=0 src0=0 src1=0 src2=0
	v_mul_f32_e32 v9, v237, v241
	s_set_vgpr_msb 5                        ;  msbs: dst=0 src0=1 src1=1 src2=0
	s_delay_alu instid0(VALU_DEP_2) | instskip(SKIP_1) | instid1(VALU_DEP_2)
	v_pk_add_f32 v[138:139], v[2:3] /*v[258:259]*/, v[4:5] /*v[260:261]*/
	s_set_vgpr_msb 64                       ;  msbs: dst=1 src0=0 src1=0 src2=0
	v_fma_f32 v6 /*v262*/, v236, v240, -v9
	s_set_vgpr_msb 4                        ;  msbs: dst=0 src0=0 src1=1 src2=0
	s_delay_alu instid0(VALU_DEP_1) | instskip(SKIP_1) | instid1(VALU_DEP_1)
	v_pk_add_f32 v[138:139], v[138:139], v[6:7] /*v[262:263]*/
	s_set_vgpr_msb 0                        ;  msbs: dst=0 src0=0 src1=0 src2=0
	v_pk_add_f32 v[122:123], v[138:139], v[142:143]
	v_dual_mov_b32 v138, v125 :: v_dual_mov_b32 v139, v124
	s_delay_alu instid0(VALU_DEP_1) | instskip(NEXT) | instid1(VALU_DEP_1)
	v_pk_mul_f32 v[138:139], v[138:139], v[140:141] op_sel_hi:[1,0]
	v_pk_fma_f32 v[140:141], v[124:125], v[244:245], v[138:139] neg_lo:[0,0,1] neg_hi:[0,0,1]
	v_pk_fma_f32 v[124:125], v[124:125], v[244:245], v[138:139] op_sel_hi:[1,0,1]
	s_delay_alu instid0(VALU_DEP_1) | instskip(SKIP_2) | instid1(VALU_DEP_2)
	v_mov_b32_e32 v141, v125
	s_wait_loadcnt_dscnt 0x202
	v_pk_mul_f32 v[124:125], v[126:127], v[246:247] op_sel:[1,1] op_sel_hi:[0,1]
	v_pk_add_f32 v[122:123], v[122:123], v[140:141]
	s_delay_alu instid0(VALU_DEP_2) | instskip(SKIP_2) | instid1(VALU_DEP_2)
	v_pk_fma_f32 v[138:139], v[126:127], v[246:247], v[124:125] neg_lo:[0,0,1] neg_hi:[0,0,1]
	v_pk_fma_f32 v[124:125], v[126:127], v[246:247], v[124:125] op_sel_hi:[1,0,1]
	v_dual_mov_b32 v124, v129 :: v_dual_mov_b32 v126, v249
	v_dual_mov_b32 v139, v125 :: v_dual_mov_b32 v125, v128
	s_delay_alu instid0(VALU_DEP_1) | instskip(NEXT) | instid1(VALU_DEP_2)
	v_pk_add_f32 v[122:123], v[122:123], v[138:139]
	v_pk_mul_f32 v[124:125], v[124:125], v[126:127] op_sel_hi:[1,0]
	s_delay_alu instid0(VALU_DEP_1) | instskip(SKIP_1) | instid1(VALU_DEP_1)
	v_pk_fma_f32 v[126:127], v[128:129], v[248:249], v[124:125] neg_lo:[0,0,1] neg_hi:[0,0,1]
	v_pk_fma_f32 v[124:125], v[128:129], v[248:249], v[124:125] op_sel_hi:[1,0,1]
	v_mov_b32_e32 v127, v125
	s_wait_loadcnt_dscnt 0x101
	v_pk_mul_f32 v[124:125], v[130:131], v[250:251] op_sel:[1,1] op_sel_hi:[0,1]
	s_delay_alu instid0(VALU_DEP_2) | instskip(NEXT) | instid1(VALU_DEP_2)
	v_pk_add_f32 v[122:123], v[122:123], v[126:127]
	v_pk_fma_f32 v[126:127], v[130:131], v[250:251], v[124:125] neg_lo:[0,0,1] neg_hi:[0,0,1]
	v_pk_fma_f32 v[124:125], v[130:131], v[250:251], v[124:125] op_sel_hi:[1,0,1]
	s_delay_alu instid0(VALU_DEP_1) | instskip(SKIP_1) | instid1(VALU_DEP_2)
	v_dual_mov_b32 v124, v133 :: v_dual_mov_b32 v127, v125
	v_mov_b32_e32 v125, v132
	v_pk_add_f32 v[122:123], v[122:123], v[126:127]
	v_mov_b32_e32 v126, v253
	s_delay_alu instid0(VALU_DEP_1) | instskip(NEXT) | instid1(VALU_DEP_1)
	v_pk_mul_f32 v[124:125], v[124:125], v[126:127] op_sel_hi:[1,0]
	v_pk_fma_f32 v[126:127], v[132:133], v[252:253], v[124:125] neg_lo:[0,0,1] neg_hi:[0,0,1]
	v_pk_fma_f32 v[124:125], v[132:133], v[252:253], v[124:125] op_sel_hi:[1,0,1]
	s_delay_alu instid0(VALU_DEP_1) | instskip(SKIP_2) | instid1(VALU_DEP_2)
	v_mov_b32_e32 v127, v125
	s_wait_loadcnt_dscnt 0x0
	v_pk_mul_f32 v[124:125], v[134:135], v[254:255] op_sel:[1,1] op_sel_hi:[0,1]
	v_pk_add_f32 v[122:123], v[122:123], v[126:127]
	s_delay_alu instid0(VALU_DEP_2) | instskip(SKIP_1) | instid1(VALU_DEP_1)
	v_pk_fma_f32 v[126:127], v[134:135], v[254:255], v[124:125] neg_lo:[0,0,1] neg_hi:[0,0,1]
	v_pk_fma_f32 v[124:125], v[134:135], v[254:255], v[124:125] op_sel_hi:[1,0,1]
	v_dual_mov_b32 v124, v137 :: v_dual_mov_b32 v127, v125
	v_mov_b32_e32 v125, v136
	s_delay_alu instid0(VALU_DEP_2) | instskip(SKIP_3) | instid1(VALU_DEP_1)
	v_pk_add_f32 v[122:123], v[122:123], v[126:127]
	s_set_vgpr_msb 1                        ;  msbs: dst=0 src0=1 src1=0 src2=0
	v_mov_b32_e32 v126, v1 /*v257*/
	s_set_vgpr_msb 0                        ;  msbs: dst=0 src0=0 src1=0 src2=0
	v_pk_mul_f32 v[124:125], v[124:125], v[126:127] op_sel_hi:[1,0]
	s_set_vgpr_msb 4                        ;  msbs: dst=0 src0=0 src1=1 src2=0
	s_delay_alu instid0(VALU_DEP_1) | instskip(SKIP_1) | instid1(VALU_DEP_1)
	v_pk_fma_f32 v[126:127], v[136:137], v[0:1] /*v[256:257]*/, v[124:125] neg_lo:[0,0,1] neg_hi:[0,0,1]
	v_pk_fma_f32 v[124:125], v[136:137], v[0:1] /*v[256:257]*/, v[124:125] op_sel_hi:[1,0,1]
	v_mov_b32_e32 v127, v125
	scratch_load_b64 v[124:125], off, off offset:168
	s_set_vgpr_msb 0                        ;  msbs: dst=0 src0=0 src1=0 src2=0
	v_pk_add_f32 v[122:123], v[122:123], v[126:127]
	s_wait_loadcnt 0x0
	s_delay_alu instid0(VALU_DEP_1)
	v_pk_add_f32 v[122:123], v[124:125], v[122:123] neg_lo:[0,1] neg_hi:[0,1]
	scratch_store_b64 off, v[122:123], off offset:168
	s_wait_xcnt 0x0
	v_cmpx_lt_u32_e32 20, v0
	s_cbranch_execz .LBB123_333
; %bb.332:
	scratch_load_b64 v[122:123], off, off offset:160
	v_mov_b64_e32 v[124:125], 0
	scratch_store_b64 off, v[124:125], off offset:160
	s_wait_loadcnt 0x0
	ds_store_b64 v1, v[122:123]
.LBB123_333:
	s_wait_xcnt 0x0
	s_or_b32 exec_lo, exec_lo, s0
	s_wait_storecnt_dscnt 0x0
	s_barrier_signal -1
	s_barrier_wait -1
	s_clause 0xf
	scratch_load_b128 v[126:129], off, off offset:168
	scratch_load_b128 v[134:137], off, off offset:184
	;; [unrolled: 1-line block ×16, first 2 shown]
	v_mov_b32_e32 v7, 0
	s_mov_b32 s0, exec_lo
	ds_load_2addr_b64 v[122:125], v7 offset0:81 offset1:82
	ds_load_2addr_b64 v[130:133], v7 offset0:83 offset1:84
	s_wait_loadcnt_dscnt 0xf01
	v_dual_mul_f32 v9, v122, v127 :: v_dual_mul_f32 v11, v124, v129
	ds_load_2addr_b64 v[138:141], v7 offset0:85 offset1:86
	ds_load_2addr_b64 v[146:149], v7 offset0:87 offset1:88
	;; [unrolled: 1-line block ×4, first 2 shown]
	v_dual_fmac_f32 v9, v123, v126 :: v_dual_fmac_f32 v11, v125, v128
	ds_load_2addr_b64 v[154:157], v7 offset0:89 offset1:90
	ds_load_2addr_b64 v[162:165], v7 offset0:91 offset1:92
	;; [unrolled: 1-line block ×4, first 2 shown]
	v_add_f32_e32 v9, 0, v9
	ds_load_2addr_b64 v[186:189], v7 offset0:97 offset1:98
	ds_load_2addr_b64 v[194:197], v7 offset0:99 offset1:100
	;; [unrolled: 1-line block ×4, first 2 shown]
	v_add_f32_e32 v9, v9, v11
	s_wait_loadcnt_dscnt 0xe0c
	v_mul_f32_e32 v11, v130, v135
	ds_load_2addr_b64 v[218:221], v7 offset0:105 offset1:106
	ds_load_2addr_b64 v[226:229], v7 offset0:107 offset1:108
	s_clause 0x4
	scratch_load_b128 v[250:253], off, off offset:424
	scratch_load_b128 v[254:257], off, off offset:440
	s_set_vgpr_msb 64                       ;  msbs: dst=1 src0=0 src1=0 src2=0
	scratch_load_b128 v[2:5] /*v[258:261]*/, off, off offset:456
	scratch_load_b64 v[12:13] /*v[268:269]*/, off, off offset:472
	s_set_vgpr_msb 0                        ;  msbs: dst=0 src0=0 src1=0 src2=0
	v_fmac_f32_e32 v11, v131, v134
	s_wait_loadcnt_dscnt 0x40a
	s_set_vgpr_msb 64                       ;  msbs: dst=1 src0=0 src1=0 src2=0
	v_dual_mul_f32 v9 /*v265*/, v236, v241 :: v_dual_mul_f32 v11 /*v267*/, v242, v247
	s_set_vgpr_msb 0                        ;  msbs: dst=0 src0=0 src1=0 src2=0
	v_dual_add_f32 v9, v9, v11 :: v_dual_mul_f32 v11, v132, v137
	s_set_vgpr_msb 64                       ;  msbs: dst=1 src0=0 src1=0 src2=0
	s_delay_alu instid0(VALU_DEP_2) | instskip(SKIP_1) | instid1(VALU_DEP_2)
	v_fmac_f32_e32 v9 /*v265*/, v237, v240
	s_set_vgpr_msb 0                        ;  msbs: dst=0 src0=0 src1=0 src2=0
	v_fmac_f32_e32 v11, v133, v136
	s_delay_alu instid0(VALU_DEP_1) | instskip(SKIP_1) | instid1(VALU_DEP_1)
	v_add_f32_e32 v9, v9, v11
	v_mul_f32_e32 v11, v138, v143
	v_fmac_f32_e32 v11, v139, v142
	s_delay_alu instid0(VALU_DEP_1) | instskip(NEXT) | instid1(VALU_DEP_1)
	v_dual_add_f32 v9, v9, v11 :: v_dual_mul_f32 v11, v140, v145
	v_fmac_f32_e32 v11, v141, v144
	s_delay_alu instid0(VALU_DEP_1) | instskip(SKIP_1) | instid1(VALU_DEP_1)
	v_add_f32_e32 v9, v9, v11
	v_mul_f32_e32 v11, v146, v151
	v_fmac_f32_e32 v11, v147, v150
	s_delay_alu instid0(VALU_DEP_1) | instskip(NEXT) | instid1(VALU_DEP_1)
	v_dual_add_f32 v9, v9, v11 :: v_dual_mul_f32 v11, v148, v153
	v_fmac_f32_e32 v11, v149, v152
	s_delay_alu instid0(VALU_DEP_1) | instskip(SKIP_2) | instid1(VALU_DEP_1)
	v_add_f32_e32 v9, v9, v11
	s_wait_dscnt 0x9
	v_mul_f32_e32 v11, v154, v159
	v_fmac_f32_e32 v11, v155, v158
	s_delay_alu instid0(VALU_DEP_1) | instskip(NEXT) | instid1(VALU_DEP_1)
	v_dual_add_f32 v9, v9, v11 :: v_dual_mul_f32 v11, v156, v161
	v_fmac_f32_e32 v11, v157, v160
	s_delay_alu instid0(VALU_DEP_1) | instskip(SKIP_2) | instid1(VALU_DEP_1)
	v_add_f32_e32 v9, v9, v11
	s_wait_dscnt 0x8
	;; [unrolled: 8-line block ×10, first 2 shown]
	v_mul_f32_e32 v11, v226, v231
	v_fmac_f32_e32 v11, v227, v230
	s_delay_alu instid0(VALU_DEP_1) | instskip(NEXT) | instid1(VALU_DEP_1)
	v_dual_add_f32 v9, v9, v11 :: v_dual_mul_f32 v11, v228, v233
	v_fmac_f32_e32 v11, v229, v232
	s_delay_alu instid0(VALU_DEP_1) | instskip(SKIP_1) | instid1(VALU_DEP_1)
	v_add_f32_e32 v9, v9, v11
	v_mul_f32_e32 v11, v234, v239
	v_fmac_f32_e32 v11, v235, v238
	s_set_vgpr_msb 64                       ;  msbs: dst=1 src0=0 src1=0 src2=0
	s_delay_alu instid0(VALU_DEP_1) | instskip(SKIP_2) | instid1(VALU_DEP_1)
	v_add_f32_e32 v7 /*v263*/, v9, v11
	s_set_vgpr_msb 0                        ;  msbs: dst=0 src0=0 src1=0 src2=0
	v_dual_mul_f32 v9, v123, v127 :: v_dual_mul_f32 v11, v125, v129
	v_dual_fma_f32 v9, v122, v126, -v9 :: v_dual_fma_f32 v11, v124, v128, -v11
	s_delay_alu instid0(VALU_DEP_1) | instskip(NEXT) | instid1(VALU_DEP_1)
	v_add_f32_e32 v9, 0, v9
	v_add_f32_e32 v9, v9, v11
	v_mul_f32_e32 v11, v131, v135
	s_delay_alu instid0(VALU_DEP_1) | instskip(NEXT) | instid1(VALU_DEP_1)
	v_fma_f32 v11, v130, v134, -v11
	v_add_f32_e32 v9, v9, v11
	v_mul_f32_e32 v11, v133, v137
	s_delay_alu instid0(VALU_DEP_1)
	v_fma_f32 v11, v132, v136, -v11
	ds_load_2addr_b64 v[122:125], v7 offset0:113 offset1:114
	ds_load_2addr_b64 v[126:129], v7 offset0:115 offset1:116
	;; [unrolled: 1-line block ×3, first 2 shown]
	ds_load_b64 v[134:135], v7 offset:952
	v_add_f32_e32 v9, v9, v11
	v_dual_mul_f32 v11, v139, v143 :: v_dual_mov_b32 v139, v244
	s_delay_alu instid0(VALU_DEP_1) | instskip(NEXT) | instid1(VALU_DEP_1)
	v_dual_fma_f32 v11, v138, v142, -v11 :: v_dual_mov_b32 v138, v245
	v_add_f32_e32 v9, v9, v11
	v_mul_f32_e32 v11, v141, v145
	s_delay_alu instid0(VALU_DEP_1) | instskip(NEXT) | instid1(VALU_DEP_1)
	v_dual_fma_f32 v11, v140, v144, -v11 :: v_dual_mov_b32 v140, v249
	v_add_f32_e32 v9, v9, v11
	v_mul_f32_e32 v11, v147, v151
	s_delay_alu instid0(VALU_DEP_3) | instskip(NEXT) | instid1(VALU_DEP_2)
	v_pk_mul_f32 v[138:139], v[138:139], v[140:141] op_sel_hi:[1,0]
	v_fma_f32 v11, v146, v150, -v11
	s_delay_alu instid0(VALU_DEP_2) | instskip(SKIP_1) | instid1(VALU_DEP_3)
	v_pk_fma_f32 v[140:141], v[244:245], v[248:249], v[138:139] neg_lo:[0,0,1] neg_hi:[0,0,1]
	v_pk_fma_f32 v[138:139], v[244:245], v[248:249], v[138:139] op_sel_hi:[1,0,1]
	v_add_f32_e32 v9, v9, v11
	s_delay_alu instid0(VALU_DEP_2) | instskip(SKIP_2) | instid1(VALU_DEP_2)
	v_dual_mul_f32 v11, v149, v153 :: v_dual_mov_b32 v141, v139
	s_wait_loadcnt_dscnt 0x303
	v_pk_mul_f32 v[138:139], v[122:123], v[250:251] op_sel:[1,1] op_sel_hi:[0,1]
	v_fma_f32 v11, v148, v152, -v11
	s_delay_alu instid0(VALU_DEP_1) | instskip(SKIP_1) | instid1(VALU_DEP_1)
	v_add_f32_e32 v9, v9, v11
	v_mul_f32_e32 v11, v155, v159
	v_fma_f32 v11, v154, v158, -v11
	s_delay_alu instid0(VALU_DEP_1) | instskip(SKIP_1) | instid1(VALU_DEP_1)
	v_add_f32_e32 v9, v9, v11
	v_mul_f32_e32 v11, v157, v161
	;; [unrolled: 4-line block ×21, first 2 shown]
	v_fma_f32 v11, v234, v238, -v11
	s_set_vgpr_msb 64                       ;  msbs: dst=1 src0=0 src1=0 src2=0
	s_delay_alu instid0(VALU_DEP_1) | instskip(SKIP_3) | instid1(VALU_DEP_1)
	v_dual_fmac_f32 v11 /*v267*/, v243, v246 :: v_dual_add_f32 v6 /*v262*/, v9, v11
	s_set_vgpr_msb 0                        ;  msbs: dst=0 src0=0 src1=0 src2=0
	v_mul_f32_e32 v9, v237, v241
	s_set_vgpr_msb 64                       ;  msbs: dst=1 src0=0 src1=0 src2=0
	v_fma_f32 v8 /*v264*/, v236, v240, -v9
	s_set_vgpr_msb 0                        ;  msbs: dst=0 src0=0 src1=0 src2=0
	v_mul_f32_e32 v9, v243, v247
	s_set_vgpr_msb 64                       ;  msbs: dst=1 src0=0 src1=0 src2=0
	s_delay_alu instid0(VALU_DEP_1) | instskip(SKIP_3) | instid1(VALU_DEP_1)
	v_fma_f32 v10 /*v266*/, v242, v246, -v9
	s_set_vgpr_msb 5                        ;  msbs: dst=0 src0=1 src1=1 src2=0
	v_pk_add_f32 v[136:137], v[6:7] /*v[262:263]*/, v[8:9] /*v[264:265]*/
	s_set_vgpr_msb 4                        ;  msbs: dst=0 src0=0 src1=1 src2=0
	v_pk_add_f32 v[136:137], v[136:137], v[10:11] /*v[266:267]*/
	s_set_vgpr_msb 0                        ;  msbs: dst=0 src0=0 src1=0 src2=0
	s_delay_alu instid0(VALU_DEP_1) | instskip(SKIP_2) | instid1(VALU_DEP_1)
	v_pk_add_f32 v[136:137], v[136:137], v[140:141]
	v_pk_fma_f32 v[140:141], v[122:123], v[250:251], v[138:139] neg_lo:[0,0,1] neg_hi:[0,0,1]
	v_pk_fma_f32 v[122:123], v[122:123], v[250:251], v[138:139] op_sel_hi:[1,0,1]
	v_dual_mov_b32 v138, v253 :: v_dual_mov_b32 v141, v123
	s_delay_alu instid0(VALU_DEP_1) | instskip(SKIP_1) | instid1(VALU_DEP_1)
	v_pk_add_f32 v[122:123], v[136:137], v[140:141]
	v_dual_mov_b32 v136, v125 :: v_dual_mov_b32 v137, v124
	v_pk_mul_f32 v[136:137], v[136:137], v[138:139] op_sel_hi:[1,0]
	s_delay_alu instid0(VALU_DEP_1) | instskip(SKIP_1) | instid1(VALU_DEP_1)
	v_pk_fma_f32 v[138:139], v[124:125], v[252:253], v[136:137] neg_lo:[0,0,1] neg_hi:[0,0,1]
	v_pk_fma_f32 v[124:125], v[124:125], v[252:253], v[136:137] op_sel_hi:[1,0,1]
	v_mov_b32_e32 v139, v125
	s_wait_loadcnt_dscnt 0x202
	v_pk_mul_f32 v[124:125], v[126:127], v[254:255] op_sel:[1,1] op_sel_hi:[0,1]
	s_delay_alu instid0(VALU_DEP_2) | instskip(NEXT) | instid1(VALU_DEP_2)
	v_pk_add_f32 v[122:123], v[122:123], v[138:139]
	v_pk_fma_f32 v[136:137], v[126:127], v[254:255], v[124:125] neg_lo:[0,0,1] neg_hi:[0,0,1]
	v_pk_fma_f32 v[124:125], v[126:127], v[254:255], v[124:125] op_sel_hi:[1,0,1]
	v_mov_b32_e32 v124, v129
	s_set_vgpr_msb 1                        ;  msbs: dst=0 src0=1 src1=0 src2=0
	v_mov_b32_e32 v126, v1 /*v257*/
	s_set_vgpr_msb 0                        ;  msbs: dst=0 src0=0 src1=0 src2=0
	v_dual_mov_b32 v137, v125 :: v_dual_mov_b32 v125, v128
	s_delay_alu instid0(VALU_DEP_1) | instskip(NEXT) | instid1(VALU_DEP_2)
	v_pk_add_f32 v[122:123], v[122:123], v[136:137]
	v_pk_mul_f32 v[124:125], v[124:125], v[126:127] op_sel_hi:[1,0]
	s_set_vgpr_msb 4                        ;  msbs: dst=0 src0=0 src1=1 src2=0
	s_delay_alu instid0(VALU_DEP_1) | instskip(SKIP_1) | instid1(VALU_DEP_1)
	v_pk_fma_f32 v[126:127], v[128:129], v[0:1] /*v[256:257]*/, v[124:125] neg_lo:[0,0,1] neg_hi:[0,0,1]
	v_pk_fma_f32 v[124:125], v[128:129], v[0:1] /*v[256:257]*/, v[124:125] op_sel_hi:[1,0,1]
	v_mov_b32_e32 v127, v125
	s_wait_loadcnt_dscnt 0x101
	v_pk_mul_f32 v[124:125], v[130:131], v[2:3] /*v[258:259]*/ op_sel:[1,1] op_sel_hi:[0,1]
	s_set_vgpr_msb 0                        ;  msbs: dst=0 src0=0 src1=0 src2=0
	s_delay_alu instid0(VALU_DEP_2) | instskip(SKIP_1) | instid1(VALU_DEP_2)
	v_pk_add_f32 v[122:123], v[122:123], v[126:127]
	s_set_vgpr_msb 4                        ;  msbs: dst=0 src0=0 src1=1 src2=0
	v_pk_fma_f32 v[126:127], v[130:131], v[2:3] /*v[258:259]*/, v[124:125] neg_lo:[0,0,1] neg_hi:[0,0,1]
	v_pk_fma_f32 v[124:125], v[130:131], v[2:3] /*v[258:259]*/, v[124:125] op_sel_hi:[1,0,1]
	s_delay_alu instid0(VALU_DEP_1) | instskip(SKIP_2) | instid1(VALU_DEP_2)
	v_dual_mov_b32 v124, v133 :: v_dual_mov_b32 v127, v125
	v_mov_b32_e32 v125, v132
	s_set_vgpr_msb 0                        ;  msbs: dst=0 src0=0 src1=0 src2=0
	v_pk_add_f32 v[122:123], v[122:123], v[126:127]
	s_set_vgpr_msb 1                        ;  msbs: dst=0 src0=1 src1=0 src2=0
	v_mov_b32_e32 v126, v5 /*v261*/
	s_set_vgpr_msb 0                        ;  msbs: dst=0 src0=0 src1=0 src2=0
	s_delay_alu instid0(VALU_DEP_1) | instskip(SKIP_1) | instid1(VALU_DEP_1)
	v_pk_mul_f32 v[124:125], v[124:125], v[126:127] op_sel_hi:[1,0]
	s_set_vgpr_msb 4                        ;  msbs: dst=0 src0=0 src1=1 src2=0
	v_pk_fma_f32 v[126:127], v[132:133], v[4:5] /*v[260:261]*/, v[124:125] neg_lo:[0,0,1] neg_hi:[0,0,1]
	v_pk_fma_f32 v[124:125], v[132:133], v[4:5] /*v[260:261]*/, v[124:125] op_sel_hi:[1,0,1]
	s_delay_alu instid0(VALU_DEP_1) | instskip(SKIP_3) | instid1(VALU_DEP_2)
	v_mov_b32_e32 v127, v125
	s_wait_loadcnt_dscnt 0x0
	v_pk_mul_f32 v[124:125], v[134:135], v[12:13] /*v[268:269]*/ op_sel:[1,1] op_sel_hi:[0,1]
	s_set_vgpr_msb 0                        ;  msbs: dst=0 src0=0 src1=0 src2=0
	v_pk_add_f32 v[122:123], v[122:123], v[126:127]
	s_set_vgpr_msb 4                        ;  msbs: dst=0 src0=0 src1=1 src2=0
	s_delay_alu instid0(VALU_DEP_2) | instskip(SKIP_1) | instid1(VALU_DEP_1)
	v_pk_fma_f32 v[126:127], v[134:135], v[12:13] /*v[268:269]*/, v[124:125] neg_lo:[0,0,1] neg_hi:[0,0,1]
	v_pk_fma_f32 v[124:125], v[134:135], v[12:13] /*v[268:269]*/, v[124:125] op_sel_hi:[1,0,1]
	v_mov_b32_e32 v127, v125
	scratch_load_b64 v[124:125], off, off offset:160
	s_set_vgpr_msb 0                        ;  msbs: dst=0 src0=0 src1=0 src2=0
	v_pk_add_f32 v[122:123], v[122:123], v[126:127]
	s_wait_loadcnt 0x0
	s_delay_alu instid0(VALU_DEP_1)
	v_pk_add_f32 v[122:123], v[124:125], v[122:123] neg_lo:[0,1] neg_hi:[0,1]
	scratch_store_b64 off, v[122:123], off offset:160
	s_wait_xcnt 0x0
	v_cmpx_lt_u32_e32 19, v0
	s_cbranch_execz .LBB123_335
; %bb.334:
	scratch_load_b64 v[122:123], off, off offset:152
	v_mov_b64_e32 v[124:125], 0
	scratch_store_b64 off, v[124:125], off offset:152
	s_wait_loadcnt 0x0
	ds_store_b64 v1, v[122:123]
.LBB123_335:
	s_wait_xcnt 0x0
	s_or_b32 exec_lo, exec_lo, s0
	s_wait_storecnt_dscnt 0x0
	s_barrier_signal -1
	s_barrier_wait -1
	ds_load_b128 v[122:125], v7 offset:640
	ds_load_b128 v[126:129], v7 offset:656
	;; [unrolled: 1-line block ×4, first 2 shown]
	s_clause 0xf
	scratch_load_b128 v[138:141], off, off offset:160
	scratch_load_b128 v[142:145], off, off offset:176
	;; [unrolled: 1-line block ×16, first 2 shown]
	ds_load_b128 v[154:157], v7 offset:704
	ds_load_b128 v[162:165], v7 offset:720
	ds_load_b128 v[234:237], v7 offset:864
	ds_load_b128 v[242:245], v7 offset:880
	ds_load_b128 v[170:173], v7 offset:736
	ds_load_b128 v[178:181], v7 offset:752
	ds_load_b128 v[186:189], v7 offset:768
	ds_load_b128 v[194:197], v7 offset:784
	ds_load_b128 v[202:205], v7 offset:800
	ds_load_b128 v[210:213], v7 offset:816
	ds_load_b128 v[218:221], v7 offset:832
	ds_load_b128 v[226:229], v7 offset:848
	s_clause 0x4
	scratch_load_b128 v[250:253], off, off offset:416
	scratch_load_b128 v[254:257], off, off offset:432
	s_set_vgpr_msb 64                       ;  msbs: dst=1 src0=0 src1=0 src2=0
	scratch_load_b128 v[2:5] /*v[258:261]*/, off, off offset:448
	scratch_load_b128 v[6:9] /*v[262:265]*/, off, off offset:464
	s_mov_b32 s0, exec_lo
	s_wait_loadcnt_dscnt 0x130f
	s_set_vgpr_msb 0                        ;  msbs: dst=0 src0=0 src1=0 src2=0
	v_dual_mul_f32 v9, v122, v139 :: v_dual_mul_f32 v11, v124, v141
	s_delay_alu instid0(VALU_DEP_1) | instskip(NEXT) | instid1(VALU_DEP_1)
	v_dual_fmac_f32 v9, v123, v138 :: v_dual_fmac_f32 v11, v125, v140
	v_add_f32_e32 v9, 0, v9
	s_delay_alu instid0(VALU_DEP_1)
	v_add_f32_e32 v9, v9, v11
	s_wait_loadcnt_dscnt 0x120e
	v_mul_f32_e32 v11, v126, v143
	s_wait_loadcnt_dscnt 0x408
	s_set_vgpr_msb 64                       ;  msbs: dst=1 src0=0 src1=0 src2=0
	v_dual_mul_f32 v13 /*v269*/, v242, v247 :: v_dual_mul_f32 v15 /*v271*/, v244, v249
	s_set_vgpr_msb 0                        ;  msbs: dst=0 src0=0 src1=0 src2=0
	v_fmac_f32_e32 v11, v127, v142
	s_set_vgpr_msb 64                       ;  msbs: dst=1 src0=0 src1=0 src2=0
	s_delay_alu instid0(VALU_DEP_2) | instskip(SKIP_1) | instid1(VALU_DEP_2)
	v_dual_fmac_f32 v13 /*v269*/, v243, v246 :: v_dual_fmac_f32 v15 /*v271*/, v245, v248
	s_set_vgpr_msb 0                        ;  msbs: dst=0 src0=0 src1=0 src2=0
	v_dual_add_f32 v9, v9, v11 :: v_dual_mul_f32 v11, v128, v145
	s_delay_alu instid0(VALU_DEP_1) | instskip(NEXT) | instid1(VALU_DEP_1)
	v_fmac_f32_e32 v11, v129, v144
	v_add_f32_e32 v9, v9, v11
	v_mul_f32_e32 v11, v130, v147
	s_delay_alu instid0(VALU_DEP_1) | instskip(NEXT) | instid1(VALU_DEP_1)
	v_fmac_f32_e32 v11, v131, v146
	v_dual_add_f32 v9, v9, v11 :: v_dual_mul_f32 v11, v132, v149
	s_delay_alu instid0(VALU_DEP_1) | instskip(NEXT) | instid1(VALU_DEP_1)
	v_fmac_f32_e32 v11, v133, v148
	v_add_f32_e32 v9, v9, v11
	v_mul_f32_e32 v11, v134, v151
	s_delay_alu instid0(VALU_DEP_1) | instskip(NEXT) | instid1(VALU_DEP_1)
	v_fmac_f32_e32 v11, v135, v150
	;; [unrolled: 7-line block ×4, first 2 shown]
	v_dual_add_f32 v9, v9, v11 :: v_dual_mul_f32 v11, v164, v169
	s_delay_alu instid0(VALU_DEP_1) | instskip(NEXT) | instid1(VALU_DEP_1)
	v_fmac_f32_e32 v11, v165, v168
	v_add_f32_e32 v9, v9, v11
	s_wait_dscnt 0x7
	v_mul_f32_e32 v11, v170, v175
	s_delay_alu instid0(VALU_DEP_1) | instskip(NEXT) | instid1(VALU_DEP_1)
	v_fmac_f32_e32 v11, v171, v174
	v_dual_add_f32 v9, v9, v11 :: v_dual_mul_f32 v11, v172, v177
	s_delay_alu instid0(VALU_DEP_1) | instskip(NEXT) | instid1(VALU_DEP_1)
	v_fmac_f32_e32 v11, v173, v176
	v_add_f32_e32 v9, v9, v11
	s_wait_dscnt 0x6
	v_mul_f32_e32 v11, v178, v183
	s_delay_alu instid0(VALU_DEP_1) | instskip(NEXT) | instid1(VALU_DEP_1)
	v_fmac_f32_e32 v11, v179, v182
	;; [unrolled: 8-line block ×8, first 2 shown]
	v_dual_add_f32 v9, v9, v11 :: v_dual_mul_f32 v11, v228, v233
	s_delay_alu instid0(VALU_DEP_1) | instskip(NEXT) | instid1(VALU_DEP_1)
	v_fmac_f32_e32 v11, v229, v232
	v_add_f32_e32 v9, v9, v11
	v_mul_f32_e32 v11, v234, v239
	s_delay_alu instid0(VALU_DEP_1) | instskip(NEXT) | instid1(VALU_DEP_1)
	v_fmac_f32_e32 v11, v235, v238
	v_dual_add_f32 v9, v9, v11 :: v_dual_mul_f32 v11, v236, v241
	s_delay_alu instid0(VALU_DEP_1) | instskip(SKIP_1) | instid1(VALU_DEP_1)
	v_fmac_f32_e32 v11, v237, v240
	s_set_vgpr_msb 64                       ;  msbs: dst=1 src0=0 src1=0 src2=0
	v_add_f32_e32 v11 /*v267*/, v9, v11
	s_set_vgpr_msb 0                        ;  msbs: dst=0 src0=0 src1=0 src2=0
	v_dual_mul_f32 v9, v123, v139 :: v_dual_mul_f32 v11, v125, v141
	s_delay_alu instid0(VALU_DEP_1) | instskip(NEXT) | instid1(VALU_DEP_1)
	v_dual_fma_f32 v9, v122, v138, -v9 :: v_dual_fma_f32 v11, v124, v140, -v11
	v_add_f32_e32 v9, 0, v9
	s_delay_alu instid0(VALU_DEP_1) | instskip(SKIP_1) | instid1(VALU_DEP_1)
	v_add_f32_e32 v9, v9, v11
	v_mul_f32_e32 v11, v127, v143
	v_fma_f32 v11, v126, v142, -v11
	s_delay_alu instid0(VALU_DEP_1) | instskip(SKIP_1) | instid1(VALU_DEP_1)
	v_add_f32_e32 v9, v9, v11
	v_mul_f32_e32 v11, v129, v145
	v_fma_f32 v11, v128, v144, -v11
	;; [unrolled: 4-line block ×6, first 2 shown]
	ds_load_b128 v[122:125], v7 offset:896
	ds_load_b128 v[126:129], v7 offset:912
	;; [unrolled: 1-line block ×4, first 2 shown]
	v_add_f32_e32 v9, v9, v11
	v_mul_f32_e32 v11, v155, v159
	s_delay_alu instid0(VALU_DEP_1) | instskip(NEXT) | instid1(VALU_DEP_1)
	v_fma_f32 v11, v154, v158, -v11
	v_add_f32_e32 v9, v9, v11
	v_mul_f32_e32 v11, v157, v161
	s_wait_loadcnt_dscnt 0x303
	v_pk_mul_f32 v[140:141], v[122:123], v[250:251] op_sel:[1,1] op_sel_hi:[0,1]
	s_delay_alu instid0(VALU_DEP_2) | instskip(NEXT) | instid1(VALU_DEP_2)
	v_fma_f32 v11, v156, v160, -v11
	v_pk_fma_f32 v[142:143], v[122:123], v[250:251], v[140:141] neg_lo:[0,0,1] neg_hi:[0,0,1]
	v_pk_fma_f32 v[122:123], v[122:123], v[250:251], v[140:141] op_sel_hi:[1,0,1]
	v_mov_b32_e32 v140, v253
	s_delay_alu instid0(VALU_DEP_4) | instskip(SKIP_1) | instid1(VALU_DEP_1)
	v_add_f32_e32 v9, v9, v11
	v_mul_f32_e32 v11, v163, v167
	v_dual_mov_b32 v143, v123 :: v_dual_fma_f32 v11, v162, v166, -v11
	s_delay_alu instid0(VALU_DEP_1) | instskip(SKIP_1) | instid1(VALU_DEP_1)
	v_add_f32_e32 v9, v9, v11
	v_mul_f32_e32 v11, v165, v169
	v_fma_f32 v11, v164, v168, -v11
	s_delay_alu instid0(VALU_DEP_1) | instskip(SKIP_1) | instid1(VALU_DEP_1)
	v_add_f32_e32 v9, v9, v11
	v_mul_f32_e32 v11, v171, v175
	v_fma_f32 v11, v170, v174, -v11
	;; [unrolled: 4-line block ×19, first 2 shown]
	s_set_vgpr_msb 64                       ;  msbs: dst=1 src0=0 src1=0 src2=0
	s_delay_alu instid0(VALU_DEP_1) | instskip(SKIP_3) | instid1(VALU_DEP_1)
	v_add_f32_e32 v10 /*v266*/, v9, v11
	s_set_vgpr_msb 0                        ;  msbs: dst=0 src0=0 src1=0 src2=0
	v_mul_f32_e32 v9, v243, v247
	s_set_vgpr_msb 64                       ;  msbs: dst=1 src0=0 src1=0 src2=0
	v_fma_f32 v12 /*v268*/, v242, v246, -v9
	s_set_vgpr_msb 0                        ;  msbs: dst=0 src0=0 src1=0 src2=0
	v_mul_f32_e32 v9, v245, v249
	s_set_vgpr_msb 5                        ;  msbs: dst=0 src0=1 src1=1 src2=0
	s_delay_alu instid0(VALU_DEP_2) | instskip(SKIP_1) | instid1(VALU_DEP_2)
	v_pk_add_f32 v[138:139], v[10:11] /*v[266:267]*/, v[12:13] /*v[268:269]*/
	s_set_vgpr_msb 64                       ;  msbs: dst=1 src0=0 src1=0 src2=0
	v_fma_f32 v14 /*v270*/, v244, v248, -v9
	s_set_vgpr_msb 4                        ;  msbs: dst=0 src0=0 src1=1 src2=0
	s_delay_alu instid0(VALU_DEP_1) | instskip(SKIP_1) | instid1(VALU_DEP_1)
	v_pk_add_f32 v[138:139], v[138:139], v[14:15] /*v[270:271]*/
	s_set_vgpr_msb 0                        ;  msbs: dst=0 src0=0 src1=0 src2=0
	v_pk_add_f32 v[122:123], v[138:139], v[142:143]
	v_dual_mov_b32 v138, v125 :: v_dual_mov_b32 v139, v124
	s_delay_alu instid0(VALU_DEP_1) | instskip(NEXT) | instid1(VALU_DEP_1)
	v_pk_mul_f32 v[138:139], v[138:139], v[140:141] op_sel_hi:[1,0]
	v_pk_fma_f32 v[140:141], v[124:125], v[252:253], v[138:139] neg_lo:[0,0,1] neg_hi:[0,0,1]
	v_pk_fma_f32 v[124:125], v[124:125], v[252:253], v[138:139] op_sel_hi:[1,0,1]
	s_delay_alu instid0(VALU_DEP_1) | instskip(SKIP_2) | instid1(VALU_DEP_2)
	v_mov_b32_e32 v141, v125
	s_wait_loadcnt_dscnt 0x202
	v_pk_mul_f32 v[124:125], v[126:127], v[254:255] op_sel:[1,1] op_sel_hi:[0,1]
	v_pk_add_f32 v[122:123], v[122:123], v[140:141]
	s_delay_alu instid0(VALU_DEP_2)
	v_pk_fma_f32 v[138:139], v[126:127], v[254:255], v[124:125] neg_lo:[0,0,1] neg_hi:[0,0,1]
	v_pk_fma_f32 v[124:125], v[126:127], v[254:255], v[124:125] op_sel_hi:[1,0,1]
	v_mov_b32_e32 v124, v129
	s_set_vgpr_msb 1                        ;  msbs: dst=0 src0=1 src1=0 src2=0
	v_mov_b32_e32 v126, v1 /*v257*/
	s_set_vgpr_msb 0                        ;  msbs: dst=0 src0=0 src1=0 src2=0
	v_dual_mov_b32 v139, v125 :: v_dual_mov_b32 v125, v128
	s_delay_alu instid0(VALU_DEP_1) | instskip(NEXT) | instid1(VALU_DEP_2)
	v_pk_add_f32 v[122:123], v[122:123], v[138:139]
	v_pk_mul_f32 v[124:125], v[124:125], v[126:127] op_sel_hi:[1,0]
	s_set_vgpr_msb 4                        ;  msbs: dst=0 src0=0 src1=1 src2=0
	s_delay_alu instid0(VALU_DEP_1) | instskip(SKIP_1) | instid1(VALU_DEP_1)
	v_pk_fma_f32 v[126:127], v[128:129], v[0:1] /*v[256:257]*/, v[124:125] neg_lo:[0,0,1] neg_hi:[0,0,1]
	v_pk_fma_f32 v[124:125], v[128:129], v[0:1] /*v[256:257]*/, v[124:125] op_sel_hi:[1,0,1]
	v_mov_b32_e32 v127, v125
	s_wait_loadcnt_dscnt 0x101
	v_pk_mul_f32 v[124:125], v[130:131], v[2:3] /*v[258:259]*/ op_sel:[1,1] op_sel_hi:[0,1]
	s_set_vgpr_msb 0                        ;  msbs: dst=0 src0=0 src1=0 src2=0
	s_delay_alu instid0(VALU_DEP_2) | instskip(SKIP_1) | instid1(VALU_DEP_2)
	v_pk_add_f32 v[122:123], v[122:123], v[126:127]
	s_set_vgpr_msb 4                        ;  msbs: dst=0 src0=0 src1=1 src2=0
	v_pk_fma_f32 v[126:127], v[130:131], v[2:3] /*v[258:259]*/, v[124:125] neg_lo:[0,0,1] neg_hi:[0,0,1]
	v_pk_fma_f32 v[124:125], v[130:131], v[2:3] /*v[258:259]*/, v[124:125] op_sel_hi:[1,0,1]
	s_delay_alu instid0(VALU_DEP_1) | instskip(SKIP_2) | instid1(VALU_DEP_2)
	v_dual_mov_b32 v124, v133 :: v_dual_mov_b32 v127, v125
	v_mov_b32_e32 v125, v132
	s_set_vgpr_msb 0                        ;  msbs: dst=0 src0=0 src1=0 src2=0
	v_pk_add_f32 v[122:123], v[122:123], v[126:127]
	s_set_vgpr_msb 1                        ;  msbs: dst=0 src0=1 src1=0 src2=0
	v_mov_b32_e32 v126, v5 /*v261*/
	s_set_vgpr_msb 0                        ;  msbs: dst=0 src0=0 src1=0 src2=0
	s_delay_alu instid0(VALU_DEP_1) | instskip(SKIP_1) | instid1(VALU_DEP_1)
	v_pk_mul_f32 v[124:125], v[124:125], v[126:127] op_sel_hi:[1,0]
	s_set_vgpr_msb 4                        ;  msbs: dst=0 src0=0 src1=1 src2=0
	v_pk_fma_f32 v[126:127], v[132:133], v[4:5] /*v[260:261]*/, v[124:125] neg_lo:[0,0,1] neg_hi:[0,0,1]
	v_pk_fma_f32 v[124:125], v[132:133], v[4:5] /*v[260:261]*/, v[124:125] op_sel_hi:[1,0,1]
	s_delay_alu instid0(VALU_DEP_1) | instskip(SKIP_3) | instid1(VALU_DEP_2)
	v_mov_b32_e32 v127, v125
	s_wait_loadcnt_dscnt 0x0
	v_pk_mul_f32 v[124:125], v[134:135], v[6:7] /*v[262:263]*/ op_sel:[1,1] op_sel_hi:[0,1]
	s_set_vgpr_msb 0                        ;  msbs: dst=0 src0=0 src1=0 src2=0
	v_pk_add_f32 v[122:123], v[122:123], v[126:127]
	s_set_vgpr_msb 4                        ;  msbs: dst=0 src0=0 src1=1 src2=0
	s_delay_alu instid0(VALU_DEP_2) | instskip(SKIP_1) | instid1(VALU_DEP_1)
	v_pk_fma_f32 v[126:127], v[134:135], v[6:7] /*v[262:263]*/, v[124:125] neg_lo:[0,0,1] neg_hi:[0,0,1]
	v_pk_fma_f32 v[124:125], v[134:135], v[6:7] /*v[262:263]*/, v[124:125] op_sel_hi:[1,0,1]
	v_dual_mov_b32 v124, v137 :: v_dual_mov_b32 v127, v125
	v_mov_b32_e32 v125, v136
	s_set_vgpr_msb 0                        ;  msbs: dst=0 src0=0 src1=0 src2=0
	s_delay_alu instid0(VALU_DEP_2) | instskip(SKIP_3) | instid1(VALU_DEP_1)
	v_pk_add_f32 v[122:123], v[122:123], v[126:127]
	s_set_vgpr_msb 1                        ;  msbs: dst=0 src0=1 src1=0 src2=0
	v_mov_b32_e32 v126, v9 /*v265*/
	s_set_vgpr_msb 0                        ;  msbs: dst=0 src0=0 src1=0 src2=0
	v_pk_mul_f32 v[124:125], v[124:125], v[126:127] op_sel_hi:[1,0]
	s_set_vgpr_msb 4                        ;  msbs: dst=0 src0=0 src1=1 src2=0
	s_delay_alu instid0(VALU_DEP_1) | instskip(SKIP_1) | instid1(VALU_DEP_1)
	v_pk_fma_f32 v[126:127], v[136:137], v[8:9] /*v[264:265]*/, v[124:125] neg_lo:[0,0,1] neg_hi:[0,0,1]
	v_pk_fma_f32 v[124:125], v[136:137], v[8:9] /*v[264:265]*/, v[124:125] op_sel_hi:[1,0,1]
	v_mov_b32_e32 v127, v125
	scratch_load_b64 v[124:125], off, off offset:152
	s_set_vgpr_msb 0                        ;  msbs: dst=0 src0=0 src1=0 src2=0
	v_pk_add_f32 v[122:123], v[122:123], v[126:127]
	s_wait_loadcnt 0x0
	s_delay_alu instid0(VALU_DEP_1)
	v_pk_add_f32 v[122:123], v[124:125], v[122:123] neg_lo:[0,1] neg_hi:[0,1]
	scratch_store_b64 off, v[122:123], off offset:152
	s_wait_xcnt 0x0
	v_cmpx_lt_u32_e32 18, v0
	s_cbranch_execz .LBB123_337
; %bb.336:
	scratch_load_b64 v[122:123], off, off offset:144
	v_mov_b64_e32 v[124:125], 0
	scratch_store_b64 off, v[124:125], off offset:144
	s_wait_loadcnt 0x0
	ds_store_b64 v1, v[122:123]
.LBB123_337:
	s_wait_xcnt 0x0
	s_or_b32 exec_lo, exec_lo, s0
	s_wait_storecnt_dscnt 0x0
	s_barrier_signal -1
	s_barrier_wait -1
	s_clause 0xf
	scratch_load_b128 v[126:129], off, off offset:152
	scratch_load_b128 v[134:137], off, off offset:168
	;; [unrolled: 1-line block ×16, first 2 shown]
	v_mov_b32_e32 v7, 0
	scratch_load_b128 v[254:257], off, off offset:408
	s_mov_b32 s0, exec_lo
	ds_load_2addr_b64 v[122:125], v7 offset0:79 offset1:80
	ds_load_2addr_b64 v[130:133], v7 offset0:81 offset1:82
	s_wait_loadcnt_dscnt 0x1001
	v_dual_mul_f32 v9, v122, v127 :: v_dual_mul_f32 v11, v124, v129
	ds_load_2addr_b64 v[138:141], v7 offset0:83 offset1:84
	ds_load_2addr_b64 v[146:149], v7 offset0:85 offset1:86
	;; [unrolled: 1-line block ×4, first 2 shown]
	v_dual_fmac_f32 v9, v123, v126 :: v_dual_fmac_f32 v11, v125, v128
	ds_load_2addr_b64 v[154:157], v7 offset0:87 offset1:88
	ds_load_2addr_b64 v[162:165], v7 offset0:89 offset1:90
	;; [unrolled: 1-line block ×3, first 2 shown]
	v_add_f32_e32 v9, 0, v9
	ds_load_2addr_b64 v[170:173], v7 offset0:91 offset1:92
	ds_load_2addr_b64 v[178:181], v7 offset0:93 offset1:94
	;; [unrolled: 1-line block ×4, first 2 shown]
	v_add_f32_e32 v9, v9, v11
	s_wait_loadcnt_dscnt 0xf0b
	v_mul_f32_e32 v11, v130, v135
	ds_load_2addr_b64 v[202:205], v7 offset0:99 offset1:100
	ds_load_2addr_b64 v[210:213], v7 offset0:101 offset1:102
	;; [unrolled: 1-line block ×4, first 2 shown]
	v_fmac_f32_e32 v11, v131, v134
	s_set_vgpr_msb 64                       ;  msbs: dst=1 src0=0 src1=0 src2=0
	s_clause 0x3
	scratch_load_b128 v[2:5] /*v[258:261]*/, off, off offset:424
	scratch_load_b128 v[6:9] /*v[262:265]*/, off, off offset:440
	;; [unrolled: 1-line block ×3, first 2 shown]
	scratch_load_b64 v[20:21] /*v[276:277]*/, off, off offset:472
	s_wait_loadcnt_dscnt 0x50b
	v_mul_f32_e32 v17 /*v273*/, v244, v249
	s_set_vgpr_msb 0                        ;  msbs: dst=0 src0=0 src1=0 src2=0
	v_dual_add_f32 v9, v9, v11 :: v_dual_mul_f32 v11, v132, v137
	s_wait_loadcnt_dscnt 0x408
	s_set_vgpr_msb 64                       ;  msbs: dst=1 src0=0 src1=0 src2=0
	v_dual_fmac_f32 v17 /*v273*/, v245, v248 :: v_dual_mul_f32 v19 /*v275*/, v250, v255
	s_set_vgpr_msb 0                        ;  msbs: dst=0 src0=0 src1=0 src2=0
	v_fmac_f32_e32 v11, v133, v136
	s_delay_alu instid0(VALU_DEP_1) | instskip(SKIP_1) | instid1(VALU_DEP_1)
	v_add_f32_e32 v9, v9, v11
	v_mul_f32_e32 v11, v138, v143
	v_fmac_f32_e32 v11, v139, v142
	s_delay_alu instid0(VALU_DEP_1) | instskip(NEXT) | instid1(VALU_DEP_1)
	v_dual_add_f32 v9, v9, v11 :: v_dual_mul_f32 v11, v140, v145
	v_fmac_f32_e32 v11, v141, v144
	s_delay_alu instid0(VALU_DEP_1) | instskip(SKIP_1) | instid1(VALU_DEP_1)
	v_add_f32_e32 v9, v9, v11
	v_mul_f32_e32 v11, v146, v151
	v_fmac_f32_e32 v11, v147, v150
	s_delay_alu instid0(VALU_DEP_1) | instskip(NEXT) | instid1(VALU_DEP_1)
	v_dual_add_f32 v9, v9, v11 :: v_dual_mul_f32 v11, v148, v153
	;; [unrolled: 7-line block ×4, first 2 shown]
	v_fmac_f32_e32 v11, v165, v168
	s_delay_alu instid0(VALU_DEP_1) | instskip(SKIP_2) | instid1(VALU_DEP_1)
	v_add_f32_e32 v9, v9, v11
	s_wait_dscnt 0x7
	v_mul_f32_e32 v11, v170, v175
	v_fmac_f32_e32 v11, v171, v174
	s_delay_alu instid0(VALU_DEP_1) | instskip(NEXT) | instid1(VALU_DEP_1)
	v_dual_add_f32 v9, v9, v11 :: v_dual_mul_f32 v11, v172, v177
	v_fmac_f32_e32 v11, v173, v176
	s_delay_alu instid0(VALU_DEP_1) | instskip(SKIP_2) | instid1(VALU_DEP_1)
	v_add_f32_e32 v9, v9, v11
	s_wait_dscnt 0x6
	v_mul_f32_e32 v11, v178, v183
	v_fmac_f32_e32 v11, v179, v182
	s_delay_alu instid0(VALU_DEP_1) | instskip(NEXT) | instid1(VALU_DEP_1)
	v_dual_add_f32 v9, v9, v11 :: v_dual_mul_f32 v11, v180, v185
	;; [unrolled: 8-line block ×8, first 2 shown]
	v_fmac_f32_e32 v11, v229, v232
	s_delay_alu instid0(VALU_DEP_1) | instskip(SKIP_1) | instid1(VALU_DEP_1)
	v_add_f32_e32 v9, v9, v11
	v_mul_f32_e32 v11, v234, v239
	v_fmac_f32_e32 v11, v235, v238
	s_delay_alu instid0(VALU_DEP_1) | instskip(NEXT) | instid1(VALU_DEP_1)
	v_dual_add_f32 v9, v9, v11 :: v_dual_mul_f32 v11, v236, v241
	v_fmac_f32_e32 v11, v237, v240
	s_delay_alu instid0(VALU_DEP_1) | instskip(SKIP_1) | instid1(VALU_DEP_1)
	v_add_f32_e32 v9, v9, v11
	v_mul_f32_e32 v11, v242, v247
	v_fmac_f32_e32 v11, v243, v246
	s_set_vgpr_msb 64                       ;  msbs: dst=1 src0=0 src1=0 src2=0
	s_delay_alu instid0(VALU_DEP_1) | instskip(SKIP_2) | instid1(VALU_DEP_1)
	v_add_f32_e32 v15 /*v271*/, v9, v11
	s_set_vgpr_msb 0                        ;  msbs: dst=0 src0=0 src1=0 src2=0
	v_dual_mul_f32 v9, v123, v127 :: v_dual_mul_f32 v11, v125, v129
	v_dual_fma_f32 v9, v122, v126, -v9 :: v_dual_fma_f32 v11, v124, v128, -v11
	s_delay_alu instid0(VALU_DEP_1) | instskip(NEXT) | instid1(VALU_DEP_1)
	v_add_f32_e32 v9, 0, v9
	v_add_f32_e32 v9, v9, v11
	v_mul_f32_e32 v11, v131, v135
	s_delay_alu instid0(VALU_DEP_1) | instskip(NEXT) | instid1(VALU_DEP_1)
	v_fma_f32 v11, v130, v134, -v11
	v_add_f32_e32 v9, v9, v11
	v_mul_f32_e32 v11, v133, v137
	s_delay_alu instid0(VALU_DEP_1)
	v_fma_f32 v11, v132, v136, -v11
	ds_load_2addr_b64 v[122:125], v7 offset0:113 offset1:114
	ds_load_2addr_b64 v[126:129], v7 offset0:115 offset1:116
	;; [unrolled: 1-line block ×3, first 2 shown]
	ds_load_b64 v[134:135], v7 offset:952
	v_add_f32_e32 v9, v9, v11
	v_dual_mul_f32 v11, v139, v143 :: v_dual_mov_b32 v139, v252
	s_delay_alu instid0(VALU_DEP_1) | instskip(NEXT) | instid1(VALU_DEP_1)
	v_dual_fma_f32 v11, v138, v142, -v11 :: v_dual_mov_b32 v138, v253
	v_add_f32_e32 v9, v9, v11
	v_mul_f32_e32 v11, v141, v145
	s_delay_alu instid0(VALU_DEP_1) | instskip(SKIP_3) | instid1(VALU_DEP_2)
	v_fma_f32 v11, v140, v144, -v11
	s_set_vgpr_msb 1                        ;  msbs: dst=0 src0=1 src1=0 src2=0
	v_mov_b32_e32 v140, v1 /*v257*/
	s_set_vgpr_msb 0                        ;  msbs: dst=0 src0=0 src1=0 src2=0
	v_add_f32_e32 v9, v9, v11
	v_mul_f32_e32 v11, v147, v151
	s_delay_alu instid0(VALU_DEP_3) | instskip(NEXT) | instid1(VALU_DEP_2)
	v_pk_mul_f32 v[138:139], v[138:139], v[140:141] op_sel_hi:[1,0]
	v_fma_f32 v11, v146, v150, -v11
	s_set_vgpr_msb 4                        ;  msbs: dst=0 src0=0 src1=1 src2=0
	s_delay_alu instid0(VALU_DEP_2) | instskip(SKIP_3) | instid1(VALU_DEP_2)
	v_pk_fma_f32 v[140:141], v[252:253], v[0:1] /*v[256:257]*/, v[138:139] neg_lo:[0,0,1] neg_hi:[0,0,1]
	v_pk_fma_f32 v[138:139], v[252:253], v[0:1] /*v[256:257]*/, v[138:139] op_sel_hi:[1,0,1]
	s_set_vgpr_msb 0                        ;  msbs: dst=0 src0=0 src1=0 src2=0
	v_add_f32_e32 v9, v9, v11
	v_dual_mul_f32 v11, v149, v153 :: v_dual_mov_b32 v141, v139
	s_wait_loadcnt_dscnt 0x303
	s_set_vgpr_msb 4                        ;  msbs: dst=0 src0=0 src1=1 src2=0
	v_pk_mul_f32 v[138:139], v[122:123], v[2:3] /*v[258:259]*/ op_sel:[1,1] op_sel_hi:[0,1]
	s_set_vgpr_msb 0                        ;  msbs: dst=0 src0=0 src1=0 src2=0
	v_fma_f32 v11, v148, v152, -v11
	s_delay_alu instid0(VALU_DEP_1) | instskip(SKIP_1) | instid1(VALU_DEP_1)
	v_add_f32_e32 v9, v9, v11
	v_mul_f32_e32 v11, v155, v159
	v_fma_f32 v11, v154, v158, -v11
	s_delay_alu instid0(VALU_DEP_1) | instskip(SKIP_1) | instid1(VALU_DEP_1)
	v_add_f32_e32 v9, v9, v11
	v_mul_f32_e32 v11, v157, v161
	;; [unrolled: 4-line block ×23, first 2 shown]
	v_fma_f32 v11, v242, v246, -v11
	s_set_vgpr_msb 64                       ;  msbs: dst=1 src0=0 src1=0 src2=0
	s_delay_alu instid0(VALU_DEP_1) | instskip(SKIP_3) | instid1(VALU_DEP_1)
	v_dual_fmac_f32 v19 /*v275*/, v251, v254 :: v_dual_add_f32 v14 /*v270*/, v9, v11
	s_set_vgpr_msb 0                        ;  msbs: dst=0 src0=0 src1=0 src2=0
	v_mul_f32_e32 v9, v245, v249
	s_set_vgpr_msb 64                       ;  msbs: dst=1 src0=0 src1=0 src2=0
	v_fma_f32 v16 /*v272*/, v244, v248, -v9
	s_set_vgpr_msb 0                        ;  msbs: dst=0 src0=0 src1=0 src2=0
	v_mul_f32_e32 v9, v251, v255
	s_set_vgpr_msb 64                       ;  msbs: dst=1 src0=0 src1=0 src2=0
	s_delay_alu instid0(VALU_DEP_1) | instskip(SKIP_3) | instid1(VALU_DEP_1)
	v_fma_f32 v18 /*v274*/, v250, v254, -v9
	s_set_vgpr_msb 5                        ;  msbs: dst=0 src0=1 src1=1 src2=0
	v_pk_add_f32 v[136:137], v[14:15] /*v[270:271]*/, v[16:17] /*v[272:273]*/
	s_set_vgpr_msb 4                        ;  msbs: dst=0 src0=0 src1=1 src2=0
	v_pk_add_f32 v[136:137], v[136:137], v[18:19] /*v[274:275]*/
	s_set_vgpr_msb 0                        ;  msbs: dst=0 src0=0 src1=0 src2=0
	s_delay_alu instid0(VALU_DEP_1)
	v_pk_add_f32 v[136:137], v[136:137], v[140:141]
	s_set_vgpr_msb 4                        ;  msbs: dst=0 src0=0 src1=1 src2=0
	v_pk_fma_f32 v[140:141], v[122:123], v[2:3] /*v[258:259]*/, v[138:139] neg_lo:[0,0,1] neg_hi:[0,0,1]
	v_pk_fma_f32 v[122:123], v[122:123], v[2:3] /*v[258:259]*/, v[138:139] op_sel_hi:[1,0,1]
	s_set_vgpr_msb 1                        ;  msbs: dst=0 src0=1 src1=0 src2=0
	v_mov_b32_e32 v138, v5 /*v261*/
	s_set_vgpr_msb 0                        ;  msbs: dst=0 src0=0 src1=0 src2=0
	s_delay_alu instid0(VALU_DEP_2) | instskip(NEXT) | instid1(VALU_DEP_1)
	v_mov_b32_e32 v141, v123
	v_pk_add_f32 v[122:123], v[136:137], v[140:141]
	v_dual_mov_b32 v136, v125 :: v_dual_mov_b32 v137, v124
	s_delay_alu instid0(VALU_DEP_1) | instskip(SKIP_1) | instid1(VALU_DEP_1)
	v_pk_mul_f32 v[136:137], v[136:137], v[138:139] op_sel_hi:[1,0]
	s_set_vgpr_msb 4                        ;  msbs: dst=0 src0=0 src1=1 src2=0
	v_pk_fma_f32 v[138:139], v[124:125], v[4:5] /*v[260:261]*/, v[136:137] neg_lo:[0,0,1] neg_hi:[0,0,1]
	v_pk_fma_f32 v[124:125], v[124:125], v[4:5] /*v[260:261]*/, v[136:137] op_sel_hi:[1,0,1]
	s_delay_alu instid0(VALU_DEP_1) | instskip(SKIP_3) | instid1(VALU_DEP_2)
	v_mov_b32_e32 v139, v125
	s_wait_loadcnt_dscnt 0x202
	v_pk_mul_f32 v[124:125], v[126:127], v[6:7] /*v[262:263]*/ op_sel:[1,1] op_sel_hi:[0,1]
	s_set_vgpr_msb 0                        ;  msbs: dst=0 src0=0 src1=0 src2=0
	v_pk_add_f32 v[122:123], v[122:123], v[138:139]
	s_set_vgpr_msb 4                        ;  msbs: dst=0 src0=0 src1=1 src2=0
	s_delay_alu instid0(VALU_DEP_2)
	v_pk_fma_f32 v[136:137], v[126:127], v[6:7] /*v[262:263]*/, v[124:125] neg_lo:[0,0,1] neg_hi:[0,0,1]
	v_pk_fma_f32 v[124:125], v[126:127], v[6:7] /*v[262:263]*/, v[124:125] op_sel_hi:[1,0,1]
	v_mov_b32_e32 v124, v129
	s_set_vgpr_msb 1                        ;  msbs: dst=0 src0=1 src1=0 src2=0
	v_mov_b32_e32 v126, v9 /*v265*/
	s_set_vgpr_msb 0                        ;  msbs: dst=0 src0=0 src1=0 src2=0
	v_dual_mov_b32 v137, v125 :: v_dual_mov_b32 v125, v128
	s_delay_alu instid0(VALU_DEP_1) | instskip(NEXT) | instid1(VALU_DEP_2)
	v_pk_add_f32 v[122:123], v[122:123], v[136:137]
	v_pk_mul_f32 v[124:125], v[124:125], v[126:127] op_sel_hi:[1,0]
	s_set_vgpr_msb 4                        ;  msbs: dst=0 src0=0 src1=1 src2=0
	s_delay_alu instid0(VALU_DEP_1) | instskip(SKIP_1) | instid1(VALU_DEP_1)
	v_pk_fma_f32 v[126:127], v[128:129], v[8:9] /*v[264:265]*/, v[124:125] neg_lo:[0,0,1] neg_hi:[0,0,1]
	v_pk_fma_f32 v[124:125], v[128:129], v[8:9] /*v[264:265]*/, v[124:125] op_sel_hi:[1,0,1]
	v_mov_b32_e32 v127, v125
	s_wait_loadcnt_dscnt 0x101
	v_pk_mul_f32 v[124:125], v[130:131], v[10:11] /*v[266:267]*/ op_sel:[1,1] op_sel_hi:[0,1]
	s_set_vgpr_msb 0                        ;  msbs: dst=0 src0=0 src1=0 src2=0
	s_delay_alu instid0(VALU_DEP_2) | instskip(SKIP_1) | instid1(VALU_DEP_2)
	v_pk_add_f32 v[122:123], v[122:123], v[126:127]
	s_set_vgpr_msb 4                        ;  msbs: dst=0 src0=0 src1=1 src2=0
	v_pk_fma_f32 v[126:127], v[130:131], v[10:11] /*v[266:267]*/, v[124:125] neg_lo:[0,0,1] neg_hi:[0,0,1]
	v_pk_fma_f32 v[124:125], v[130:131], v[10:11] /*v[266:267]*/, v[124:125] op_sel_hi:[1,0,1]
	s_delay_alu instid0(VALU_DEP_1) | instskip(SKIP_2) | instid1(VALU_DEP_2)
	v_dual_mov_b32 v124, v133 :: v_dual_mov_b32 v127, v125
	v_mov_b32_e32 v125, v132
	s_set_vgpr_msb 0                        ;  msbs: dst=0 src0=0 src1=0 src2=0
	v_pk_add_f32 v[122:123], v[122:123], v[126:127]
	s_set_vgpr_msb 1                        ;  msbs: dst=0 src0=1 src1=0 src2=0
	v_mov_b32_e32 v126, v13 /*v269*/
	s_set_vgpr_msb 0                        ;  msbs: dst=0 src0=0 src1=0 src2=0
	s_delay_alu instid0(VALU_DEP_1) | instskip(SKIP_1) | instid1(VALU_DEP_1)
	v_pk_mul_f32 v[124:125], v[124:125], v[126:127] op_sel_hi:[1,0]
	s_set_vgpr_msb 4                        ;  msbs: dst=0 src0=0 src1=1 src2=0
	v_pk_fma_f32 v[126:127], v[132:133], v[12:13] /*v[268:269]*/, v[124:125] neg_lo:[0,0,1] neg_hi:[0,0,1]
	v_pk_fma_f32 v[124:125], v[132:133], v[12:13] /*v[268:269]*/, v[124:125] op_sel_hi:[1,0,1]
	s_delay_alu instid0(VALU_DEP_1) | instskip(SKIP_3) | instid1(VALU_DEP_2)
	v_mov_b32_e32 v127, v125
	s_wait_loadcnt_dscnt 0x0
	v_pk_mul_f32 v[124:125], v[134:135], v[20:21] /*v[276:277]*/ op_sel:[1,1] op_sel_hi:[0,1]
	s_set_vgpr_msb 0                        ;  msbs: dst=0 src0=0 src1=0 src2=0
	v_pk_add_f32 v[122:123], v[122:123], v[126:127]
	s_set_vgpr_msb 4                        ;  msbs: dst=0 src0=0 src1=1 src2=0
	s_delay_alu instid0(VALU_DEP_2) | instskip(SKIP_1) | instid1(VALU_DEP_1)
	v_pk_fma_f32 v[126:127], v[134:135], v[20:21] /*v[276:277]*/, v[124:125] neg_lo:[0,0,1] neg_hi:[0,0,1]
	v_pk_fma_f32 v[124:125], v[134:135], v[20:21] /*v[276:277]*/, v[124:125] op_sel_hi:[1,0,1]
	v_mov_b32_e32 v127, v125
	scratch_load_b64 v[124:125], off, off offset:144
	s_set_vgpr_msb 0                        ;  msbs: dst=0 src0=0 src1=0 src2=0
	v_pk_add_f32 v[122:123], v[122:123], v[126:127]
	s_wait_loadcnt 0x0
	s_delay_alu instid0(VALU_DEP_1)
	v_pk_add_f32 v[122:123], v[124:125], v[122:123] neg_lo:[0,1] neg_hi:[0,1]
	scratch_store_b64 off, v[122:123], off offset:144
	s_wait_xcnt 0x0
	v_cmpx_lt_u32_e32 17, v0
	s_cbranch_execz .LBB123_339
; %bb.338:
	scratch_load_b64 v[122:123], off, off offset:136
	v_mov_b64_e32 v[124:125], 0
	scratch_store_b64 off, v[124:125], off offset:136
	s_wait_loadcnt 0x0
	ds_store_b64 v1, v[122:123]
.LBB123_339:
	s_wait_xcnt 0x0
	s_or_b32 exec_lo, exec_lo, s0
	s_wait_storecnt_dscnt 0x0
	s_barrier_signal -1
	s_barrier_wait -1
	ds_load_b128 v[122:125], v7 offset:624
	ds_load_b128 v[126:129], v7 offset:640
	ds_load_b128 v[130:133], v7 offset:656
	ds_load_b128 v[134:137], v7 offset:672
	s_clause 0x10
	scratch_load_b128 v[138:141], off, off offset:144
	scratch_load_b128 v[142:145], off, off offset:160
	;; [unrolled: 1-line block ×17, first 2 shown]
	ds_load_b128 v[154:157], v7 offset:688
	ds_load_b128 v[162:165], v7 offset:704
	;; [unrolled: 1-line block ×13, first 2 shown]
	s_set_vgpr_msb 64                       ;  msbs: dst=1 src0=0 src1=0 src2=0
	s_clause 0x3
	scratch_load_b128 v[2:5] /*v[258:261]*/, off, off offset:416
	scratch_load_b128 v[6:9] /*v[262:265]*/, off, off offset:432
	;; [unrolled: 1-line block ×4, first 2 shown]
	s_mov_b32 s0, exec_lo
	s_wait_loadcnt_dscnt 0x1410
	s_set_vgpr_msb 0                        ;  msbs: dst=0 src0=0 src1=0 src2=0
	v_dual_mul_f32 v9, v122, v139 :: v_dual_mul_f32 v11, v124, v141
	s_delay_alu instid0(VALU_DEP_1) | instskip(NEXT) | instid1(VALU_DEP_1)
	v_dual_fmac_f32 v9, v123, v138 :: v_dual_fmac_f32 v11, v125, v140
	v_add_f32_e32 v9, 0, v9
	s_delay_alu instid0(VALU_DEP_1)
	v_add_f32_e32 v9, v9, v11
	s_wait_loadcnt_dscnt 0x130f
	v_mul_f32_e32 v11, v126, v143
	s_wait_loadcnt_dscnt 0x40a
	s_set_vgpr_msb 64                       ;  msbs: dst=1 src0=0 src1=0 src2=0
	v_mul_f32_e32 v21 /*v277*/, v250, v255
	s_set_vgpr_msb 0                        ;  msbs: dst=0 src0=0 src1=0 src2=0
	v_fmac_f32_e32 v11, v127, v142
	s_delay_alu instid0(VALU_DEP_1) | instskip(NEXT) | instid1(VALU_DEP_1)
	v_dual_add_f32 v9, v9, v11 :: v_dual_mul_f32 v11, v128, v145
	v_fmac_f32_e32 v11, v129, v144
	s_delay_alu instid0(VALU_DEP_1) | instskip(SKIP_1) | instid1(VALU_DEP_1)
	v_add_f32_e32 v9, v9, v11
	v_mul_f32_e32 v11, v130, v147
	v_fmac_f32_e32 v11, v131, v146
	s_delay_alu instid0(VALU_DEP_1) | instskip(NEXT) | instid1(VALU_DEP_1)
	v_dual_add_f32 v9, v9, v11 :: v_dual_mul_f32 v11, v132, v149
	v_fmac_f32_e32 v11, v133, v148
	s_delay_alu instid0(VALU_DEP_1) | instskip(SKIP_1) | instid1(VALU_DEP_1)
	v_add_f32_e32 v9, v9, v11
	v_mul_f32_e32 v11, v134, v151
	;; [unrolled: 7-line block ×4, first 2 shown]
	v_fmac_f32_e32 v11, v163, v166
	s_delay_alu instid0(VALU_DEP_1) | instskip(NEXT) | instid1(VALU_DEP_1)
	v_dual_add_f32 v9, v9, v11 :: v_dual_mul_f32 v11, v164, v169
	v_fmac_f32_e32 v11, v165, v168
	s_delay_alu instid0(VALU_DEP_1) | instskip(SKIP_2) | instid1(VALU_DEP_1)
	v_add_f32_e32 v9, v9, v11
	s_wait_dscnt 0x9
	v_mul_f32_e32 v11, v170, v175
	v_fmac_f32_e32 v11, v171, v174
	s_delay_alu instid0(VALU_DEP_1) | instskip(NEXT) | instid1(VALU_DEP_1)
	v_dual_add_f32 v9, v9, v11 :: v_dual_mul_f32 v11, v172, v177
	v_fmac_f32_e32 v11, v173, v176
	s_delay_alu instid0(VALU_DEP_1) | instskip(SKIP_2) | instid1(VALU_DEP_1)
	v_add_f32_e32 v9, v9, v11
	s_wait_dscnt 0x8
	v_mul_f32_e32 v11, v178, v183
	;; [unrolled: 8-line block ×10, first 2 shown]
	v_fmac_f32_e32 v11, v243, v246
	s_delay_alu instid0(VALU_DEP_1) | instskip(NEXT) | instid1(VALU_DEP_1)
	v_dual_add_f32 v9, v9, v11 :: v_dual_mul_f32 v11, v244, v249
	v_fmac_f32_e32 v11, v245, v248
	s_set_vgpr_msb 64                       ;  msbs: dst=1 src0=0 src1=0 src2=0
	s_delay_alu instid0(VALU_DEP_1) | instskip(SKIP_2) | instid1(VALU_DEP_1)
	v_add_f32_e32 v19 /*v275*/, v9, v11
	s_set_vgpr_msb 0                        ;  msbs: dst=0 src0=0 src1=0 src2=0
	v_dual_mul_f32 v9, v123, v139 :: v_dual_mul_f32 v11, v125, v141
	v_dual_fma_f32 v9, v122, v138, -v9 :: v_dual_fma_f32 v11, v124, v140, -v11
	s_delay_alu instid0(VALU_DEP_1) | instskip(NEXT) | instid1(VALU_DEP_1)
	v_add_f32_e32 v9, 0, v9
	v_add_f32_e32 v9, v9, v11
	v_mul_f32_e32 v11, v127, v143
	s_delay_alu instid0(VALU_DEP_1) | instskip(NEXT) | instid1(VALU_DEP_1)
	v_fma_f32 v11, v126, v142, -v11
	v_add_f32_e32 v9, v9, v11
	v_mul_f32_e32 v11, v129, v145
	s_delay_alu instid0(VALU_DEP_1) | instskip(NEXT) | instid1(VALU_DEP_1)
	v_fma_f32 v11, v128, v144, -v11
	;; [unrolled: 4-line block ×5, first 2 shown]
	v_add_f32_e32 v9, v9, v11
	v_mul_f32_e32 v11, v137, v153
	s_delay_alu instid0(VALU_DEP_1)
	v_fma_f32 v11, v136, v152, -v11
	ds_load_b128 v[122:125], v7 offset:896
	ds_load_b128 v[126:129], v7 offset:912
	;; [unrolled: 1-line block ×4, first 2 shown]
	v_add_f32_e32 v9, v9, v11
	v_mul_f32_e32 v11, v155, v159
	s_delay_alu instid0(VALU_DEP_1) | instskip(NEXT) | instid1(VALU_DEP_1)
	v_fma_f32 v11, v154, v158, -v11
	v_add_f32_e32 v9, v9, v11
	v_mul_f32_e32 v11, v157, v161
	s_wait_loadcnt_dscnt 0x303
	s_set_vgpr_msb 4                        ;  msbs: dst=0 src0=0 src1=1 src2=0
	v_pk_mul_f32 v[140:141], v[122:123], v[2:3] /*v[258:259]*/ op_sel:[1,1] op_sel_hi:[0,1]
	s_set_vgpr_msb 0                        ;  msbs: dst=0 src0=0 src1=0 src2=0
	v_fma_f32 v11, v156, v160, -v11
	s_set_vgpr_msb 4                        ;  msbs: dst=0 src0=0 src1=1 src2=0
	s_delay_alu instid0(VALU_DEP_2)
	v_pk_fma_f32 v[142:143], v[122:123], v[2:3] /*v[258:259]*/, v[140:141] neg_lo:[0,0,1] neg_hi:[0,0,1]
	v_pk_fma_f32 v[122:123], v[122:123], v[2:3] /*v[258:259]*/, v[140:141] op_sel_hi:[1,0,1]
	s_set_vgpr_msb 1                        ;  msbs: dst=0 src0=1 src1=0 src2=0
	v_mov_b32_e32 v140, v5 /*v261*/
	s_set_vgpr_msb 0                        ;  msbs: dst=0 src0=0 src1=0 src2=0
	v_add_f32_e32 v9, v9, v11
	v_mul_f32_e32 v11, v163, v167
	s_delay_alu instid0(VALU_DEP_1) | instskip(NEXT) | instid1(VALU_DEP_1)
	v_dual_mov_b32 v143, v123 :: v_dual_fma_f32 v11, v162, v166, -v11
	v_add_f32_e32 v9, v9, v11
	v_mul_f32_e32 v11, v165, v169
	s_delay_alu instid0(VALU_DEP_1) | instskip(NEXT) | instid1(VALU_DEP_1)
	v_fma_f32 v11, v164, v168, -v11
	v_add_f32_e32 v9, v9, v11
	v_mul_f32_e32 v11, v171, v175
	s_delay_alu instid0(VALU_DEP_1) | instskip(NEXT) | instid1(VALU_DEP_1)
	v_fma_f32 v11, v170, v174, -v11
	;; [unrolled: 4-line block ×20, first 2 shown]
	v_add_f32_e32 v9, v9, v11
	v_mul_f32_e32 v11, v245, v249
	s_delay_alu instid0(VALU_DEP_1) | instskip(SKIP_1) | instid1(VALU_DEP_1)
	v_fma_f32 v11, v244, v248, -v11
	s_set_vgpr_msb 64                       ;  msbs: dst=1 src0=0 src1=0 src2=0
	v_add_f32_e32 v18 /*v274*/, v9, v11
	s_set_vgpr_msb 0                        ;  msbs: dst=0 src0=0 src1=0 src2=0
	v_mul_f32_e32 v9, v251, v255
	s_set_vgpr_msb 64                       ;  msbs: dst=1 src0=0 src1=0 src2=0
	s_delay_alu instid0(VALU_DEP_1)
	v_fma_f32 v20 /*v276*/, v250, v254, -v9
	v_fmac_f32_e32 v21 /*v277*/, v251, v254
	s_set_vgpr_msb 4                        ;  msbs: dst=0 src0=0 src1=1 src2=0
	v_mul_f32_e32 v9, v253, v1 /*v257*/
	s_set_vgpr_msb 0x44                     ;  msbs: dst=1 src0=0 src1=1 src2=0
	v_mul_f32_e32 v23 /*v279*/, v252, v1 /*v257*/
	s_set_vgpr_msb 5                        ;  msbs: dst=0 src0=1 src1=1 src2=0
	v_pk_add_f32 v[138:139], v[18:19] /*v[274:275]*/, v[20:21] /*v[276:277]*/
	s_set_vgpr_msb 0x44                     ;  msbs: dst=1 src0=0 src1=1 src2=0
	v_fma_f32 v22 /*v278*/, v252, v0 /*v256*/, -v9
	v_fmac_f32_e32 v23 /*v279*/, v253, v0 /*v256*/
	s_set_vgpr_msb 4                        ;  msbs: dst=0 src0=0 src1=1 src2=0
	s_delay_alu instid0(VALU_DEP_1) | instskip(SKIP_1) | instid1(VALU_DEP_1)
	v_pk_add_f32 v[138:139], v[138:139], v[22:23] /*v[278:279]*/
	s_set_vgpr_msb 0                        ;  msbs: dst=0 src0=0 src1=0 src2=0
	v_pk_add_f32 v[122:123], v[138:139], v[142:143]
	v_dual_mov_b32 v138, v125 :: v_dual_mov_b32 v139, v124
	s_delay_alu instid0(VALU_DEP_1) | instskip(SKIP_1) | instid1(VALU_DEP_1)
	v_pk_mul_f32 v[138:139], v[138:139], v[140:141] op_sel_hi:[1,0]
	s_set_vgpr_msb 4                        ;  msbs: dst=0 src0=0 src1=1 src2=0
	v_pk_fma_f32 v[140:141], v[124:125], v[4:5] /*v[260:261]*/, v[138:139] neg_lo:[0,0,1] neg_hi:[0,0,1]
	v_pk_fma_f32 v[124:125], v[124:125], v[4:5] /*v[260:261]*/, v[138:139] op_sel_hi:[1,0,1]
	s_delay_alu instid0(VALU_DEP_1) | instskip(SKIP_3) | instid1(VALU_DEP_2)
	v_mov_b32_e32 v141, v125
	s_wait_loadcnt_dscnt 0x202
	v_pk_mul_f32 v[124:125], v[126:127], v[6:7] /*v[262:263]*/ op_sel:[1,1] op_sel_hi:[0,1]
	s_set_vgpr_msb 0                        ;  msbs: dst=0 src0=0 src1=0 src2=0
	v_pk_add_f32 v[122:123], v[122:123], v[140:141]
	s_set_vgpr_msb 4                        ;  msbs: dst=0 src0=0 src1=1 src2=0
	s_delay_alu instid0(VALU_DEP_2)
	v_pk_fma_f32 v[138:139], v[126:127], v[6:7] /*v[262:263]*/, v[124:125] neg_lo:[0,0,1] neg_hi:[0,0,1]
	v_pk_fma_f32 v[124:125], v[126:127], v[6:7] /*v[262:263]*/, v[124:125] op_sel_hi:[1,0,1]
	v_mov_b32_e32 v124, v129
	s_set_vgpr_msb 1                        ;  msbs: dst=0 src0=1 src1=0 src2=0
	v_mov_b32_e32 v126, v9 /*v265*/
	s_set_vgpr_msb 0                        ;  msbs: dst=0 src0=0 src1=0 src2=0
	v_dual_mov_b32 v139, v125 :: v_dual_mov_b32 v125, v128
	s_delay_alu instid0(VALU_DEP_1) | instskip(NEXT) | instid1(VALU_DEP_2)
	v_pk_add_f32 v[122:123], v[122:123], v[138:139]
	v_pk_mul_f32 v[124:125], v[124:125], v[126:127] op_sel_hi:[1,0]
	s_set_vgpr_msb 4                        ;  msbs: dst=0 src0=0 src1=1 src2=0
	s_delay_alu instid0(VALU_DEP_1) | instskip(SKIP_1) | instid1(VALU_DEP_1)
	v_pk_fma_f32 v[126:127], v[128:129], v[8:9] /*v[264:265]*/, v[124:125] neg_lo:[0,0,1] neg_hi:[0,0,1]
	v_pk_fma_f32 v[124:125], v[128:129], v[8:9] /*v[264:265]*/, v[124:125] op_sel_hi:[1,0,1]
	v_mov_b32_e32 v127, v125
	s_wait_loadcnt_dscnt 0x101
	v_pk_mul_f32 v[124:125], v[130:131], v[10:11] /*v[266:267]*/ op_sel:[1,1] op_sel_hi:[0,1]
	s_set_vgpr_msb 0                        ;  msbs: dst=0 src0=0 src1=0 src2=0
	s_delay_alu instid0(VALU_DEP_2) | instskip(SKIP_1) | instid1(VALU_DEP_2)
	v_pk_add_f32 v[122:123], v[122:123], v[126:127]
	s_set_vgpr_msb 4                        ;  msbs: dst=0 src0=0 src1=1 src2=0
	v_pk_fma_f32 v[126:127], v[130:131], v[10:11] /*v[266:267]*/, v[124:125] neg_lo:[0,0,1] neg_hi:[0,0,1]
	v_pk_fma_f32 v[124:125], v[130:131], v[10:11] /*v[266:267]*/, v[124:125] op_sel_hi:[1,0,1]
	s_delay_alu instid0(VALU_DEP_1) | instskip(SKIP_2) | instid1(VALU_DEP_2)
	v_dual_mov_b32 v124, v133 :: v_dual_mov_b32 v127, v125
	v_mov_b32_e32 v125, v132
	s_set_vgpr_msb 0                        ;  msbs: dst=0 src0=0 src1=0 src2=0
	v_pk_add_f32 v[122:123], v[122:123], v[126:127]
	s_set_vgpr_msb 1                        ;  msbs: dst=0 src0=1 src1=0 src2=0
	v_mov_b32_e32 v126, v13 /*v269*/
	s_set_vgpr_msb 0                        ;  msbs: dst=0 src0=0 src1=0 src2=0
	s_delay_alu instid0(VALU_DEP_1) | instskip(SKIP_1) | instid1(VALU_DEP_1)
	v_pk_mul_f32 v[124:125], v[124:125], v[126:127] op_sel_hi:[1,0]
	s_set_vgpr_msb 4                        ;  msbs: dst=0 src0=0 src1=1 src2=0
	v_pk_fma_f32 v[126:127], v[132:133], v[12:13] /*v[268:269]*/, v[124:125] neg_lo:[0,0,1] neg_hi:[0,0,1]
	v_pk_fma_f32 v[124:125], v[132:133], v[12:13] /*v[268:269]*/, v[124:125] op_sel_hi:[1,0,1]
	s_delay_alu instid0(VALU_DEP_1) | instskip(SKIP_3) | instid1(VALU_DEP_2)
	v_mov_b32_e32 v127, v125
	s_wait_loadcnt_dscnt 0x0
	v_pk_mul_f32 v[124:125], v[134:135], v[14:15] /*v[270:271]*/ op_sel:[1,1] op_sel_hi:[0,1]
	s_set_vgpr_msb 0                        ;  msbs: dst=0 src0=0 src1=0 src2=0
	v_pk_add_f32 v[122:123], v[122:123], v[126:127]
	s_set_vgpr_msb 4                        ;  msbs: dst=0 src0=0 src1=1 src2=0
	s_delay_alu instid0(VALU_DEP_2) | instskip(SKIP_1) | instid1(VALU_DEP_1)
	v_pk_fma_f32 v[126:127], v[134:135], v[14:15] /*v[270:271]*/, v[124:125] neg_lo:[0,0,1] neg_hi:[0,0,1]
	v_pk_fma_f32 v[124:125], v[134:135], v[14:15] /*v[270:271]*/, v[124:125] op_sel_hi:[1,0,1]
	v_dual_mov_b32 v124, v137 :: v_dual_mov_b32 v127, v125
	v_mov_b32_e32 v125, v136
	s_set_vgpr_msb 0                        ;  msbs: dst=0 src0=0 src1=0 src2=0
	s_delay_alu instid0(VALU_DEP_2) | instskip(SKIP_3) | instid1(VALU_DEP_1)
	v_pk_add_f32 v[122:123], v[122:123], v[126:127]
	s_set_vgpr_msb 1                        ;  msbs: dst=0 src0=1 src1=0 src2=0
	v_mov_b32_e32 v126, v17 /*v273*/
	s_set_vgpr_msb 0                        ;  msbs: dst=0 src0=0 src1=0 src2=0
	v_pk_mul_f32 v[124:125], v[124:125], v[126:127] op_sel_hi:[1,0]
	s_set_vgpr_msb 4                        ;  msbs: dst=0 src0=0 src1=1 src2=0
	s_delay_alu instid0(VALU_DEP_1) | instskip(SKIP_1) | instid1(VALU_DEP_1)
	v_pk_fma_f32 v[126:127], v[136:137], v[16:17] /*v[272:273]*/, v[124:125] neg_lo:[0,0,1] neg_hi:[0,0,1]
	v_pk_fma_f32 v[124:125], v[136:137], v[16:17] /*v[272:273]*/, v[124:125] op_sel_hi:[1,0,1]
	v_mov_b32_e32 v127, v125
	scratch_load_b64 v[124:125], off, off offset:136
	s_set_vgpr_msb 0                        ;  msbs: dst=0 src0=0 src1=0 src2=0
	v_pk_add_f32 v[122:123], v[122:123], v[126:127]
	s_wait_loadcnt 0x0
	s_delay_alu instid0(VALU_DEP_1)
	v_pk_add_f32 v[122:123], v[124:125], v[122:123] neg_lo:[0,1] neg_hi:[0,1]
	scratch_store_b64 off, v[122:123], off offset:136
	s_wait_xcnt 0x0
	v_cmpx_lt_u32_e32 16, v0
	s_cbranch_execz .LBB123_341
; %bb.340:
	scratch_load_b64 v[122:123], off, off offset:128
	v_mov_b64_e32 v[124:125], 0
	scratch_store_b64 off, v[124:125], off offset:128
	s_wait_loadcnt 0x0
	ds_store_b64 v1, v[122:123]
.LBB123_341:
	s_wait_xcnt 0x0
	s_or_b32 exec_lo, exec_lo, s0
	s_wait_storecnt_dscnt 0x0
	s_barrier_signal -1
	s_barrier_wait -1
	s_clause 0xf
	scratch_load_b128 v[126:129], off, off offset:136
	scratch_load_b128 v[134:137], off, off offset:152
	scratch_load_b128 v[142:145], off, off offset:168
	scratch_load_b128 v[150:153], off, off offset:184
	scratch_load_b128 v[158:161], off, off offset:200
	scratch_load_b128 v[166:169], off, off offset:216
	scratch_load_b128 v[174:177], off, off offset:232
	scratch_load_b128 v[182:185], off, off offset:248
	scratch_load_b128 v[190:193], off, off offset:264
	scratch_load_b128 v[198:201], off, off offset:280
	scratch_load_b128 v[206:209], off, off offset:296
	scratch_load_b128 v[214:217], off, off offset:312
	scratch_load_b128 v[222:225], off, off offset:328
	scratch_load_b128 v[230:233], off, off offset:344
	scratch_load_b128 v[238:241], off, off offset:360
	scratch_load_b128 v[246:249], off, off offset:376
	v_mov_b32_e32 v7, 0
	s_clause 0x2
	scratch_load_b128 v[254:257], off, off offset:392
	s_set_vgpr_msb 64                       ;  msbs: dst=1 src0=0 src1=0 src2=0
	scratch_load_b128 v[6:9] /*v[262:265]*/, off, off offset:408
	s_mov_b32 s0, exec_lo
	s_set_vgpr_msb 0                        ;  msbs: dst=0 src0=0 src1=0 src2=0
	ds_load_2addr_b64 v[122:125], v7 offset0:77 offset1:78
	ds_load_2addr_b64 v[130:133], v7 offset0:79 offset1:80
	s_wait_loadcnt_dscnt 0x1101
	v_dual_mul_f32 v9, v122, v127 :: v_dual_mul_f32 v11, v124, v129
	ds_load_2addr_b64 v[138:141], v7 offset0:81 offset1:82
	ds_load_2addr_b64 v[146:149], v7 offset0:83 offset1:84
	;; [unrolled: 1-line block ×4, first 2 shown]
	v_dual_fmac_f32 v9, v123, v126 :: v_dual_fmac_f32 v11, v125, v128
	ds_load_2addr_b64 v[170:173], v7 offset0:89 offset1:90
	ds_load_2addr_b64 v[178:181], v7 offset0:91 offset1:92
	;; [unrolled: 1-line block ×4, first 2 shown]
	v_add_f32_e32 v9, 0, v9
	ds_load_2addr_b64 v[202:205], v7 offset0:97 offset1:98
	ds_load_2addr_b64 v[210:213], v7 offset0:99 offset1:100
	;; [unrolled: 1-line block ×4, first 2 shown]
	v_add_f32_e32 v9, v9, v11
	s_wait_loadcnt_dscnt 0x100c
	v_mul_f32_e32 v11, v130, v135
	ds_load_2addr_b64 v[234:237], v7 offset0:105 offset1:106
	ds_load_2addr_b64 v[242:245], v7 offset0:107 offset1:108
	ds_load_2addr_b64 v[250:253], v7 offset0:109 offset1:110
	s_set_vgpr_msb 64                       ;  msbs: dst=1 src0=0 src1=0 src2=0
	ds_load_2addr_b64 v[2:5] /*v[258:261]*/, v7 offset0:111 offset1:112
	s_set_vgpr_msb 0                        ;  msbs: dst=0 src0=0 src1=0 src2=0
	v_fmac_f32_e32 v11, v131, v134
	s_set_vgpr_msb 64                       ;  msbs: dst=1 src0=0 src1=0 src2=0
	s_clause 0x3
	scratch_load_b128 v[10:13] /*v[266:269]*/, off, off offset:424
	scratch_load_b128 v[14:17] /*v[270:273]*/, off, off offset:440
	;; [unrolled: 1-line block ×3, first 2 shown]
	scratch_load_b64 v[28:29] /*v[284:285]*/, off, off offset:472
	s_set_vgpr_msb 0                        ;  msbs: dst=0 src0=0 src1=0 src2=0
	v_dual_add_f32 v9, v9, v11 :: v_dual_mul_f32 v11, v132, v137
	s_delay_alu instid0(VALU_DEP_1) | instskip(NEXT) | instid1(VALU_DEP_1)
	v_fmac_f32_e32 v11, v133, v136
	v_add_f32_e32 v9, v9, v11
	s_wait_loadcnt_dscnt 0x130f
	v_mul_f32_e32 v11, v138, v143
	s_delay_alu instid0(VALU_DEP_1) | instskip(NEXT) | instid1(VALU_DEP_1)
	v_fmac_f32_e32 v11, v139, v142
	v_dual_add_f32 v9, v9, v11 :: v_dual_mul_f32 v11, v140, v145
	s_delay_alu instid0(VALU_DEP_1) | instskip(NEXT) | instid1(VALU_DEP_1)
	v_fmac_f32_e32 v11, v141, v144
	v_add_f32_e32 v9, v9, v11
	s_wait_loadcnt_dscnt 0x120e
	v_mul_f32_e32 v11, v146, v151
	s_delay_alu instid0(VALU_DEP_1) | instskip(NEXT) | instid1(VALU_DEP_1)
	v_fmac_f32_e32 v11, v147, v150
	;; [unrolled: 8-line block ×14, first 2 shown]
	v_dual_add_f32 v9, v9, v11 :: v_dual_mul_f32 v11, v244, v249
	s_delay_alu instid0(VALU_DEP_1) | instskip(NEXT) | instid1(VALU_DEP_1)
	v_fmac_f32_e32 v11, v245, v248
	v_add_f32_e32 v9, v9, v11
	s_wait_loadcnt_dscnt 0x501
	v_mul_f32_e32 v11, v250, v255
	s_delay_alu instid0(VALU_DEP_1) | instskip(SKIP_1) | instid1(VALU_DEP_1)
	v_fmac_f32_e32 v11, v251, v254
	s_set_vgpr_msb 64                       ;  msbs: dst=1 src0=0 src1=0 src2=0
	v_add_f32_e32 v23 /*v279*/, v9, v11
	s_set_vgpr_msb 0                        ;  msbs: dst=0 src0=0 src1=0 src2=0
	v_dual_mul_f32 v9, v123, v127 :: v_dual_mul_f32 v11, v125, v129
	s_delay_alu instid0(VALU_DEP_1) | instskip(NEXT) | instid1(VALU_DEP_1)
	v_dual_fma_f32 v9, v122, v126, -v9 :: v_dual_fma_f32 v11, v124, v128, -v11
	v_add_f32_e32 v9, 0, v9
	s_delay_alu instid0(VALU_DEP_1) | instskip(SKIP_1) | instid1(VALU_DEP_1)
	v_add_f32_e32 v9, v9, v11
	v_mul_f32_e32 v11, v131, v135
	v_fma_f32 v11, v130, v134, -v11
	s_delay_alu instid0(VALU_DEP_1) | instskip(SKIP_1) | instid1(VALU_DEP_1)
	v_add_f32_e32 v9, v9, v11
	v_mul_f32_e32 v11, v133, v137
	v_fma_f32 v11, v132, v136, -v11
	ds_load_2addr_b64 v[122:125], v7 offset0:113 offset1:114
	ds_load_2addr_b64 v[126:129], v7 offset0:115 offset1:116
	;; [unrolled: 1-line block ×3, first 2 shown]
	ds_load_b64 v[134:135], v7 offset:952
	v_add_f32_e32 v9, v9, v11
	v_mul_f32_e32 v11, v139, v143
	s_wait_dscnt 0x4
	s_set_vgpr_msb 1                        ;  msbs: dst=0 src0=1 src1=0 src2=0
	v_mov_b32_e32 v139, v4 /*v260*/
	s_set_vgpr_msb 0                        ;  msbs: dst=0 src0=0 src1=0 src2=0
	v_fma_f32 v11, v138, v142, -v11
	s_set_vgpr_msb 1                        ;  msbs: dst=0 src0=1 src1=0 src2=0
	v_mov_b32_e32 v138, v5 /*v261*/
	s_set_vgpr_msb 0                        ;  msbs: dst=0 src0=0 src1=0 src2=0
	s_delay_alu instid0(VALU_DEP_2) | instskip(SKIP_1) | instid1(VALU_DEP_1)
	v_add_f32_e32 v9, v9, v11
	v_mul_f32_e32 v11, v141, v145
	v_fma_f32 v11, v140, v144, -v11
	s_wait_loadcnt 0x4
	s_set_vgpr_msb 1                        ;  msbs: dst=0 src0=1 src1=0 src2=0
	v_mov_b32_e32 v140, v9 /*v265*/
	s_set_vgpr_msb 0                        ;  msbs: dst=0 src0=0 src1=0 src2=0
	v_add_f32_e32 v9, v9, v11
	v_mul_f32_e32 v11, v147, v151
	s_delay_alu instid0(VALU_DEP_3) | instskip(NEXT) | instid1(VALU_DEP_2)
	v_pk_mul_f32 v[138:139], v[138:139], v[140:141] op_sel_hi:[1,0]
	v_fma_f32 v11, v146, v150, -v11
	s_set_vgpr_msb 5                        ;  msbs: dst=0 src0=1 src1=1 src2=0
	s_delay_alu instid0(VALU_DEP_2) | instskip(SKIP_3) | instid1(VALU_DEP_2)
	v_pk_fma_f32 v[140:141], v[4:5] /*v[260:261]*/, v[8:9] /*v[264:265]*/, v[138:139] neg_lo:[0,0,1] neg_hi:[0,0,1]
	v_pk_fma_f32 v[138:139], v[4:5] /*v[260:261]*/, v[8:9] /*v[264:265]*/, v[138:139] op_sel_hi:[1,0,1]
	s_set_vgpr_msb 0                        ;  msbs: dst=0 src0=0 src1=0 src2=0
	v_add_f32_e32 v9, v9, v11
	v_dual_mul_f32 v11, v149, v153 :: v_dual_mov_b32 v141, v139
	s_wait_loadcnt_dscnt 0x303
	s_set_vgpr_msb 4                        ;  msbs: dst=0 src0=0 src1=1 src2=0
	v_pk_mul_f32 v[138:139], v[122:123], v[10:11] /*v[266:267]*/ op_sel:[1,1] op_sel_hi:[0,1]
	s_set_vgpr_msb 0                        ;  msbs: dst=0 src0=0 src1=0 src2=0
	v_fma_f32 v11, v148, v152, -v11
	s_delay_alu instid0(VALU_DEP_1) | instskip(SKIP_1) | instid1(VALU_DEP_1)
	v_add_f32_e32 v9, v9, v11
	v_mul_f32_e32 v11, v155, v159
	v_fma_f32 v11, v154, v158, -v11
	s_delay_alu instid0(VALU_DEP_1) | instskip(SKIP_1) | instid1(VALU_DEP_1)
	v_add_f32_e32 v9, v9, v11
	v_mul_f32_e32 v11, v157, v161
	;; [unrolled: 4-line block ×25, first 2 shown]
	v_fma_f32 v11, v250, v254, -v11
	s_set_vgpr_msb 64                       ;  msbs: dst=1 src0=0 src1=0 src2=0
	s_delay_alu instid0(VALU_DEP_1) | instskip(SKIP_3) | instid1(VALU_DEP_1)
	v_add_f32_e32 v22 /*v278*/, v9, v11
	s_set_vgpr_msb 4                        ;  msbs: dst=0 src0=0 src1=1 src2=0
	v_mul_f32_e32 v9, v253, v1 /*v257*/
	s_set_vgpr_msb 0x44                     ;  msbs: dst=1 src0=0 src1=1 src2=0
	v_dual_mul_f32 v25 /*v281*/, v252, v1 /*v257*/ :: v_dual_fma_f32 v24 /*v280*/, v252, v0 /*v256*/, -v9
	s_set_vgpr_msb 5                        ;  msbs: dst=0 src0=1 src1=1 src2=0
	v_mul_f32_e32 v9, v3 /*v259*/, v7 /*v263*/
	s_set_vgpr_msb 0x44                     ;  msbs: dst=1 src0=0 src1=1 src2=0
	s_delay_alu instid0(VALU_DEP_2) | instskip(SKIP_1) | instid1(VALU_DEP_2)
	v_fmac_f32_e32 v25 /*v281*/, v253, v0 /*v256*/
	s_set_vgpr_msb 0x45                     ;  msbs: dst=1 src0=1 src1=1 src2=0
	v_dual_mul_f32 v27 /*v283*/, v2 /*v258*/, v7 /*v263*/ :: v_dual_fma_f32 v26 /*v282*/, v2 /*v258*/, v6 /*v262*/, -v9
	s_set_vgpr_msb 5                        ;  msbs: dst=0 src0=1 src1=1 src2=0
	s_delay_alu instid0(VALU_DEP_2) | instskip(SKIP_1) | instid1(VALU_DEP_2)
	v_pk_add_f32 v[136:137], v[22:23] /*v[278:279]*/, v[24:25] /*v[280:281]*/
	s_set_vgpr_msb 0x45                     ;  msbs: dst=1 src0=1 src1=1 src2=0
	v_fmac_f32_e32 v27 /*v283*/, v3 /*v259*/, v6 /*v262*/
	s_set_vgpr_msb 4                        ;  msbs: dst=0 src0=0 src1=1 src2=0
	s_delay_alu instid0(VALU_DEP_1) | instskip(SKIP_1) | instid1(VALU_DEP_1)
	v_pk_add_f32 v[136:137], v[136:137], v[26:27] /*v[282:283]*/
	s_set_vgpr_msb 0                        ;  msbs: dst=0 src0=0 src1=0 src2=0
	v_pk_add_f32 v[136:137], v[136:137], v[140:141]
	s_set_vgpr_msb 4                        ;  msbs: dst=0 src0=0 src1=1 src2=0
	v_pk_fma_f32 v[140:141], v[122:123], v[10:11] /*v[266:267]*/, v[138:139] neg_lo:[0,0,1] neg_hi:[0,0,1]
	v_pk_fma_f32 v[122:123], v[122:123], v[10:11] /*v[266:267]*/, v[138:139] op_sel_hi:[1,0,1]
	s_set_vgpr_msb 1                        ;  msbs: dst=0 src0=1 src1=0 src2=0
	v_mov_b32_e32 v138, v13 /*v269*/
	s_set_vgpr_msb 0                        ;  msbs: dst=0 src0=0 src1=0 src2=0
	s_delay_alu instid0(VALU_DEP_2) | instskip(NEXT) | instid1(VALU_DEP_1)
	v_mov_b32_e32 v141, v123
	v_pk_add_f32 v[122:123], v[136:137], v[140:141]
	v_dual_mov_b32 v136, v125 :: v_dual_mov_b32 v137, v124
	s_delay_alu instid0(VALU_DEP_1) | instskip(SKIP_1) | instid1(VALU_DEP_1)
	v_pk_mul_f32 v[136:137], v[136:137], v[138:139] op_sel_hi:[1,0]
	s_set_vgpr_msb 4                        ;  msbs: dst=0 src0=0 src1=1 src2=0
	v_pk_fma_f32 v[138:139], v[124:125], v[12:13] /*v[268:269]*/, v[136:137] neg_lo:[0,0,1] neg_hi:[0,0,1]
	v_pk_fma_f32 v[124:125], v[124:125], v[12:13] /*v[268:269]*/, v[136:137] op_sel_hi:[1,0,1]
	s_delay_alu instid0(VALU_DEP_1) | instskip(SKIP_3) | instid1(VALU_DEP_2)
	v_mov_b32_e32 v139, v125
	s_wait_loadcnt_dscnt 0x202
	v_pk_mul_f32 v[124:125], v[126:127], v[14:15] /*v[270:271]*/ op_sel:[1,1] op_sel_hi:[0,1]
	s_set_vgpr_msb 0                        ;  msbs: dst=0 src0=0 src1=0 src2=0
	v_pk_add_f32 v[122:123], v[122:123], v[138:139]
	s_set_vgpr_msb 4                        ;  msbs: dst=0 src0=0 src1=1 src2=0
	s_delay_alu instid0(VALU_DEP_2)
	v_pk_fma_f32 v[136:137], v[126:127], v[14:15] /*v[270:271]*/, v[124:125] neg_lo:[0,0,1] neg_hi:[0,0,1]
	v_pk_fma_f32 v[124:125], v[126:127], v[14:15] /*v[270:271]*/, v[124:125] op_sel_hi:[1,0,1]
	v_mov_b32_e32 v124, v129
	s_set_vgpr_msb 1                        ;  msbs: dst=0 src0=1 src1=0 src2=0
	v_mov_b32_e32 v126, v17 /*v273*/
	s_set_vgpr_msb 0                        ;  msbs: dst=0 src0=0 src1=0 src2=0
	v_dual_mov_b32 v137, v125 :: v_dual_mov_b32 v125, v128
	s_delay_alu instid0(VALU_DEP_1) | instskip(NEXT) | instid1(VALU_DEP_2)
	v_pk_add_f32 v[122:123], v[122:123], v[136:137]
	v_pk_mul_f32 v[124:125], v[124:125], v[126:127] op_sel_hi:[1,0]
	s_set_vgpr_msb 4                        ;  msbs: dst=0 src0=0 src1=1 src2=0
	s_delay_alu instid0(VALU_DEP_1) | instskip(SKIP_1) | instid1(VALU_DEP_1)
	v_pk_fma_f32 v[126:127], v[128:129], v[16:17] /*v[272:273]*/, v[124:125] neg_lo:[0,0,1] neg_hi:[0,0,1]
	v_pk_fma_f32 v[124:125], v[128:129], v[16:17] /*v[272:273]*/, v[124:125] op_sel_hi:[1,0,1]
	v_mov_b32_e32 v127, v125
	s_wait_loadcnt_dscnt 0x101
	v_pk_mul_f32 v[124:125], v[130:131], v[18:19] /*v[274:275]*/ op_sel:[1,1] op_sel_hi:[0,1]
	s_set_vgpr_msb 0                        ;  msbs: dst=0 src0=0 src1=0 src2=0
	s_delay_alu instid0(VALU_DEP_2) | instskip(SKIP_1) | instid1(VALU_DEP_2)
	v_pk_add_f32 v[122:123], v[122:123], v[126:127]
	s_set_vgpr_msb 4                        ;  msbs: dst=0 src0=0 src1=1 src2=0
	v_pk_fma_f32 v[126:127], v[130:131], v[18:19] /*v[274:275]*/, v[124:125] neg_lo:[0,0,1] neg_hi:[0,0,1]
	v_pk_fma_f32 v[124:125], v[130:131], v[18:19] /*v[274:275]*/, v[124:125] op_sel_hi:[1,0,1]
	s_delay_alu instid0(VALU_DEP_1) | instskip(SKIP_2) | instid1(VALU_DEP_2)
	v_dual_mov_b32 v124, v133 :: v_dual_mov_b32 v127, v125
	v_mov_b32_e32 v125, v132
	s_set_vgpr_msb 0                        ;  msbs: dst=0 src0=0 src1=0 src2=0
	v_pk_add_f32 v[122:123], v[122:123], v[126:127]
	s_set_vgpr_msb 1                        ;  msbs: dst=0 src0=1 src1=0 src2=0
	v_mov_b32_e32 v126, v21 /*v277*/
	s_set_vgpr_msb 0                        ;  msbs: dst=0 src0=0 src1=0 src2=0
	s_delay_alu instid0(VALU_DEP_1) | instskip(SKIP_1) | instid1(VALU_DEP_1)
	v_pk_mul_f32 v[124:125], v[124:125], v[126:127] op_sel_hi:[1,0]
	s_set_vgpr_msb 4                        ;  msbs: dst=0 src0=0 src1=1 src2=0
	v_pk_fma_f32 v[126:127], v[132:133], v[20:21] /*v[276:277]*/, v[124:125] neg_lo:[0,0,1] neg_hi:[0,0,1]
	v_pk_fma_f32 v[124:125], v[132:133], v[20:21] /*v[276:277]*/, v[124:125] op_sel_hi:[1,0,1]
	s_delay_alu instid0(VALU_DEP_1) | instskip(SKIP_3) | instid1(VALU_DEP_2)
	v_mov_b32_e32 v127, v125
	s_wait_loadcnt_dscnt 0x0
	v_pk_mul_f32 v[124:125], v[134:135], v[28:29] /*v[284:285]*/ op_sel:[1,1] op_sel_hi:[0,1]
	s_set_vgpr_msb 0                        ;  msbs: dst=0 src0=0 src1=0 src2=0
	v_pk_add_f32 v[122:123], v[122:123], v[126:127]
	s_set_vgpr_msb 4                        ;  msbs: dst=0 src0=0 src1=1 src2=0
	s_delay_alu instid0(VALU_DEP_2) | instskip(SKIP_1) | instid1(VALU_DEP_1)
	v_pk_fma_f32 v[126:127], v[134:135], v[28:29] /*v[284:285]*/, v[124:125] neg_lo:[0,0,1] neg_hi:[0,0,1]
	v_pk_fma_f32 v[124:125], v[134:135], v[28:29] /*v[284:285]*/, v[124:125] op_sel_hi:[1,0,1]
	v_mov_b32_e32 v127, v125
	scratch_load_b64 v[124:125], off, off offset:128
	s_set_vgpr_msb 0                        ;  msbs: dst=0 src0=0 src1=0 src2=0
	v_pk_add_f32 v[122:123], v[122:123], v[126:127]
	s_wait_loadcnt 0x0
	s_delay_alu instid0(VALU_DEP_1)
	v_pk_add_f32 v[122:123], v[124:125], v[122:123] neg_lo:[0,1] neg_hi:[0,1]
	scratch_store_b64 off, v[122:123], off offset:128
	s_wait_xcnt 0x0
	v_cmpx_lt_u32_e32 15, v0
	s_cbranch_execz .LBB123_343
; %bb.342:
	scratch_load_b64 v[122:123], off, off offset:120
	v_mov_b64_e32 v[124:125], 0
	scratch_store_b64 off, v[124:125], off offset:120
	s_wait_loadcnt 0x0
	ds_store_b64 v1, v[122:123]
.LBB123_343:
	s_wait_xcnt 0x0
	s_or_b32 exec_lo, exec_lo, s0
	s_wait_storecnt_dscnt 0x0
	s_barrier_signal -1
	s_barrier_wait -1
	ds_load_b128 v[122:125], v7 offset:608
	ds_load_b128 v[126:129], v7 offset:624
	;; [unrolled: 1-line block ×4, first 2 shown]
	s_clause 0x12
	scratch_load_b128 v[138:141], off, off offset:128
	scratch_load_b128 v[142:145], off, off offset:144
	;; [unrolled: 1-line block ×17, first 2 shown]
	s_set_vgpr_msb 64                       ;  msbs: dst=1 src0=0 src1=0 src2=0
	scratch_load_b128 v[6:9] /*v[262:265]*/, off, off offset:400
	s_set_vgpr_msb 0                        ;  msbs: dst=0 src0=0 src1=0 src2=0
	ds_load_b128 v[154:157], v7 offset:672
	ds_load_b128 v[162:165], v7 offset:688
	;; [unrolled: 1-line block ×13, first 2 shown]
	s_set_vgpr_msb 64                       ;  msbs: dst=1 src0=0 src1=0 src2=0
	ds_load_b128 v[2:5] /*v[258:261]*/, v7 offset:880
	s_clause 0x3
	scratch_load_b128 v[10:13] /*v[266:269]*/, off, off offset:416
	scratch_load_b128 v[14:17] /*v[270:273]*/, off, off offset:432
	;; [unrolled: 1-line block ×4, first 2 shown]
	s_mov_b32 s0, exec_lo
	s_wait_loadcnt_dscnt 0x1511
	s_set_vgpr_msb 0                        ;  msbs: dst=0 src0=0 src1=0 src2=0
	v_dual_mul_f32 v9, v122, v139 :: v_dual_mul_f32 v11, v124, v141
	s_delay_alu instid0(VALU_DEP_1) | instskip(NEXT) | instid1(VALU_DEP_1)
	v_dual_fmac_f32 v9, v123, v138 :: v_dual_fmac_f32 v11, v125, v140
	v_add_f32_e32 v9, 0, v9
	s_delay_alu instid0(VALU_DEP_1)
	v_add_f32_e32 v9, v9, v11
	s_wait_loadcnt_dscnt 0x1410
	v_mul_f32_e32 v11, v126, v143
	s_wait_loadcnt_dscnt 0x400
	s_set_vgpr_msb 0x45                     ;  msbs: dst=1 src0=1 src1=1 src2=0
	v_dual_mul_f32 v29 /*v285*/, v2 /*v258*/, v7 /*v263*/ :: v_dual_mul_f32 v31 /*v287*/, v4 /*v260*/, v9 /*v265*/
	s_set_vgpr_msb 0                        ;  msbs: dst=0 src0=0 src1=0 src2=0
	v_fmac_f32_e32 v11, v127, v142
	s_set_vgpr_msb 0x45                     ;  msbs: dst=1 src0=1 src1=1 src2=0
	s_delay_alu instid0(VALU_DEP_2) | instskip(SKIP_1) | instid1(VALU_DEP_2)
	v_dual_fmac_f32 v29 /*v285*/, v3 /*v259*/, v6 /*v262*/ :: v_dual_fmac_f32 v31 /*v287*/, v5 /*v261*/, v8 /*v264*/
	s_set_vgpr_msb 0                        ;  msbs: dst=0 src0=0 src1=0 src2=0
	v_dual_add_f32 v9, v9, v11 :: v_dual_mul_f32 v11, v128, v145
	s_delay_alu instid0(VALU_DEP_1) | instskip(NEXT) | instid1(VALU_DEP_1)
	v_fmac_f32_e32 v11, v129, v144
	v_add_f32_e32 v9, v9, v11
	v_mul_f32_e32 v11, v130, v147
	s_delay_alu instid0(VALU_DEP_1) | instskip(NEXT) | instid1(VALU_DEP_1)
	v_fmac_f32_e32 v11, v131, v146
	v_dual_add_f32 v9, v9, v11 :: v_dual_mul_f32 v11, v132, v149
	s_delay_alu instid0(VALU_DEP_1) | instskip(NEXT) | instid1(VALU_DEP_1)
	v_fmac_f32_e32 v11, v133, v148
	v_add_f32_e32 v9, v9, v11
	v_mul_f32_e32 v11, v134, v151
	s_delay_alu instid0(VALU_DEP_1) | instskip(NEXT) | instid1(VALU_DEP_1)
	v_fmac_f32_e32 v11, v135, v150
	;; [unrolled: 7-line block ×15, first 2 shown]
	v_add_f32_e32 v9, v9, v11
	s_set_vgpr_msb 4                        ;  msbs: dst=0 src0=0 src1=1 src2=0
	v_mul_f32_e32 v11, v252, v1 /*v257*/
	s_delay_alu instid0(VALU_DEP_1) | instskip(SKIP_1) | instid1(VALU_DEP_1)
	v_fmac_f32_e32 v11, v253, v0 /*v256*/
	s_set_vgpr_msb 64                       ;  msbs: dst=1 src0=0 src1=0 src2=0
	v_add_f32_e32 v27 /*v283*/, v9, v11
	s_set_vgpr_msb 0                        ;  msbs: dst=0 src0=0 src1=0 src2=0
	v_dual_mul_f32 v9, v123, v139 :: v_dual_mul_f32 v11, v125, v141
	s_delay_alu instid0(VALU_DEP_1) | instskip(NEXT) | instid1(VALU_DEP_1)
	v_dual_fma_f32 v9, v122, v138, -v9 :: v_dual_fma_f32 v11, v124, v140, -v11
	v_add_f32_e32 v9, 0, v9
	s_delay_alu instid0(VALU_DEP_1) | instskip(SKIP_1) | instid1(VALU_DEP_1)
	v_add_f32_e32 v9, v9, v11
	v_mul_f32_e32 v11, v127, v143
	v_fma_f32 v11, v126, v142, -v11
	s_delay_alu instid0(VALU_DEP_1) | instskip(SKIP_1) | instid1(VALU_DEP_1)
	v_add_f32_e32 v9, v9, v11
	v_mul_f32_e32 v11, v129, v145
	v_fma_f32 v11, v128, v144, -v11
	;; [unrolled: 4-line block ×6, first 2 shown]
	ds_load_b128 v[122:125], v7 offset:896
	ds_load_b128 v[126:129], v7 offset:912
	;; [unrolled: 1-line block ×4, first 2 shown]
	v_add_f32_e32 v9, v9, v11
	v_mul_f32_e32 v11, v155, v159
	s_delay_alu instid0(VALU_DEP_1) | instskip(NEXT) | instid1(VALU_DEP_1)
	v_fma_f32 v11, v154, v158, -v11
	v_add_f32_e32 v9, v9, v11
	v_mul_f32_e32 v11, v157, v161
	s_wait_loadcnt_dscnt 0x303
	s_set_vgpr_msb 4                        ;  msbs: dst=0 src0=0 src1=1 src2=0
	v_pk_mul_f32 v[140:141], v[122:123], v[10:11] /*v[266:267]*/ op_sel:[1,1] op_sel_hi:[0,1]
	s_set_vgpr_msb 0                        ;  msbs: dst=0 src0=0 src1=0 src2=0
	v_fma_f32 v11, v156, v160, -v11
	s_set_vgpr_msb 4                        ;  msbs: dst=0 src0=0 src1=1 src2=0
	s_delay_alu instid0(VALU_DEP_2)
	v_pk_fma_f32 v[142:143], v[122:123], v[10:11] /*v[266:267]*/, v[140:141] neg_lo:[0,0,1] neg_hi:[0,0,1]
	v_pk_fma_f32 v[122:123], v[122:123], v[10:11] /*v[266:267]*/, v[140:141] op_sel_hi:[1,0,1]
	s_set_vgpr_msb 1                        ;  msbs: dst=0 src0=1 src1=0 src2=0
	v_mov_b32_e32 v140, v13 /*v269*/
	s_set_vgpr_msb 0                        ;  msbs: dst=0 src0=0 src1=0 src2=0
	v_add_f32_e32 v9, v9, v11
	v_mul_f32_e32 v11, v163, v167
	s_delay_alu instid0(VALU_DEP_1) | instskip(NEXT) | instid1(VALU_DEP_1)
	v_dual_mov_b32 v143, v123 :: v_dual_fma_f32 v11, v162, v166, -v11
	v_add_f32_e32 v9, v9, v11
	v_mul_f32_e32 v11, v165, v169
	s_delay_alu instid0(VALU_DEP_1) | instskip(NEXT) | instid1(VALU_DEP_1)
	v_fma_f32 v11, v164, v168, -v11
	v_add_f32_e32 v9, v9, v11
	v_mul_f32_e32 v11, v171, v175
	s_delay_alu instid0(VALU_DEP_1) | instskip(NEXT) | instid1(VALU_DEP_1)
	v_fma_f32 v11, v170, v174, -v11
	;; [unrolled: 4-line block ×22, first 2 shown]
	v_add_f32_e32 v9, v9, v11
	s_set_vgpr_msb 4                        ;  msbs: dst=0 src0=0 src1=1 src2=0
	v_mul_f32_e32 v11, v253, v1 /*v257*/
	s_delay_alu instid0(VALU_DEP_1) | instskip(SKIP_1) | instid1(VALU_DEP_1)
	v_fma_f32 v11, v252, v0 /*v256*/, -v11
	s_set_vgpr_msb 64                       ;  msbs: dst=1 src0=0 src1=0 src2=0
	v_add_f32_e32 v26 /*v282*/, v9, v11
	s_set_vgpr_msb 5                        ;  msbs: dst=0 src0=1 src1=1 src2=0
	v_mul_f32_e32 v9, v3 /*v259*/, v7 /*v263*/
	s_set_vgpr_msb 0x45                     ;  msbs: dst=1 src0=1 src1=1 src2=0
	s_delay_alu instid0(VALU_DEP_1) | instskip(SKIP_3) | instid1(VALU_DEP_1)
	v_fma_f32 v28 /*v284*/, v2 /*v258*/, v6 /*v262*/, -v9
	s_set_vgpr_msb 5                        ;  msbs: dst=0 src0=1 src1=1 src2=0
	v_mul_f32_e32 v9, v5 /*v261*/, v9 /*v265*/
	s_set_vgpr_msb 0x45                     ;  msbs: dst=1 src0=1 src1=1 src2=0
	v_fma_f32 v30 /*v286*/, v4 /*v260*/, v8 /*v264*/, -v9
	s_set_vgpr_msb 5                        ;  msbs: dst=0 src0=1 src1=1 src2=0
	v_pk_add_f32 v[138:139], v[26:27] /*v[282:283]*/, v[28:29] /*v[284:285]*/
	s_set_vgpr_msb 4                        ;  msbs: dst=0 src0=0 src1=1 src2=0
	s_delay_alu instid0(VALU_DEP_1) | instskip(SKIP_1) | instid1(VALU_DEP_1)
	v_pk_add_f32 v[138:139], v[138:139], v[30:31] /*v[286:287]*/
	s_set_vgpr_msb 0                        ;  msbs: dst=0 src0=0 src1=0 src2=0
	v_pk_add_f32 v[122:123], v[138:139], v[142:143]
	v_dual_mov_b32 v138, v125 :: v_dual_mov_b32 v139, v124
	s_delay_alu instid0(VALU_DEP_1) | instskip(SKIP_1) | instid1(VALU_DEP_1)
	v_pk_mul_f32 v[138:139], v[138:139], v[140:141] op_sel_hi:[1,0]
	s_set_vgpr_msb 4                        ;  msbs: dst=0 src0=0 src1=1 src2=0
	v_pk_fma_f32 v[140:141], v[124:125], v[12:13] /*v[268:269]*/, v[138:139] neg_lo:[0,0,1] neg_hi:[0,0,1]
	v_pk_fma_f32 v[124:125], v[124:125], v[12:13] /*v[268:269]*/, v[138:139] op_sel_hi:[1,0,1]
	s_delay_alu instid0(VALU_DEP_1) | instskip(SKIP_3) | instid1(VALU_DEP_2)
	v_mov_b32_e32 v141, v125
	s_wait_loadcnt_dscnt 0x202
	v_pk_mul_f32 v[124:125], v[126:127], v[14:15] /*v[270:271]*/ op_sel:[1,1] op_sel_hi:[0,1]
	s_set_vgpr_msb 0                        ;  msbs: dst=0 src0=0 src1=0 src2=0
	v_pk_add_f32 v[122:123], v[122:123], v[140:141]
	s_set_vgpr_msb 4                        ;  msbs: dst=0 src0=0 src1=1 src2=0
	s_delay_alu instid0(VALU_DEP_2)
	v_pk_fma_f32 v[138:139], v[126:127], v[14:15] /*v[270:271]*/, v[124:125] neg_lo:[0,0,1] neg_hi:[0,0,1]
	v_pk_fma_f32 v[124:125], v[126:127], v[14:15] /*v[270:271]*/, v[124:125] op_sel_hi:[1,0,1]
	v_mov_b32_e32 v124, v129
	s_set_vgpr_msb 1                        ;  msbs: dst=0 src0=1 src1=0 src2=0
	v_mov_b32_e32 v126, v17 /*v273*/
	s_set_vgpr_msb 0                        ;  msbs: dst=0 src0=0 src1=0 src2=0
	v_dual_mov_b32 v139, v125 :: v_dual_mov_b32 v125, v128
	s_delay_alu instid0(VALU_DEP_1) | instskip(NEXT) | instid1(VALU_DEP_2)
	v_pk_add_f32 v[122:123], v[122:123], v[138:139]
	v_pk_mul_f32 v[124:125], v[124:125], v[126:127] op_sel_hi:[1,0]
	s_set_vgpr_msb 4                        ;  msbs: dst=0 src0=0 src1=1 src2=0
	s_delay_alu instid0(VALU_DEP_1) | instskip(SKIP_1) | instid1(VALU_DEP_1)
	v_pk_fma_f32 v[126:127], v[128:129], v[16:17] /*v[272:273]*/, v[124:125] neg_lo:[0,0,1] neg_hi:[0,0,1]
	v_pk_fma_f32 v[124:125], v[128:129], v[16:17] /*v[272:273]*/, v[124:125] op_sel_hi:[1,0,1]
	v_mov_b32_e32 v127, v125
	s_wait_loadcnt_dscnt 0x101
	v_pk_mul_f32 v[124:125], v[130:131], v[18:19] /*v[274:275]*/ op_sel:[1,1] op_sel_hi:[0,1]
	s_set_vgpr_msb 0                        ;  msbs: dst=0 src0=0 src1=0 src2=0
	s_delay_alu instid0(VALU_DEP_2) | instskip(SKIP_1) | instid1(VALU_DEP_2)
	v_pk_add_f32 v[122:123], v[122:123], v[126:127]
	s_set_vgpr_msb 4                        ;  msbs: dst=0 src0=0 src1=1 src2=0
	v_pk_fma_f32 v[126:127], v[130:131], v[18:19] /*v[274:275]*/, v[124:125] neg_lo:[0,0,1] neg_hi:[0,0,1]
	v_pk_fma_f32 v[124:125], v[130:131], v[18:19] /*v[274:275]*/, v[124:125] op_sel_hi:[1,0,1]
	s_delay_alu instid0(VALU_DEP_1) | instskip(SKIP_2) | instid1(VALU_DEP_2)
	v_dual_mov_b32 v124, v133 :: v_dual_mov_b32 v127, v125
	v_mov_b32_e32 v125, v132
	s_set_vgpr_msb 0                        ;  msbs: dst=0 src0=0 src1=0 src2=0
	v_pk_add_f32 v[122:123], v[122:123], v[126:127]
	s_set_vgpr_msb 1                        ;  msbs: dst=0 src0=1 src1=0 src2=0
	v_mov_b32_e32 v126, v21 /*v277*/
	s_set_vgpr_msb 0                        ;  msbs: dst=0 src0=0 src1=0 src2=0
	s_delay_alu instid0(VALU_DEP_1) | instskip(SKIP_1) | instid1(VALU_DEP_1)
	v_pk_mul_f32 v[124:125], v[124:125], v[126:127] op_sel_hi:[1,0]
	s_set_vgpr_msb 4                        ;  msbs: dst=0 src0=0 src1=1 src2=0
	v_pk_fma_f32 v[126:127], v[132:133], v[20:21] /*v[276:277]*/, v[124:125] neg_lo:[0,0,1] neg_hi:[0,0,1]
	v_pk_fma_f32 v[124:125], v[132:133], v[20:21] /*v[276:277]*/, v[124:125] op_sel_hi:[1,0,1]
	s_delay_alu instid0(VALU_DEP_1) | instskip(SKIP_3) | instid1(VALU_DEP_2)
	v_mov_b32_e32 v127, v125
	s_wait_loadcnt_dscnt 0x0
	v_pk_mul_f32 v[124:125], v[134:135], v[22:23] /*v[278:279]*/ op_sel:[1,1] op_sel_hi:[0,1]
	s_set_vgpr_msb 0                        ;  msbs: dst=0 src0=0 src1=0 src2=0
	v_pk_add_f32 v[122:123], v[122:123], v[126:127]
	s_set_vgpr_msb 4                        ;  msbs: dst=0 src0=0 src1=1 src2=0
	s_delay_alu instid0(VALU_DEP_2) | instskip(SKIP_1) | instid1(VALU_DEP_1)
	v_pk_fma_f32 v[126:127], v[134:135], v[22:23] /*v[278:279]*/, v[124:125] neg_lo:[0,0,1] neg_hi:[0,0,1]
	v_pk_fma_f32 v[124:125], v[134:135], v[22:23] /*v[278:279]*/, v[124:125] op_sel_hi:[1,0,1]
	v_dual_mov_b32 v124, v137 :: v_dual_mov_b32 v127, v125
	v_mov_b32_e32 v125, v136
	s_set_vgpr_msb 0                        ;  msbs: dst=0 src0=0 src1=0 src2=0
	s_delay_alu instid0(VALU_DEP_2) | instskip(SKIP_3) | instid1(VALU_DEP_1)
	v_pk_add_f32 v[122:123], v[122:123], v[126:127]
	s_set_vgpr_msb 1                        ;  msbs: dst=0 src0=1 src1=0 src2=0
	v_mov_b32_e32 v126, v25 /*v281*/
	s_set_vgpr_msb 0                        ;  msbs: dst=0 src0=0 src1=0 src2=0
	v_pk_mul_f32 v[124:125], v[124:125], v[126:127] op_sel_hi:[1,0]
	s_set_vgpr_msb 4                        ;  msbs: dst=0 src0=0 src1=1 src2=0
	s_delay_alu instid0(VALU_DEP_1) | instskip(SKIP_1) | instid1(VALU_DEP_1)
	v_pk_fma_f32 v[126:127], v[136:137], v[24:25] /*v[280:281]*/, v[124:125] neg_lo:[0,0,1] neg_hi:[0,0,1]
	v_pk_fma_f32 v[124:125], v[136:137], v[24:25] /*v[280:281]*/, v[124:125] op_sel_hi:[1,0,1]
	v_mov_b32_e32 v127, v125
	scratch_load_b64 v[124:125], off, off offset:120
	s_set_vgpr_msb 0                        ;  msbs: dst=0 src0=0 src1=0 src2=0
	v_pk_add_f32 v[122:123], v[122:123], v[126:127]
	s_wait_loadcnt 0x0
	s_delay_alu instid0(VALU_DEP_1)
	v_pk_add_f32 v[122:123], v[124:125], v[122:123] neg_lo:[0,1] neg_hi:[0,1]
	scratch_store_b64 off, v[122:123], off offset:120
	s_wait_xcnt 0x0
	v_cmpx_lt_u32_e32 14, v0
	s_cbranch_execz .LBB123_345
; %bb.344:
	scratch_load_b64 v[122:123], off, off offset:112
	v_mov_b64_e32 v[124:125], 0
	scratch_store_b64 off, v[124:125], off offset:112
	s_wait_loadcnt 0x0
	ds_store_b64 v1, v[122:123]
.LBB123_345:
	s_wait_xcnt 0x0
	s_or_b32 exec_lo, exec_lo, s0
	s_wait_storecnt_dscnt 0x0
	s_barrier_signal -1
	s_barrier_wait -1
	s_clause 0xf
	scratch_load_b128 v[126:129], off, off offset:120
	scratch_load_b128 v[134:137], off, off offset:136
	;; [unrolled: 1-line block ×16, first 2 shown]
	v_mov_b32_e32 v7, 0
	s_clause 0x3
	scratch_load_b128 v[254:257], off, off offset:376
	s_set_vgpr_msb 64                       ;  msbs: dst=1 src0=0 src1=0 src2=0
	scratch_load_b128 v[6:9] /*v[262:265]*/, off, off offset:392
	scratch_load_b128 v[14:17] /*v[270:273]*/, off, off offset:408
	s_mov_b32 s0, exec_lo
	s_set_vgpr_msb 0                        ;  msbs: dst=0 src0=0 src1=0 src2=0
	ds_load_2addr_b64 v[122:125], v7 offset0:75 offset1:76
	ds_load_2addr_b64 v[130:133], v7 offset0:77 offset1:78
	s_wait_loadcnt_dscnt 0x1201
	v_dual_mul_f32 v9, v122, v127 :: v_dual_mul_f32 v11, v124, v129
	ds_load_2addr_b64 v[138:141], v7 offset0:79 offset1:80
	ds_load_2addr_b64 v[146:149], v7 offset0:81 offset1:82
	;; [unrolled: 1-line block ×4, first 2 shown]
	v_dual_fmac_f32 v9, v123, v126 :: v_dual_fmac_f32 v11, v125, v128
	ds_load_2addr_b64 v[170:173], v7 offset0:87 offset1:88
	ds_load_2addr_b64 v[178:181], v7 offset0:89 offset1:90
	;; [unrolled: 1-line block ×4, first 2 shown]
	v_add_f32_e32 v9, 0, v9
	ds_load_2addr_b64 v[202:205], v7 offset0:95 offset1:96
	ds_load_2addr_b64 v[210:213], v7 offset0:97 offset1:98
	;; [unrolled: 1-line block ×4, first 2 shown]
	v_add_f32_e32 v9, v9, v11
	s_wait_loadcnt_dscnt 0x110c
	v_mul_f32_e32 v11, v130, v135
	ds_load_2addr_b64 v[234:237], v7 offset0:103 offset1:104
	ds_load_2addr_b64 v[242:245], v7 offset0:105 offset1:106
	;; [unrolled: 1-line block ×3, first 2 shown]
	s_set_vgpr_msb 64                       ;  msbs: dst=1 src0=0 src1=0 src2=0
	ds_load_2addr_b64 v[2:5] /*v[258:261]*/, v7 offset0:109 offset1:110
	s_set_vgpr_msb 0                        ;  msbs: dst=0 src0=0 src1=0 src2=0
	v_fmac_f32_e32 v11, v131, v134
	s_set_vgpr_msb 64                       ;  msbs: dst=1 src0=0 src1=0 src2=0
	ds_load_2addr_b64 v[10:13] /*v[266:269]*/, v7 offset0:111 offset1:112
	s_clause 0x3
	scratch_load_b128 v[18:21] /*v[274:277]*/, off, off offset:424
	scratch_load_b128 v[22:25] /*v[278:281]*/, off, off offset:440
	;; [unrolled: 1-line block ×3, first 2 shown]
	scratch_load_b64 v[36:37] /*v[292:293]*/, off, off offset:472
	s_set_vgpr_msb 0                        ;  msbs: dst=0 src0=0 src1=0 src2=0
	v_dual_add_f32 v9, v9, v11 :: v_dual_mul_f32 v11, v132, v137
	s_delay_alu instid0(VALU_DEP_1) | instskip(NEXT) | instid1(VALU_DEP_1)
	v_fmac_f32_e32 v11, v133, v136
	v_add_f32_e32 v9, v9, v11
	s_wait_loadcnt_dscnt 0x1410
	v_mul_f32_e32 v11, v138, v143
	s_wait_loadcnt_dscnt 0x400
	s_set_vgpr_msb 0x45                     ;  msbs: dst=1 src0=1 src1=1 src2=0
	v_dual_mul_f32 v33 /*v289*/, v4 /*v260*/, v9 /*v265*/ :: v_dual_mul_f32 v35 /*v291*/, v10 /*v266*/, v15 /*v271*/
	s_set_vgpr_msb 0                        ;  msbs: dst=0 src0=0 src1=0 src2=0
	v_fmac_f32_e32 v11, v139, v142
	s_set_vgpr_msb 0x45                     ;  msbs: dst=1 src0=1 src1=1 src2=0
	s_delay_alu instid0(VALU_DEP_2) | instskip(SKIP_1) | instid1(VALU_DEP_2)
	v_dual_fmac_f32 v33 /*v289*/, v5 /*v261*/, v8 /*v264*/ :: v_dual_fmac_f32 v35 /*v291*/, v11 /*v267*/, v14 /*v270*/
	s_set_vgpr_msb 0                        ;  msbs: dst=0 src0=0 src1=0 src2=0
	v_dual_add_f32 v9, v9, v11 :: v_dual_mul_f32 v11, v140, v145
	s_delay_alu instid0(VALU_DEP_1) | instskip(NEXT) | instid1(VALU_DEP_1)
	v_fmac_f32_e32 v11, v141, v144
	v_add_f32_e32 v9, v9, v11
	v_mul_f32_e32 v11, v146, v151
	s_delay_alu instid0(VALU_DEP_1) | instskip(NEXT) | instid1(VALU_DEP_1)
	v_fmac_f32_e32 v11, v147, v150
	v_dual_add_f32 v9, v9, v11 :: v_dual_mul_f32 v11, v148, v153
	s_delay_alu instid0(VALU_DEP_1) | instskip(NEXT) | instid1(VALU_DEP_1)
	v_fmac_f32_e32 v11, v149, v152
	v_add_f32_e32 v9, v9, v11
	v_mul_f32_e32 v11, v154, v159
	s_delay_alu instid0(VALU_DEP_1) | instskip(NEXT) | instid1(VALU_DEP_1)
	v_fmac_f32_e32 v11, v155, v158
	;; [unrolled: 7-line block ×14, first 2 shown]
	v_add_f32_e32 v9, v9, v11
	s_set_vgpr_msb 4                        ;  msbs: dst=0 src0=0 src1=1 src2=0
	v_mul_f32_e32 v11, v252, v1 /*v257*/
	s_delay_alu instid0(VALU_DEP_1) | instskip(SKIP_1) | instid1(VALU_DEP_1)
	v_fmac_f32_e32 v11, v253, v0 /*v256*/
	s_set_vgpr_msb 0                        ;  msbs: dst=0 src0=0 src1=0 src2=0
	v_add_f32_e32 v9, v9, v11
	s_set_vgpr_msb 5                        ;  msbs: dst=0 src0=1 src1=1 src2=0
	v_mul_f32_e32 v11, v2 /*v258*/, v7 /*v263*/
	s_delay_alu instid0(VALU_DEP_1) | instskip(SKIP_1) | instid1(VALU_DEP_1)
	v_fmac_f32_e32 v11, v3 /*v259*/, v6 /*v262*/
	s_set_vgpr_msb 64                       ;  msbs: dst=1 src0=0 src1=0 src2=0
	v_add_f32_e32 v31 /*v287*/, v9, v11
	s_set_vgpr_msb 0                        ;  msbs: dst=0 src0=0 src1=0 src2=0
	v_dual_mul_f32 v9, v123, v127 :: v_dual_mul_f32 v11, v125, v129
	s_delay_alu instid0(VALU_DEP_1) | instskip(NEXT) | instid1(VALU_DEP_1)
	v_dual_fma_f32 v9, v122, v126, -v9 :: v_dual_fma_f32 v11, v124, v128, -v11
	v_add_f32_e32 v9, 0, v9
	s_delay_alu instid0(VALU_DEP_1) | instskip(SKIP_1) | instid1(VALU_DEP_1)
	v_add_f32_e32 v9, v9, v11
	v_mul_f32_e32 v11, v131, v135
	v_fma_f32 v11, v130, v134, -v11
	s_delay_alu instid0(VALU_DEP_1) | instskip(SKIP_1) | instid1(VALU_DEP_1)
	v_add_f32_e32 v9, v9, v11
	v_mul_f32_e32 v11, v133, v137
	v_fma_f32 v11, v132, v136, -v11
	ds_load_2addr_b64 v[122:125], v7 offset0:113 offset1:114
	ds_load_2addr_b64 v[126:129], v7 offset0:115 offset1:116
	;; [unrolled: 1-line block ×3, first 2 shown]
	ds_load_b64 v[134:135], v7 offset:952
	v_add_f32_e32 v9, v9, v11
	v_mul_f32_e32 v11, v139, v143
	s_set_vgpr_msb 1                        ;  msbs: dst=0 src0=1 src1=0 src2=0
	v_mov_b32_e32 v139, v12 /*v268*/
	s_set_vgpr_msb 0                        ;  msbs: dst=0 src0=0 src1=0 src2=0
	s_delay_alu instid0(VALU_DEP_2) | instskip(SKIP_3) | instid1(VALU_DEP_2)
	v_fma_f32 v11, v138, v142, -v11
	s_set_vgpr_msb 1                        ;  msbs: dst=0 src0=1 src1=0 src2=0
	v_mov_b32_e32 v138, v13 /*v269*/
	s_set_vgpr_msb 0                        ;  msbs: dst=0 src0=0 src1=0 src2=0
	v_add_f32_e32 v9, v9, v11
	v_mul_f32_e32 v11, v141, v145
	s_delay_alu instid0(VALU_DEP_1) | instskip(SKIP_3) | instid1(VALU_DEP_2)
	v_fma_f32 v11, v140, v144, -v11
	s_set_vgpr_msb 1                        ;  msbs: dst=0 src0=1 src1=0 src2=0
	v_mov_b32_e32 v140, v17 /*v273*/
	s_set_vgpr_msb 0                        ;  msbs: dst=0 src0=0 src1=0 src2=0
	v_add_f32_e32 v9, v9, v11
	v_mul_f32_e32 v11, v147, v151
	s_delay_alu instid0(VALU_DEP_3) | instskip(NEXT) | instid1(VALU_DEP_2)
	v_pk_mul_f32 v[138:139], v[138:139], v[140:141] op_sel_hi:[1,0]
	v_fma_f32 v11, v146, v150, -v11
	s_set_vgpr_msb 5                        ;  msbs: dst=0 src0=1 src1=1 src2=0
	s_delay_alu instid0(VALU_DEP_2) | instskip(SKIP_3) | instid1(VALU_DEP_2)
	v_pk_fma_f32 v[140:141], v[12:13] /*v[268:269]*/, v[16:17] /*v[272:273]*/, v[138:139] neg_lo:[0,0,1] neg_hi:[0,0,1]
	v_pk_fma_f32 v[138:139], v[12:13] /*v[268:269]*/, v[16:17] /*v[272:273]*/, v[138:139] op_sel_hi:[1,0,1]
	s_set_vgpr_msb 0                        ;  msbs: dst=0 src0=0 src1=0 src2=0
	v_add_f32_e32 v9, v9, v11
	v_dual_mul_f32 v11, v149, v153 :: v_dual_mov_b32 v141, v139
	s_wait_loadcnt_dscnt 0x303
	s_set_vgpr_msb 4                        ;  msbs: dst=0 src0=0 src1=1 src2=0
	v_pk_mul_f32 v[138:139], v[122:123], v[18:19] /*v[274:275]*/ op_sel:[1,1] op_sel_hi:[0,1]
	s_set_vgpr_msb 0                        ;  msbs: dst=0 src0=0 src1=0 src2=0
	v_fma_f32 v11, v148, v152, -v11
	s_delay_alu instid0(VALU_DEP_1) | instskip(SKIP_1) | instid1(VALU_DEP_1)
	v_add_f32_e32 v9, v9, v11
	v_mul_f32_e32 v11, v155, v159
	v_fma_f32 v11, v154, v158, -v11
	s_delay_alu instid0(VALU_DEP_1) | instskip(SKIP_1) | instid1(VALU_DEP_1)
	v_add_f32_e32 v9, v9, v11
	v_mul_f32_e32 v11, v157, v161
	;; [unrolled: 4-line block ×25, first 2 shown]
	v_fma_f32 v11, v250, v254, -v11
	s_delay_alu instid0(VALU_DEP_1) | instskip(SKIP_2) | instid1(VALU_DEP_1)
	v_add_f32_e32 v9, v9, v11
	s_set_vgpr_msb 4                        ;  msbs: dst=0 src0=0 src1=1 src2=0
	v_mul_f32_e32 v11, v253, v1 /*v257*/
	v_fma_f32 v11, v252, v0 /*v256*/, -v11
	s_set_vgpr_msb 0                        ;  msbs: dst=0 src0=0 src1=0 src2=0
	s_delay_alu instid0(VALU_DEP_1) | instskip(SKIP_2) | instid1(VALU_DEP_1)
	v_add_f32_e32 v9, v9, v11
	s_set_vgpr_msb 5                        ;  msbs: dst=0 src0=1 src1=1 src2=0
	v_mul_f32_e32 v11, v3 /*v259*/, v7 /*v263*/
	v_fma_f32 v11, v2 /*v258*/, v6 /*v262*/, -v11
	s_set_vgpr_msb 64                       ;  msbs: dst=1 src0=0 src1=0 src2=0
	s_delay_alu instid0(VALU_DEP_1) | instskip(SKIP_3) | instid1(VALU_DEP_1)
	v_add_f32_e32 v30 /*v286*/, v9, v11
	s_set_vgpr_msb 5                        ;  msbs: dst=0 src0=1 src1=1 src2=0
	v_mul_f32_e32 v9, v5 /*v261*/, v9 /*v265*/
	s_set_vgpr_msb 0x45                     ;  msbs: dst=1 src0=1 src1=1 src2=0
	v_fma_f32 v32 /*v288*/, v4 /*v260*/, v8 /*v264*/, -v9
	s_set_vgpr_msb 5                        ;  msbs: dst=0 src0=1 src1=1 src2=0
	v_mul_f32_e32 v9, v11 /*v267*/, v15 /*v271*/
	s_set_vgpr_msb 0x45                     ;  msbs: dst=1 src0=1 src1=1 src2=0
	s_delay_alu instid0(VALU_DEP_1) | instskip(SKIP_3) | instid1(VALU_DEP_1)
	v_fma_f32 v34 /*v290*/, v10 /*v266*/, v14 /*v270*/, -v9
	s_set_vgpr_msb 5                        ;  msbs: dst=0 src0=1 src1=1 src2=0
	v_pk_add_f32 v[136:137], v[30:31] /*v[286:287]*/, v[32:33] /*v[288:289]*/
	s_set_vgpr_msb 4                        ;  msbs: dst=0 src0=0 src1=1 src2=0
	v_pk_add_f32 v[136:137], v[136:137], v[34:35] /*v[290:291]*/
	s_set_vgpr_msb 0                        ;  msbs: dst=0 src0=0 src1=0 src2=0
	s_delay_alu instid0(VALU_DEP_1)
	v_pk_add_f32 v[136:137], v[136:137], v[140:141]
	s_set_vgpr_msb 4                        ;  msbs: dst=0 src0=0 src1=1 src2=0
	v_pk_fma_f32 v[140:141], v[122:123], v[18:19] /*v[274:275]*/, v[138:139] neg_lo:[0,0,1] neg_hi:[0,0,1]
	v_pk_fma_f32 v[122:123], v[122:123], v[18:19] /*v[274:275]*/, v[138:139] op_sel_hi:[1,0,1]
	s_set_vgpr_msb 1                        ;  msbs: dst=0 src0=1 src1=0 src2=0
	v_mov_b32_e32 v138, v21 /*v277*/
	s_set_vgpr_msb 0                        ;  msbs: dst=0 src0=0 src1=0 src2=0
	s_delay_alu instid0(VALU_DEP_2) | instskip(NEXT) | instid1(VALU_DEP_1)
	v_mov_b32_e32 v141, v123
	v_pk_add_f32 v[122:123], v[136:137], v[140:141]
	v_dual_mov_b32 v136, v125 :: v_dual_mov_b32 v137, v124
	s_delay_alu instid0(VALU_DEP_1) | instskip(SKIP_1) | instid1(VALU_DEP_1)
	v_pk_mul_f32 v[136:137], v[136:137], v[138:139] op_sel_hi:[1,0]
	s_set_vgpr_msb 4                        ;  msbs: dst=0 src0=0 src1=1 src2=0
	v_pk_fma_f32 v[138:139], v[124:125], v[20:21] /*v[276:277]*/, v[136:137] neg_lo:[0,0,1] neg_hi:[0,0,1]
	v_pk_fma_f32 v[124:125], v[124:125], v[20:21] /*v[276:277]*/, v[136:137] op_sel_hi:[1,0,1]
	s_delay_alu instid0(VALU_DEP_1) | instskip(SKIP_3) | instid1(VALU_DEP_2)
	v_mov_b32_e32 v139, v125
	s_wait_loadcnt_dscnt 0x202
	v_pk_mul_f32 v[124:125], v[126:127], v[22:23] /*v[278:279]*/ op_sel:[1,1] op_sel_hi:[0,1]
	s_set_vgpr_msb 0                        ;  msbs: dst=0 src0=0 src1=0 src2=0
	v_pk_add_f32 v[122:123], v[122:123], v[138:139]
	s_set_vgpr_msb 4                        ;  msbs: dst=0 src0=0 src1=1 src2=0
	s_delay_alu instid0(VALU_DEP_2)
	v_pk_fma_f32 v[136:137], v[126:127], v[22:23] /*v[278:279]*/, v[124:125] neg_lo:[0,0,1] neg_hi:[0,0,1]
	v_pk_fma_f32 v[124:125], v[126:127], v[22:23] /*v[278:279]*/, v[124:125] op_sel_hi:[1,0,1]
	v_mov_b32_e32 v124, v129
	s_set_vgpr_msb 1                        ;  msbs: dst=0 src0=1 src1=0 src2=0
	v_mov_b32_e32 v126, v25 /*v281*/
	s_set_vgpr_msb 0                        ;  msbs: dst=0 src0=0 src1=0 src2=0
	v_dual_mov_b32 v137, v125 :: v_dual_mov_b32 v125, v128
	s_delay_alu instid0(VALU_DEP_1) | instskip(NEXT) | instid1(VALU_DEP_2)
	v_pk_add_f32 v[122:123], v[122:123], v[136:137]
	v_pk_mul_f32 v[124:125], v[124:125], v[126:127] op_sel_hi:[1,0]
	s_set_vgpr_msb 4                        ;  msbs: dst=0 src0=0 src1=1 src2=0
	s_delay_alu instid0(VALU_DEP_1) | instskip(SKIP_1) | instid1(VALU_DEP_1)
	v_pk_fma_f32 v[126:127], v[128:129], v[24:25] /*v[280:281]*/, v[124:125] neg_lo:[0,0,1] neg_hi:[0,0,1]
	v_pk_fma_f32 v[124:125], v[128:129], v[24:25] /*v[280:281]*/, v[124:125] op_sel_hi:[1,0,1]
	v_mov_b32_e32 v127, v125
	s_wait_loadcnt_dscnt 0x101
	v_pk_mul_f32 v[124:125], v[130:131], v[26:27] /*v[282:283]*/ op_sel:[1,1] op_sel_hi:[0,1]
	s_set_vgpr_msb 0                        ;  msbs: dst=0 src0=0 src1=0 src2=0
	s_delay_alu instid0(VALU_DEP_2) | instskip(SKIP_1) | instid1(VALU_DEP_2)
	v_pk_add_f32 v[122:123], v[122:123], v[126:127]
	s_set_vgpr_msb 4                        ;  msbs: dst=0 src0=0 src1=1 src2=0
	v_pk_fma_f32 v[126:127], v[130:131], v[26:27] /*v[282:283]*/, v[124:125] neg_lo:[0,0,1] neg_hi:[0,0,1]
	v_pk_fma_f32 v[124:125], v[130:131], v[26:27] /*v[282:283]*/, v[124:125] op_sel_hi:[1,0,1]
	s_delay_alu instid0(VALU_DEP_1) | instskip(SKIP_2) | instid1(VALU_DEP_2)
	v_dual_mov_b32 v124, v133 :: v_dual_mov_b32 v127, v125
	v_mov_b32_e32 v125, v132
	s_set_vgpr_msb 0                        ;  msbs: dst=0 src0=0 src1=0 src2=0
	v_pk_add_f32 v[122:123], v[122:123], v[126:127]
	s_set_vgpr_msb 1                        ;  msbs: dst=0 src0=1 src1=0 src2=0
	v_mov_b32_e32 v126, v29 /*v285*/
	s_set_vgpr_msb 0                        ;  msbs: dst=0 src0=0 src1=0 src2=0
	s_delay_alu instid0(VALU_DEP_1) | instskip(SKIP_1) | instid1(VALU_DEP_1)
	v_pk_mul_f32 v[124:125], v[124:125], v[126:127] op_sel_hi:[1,0]
	s_set_vgpr_msb 4                        ;  msbs: dst=0 src0=0 src1=1 src2=0
	v_pk_fma_f32 v[126:127], v[132:133], v[28:29] /*v[284:285]*/, v[124:125] neg_lo:[0,0,1] neg_hi:[0,0,1]
	v_pk_fma_f32 v[124:125], v[132:133], v[28:29] /*v[284:285]*/, v[124:125] op_sel_hi:[1,0,1]
	s_delay_alu instid0(VALU_DEP_1) | instskip(SKIP_3) | instid1(VALU_DEP_2)
	v_mov_b32_e32 v127, v125
	s_wait_loadcnt_dscnt 0x0
	v_pk_mul_f32 v[124:125], v[134:135], v[36:37] /*v[292:293]*/ op_sel:[1,1] op_sel_hi:[0,1]
	s_set_vgpr_msb 0                        ;  msbs: dst=0 src0=0 src1=0 src2=0
	v_pk_add_f32 v[122:123], v[122:123], v[126:127]
	s_set_vgpr_msb 4                        ;  msbs: dst=0 src0=0 src1=1 src2=0
	s_delay_alu instid0(VALU_DEP_2) | instskip(SKIP_1) | instid1(VALU_DEP_1)
	v_pk_fma_f32 v[126:127], v[134:135], v[36:37] /*v[292:293]*/, v[124:125] neg_lo:[0,0,1] neg_hi:[0,0,1]
	v_pk_fma_f32 v[124:125], v[134:135], v[36:37] /*v[292:293]*/, v[124:125] op_sel_hi:[1,0,1]
	v_mov_b32_e32 v127, v125
	scratch_load_b64 v[124:125], off, off offset:112
	s_set_vgpr_msb 0                        ;  msbs: dst=0 src0=0 src1=0 src2=0
	v_pk_add_f32 v[122:123], v[122:123], v[126:127]
	s_wait_loadcnt 0x0
	s_delay_alu instid0(VALU_DEP_1)
	v_pk_add_f32 v[122:123], v[124:125], v[122:123] neg_lo:[0,1] neg_hi:[0,1]
	scratch_store_b64 off, v[122:123], off offset:112
	s_wait_xcnt 0x0
	v_cmpx_lt_u32_e32 13, v0
	s_cbranch_execz .LBB123_347
; %bb.346:
	scratch_load_b64 v[122:123], off, off offset:104
	v_mov_b64_e32 v[124:125], 0
	scratch_store_b64 off, v[124:125], off offset:104
	s_wait_loadcnt 0x0
	ds_store_b64 v1, v[122:123]
.LBB123_347:
	s_wait_xcnt 0x0
	s_or_b32 exec_lo, exec_lo, s0
	s_wait_storecnt_dscnt 0x0
	s_barrier_signal -1
	s_barrier_wait -1
	ds_load_b128 v[122:125], v7 offset:592
	ds_load_b128 v[126:129], v7 offset:608
	;; [unrolled: 1-line block ×4, first 2 shown]
	s_clause 0x12
	scratch_load_b128 v[138:141], off, off offset:112
	scratch_load_b128 v[142:145], off, off offset:128
	;; [unrolled: 1-line block ×17, first 2 shown]
	s_set_vgpr_msb 64                       ;  msbs: dst=1 src0=0 src1=0 src2=0
	scratch_load_b128 v[6:9] /*v[262:265]*/, off, off offset:384
	s_set_vgpr_msb 0                        ;  msbs: dst=0 src0=0 src1=0 src2=0
	ds_load_b128 v[154:157], v7 offset:656
	ds_load_b128 v[162:165], v7 offset:672
	;; [unrolled: 1-line block ×13, first 2 shown]
	s_set_vgpr_msb 64                       ;  msbs: dst=1 src0=0 src1=0 src2=0
	ds_load_b128 v[2:5] /*v[258:261]*/, v7 offset:864
	ds_load_b128 v[10:13] /*v[266:269]*/, v7 offset:880
	s_clause 0x4
	scratch_load_b128 v[14:17] /*v[270:273]*/, off, off offset:400
	scratch_load_b128 v[18:21] /*v[274:277]*/, off, off offset:416
	;; [unrolled: 1-line block ×5, first 2 shown]
	s_mov_b32 s0, exec_lo
	s_wait_loadcnt_dscnt 0x1612
	s_set_vgpr_msb 0                        ;  msbs: dst=0 src0=0 src1=0 src2=0
	v_dual_mul_f32 v9, v122, v139 :: v_dual_mul_f32 v11, v124, v141
	s_delay_alu instid0(VALU_DEP_1) | instskip(NEXT) | instid1(VALU_DEP_1)
	v_dual_fmac_f32 v9, v123, v138 :: v_dual_fmac_f32 v11, v125, v140
	v_add_f32_e32 v9, 0, v9
	s_delay_alu instid0(VALU_DEP_1) | instskip(SKIP_2) | instid1(VALU_DEP_1)
	v_add_f32_e32 v9, v9, v11
	s_wait_loadcnt_dscnt 0x1511
	v_mul_f32_e32 v11, v126, v143
	v_fmac_f32_e32 v11, v127, v142
	s_delay_alu instid0(VALU_DEP_1) | instskip(NEXT) | instid1(VALU_DEP_1)
	v_dual_add_f32 v9, v9, v11 :: v_dual_mul_f32 v11, v128, v145
	v_fmac_f32_e32 v11, v129, v144
	s_wait_loadcnt_dscnt 0x400
	s_set_vgpr_msb 0x45                     ;  msbs: dst=1 src0=1 src1=1 src2=0
	v_dual_mul_f32 v37 /*v293*/, v10 /*v266*/, v15 /*v271*/ :: v_dual_mul_f32 v39 /*v295*/, v12 /*v268*/, v17 /*v273*/
	s_set_vgpr_msb 0                        ;  msbs: dst=0 src0=0 src1=0 src2=0
	v_add_f32_e32 v9, v9, v11
	v_mul_f32_e32 v11, v130, v147
	s_set_vgpr_msb 0x45                     ;  msbs: dst=1 src0=1 src1=1 src2=0
	v_dual_fmac_f32 v37 /*v293*/, v11 /*v267*/, v14 /*v270*/ :: v_dual_fmac_f32 v39 /*v295*/, v13 /*v269*/, v16 /*v272*/
	s_set_vgpr_msb 0                        ;  msbs: dst=0 src0=0 src1=0 src2=0
	s_delay_alu instid0(VALU_DEP_2) | instskip(NEXT) | instid1(VALU_DEP_1)
	v_fmac_f32_e32 v11, v131, v146
	v_dual_add_f32 v9, v9, v11 :: v_dual_mul_f32 v11, v132, v149
	s_delay_alu instid0(VALU_DEP_1) | instskip(NEXT) | instid1(VALU_DEP_1)
	v_fmac_f32_e32 v11, v133, v148
	v_add_f32_e32 v9, v9, v11
	v_mul_f32_e32 v11, v134, v151
	s_delay_alu instid0(VALU_DEP_1) | instskip(NEXT) | instid1(VALU_DEP_1)
	v_fmac_f32_e32 v11, v135, v150
	v_dual_add_f32 v9, v9, v11 :: v_dual_mul_f32 v11, v136, v153
	s_delay_alu instid0(VALU_DEP_1) | instskip(NEXT) | instid1(VALU_DEP_1)
	v_fmac_f32_e32 v11, v137, v152
	v_add_f32_e32 v9, v9, v11
	v_mul_f32_e32 v11, v154, v159
	s_delay_alu instid0(VALU_DEP_1) | instskip(NEXT) | instid1(VALU_DEP_1)
	;; [unrolled: 7-line block ×14, first 2 shown]
	v_fmac_f32_e32 v11, v251, v254
	v_add_f32_e32 v9, v9, v11
	s_set_vgpr_msb 4                        ;  msbs: dst=0 src0=0 src1=1 src2=0
	v_mul_f32_e32 v11, v252, v1 /*v257*/
	s_delay_alu instid0(VALU_DEP_1) | instskip(SKIP_1) | instid1(VALU_DEP_1)
	v_fmac_f32_e32 v11, v253, v0 /*v256*/
	s_set_vgpr_msb 0                        ;  msbs: dst=0 src0=0 src1=0 src2=0
	v_add_f32_e32 v9, v9, v11
	s_set_vgpr_msb 5                        ;  msbs: dst=0 src0=1 src1=1 src2=0
	v_mul_f32_e32 v11, v2 /*v258*/, v7 /*v263*/
	s_delay_alu instid0(VALU_DEP_1) | instskip(SKIP_1) | instid1(VALU_DEP_1)
	v_fmac_f32_e32 v11, v3 /*v259*/, v6 /*v262*/
	s_set_vgpr_msb 0                        ;  msbs: dst=0 src0=0 src1=0 src2=0
	v_add_f32_e32 v9, v9, v11
	s_set_vgpr_msb 5                        ;  msbs: dst=0 src0=1 src1=1 src2=0
	v_mul_f32_e32 v11, v4 /*v260*/, v9 /*v265*/
	s_delay_alu instid0(VALU_DEP_1) | instskip(SKIP_1) | instid1(VALU_DEP_1)
	v_fmac_f32_e32 v11, v5 /*v261*/, v8 /*v264*/
	s_set_vgpr_msb 64                       ;  msbs: dst=1 src0=0 src1=0 src2=0
	v_add_f32_e32 v35 /*v291*/, v9, v11
	s_set_vgpr_msb 0                        ;  msbs: dst=0 src0=0 src1=0 src2=0
	v_dual_mul_f32 v9, v123, v139 :: v_dual_mul_f32 v11, v125, v141
	s_delay_alu instid0(VALU_DEP_1) | instskip(NEXT) | instid1(VALU_DEP_1)
	v_dual_fma_f32 v9, v122, v138, -v9 :: v_dual_fma_f32 v11, v124, v140, -v11
	v_add_f32_e32 v9, 0, v9
	s_delay_alu instid0(VALU_DEP_1) | instskip(SKIP_1) | instid1(VALU_DEP_1)
	v_add_f32_e32 v9, v9, v11
	v_mul_f32_e32 v11, v127, v143
	v_fma_f32 v11, v126, v142, -v11
	s_delay_alu instid0(VALU_DEP_1) | instskip(SKIP_1) | instid1(VALU_DEP_1)
	v_add_f32_e32 v9, v9, v11
	v_mul_f32_e32 v11, v129, v145
	v_fma_f32 v11, v128, v144, -v11
	;; [unrolled: 4-line block ×6, first 2 shown]
	ds_load_b128 v[122:125], v7 offset:896
	ds_load_b128 v[126:129], v7 offset:912
	;; [unrolled: 1-line block ×4, first 2 shown]
	v_add_f32_e32 v9, v9, v11
	v_mul_f32_e32 v11, v155, v159
	s_delay_alu instid0(VALU_DEP_1) | instskip(NEXT) | instid1(VALU_DEP_1)
	v_fma_f32 v11, v154, v158, -v11
	v_add_f32_e32 v9, v9, v11
	v_mul_f32_e32 v11, v157, v161
	s_wait_loadcnt_dscnt 0x303
	s_set_vgpr_msb 4                        ;  msbs: dst=0 src0=0 src1=1 src2=0
	v_pk_mul_f32 v[140:141], v[122:123], v[18:19] /*v[274:275]*/ op_sel:[1,1] op_sel_hi:[0,1]
	s_set_vgpr_msb 0                        ;  msbs: dst=0 src0=0 src1=0 src2=0
	v_fma_f32 v11, v156, v160, -v11
	s_set_vgpr_msb 4                        ;  msbs: dst=0 src0=0 src1=1 src2=0
	s_delay_alu instid0(VALU_DEP_2)
	v_pk_fma_f32 v[142:143], v[122:123], v[18:19] /*v[274:275]*/, v[140:141] neg_lo:[0,0,1] neg_hi:[0,0,1]
	v_pk_fma_f32 v[122:123], v[122:123], v[18:19] /*v[274:275]*/, v[140:141] op_sel_hi:[1,0,1]
	s_set_vgpr_msb 1                        ;  msbs: dst=0 src0=1 src1=0 src2=0
	v_mov_b32_e32 v140, v21 /*v277*/
	s_set_vgpr_msb 0                        ;  msbs: dst=0 src0=0 src1=0 src2=0
	v_add_f32_e32 v9, v9, v11
	v_mul_f32_e32 v11, v163, v167
	s_delay_alu instid0(VALU_DEP_1) | instskip(NEXT) | instid1(VALU_DEP_1)
	v_dual_mov_b32 v143, v123 :: v_dual_fma_f32 v11, v162, v166, -v11
	v_add_f32_e32 v9, v9, v11
	v_mul_f32_e32 v11, v165, v169
	s_delay_alu instid0(VALU_DEP_1) | instskip(NEXT) | instid1(VALU_DEP_1)
	v_fma_f32 v11, v164, v168, -v11
	v_add_f32_e32 v9, v9, v11
	v_mul_f32_e32 v11, v171, v175
	s_delay_alu instid0(VALU_DEP_1) | instskip(NEXT) | instid1(VALU_DEP_1)
	v_fma_f32 v11, v170, v174, -v11
	;; [unrolled: 4-line block ×22, first 2 shown]
	v_add_f32_e32 v9, v9, v11
	s_set_vgpr_msb 4                        ;  msbs: dst=0 src0=0 src1=1 src2=0
	v_mul_f32_e32 v11, v253, v1 /*v257*/
	s_delay_alu instid0(VALU_DEP_1) | instskip(SKIP_1) | instid1(VALU_DEP_1)
	v_fma_f32 v11, v252, v0 /*v256*/, -v11
	s_set_vgpr_msb 0                        ;  msbs: dst=0 src0=0 src1=0 src2=0
	v_add_f32_e32 v9, v9, v11
	s_set_vgpr_msb 5                        ;  msbs: dst=0 src0=1 src1=1 src2=0
	v_mul_f32_e32 v11, v3 /*v259*/, v7 /*v263*/
	s_delay_alu instid0(VALU_DEP_1) | instskip(SKIP_1) | instid1(VALU_DEP_1)
	v_fma_f32 v11, v2 /*v258*/, v6 /*v262*/, -v11
	s_set_vgpr_msb 0                        ;  msbs: dst=0 src0=0 src1=0 src2=0
	v_add_f32_e32 v9, v9, v11
	s_set_vgpr_msb 5                        ;  msbs: dst=0 src0=1 src1=1 src2=0
	v_mul_f32_e32 v11, v5 /*v261*/, v9 /*v265*/
	s_delay_alu instid0(VALU_DEP_1) | instskip(SKIP_1) | instid1(VALU_DEP_1)
	v_fma_f32 v11, v4 /*v260*/, v8 /*v264*/, -v11
	s_set_vgpr_msb 64                       ;  msbs: dst=1 src0=0 src1=0 src2=0
	v_add_f32_e32 v34 /*v290*/, v9, v11
	s_set_vgpr_msb 5                        ;  msbs: dst=0 src0=1 src1=1 src2=0
	v_mul_f32_e32 v9, v11 /*v267*/, v15 /*v271*/
	s_set_vgpr_msb 0x45                     ;  msbs: dst=1 src0=1 src1=1 src2=0
	s_delay_alu instid0(VALU_DEP_1) | instskip(SKIP_3) | instid1(VALU_DEP_1)
	v_fma_f32 v36 /*v292*/, v10 /*v266*/, v14 /*v270*/, -v9
	s_set_vgpr_msb 5                        ;  msbs: dst=0 src0=1 src1=1 src2=0
	v_mul_f32_e32 v9, v13 /*v269*/, v17 /*v273*/
	s_set_vgpr_msb 0x45                     ;  msbs: dst=1 src0=1 src1=1 src2=0
	v_fma_f32 v38 /*v294*/, v12 /*v268*/, v16 /*v272*/, -v9
	s_set_vgpr_msb 5                        ;  msbs: dst=0 src0=1 src1=1 src2=0
	v_pk_add_f32 v[138:139], v[34:35] /*v[290:291]*/, v[36:37] /*v[292:293]*/
	s_set_vgpr_msb 4                        ;  msbs: dst=0 src0=0 src1=1 src2=0
	s_delay_alu instid0(VALU_DEP_1) | instskip(SKIP_1) | instid1(VALU_DEP_1)
	v_pk_add_f32 v[138:139], v[138:139], v[38:39] /*v[294:295]*/
	s_set_vgpr_msb 0                        ;  msbs: dst=0 src0=0 src1=0 src2=0
	v_pk_add_f32 v[122:123], v[138:139], v[142:143]
	v_dual_mov_b32 v138, v125 :: v_dual_mov_b32 v139, v124
	s_delay_alu instid0(VALU_DEP_1) | instskip(SKIP_1) | instid1(VALU_DEP_1)
	v_pk_mul_f32 v[138:139], v[138:139], v[140:141] op_sel_hi:[1,0]
	s_set_vgpr_msb 4                        ;  msbs: dst=0 src0=0 src1=1 src2=0
	v_pk_fma_f32 v[140:141], v[124:125], v[20:21] /*v[276:277]*/, v[138:139] neg_lo:[0,0,1] neg_hi:[0,0,1]
	v_pk_fma_f32 v[124:125], v[124:125], v[20:21] /*v[276:277]*/, v[138:139] op_sel_hi:[1,0,1]
	s_delay_alu instid0(VALU_DEP_1) | instskip(SKIP_3) | instid1(VALU_DEP_2)
	v_mov_b32_e32 v141, v125
	s_wait_loadcnt_dscnt 0x202
	v_pk_mul_f32 v[124:125], v[126:127], v[22:23] /*v[278:279]*/ op_sel:[1,1] op_sel_hi:[0,1]
	s_set_vgpr_msb 0                        ;  msbs: dst=0 src0=0 src1=0 src2=0
	v_pk_add_f32 v[122:123], v[122:123], v[140:141]
	s_set_vgpr_msb 4                        ;  msbs: dst=0 src0=0 src1=1 src2=0
	s_delay_alu instid0(VALU_DEP_2)
	v_pk_fma_f32 v[138:139], v[126:127], v[22:23] /*v[278:279]*/, v[124:125] neg_lo:[0,0,1] neg_hi:[0,0,1]
	v_pk_fma_f32 v[124:125], v[126:127], v[22:23] /*v[278:279]*/, v[124:125] op_sel_hi:[1,0,1]
	v_mov_b32_e32 v124, v129
	s_set_vgpr_msb 1                        ;  msbs: dst=0 src0=1 src1=0 src2=0
	v_mov_b32_e32 v126, v25 /*v281*/
	s_set_vgpr_msb 0                        ;  msbs: dst=0 src0=0 src1=0 src2=0
	v_dual_mov_b32 v139, v125 :: v_dual_mov_b32 v125, v128
	s_delay_alu instid0(VALU_DEP_1) | instskip(NEXT) | instid1(VALU_DEP_2)
	v_pk_add_f32 v[122:123], v[122:123], v[138:139]
	v_pk_mul_f32 v[124:125], v[124:125], v[126:127] op_sel_hi:[1,0]
	s_set_vgpr_msb 4                        ;  msbs: dst=0 src0=0 src1=1 src2=0
	s_delay_alu instid0(VALU_DEP_1) | instskip(SKIP_1) | instid1(VALU_DEP_1)
	v_pk_fma_f32 v[126:127], v[128:129], v[24:25] /*v[280:281]*/, v[124:125] neg_lo:[0,0,1] neg_hi:[0,0,1]
	v_pk_fma_f32 v[124:125], v[128:129], v[24:25] /*v[280:281]*/, v[124:125] op_sel_hi:[1,0,1]
	v_mov_b32_e32 v127, v125
	s_wait_loadcnt_dscnt 0x101
	v_pk_mul_f32 v[124:125], v[130:131], v[26:27] /*v[282:283]*/ op_sel:[1,1] op_sel_hi:[0,1]
	s_set_vgpr_msb 0                        ;  msbs: dst=0 src0=0 src1=0 src2=0
	s_delay_alu instid0(VALU_DEP_2) | instskip(SKIP_1) | instid1(VALU_DEP_2)
	v_pk_add_f32 v[122:123], v[122:123], v[126:127]
	s_set_vgpr_msb 4                        ;  msbs: dst=0 src0=0 src1=1 src2=0
	v_pk_fma_f32 v[126:127], v[130:131], v[26:27] /*v[282:283]*/, v[124:125] neg_lo:[0,0,1] neg_hi:[0,0,1]
	v_pk_fma_f32 v[124:125], v[130:131], v[26:27] /*v[282:283]*/, v[124:125] op_sel_hi:[1,0,1]
	s_delay_alu instid0(VALU_DEP_1) | instskip(SKIP_2) | instid1(VALU_DEP_2)
	v_dual_mov_b32 v124, v133 :: v_dual_mov_b32 v127, v125
	v_mov_b32_e32 v125, v132
	s_set_vgpr_msb 0                        ;  msbs: dst=0 src0=0 src1=0 src2=0
	v_pk_add_f32 v[122:123], v[122:123], v[126:127]
	s_set_vgpr_msb 1                        ;  msbs: dst=0 src0=1 src1=0 src2=0
	v_mov_b32_e32 v126, v29 /*v285*/
	s_set_vgpr_msb 0                        ;  msbs: dst=0 src0=0 src1=0 src2=0
	s_delay_alu instid0(VALU_DEP_1) | instskip(SKIP_1) | instid1(VALU_DEP_1)
	v_pk_mul_f32 v[124:125], v[124:125], v[126:127] op_sel_hi:[1,0]
	s_set_vgpr_msb 4                        ;  msbs: dst=0 src0=0 src1=1 src2=0
	v_pk_fma_f32 v[126:127], v[132:133], v[28:29] /*v[284:285]*/, v[124:125] neg_lo:[0,0,1] neg_hi:[0,0,1]
	v_pk_fma_f32 v[124:125], v[132:133], v[28:29] /*v[284:285]*/, v[124:125] op_sel_hi:[1,0,1]
	s_delay_alu instid0(VALU_DEP_1) | instskip(SKIP_3) | instid1(VALU_DEP_2)
	v_mov_b32_e32 v127, v125
	s_wait_loadcnt_dscnt 0x0
	v_pk_mul_f32 v[124:125], v[134:135], v[30:31] /*v[286:287]*/ op_sel:[1,1] op_sel_hi:[0,1]
	s_set_vgpr_msb 0                        ;  msbs: dst=0 src0=0 src1=0 src2=0
	v_pk_add_f32 v[122:123], v[122:123], v[126:127]
	s_set_vgpr_msb 4                        ;  msbs: dst=0 src0=0 src1=1 src2=0
	s_delay_alu instid0(VALU_DEP_2) | instskip(SKIP_1) | instid1(VALU_DEP_1)
	v_pk_fma_f32 v[126:127], v[134:135], v[30:31] /*v[286:287]*/, v[124:125] neg_lo:[0,0,1] neg_hi:[0,0,1]
	v_pk_fma_f32 v[124:125], v[134:135], v[30:31] /*v[286:287]*/, v[124:125] op_sel_hi:[1,0,1]
	v_dual_mov_b32 v124, v137 :: v_dual_mov_b32 v127, v125
	v_mov_b32_e32 v125, v136
	s_set_vgpr_msb 0                        ;  msbs: dst=0 src0=0 src1=0 src2=0
	s_delay_alu instid0(VALU_DEP_2) | instskip(SKIP_3) | instid1(VALU_DEP_1)
	v_pk_add_f32 v[122:123], v[122:123], v[126:127]
	s_set_vgpr_msb 1                        ;  msbs: dst=0 src0=1 src1=0 src2=0
	v_mov_b32_e32 v126, v33 /*v289*/
	s_set_vgpr_msb 0                        ;  msbs: dst=0 src0=0 src1=0 src2=0
	v_pk_mul_f32 v[124:125], v[124:125], v[126:127] op_sel_hi:[1,0]
	s_set_vgpr_msb 4                        ;  msbs: dst=0 src0=0 src1=1 src2=0
	s_delay_alu instid0(VALU_DEP_1) | instskip(SKIP_1) | instid1(VALU_DEP_1)
	v_pk_fma_f32 v[126:127], v[136:137], v[32:33] /*v[288:289]*/, v[124:125] neg_lo:[0,0,1] neg_hi:[0,0,1]
	v_pk_fma_f32 v[124:125], v[136:137], v[32:33] /*v[288:289]*/, v[124:125] op_sel_hi:[1,0,1]
	v_mov_b32_e32 v127, v125
	scratch_load_b64 v[124:125], off, off offset:104
	s_set_vgpr_msb 0                        ;  msbs: dst=0 src0=0 src1=0 src2=0
	v_pk_add_f32 v[122:123], v[122:123], v[126:127]
	s_wait_loadcnt 0x0
	s_delay_alu instid0(VALU_DEP_1)
	v_pk_add_f32 v[122:123], v[124:125], v[122:123] neg_lo:[0,1] neg_hi:[0,1]
	scratch_store_b64 off, v[122:123], off offset:104
	s_wait_xcnt 0x0
	v_cmpx_lt_u32_e32 12, v0
	s_cbranch_execz .LBB123_349
; %bb.348:
	scratch_load_b64 v[122:123], off, off offset:96
	v_mov_b64_e32 v[124:125], 0
	scratch_store_b64 off, v[124:125], off offset:96
	s_wait_loadcnt 0x0
	ds_store_b64 v1, v[122:123]
.LBB123_349:
	s_wait_xcnt 0x0
	s_or_b32 exec_lo, exec_lo, s0
	s_wait_storecnt_dscnt 0x0
	s_barrier_signal -1
	s_barrier_wait -1
	s_clause 0xf
	scratch_load_b128 v[126:129], off, off offset:104
	scratch_load_b128 v[134:137], off, off offset:120
	;; [unrolled: 1-line block ×16, first 2 shown]
	v_mov_b32_e32 v7, 0
	s_clause 0x4
	scratch_load_b128 v[254:257], off, off offset:360
	s_set_vgpr_msb 64                       ;  msbs: dst=1 src0=0 src1=0 src2=0
	scratch_load_b128 v[6:9] /*v[262:265]*/, off, off offset:376
	scratch_load_b128 v[14:17] /*v[270:273]*/, off, off offset:392
	;; [unrolled: 1-line block ×3, first 2 shown]
	s_set_vgpr_msb 0                        ;  msbs: dst=0 src0=0 src1=0 src2=0
	ds_load_2addr_b64 v[122:125], v7 offset0:73 offset1:74
	ds_load_2addr_b64 v[130:133], v7 offset0:75 offset1:76
	s_mov_b32 s0, exec_lo
	s_wait_loadcnt_dscnt 0x1301
	v_dual_mul_f32 v9, v122, v127 :: v_dual_mul_f32 v11, v124, v129
	ds_load_2addr_b64 v[138:141], v7 offset0:77 offset1:78
	ds_load_2addr_b64 v[146:149], v7 offset0:79 offset1:80
	;; [unrolled: 1-line block ×4, first 2 shown]
	v_dual_fmac_f32 v9, v123, v126 :: v_dual_fmac_f32 v11, v125, v128
	ds_load_2addr_b64 v[170:173], v7 offset0:85 offset1:86
	ds_load_2addr_b64 v[178:181], v7 offset0:87 offset1:88
	;; [unrolled: 1-line block ×4, first 2 shown]
	v_add_f32_e32 v9, 0, v9
	ds_load_2addr_b64 v[202:205], v7 offset0:93 offset1:94
	ds_load_2addr_b64 v[210:213], v7 offset0:95 offset1:96
	ds_load_2addr_b64 v[218:221], v7 offset0:97 offset1:98
	ds_load_2addr_b64 v[226:229], v7 offset0:99 offset1:100
	v_add_f32_e32 v9, v9, v11
	s_wait_loadcnt_dscnt 0x120c
	v_mul_f32_e32 v11, v130, v135
	ds_load_2addr_b64 v[234:237], v7 offset0:101 offset1:102
	ds_load_2addr_b64 v[242:245], v7 offset0:103 offset1:104
	;; [unrolled: 1-line block ×3, first 2 shown]
	s_set_vgpr_msb 64                       ;  msbs: dst=1 src0=0 src1=0 src2=0
	ds_load_2addr_b64 v[2:5] /*v[258:261]*/, v7 offset0:107 offset1:108
	s_set_vgpr_msb 0                        ;  msbs: dst=0 src0=0 src1=0 src2=0
	v_fmac_f32_e32 v11, v131, v134
	s_set_vgpr_msb 64                       ;  msbs: dst=1 src0=0 src1=0 src2=0
	ds_load_2addr_b64 v[10:13] /*v[266:269]*/, v7 offset0:109 offset1:110
	ds_load_2addr_b64 v[18:21] /*v[274:277]*/, v7 offset0:111 offset1:112
	s_clause 0x3
	scratch_load_b128 v[26:29] /*v[282:285]*/, off, off offset:424
	scratch_load_b128 v[30:33] /*v[286:289]*/, off, off offset:440
	;; [unrolled: 1-line block ×3, first 2 shown]
	scratch_load_b64 v[44:45] /*v[300:301]*/, off, off offset:472
	s_set_vgpr_msb 0                        ;  msbs: dst=0 src0=0 src1=0 src2=0
	v_dual_add_f32 v9, v9, v11 :: v_dual_mul_f32 v11, v132, v137
	s_delay_alu instid0(VALU_DEP_1) | instskip(NEXT) | instid1(VALU_DEP_1)
	v_fmac_f32_e32 v11, v133, v136
	v_add_f32_e32 v9, v9, v11
	s_wait_loadcnt_dscnt 0x1511
	v_mul_f32_e32 v11, v138, v143
	s_wait_loadcnt_dscnt 0x400
	s_set_vgpr_msb 0x45                     ;  msbs: dst=1 src0=1 src1=1 src2=0
	v_dual_mul_f32 v41 /*v297*/, v12 /*v268*/, v17 /*v273*/ :: v_dual_mul_f32 v43 /*v299*/, v18 /*v274*/, v23 /*v279*/
	s_set_vgpr_msb 0                        ;  msbs: dst=0 src0=0 src1=0 src2=0
	v_fmac_f32_e32 v11, v139, v142
	s_set_vgpr_msb 0x45                     ;  msbs: dst=1 src0=1 src1=1 src2=0
	s_delay_alu instid0(VALU_DEP_2) | instskip(SKIP_1) | instid1(VALU_DEP_2)
	v_dual_fmac_f32 v41 /*v297*/, v13 /*v269*/, v16 /*v272*/ :: v_dual_fmac_f32 v43 /*v299*/, v19 /*v275*/, v22 /*v278*/
	s_set_vgpr_msb 0                        ;  msbs: dst=0 src0=0 src1=0 src2=0
	v_dual_add_f32 v9, v9, v11 :: v_dual_mul_f32 v11, v140, v145
	s_delay_alu instid0(VALU_DEP_1) | instskip(NEXT) | instid1(VALU_DEP_1)
	v_fmac_f32_e32 v11, v141, v144
	v_add_f32_e32 v9, v9, v11
	v_mul_f32_e32 v11, v146, v151
	s_delay_alu instid0(VALU_DEP_1) | instskip(NEXT) | instid1(VALU_DEP_1)
	v_fmac_f32_e32 v11, v147, v150
	v_dual_add_f32 v9, v9, v11 :: v_dual_mul_f32 v11, v148, v153
	s_delay_alu instid0(VALU_DEP_1) | instskip(NEXT) | instid1(VALU_DEP_1)
	v_fmac_f32_e32 v11, v149, v152
	v_add_f32_e32 v9, v9, v11
	v_mul_f32_e32 v11, v154, v159
	s_delay_alu instid0(VALU_DEP_1) | instskip(NEXT) | instid1(VALU_DEP_1)
	v_fmac_f32_e32 v11, v155, v158
	;; [unrolled: 7-line block ×14, first 2 shown]
	v_add_f32_e32 v9, v9, v11
	s_set_vgpr_msb 4                        ;  msbs: dst=0 src0=0 src1=1 src2=0
	v_mul_f32_e32 v11, v252, v1 /*v257*/
	s_delay_alu instid0(VALU_DEP_1) | instskip(SKIP_1) | instid1(VALU_DEP_1)
	v_fmac_f32_e32 v11, v253, v0 /*v256*/
	s_set_vgpr_msb 0                        ;  msbs: dst=0 src0=0 src1=0 src2=0
	v_add_f32_e32 v9, v9, v11
	s_set_vgpr_msb 5                        ;  msbs: dst=0 src0=1 src1=1 src2=0
	v_mul_f32_e32 v11, v2 /*v258*/, v7 /*v263*/
	s_delay_alu instid0(VALU_DEP_1) | instskip(SKIP_1) | instid1(VALU_DEP_1)
	v_fmac_f32_e32 v11, v3 /*v259*/, v6 /*v262*/
	s_set_vgpr_msb 0                        ;  msbs: dst=0 src0=0 src1=0 src2=0
	v_add_f32_e32 v9, v9, v11
	s_set_vgpr_msb 5                        ;  msbs: dst=0 src0=1 src1=1 src2=0
	v_mul_f32_e32 v11, v4 /*v260*/, v9 /*v265*/
	s_delay_alu instid0(VALU_DEP_1) | instskip(SKIP_1) | instid1(VALU_DEP_1)
	v_fmac_f32_e32 v11, v5 /*v261*/, v8 /*v264*/
	;; [unrolled: 6-line block ×3, first 2 shown]
	s_set_vgpr_msb 64                       ;  msbs: dst=1 src0=0 src1=0 src2=0
	v_add_f32_e32 v39 /*v295*/, v9, v11
	s_set_vgpr_msb 0                        ;  msbs: dst=0 src0=0 src1=0 src2=0
	v_dual_mul_f32 v9, v123, v127 :: v_dual_mul_f32 v11, v125, v129
	s_delay_alu instid0(VALU_DEP_1) | instskip(NEXT) | instid1(VALU_DEP_1)
	v_dual_fma_f32 v9, v122, v126, -v9 :: v_dual_fma_f32 v11, v124, v128, -v11
	v_add_f32_e32 v9, 0, v9
	s_delay_alu instid0(VALU_DEP_1) | instskip(SKIP_1) | instid1(VALU_DEP_1)
	v_add_f32_e32 v9, v9, v11
	v_mul_f32_e32 v11, v131, v135
	v_fma_f32 v11, v130, v134, -v11
	s_delay_alu instid0(VALU_DEP_1) | instskip(SKIP_1) | instid1(VALU_DEP_1)
	v_add_f32_e32 v9, v9, v11
	v_mul_f32_e32 v11, v133, v137
	v_fma_f32 v11, v132, v136, -v11
	ds_load_2addr_b64 v[122:125], v7 offset0:113 offset1:114
	ds_load_2addr_b64 v[126:129], v7 offset0:115 offset1:116
	;; [unrolled: 1-line block ×3, first 2 shown]
	ds_load_b64 v[134:135], v7 offset:952
	v_add_f32_e32 v9, v9, v11
	v_mul_f32_e32 v11, v139, v143
	s_set_vgpr_msb 1                        ;  msbs: dst=0 src0=1 src1=0 src2=0
	v_mov_b32_e32 v139, v20 /*v276*/
	s_set_vgpr_msb 0                        ;  msbs: dst=0 src0=0 src1=0 src2=0
	s_delay_alu instid0(VALU_DEP_2) | instskip(SKIP_3) | instid1(VALU_DEP_2)
	v_fma_f32 v11, v138, v142, -v11
	s_set_vgpr_msb 1                        ;  msbs: dst=0 src0=1 src1=0 src2=0
	v_mov_b32_e32 v138, v21 /*v277*/
	s_set_vgpr_msb 0                        ;  msbs: dst=0 src0=0 src1=0 src2=0
	v_add_f32_e32 v9, v9, v11
	v_mul_f32_e32 v11, v141, v145
	s_delay_alu instid0(VALU_DEP_1) | instskip(SKIP_3) | instid1(VALU_DEP_2)
	v_fma_f32 v11, v140, v144, -v11
	s_set_vgpr_msb 1                        ;  msbs: dst=0 src0=1 src1=0 src2=0
	v_mov_b32_e32 v140, v25 /*v281*/
	s_set_vgpr_msb 0                        ;  msbs: dst=0 src0=0 src1=0 src2=0
	v_add_f32_e32 v9, v9, v11
	v_mul_f32_e32 v11, v147, v151
	s_delay_alu instid0(VALU_DEP_3) | instskip(NEXT) | instid1(VALU_DEP_2)
	v_pk_mul_f32 v[138:139], v[138:139], v[140:141] op_sel_hi:[1,0]
	v_fma_f32 v11, v146, v150, -v11
	s_set_vgpr_msb 5                        ;  msbs: dst=0 src0=1 src1=1 src2=0
	s_delay_alu instid0(VALU_DEP_2) | instskip(SKIP_3) | instid1(VALU_DEP_2)
	v_pk_fma_f32 v[140:141], v[20:21] /*v[276:277]*/, v[24:25] /*v[280:281]*/, v[138:139] neg_lo:[0,0,1] neg_hi:[0,0,1]
	v_pk_fma_f32 v[138:139], v[20:21] /*v[276:277]*/, v[24:25] /*v[280:281]*/, v[138:139] op_sel_hi:[1,0,1]
	s_set_vgpr_msb 0                        ;  msbs: dst=0 src0=0 src1=0 src2=0
	v_add_f32_e32 v9, v9, v11
	v_dual_mul_f32 v11, v149, v153 :: v_dual_mov_b32 v141, v139
	s_wait_loadcnt_dscnt 0x303
	s_set_vgpr_msb 4                        ;  msbs: dst=0 src0=0 src1=1 src2=0
	v_pk_mul_f32 v[138:139], v[122:123], v[26:27] /*v[282:283]*/ op_sel:[1,1] op_sel_hi:[0,1]
	s_set_vgpr_msb 0                        ;  msbs: dst=0 src0=0 src1=0 src2=0
	v_fma_f32 v11, v148, v152, -v11
	s_delay_alu instid0(VALU_DEP_1) | instskip(SKIP_1) | instid1(VALU_DEP_1)
	v_add_f32_e32 v9, v9, v11
	v_mul_f32_e32 v11, v155, v159
	v_fma_f32 v11, v154, v158, -v11
	s_delay_alu instid0(VALU_DEP_1) | instskip(SKIP_1) | instid1(VALU_DEP_1)
	v_add_f32_e32 v9, v9, v11
	v_mul_f32_e32 v11, v157, v161
	;; [unrolled: 4-line block ×25, first 2 shown]
	v_fma_f32 v11, v250, v254, -v11
	s_delay_alu instid0(VALU_DEP_1) | instskip(SKIP_2) | instid1(VALU_DEP_1)
	v_add_f32_e32 v9, v9, v11
	s_set_vgpr_msb 4                        ;  msbs: dst=0 src0=0 src1=1 src2=0
	v_mul_f32_e32 v11, v253, v1 /*v257*/
	v_fma_f32 v11, v252, v0 /*v256*/, -v11
	s_set_vgpr_msb 0                        ;  msbs: dst=0 src0=0 src1=0 src2=0
	s_delay_alu instid0(VALU_DEP_1) | instskip(SKIP_2) | instid1(VALU_DEP_1)
	v_add_f32_e32 v9, v9, v11
	s_set_vgpr_msb 5                        ;  msbs: dst=0 src0=1 src1=1 src2=0
	v_mul_f32_e32 v11, v3 /*v259*/, v7 /*v263*/
	v_fma_f32 v11, v2 /*v258*/, v6 /*v262*/, -v11
	s_set_vgpr_msb 0                        ;  msbs: dst=0 src0=0 src1=0 src2=0
	s_delay_alu instid0(VALU_DEP_1) | instskip(SKIP_2) | instid1(VALU_DEP_1)
	v_add_f32_e32 v9, v9, v11
	s_set_vgpr_msb 5                        ;  msbs: dst=0 src0=1 src1=1 src2=0
	v_mul_f32_e32 v11, v5 /*v261*/, v9 /*v265*/
	v_fma_f32 v11, v4 /*v260*/, v8 /*v264*/, -v11
	;; [unrolled: 6-line block ×3, first 2 shown]
	s_set_vgpr_msb 64                       ;  msbs: dst=1 src0=0 src1=0 src2=0
	s_delay_alu instid0(VALU_DEP_1) | instskip(SKIP_3) | instid1(VALU_DEP_1)
	v_add_f32_e32 v38 /*v294*/, v9, v11
	s_set_vgpr_msb 5                        ;  msbs: dst=0 src0=1 src1=1 src2=0
	v_mul_f32_e32 v9, v13 /*v269*/, v17 /*v273*/
	s_set_vgpr_msb 0x45                     ;  msbs: dst=1 src0=1 src1=1 src2=0
	v_fma_f32 v40 /*v296*/, v12 /*v268*/, v16 /*v272*/, -v9
	s_set_vgpr_msb 5                        ;  msbs: dst=0 src0=1 src1=1 src2=0
	v_mul_f32_e32 v9, v19 /*v275*/, v23 /*v279*/
	s_set_vgpr_msb 0x45                     ;  msbs: dst=1 src0=1 src1=1 src2=0
	s_delay_alu instid0(VALU_DEP_1) | instskip(SKIP_3) | instid1(VALU_DEP_1)
	v_fma_f32 v42 /*v298*/, v18 /*v274*/, v22 /*v278*/, -v9
	s_set_vgpr_msb 5                        ;  msbs: dst=0 src0=1 src1=1 src2=0
	v_pk_add_f32 v[136:137], v[38:39] /*v[294:295]*/, v[40:41] /*v[296:297]*/
	s_set_vgpr_msb 4                        ;  msbs: dst=0 src0=0 src1=1 src2=0
	v_pk_add_f32 v[136:137], v[136:137], v[42:43] /*v[298:299]*/
	s_set_vgpr_msb 0                        ;  msbs: dst=0 src0=0 src1=0 src2=0
	s_delay_alu instid0(VALU_DEP_1)
	v_pk_add_f32 v[136:137], v[136:137], v[140:141]
	s_set_vgpr_msb 4                        ;  msbs: dst=0 src0=0 src1=1 src2=0
	v_pk_fma_f32 v[140:141], v[122:123], v[26:27] /*v[282:283]*/, v[138:139] neg_lo:[0,0,1] neg_hi:[0,0,1]
	v_pk_fma_f32 v[122:123], v[122:123], v[26:27] /*v[282:283]*/, v[138:139] op_sel_hi:[1,0,1]
	s_set_vgpr_msb 1                        ;  msbs: dst=0 src0=1 src1=0 src2=0
	v_mov_b32_e32 v138, v29 /*v285*/
	s_set_vgpr_msb 0                        ;  msbs: dst=0 src0=0 src1=0 src2=0
	s_delay_alu instid0(VALU_DEP_2) | instskip(NEXT) | instid1(VALU_DEP_1)
	v_mov_b32_e32 v141, v123
	v_pk_add_f32 v[122:123], v[136:137], v[140:141]
	v_dual_mov_b32 v136, v125 :: v_dual_mov_b32 v137, v124
	s_delay_alu instid0(VALU_DEP_1) | instskip(SKIP_1) | instid1(VALU_DEP_1)
	v_pk_mul_f32 v[136:137], v[136:137], v[138:139] op_sel_hi:[1,0]
	s_set_vgpr_msb 4                        ;  msbs: dst=0 src0=0 src1=1 src2=0
	v_pk_fma_f32 v[138:139], v[124:125], v[28:29] /*v[284:285]*/, v[136:137] neg_lo:[0,0,1] neg_hi:[0,0,1]
	v_pk_fma_f32 v[124:125], v[124:125], v[28:29] /*v[284:285]*/, v[136:137] op_sel_hi:[1,0,1]
	s_delay_alu instid0(VALU_DEP_1) | instskip(SKIP_3) | instid1(VALU_DEP_2)
	v_mov_b32_e32 v139, v125
	s_wait_loadcnt_dscnt 0x202
	v_pk_mul_f32 v[124:125], v[126:127], v[30:31] /*v[286:287]*/ op_sel:[1,1] op_sel_hi:[0,1]
	s_set_vgpr_msb 0                        ;  msbs: dst=0 src0=0 src1=0 src2=0
	v_pk_add_f32 v[122:123], v[122:123], v[138:139]
	s_set_vgpr_msb 4                        ;  msbs: dst=0 src0=0 src1=1 src2=0
	s_delay_alu instid0(VALU_DEP_2)
	v_pk_fma_f32 v[136:137], v[126:127], v[30:31] /*v[286:287]*/, v[124:125] neg_lo:[0,0,1] neg_hi:[0,0,1]
	v_pk_fma_f32 v[124:125], v[126:127], v[30:31] /*v[286:287]*/, v[124:125] op_sel_hi:[1,0,1]
	v_mov_b32_e32 v124, v129
	s_set_vgpr_msb 1                        ;  msbs: dst=0 src0=1 src1=0 src2=0
	v_mov_b32_e32 v126, v33 /*v289*/
	s_set_vgpr_msb 0                        ;  msbs: dst=0 src0=0 src1=0 src2=0
	v_dual_mov_b32 v137, v125 :: v_dual_mov_b32 v125, v128
	s_delay_alu instid0(VALU_DEP_1) | instskip(NEXT) | instid1(VALU_DEP_2)
	v_pk_add_f32 v[122:123], v[122:123], v[136:137]
	v_pk_mul_f32 v[124:125], v[124:125], v[126:127] op_sel_hi:[1,0]
	s_set_vgpr_msb 4                        ;  msbs: dst=0 src0=0 src1=1 src2=0
	s_delay_alu instid0(VALU_DEP_1) | instskip(SKIP_1) | instid1(VALU_DEP_1)
	v_pk_fma_f32 v[126:127], v[128:129], v[32:33] /*v[288:289]*/, v[124:125] neg_lo:[0,0,1] neg_hi:[0,0,1]
	v_pk_fma_f32 v[124:125], v[128:129], v[32:33] /*v[288:289]*/, v[124:125] op_sel_hi:[1,0,1]
	v_mov_b32_e32 v127, v125
	s_wait_loadcnt_dscnt 0x101
	v_pk_mul_f32 v[124:125], v[130:131], v[34:35] /*v[290:291]*/ op_sel:[1,1] op_sel_hi:[0,1]
	s_set_vgpr_msb 0                        ;  msbs: dst=0 src0=0 src1=0 src2=0
	s_delay_alu instid0(VALU_DEP_2) | instskip(SKIP_1) | instid1(VALU_DEP_2)
	v_pk_add_f32 v[122:123], v[122:123], v[126:127]
	s_set_vgpr_msb 4                        ;  msbs: dst=0 src0=0 src1=1 src2=0
	v_pk_fma_f32 v[126:127], v[130:131], v[34:35] /*v[290:291]*/, v[124:125] neg_lo:[0,0,1] neg_hi:[0,0,1]
	v_pk_fma_f32 v[124:125], v[130:131], v[34:35] /*v[290:291]*/, v[124:125] op_sel_hi:[1,0,1]
	s_delay_alu instid0(VALU_DEP_1) | instskip(SKIP_2) | instid1(VALU_DEP_2)
	v_dual_mov_b32 v124, v133 :: v_dual_mov_b32 v127, v125
	v_mov_b32_e32 v125, v132
	s_set_vgpr_msb 0                        ;  msbs: dst=0 src0=0 src1=0 src2=0
	v_pk_add_f32 v[122:123], v[122:123], v[126:127]
	s_set_vgpr_msb 1                        ;  msbs: dst=0 src0=1 src1=0 src2=0
	v_mov_b32_e32 v126, v37 /*v293*/
	s_set_vgpr_msb 0                        ;  msbs: dst=0 src0=0 src1=0 src2=0
	s_delay_alu instid0(VALU_DEP_1) | instskip(SKIP_1) | instid1(VALU_DEP_1)
	v_pk_mul_f32 v[124:125], v[124:125], v[126:127] op_sel_hi:[1,0]
	s_set_vgpr_msb 4                        ;  msbs: dst=0 src0=0 src1=1 src2=0
	v_pk_fma_f32 v[126:127], v[132:133], v[36:37] /*v[292:293]*/, v[124:125] neg_lo:[0,0,1] neg_hi:[0,0,1]
	v_pk_fma_f32 v[124:125], v[132:133], v[36:37] /*v[292:293]*/, v[124:125] op_sel_hi:[1,0,1]
	s_delay_alu instid0(VALU_DEP_1) | instskip(SKIP_3) | instid1(VALU_DEP_2)
	v_mov_b32_e32 v127, v125
	s_wait_loadcnt_dscnt 0x0
	v_pk_mul_f32 v[124:125], v[134:135], v[44:45] /*v[300:301]*/ op_sel:[1,1] op_sel_hi:[0,1]
	s_set_vgpr_msb 0                        ;  msbs: dst=0 src0=0 src1=0 src2=0
	v_pk_add_f32 v[122:123], v[122:123], v[126:127]
	s_set_vgpr_msb 4                        ;  msbs: dst=0 src0=0 src1=1 src2=0
	s_delay_alu instid0(VALU_DEP_2) | instskip(SKIP_1) | instid1(VALU_DEP_1)
	v_pk_fma_f32 v[126:127], v[134:135], v[44:45] /*v[300:301]*/, v[124:125] neg_lo:[0,0,1] neg_hi:[0,0,1]
	v_pk_fma_f32 v[124:125], v[134:135], v[44:45] /*v[300:301]*/, v[124:125] op_sel_hi:[1,0,1]
	v_mov_b32_e32 v127, v125
	scratch_load_b64 v[124:125], off, off offset:96
	s_set_vgpr_msb 0                        ;  msbs: dst=0 src0=0 src1=0 src2=0
	v_pk_add_f32 v[122:123], v[122:123], v[126:127]
	s_wait_loadcnt 0x0
	s_delay_alu instid0(VALU_DEP_1)
	v_pk_add_f32 v[122:123], v[124:125], v[122:123] neg_lo:[0,1] neg_hi:[0,1]
	scratch_store_b64 off, v[122:123], off offset:96
	s_wait_xcnt 0x0
	v_cmpx_lt_u32_e32 11, v0
	s_cbranch_execz .LBB123_351
; %bb.350:
	scratch_load_b64 v[122:123], off, off offset:88
	v_mov_b64_e32 v[124:125], 0
	scratch_store_b64 off, v[124:125], off offset:88
	s_wait_loadcnt 0x0
	ds_store_b64 v1, v[122:123]
.LBB123_351:
	s_wait_xcnt 0x0
	s_or_b32 exec_lo, exec_lo, s0
	s_wait_storecnt_dscnt 0x0
	s_barrier_signal -1
	s_barrier_wait -1
	s_clause 0x17
	scratch_load_b128 v[122:125], off, off offset:96
	scratch_load_b128 v[126:129], off, off offset:112
	;; [unrolled: 1-line block ×24, first 2 shown]
	ds_load_b128 v[218:221], v7 offset:576
	ds_load_b128 v[222:225], v7 offset:592
	;; [unrolled: 1-line block ×6, first 2 shown]
	s_set_vgpr_msb 64                       ;  msbs: dst=1 src0=0 src1=0 src2=0
	scratch_load_b64 v[58:59] /*v[314:315]*/, off, off offset:88
	s_set_vgpr_msb 0                        ;  msbs: dst=0 src0=0 src1=0 src2=0
	ds_load_b128 v[242:245], v7 offset:640
	ds_load_b128 v[246:249], v7 offset:656
	;; [unrolled: 1-line block ×4, first 2 shown]
	s_set_vgpr_msb 64                       ;  msbs: dst=1 src0=0 src1=0 src2=0
	ds_load_b128 v[2:5] /*v[258:261]*/, v7 offset:672
	ds_load_b128 v[6:9] /*v[262:265]*/, v7 offset:688
	;; [unrolled: 1-line block ×14, first 2 shown]
	s_mov_b32 s0, exec_lo
	s_wait_dscnt 0xf
	v_dual_mov_b32 v64 /*v320*/, v253 :: v_dual_mov_b32 v65 /*v321*/, v252
	s_wait_dscnt 0xe
	s_set_vgpr_msb 0x41                     ;  msbs: dst=1 src0=1 src1=0 src2=0
	v_dual_mov_b32 v66 /*v322*/, v1 /*v257*/ :: v_dual_mov_b32 v67 /*v323*/, v0 /*v256*/
	s_set_vgpr_msb 64                       ;  msbs: dst=1 src0=0 src1=0 src2=0
	v_dual_mov_b32 v60 /*v316*/, v237 :: v_dual_mov_b32 v61 /*v317*/, v236
	v_dual_mov_b32 v62 /*v318*/, v241 :: v_dual_mov_b32 v63 /*v319*/, v240
	s_wait_loadcnt 0x18
	s_set_vgpr_msb 0                        ;  msbs: dst=0 src0=0 src1=0 src2=0
	v_dual_mul_f32 v7, v218, v123 :: v_dual_mul_f32 v9, v220, v125
	v_dual_mul_f32 v83, v219, v123 :: v_dual_mul_f32 v85, v221, v125
	s_wait_loadcnt 0x17
	v_dual_mul_f32 v11, v222, v127 :: v_dual_mul_f32 v13, v224, v129
	s_delay_alu instid0(VALU_DEP_3) | instskip(SKIP_3) | instid1(VALU_DEP_3)
	v_dual_fmac_f32 v7, v219, v122 :: v_dual_fmac_f32 v9, v221, v124
	s_wait_loadcnt 0x15
	v_dual_fma_f32 v83, v218, v122, -v83 :: v_dual_mul_f32 v95, v231, v135
	v_dual_mul_f32 v87, v223, v127 :: v_dual_mul_f32 v89, v225, v129
	v_dual_fma_f32 v85, v220, v124, -v85 :: v_dual_add_f32 v7, 0, v7
	s_delay_alu instid0(VALU_DEP_3) | instskip(SKIP_1) | instid1(VALU_DEP_3)
	v_dual_add_f32 v83, 0, v83 :: v_dual_mul_f32 v97, v233, v137
	v_dual_fmac_f32 v11, v223, v126 :: v_dual_fmac_f32 v13, v225, v128
	v_dual_fma_f32 v87, v222, v126, -v87 :: v_dual_add_f32 v7, v7, v9
	s_delay_alu instid0(VALU_DEP_3) | instskip(SKIP_2) | instid1(VALU_DEP_4)
	v_dual_add_f32 v9, v83, v85 :: v_dual_fma_f32 v85, v224, v128, -v89
	v_dual_mul_f32 v15, v226, v131 :: v_dual_mul_f32 v17, v228, v133
	v_dual_mul_f32 v91, v227, v131 :: v_dual_mul_f32 v93, v229, v133
	v_add_f32_e32 v7, v7, v11
	s_delay_alu instid0(VALU_DEP_3) | instskip(NEXT) | instid1(VALU_DEP_3)
	v_dual_add_f32 v9, v9, v87 :: v_dual_fmac_f32 v15, v227, v130
	v_fma_f32 v87, v226, v130, -v91
	v_dual_mul_f32 v19, v230, v135 :: v_dual_mul_f32 v21, v232, v137
	s_delay_alu instid0(VALU_DEP_4) | instskip(SKIP_2) | instid1(VALU_DEP_2)
	v_dual_add_f32 v7, v7, v13 :: v_dual_fmac_f32 v17, v229, v132
	s_wait_loadcnt 0x13
	v_dual_add_f32 v9, v9, v85 :: v_dual_mul_f32 v13, v247, v143
	v_dual_fma_f32 v85, v228, v132, -v93 :: v_dual_add_f32 v7, v7, v15
	v_mul_f32_e32 v15, v249, v145
	s_delay_alu instid0(VALU_DEP_3) | instskip(NEXT) | instid1(VALU_DEP_3)
	v_dual_add_f32 v9, v9, v87 :: v_dual_fmac_f32 v19, v231, v134
	v_dual_fma_f32 v87, v230, v134, -v95 :: v_dual_add_f32 v7, v7, v17
	v_fmac_f32_e32 v21, v233, v136
	s_delay_alu instid0(VALU_DEP_3) | instskip(SKIP_3) | instid1(VALU_DEP_3)
	v_dual_add_f32 v9, v9, v85 :: v_dual_fma_f32 v85, v232, v136, -v97
	v_dual_mul_f32 v23, v242, v139 :: v_dual_mul_f32 v25, v244, v141
	v_dual_mul_f32 v83, v243, v139 :: v_dual_mul_f32 v11, v245, v141
	v_add_f32_e32 v7, v7, v19
	v_dual_add_f32 v9, v9, v87 :: v_dual_fmac_f32 v23, v243, v138
	s_delay_alu instid0(VALU_DEP_3) | instskip(SKIP_1) | instid1(VALU_DEP_4)
	v_fma_f32 v83, v242, v138, -v83
	v_dual_mul_f32 v27, v246, v143 :: v_dual_mul_f32 v29, v248, v145
	v_dual_add_f32 v7, v7, v21 :: v_dual_fmac_f32 v25, v245, v140
	s_delay_alu instid0(VALU_DEP_4) | instskip(NEXT) | instid1(VALU_DEP_3)
	v_dual_add_f32 v9, v9, v85 :: v_dual_fma_f32 v11, v244, v140, -v11
	v_fmac_f32_e32 v27, v247, v142
	s_delay_alu instid0(VALU_DEP_3) | instskip(NEXT) | instid1(VALU_DEP_3)
	v_dual_add_f32 v7, v7, v23 :: v_dual_fma_f32 v13, v246, v142, -v13
	v_add_f32_e32 v9, v9, v83
	s_wait_loadcnt_dscnt 0x120d
	s_set_vgpr_msb 1                        ;  msbs: dst=0 src0=1 src1=0 src2=0
	v_dual_mul_f32 v31, v2 /*v258*/, v147 :: v_dual_mul_f32 v33, v4 /*v260*/, v149
	s_set_vgpr_msb 0                        ;  msbs: dst=0 src0=0 src1=0 src2=0
	v_add_f32_e32 v7, v7, v25
	s_set_vgpr_msb 1                        ;  msbs: dst=0 src0=1 src1=0 src2=0
	v_dual_mul_f32 v17, v3 /*v259*/, v147 :: v_dual_mul_f32 v19, v5 /*v261*/, v149
	s_set_vgpr_msb 0                        ;  msbs: dst=0 src0=0 src1=0 src2=0
	v_add_f32_e32 v9, v9, v11
	v_dual_fmac_f32 v29, v249, v144 :: v_dual_fma_f32 v15, v248, v144, -v15
	v_add_f32_e32 v7, v7, v27
	s_set_vgpr_msb 1                        ;  msbs: dst=0 src0=1 src1=0 src2=0
	v_dual_fmac_f32 v31, v3 /*v259*/, v146 :: v_dual_fma_f32 v17, v2 /*v258*/, v146, -v17
	s_set_vgpr_msb 0                        ;  msbs: dst=0 src0=0 src1=0 src2=0
	v_add_f32_e32 v9, v9, v13
	s_wait_loadcnt_dscnt 0x110c
	s_set_vgpr_msb 1                        ;  msbs: dst=0 src0=1 src1=0 src2=0
	v_dual_mul_f32 v35, v6 /*v262*/, v151 :: v_dual_mul_f32 v37, v8 /*v264*/, v153
	s_set_vgpr_msb 0                        ;  msbs: dst=0 src0=0 src1=0 src2=0
	v_add_f32_e32 v7, v7, v29
	s_set_vgpr_msb 1                        ;  msbs: dst=0 src0=1 src1=0 src2=0
	v_dual_mul_f32 v21, v7 /*v263*/, v151 :: v_dual_mul_f32 v23, v9 /*v265*/, v153
	s_set_vgpr_msb 0                        ;  msbs: dst=0 src0=0 src1=0 src2=0
	v_add_f32_e32 v9, v9, v15
	s_wait_loadcnt_dscnt 0xf0a
	s_set_vgpr_msb 1                        ;  msbs: dst=0 src0=1 src1=0 src2=0
	v_dual_mul_f32 v15, v15 /*v271*/, v159 :: v_dual_fmac_f32 v33, v5 /*v261*/, v148
	v_fma_f32 v19, v4 /*v260*/, v148, -v19
	s_set_vgpr_msb 0                        ;  msbs: dst=0 src0=0 src1=0 src2=0
	v_dual_add_f32 v7, v7, v31 :: v_dual_add_f32 v9, v9, v17
	s_set_vgpr_msb 1                        ;  msbs: dst=0 src0=1 src1=0 src2=0
	v_dual_mul_f32 v17, v17 /*v273*/, v161 :: v_dual_fmac_f32 v35, v7 /*v263*/, v150
	v_fma_f32 v21, v6 /*v262*/, v150, -v21
	s_set_vgpr_msb 0                        ;  msbs: dst=0 src0=0 src1=0 src2=0
	v_dual_add_f32 v7, v7, v33 :: v_dual_add_f32 v9, v9, v19
	s_set_vgpr_msb 1                        ;  msbs: dst=0 src0=1 src1=0 src2=0
	v_dual_mul_f32 v11, v11 /*v267*/, v155 :: v_dual_mul_f32 v13, v13 /*v269*/, v157
	s_wait_loadcnt_dscnt 0xe09
	v_dual_mul_f32 v19, v19 /*v275*/, v163 :: v_dual_fmac_f32 v37, v9 /*v265*/, v152
	v_fma_f32 v23, v8 /*v264*/, v152, -v23
	s_set_vgpr_msb 0                        ;  msbs: dst=0 src0=0 src1=0 src2=0
	v_dual_add_f32 v7, v7, v35 :: v_dual_add_f32 v9, v9, v21
	s_set_vgpr_msb 1                        ;  msbs: dst=0 src0=1 src1=0 src2=0
	v_dual_mul_f32 v39, v10 /*v266*/, v155 :: v_dual_mul_f32 v41, v12 /*v268*/, v157
	v_dual_mul_f32 v21, v21 /*v277*/, v165 :: v_dual_fma_f32 v11, v10 /*v266*/, v154, -v11
	s_set_vgpr_msb 0                        ;  msbs: dst=0 src0=0 src1=0 src2=0
	v_dual_add_f32 v7, v7, v37 :: v_dual_add_f32 v9, v9, v23
	s_set_vgpr_msb 1                        ;  msbs: dst=0 src0=1 src1=0 src2=0
	v_dual_fmac_f32 v39, v11 /*v267*/, v154 :: v_dual_fmac_f32 v41, v13 /*v269*/, v156
	s_wait_loadcnt_dscnt 0xd08
	v_dual_mul_f32 v23, v23 /*v279*/, v167 :: v_dual_fma_f32 v13, v12 /*v268*/, v156, -v13
	s_set_vgpr_msb 0                        ;  msbs: dst=0 src0=0 src1=0 src2=0
	v_add_f32_e32 v9, v9, v11
	s_set_vgpr_msb 1                        ;  msbs: dst=0 src0=1 src1=0 src2=0
	v_dual_mul_f32 v43, v14 /*v270*/, v159 :: v_dual_mul_f32 v45, v16 /*v272*/, v161
	v_mul_f32_e32 v11, v25 /*v281*/, v169
	s_set_vgpr_msb 0                        ;  msbs: dst=0 src0=0 src1=0 src2=0
	v_dual_add_f32 v7, v7, v39 :: v_dual_add_f32 v9, v9, v13
	s_wait_loadcnt_dscnt 0xc07
	s_set_vgpr_msb 1                        ;  msbs: dst=0 src0=1 src1=0 src2=0
	v_dual_fma_f32 v15, v14 /*v270*/, v158, -v15 :: v_dual_mul_f32 v13, v27 /*v283*/, v171
	v_dual_fmac_f32 v43, v15 /*v271*/, v158 :: v_dual_fmac_f32 v45, v17 /*v273*/, v160
	s_set_vgpr_msb 0                        ;  msbs: dst=0 src0=0 src1=0 src2=0
	v_add_f32_e32 v7, v7, v41
	s_set_vgpr_msb 1                        ;  msbs: dst=0 src0=1 src1=0 src2=0
	v_fma_f32 v17, v16 /*v272*/, v160, -v17
	s_set_vgpr_msb 0                        ;  msbs: dst=0 src0=0 src1=0 src2=0
	v_add_f32_e32 v9, v9, v15
	s_set_vgpr_msb 1                        ;  msbs: dst=0 src0=1 src1=0 src2=0
	v_dual_mul_f32 v47, v18 /*v274*/, v163 :: v_dual_mul_f32 v49, v20 /*v276*/, v165
	v_mul_f32_e32 v15, v29 /*v285*/, v173
	s_set_vgpr_msb 0                        ;  msbs: dst=0 src0=0 src1=0 src2=0
	v_dual_add_f32 v7, v7, v43 :: v_dual_add_f32 v9, v9, v17
	s_wait_loadcnt_dscnt 0xb06
	s_set_vgpr_msb 1                        ;  msbs: dst=0 src0=1 src1=0 src2=0
	v_dual_fma_f32 v19, v18 /*v274*/, v162, -v19 :: v_dual_mul_f32 v17, v31 /*v287*/, v175
	v_dual_fmac_f32 v47, v19 /*v275*/, v162 :: v_dual_fmac_f32 v49, v21 /*v277*/, v164
	s_set_vgpr_msb 0                        ;  msbs: dst=0 src0=0 src1=0 src2=0
	v_add_f32_e32 v7, v7, v45
	s_set_vgpr_msb 1                        ;  msbs: dst=0 src0=1 src1=0 src2=0
	v_fma_f32 v21, v20 /*v276*/, v164, -v21
	s_set_vgpr_msb 0                        ;  msbs: dst=0 src0=0 src1=0 src2=0
	v_add_f32_e32 v9, v9, v19
	s_set_vgpr_msb 1                        ;  msbs: dst=0 src0=1 src1=0 src2=0
	v_dual_mul_f32 v51, v22 /*v278*/, v167 :: v_dual_mul_f32 v53, v24 /*v280*/, v169
	v_mul_f32_e32 v19, v33 /*v289*/, v177
	s_set_vgpr_msb 0                        ;  msbs: dst=0 src0=0 src1=0 src2=0
	v_dual_add_f32 v7, v7, v47 :: v_dual_add_f32 v9, v9, v21
	s_wait_loadcnt_dscnt 0xa05
	s_set_vgpr_msb 1                        ;  msbs: dst=0 src0=1 src1=0 src2=0
	v_dual_fma_f32 v23, v22 /*v278*/, v166, -v23 :: v_dual_mul_f32 v21, v35 /*v291*/, v179
	v_dual_mul_f32 v55, v26 /*v282*/, v171 :: v_dual_mul_f32 v57, v28 /*v284*/, v173
	v_dual_mul_f32 v59, v30 /*v286*/, v175 :: v_dual_mul_f32 v61, v32 /*v288*/, v177
	v_dual_fmac_f32 v51, v23 /*v279*/, v166 :: v_dual_fmac_f32 v53, v25 /*v281*/, v168
	v_fma_f32 v11, v24 /*v280*/, v168, -v11
	s_set_vgpr_msb 0                        ;  msbs: dst=0 src0=0 src1=0 src2=0
	v_dual_add_f32 v9, v9, v23 :: v_dual_add_f32 v7, v7, v49
	s_set_vgpr_msb 1                        ;  msbs: dst=0 src0=1 src1=0 src2=0
	v_dual_mul_f32 v23, v37 /*v293*/, v181 :: v_dual_fmac_f32 v55, v27 /*v283*/, v170
	v_fma_f32 v13, v26 /*v282*/, v170, -v13
	v_dual_fmac_f32 v57, v29 /*v285*/, v172 :: v_dual_fmac_f32 v59, v31 /*v287*/, v174
	s_set_vgpr_msb 0                        ;  msbs: dst=0 src0=0 src1=0 src2=0
	v_add_f32_e32 v9, v9, v11
	s_set_vgpr_msb 1                        ;  msbs: dst=0 src0=1 src1=0 src2=0
	v_dual_mul_f32 v63, v34 /*v290*/, v179 :: v_dual_mul_f32 v65, v36 /*v292*/, v181
	s_set_vgpr_msb 0                        ;  msbs: dst=0 src0=0 src1=0 src2=0
	v_add_f32_e32 v7, v7, v51
	s_wait_loadcnt_dscnt 0x904
	s_set_vgpr_msb 1                        ;  msbs: dst=0 src0=1 src1=0 src2=0
	v_dual_mul_f32 v11, v39 /*v295*/, v183 :: v_dual_fma_f32 v15, v28 /*v284*/, v172, -v15
	s_set_vgpr_msb 0                        ;  msbs: dst=0 src0=0 src1=0 src2=0
	v_add_f32_e32 v9, v9, v13
	s_set_vgpr_msb 1                        ;  msbs: dst=0 src0=1 src1=0 src2=0
	v_dual_mul_f32 v13, v41 /*v297*/, v185 :: v_dual_fma_f32 v17, v30 /*v286*/, v174, -v17
	s_set_vgpr_msb 0                        ;  msbs: dst=0 src0=0 src1=0 src2=0
	v_add_f32_e32 v7, v7, v53
	s_set_vgpr_msb 1                        ;  msbs: dst=0 src0=1 src1=0 src2=0
	v_dual_fmac_f32 v61, v33 /*v289*/, v176 :: v_dual_fmac_f32 v63, v35 /*v291*/, v178
	s_set_vgpr_msb 0                        ;  msbs: dst=0 src0=0 src1=0 src2=0
	v_add_f32_e32 v9, v9, v15
	s_set_vgpr_msb 1                        ;  msbs: dst=0 src0=1 src1=0 src2=0
	v_dual_mul_f32 v67, v38 /*v294*/, v183 :: v_dual_mul_f32 v69, v40 /*v296*/, v185
	s_set_vgpr_msb 0                        ;  msbs: dst=0 src0=0 src1=0 src2=0
	v_add_f32_e32 v7, v7, v55
	s_wait_loadcnt_dscnt 0x803
	s_set_vgpr_msb 1                        ;  msbs: dst=0 src0=1 src1=0 src2=0
	v_dual_mul_f32 v15, v43 /*v299*/, v187 :: v_dual_fma_f32 v19, v32 /*v288*/, v176, -v19
	s_set_vgpr_msb 0                        ;  msbs: dst=0 src0=0 src1=0 src2=0
	v_add_f32_e32 v9, v9, v17
	s_set_vgpr_msb 1                        ;  msbs: dst=0 src0=1 src1=0 src2=0
	v_dual_mul_f32 v17, v45 /*v301*/, v189 :: v_dual_fma_f32 v21, v34 /*v290*/, v178, -v21
	s_set_vgpr_msb 0                        ;  msbs: dst=0 src0=0 src1=0 src2=0
	v_add_f32_e32 v7, v7, v57
	s_set_vgpr_msb 1                        ;  msbs: dst=0 src0=1 src1=0 src2=0
	v_dual_fmac_f32 v65, v37 /*v293*/, v180 :: v_dual_fmac_f32 v67, v39 /*v295*/, v182
	s_set_vgpr_msb 0                        ;  msbs: dst=0 src0=0 src1=0 src2=0
	v_add_f32_e32 v9, v9, v19
	s_set_vgpr_msb 1                        ;  msbs: dst=0 src0=1 src1=0 src2=0
	v_dual_mul_f32 v71, v42 /*v298*/, v187 :: v_dual_mul_f32 v73, v44 /*v300*/, v189
	s_set_vgpr_msb 0                        ;  msbs: dst=0 src0=0 src1=0 src2=0
	v_add_f32_e32 v7, v7, v59
	s_wait_loadcnt_dscnt 0x702
	s_set_vgpr_msb 1                        ;  msbs: dst=0 src0=1 src1=0 src2=0
	v_dual_mul_f32 v19, v47 /*v303*/, v191 :: v_dual_fma_f32 v23, v36 /*v292*/, v180, -v23
	s_set_vgpr_msb 0                        ;  msbs: dst=0 src0=0 src1=0 src2=0
	v_add_f32_e32 v9, v9, v21
	s_set_vgpr_msb 1                        ;  msbs: dst=0 src0=1 src1=0 src2=0
	v_dual_mul_f32 v75, v46 /*v302*/, v191 :: v_dual_mul_f32 v77, v48 /*v304*/, v193
	s_set_vgpr_msb 0                        ;  msbs: dst=0 src0=0 src1=0 src2=0
	v_add_f32_e32 v7, v7, v61
	s_set_vgpr_msb 1                        ;  msbs: dst=0 src0=1 src1=0 src2=0
	v_dual_mul_f32 v21, v49 /*v305*/, v193 :: v_dual_fma_f32 v11, v38 /*v294*/, v182, -v11
	v_dual_fmac_f32 v69, v41 /*v297*/, v184 :: v_dual_fmac_f32 v71, v43 /*v299*/, v186
	s_set_vgpr_msb 0                        ;  msbs: dst=0 src0=0 src1=0 src2=0
	v_add_f32_e32 v9, v9, v23
	s_wait_loadcnt_dscnt 0x601
	s_set_vgpr_msb 1                        ;  msbs: dst=0 src0=1 src1=0 src2=0
	v_dual_mul_f32 v23, v51 /*v307*/, v195 :: v_dual_fma_f32 v13, v40 /*v296*/, v184, -v13
	v_dual_fmac_f32 v73, v45 /*v301*/, v188 :: v_dual_fmac_f32 v75, v47 /*v303*/, v190
	s_set_vgpr_msb 0                        ;  msbs: dst=0 src0=0 src1=0 src2=0
	v_add_f32_e32 v9, v9, v11
	v_add_f32_e32 v7, v7, v63
	s_set_vgpr_msb 1                        ;  msbs: dst=0 src0=1 src1=0 src2=0
	v_dual_mul_f32 v79, v50 /*v306*/, v195 :: v_dual_mul_f32 v81, v52 /*v308*/, v197
	v_dual_mul_f32 v11, v53 /*v309*/, v197 :: v_dual_fma_f32 v15, v42 /*v298*/, v186, -v15
	s_set_vgpr_msb 0                        ;  msbs: dst=0 src0=0 src1=0 src2=0
	v_add_f32_e32 v9, v9, v13
	v_add_f32_e32 v7, v7, v65
	s_wait_loadcnt_dscnt 0x500
	s_set_vgpr_msb 1                        ;  msbs: dst=0 src0=1 src1=0 src2=0
	v_dual_mul_f32 v13, v55 /*v311*/, v199 :: v_dual_fma_f32 v17, v44 /*v300*/, v188, -v17
	v_dual_fmac_f32 v77, v49 /*v305*/, v192 :: v_dual_fmac_f32 v79, v51 /*v307*/, v194
	s_set_vgpr_msb 0                        ;  msbs: dst=0 src0=0 src1=0 src2=0
	v_add_f32_e32 v9, v9, v15
	v_add_f32_e32 v7, v7, v67
	s_set_vgpr_msb 1                        ;  msbs: dst=0 src0=1 src1=0 src2=0
	v_dual_mul_f32 v15, v57 /*v313*/, v201 :: v_dual_fma_f32 v19, v46 /*v302*/, v190, -v19
	s_wait_loadcnt 0x4
	s_set_vgpr_msb 0                        ;  msbs: dst=0 src0=0 src1=0 src2=0
	v_mov_b32_e32 v124, v205
	v_add_f32_e32 v9, v9, v17
	v_add_f32_e32 v7, v7, v69
	s_set_vgpr_msb 1                        ;  msbs: dst=0 src0=1 src1=0 src2=0
	v_fma_f32 v17, v48 /*v304*/, v192, -v21
	v_dual_fmac_f32 v81, v53 /*v309*/, v196 :: v_dual_fma_f32 v11, v52 /*v308*/, v196, -v11
	s_set_vgpr_msb 0                        ;  msbs: dst=0 src0=0 src1=0 src2=0
	v_add_f32_e32 v9, v9, v19
	v_add_f32_e32 v7, v7, v71
	s_set_vgpr_msb 1                        ;  msbs: dst=0 src0=1 src1=0 src2=0
	v_fma_f32 v19, v50 /*v306*/, v194, -v23
	s_set_vgpr_msb 0x41                     ;  msbs: dst=1 src0=1 src1=0 src2=0
	v_dual_mul_f32 v69 /*v325*/, v54 /*v310*/, v199 :: v_dual_mul_f32 v71 /*v327*/, v56 /*v312*/, v201
	s_set_vgpr_msb 0                        ;  msbs: dst=0 src0=0 src1=0 src2=0
	v_add_f32_e32 v9, v9, v17
	v_add_f32_e32 v7, v7, v73
	v_pk_mul_f32 v[122:123], v[234:235], v[202:203] op_sel:[1,1] op_sel_hi:[0,1]
	s_wait_loadcnt 0x3
	v_mov_b32_e32 v128, v209
	s_set_vgpr_msb 0x41                     ;  msbs: dst=1 src0=1 src1=0 src2=0
	v_dual_fmac_f32 v69 /*v325*/, v55 /*v311*/, v198 :: v_dual_fmac_f32 v71 /*v327*/, v57 /*v313*/, v200
	s_set_vgpr_msb 0                        ;  msbs: dst=0 src0=0 src1=0 src2=0
	v_add_f32_e32 v7, v7, v75
	v_add_f32_e32 v9, v9, v19
	s_set_vgpr_msb 0x41                     ;  msbs: dst=1 src0=1 src1=0 src2=0
	v_dual_fma_f32 v68 /*v324*/, v54 /*v310*/, v198, -v13 :: v_dual_fma_f32 v70 /*v326*/, v56 /*v312*/, v200, -v15
	s_set_vgpr_msb 0                        ;  msbs: dst=0 src0=0 src1=0 src2=0
	v_pk_fma_f32 v[132:133], v[234:235], v[202:203], v[122:123] op_sel_hi:[1,0,1]
	v_dual_add_f32 v7, v7, v77 :: v_dual_add_f32 v130, v9, v11
	s_set_vgpr_msb 1                        ;  msbs: dst=0 src0=1 src1=0 src2=0
	v_pk_mul_f32 v[124:125], v[60:61] /*v[316:317]*/, v[124:125] op_sel_hi:[1,0]
	s_set_vgpr_msb 0                        ;  msbs: dst=0 src0=0 src1=0 src2=0
	v_pk_fma_f32 v[122:123], v[234:235], v[202:203], v[122:123] neg_lo:[0,0,1] neg_hi:[0,0,1]
	v_pk_mul_f32 v[126:127], v[238:239], v[206:207] op_sel:[1,1] op_sel_hi:[0,1]
	v_dual_add_f32 v7, v7, v79 :: v_dual_mov_b32 v123, v133
	v_pk_fma_f32 v[132:133], v[236:237], v[204:205], v[124:125] op_sel_hi:[1,0,1]
	v_pk_fma_f32 v[124:125], v[236:237], v[204:205], v[124:125] neg_lo:[0,0,1] neg_hi:[0,0,1]
	s_delay_alu instid0(VALU_DEP_4) | instskip(NEXT) | instid1(VALU_DEP_4)
	v_pk_fma_f32 v[136:137], v[238:239], v[206:207], v[126:127] op_sel_hi:[1,0,1]
	v_add_f32_e32 v131, v7, v81
	s_set_vgpr_msb 1                        ;  msbs: dst=0 src0=1 src1=0 src2=0
	v_pk_mul_f32 v[128:129], v[62:63] /*v[318:319]*/, v[128:129] op_sel_hi:[1,0]
	s_set_vgpr_msb 0                        ;  msbs: dst=0 src0=0 src1=0 src2=0
	v_mov_b32_e32 v125, v133
	s_wait_loadcnt 0x2
	v_pk_mul_f32 v[134:135], v[250:251], v[210:211] op_sel:[1,1] op_sel_hi:[0,1]
	v_pk_fma_f32 v[126:127], v[238:239], v[206:207], v[126:127] neg_lo:[0,0,1] neg_hi:[0,0,1]
	s_set_vgpr_msb 4                        ;  msbs: dst=0 src0=0 src1=1 src2=0
	v_pk_add_f32 v[130:131], v[130:131], v[68:69] /*v[324:325]*/
	v_mov_b32_e32 v127, v137
	s_set_vgpr_msb 0                        ;  msbs: dst=0 src0=0 src1=0 src2=0
	v_pk_fma_f32 v[132:133], v[240:241], v[208:209], v[128:129] op_sel_hi:[1,0,1]
	v_pk_fma_f32 v[128:129], v[240:241], v[208:209], v[128:129] neg_lo:[0,0,1] neg_hi:[0,0,1]
	s_set_vgpr_msb 4                        ;  msbs: dst=0 src0=0 src1=1 src2=0
	v_pk_add_f32 v[130:131], v[130:131], v[70:71] /*v[326:327]*/
	s_set_vgpr_msb 0                        ;  msbs: dst=0 src0=0 src1=0 src2=0
	s_delay_alu instid0(VALU_DEP_1) | instskip(SKIP_1) | instid1(VALU_DEP_2)
	v_pk_add_f32 v[122:123], v[130:131], v[122:123]
	v_mov_b32_e32 v130, v213
	v_pk_add_f32 v[122:123], v[122:123], v[124:125]
	v_pk_fma_f32 v[124:125], v[250:251], v[210:211], v[134:135] op_sel_hi:[1,0,1]
	s_set_vgpr_msb 1                        ;  msbs: dst=0 src0=1 src1=0 src2=0
	s_delay_alu instid0(VALU_DEP_3)
	v_pk_mul_f32 v[130:131], v[64:65] /*v[320:321]*/, v[130:131] op_sel_hi:[1,0]
	s_set_vgpr_msb 0                        ;  msbs: dst=0 src0=0 src1=0 src2=0
	v_mov_b32_e32 v129, v133
	v_pk_fma_f32 v[132:133], v[250:251], v[210:211], v[134:135] neg_lo:[0,0,1] neg_hi:[0,0,1]
	v_pk_add_f32 v[122:123], v[122:123], v[126:127]
	v_mov_b32_e32 v133, v125
	v_pk_fma_f32 v[124:125], v[252:253], v[212:213], v[130:131] op_sel_hi:[1,0,1]
	s_wait_loadcnt 0x1
	v_pk_mul_f32 v[126:127], v[254:255], v[214:215] op_sel:[1,1] op_sel_hi:[0,1]
	v_mov_b32_e32 v124, v217
	v_pk_add_f32 v[122:123], v[122:123], v[128:129]
	v_pk_fma_f32 v[130:131], v[252:253], v[212:213], v[130:131] neg_lo:[0,0,1] neg_hi:[0,0,1]
	v_mov_b32_e32 v131, v125
	v_pk_fma_f32 v[128:129], v[254:255], v[214:215], v[126:127] op_sel_hi:[1,0,1]
	s_set_vgpr_msb 1                        ;  msbs: dst=0 src0=1 src1=0 src2=0
	v_pk_mul_f32 v[124:125], v[66:67] /*v[322:323]*/, v[124:125] op_sel_hi:[1,0]
	s_set_vgpr_msb 0                        ;  msbs: dst=0 src0=0 src1=0 src2=0
	v_pk_add_f32 v[122:123], v[122:123], v[132:133]
	v_pk_fma_f32 v[126:127], v[254:255], v[214:215], v[126:127] neg_lo:[0,0,1] neg_hi:[0,0,1]
	v_mov_b32_e32 v127, v129
	s_set_vgpr_msb 1                        ;  msbs: dst=0 src0=1 src1=0 src2=0
	v_pk_fma_f32 v[128:129], v[0:1] /*v[256:257]*/, v[216:217], v[124:125] op_sel_hi:[1,0,1]
	s_set_vgpr_msb 0                        ;  msbs: dst=0 src0=0 src1=0 src2=0
	v_pk_add_f32 v[122:123], v[122:123], v[130:131]
	s_set_vgpr_msb 1                        ;  msbs: dst=0 src0=1 src1=0 src2=0
	v_pk_fma_f32 v[124:125], v[0:1] /*v[256:257]*/, v[216:217], v[124:125] neg_lo:[0,0,1] neg_hi:[0,0,1]
	s_set_vgpr_msb 0                        ;  msbs: dst=0 src0=0 src1=0 src2=0
	v_mov_b32_e32 v125, v129
	v_pk_add_f32 v[122:123], v[122:123], v[126:127]
	s_delay_alu instid0(VALU_DEP_1) | instskip(SKIP_2) | instid1(VALU_DEP_1)
	v_pk_add_f32 v[122:123], v[122:123], v[124:125]
	s_wait_loadcnt 0x0
	s_set_vgpr_msb 1                        ;  msbs: dst=0 src0=1 src1=0 src2=0
	v_pk_add_f32 v[122:123], v[58:59] /*v[314:315]*/, v[122:123] neg_lo:[0,1] neg_hi:[0,1]
	scratch_store_b64 off, v[122:123], off offset:88
	s_wait_xcnt 0x0
	v_cmpx_lt_u32_e32 10, v0
	s_set_vgpr_msb 0                        ;  msbs: dst=0 src0=0 src1=0 src2=0
	s_cbranch_execz .LBB123_353
; %bb.352:
	scratch_load_b64 v[122:123], off, off offset:80
	v_mov_b64_e32 v[124:125], 0
	scratch_store_b64 off, v[124:125], off offset:80
	s_wait_loadcnt 0x0
	ds_store_b64 v1, v[122:123]
.LBB123_353:
	s_wait_xcnt 0x0
	s_or_b32 exec_lo, exec_lo, s0
	s_wait_storecnt_dscnt 0x0
	s_barrier_signal -1
	s_barrier_wait -1
	s_clause 0x1a
	scratch_load_b128 v[122:125], off, off offset:88
	scratch_load_b128 v[126:129], off, off offset:104
	;; [unrolled: 1-line block ×24, first 2 shown]
	s_set_vgpr_msb 64                       ;  msbs: dst=1 src0=0 src1=0 src2=0
	scratch_load_b64 v[58:59] /*v[314:315]*/, off, off offset:472
	scratch_load_b64 v[60:61] /*v[316:317]*/, off, off offset:80
	s_set_vgpr_msb 0                        ;  msbs: dst=0 src0=0 src1=0 src2=0
	v_mov_b32_e32 v7, 0
	ds_load_2addr_b64 v[218:221], v7 offset0:71 offset1:72
	ds_load_2addr_b64 v[222:225], v7 offset0:73 offset1:74
	;; [unrolled: 1-line block ×10, first 2 shown]
	s_set_vgpr_msb 64                       ;  msbs: dst=1 src0=0 src1=0 src2=0
	ds_load_2addr_b64 v[2:5] /*v[258:261]*/, v7 offset0:85 offset1:86
	ds_load_2addr_b64 v[6:9] /*v[262:265]*/, v7 offset0:117 offset1:118
	;; [unrolled: 1-line block ×14, first 2 shown]
	ds_load_b64 v[62:63] /*v[318:319]*/, v7 offset:952
	s_wait_dscnt 0x14
	v_dual_mov_b32 v64 /*v320*/, v237 :: v_dual_mov_b32 v65 /*v321*/, v236
	s_wait_dscnt 0x11
	v_dual_mov_b32 v66 /*v322*/, v249 :: v_dual_mov_b32 v67 /*v323*/, v248
	;; [unrolled: 2-line block ×3, first 2 shown]
	s_wait_dscnt 0xd
	s_set_vgpr_msb 0x41                     ;  msbs: dst=1 src0=1 src1=0 src2=0
	v_dual_mov_b32 v70 /*v326*/, v9 /*v265*/ :: v_dual_mov_b32 v71 /*v327*/, v8 /*v264*/
	s_mov_b32 s0, exec_lo
	s_wait_loadcnt 0x19
	s_set_vgpr_msb 0                        ;  msbs: dst=0 src0=0 src1=0 src2=0
	v_dual_mul_f32 v9, v218, v123 :: v_dual_mul_f32 v87, v219, v123
	v_dual_mul_f32 v89, v221, v125 :: v_dual_mul_f32 v11, v220, v125
	s_wait_loadcnt 0x18
	v_mul_f32_e32 v13, v222, v127
	s_wait_loadcnt 0x16
	v_dual_mul_f32 v99, v231, v135 :: v_dual_fma_f32 v87, v218, v122, -v87
	v_dual_fmac_f32 v9, v219, v122 :: v_dual_mul_f32 v101, v233, v137
	v_dual_mul_f32 v91, v223, v127 :: v_dual_mul_f32 v93, v225, v129
	v_dual_fmac_f32 v11, v221, v124 :: v_dual_fma_f32 v89, v220, v124, -v89
	s_delay_alu instid0(VALU_DEP_3) | instskip(SKIP_3) | instid1(VALU_DEP_3)
	v_dual_add_f32 v9, 0, v9 :: v_dual_add_f32 v87, 0, v87
	v_dual_mul_f32 v15, v224, v129 :: v_dual_mul_f32 v17, v226, v131
	s_wait_loadcnt 0x15
	v_dual_mul_f32 v103, v239, v139 :: v_dual_fma_f32 v91, v222, v126, -v91
	v_dual_fmac_f32 v13, v223, v126 :: v_dual_add_f32 v9, v9, v11
	s_delay_alu instid0(VALU_DEP_3) | instskip(SKIP_2) | instid1(VALU_DEP_3)
	v_dual_add_f32 v11, v87, v89 :: v_dual_fmac_f32 v15, v225, v128
	v_dual_mul_f32 v95, v227, v131 :: v_dual_mul_f32 v97, v229, v133
	v_dual_mul_f32 v87, v241, v141 :: v_dual_fma_f32 v89, v224, v128, -v93
	v_dual_add_f32 v9, v9, v13 :: v_dual_add_f32 v11, v11, v91
	v_dual_mul_f32 v19, v228, v133 :: v_dual_mul_f32 v21, v230, v135
	s_wait_loadcnt 0x14
	v_dual_mul_f32 v13, v243, v143 :: v_dual_fma_f32 v91, v226, v130, -v95
	s_delay_alu instid0(VALU_DEP_3) | instskip(NEXT) | instid1(VALU_DEP_3)
	v_dual_fmac_f32 v17, v227, v130 :: v_dual_add_f32 v9, v9, v15
	v_dual_add_f32 v11, v11, v89 :: v_dual_fmac_f32 v19, v229, v132
	v_dual_mul_f32 v15, v245, v145 :: v_dual_fma_f32 v89, v228, v132, -v97
	s_delay_alu instid0(VALU_DEP_2) | instskip(SKIP_3) | instid1(VALU_DEP_3)
	v_dual_add_f32 v9, v9, v17 :: v_dual_add_f32 v11, v11, v91
	v_dual_mul_f32 v23, v232, v137 :: v_dual_mul_f32 v25, v238, v139
	s_wait_loadcnt 0x13
	v_dual_mul_f32 v17, v255, v147 :: v_dual_fma_f32 v91, v230, v134, -v99
	v_dual_fmac_f32 v21, v231, v134 :: v_dual_add_f32 v9, v9, v19
	s_delay_alu instid0(VALU_DEP_3) | instskip(SKIP_2) | instid1(VALU_DEP_3)
	v_dual_add_f32 v11, v11, v89 :: v_dual_fmac_f32 v23, v233, v136
	v_fma_f32 v89, v232, v136, -v101
	v_dual_mul_f32 v27, v240, v141 :: v_dual_mul_f32 v29, v242, v143
	v_dual_add_f32 v9, v9, v21 :: v_dual_add_f32 v11, v11, v91
	v_dual_fma_f32 v91, v238, v138, -v103 :: v_dual_fmac_f32 v25, v239, v138
	s_delay_alu instid0(VALU_DEP_3) | instskip(NEXT) | instid1(VALU_DEP_3)
	v_fmac_f32_e32 v27, v241, v140
	v_dual_add_f32 v9, v9, v23 :: v_dual_add_f32 v11, v11, v89
	v_fma_f32 v87, v240, v140, -v87
	v_dual_mul_f32 v31, v244, v145 :: v_dual_mul_f32 v33, v254, v147
	s_delay_alu instid0(VALU_DEP_3) | instskip(SKIP_1) | instid1(VALU_DEP_3)
	v_dual_add_f32 v9, v9, v25 :: v_dual_add_f32 v11, v11, v91
	v_fma_f32 v13, v242, v142, -v13
	v_dual_fmac_f32 v29, v243, v142 :: v_dual_fmac_f32 v31, v245, v144
	s_delay_alu instid0(VALU_DEP_3) | instskip(NEXT) | instid1(VALU_DEP_4)
	v_add_f32_e32 v9, v9, v27
	v_dual_add_f32 v11, v11, v87 :: v_dual_fma_f32 v15, v244, v144, -v15
	s_wait_loadcnt 0x12
	s_set_vgpr_msb 1                        ;  msbs: dst=0 src0=1 src1=0 src2=0
	v_dual_mul_f32 v35, v0 /*v256*/, v149 :: v_dual_mul_f32 v37, v2 /*v258*/, v151
	s_set_vgpr_msb 0                        ;  msbs: dst=0 src0=0 src1=0 src2=0
	v_add_f32_e32 v9, v9, v29
	v_dual_add_f32 v11, v11, v13 :: v_dual_fma_f32 v17, v254, v146, -v17
	s_set_vgpr_msb 1                        ;  msbs: dst=0 src0=1 src1=0 src2=0
	v_dual_mul_f32 v19, v1 /*v257*/, v149 :: v_dual_mul_f32 v21, v3 /*v259*/, v151
	s_set_vgpr_msb 0                        ;  msbs: dst=0 src0=0 src1=0 src2=0
	v_dual_fmac_f32 v33, v255, v146 :: v_dual_add_f32 v9, v9, v31
	v_add_f32_e32 v11, v11, v15
	s_wait_loadcnt_dscnt 0x100b
	s_set_vgpr_msb 1                        ;  msbs: dst=0 src0=1 src1=0 src2=0
	v_dual_mul_f32 v15, v17 /*v273*/, v161 :: v_dual_fma_f32 v19, v0 /*v256*/, v148, -v19
	v_fmac_f32_e32 v35, v1 /*v257*/, v148
	s_set_vgpr_msb 0                        ;  msbs: dst=0 src0=0 src1=0 src2=0
	v_add_f32_e32 v9, v9, v33
	v_add_f32_e32 v11, v11, v17
	s_set_vgpr_msb 1                        ;  msbs: dst=0 src0=1 src1=0 src2=0
	v_dual_mul_f32 v39, v4 /*v260*/, v153 :: v_dual_mul_f32 v41, v10 /*v266*/, v155
	v_dual_mul_f32 v23, v5 /*v261*/, v153 :: v_dual_mul_f32 v25, v11 /*v267*/, v155
	s_wait_loadcnt_dscnt 0xf0a
	v_mul_f32_e32 v17, v19 /*v275*/, v163
	v_fmac_f32_e32 v37, v3 /*v259*/, v150
	v_dual_fma_f32 v21, v2 /*v258*/, v150, -v21 :: v_dual_fmac_f32 v39, v5 /*v261*/, v152
	s_set_vgpr_msb 0                        ;  msbs: dst=0 src0=0 src1=0 src2=0
	v_add_f32_e32 v9, v9, v35
	v_add_f32_e32 v11, v11, v19
	s_set_vgpr_msb 1                        ;  msbs: dst=0 src0=1 src1=0 src2=0
	v_dual_mul_f32 v19, v21 /*v277*/, v165 :: v_dual_fma_f32 v23, v4 /*v260*/, v152, -v23
	v_dual_mul_f32 v43, v12 /*v268*/, v157 :: v_dual_mul_f32 v45, v14 /*v270*/, v159
	s_set_vgpr_msb 0                        ;  msbs: dst=0 src0=0 src1=0 src2=0
	v_add_f32_e32 v9, v9, v37
	v_add_f32_e32 v11, v11, v21
	s_set_vgpr_msb 1                        ;  msbs: dst=0 src0=1 src1=0 src2=0
	v_dual_mul_f32 v27, v13 /*v269*/, v157 :: v_dual_mul_f32 v13, v15 /*v271*/, v159
	s_wait_loadcnt_dscnt 0xe09
	v_mul_f32_e32 v21, v23 /*v279*/, v167
	v_fmac_f32_e32 v41, v11 /*v267*/, v154
	v_dual_fma_f32 v25, v10 /*v266*/, v154, -v25 :: v_dual_fmac_f32 v43, v13 /*v269*/, v156
	s_set_vgpr_msb 0                        ;  msbs: dst=0 src0=0 src1=0 src2=0
	v_add_f32_e32 v9, v9, v39
	v_add_f32_e32 v11, v11, v23
	s_set_vgpr_msb 1                        ;  msbs: dst=0 src0=1 src1=0 src2=0
	v_dual_mul_f32 v23, v25 /*v281*/, v169 :: v_dual_fma_f32 v27, v12 /*v268*/, v156, -v27
	v_dual_mul_f32 v47, v16 /*v272*/, v161 :: v_dual_mul_f32 v49, v18 /*v274*/, v163
	s_set_vgpr_msb 0                        ;  msbs: dst=0 src0=0 src1=0 src2=0
	v_add_f32_e32 v9, v9, v41
	v_add_f32_e32 v11, v11, v25
	s_wait_loadcnt_dscnt 0xd08
	s_set_vgpr_msb 1                        ;  msbs: dst=0 src0=1 src1=0 src2=0
	v_mul_f32_e32 v25, v27 /*v283*/, v171
	v_fmac_f32_e32 v45, v15 /*v271*/, v158
	v_dual_fma_f32 v13, v14 /*v270*/, v158, -v13 :: v_dual_fmac_f32 v47, v17 /*v273*/, v160
	s_set_vgpr_msb 0                        ;  msbs: dst=0 src0=0 src1=0 src2=0
	v_add_f32_e32 v9, v9, v43
	v_add_f32_e32 v11, v11, v27
	s_set_vgpr_msb 1                        ;  msbs: dst=0 src0=1 src1=0 src2=0
	v_dual_mul_f32 v27, v29 /*v285*/, v173 :: v_dual_fma_f32 v15, v16 /*v272*/, v160, -v15
	v_dual_mul_f32 v51, v20 /*v276*/, v165 :: v_dual_mul_f32 v53, v22 /*v278*/, v167
	s_set_vgpr_msb 0                        ;  msbs: dst=0 src0=0 src1=0 src2=0
	v_add_f32_e32 v9, v9, v45
	v_add_f32_e32 v11, v11, v13
	s_wait_loadcnt_dscnt 0xc07
	s_set_vgpr_msb 1                        ;  msbs: dst=0 src0=1 src1=0 src2=0
	;; [unrolled: 14-line block ×8, first 2 shown]
	v_mul_f32_e32 v21, v55 /*v311*/, v199
	v_fmac_f32_e32 v73, v43 /*v299*/, v186
	v_dual_fma_f32 v25, v42 /*v298*/, v186, -v25 :: v_dual_fmac_f32 v75, v45 /*v301*/, v188
	s_set_vgpr_msb 0                        ;  msbs: dst=0 src0=0 src1=0 src2=0
	v_add_f32_e32 v9, v9, v71
	v_add_f32_e32 v11, v11, v23
	s_set_vgpr_msb 1                        ;  msbs: dst=0 src0=1 src1=0 src2=0
	v_dual_mul_f32 v23, v57 /*v313*/, v201 :: v_dual_fma_f32 v27, v44 /*v300*/, v188, -v27
	v_fmac_f32_e32 v77, v47 /*v303*/, v190
	s_set_vgpr_msb 0                        ;  msbs: dst=0 src0=0 src1=0 src2=0
	v_add_f32_e32 v9, v9, v73
	v_add_f32_e32 v11, v11, v25
	s_set_vgpr_msb 1                        ;  msbs: dst=0 src0=1 src1=0 src2=0
	v_dual_mul_f32 v79, v48 /*v304*/, v193 :: v_dual_mul_f32 v81, v50 /*v306*/, v195
	v_fma_f32 v13, v46 /*v302*/, v190, -v13
	s_set_vgpr_msb 0                        ;  msbs: dst=0 src0=0 src1=0 src2=0
	v_add_f32_e32 v9, v9, v75
	v_add_f32_e32 v11, v11, v27
	s_set_vgpr_msb 1                        ;  msbs: dst=0 src0=1 src1=0 src2=0
	v_fmac_f32_e32 v79, v49 /*v305*/, v192
	v_dual_fma_f32 v15, v48 /*v304*/, v192, -v15 :: v_dual_fmac_f32 v81, v51 /*v307*/, v194
	s_set_vgpr_msb 0                        ;  msbs: dst=0 src0=0 src1=0 src2=0
	v_add_f32_e32 v9, v9, v77
	v_add_f32_e32 v11, v11, v13
	s_set_vgpr_msb 1                        ;  msbs: dst=0 src0=1 src1=0 src2=0
	v_dual_mul_f32 v83, v52 /*v308*/, v197 :: v_dual_mul_f32 v85, v54 /*v310*/, v199
	v_fma_f32 v13, v50 /*v306*/, v194, -v17
	s_set_vgpr_msb 0                        ;  msbs: dst=0 src0=0 src1=0 src2=0
	v_add_f32_e32 v9, v9, v79
	s_wait_loadcnt 0x4
	v_dual_add_f32 v11, v11, v15 :: v_dual_mov_b32 v126, v209
	v_dual_mul_f32 v25, v235, v203 :: v_dual_mov_b32 v122, v205
	s_set_vgpr_msb 1                        ;  msbs: dst=0 src0=1 src1=0 src2=0
	v_fmac_f32_e32 v83, v53 /*v309*/, v196
	v_dual_fma_f32 v15, v52 /*v308*/, v196, -v19 :: v_dual_fmac_f32 v85, v55 /*v311*/, v198
	s_set_vgpr_msb 0                        ;  msbs: dst=0 src0=0 src1=0 src2=0
	v_add_f32_e32 v11, v11, v13
	v_add_f32_e32 v9, v9, v81
	s_set_vgpr_msb 0x41                     ;  msbs: dst=1 src0=1 src1=0 src2=0
	v_dual_mul_f32 v73 /*v329*/, v56 /*v312*/, v201 :: v_dual_fma_f32 v72 /*v328*/, v56 /*v312*/, v200, -v23
	s_set_vgpr_msb 1                        ;  msbs: dst=0 src0=1 src1=0 src2=0
	v_fma_f32 v13, v54 /*v310*/, v198, -v21
	s_set_vgpr_msb 0                        ;  msbs: dst=0 src0=0 src1=0 src2=0
	v_add_f32_e32 v11, v11, v15
	v_add_f32_e32 v9, v9, v83
	s_set_vgpr_msb 1                        ;  msbs: dst=0 src0=1 src1=0 src2=0
	v_pk_mul_f32 v[122:123], v[64:65] /*v[320:321]*/, v[122:123] op_sel_hi:[1,0]
	s_set_vgpr_msb 64                       ;  msbs: dst=1 src0=0 src1=0 src2=0
	v_dual_mul_f32 v75 /*v331*/, v234, v203 :: v_dual_fma_f32 v74 /*v330*/, v234, v202, -v25
	s_set_vgpr_msb 0x41                     ;  msbs: dst=1 src0=1 src1=0 src2=0
	v_fmac_f32_e32 v73 /*v329*/, v57 /*v313*/, v200
	s_wait_loadcnt 0x3
	s_set_vgpr_msb 0                        ;  msbs: dst=0 src0=0 src1=0 src2=0
	v_dual_add_f32 v130, v11, v13 :: v_dual_mov_b32 v132, v213
	v_pk_fma_f32 v[134:135], v[236:237], v[204:205], v[122:123] op_sel_hi:[1,0,1]
	v_add_f32_e32 v131, v9, v85
	v_pk_fma_f32 v[122:123], v[236:237], v[204:205], v[122:123] neg_lo:[0,0,1] neg_hi:[0,0,1]
	v_pk_mul_f32 v[124:125], v[246:247], v[206:207] op_sel:[1,1] op_sel_hi:[0,1]
	s_set_vgpr_msb 64                       ;  msbs: dst=1 src0=0 src1=0 src2=0
	v_fmac_f32_e32 v75 /*v331*/, v235, v202
	s_set_vgpr_msb 4                        ;  msbs: dst=0 src0=0 src1=1 src2=0
	v_mov_b32_e32 v123, v135
	v_pk_add_f32 v[130:131], v[130:131], v[72:73] /*v[328:329]*/
	s_set_vgpr_msb 1                        ;  msbs: dst=0 src0=1 src1=0 src2=0
	v_pk_mul_f32 v[126:127], v[66:67] /*v[322:323]*/, v[126:127] op_sel_hi:[1,0]
	s_set_vgpr_msb 0                        ;  msbs: dst=0 src0=0 src1=0 src2=0
	v_pk_fma_f32 v[136:137], v[246:247], v[206:207], v[124:125] op_sel_hi:[1,0,1]
	v_pk_fma_f32 v[124:125], v[246:247], v[206:207], v[124:125] neg_lo:[0,0,1] neg_hi:[0,0,1]
	v_pk_mul_f32 v[128:129], v[250:251], v[210:211] op_sel:[1,1] op_sel_hi:[0,1]
	s_set_vgpr_msb 4                        ;  msbs: dst=0 src0=0 src1=1 src2=0
	v_pk_add_f32 v[130:131], v[130:131], v[74:75] /*v[330:331]*/
	s_set_vgpr_msb 1                        ;  msbs: dst=0 src0=1 src1=0 src2=0
	v_pk_mul_f32 v[132:133], v[68:69] /*v[324:325]*/, v[132:133] op_sel_hi:[1,0]
	s_set_vgpr_msb 0                        ;  msbs: dst=0 src0=0 src1=0 src2=0
	v_mov_b32_e32 v125, v137
	v_pk_fma_f32 v[136:137], v[248:249], v[208:209], v[126:127] op_sel_hi:[1,0,1]
	v_pk_fma_f32 v[126:127], v[248:249], v[208:209], v[126:127] neg_lo:[0,0,1] neg_hi:[0,0,1]
	v_pk_add_f32 v[122:123], v[130:131], v[122:123]
	v_pk_fma_f32 v[130:131], v[250:251], v[210:211], v[128:129] op_sel_hi:[1,0,1]
	v_pk_fma_f32 v[128:129], v[250:251], v[210:211], v[128:129] neg_lo:[0,0,1] neg_hi:[0,0,1]
	v_mov_b32_e32 v127, v137
	s_wait_loadcnt 0x2
	s_set_vgpr_msb 1                        ;  msbs: dst=0 src0=1 src1=0 src2=0
	v_pk_mul_f32 v[134:135], v[6:7] /*v[262:263]*/, v[214:215] op_sel:[1,1] op_sel_hi:[0,1]
	s_set_vgpr_msb 0                        ;  msbs: dst=0 src0=0 src1=0 src2=0
	v_pk_add_f32 v[122:123], v[122:123], v[124:125]
	v_dual_mov_b32 v124, v217 :: v_dual_mov_b32 v129, v131
	v_pk_fma_f32 v[130:131], v[252:253], v[212:213], v[132:133] op_sel_hi:[1,0,1]
	v_pk_fma_f32 v[132:133], v[252:253], v[212:213], v[132:133] neg_lo:[0,0,1] neg_hi:[0,0,1]
	s_delay_alu instid0(VALU_DEP_4)
	v_pk_add_f32 v[122:123], v[122:123], v[126:127]
	s_set_vgpr_msb 1                        ;  msbs: dst=0 src0=1 src1=0 src2=0
	v_pk_fma_f32 v[126:127], v[6:7] /*v[262:263]*/, v[214:215], v[134:135] op_sel_hi:[1,0,1]
	v_pk_mul_f32 v[124:125], v[70:71] /*v[326:327]*/, v[124:125] op_sel_hi:[1,0]
	s_set_vgpr_msb 0                        ;  msbs: dst=0 src0=0 src1=0 src2=0
	v_mov_b32_e32 v133, v131
	s_wait_loadcnt_dscnt 0x100
	s_set_vgpr_msb 5                        ;  msbs: dst=0 src0=1 src1=1 src2=0
	v_pk_mul_f32 v[130:131], v[62:63] /*v[318:319]*/, v[58:59] /*v[314:315]*/ op_sel:[1,1] op_sel_hi:[0,1]
	s_set_vgpr_msb 0                        ;  msbs: dst=0 src0=0 src1=0 src2=0
	v_pk_add_f32 v[122:123], v[122:123], v[128:129]
	s_set_vgpr_msb 1                        ;  msbs: dst=0 src0=1 src1=0 src2=0
	v_pk_fma_f32 v[128:129], v[6:7] /*v[262:263]*/, v[214:215], v[134:135] neg_lo:[0,0,1] neg_hi:[0,0,1]
	s_set_vgpr_msb 0                        ;  msbs: dst=0 src0=0 src1=0 src2=0
	v_mov_b32_e32 v129, v127
	s_set_vgpr_msb 1                        ;  msbs: dst=0 src0=1 src1=0 src2=0
	v_pk_fma_f32 v[126:127], v[8:9] /*v[264:265]*/, v[216:217], v[124:125] op_sel_hi:[1,0,1]
	v_pk_fma_f32 v[124:125], v[8:9] /*v[264:265]*/, v[216:217], v[124:125] neg_lo:[0,0,1] neg_hi:[0,0,1]
	s_set_vgpr_msb 0                        ;  msbs: dst=0 src0=0 src1=0 src2=0
	v_pk_add_f32 v[122:123], v[122:123], v[132:133]
	s_delay_alu instid0(VALU_DEP_3)
	v_mov_b32_e32 v125, v127
	s_set_vgpr_msb 5                        ;  msbs: dst=0 src0=1 src1=1 src2=0
	v_pk_fma_f32 v[126:127], v[62:63] /*v[318:319]*/, v[58:59] /*v[314:315]*/, v[130:131] op_sel_hi:[1,0,1]
	s_set_vgpr_msb 0                        ;  msbs: dst=0 src0=0 src1=0 src2=0
	v_pk_add_f32 v[122:123], v[122:123], v[128:129]
	s_set_vgpr_msb 5                        ;  msbs: dst=0 src0=1 src1=1 src2=0
	v_pk_fma_f32 v[128:129], v[62:63] /*v[318:319]*/, v[58:59] /*v[314:315]*/, v[130:131] neg_lo:[0,0,1] neg_hi:[0,0,1]
	s_set_vgpr_msb 0                        ;  msbs: dst=0 src0=0 src1=0 src2=0
	v_mov_b32_e32 v129, v127
	v_pk_add_f32 v[122:123], v[122:123], v[124:125]
	s_delay_alu instid0(VALU_DEP_1) | instskip(SKIP_2) | instid1(VALU_DEP_1)
	v_pk_add_f32 v[122:123], v[122:123], v[128:129]
	s_wait_loadcnt 0x0
	s_set_vgpr_msb 1                        ;  msbs: dst=0 src0=1 src1=0 src2=0
	v_pk_add_f32 v[122:123], v[60:61] /*v[316:317]*/, v[122:123] neg_lo:[0,1] neg_hi:[0,1]
	scratch_store_b64 off, v[122:123], off offset:80
	s_wait_xcnt 0x0
	v_cmpx_lt_u32_e32 9, v0
	s_set_vgpr_msb 0                        ;  msbs: dst=0 src0=0 src1=0 src2=0
	s_cbranch_execz .LBB123_355
; %bb.354:
	scratch_load_b64 v[122:123], off, off offset:72
	v_mov_b64_e32 v[124:125], 0
	scratch_store_b64 off, v[124:125], off offset:72
	s_wait_loadcnt 0x0
	ds_store_b64 v1, v[122:123]
.LBB123_355:
	s_wait_xcnt 0x0
	s_or_b32 exec_lo, exec_lo, s0
	s_wait_storecnt_dscnt 0x0
	s_barrier_signal -1
	s_barrier_wait -1
	s_clause 0x18
	scratch_load_b128 v[122:125], off, off offset:80
	scratch_load_b128 v[126:129], off, off offset:96
	;; [unrolled: 1-line block ×25, first 2 shown]
	ds_load_b128 v[222:225], v7 offset:560
	ds_load_b128 v[226:229], v7 offset:576
	;; [unrolled: 1-line block ×9, first 2 shown]
	s_set_vgpr_msb 64                       ;  msbs: dst=1 src0=0 src1=0 src2=0
	ds_load_b128 v[2:5] /*v[258:261]*/, v7 offset:928
	ds_load_b128 v[6:9] /*v[262:265]*/, v7 offset:656
	;; [unrolled: 1-line block ×10, first 2 shown]
	scratch_load_b64 v[66:67] /*v[322:323]*/, off, off offset:72
	ds_load_b128 v[42:45] /*v[298:301]*/, v7 offset:784
	ds_load_b128 v[46:49] /*v[302:305]*/, v7 offset:800
	;; [unrolled: 1-line block ×6, first 2 shown]
	s_mov_b32 s0, exec_lo
	s_wait_dscnt 0x13
	v_dual_mov_b32 v68 /*v324*/, v245 :: v_dual_mov_b32 v69 /*v325*/, v244
	s_wait_dscnt 0x10
	s_set_vgpr_msb 0x41                     ;  msbs: dst=1 src0=1 src1=0 src2=0
	v_dual_mov_b32 v70 /*v326*/, v1 /*v257*/ :: v_dual_mov_b32 v71 /*v327*/, v0 /*v256*/
	s_wait_dscnt 0xf
	v_dual_mov_b32 v72 /*v328*/, v5 /*v261*/ :: v_dual_mov_b32 v73 /*v329*/, v4 /*v260*/
	s_wait_dscnt 0xc
	v_dual_mov_b32 v74 /*v330*/, v17 /*v273*/ :: v_dual_mov_b32 v75 /*v331*/, v16 /*v272*/
	s_wait_loadcnt 0x19
	s_set_vgpr_msb 0                        ;  msbs: dst=0 src0=0 src1=0 src2=0
	v_dual_mul_f32 v7, v222, v123 :: v_dual_mul_f32 v9, v224, v125
	v_dual_mul_f32 v87, v223, v123 :: v_dual_mul_f32 v89, v225, v125
	s_wait_loadcnt 0x18
	v_dual_mul_f32 v11, v226, v127 :: v_dual_mul_f32 v13, v228, v129
	s_delay_alu instid0(VALU_DEP_3) | instskip(SKIP_3) | instid1(VALU_DEP_3)
	v_dual_fmac_f32 v7, v223, v122 :: v_dual_fmac_f32 v9, v225, v124
	s_wait_loadcnt 0x16
	v_dual_fma_f32 v87, v222, v122, -v87 :: v_dual_mul_f32 v99, v235, v135
	v_dual_mul_f32 v91, v227, v127 :: v_dual_mul_f32 v93, v229, v129
	v_dual_fma_f32 v89, v224, v124, -v89 :: v_dual_add_f32 v7, 0, v7
	s_delay_alu instid0(VALU_DEP_3) | instskip(SKIP_1) | instid1(VALU_DEP_3)
	v_dual_add_f32 v87, 0, v87 :: v_dual_mul_f32 v101, v237, v137
	v_dual_fmac_f32 v11, v227, v126 :: v_dual_fmac_f32 v13, v229, v128
	v_dual_fma_f32 v91, v226, v126, -v91 :: v_dual_add_f32 v7, v7, v9
	s_delay_alu instid0(VALU_DEP_3) | instskip(SKIP_2) | instid1(VALU_DEP_4)
	v_dual_add_f32 v9, v87, v89 :: v_dual_fma_f32 v89, v228, v128, -v93
	v_dual_mul_f32 v15, v230, v131 :: v_dual_mul_f32 v17, v232, v133
	v_dual_mul_f32 v95, v231, v131 :: v_dual_mul_f32 v97, v233, v133
	v_add_f32_e32 v7, v7, v11
	s_delay_alu instid0(VALU_DEP_3) | instskip(NEXT) | instid1(VALU_DEP_3)
	v_dual_add_f32 v9, v9, v91 :: v_dual_fmac_f32 v15, v231, v130
	v_fma_f32 v91, v230, v130, -v95
	v_dual_mul_f32 v19, v234, v135 :: v_dual_mul_f32 v21, v236, v137
	s_delay_alu instid0(VALU_DEP_4) | instskip(SKIP_2) | instid1(VALU_DEP_2)
	v_dual_add_f32 v7, v7, v13 :: v_dual_fmac_f32 v17, v233, v132
	s_wait_loadcnt 0x14
	v_dual_add_f32 v9, v9, v89 :: v_dual_mul_f32 v13, v251, v143
	v_dual_fma_f32 v89, v232, v132, -v97 :: v_dual_add_f32 v7, v7, v15
	v_mul_f32_e32 v15, v253, v145
	s_delay_alu instid0(VALU_DEP_3) | instskip(NEXT) | instid1(VALU_DEP_3)
	v_dual_add_f32 v9, v9, v91 :: v_dual_fmac_f32 v19, v235, v134
	v_dual_fma_f32 v91, v234, v134, -v99 :: v_dual_add_f32 v7, v7, v17
	v_fmac_f32_e32 v21, v237, v136
	s_delay_alu instid0(VALU_DEP_3) | instskip(SKIP_3) | instid1(VALU_DEP_3)
	v_dual_add_f32 v9, v9, v89 :: v_dual_fma_f32 v89, v236, v136, -v101
	v_dual_mul_f32 v23, v246, v139 :: v_dual_mul_f32 v25, v248, v141
	v_dual_mul_f32 v87, v247, v139 :: v_dual_mul_f32 v11, v249, v141
	v_add_f32_e32 v7, v7, v19
	v_dual_add_f32 v9, v9, v91 :: v_dual_fmac_f32 v23, v247, v138
	s_delay_alu instid0(VALU_DEP_3) | instskip(SKIP_1) | instid1(VALU_DEP_4)
	v_fma_f32 v87, v246, v138, -v87
	v_dual_mul_f32 v27, v250, v143 :: v_dual_mul_f32 v29, v252, v145
	v_dual_add_f32 v7, v7, v21 :: v_dual_fmac_f32 v25, v249, v140
	s_delay_alu instid0(VALU_DEP_4) | instskip(NEXT) | instid1(VALU_DEP_3)
	v_dual_add_f32 v9, v9, v89 :: v_dual_fma_f32 v11, v248, v140, -v11
	v_fmac_f32_e32 v27, v251, v142
	s_delay_alu instid0(VALU_DEP_3) | instskip(NEXT) | instid1(VALU_DEP_3)
	v_dual_add_f32 v7, v7, v23 :: v_dual_fma_f32 v13, v250, v142, -v13
	v_add_f32_e32 v9, v9, v87
	s_wait_loadcnt 0x13
	s_set_vgpr_msb 1                        ;  msbs: dst=0 src0=1 src1=0 src2=0
	v_dual_mul_f32 v31, v6 /*v262*/, v147 :: v_dual_mul_f32 v33, v8 /*v264*/, v149
	s_set_vgpr_msb 0                        ;  msbs: dst=0 src0=0 src1=0 src2=0
	v_add_f32_e32 v7, v7, v25
	s_set_vgpr_msb 1                        ;  msbs: dst=0 src0=1 src1=0 src2=0
	v_dual_mul_f32 v17, v7 /*v263*/, v147 :: v_dual_mul_f32 v19, v9 /*v265*/, v149
	s_set_vgpr_msb 0                        ;  msbs: dst=0 src0=0 src1=0 src2=0
	v_add_f32_e32 v9, v9, v11
	v_dual_fmac_f32 v29, v253, v144 :: v_dual_fma_f32 v15, v252, v144, -v15
	v_add_f32_e32 v7, v7, v27
	s_set_vgpr_msb 1                        ;  msbs: dst=0 src0=1 src1=0 src2=0
	v_dual_fmac_f32 v31, v7 /*v263*/, v146 :: v_dual_fma_f32 v17, v6 /*v262*/, v146, -v17
	s_set_vgpr_msb 0                        ;  msbs: dst=0 src0=0 src1=0 src2=0
	v_add_f32_e32 v9, v9, v13
	s_wait_loadcnt 0x12
	s_set_vgpr_msb 1                        ;  msbs: dst=0 src0=1 src1=0 src2=0
	v_dual_mul_f32 v35, v10 /*v266*/, v151 :: v_dual_mul_f32 v37, v12 /*v268*/, v153
	s_set_vgpr_msb 0                        ;  msbs: dst=0 src0=0 src1=0 src2=0
	v_add_f32_e32 v7, v7, v29
	s_set_vgpr_msb 1                        ;  msbs: dst=0 src0=1 src1=0 src2=0
	v_dual_mul_f32 v21, v11 /*v267*/, v151 :: v_dual_mul_f32 v23, v13 /*v269*/, v153
	s_set_vgpr_msb 0                        ;  msbs: dst=0 src0=0 src1=0 src2=0
	v_add_f32_e32 v9, v9, v15
	s_wait_loadcnt_dscnt 0x100a
	s_set_vgpr_msb 1                        ;  msbs: dst=0 src0=1 src1=0 src2=0
	v_dual_mul_f32 v15, v23 /*v279*/, v159 :: v_dual_fmac_f32 v33, v9 /*v265*/, v148
	v_fma_f32 v19, v8 /*v264*/, v148, -v19
	s_set_vgpr_msb 0                        ;  msbs: dst=0 src0=0 src1=0 src2=0
	v_dual_add_f32 v7, v7, v31 :: v_dual_add_f32 v9, v9, v17
	s_set_vgpr_msb 1                        ;  msbs: dst=0 src0=1 src1=0 src2=0
	v_dual_mul_f32 v17, v25 /*v281*/, v161 :: v_dual_fmac_f32 v35, v11 /*v267*/, v150
	v_fma_f32 v21, v10 /*v266*/, v150, -v21
	s_set_vgpr_msb 0                        ;  msbs: dst=0 src0=0 src1=0 src2=0
	v_dual_add_f32 v7, v7, v33 :: v_dual_add_f32 v9, v9, v19
	s_set_vgpr_msb 1                        ;  msbs: dst=0 src0=1 src1=0 src2=0
	v_dual_mul_f32 v11, v19 /*v275*/, v155 :: v_dual_mul_f32 v13, v21 /*v277*/, v157
	s_wait_loadcnt_dscnt 0xf09
	v_dual_mul_f32 v19, v27 /*v283*/, v163 :: v_dual_fmac_f32 v37, v13 /*v269*/, v152
	v_fma_f32 v23, v12 /*v268*/, v152, -v23
	s_set_vgpr_msb 0                        ;  msbs: dst=0 src0=0 src1=0 src2=0
	v_dual_add_f32 v7, v7, v35 :: v_dual_add_f32 v9, v9, v21
	s_set_vgpr_msb 1                        ;  msbs: dst=0 src0=1 src1=0 src2=0
	v_dual_mul_f32 v39, v18 /*v274*/, v155 :: v_dual_mul_f32 v41, v20 /*v276*/, v157
	v_dual_mul_f32 v21, v29 /*v285*/, v165 :: v_dual_fma_f32 v11, v18 /*v274*/, v154, -v11
	s_set_vgpr_msb 0                        ;  msbs: dst=0 src0=0 src1=0 src2=0
	v_dual_add_f32 v7, v7, v37 :: v_dual_add_f32 v9, v9, v23
	s_set_vgpr_msb 1                        ;  msbs: dst=0 src0=1 src1=0 src2=0
	v_dual_fmac_f32 v39, v19 /*v275*/, v154 :: v_dual_fmac_f32 v41, v21 /*v277*/, v156
	s_wait_loadcnt_dscnt 0xe08
	v_dual_mul_f32 v23, v31 /*v287*/, v167 :: v_dual_fma_f32 v13, v20 /*v276*/, v156, -v13
	s_set_vgpr_msb 0                        ;  msbs: dst=0 src0=0 src1=0 src2=0
	v_add_f32_e32 v9, v9, v11
	s_set_vgpr_msb 1                        ;  msbs: dst=0 src0=1 src1=0 src2=0
	v_dual_mul_f32 v43, v22 /*v278*/, v159 :: v_dual_mul_f32 v45, v24 /*v280*/, v161
	v_mul_f32_e32 v11, v33 /*v289*/, v169
	s_set_vgpr_msb 0                        ;  msbs: dst=0 src0=0 src1=0 src2=0
	v_dual_add_f32 v7, v7, v39 :: v_dual_add_f32 v9, v9, v13
	s_wait_loadcnt_dscnt 0xd07
	s_set_vgpr_msb 1                        ;  msbs: dst=0 src0=1 src1=0 src2=0
	v_dual_fma_f32 v15, v22 /*v278*/, v158, -v15 :: v_dual_mul_f32 v13, v35 /*v291*/, v171
	v_dual_fmac_f32 v43, v23 /*v279*/, v158 :: v_dual_fmac_f32 v45, v25 /*v281*/, v160
	s_set_vgpr_msb 0                        ;  msbs: dst=0 src0=0 src1=0 src2=0
	v_add_f32_e32 v7, v7, v41
	s_set_vgpr_msb 1                        ;  msbs: dst=0 src0=1 src1=0 src2=0
	v_fma_f32 v17, v24 /*v280*/, v160, -v17
	s_set_vgpr_msb 0                        ;  msbs: dst=0 src0=0 src1=0 src2=0
	v_add_f32_e32 v9, v9, v15
	s_set_vgpr_msb 1                        ;  msbs: dst=0 src0=1 src1=0 src2=0
	v_dual_mul_f32 v47, v26 /*v282*/, v163 :: v_dual_mul_f32 v49, v28 /*v284*/, v165
	v_mul_f32_e32 v15, v37 /*v293*/, v173
	s_set_vgpr_msb 0                        ;  msbs: dst=0 src0=0 src1=0 src2=0
	v_dual_add_f32 v7, v7, v43 :: v_dual_add_f32 v9, v9, v17
	s_wait_loadcnt_dscnt 0xc06
	s_set_vgpr_msb 1                        ;  msbs: dst=0 src0=1 src1=0 src2=0
	v_dual_fma_f32 v19, v26 /*v282*/, v162, -v19 :: v_dual_mul_f32 v17, v39 /*v295*/, v175
	v_dual_fmac_f32 v47, v27 /*v283*/, v162 :: v_dual_fmac_f32 v49, v29 /*v285*/, v164
	s_set_vgpr_msb 0                        ;  msbs: dst=0 src0=0 src1=0 src2=0
	v_add_f32_e32 v7, v7, v45
	s_set_vgpr_msb 1                        ;  msbs: dst=0 src0=1 src1=0 src2=0
	v_fma_f32 v21, v28 /*v284*/, v164, -v21
	s_set_vgpr_msb 0                        ;  msbs: dst=0 src0=0 src1=0 src2=0
	v_add_f32_e32 v9, v9, v19
	s_set_vgpr_msb 1                        ;  msbs: dst=0 src0=1 src1=0 src2=0
	v_dual_mul_f32 v51, v30 /*v286*/, v167 :: v_dual_mul_f32 v53, v32 /*v288*/, v169
	v_mul_f32_e32 v19, v41 /*v297*/, v177
	s_set_vgpr_msb 0                        ;  msbs: dst=0 src0=0 src1=0 src2=0
	v_dual_add_f32 v7, v7, v47 :: v_dual_add_f32 v9, v9, v21
	s_wait_loadcnt_dscnt 0xb05
	s_set_vgpr_msb 1                        ;  msbs: dst=0 src0=1 src1=0 src2=0
	v_dual_fma_f32 v23, v30 /*v286*/, v166, -v23 :: v_dual_mul_f32 v21, v43 /*v299*/, v179
	v_dual_mul_f32 v55, v34 /*v290*/, v171 :: v_dual_mul_f32 v57, v36 /*v292*/, v173
	v_dual_mul_f32 v59, v38 /*v294*/, v175 :: v_dual_mul_f32 v61, v40 /*v296*/, v177
	v_dual_fmac_f32 v51, v31 /*v287*/, v166 :: v_dual_fmac_f32 v53, v33 /*v289*/, v168
	v_fma_f32 v11, v32 /*v288*/, v168, -v11
	s_set_vgpr_msb 0                        ;  msbs: dst=0 src0=0 src1=0 src2=0
	v_dual_add_f32 v9, v9, v23 :: v_dual_add_f32 v7, v7, v49
	s_set_vgpr_msb 1                        ;  msbs: dst=0 src0=1 src1=0 src2=0
	v_dual_mul_f32 v23, v45 /*v301*/, v181 :: v_dual_fmac_f32 v55, v35 /*v291*/, v170
	v_fma_f32 v13, v34 /*v290*/, v170, -v13
	v_dual_fmac_f32 v57, v37 /*v293*/, v172 :: v_dual_fmac_f32 v59, v39 /*v295*/, v174
	s_set_vgpr_msb 0                        ;  msbs: dst=0 src0=0 src1=0 src2=0
	v_add_f32_e32 v9, v9, v11
	s_set_vgpr_msb 1                        ;  msbs: dst=0 src0=1 src1=0 src2=0
	v_dual_mul_f32 v63, v42 /*v298*/, v179 :: v_dual_mul_f32 v65, v44 /*v300*/, v181
	s_set_vgpr_msb 0                        ;  msbs: dst=0 src0=0 src1=0 src2=0
	v_add_f32_e32 v7, v7, v51
	s_wait_loadcnt_dscnt 0xa04
	s_set_vgpr_msb 1                        ;  msbs: dst=0 src0=1 src1=0 src2=0
	v_dual_mul_f32 v11, v47 /*v303*/, v183 :: v_dual_fma_f32 v15, v36 /*v292*/, v172, -v15
	s_set_vgpr_msb 0                        ;  msbs: dst=0 src0=0 src1=0 src2=0
	v_add_f32_e32 v9, v9, v13
	s_set_vgpr_msb 1                        ;  msbs: dst=0 src0=1 src1=0 src2=0
	v_dual_mul_f32 v13, v49 /*v305*/, v185 :: v_dual_fma_f32 v17, v38 /*v294*/, v174, -v17
	s_set_vgpr_msb 0                        ;  msbs: dst=0 src0=0 src1=0 src2=0
	v_add_f32_e32 v7, v7, v53
	s_set_vgpr_msb 1                        ;  msbs: dst=0 src0=1 src1=0 src2=0
	v_dual_fmac_f32 v61, v41 /*v297*/, v176 :: v_dual_fmac_f32 v63, v43 /*v299*/, v178
	s_set_vgpr_msb 0                        ;  msbs: dst=0 src0=0 src1=0 src2=0
	v_add_f32_e32 v9, v9, v15
	s_set_vgpr_msb 1                        ;  msbs: dst=0 src0=1 src1=0 src2=0
	v_dual_mul_f32 v67, v46 /*v302*/, v183 :: v_dual_mul_f32 v69, v48 /*v304*/, v185
	s_set_vgpr_msb 0                        ;  msbs: dst=0 src0=0 src1=0 src2=0
	v_add_f32_e32 v7, v7, v55
	s_wait_loadcnt_dscnt 0x903
	s_set_vgpr_msb 1                        ;  msbs: dst=0 src0=1 src1=0 src2=0
	v_dual_mul_f32 v15, v51 /*v307*/, v187 :: v_dual_fma_f32 v19, v40 /*v296*/, v176, -v19
	s_set_vgpr_msb 0                        ;  msbs: dst=0 src0=0 src1=0 src2=0
	v_add_f32_e32 v9, v9, v17
	s_set_vgpr_msb 1                        ;  msbs: dst=0 src0=1 src1=0 src2=0
	v_dual_mul_f32 v17, v53 /*v309*/, v189 :: v_dual_fma_f32 v21, v42 /*v298*/, v178, -v21
	s_set_vgpr_msb 0                        ;  msbs: dst=0 src0=0 src1=0 src2=0
	v_add_f32_e32 v7, v7, v57
	s_set_vgpr_msb 1                        ;  msbs: dst=0 src0=1 src1=0 src2=0
	v_dual_fmac_f32 v65, v45 /*v301*/, v180 :: v_dual_fmac_f32 v67, v47 /*v303*/, v182
	s_set_vgpr_msb 0                        ;  msbs: dst=0 src0=0 src1=0 src2=0
	v_add_f32_e32 v9, v9, v19
	s_set_vgpr_msb 1                        ;  msbs: dst=0 src0=1 src1=0 src2=0
	v_dual_mul_f32 v71, v50 /*v306*/, v187 :: v_dual_mul_f32 v73, v52 /*v308*/, v189
	s_set_vgpr_msb 0                        ;  msbs: dst=0 src0=0 src1=0 src2=0
	v_add_f32_e32 v7, v7, v59
	s_wait_loadcnt_dscnt 0x802
	s_set_vgpr_msb 1                        ;  msbs: dst=0 src0=1 src1=0 src2=0
	v_dual_mul_f32 v19, v55 /*v311*/, v191 :: v_dual_fma_f32 v23, v44 /*v300*/, v180, -v23
	s_set_vgpr_msb 0                        ;  msbs: dst=0 src0=0 src1=0 src2=0
	v_add_f32_e32 v9, v9, v21
	s_set_vgpr_msb 1                        ;  msbs: dst=0 src0=1 src1=0 src2=0
	v_dual_mul_f32 v75, v54 /*v310*/, v191 :: v_dual_mul_f32 v77, v56 /*v312*/, v193
	s_set_vgpr_msb 0                        ;  msbs: dst=0 src0=0 src1=0 src2=0
	v_add_f32_e32 v7, v7, v61
	s_set_vgpr_msb 1                        ;  msbs: dst=0 src0=1 src1=0 src2=0
	v_dual_mul_f32 v21, v57 /*v313*/, v193 :: v_dual_fma_f32 v11, v46 /*v302*/, v182, -v11
	v_dual_fmac_f32 v69, v49 /*v305*/, v184 :: v_dual_fmac_f32 v71, v51 /*v307*/, v186
	s_set_vgpr_msb 0                        ;  msbs: dst=0 src0=0 src1=0 src2=0
	v_add_f32_e32 v9, v9, v23
	s_wait_loadcnt_dscnt 0x701
	s_set_vgpr_msb 1                        ;  msbs: dst=0 src0=1 src1=0 src2=0
	v_dual_mul_f32 v23, v59 /*v315*/, v195 :: v_dual_fma_f32 v13, v48 /*v304*/, v184, -v13
	v_dual_fmac_f32 v73, v53 /*v309*/, v188 :: v_dual_fmac_f32 v75, v55 /*v311*/, v190
	s_set_vgpr_msb 0                        ;  msbs: dst=0 src0=0 src1=0 src2=0
	v_add_f32_e32 v9, v9, v11
	v_add_f32_e32 v7, v7, v63
	s_set_vgpr_msb 1                        ;  msbs: dst=0 src0=1 src1=0 src2=0
	v_dual_mul_f32 v79, v58 /*v314*/, v195 :: v_dual_mul_f32 v81, v60 /*v316*/, v197
	v_dual_mul_f32 v11, v61 /*v317*/, v197 :: v_dual_fma_f32 v15, v50 /*v306*/, v186, -v15
	s_set_vgpr_msb 0                        ;  msbs: dst=0 src0=0 src1=0 src2=0
	v_add_f32_e32 v9, v9, v13
	v_add_f32_e32 v7, v7, v65
	s_wait_loadcnt_dscnt 0x600
	s_set_vgpr_msb 1                        ;  msbs: dst=0 src0=1 src1=0 src2=0
	v_dual_mul_f32 v13, v63 /*v319*/, v199 :: v_dual_fma_f32 v17, v52 /*v308*/, v188, -v17
	v_dual_fmac_f32 v77, v57 /*v313*/, v192 :: v_dual_fmac_f32 v79, v59 /*v315*/, v194
	s_set_vgpr_msb 0                        ;  msbs: dst=0 src0=0 src1=0 src2=0
	v_add_f32_e32 v9, v9, v15
	v_add_f32_e32 v7, v7, v67
	s_set_vgpr_msb 1                        ;  msbs: dst=0 src0=1 src1=0 src2=0
	v_dual_mul_f32 v15, v65 /*v321*/, v201 :: v_dual_fma_f32 v19, v54 /*v310*/, v190, -v19
	v_dual_fmac_f32 v81, v61 /*v317*/, v196 :: v_dual_fma_f32 v11, v60 /*v316*/, v196, -v11
	s_set_vgpr_msb 0                        ;  msbs: dst=0 src0=0 src1=0 src2=0
	v_add_f32_e32 v9, v9, v17
	v_add_f32_e32 v7, v7, v69
	s_set_vgpr_msb 1                        ;  msbs: dst=0 src0=1 src1=0 src2=0
	v_dual_mul_f32 v83, v62 /*v318*/, v199 :: v_dual_mul_f32 v85, v64 /*v320*/, v201
	s_wait_loadcnt 0x4
	s_set_vgpr_msb 0                        ;  msbs: dst=0 src0=0 src1=0 src2=0
	v_mov_b32_e32 v124, v209
	v_add_f32_e32 v9, v9, v19
	v_dual_add_f32 v7, v7, v71 :: v_dual_mul_f32 v19, v241, v205
	s_set_vgpr_msb 1                        ;  msbs: dst=0 src0=1 src1=0 src2=0
	v_dual_fma_f32 v21, v56 /*v312*/, v192, -v21 :: v_dual_fma_f32 v23, v58 /*v314*/, v194, -v23
	v_dual_fmac_f32 v83, v63 /*v319*/, v198 :: v_dual_fma_f32 v13, v62 /*v318*/, v198, -v13
	s_set_vgpr_msb 0                        ;  msbs: dst=0 src0=0 src1=0 src2=0
	v_add_f32_e32 v7, v7, v73
	s_set_vgpr_msb 1                        ;  msbs: dst=0 src0=1 src1=0 src2=0
	v_fmac_f32_e32 v85, v65 /*v321*/, v200
	s_wait_loadcnt 0x3
	s_set_vgpr_msb 0                        ;  msbs: dst=0 src0=0 src1=0 src2=0
	v_mov_b32_e32 v128, v213
	s_set_vgpr_msb 64                       ;  msbs: dst=1 src0=0 src1=0 src2=0
	v_dual_mul_f32 v77 /*v333*/, v238, v203 :: v_dual_mul_f32 v79 /*v335*/, v240, v205
	s_set_vgpr_msb 0                        ;  msbs: dst=0 src0=0 src1=0 src2=0
	v_add_f32_e32 v7, v7, v75
	v_pk_mul_f32 v[122:123], v[242:243], v[206:207] op_sel:[1,1] op_sel_hi:[0,1]
	s_set_vgpr_msb 64                       ;  msbs: dst=1 src0=0 src1=0 src2=0
	v_fma_f32 v78 /*v334*/, v240, v204, -v19
	v_dual_fmac_f32 v77 /*v333*/, v239, v202 :: v_dual_fmac_f32 v79 /*v335*/, v241, v204
	s_set_vgpr_msb 0                        ;  msbs: dst=0 src0=0 src1=0 src2=0
	v_add_f32_e32 v7, v7, v77
	v_pk_fma_f32 v[132:133], v[242:243], v[206:207], v[122:123] op_sel_hi:[1,0,1]
	s_set_vgpr_msb 1                        ;  msbs: dst=0 src0=1 src1=0 src2=0
	v_pk_mul_f32 v[124:125], v[68:69] /*v[324:325]*/, v[124:125] op_sel_hi:[1,0]
	s_set_vgpr_msb 0                        ;  msbs: dst=0 src0=0 src1=0 src2=0
	v_pk_fma_f32 v[122:123], v[242:243], v[206:207], v[122:123] neg_lo:[0,0,1] neg_hi:[0,0,1]
	v_pk_mul_f32 v[126:127], v[254:255], v[210:211] op_sel:[1,1] op_sel_hi:[0,1]
	v_dual_add_f32 v7, v7, v79 :: v_dual_mov_b32 v123, v133
	v_pk_fma_f32 v[132:133], v[244:245], v[208:209], v[124:125] op_sel_hi:[1,0,1]
	v_pk_fma_f32 v[124:125], v[244:245], v[208:209], v[124:125] neg_lo:[0,0,1] neg_hi:[0,0,1]
	s_delay_alu instid0(VALU_DEP_4) | instskip(NEXT) | instid1(VALU_DEP_4)
	v_pk_fma_f32 v[136:137], v[254:255], v[210:211], v[126:127] op_sel_hi:[1,0,1]
	v_add_f32_e32 v7, v7, v81
	v_dual_mul_f32 v17, v239, v203 :: v_dual_add_f32 v9, v9, v21
	s_set_vgpr_msb 1                        ;  msbs: dst=0 src0=1 src1=0 src2=0
	v_pk_mul_f32 v[128:129], v[70:71] /*v[326:327]*/, v[128:129] op_sel_hi:[1,0]
	s_set_vgpr_msb 0                        ;  msbs: dst=0 src0=0 src1=0 src2=0
	v_dual_mov_b32 v125, v133 :: v_dual_add_f32 v7, v7, v83
	s_set_vgpr_msb 64                       ;  msbs: dst=1 src0=0 src1=0 src2=0
	v_fma_f32 v76 /*v332*/, v238, v202, -v17
	s_set_vgpr_msb 0                        ;  msbs: dst=0 src0=0 src1=0 src2=0
	v_add_f32_e32 v9, v9, v23
	s_wait_loadcnt 0x2
	s_set_vgpr_msb 1                        ;  msbs: dst=0 src0=1 src1=0 src2=0
	v_pk_mul_f32 v[134:135], v[2:3] /*v[258:259]*/, v[214:215] op_sel:[1,1] op_sel_hi:[0,1]
	s_set_vgpr_msb 0                        ;  msbs: dst=0 src0=0 src1=0 src2=0
	v_pk_fma_f32 v[126:127], v[254:255], v[210:211], v[126:127] neg_lo:[0,0,1] neg_hi:[0,0,1]
	v_dual_add_f32 v131, v7, v85 :: v_dual_mov_b32 v127, v137
	v_add_f32_e32 v9, v9, v11
	s_set_vgpr_msb 1                        ;  msbs: dst=0 src0=1 src1=0 src2=0
	v_fma_f32 v11, v64 /*v320*/, v200, -v15
	v_pk_fma_f32 v[132:133], v[0:1] /*v[256:257]*/, v[212:213], v[128:129] op_sel_hi:[1,0,1]
	v_pk_fma_f32 v[128:129], v[0:1] /*v[256:257]*/, v[212:213], v[128:129] neg_lo:[0,0,1] neg_hi:[0,0,1]
	s_set_vgpr_msb 0                        ;  msbs: dst=0 src0=0 src1=0 src2=0
	v_add_f32_e32 v9, v9, v13
	s_delay_alu instid0(VALU_DEP_1) | instskip(SKIP_1) | instid1(VALU_DEP_1)
	v_add_f32_e32 v130, v9, v11
	s_set_vgpr_msb 4                        ;  msbs: dst=0 src0=0 src1=1 src2=0
	v_pk_add_f32 v[130:131], v[130:131], v[76:77] /*v[332:333]*/
	s_delay_alu instid0(VALU_DEP_1) | instskip(SKIP_1) | instid1(VALU_DEP_1)
	v_pk_add_f32 v[130:131], v[130:131], v[78:79] /*v[334:335]*/
	s_set_vgpr_msb 0                        ;  msbs: dst=0 src0=0 src1=0 src2=0
	v_pk_add_f32 v[122:123], v[130:131], v[122:123]
	v_mov_b32_e32 v130, v217
	s_delay_alu instid0(VALU_DEP_2) | instskip(SKIP_2) | instid1(VALU_DEP_3)
	v_pk_add_f32 v[122:123], v[122:123], v[124:125]
	s_set_vgpr_msb 1                        ;  msbs: dst=0 src0=1 src1=0 src2=0
	v_pk_fma_f32 v[124:125], v[2:3] /*v[258:259]*/, v[214:215], v[134:135] op_sel_hi:[1,0,1]
	v_pk_mul_f32 v[130:131], v[72:73] /*v[328:329]*/, v[130:131] op_sel_hi:[1,0]
	s_set_vgpr_msb 0                        ;  msbs: dst=0 src0=0 src1=0 src2=0
	v_mov_b32_e32 v129, v133
	s_set_vgpr_msb 1                        ;  msbs: dst=0 src0=1 src1=0 src2=0
	v_pk_fma_f32 v[132:133], v[2:3] /*v[258:259]*/, v[214:215], v[134:135] neg_lo:[0,0,1] neg_hi:[0,0,1]
	s_set_vgpr_msb 0                        ;  msbs: dst=0 src0=0 src1=0 src2=0
	v_pk_add_f32 v[122:123], v[122:123], v[126:127]
	v_mov_b32_e32 v133, v125
	s_set_vgpr_msb 1                        ;  msbs: dst=0 src0=1 src1=0 src2=0
	v_pk_fma_f32 v[124:125], v[4:5] /*v[260:261]*/, v[216:217], v[130:131] op_sel_hi:[1,0,1]
	s_wait_loadcnt 0x1
	v_pk_mul_f32 v[126:127], v[14:15] /*v[270:271]*/, v[218:219] op_sel:[1,1] op_sel_hi:[0,1]
	s_set_vgpr_msb 0                        ;  msbs: dst=0 src0=0 src1=0 src2=0
	v_mov_b32_e32 v124, v221
	v_pk_add_f32 v[122:123], v[122:123], v[128:129]
	s_set_vgpr_msb 1                        ;  msbs: dst=0 src0=1 src1=0 src2=0
	v_pk_fma_f32 v[130:131], v[4:5] /*v[260:261]*/, v[216:217], v[130:131] neg_lo:[0,0,1] neg_hi:[0,0,1]
	s_set_vgpr_msb 0                        ;  msbs: dst=0 src0=0 src1=0 src2=0
	v_mov_b32_e32 v131, v125
	s_set_vgpr_msb 1                        ;  msbs: dst=0 src0=1 src1=0 src2=0
	v_pk_fma_f32 v[128:129], v[14:15] /*v[270:271]*/, v[218:219], v[126:127] op_sel_hi:[1,0,1]
	v_pk_mul_f32 v[124:125], v[74:75] /*v[330:331]*/, v[124:125] op_sel_hi:[1,0]
	s_set_vgpr_msb 0                        ;  msbs: dst=0 src0=0 src1=0 src2=0
	v_pk_add_f32 v[122:123], v[122:123], v[132:133]
	s_set_vgpr_msb 1                        ;  msbs: dst=0 src0=1 src1=0 src2=0
	v_pk_fma_f32 v[126:127], v[14:15] /*v[270:271]*/, v[218:219], v[126:127] neg_lo:[0,0,1] neg_hi:[0,0,1]
	s_set_vgpr_msb 0                        ;  msbs: dst=0 src0=0 src1=0 src2=0
	v_mov_b32_e32 v127, v129
	s_set_vgpr_msb 1                        ;  msbs: dst=0 src0=1 src1=0 src2=0
	v_pk_fma_f32 v[128:129], v[16:17] /*v[272:273]*/, v[220:221], v[124:125] op_sel_hi:[1,0,1]
	s_set_vgpr_msb 0                        ;  msbs: dst=0 src0=0 src1=0 src2=0
	v_pk_add_f32 v[122:123], v[122:123], v[130:131]
	s_set_vgpr_msb 1                        ;  msbs: dst=0 src0=1 src1=0 src2=0
	v_pk_fma_f32 v[124:125], v[16:17] /*v[272:273]*/, v[220:221], v[124:125] neg_lo:[0,0,1] neg_hi:[0,0,1]
	s_set_vgpr_msb 0                        ;  msbs: dst=0 src0=0 src1=0 src2=0
	v_mov_b32_e32 v125, v129
	v_pk_add_f32 v[122:123], v[122:123], v[126:127]
	s_delay_alu instid0(VALU_DEP_1) | instskip(SKIP_2) | instid1(VALU_DEP_1)
	v_pk_add_f32 v[122:123], v[122:123], v[124:125]
	s_wait_loadcnt 0x0
	s_set_vgpr_msb 1                        ;  msbs: dst=0 src0=1 src1=0 src2=0
	v_pk_add_f32 v[122:123], v[66:67] /*v[322:323]*/, v[122:123] neg_lo:[0,1] neg_hi:[0,1]
	scratch_store_b64 off, v[122:123], off offset:72
	s_wait_xcnt 0x0
	v_cmpx_lt_u32_e32 8, v0
	s_set_vgpr_msb 0                        ;  msbs: dst=0 src0=0 src1=0 src2=0
	s_cbranch_execz .LBB123_357
; %bb.356:
	scratch_load_b64 v[122:123], off, off offset:64
	v_mov_b64_e32 v[124:125], 0
	scratch_store_b64 off, v[124:125], off offset:64
	s_wait_loadcnt 0x0
	ds_store_b64 v1, v[122:123]
.LBB123_357:
	s_wait_xcnt 0x0
	s_or_b32 exec_lo, exec_lo, s0
	s_wait_storecnt_dscnt 0x0
	s_barrier_signal -1
	s_barrier_wait -1
	s_clause 0x1b
	scratch_load_b128 v[122:125], off, off offset:72
	scratch_load_b128 v[126:129], off, off offset:88
	;; [unrolled: 1-line block ×25, first 2 shown]
	s_set_vgpr_msb 64                       ;  msbs: dst=1 src0=0 src1=0 src2=0
	scratch_load_b64 v[66:67] /*v[322:323]*/, off, off offset:472
	scratch_load_b64 v[68:69] /*v[324:325]*/, off, off offset:64
	s_set_vgpr_msb 0                        ;  msbs: dst=0 src0=0 src1=0 src2=0
	v_mov_b32_e32 v7, 0
	ds_load_2addr_b64 v[222:225], v7 offset0:69 offset1:70
	ds_load_2addr_b64 v[226:229], v7 offset0:71 offset1:72
	;; [unrolled: 1-line block ×9, first 2 shown]
	s_set_vgpr_msb 64                       ;  msbs: dst=1 src0=0 src1=0 src2=0
	ds_load_2addr_b64 v[2:5] /*v[258:261]*/, v7 offset0:115 offset1:116
	ds_load_2addr_b64 v[6:9] /*v[262:265]*/, v7 offset0:81 offset1:82
	;; [unrolled: 1-line block ×16, first 2 shown]
	ds_load_b64 v[70:71] /*v[326:327]*/, v7 offset:952
	s_wait_dscnt 0x14
	v_dual_mov_b32 v72 /*v328*/, v245 :: v_dual_mov_b32 v73 /*v329*/, v244
	s_wait_dscnt 0x11
	s_set_vgpr_msb 0x41                     ;  msbs: dst=1 src0=1 src1=0 src2=0
	v_dual_mov_b32 v74 /*v330*/, v1 /*v257*/ :: v_dual_mov_b32 v75 /*v331*/, v0 /*v256*/
	s_wait_dscnt 0x10
	v_dual_mov_b32 v76 /*v332*/, v5 /*v261*/ :: v_dual_mov_b32 v77 /*v333*/, v4 /*v260*/
	s_wait_dscnt 0xd
	v_dual_mov_b32 v78 /*v334*/, v17 /*v273*/ :: v_dual_mov_b32 v79 /*v335*/, v16 /*v272*/
	s_mov_b32 s0, exec_lo
	s_wait_loadcnt 0x1a
	s_set_vgpr_msb 0                        ;  msbs: dst=0 src0=0 src1=0 src2=0
	v_dual_mul_f32 v9, v222, v123 :: v_dual_mul_f32 v75, v223, v123
	s_wait_loadcnt 0x19
	v_dual_mul_f32 v11, v224, v125 :: v_dual_mul_f32 v13, v226, v127
	v_dual_mul_f32 v77, v225, v125 :: v_dual_mul_f32 v91, v227, v127
	s_wait_loadcnt 0x15
	v_dual_mul_f32 v31, v252, v145 :: v_dual_mul_f32 v103, v235, v135
	v_dual_fma_f32 v75, v222, v122, -v75 :: v_dual_fmac_f32 v9, v223, v122
	v_mul_f32_e32 v105, v237, v137
	v_dual_fmac_f32 v11, v225, v124 :: v_dual_fma_f32 v77, v224, v124, -v77
	s_delay_alu instid0(VALU_DEP_3) | instskip(SKIP_3) | instid1(VALU_DEP_4)
	v_dual_add_f32 v75, 0, v75 :: v_dual_add_f32 v9, 0, v9
	v_dual_mul_f32 v15, v228, v129 :: v_dual_mul_f32 v17, v230, v131
	v_dual_mul_f32 v93, v229, v129 :: v_dual_mul_f32 v107, v247, v139
	v_dual_fma_f32 v91, v226, v126, -v91 :: v_dual_fmac_f32 v13, v227, v126
	v_dual_add_f32 v9, v9, v11 :: v_dual_add_f32 v11, v75, v77
	s_wait_loadcnt 0x6
	v_dual_fmac_f32 v15, v229, v128 :: v_dual_mul_f32 v97, v238, v203
	v_dual_mul_f32 v99, v231, v131 :: v_dual_mul_f32 v101, v233, v133
	v_dual_mul_f32 v75, v249, v141 :: v_dual_fma_f32 v77, v228, v128, -v93
	v_dual_add_f32 v9, v9, v13 :: v_dual_add_f32 v11, v11, v91
	v_dual_mul_f32 v19, v232, v133 :: v_dual_mul_f32 v21, v234, v135
	s_delay_alu instid0(VALU_DEP_4) | instskip(NEXT) | instid1(VALU_DEP_3)
	v_dual_mul_f32 v13, v251, v143 :: v_dual_fma_f32 v91, v230, v130, -v99
	v_dual_fmac_f32 v17, v231, v130 :: v_dual_add_f32 v9, v9, v15
	s_delay_alu instid0(VALU_DEP_3) | instskip(SKIP_1) | instid1(VALU_DEP_2)
	v_dual_add_f32 v11, v11, v77 :: v_dual_fmac_f32 v19, v233, v132
	v_dual_mul_f32 v15, v253, v145 :: v_dual_fma_f32 v77, v232, v132, -v101
	v_dual_add_f32 v9, v9, v17 :: v_dual_add_f32 v11, v11, v91
	v_dual_mul_f32 v23, v236, v137 :: v_dual_mul_f32 v25, v246, v139
	v_dual_fmac_f32 v21, v235, v134 :: v_dual_fma_f32 v91, v234, v134, -v103
	s_delay_alu instid0(VALU_DEP_3) | instskip(NEXT) | instid1(VALU_DEP_3)
	v_dual_add_f32 v9, v9, v19 :: v_dual_add_f32 v11, v11, v77
	v_dual_fmac_f32 v23, v237, v136 :: v_dual_fma_f32 v77, v236, v136, -v105
	v_dual_mul_f32 v27, v248, v141 :: v_dual_mul_f32 v29, v250, v143
	s_delay_alu instid0(VALU_DEP_3)
	v_dual_add_f32 v9, v9, v21 :: v_dual_add_f32 v11, v11, v91
	v_dual_fmac_f32 v25, v247, v138 :: v_dual_fma_f32 v91, v246, v138, -v107
	s_set_vgpr_msb 1                        ;  msbs: dst=0 src0=1 src1=0 src2=0
	v_dual_mul_f32 v33, v6 /*v262*/, v147 :: v_dual_mul_f32 v35, v8 /*v264*/, v149
	s_set_vgpr_msb 0                        ;  msbs: dst=0 src0=0 src1=0 src2=0
	v_dual_add_f32 v9, v9, v23 :: v_dual_add_f32 v11, v11, v77
	v_fmac_f32_e32 v27, v249, v140
	v_fma_f32 v75, v248, v140, -v75
	s_set_vgpr_msb 1                        ;  msbs: dst=0 src0=1 src1=0 src2=0
	v_dual_mul_f32 v17, v7 /*v263*/, v147 :: v_dual_mul_f32 v19, v9 /*v265*/, v149
	s_set_vgpr_msb 0                        ;  msbs: dst=0 src0=0 src1=0 src2=0
	v_dual_add_f32 v9, v9, v25 :: v_dual_add_f32 v11, v11, v91
	v_fmac_f32_e32 v29, v251, v142
	v_fma_f32 v13, v250, v142, -v13
	s_set_vgpr_msb 1                        ;  msbs: dst=0 src0=1 src1=0 src2=0
	v_fmac_f32_e32 v33, v7 /*v263*/, v146
	s_set_vgpr_msb 0                        ;  msbs: dst=0 src0=0 src1=0 src2=0
	v_add_f32_e32 v9, v9, v27
	v_dual_add_f32 v11, v11, v75 :: v_dual_fmac_f32 v31, v253, v144
	v_fma_f32 v15, v252, v144, -v15
	s_set_vgpr_msb 1                        ;  msbs: dst=0 src0=1 src1=0 src2=0
	v_fma_f32 v17, v6 /*v262*/, v146, -v17
	s_set_vgpr_msb 0                        ;  msbs: dst=0 src0=0 src1=0 src2=0
	v_add_f32_e32 v9, v9, v29
	v_add_f32_e32 v11, v11, v13
	s_wait_dscnt 0xb
	s_set_vgpr_msb 1                        ;  msbs: dst=0 src0=1 src1=0 src2=0
	v_mul_f32_e32 v13, v23 /*v279*/, v159
	v_dual_mul_f32 v37, v10 /*v266*/, v151 :: v_dual_mul_f32 v39, v12 /*v268*/, v153
	v_dual_mul_f32 v21, v11 /*v267*/, v151 :: v_dual_mul_f32 v23, v13 /*v269*/, v153
	s_set_vgpr_msb 0                        ;  msbs: dst=0 src0=0 src1=0 src2=0
	v_add_f32_e32 v11, v11, v15
	v_add_f32_e32 v9, v9, v31
	s_set_vgpr_msb 1                        ;  msbs: dst=0 src0=1 src1=0 src2=0
	v_mul_f32_e32 v15, v25 /*v281*/, v161
	v_fmac_f32_e32 v35, v9 /*v265*/, v148
	v_dual_fma_f32 v19, v8 /*v264*/, v148, -v19 :: v_dual_fmac_f32 v37, v11 /*v267*/, v150
	s_set_vgpr_msb 0                        ;  msbs: dst=0 src0=0 src1=0 src2=0
	v_add_f32_e32 v11, v11, v17
	v_add_f32_e32 v9, v9, v33
	s_wait_dscnt 0xa
	s_set_vgpr_msb 1                        ;  msbs: dst=0 src0=1 src1=0 src2=0
	v_dual_mul_f32 v17, v27 /*v283*/, v163 :: v_dual_fma_f32 v21, v10 /*v266*/, v150, -v21
	v_dual_mul_f32 v41, v18 /*v274*/, v155 :: v_dual_mul_f32 v43, v20 /*v276*/, v157
	s_set_vgpr_msb 0                        ;  msbs: dst=0 src0=0 src1=0 src2=0
	v_add_f32_e32 v11, v11, v19
	s_set_vgpr_msb 1                        ;  msbs: dst=0 src0=1 src1=0 src2=0
	v_mul_f32_e32 v19, v29 /*v285*/, v165
	s_set_vgpr_msb 0                        ;  msbs: dst=0 src0=0 src1=0 src2=0
	v_add_f32_e32 v9, v9, v35
	s_set_vgpr_msb 1                        ;  msbs: dst=0 src0=1 src1=0 src2=0
	v_dual_mul_f32 v25, v19 /*v275*/, v155 :: v_dual_mul_f32 v27, v21 /*v277*/, v157
	v_fmac_f32_e32 v39, v13 /*v269*/, v152
	v_dual_fma_f32 v23, v12 /*v268*/, v152, -v23 :: v_dual_fmac_f32 v41, v19 /*v275*/, v154
	s_set_vgpr_msb 0                        ;  msbs: dst=0 src0=0 src1=0 src2=0
	v_add_f32_e32 v11, v11, v21
	v_add_f32_e32 v9, v9, v37
	s_wait_dscnt 0x9
	s_set_vgpr_msb 1                        ;  msbs: dst=0 src0=1 src1=0 src2=0
	v_dual_mul_f32 v21, v31 /*v287*/, v167 :: v_dual_fma_f32 v25, v18 /*v274*/, v154, -v25
	v_dual_mul_f32 v45, v22 /*v278*/, v159 :: v_dual_mul_f32 v47, v24 /*v280*/, v161
	s_set_vgpr_msb 0                        ;  msbs: dst=0 src0=0 src1=0 src2=0
	v_add_f32_e32 v11, v11, v23
	s_set_vgpr_msb 1                        ;  msbs: dst=0 src0=1 src1=0 src2=0
	v_mul_f32_e32 v23, v33 /*v289*/, v169
	s_set_vgpr_msb 0                        ;  msbs: dst=0 src0=0 src1=0 src2=0
	v_add_f32_e32 v9, v9, v39
	s_set_vgpr_msb 1                        ;  msbs: dst=0 src0=1 src1=0 src2=0
	v_fmac_f32_e32 v43, v21 /*v277*/, v156
	v_dual_fma_f32 v27, v20 /*v276*/, v156, -v27 :: v_dual_fmac_f32 v45, v23 /*v279*/, v158
	s_set_vgpr_msb 0                        ;  msbs: dst=0 src0=0 src1=0 src2=0
	v_add_f32_e32 v11, v11, v25
	v_add_f32_e32 v9, v9, v41
	s_wait_dscnt 0x8
	s_set_vgpr_msb 1                        ;  msbs: dst=0 src0=1 src1=0 src2=0
	v_dual_mul_f32 v25, v35 /*v291*/, v171 :: v_dual_fma_f32 v13, v22 /*v278*/, v158, -v13
	v_dual_mul_f32 v49, v26 /*v282*/, v163 :: v_dual_mul_f32 v51, v28 /*v284*/, v165
	s_set_vgpr_msb 0                        ;  msbs: dst=0 src0=0 src1=0 src2=0
	v_add_f32_e32 v11, v11, v27
	s_set_vgpr_msb 1                        ;  msbs: dst=0 src0=1 src1=0 src2=0
	v_mul_f32_e32 v27, v37 /*v293*/, v173
	s_set_vgpr_msb 0                        ;  msbs: dst=0 src0=0 src1=0 src2=0
	v_add_f32_e32 v9, v9, v43
	s_set_vgpr_msb 1                        ;  msbs: dst=0 src0=1 src1=0 src2=0
	;; [unrolled: 16-line block ×9, first 2 shown]
	v_dual_fmac_f32 v79, v53 /*v309*/, v188 :: v_dual_fmac_f32 v81, v55 /*v311*/, v190
	v_dual_fma_f32 v27, v52 /*v308*/, v188, -v27 :: v_dual_fma_f32 v13, v54 /*v310*/, v190, -v13
	s_set_vgpr_msb 0                        ;  msbs: dst=0 src0=0 src1=0 src2=0
	v_add_f32_e32 v11, v11, v25
	v_add_f32_e32 v9, v9, v73
	s_set_vgpr_msb 1                        ;  msbs: dst=0 src0=1 src1=0 src2=0
	v_dual_mul_f32 v85, v58 /*v314*/, v195 :: v_dual_mul_f32 v87, v60 /*v316*/, v197
	v_fmac_f32_e32 v83, v57 /*v313*/, v192
	s_set_vgpr_msb 0                        ;  msbs: dst=0 src0=0 src1=0 src2=0
	v_add_f32_e32 v11, v11, v27
	v_add_f32_e32 v9, v9, v79
	s_set_vgpr_msb 1                        ;  msbs: dst=0 src0=1 src1=0 src2=0
	v_dual_fma_f32 v15, v56 /*v312*/, v192, -v15 :: v_dual_fma_f32 v17, v58 /*v314*/, v194, -v17
	v_fmac_f32_e32 v85, v59 /*v315*/, v194
	s_set_vgpr_msb 0                        ;  msbs: dst=0 src0=0 src1=0 src2=0
	v_add_f32_e32 v11, v11, v13
	v_add_f32_e32 v9, v9, v81
	s_set_vgpr_msb 1                        ;  msbs: dst=0 src0=1 src1=0 src2=0
	v_dual_mul_f32 v89, v62 /*v318*/, v199 :: v_dual_mul_f32 v95, v64 /*v320*/, v201
	v_fmac_f32_e32 v87, v61 /*v317*/, v196
	s_set_vgpr_msb 0                        ;  msbs: dst=0 src0=0 src1=0 src2=0
	v_add_f32_e32 v11, v11, v15
	v_add_f32_e32 v9, v9, v83
	s_set_vgpr_msb 1                        ;  msbs: dst=0 src0=1 src1=0 src2=0
	v_dual_fma_f32 v15, v60 /*v316*/, v196, -v19 :: v_dual_fmac_f32 v89, v63 /*v319*/, v198
	s_wait_loadcnt 0x4
	s_set_vgpr_msb 0                        ;  msbs: dst=0 src0=0 src1=0 src2=0
	v_dual_mov_b32 v128, v213 :: v_dual_add_f32 v11, v11, v17
	v_add_f32_e32 v9, v9, v85
	s_set_vgpr_msb 1                        ;  msbs: dst=0 src0=1 src1=0 src2=0
	v_fma_f32 v17, v62 /*v318*/, v198, -v21
	s_set_vgpr_msb 0                        ;  msbs: dst=0 src0=0 src1=0 src2=0
	v_dual_mul_f32 v25, v239, v203 :: v_dual_mul_f32 v27, v241, v205
	v_add_f32_e32 v11, v11, v15
	v_add_f32_e32 v9, v9, v87
	s_set_vgpr_msb 1                        ;  msbs: dst=0 src0=1 src1=0 src2=0
	v_fmac_f32_e32 v95, v65 /*v321*/, v200
	v_fma_f32 v15, v64 /*v320*/, v200, -v23
	s_set_vgpr_msb 0                        ;  msbs: dst=0 src0=0 src1=0 src2=0
	v_dual_mul_f32 v123, v240, v205 :: v_dual_mul_f32 v125, v242, v207
	v_add_f32_e32 v11, v11, v17
	v_dual_add_f32 v9, v9, v89 :: v_dual_fmac_f32 v97, v239, v202
	v_dual_mul_f32 v13, v243, v207 :: v_dual_mov_b32 v124, v209
	s_delay_alu instid0(VALU_DEP_2) | instskip(NEXT) | instid1(VALU_DEP_4)
	v_dual_fma_f32 v17, v238, v202, -v25 :: v_dual_add_f32 v9, v9, v95
	v_dual_add_f32 v11, v11, v15 :: v_dual_fmac_f32 v123, v241, v204
	v_fma_f32 v122, v240, v204, -v27
	s_set_vgpr_msb 1                        ;  msbs: dst=0 src0=1 src1=0 src2=0
	v_pk_mul_f32 v[132:133], v[72:73] /*v[328:329]*/, v[124:125] op_sel_hi:[1,0]
	s_set_vgpr_msb 0                        ;  msbs: dst=0 src0=0 src1=0 src2=0
	v_add_f32_e32 v135, v9, v97
	s_wait_loadcnt 0x3
	v_dual_add_f32 v134, v11, v17 :: v_dual_mov_b32 v136, v217
	v_pk_mul_f32 v[126:127], v[254:255], v[210:211] op_sel:[1,1] op_sel_hi:[0,1]
	v_fmac_f32_e32 v125, v243, v206
	v_pk_fma_f32 v[138:139], v[244:245], v[208:209], v[132:133] op_sel_hi:[1,0,1]
	v_fma_f32 v124, v242, v206, -v13
	v_pk_add_f32 v[122:123], v[134:135], v[122:123]
	v_pk_fma_f32 v[132:133], v[244:245], v[208:209], v[132:133] neg_lo:[0,0,1] neg_hi:[0,0,1]
	v_pk_fma_f32 v[134:135], v[254:255], v[210:211], v[126:127] op_sel_hi:[1,0,1]
	s_set_vgpr_msb 1                        ;  msbs: dst=0 src0=1 src1=0 src2=0
	v_pk_mul_f32 v[128:129], v[74:75] /*v[330:331]*/, v[128:129] op_sel_hi:[1,0]
	s_set_vgpr_msb 0                        ;  msbs: dst=0 src0=0 src1=0 src2=0
	v_mov_b32_e32 v133, v139
	v_pk_add_f32 v[122:123], v[122:123], v[124:125]
	v_pk_fma_f32 v[126:127], v[254:255], v[210:211], v[126:127] neg_lo:[0,0,1] neg_hi:[0,0,1]
	s_set_vgpr_msb 1                        ;  msbs: dst=0 src0=1 src1=0 src2=0
	v_pk_mul_f32 v[130:131], v[2:3] /*v[258:259]*/, v[214:215] op_sel:[1,1] op_sel_hi:[0,1]
	s_set_vgpr_msb 0                        ;  msbs: dst=0 src0=0 src1=0 src2=0
	v_mov_b32_e32 v127, v135
	s_set_vgpr_msb 1                        ;  msbs: dst=0 src0=1 src1=0 src2=0
	v_pk_fma_f32 v[134:135], v[0:1] /*v[256:257]*/, v[212:213], v[128:129] op_sel_hi:[1,0,1]
	s_set_vgpr_msb 0                        ;  msbs: dst=0 src0=0 src1=0 src2=0
	v_pk_add_f32 v[122:123], v[122:123], v[132:133]
	s_set_vgpr_msb 1                        ;  msbs: dst=0 src0=1 src1=0 src2=0
	v_pk_fma_f32 v[128:129], v[0:1] /*v[256:257]*/, v[212:213], v[128:129] neg_lo:[0,0,1] neg_hi:[0,0,1]
	v_pk_fma_f32 v[132:133], v[2:3] /*v[258:259]*/, v[214:215], v[130:131] op_sel_hi:[1,0,1]
	v_pk_mul_f32 v[136:137], v[76:77] /*v[332:333]*/, v[136:137] op_sel_hi:[1,0]
	s_set_vgpr_msb 0                        ;  msbs: dst=0 src0=0 src1=0 src2=0
	v_mov_b32_e32 v129, v135
	v_pk_add_f32 v[122:123], v[122:123], v[126:127]
	s_set_vgpr_msb 1                        ;  msbs: dst=0 src0=1 src1=0 src2=0
	v_pk_fma_f32 v[130:131], v[2:3] /*v[258:259]*/, v[214:215], v[130:131] neg_lo:[0,0,1] neg_hi:[0,0,1]
	s_wait_loadcnt 0x2
	v_pk_mul_f32 v[124:125], v[14:15] /*v[270:271]*/, v[218:219] op_sel:[1,1] op_sel_hi:[0,1]
	s_set_vgpr_msb 0                        ;  msbs: dst=0 src0=0 src1=0 src2=0
	v_dual_mov_b32 v126, v221 :: v_dual_mov_b32 v131, v133
	s_set_vgpr_msb 1                        ;  msbs: dst=0 src0=1 src1=0 src2=0
	v_pk_fma_f32 v[132:133], v[4:5] /*v[260:261]*/, v[216:217], v[136:137] op_sel_hi:[1,0,1]
	s_set_vgpr_msb 0                        ;  msbs: dst=0 src0=0 src1=0 src2=0
	v_pk_add_f32 v[122:123], v[122:123], v[128:129]
	s_set_vgpr_msb 1                        ;  msbs: dst=0 src0=1 src1=0 src2=0
	v_pk_fma_f32 v[134:135], v[4:5] /*v[260:261]*/, v[216:217], v[136:137] neg_lo:[0,0,1] neg_hi:[0,0,1]
	v_pk_fma_f32 v[128:129], v[14:15] /*v[270:271]*/, v[218:219], v[124:125] op_sel_hi:[1,0,1]
	v_pk_mul_f32 v[126:127], v[78:79] /*v[334:335]*/, v[126:127] op_sel_hi:[1,0]
	s_set_vgpr_msb 0                        ;  msbs: dst=0 src0=0 src1=0 src2=0
	v_mov_b32_e32 v135, v133
	v_pk_add_f32 v[122:123], v[122:123], v[130:131]
	s_set_vgpr_msb 1                        ;  msbs: dst=0 src0=1 src1=0 src2=0
	v_pk_fma_f32 v[124:125], v[14:15] /*v[270:271]*/, v[218:219], v[124:125] neg_lo:[0,0,1] neg_hi:[0,0,1]
	s_set_vgpr_msb 0                        ;  msbs: dst=0 src0=0 src1=0 src2=0
	v_mov_b32_e32 v125, v129
	s_set_vgpr_msb 1                        ;  msbs: dst=0 src0=1 src1=0 src2=0
	v_pk_fma_f32 v[128:129], v[16:17] /*v[272:273]*/, v[220:221], v[126:127] op_sel_hi:[1,0,1]
	s_wait_loadcnt_dscnt 0x100
	s_set_vgpr_msb 5                        ;  msbs: dst=0 src0=1 src1=1 src2=0
	v_pk_mul_f32 v[130:131], v[70:71] /*v[326:327]*/, v[66:67] /*v[322:323]*/ op_sel:[1,1] op_sel_hi:[0,1]
	s_set_vgpr_msb 0                        ;  msbs: dst=0 src0=0 src1=0 src2=0
	v_pk_add_f32 v[122:123], v[122:123], v[134:135]
	s_set_vgpr_msb 1                        ;  msbs: dst=0 src0=1 src1=0 src2=0
	v_pk_fma_f32 v[126:127], v[16:17] /*v[272:273]*/, v[220:221], v[126:127] neg_lo:[0,0,1] neg_hi:[0,0,1]
	s_set_vgpr_msb 0                        ;  msbs: dst=0 src0=0 src1=0 src2=0
	v_mov_b32_e32 v127, v129
	s_set_vgpr_msb 5                        ;  msbs: dst=0 src0=1 src1=1 src2=0
	v_pk_fma_f32 v[128:129], v[70:71] /*v[326:327]*/, v[66:67] /*v[322:323]*/, v[130:131] neg_lo:[0,0,1] neg_hi:[0,0,1]
	s_set_vgpr_msb 0                        ;  msbs: dst=0 src0=0 src1=0 src2=0
	v_pk_add_f32 v[122:123], v[122:123], v[124:125]
	s_set_vgpr_msb 5                        ;  msbs: dst=0 src0=1 src1=1 src2=0
	v_pk_fma_f32 v[124:125], v[70:71] /*v[326:327]*/, v[66:67] /*v[322:323]*/, v[130:131] op_sel_hi:[1,0,1]
	s_set_vgpr_msb 0                        ;  msbs: dst=0 src0=0 src1=0 src2=0
	s_delay_alu instid0(VALU_DEP_2) | instskip(NEXT) | instid1(VALU_DEP_2)
	v_pk_add_f32 v[122:123], v[122:123], v[126:127]
	v_mov_b32_e32 v129, v125
	s_delay_alu instid0(VALU_DEP_1) | instskip(SKIP_2) | instid1(VALU_DEP_1)
	v_pk_add_f32 v[122:123], v[122:123], v[128:129]
	s_wait_loadcnt 0x0
	s_set_vgpr_msb 1                        ;  msbs: dst=0 src0=1 src1=0 src2=0
	v_pk_add_f32 v[122:123], v[68:69] /*v[324:325]*/, v[122:123] neg_lo:[0,1] neg_hi:[0,1]
	scratch_store_b64 off, v[122:123], off offset:64
	s_wait_xcnt 0x0
	v_cmpx_lt_u32_e32 7, v0
	s_set_vgpr_msb 0                        ;  msbs: dst=0 src0=0 src1=0 src2=0
	s_cbranch_execz .LBB123_359
; %bb.358:
	scratch_load_b64 v[122:123], off, off offset:56
	v_mov_b64_e32 v[124:125], 0
	scratch_store_b64 off, v[124:125], off offset:56
	s_wait_loadcnt 0x0
	ds_store_b64 v1, v[122:123]
.LBB123_359:
	s_wait_xcnt 0x0
	s_or_b32 exec_lo, exec_lo, s0
	s_wait_storecnt_dscnt 0x0
	s_barrier_signal -1
	s_barrier_wait -1
	s_clause 0x18
	scratch_load_b128 v[122:125], off, off offset:64
	scratch_load_b128 v[126:129], off, off offset:80
	;; [unrolled: 1-line block ×25, first 2 shown]
	ds_load_b128 v[222:225], v7 offset:544
	ds_load_b128 v[226:229], v7 offset:560
	scratch_load_b128 v[230:233], off, off offset:464
	ds_load_b128 v[234:237], v7 offset:576
	ds_load_b128 v[238:241], v7 offset:592
	;; [unrolled: 1-line block ×6, first 2 shown]
	s_set_vgpr_msb 64                       ;  msbs: dst=1 src0=0 src1=0 src2=0
	ds_load_b128 v[2:5] /*v[258:261]*/, v7 offset:656
	ds_load_b128 v[6:9] /*v[262:265]*/, v7 offset:912
	;; [unrolled: 1-line block ×18, first 2 shown]
	scratch_load_b64 v[74:75] /*v[330:331]*/, off, off offset:56
	s_wait_dscnt 0x13
	v_dual_mov_b32 v76 /*v332*/, v253 :: v_dual_mov_b32 v77 /*v333*/, v252
	s_wait_dscnt 0x10
	s_set_vgpr_msb 0x41                     ;  msbs: dst=1 src0=1 src1=0 src2=0
	v_dual_mov_b32 v78 /*v334*/, v9 /*v265*/ :: v_dual_mov_b32 v79 /*v335*/, v8 /*v264*/
	s_wait_dscnt 0xf
	v_dual_mov_b32 v80 /*v336*/, v13 /*v269*/ :: v_dual_mov_b32 v81 /*v337*/, v12 /*v268*/
	s_wait_dscnt 0xc
	v_dual_mov_b32 v82 /*v338*/, v25 /*v281*/ :: v_dual_mov_b32 v83 /*v339*/, v24 /*v280*/
	s_mov_b32 s0, exec_lo
	s_wait_loadcnt 0x1a
	s_set_vgpr_msb 0                        ;  msbs: dst=0 src0=0 src1=0 src2=0
	v_dual_mul_f32 v7, v222, v123 :: v_dual_mul_f32 v9, v224, v125
	s_wait_loadcnt 0x19
	v_dual_mul_f32 v91, v223, v123 :: v_dual_mul_f32 v97, v229, v129
	v_dual_mul_f32 v11, v226, v127 :: v_dual_mul_f32 v13, v228, v129
	s_delay_alu instid0(VALU_DEP_3) | instskip(SKIP_4) | instid1(VALU_DEP_3)
	v_dual_fmac_f32 v7, v223, v122 :: v_dual_fmac_f32 v9, v225, v124
	s_wait_loadcnt 0x14
	v_dual_mul_f32 v31, v254, v147 :: v_dual_mul_f32 v93, v225, v125
	v_dual_mul_f32 v95, v227, v127 :: v_dual_mul_f32 v101, v237, v133
	v_dual_mul_f32 v99, v235, v131 :: v_dual_fma_f32 v91, v222, v122, -v91
	v_dual_mul_f32 v103, v239, v135 :: v_dual_fma_f32 v93, v224, v124, -v93
	v_dual_add_f32 v7, 0, v7 :: v_dual_fmac_f32 v11, v227, v126
	s_delay_alu instid0(VALU_DEP_3)
	v_dual_fmac_f32 v13, v229, v128 :: v_dual_add_f32 v91, 0, v91
	v_mul_f32_e32 v105, v241, v137
	s_wait_loadcnt_dscnt 0x601
	s_set_vgpr_msb 1                        ;  msbs: dst=0 src0=1 src1=0 src2=0
	v_mul_f32_e32 v89, v68 /*v324*/, v205
	s_set_vgpr_msb 0                        ;  msbs: dst=0 src0=0 src1=0 src2=0
	v_dual_fma_f32 v95, v226, v126, -v95 :: v_dual_add_f32 v7, v7, v9
	v_dual_mul_f32 v15, v234, v131 :: v_dual_mul_f32 v17, v236, v133
	v_dual_add_f32 v9, v91, v93 :: v_dual_fma_f32 v93, v228, v128, -v97
	s_delay_alu instid0(VALU_DEP_3) | instskip(NEXT) | instid1(VALU_DEP_3)
	v_add_f32_e32 v7, v7, v11
	v_dual_fmac_f32 v15, v235, v130 :: v_dual_mul_f32 v19, v238, v135
	s_delay_alu instid0(VALU_DEP_3) | instskip(NEXT) | instid1(VALU_DEP_3)
	v_dual_mul_f32 v21, v240, v137 :: v_dual_add_f32 v9, v9, v95
	v_dual_fma_f32 v95, v234, v130, -v99 :: v_dual_add_f32 v7, v7, v13
	v_dual_fmac_f32 v17, v237, v132 :: v_dual_mul_f32 v13, v247, v143
	s_delay_alu instid0(VALU_DEP_3) | instskip(NEXT) | instid1(VALU_DEP_3)
	v_dual_add_f32 v9, v9, v93 :: v_dual_fma_f32 v93, v236, v132, -v101
	v_add_f32_e32 v7, v7, v15
	v_dual_fmac_f32 v19, v239, v134 :: v_dual_mul_f32 v23, v242, v139
	s_delay_alu instid0(VALU_DEP_3) | instskip(NEXT) | instid1(VALU_DEP_3)
	v_dual_mul_f32 v25, v244, v141 :: v_dual_add_f32 v9, v9, v95
	v_dual_add_f32 v7, v7, v17 :: v_dual_fmac_f32 v21, v241, v136
	v_dual_mul_f32 v91, v243, v139 :: v_dual_mul_f32 v11, v245, v141
	v_dual_mul_f32 v15, v249, v145 :: v_dual_fma_f32 v95, v238, v134, -v103
	s_delay_alu instid0(VALU_DEP_4) | instskip(NEXT) | instid1(VALU_DEP_4)
	v_dual_add_f32 v9, v9, v93 :: v_dual_mul_f32 v17, v255, v147
	v_dual_fma_f32 v93, v240, v136, -v105 :: v_dual_add_f32 v7, v7, v19
	s_delay_alu instid0(VALU_DEP_2) | instskip(SKIP_2) | instid1(VALU_DEP_4)
	v_dual_fmac_f32 v23, v243, v138 :: v_dual_add_f32 v9, v9, v95
	v_fma_f32 v91, v242, v138, -v91
	v_dual_mul_f32 v27, v246, v143 :: v_dual_mul_f32 v29, v248, v145
	v_add_f32_e32 v7, v7, v21
	s_delay_alu instid0(VALU_DEP_4) | instskip(NEXT) | instid1(VALU_DEP_3)
	v_dual_add_f32 v9, v9, v93 :: v_dual_fma_f32 v11, v244, v140, -v11
	v_dual_fmac_f32 v25, v245, v140 :: v_dual_fmac_f32 v27, v247, v142
	s_delay_alu instid0(VALU_DEP_3) | instskip(NEXT) | instid1(VALU_DEP_3)
	v_add_f32_e32 v7, v7, v23
	v_dual_add_f32 v9, v9, v91 :: v_dual_fma_f32 v13, v246, v142, -v13
	s_set_vgpr_msb 1                        ;  msbs: dst=0 src0=1 src1=0 src2=0
	v_dual_mul_f32 v33, v0 /*v256*/, v149 :: v_dual_mul_f32 v35, v2 /*v258*/, v151
	s_set_vgpr_msb 0                        ;  msbs: dst=0 src0=0 src1=0 src2=0
	s_delay_alu instid0(VALU_DEP_2)
	v_dual_add_f32 v7, v7, v25 :: v_dual_add_f32 v9, v9, v11
	v_dual_fma_f32 v15, v248, v144, -v15 :: v_dual_fmac_f32 v29, v249, v144
	s_set_vgpr_msb 1                        ;  msbs: dst=0 src0=1 src1=0 src2=0
	v_dual_mul_f32 v19, v1 /*v257*/, v149 :: v_dual_mul_f32 v21, v3 /*v259*/, v151
	s_set_vgpr_msb 0                        ;  msbs: dst=0 src0=0 src1=0 src2=0
	v_dual_add_f32 v7, v7, v27 :: v_dual_add_f32 v9, v9, v13
	v_dual_fmac_f32 v31, v255, v146 :: v_dual_fma_f32 v17, v254, v146, -v17
	s_set_vgpr_msb 1                        ;  msbs: dst=0 src0=1 src1=0 src2=0
	v_dual_fmac_f32 v33, v1 /*v257*/, v148 :: v_dual_fma_f32 v19, v0 /*v256*/, v148, -v19
	s_set_vgpr_msb 0                        ;  msbs: dst=0 src0=0 src1=0 src2=0
	v_add_f32_e32 v7, v7, v29
	s_set_vgpr_msb 1                        ;  msbs: dst=0 src0=1 src1=0 src2=0
	v_dual_mul_f32 v37, v4 /*v260*/, v153 :: v_dual_mul_f32 v39, v14 /*v270*/, v155
	v_dual_mul_f32 v23, v5 /*v261*/, v153 :: v_dual_mul_f32 v11, v15 /*v271*/, v155
	s_set_vgpr_msb 0                        ;  msbs: dst=0 src0=0 src1=0 src2=0
	v_add_f32_e32 v7, v7, v31
	v_add_f32_e32 v9, v9, v15
	s_set_vgpr_msb 1                        ;  msbs: dst=0 src0=1 src1=0 src2=0
	v_dual_fmac_f32 v35, v3 /*v259*/, v150 :: v_dual_fma_f32 v21, v2 /*v258*/, v150, -v21
	v_dual_fmac_f32 v37, v5 /*v261*/, v152 :: v_dual_fma_f32 v23, v4 /*v260*/, v152, -v23
	s_set_vgpr_msb 0                        ;  msbs: dst=0 src0=0 src1=0 src2=0
	v_add_f32_e32 v7, v7, v33
	v_add_f32_e32 v9, v9, v17
	s_set_vgpr_msb 1                        ;  msbs: dst=0 src0=1 src1=0 src2=0
	v_mul_f32_e32 v17, v21 /*v277*/, v161
	v_dual_mul_f32 v41, v16 /*v272*/, v157 :: v_dual_mul_f32 v43, v18 /*v274*/, v159
	s_set_vgpr_msb 0                        ;  msbs: dst=0 src0=0 src1=0 src2=0
	v_add_f32_e32 v7, v7, v35
	v_add_f32_e32 v9, v9, v19
	s_set_vgpr_msb 1                        ;  msbs: dst=0 src0=1 src1=0 src2=0
	v_dual_mul_f32 v13, v17 /*v273*/, v157 :: v_dual_mul_f32 v15, v19 /*v275*/, v159
	v_mul_f32_e32 v19, v27 /*v283*/, v163
	v_fmac_f32_e32 v39, v15 /*v271*/, v154
	s_set_vgpr_msb 0                        ;  msbs: dst=0 src0=0 src1=0 src2=0
	v_add_f32_e32 v7, v7, v37
	v_add_f32_e32 v9, v9, v21
	s_set_vgpr_msb 1                        ;  msbs: dst=0 src0=1 src1=0 src2=0
	v_mul_f32_e32 v21, v29 /*v285*/, v165
	v_dual_fmac_f32 v41, v17 /*v273*/, v156 :: v_dual_fmac_f32 v43, v19 /*v275*/, v158
	v_fma_f32 v13, v16 /*v272*/, v156, -v13
	s_set_vgpr_msb 0                        ;  msbs: dst=0 src0=0 src1=0 src2=0
	v_add_f32_e32 v7, v7, v39
	s_set_vgpr_msb 1                        ;  msbs: dst=0 src0=1 src1=0 src2=0
	v_dual_mul_f32 v45, v20 /*v276*/, v161 :: v_dual_mul_f32 v47, v26 /*v282*/, v163
	s_set_vgpr_msb 0                        ;  msbs: dst=0 src0=0 src1=0 src2=0
	v_add_f32_e32 v9, v9, v23
	s_set_vgpr_msb 1                        ;  msbs: dst=0 src0=1 src1=0 src2=0
	v_dual_fma_f32 v11, v14 /*v270*/, v154, -v11 :: v_dual_mul_f32 v23, v31 /*v287*/, v167
	s_set_vgpr_msb 0                        ;  msbs: dst=0 src0=0 src1=0 src2=0
	v_add_f32_e32 v7, v7, v41
	s_set_vgpr_msb 1                        ;  msbs: dst=0 src0=1 src1=0 src2=0
	v_dual_fmac_f32 v45, v21 /*v277*/, v160 :: v_dual_fmac_f32 v47, v27 /*v283*/, v162
	v_fma_f32 v17, v20 /*v276*/, v160, -v17
	v_dual_mul_f32 v49, v28 /*v284*/, v165 :: v_dual_mul_f32 v51, v30 /*v286*/, v167
	s_set_vgpr_msb 0                        ;  msbs: dst=0 src0=0 src1=0 src2=0
	v_add_f32_e32 v7, v7, v43
	v_add_f32_e32 v9, v9, v11
	s_set_vgpr_msb 1                        ;  msbs: dst=0 src0=1 src1=0 src2=0
	v_dual_mul_f32 v11, v33 /*v289*/, v169 :: v_dual_fma_f32 v15, v18 /*v274*/, v158, -v15
	v_dual_fmac_f32 v49, v29 /*v285*/, v164 :: v_dual_fmac_f32 v51, v31 /*v287*/, v166
	s_set_vgpr_msb 0                        ;  msbs: dst=0 src0=0 src1=0 src2=0
	v_add_f32_e32 v7, v7, v45
	v_add_f32_e32 v9, v9, v13
	s_set_vgpr_msb 1                        ;  msbs: dst=0 src0=1 src1=0 src2=0
	v_fma_f32 v21, v28 /*v284*/, v164, -v21
	v_dual_mul_f32 v53, v32 /*v288*/, v169 :: v_dual_mul_f32 v55, v34 /*v290*/, v171
	s_set_vgpr_msb 0                        ;  msbs: dst=0 src0=0 src1=0 src2=0
	v_add_f32_e32 v7, v7, v47
	s_set_vgpr_msb 1                        ;  msbs: dst=0 src0=1 src1=0 src2=0
	v_mul_f32_e32 v13, v35 /*v291*/, v171
	s_set_vgpr_msb 0                        ;  msbs: dst=0 src0=0 src1=0 src2=0
	v_add_f32_e32 v9, v9, v15
	s_set_vgpr_msb 1                        ;  msbs: dst=0 src0=1 src1=0 src2=0
	v_dual_mul_f32 v15, v37 /*v293*/, v173 :: v_dual_fma_f32 v19, v26 /*v282*/, v162, -v19
	s_set_vgpr_msb 0                        ;  msbs: dst=0 src0=0 src1=0 src2=0
	v_add_f32_e32 v7, v7, v49
	s_set_vgpr_msb 1                        ;  msbs: dst=0 src0=1 src1=0 src2=0
	v_dual_fmac_f32 v53, v33 /*v289*/, v168 :: v_dual_fma_f32 v11, v32 /*v288*/, v168, -v11
	s_set_vgpr_msb 0                        ;  msbs: dst=0 src0=0 src1=0 src2=0
	v_add_f32_e32 v9, v9, v17
	s_set_vgpr_msb 1                        ;  msbs: dst=0 src0=1 src1=0 src2=0
	v_dual_fmac_f32 v55, v35 /*v291*/, v170 :: v_dual_fma_f32 v13, v34 /*v290*/, v170, -v13
	s_set_vgpr_msb 0                        ;  msbs: dst=0 src0=0 src1=0 src2=0
	v_add_f32_e32 v7, v7, v51
	s_set_vgpr_msb 1                        ;  msbs: dst=0 src0=1 src1=0 src2=0
	v_dual_mul_f32 v57, v36 /*v292*/, v173 :: v_dual_mul_f32 v59, v38 /*v294*/, v175
	v_mul_f32_e32 v17, v39 /*v295*/, v175
	s_set_vgpr_msb 0                        ;  msbs: dst=0 src0=0 src1=0 src2=0
	v_dual_add_f32 v9, v9, v19 :: v_dual_add_f32 v7, v7, v53
	s_set_vgpr_msb 1                        ;  msbs: dst=0 src0=1 src1=0 src2=0
	v_dual_mul_f32 v19, v41 /*v297*/, v177 :: v_dual_fma_f32 v23, v30 /*v286*/, v166, -v23
	v_dual_fmac_f32 v57, v37 /*v293*/, v172 :: v_dual_fma_f32 v15, v36 /*v292*/, v172, -v15
	s_set_vgpr_msb 0                        ;  msbs: dst=0 src0=0 src1=0 src2=0
	v_add_f32_e32 v9, v9, v21
	s_set_vgpr_msb 1                        ;  msbs: dst=0 src0=1 src1=0 src2=0
	v_dual_fmac_f32 v59, v39 /*v295*/, v174 :: v_dual_fma_f32 v17, v38 /*v294*/, v174, -v17
	s_set_vgpr_msb 0                        ;  msbs: dst=0 src0=0 src1=0 src2=0
	v_add_f32_e32 v7, v7, v55
	s_set_vgpr_msb 1                        ;  msbs: dst=0 src0=1 src1=0 src2=0
	v_dual_mul_f32 v61, v40 /*v296*/, v177 :: v_dual_mul_f32 v63, v42 /*v298*/, v179
	v_mul_f32_e32 v21, v43 /*v299*/, v179
	s_set_vgpr_msb 0                        ;  msbs: dst=0 src0=0 src1=0 src2=0
	v_dual_add_f32 v9, v9, v23 :: v_dual_add_f32 v7, v7, v57
	s_set_vgpr_msb 1                        ;  msbs: dst=0 src0=1 src1=0 src2=0
	v_dual_fmac_f32 v61, v41 /*v297*/, v176 :: v_dual_fma_f32 v19, v40 /*v296*/, v176, -v19
	v_dual_fmac_f32 v63, v43 /*v299*/, v178 :: v_dual_fma_f32 v21, v42 /*v298*/, v178, -v21
	s_set_vgpr_msb 0                        ;  msbs: dst=0 src0=0 src1=0 src2=0
	v_add_f32_e32 v7, v7, v59
	v_add_f32_e32 v9, v9, v11
	s_set_vgpr_msb 1                        ;  msbs: dst=0 src0=1 src1=0 src2=0
	v_dual_mul_f32 v65, v44 /*v300*/, v181 :: v_dual_mul_f32 v67, v46 /*v302*/, v183
	v_dual_mul_f32 v23, v45 /*v301*/, v181 :: v_dual_mul_f32 v11, v47 /*v303*/, v183
	s_set_vgpr_msb 0                        ;  msbs: dst=0 src0=0 src1=0 src2=0
	v_add_f32_e32 v7, v7, v61
	v_add_f32_e32 v9, v9, v13
	s_set_vgpr_msb 1                        ;  msbs: dst=0 src0=1 src1=0 src2=0
	v_dual_fmac_f32 v65, v45 /*v301*/, v180 :: v_dual_fma_f32 v23, v44 /*v300*/, v180, -v23
	v_dual_mul_f32 v69, v48 /*v304*/, v185 :: v_dual_mul_f32 v71, v50 /*v306*/, v187
	s_set_vgpr_msb 0                        ;  msbs: dst=0 src0=0 src1=0 src2=0
	v_add_f32_e32 v7, v7, v63
	v_add_f32_e32 v9, v9, v15
	s_set_vgpr_msb 1                        ;  msbs: dst=0 src0=1 src1=0 src2=0
	v_dual_fmac_f32 v67, v47 /*v303*/, v182 :: v_dual_fmac_f32 v69, v49 /*v305*/, v184
	v_dual_mul_f32 v73, v52 /*v308*/, v189 :: v_dual_mul_f32 v75, v54 /*v310*/, v191
	s_set_vgpr_msb 0                        ;  msbs: dst=0 src0=0 src1=0 src2=0
	v_add_f32_e32 v7, v7, v65
	v_add_f32_e32 v9, v9, v17
	s_set_vgpr_msb 1                        ;  msbs: dst=0 src0=1 src1=0 src2=0
	v_dual_mul_f32 v77, v56 /*v312*/, v193 :: v_dual_mul_f32 v79, v58 /*v314*/, v195
	v_dual_fmac_f32 v71, v51 /*v307*/, v186 :: v_dual_fmac_f32 v73, v53 /*v309*/, v188
	s_set_vgpr_msb 0                        ;  msbs: dst=0 src0=0 src1=0 src2=0
	v_add_f32_e32 v7, v7, v67
	v_add_f32_e32 v9, v9, v19
	s_set_vgpr_msb 1                        ;  msbs: dst=0 src0=1 src1=0 src2=0
	v_fma_f32 v11, v46 /*v302*/, v182, -v11
	v_dual_fmac_f32 v79, v59 /*v315*/, v194 :: v_dual_mul_f32 v13, v49 /*v305*/, v185
	v_mul_f32_e32 v15, v51 /*v307*/, v187
	s_set_vgpr_msb 0                        ;  msbs: dst=0 src0=0 src1=0 src2=0
	v_add_f32_e32 v7, v7, v69
	v_add_f32_e32 v9, v9, v21
	s_set_vgpr_msb 1                        ;  msbs: dst=0 src0=1 src1=0 src2=0
	v_dual_mul_f32 v21, v57 /*v313*/, v193 :: v_dual_fmac_f32 v75, v55 /*v311*/, v190
	v_fmac_f32_e32 v77, v57 /*v313*/, v192
	v_fma_f32 v13, v48 /*v304*/, v184, -v13
	v_dual_mul_f32 v81, v60 /*v316*/, v197 :: v_dual_mul_f32 v83, v62 /*v318*/, v199
	s_delay_alu instid0(VALU_DEP_4)
	v_fma_f32 v21, v56 /*v312*/, v192, -v21
	s_set_vgpr_msb 0                        ;  msbs: dst=0 src0=0 src1=0 src2=0
	v_add_f32_e32 v7, v7, v71
	v_add_f32_e32 v9, v9, v23
	s_set_vgpr_msb 1                        ;  msbs: dst=0 src0=1 src1=0 src2=0
	v_dual_mul_f32 v23, v59 /*v315*/, v195 :: v_dual_mul_f32 v17, v53 /*v309*/, v189
	v_mul_f32_e32 v19, v55 /*v311*/, v191
	s_set_vgpr_msb 0                        ;  msbs: dst=0 src0=0 src1=0 src2=0
	v_add_f32_e32 v7, v7, v73
	s_set_vgpr_msb 1                        ;  msbs: dst=0 src0=1 src1=0 src2=0
	v_fma_f32 v15, v50 /*v306*/, v186, -v15
	s_wait_loadcnt 0x4
	s_set_vgpr_msb 0                        ;  msbs: dst=0 src0=0 src1=0 src2=0
	v_mov_b32_e32 v124, v213
	s_set_vgpr_msb 1                        ;  msbs: dst=0 src0=1 src1=0 src2=0
	v_fma_f32 v17, v52 /*v308*/, v188, -v17
	v_dual_mul_f32 v85, v64 /*v320*/, v201 :: v_dual_mul_f32 v87, v66 /*v322*/, v203
	s_set_vgpr_msb 0                        ;  msbs: dst=0 src0=0 src1=0 src2=0
	v_add_f32_e32 v7, v7, v75
	v_add_f32_e32 v9, v9, v11
	s_set_vgpr_msb 1                        ;  msbs: dst=0 src0=1 src1=0 src2=0
	v_dual_mul_f32 v11, v61 /*v317*/, v197 :: v_dual_fmac_f32 v81, v61 /*v317*/, v196
	v_fma_f32 v19, v54 /*v310*/, v190, -v19
	s_set_vgpr_msb 0                        ;  msbs: dst=0 src0=0 src1=0 src2=0
	v_add_f32_e32 v7, v7, v77
	v_add_f32_e32 v9, v9, v13
	s_set_vgpr_msb 1                        ;  msbs: dst=0 src0=1 src1=0 src2=0
	v_dual_mul_f32 v13, v63 /*v319*/, v199 :: v_dual_fma_f32 v11, v60 /*v316*/, v196, -v11
	v_dual_fmac_f32 v83, v63 /*v319*/, v198 :: v_dual_fmac_f32 v85, v65 /*v321*/, v200
	s_set_vgpr_msb 0                        ;  msbs: dst=0 src0=0 src1=0 src2=0
	v_add_f32_e32 v7, v7, v79
	v_add_f32_e32 v9, v9, v15
	s_set_vgpr_msb 1                        ;  msbs: dst=0 src0=1 src1=0 src2=0
	v_dual_mul_f32 v15, v65 /*v321*/, v201 :: v_dual_fma_f32 v23, v58 /*v314*/, v194, -v23
	v_dual_fmac_f32 v87, v67 /*v323*/, v202 :: v_dual_fmac_f32 v89, v69 /*v325*/, v204
	s_set_vgpr_msb 0                        ;  msbs: dst=0 src0=0 src1=0 src2=0
	v_add_f32_e32 v7, v7, v81
	v_add_f32_e32 v9, v9, v17
	s_wait_loadcnt 0x3
	v_mov_b32_e32 v128, v217
	s_set_vgpr_msb 1                        ;  msbs: dst=0 src0=1 src1=0 src2=0
	v_dual_fma_f32 v13, v62 /*v318*/, v198, -v13 :: v_dual_mul_f32 v17, v67 /*v323*/, v203
	s_set_vgpr_msb 0                        ;  msbs: dst=0 src0=0 src1=0 src2=0
	v_add_f32_e32 v7, v7, v83
	v_add_f32_e32 v9, v9, v19
	s_set_vgpr_msb 1                        ;  msbs: dst=0 src0=1 src1=0 src2=0
	v_mul_f32_e32 v19, v69 /*v325*/, v205
	s_wait_dscnt 0x0
	s_set_vgpr_msb 0x41                     ;  msbs: dst=1 src0=1 src1=0 src2=0
	v_dual_mul_f32 v85 /*v341*/, v70 /*v326*/, v207 :: v_dual_mul_f32 v87 /*v343*/, v72 /*v328*/, v209
	s_set_vgpr_msb 0                        ;  msbs: dst=0 src0=0 src1=0 src2=0
	v_add_f32_e32 v7, v7, v85
	v_add_f32_e32 v9, v9, v21
	s_set_vgpr_msb 1                        ;  msbs: dst=0 src0=1 src1=0 src2=0
	v_mul_f32_e32 v21, v71 /*v327*/, v207
	s_set_vgpr_msb 0                        ;  msbs: dst=0 src0=0 src1=0 src2=0
	v_pk_mul_f32 v[122:123], v[250:251], v[210:211] op_sel:[1,1] op_sel_hi:[0,1]
	s_set_vgpr_msb 0x41                     ;  msbs: dst=1 src0=1 src1=0 src2=0
	v_dual_fmac_f32 v85 /*v341*/, v71 /*v327*/, v206 :: v_dual_fmac_f32 v87 /*v343*/, v73 /*v329*/, v208
	s_set_vgpr_msb 0                        ;  msbs: dst=0 src0=0 src1=0 src2=0
	v_add_f32_e32 v7, v7, v87
	v_add_f32_e32 v9, v9, v23
	s_set_vgpr_msb 1                        ;  msbs: dst=0 src0=1 src1=0 src2=0
	v_mul_f32_e32 v23, v73 /*v329*/, v209
	s_set_vgpr_msb 0x41                     ;  msbs: dst=1 src0=1 src1=0 src2=0
	v_fma_f32 v84 /*v340*/, v70 /*v326*/, v206, -v21
	s_set_vgpr_msb 0                        ;  msbs: dst=0 src0=0 src1=0 src2=0
	v_pk_fma_f32 v[132:133], v[250:251], v[210:211], v[122:123] op_sel_hi:[1,0,1]
	v_dual_add_f32 v131, v7, v89 :: v_dual_add_f32 v9, v9, v11
	s_set_vgpr_msb 1                        ;  msbs: dst=0 src0=1 src1=0 src2=0
	v_fma_f32 v11, v64 /*v320*/, v200, -v15
	s_set_vgpr_msb 0x41                     ;  msbs: dst=1 src0=1 src1=0 src2=0
	v_fma_f32 v86 /*v342*/, v72 /*v328*/, v208, -v23
	s_set_vgpr_msb 1                        ;  msbs: dst=0 src0=1 src1=0 src2=0
	v_pk_mul_f32 v[124:125], v[76:77] /*v[332:333]*/, v[124:125] op_sel_hi:[1,0]
	s_set_vgpr_msb 0                        ;  msbs: dst=0 src0=0 src1=0 src2=0
	v_pk_fma_f32 v[122:123], v[250:251], v[210:211], v[122:123] neg_lo:[0,0,1] neg_hi:[0,0,1]
	v_add_f32_e32 v9, v9, v13
	s_set_vgpr_msb 1                        ;  msbs: dst=0 src0=1 src1=0 src2=0
	v_fma_f32 v13, v66 /*v322*/, v202, -v17
	v_pk_mul_f32 v[126:127], v[6:7] /*v[262:263]*/, v[214:215] op_sel:[1,1] op_sel_hi:[0,1]
	s_set_vgpr_msb 0                        ;  msbs: dst=0 src0=0 src1=0 src2=0
	v_mov_b32_e32 v123, v133
	v_pk_fma_f32 v[132:133], v[252:253], v[212:213], v[124:125] op_sel_hi:[1,0,1]
	v_add_f32_e32 v9, v9, v11
	s_set_vgpr_msb 1                        ;  msbs: dst=0 src0=1 src1=0 src2=0
	v_fma_f32 v11, v68 /*v324*/, v204, -v19
	s_set_vgpr_msb 0                        ;  msbs: dst=0 src0=0 src1=0 src2=0
	v_pk_fma_f32 v[124:125], v[252:253], v[212:213], v[124:125] neg_lo:[0,0,1] neg_hi:[0,0,1]
	s_set_vgpr_msb 1                        ;  msbs: dst=0 src0=1 src1=0 src2=0
	v_pk_fma_f32 v[136:137], v[6:7] /*v[262:263]*/, v[214:215], v[126:127] op_sel_hi:[1,0,1]
	v_pk_mul_f32 v[128:129], v[78:79] /*v[334:335]*/, v[128:129] op_sel_hi:[1,0]
	s_set_vgpr_msb 0                        ;  msbs: dst=0 src0=0 src1=0 src2=0
	v_add_f32_e32 v9, v9, v13
	v_mov_b32_e32 v125, v133
	s_wait_loadcnt 0x2
	s_set_vgpr_msb 1                        ;  msbs: dst=0 src0=1 src1=0 src2=0
	v_pk_mul_f32 v[134:135], v[10:11] /*v[266:267]*/, v[218:219] op_sel:[1,1] op_sel_hi:[0,1]
	v_pk_fma_f32 v[126:127], v[6:7] /*v[262:263]*/, v[214:215], v[126:127] neg_lo:[0,0,1] neg_hi:[0,0,1]
	s_set_vgpr_msb 0                        ;  msbs: dst=0 src0=0 src1=0 src2=0
	v_mov_b32_e32 v127, v137
	v_add_f32_e32 v130, v9, v11
	s_set_vgpr_msb 1                        ;  msbs: dst=0 src0=1 src1=0 src2=0
	v_pk_fma_f32 v[132:133], v[8:9] /*v[264:265]*/, v[216:217], v[128:129] op_sel_hi:[1,0,1]
	v_pk_fma_f32 v[128:129], v[8:9] /*v[264:265]*/, v[216:217], v[128:129] neg_lo:[0,0,1] neg_hi:[0,0,1]
	s_set_vgpr_msb 4                        ;  msbs: dst=0 src0=0 src1=1 src2=0
	v_pk_add_f32 v[130:131], v[130:131], v[84:85] /*v[340:341]*/
	s_delay_alu instid0(VALU_DEP_1) | instskip(SKIP_1) | instid1(VALU_DEP_1)
	v_pk_add_f32 v[130:131], v[130:131], v[86:87] /*v[342:343]*/
	s_set_vgpr_msb 0                        ;  msbs: dst=0 src0=0 src1=0 src2=0
	v_pk_add_f32 v[122:123], v[130:131], v[122:123]
	v_mov_b32_e32 v130, v221
	s_delay_alu instid0(VALU_DEP_2) | instskip(SKIP_2) | instid1(VALU_DEP_3)
	v_pk_add_f32 v[122:123], v[122:123], v[124:125]
	s_set_vgpr_msb 1                        ;  msbs: dst=0 src0=1 src1=0 src2=0
	v_pk_fma_f32 v[124:125], v[10:11] /*v[266:267]*/, v[218:219], v[134:135] op_sel_hi:[1,0,1]
	v_pk_mul_f32 v[130:131], v[80:81] /*v[336:337]*/, v[130:131] op_sel_hi:[1,0]
	s_set_vgpr_msb 0                        ;  msbs: dst=0 src0=0 src1=0 src2=0
	v_mov_b32_e32 v129, v133
	s_set_vgpr_msb 1                        ;  msbs: dst=0 src0=1 src1=0 src2=0
	v_pk_fma_f32 v[132:133], v[10:11] /*v[266:267]*/, v[218:219], v[134:135] neg_lo:[0,0,1] neg_hi:[0,0,1]
	s_set_vgpr_msb 0                        ;  msbs: dst=0 src0=0 src1=0 src2=0
	v_pk_add_f32 v[122:123], v[122:123], v[126:127]
	v_mov_b32_e32 v133, v125
	s_set_vgpr_msb 1                        ;  msbs: dst=0 src0=1 src1=0 src2=0
	v_pk_fma_f32 v[124:125], v[12:13] /*v[268:269]*/, v[220:221], v[130:131] op_sel_hi:[1,0,1]
	s_wait_loadcnt 0x1
	v_pk_mul_f32 v[126:127], v[22:23] /*v[278:279]*/, v[230:231] op_sel:[1,1] op_sel_hi:[0,1]
	s_set_vgpr_msb 0                        ;  msbs: dst=0 src0=0 src1=0 src2=0
	v_mov_b32_e32 v124, v233
	v_pk_add_f32 v[122:123], v[122:123], v[128:129]
	s_set_vgpr_msb 1                        ;  msbs: dst=0 src0=1 src1=0 src2=0
	v_pk_fma_f32 v[130:131], v[12:13] /*v[268:269]*/, v[220:221], v[130:131] neg_lo:[0,0,1] neg_hi:[0,0,1]
	s_set_vgpr_msb 0                        ;  msbs: dst=0 src0=0 src1=0 src2=0
	v_mov_b32_e32 v131, v125
	s_set_vgpr_msb 1                        ;  msbs: dst=0 src0=1 src1=0 src2=0
	v_pk_fma_f32 v[128:129], v[22:23] /*v[278:279]*/, v[230:231], v[126:127] op_sel_hi:[1,0,1]
	v_pk_mul_f32 v[124:125], v[82:83] /*v[338:339]*/, v[124:125] op_sel_hi:[1,0]
	s_set_vgpr_msb 0                        ;  msbs: dst=0 src0=0 src1=0 src2=0
	v_pk_add_f32 v[122:123], v[122:123], v[132:133]
	s_set_vgpr_msb 1                        ;  msbs: dst=0 src0=1 src1=0 src2=0
	v_pk_fma_f32 v[126:127], v[22:23] /*v[278:279]*/, v[230:231], v[126:127] neg_lo:[0,0,1] neg_hi:[0,0,1]
	s_set_vgpr_msb 0                        ;  msbs: dst=0 src0=0 src1=0 src2=0
	v_mov_b32_e32 v127, v129
	s_set_vgpr_msb 1                        ;  msbs: dst=0 src0=1 src1=0 src2=0
	v_pk_fma_f32 v[128:129], v[24:25] /*v[280:281]*/, v[232:233], v[124:125] op_sel_hi:[1,0,1]
	s_set_vgpr_msb 0                        ;  msbs: dst=0 src0=0 src1=0 src2=0
	v_pk_add_f32 v[122:123], v[122:123], v[130:131]
	s_set_vgpr_msb 1                        ;  msbs: dst=0 src0=1 src1=0 src2=0
	v_pk_fma_f32 v[124:125], v[24:25] /*v[280:281]*/, v[232:233], v[124:125] neg_lo:[0,0,1] neg_hi:[0,0,1]
	s_set_vgpr_msb 0                        ;  msbs: dst=0 src0=0 src1=0 src2=0
	v_mov_b32_e32 v125, v129
	v_pk_add_f32 v[122:123], v[122:123], v[126:127]
	s_delay_alu instid0(VALU_DEP_1) | instskip(SKIP_2) | instid1(VALU_DEP_1)
	v_pk_add_f32 v[122:123], v[122:123], v[124:125]
	s_wait_loadcnt 0x0
	s_set_vgpr_msb 1                        ;  msbs: dst=0 src0=1 src1=0 src2=0
	v_pk_add_f32 v[122:123], v[74:75] /*v[330:331]*/, v[122:123] neg_lo:[0,1] neg_hi:[0,1]
	scratch_store_b64 off, v[122:123], off offset:56
	s_wait_xcnt 0x0
	v_cmpx_lt_u32_e32 6, v0
	s_set_vgpr_msb 0                        ;  msbs: dst=0 src0=0 src1=0 src2=0
	s_cbranch_execz .LBB123_361
; %bb.360:
	scratch_load_b64 v[122:123], off, off offset:48
	v_mov_b64_e32 v[124:125], 0
	scratch_store_b64 off, v[124:125], off offset:48
	s_wait_loadcnt 0x0
	ds_store_b64 v1, v[122:123]
.LBB123_361:
	s_wait_xcnt 0x0
	s_or_b32 exec_lo, exec_lo, s0
	s_wait_storecnt_dscnt 0x0
	s_barrier_signal -1
	s_barrier_wait -1
	s_clause 0x1c
	scratch_load_b128 v[122:125], off, off offset:56
	scratch_load_b128 v[126:129], off, off offset:72
	;; [unrolled: 1-line block ×26, first 2 shown]
	s_set_vgpr_msb 64                       ;  msbs: dst=1 src0=0 src1=0 src2=0
	scratch_load_b64 v[74:75] /*v[330:331]*/, off, off offset:472
	scratch_load_b64 v[76:77] /*v[332:333]*/, off, off offset:48
	s_set_vgpr_msb 0                        ;  msbs: dst=0 src0=0 src1=0 src2=0
	v_mov_b32_e32 v7, 0
	ds_load_2addr_b64 v[226:229], v7 offset0:67 offset1:68
	ds_load_2addr_b64 v[230:233], v7 offset0:69 offset1:70
	ds_load_2addr_b64 v[234:237], v7 offset0:71 offset1:72
	ds_load_2addr_b64 v[238:241], v7 offset0:73 offset1:74
	ds_load_2addr_b64 v[242:245], v7 offset0:75 offset1:76
	ds_load_2addr_b64 v[246:249], v7 offset0:77 offset1:78
	ds_load_2addr_b64 v[250:253], v7 offset0:111 offset1:112
	ds_load_2addr_b64 v[254:257], v7 offset0:79 offset1:80
	s_set_vgpr_msb 64                       ;  msbs: dst=1 src0=0 src1=0 src2=0
	ds_load_2addr_b64 v[2:5] /*v[258:261]*/, v7 offset0:81 offset1:82
	ds_load_2addr_b64 v[6:9] /*v[262:265]*/, v7 offset0:113 offset1:114
	;; [unrolled: 1-line block ×18, first 2 shown]
	ds_load_b64 v[78:79] /*v[334:335]*/, v7 offset:952
	s_wait_dscnt 0x14
	v_dual_mov_b32 v80 /*v336*/, v253 :: v_dual_mov_b32 v81 /*v337*/, v252
	s_wait_dscnt 0x11
	s_set_vgpr_msb 0x41                     ;  msbs: dst=1 src0=1 src1=0 src2=0
	v_dual_mov_b32 v82 /*v338*/, v9 /*v265*/ :: v_dual_mov_b32 v83 /*v339*/, v8 /*v264*/
	s_wait_dscnt 0x10
	v_dual_mov_b32 v84 /*v340*/, v13 /*v269*/ :: v_dual_mov_b32 v85 /*v341*/, v12 /*v268*/
	s_wait_dscnt 0xd
	v_dual_mov_b32 v86 /*v342*/, v25 /*v281*/ :: v_dual_mov_b32 v87 /*v343*/, v24 /*v280*/
	s_mov_b32 s0, exec_lo
	s_wait_loadcnt 0x1b
	s_set_vgpr_msb 0                        ;  msbs: dst=0 src0=0 src1=0 src2=0
	v_dual_mul_f32 v9, v226, v123 :: v_dual_mul_f32 v95, v227, v123
	v_dual_mul_f32 v97, v229, v125 :: v_dual_mul_f32 v11, v228, v125
	s_wait_loadcnt 0x1a
	v_mul_f32_e32 v13, v230, v127
	s_wait_loadcnt 0x18
	v_dual_mul_f32 v107, v239, v135 :: v_dual_fma_f32 v95, v226, v122, -v95
	v_dual_fmac_f32 v9, v227, v122 :: v_dual_mul_f32 v109, v241, v137
	v_dual_mul_f32 v99, v231, v127 :: v_dual_mul_f32 v101, v233, v129
	v_dual_fmac_f32 v11, v229, v124 :: v_dual_fma_f32 v97, v228, v124, -v97
	s_delay_alu instid0(VALU_DEP_3) | instskip(SKIP_3) | instid1(VALU_DEP_3)
	v_dual_add_f32 v9, 0, v9 :: v_dual_add_f32 v95, 0, v95
	v_dual_mul_f32 v15, v232, v129 :: v_dual_mul_f32 v17, v234, v131
	s_wait_loadcnt 0x17
	v_dual_mul_f32 v111, v243, v139 :: v_dual_fma_f32 v99, v230, v126, -v99
	v_dual_fmac_f32 v13, v231, v126 :: v_dual_add_f32 v9, v9, v11
	s_delay_alu instid0(VALU_DEP_3) | instskip(SKIP_2) | instid1(VALU_DEP_3)
	v_dual_add_f32 v11, v95, v97 :: v_dual_fmac_f32 v15, v233, v128
	v_dual_mul_f32 v103, v235, v131 :: v_dual_mul_f32 v105, v237, v133
	v_dual_mul_f32 v95, v245, v141 :: v_dual_fma_f32 v97, v232, v128, -v101
	v_dual_add_f32 v9, v9, v13 :: v_dual_add_f32 v11, v11, v99
	v_dual_mul_f32 v19, v236, v133 :: v_dual_mul_f32 v21, v238, v135
	s_wait_loadcnt 0x16
	v_dual_mul_f32 v13, v247, v143 :: v_dual_fma_f32 v99, v234, v130, -v103
	s_delay_alu instid0(VALU_DEP_3) | instskip(NEXT) | instid1(VALU_DEP_3)
	v_dual_fmac_f32 v17, v235, v130 :: v_dual_add_f32 v9, v9, v15
	v_dual_add_f32 v11, v11, v97 :: v_dual_fmac_f32 v19, v237, v132
	v_dual_mul_f32 v15, v249, v145 :: v_dual_fma_f32 v97, v236, v132, -v105
	s_delay_alu instid0(VALU_DEP_2) | instskip(SKIP_3) | instid1(VALU_DEP_3)
	v_dual_add_f32 v9, v9, v17 :: v_dual_add_f32 v11, v11, v99
	v_dual_mul_f32 v23, v240, v137 :: v_dual_mul_f32 v25, v242, v139
	s_wait_loadcnt 0x15
	v_dual_mul_f32 v17, v255, v147 :: v_dual_fma_f32 v99, v238, v134, -v107
	v_dual_fmac_f32 v21, v239, v134 :: v_dual_add_f32 v9, v9, v19
	s_delay_alu instid0(VALU_DEP_3) | instskip(SKIP_2) | instid1(VALU_DEP_3)
	v_dual_add_f32 v11, v11, v97 :: v_dual_fmac_f32 v23, v241, v136
	v_fma_f32 v97, v240, v136, -v109
	v_dual_mul_f32 v27, v244, v141 :: v_dual_mul_f32 v29, v246, v143
	v_dual_add_f32 v9, v9, v21 :: v_dual_add_f32 v11, v11, v99
	v_dual_fma_f32 v99, v242, v138, -v111 :: v_dual_fmac_f32 v25, v243, v138
	s_delay_alu instid0(VALU_DEP_3) | instskip(NEXT) | instid1(VALU_DEP_3)
	v_fmac_f32_e32 v27, v245, v140
	v_dual_add_f32 v9, v9, v23 :: v_dual_add_f32 v11, v11, v97
	v_fma_f32 v95, v244, v140, -v95
	v_dual_mul_f32 v31, v248, v145 :: v_dual_mul_f32 v33, v254, v147
	s_delay_alu instid0(VALU_DEP_3) | instskip(SKIP_1) | instid1(VALU_DEP_3)
	v_dual_add_f32 v9, v9, v25 :: v_dual_add_f32 v11, v11, v99
	v_fma_f32 v13, v246, v142, -v13
	v_dual_fmac_f32 v29, v247, v142 :: v_dual_fmac_f32 v31, v249, v144
	s_delay_alu instid0(VALU_DEP_3) | instskip(NEXT) | instid1(VALU_DEP_4)
	v_add_f32_e32 v9, v9, v27
	v_dual_add_f32 v11, v11, v95 :: v_dual_fma_f32 v15, v248, v144, -v15
	s_wait_loadcnt 0x14
	s_set_vgpr_msb 1                        ;  msbs: dst=0 src0=1 src1=0 src2=0
	v_dual_mul_f32 v35, v0 /*v256*/, v149 :: v_dual_mul_f32 v37, v2 /*v258*/, v151
	s_set_vgpr_msb 0                        ;  msbs: dst=0 src0=0 src1=0 src2=0
	v_add_f32_e32 v9, v9, v29
	v_dual_add_f32 v11, v11, v13 :: v_dual_fma_f32 v17, v254, v146, -v17
	s_set_vgpr_msb 1                        ;  msbs: dst=0 src0=1 src1=0 src2=0
	v_dual_mul_f32 v19, v1 /*v257*/, v149 :: v_dual_mul_f32 v21, v3 /*v259*/, v151
	s_set_vgpr_msb 0                        ;  msbs: dst=0 src0=0 src1=0 src2=0
	v_dual_fmac_f32 v33, v255, v146 :: v_dual_add_f32 v9, v9, v31
	v_add_f32_e32 v11, v11, v15
	s_wait_loadcnt 0x12
	s_set_vgpr_msb 1                        ;  msbs: dst=0 src0=1 src1=0 src2=0
	v_dual_mul_f32 v15, v21 /*v277*/, v161 :: v_dual_fma_f32 v19, v0 /*v256*/, v148, -v19
	v_fmac_f32_e32 v35, v1 /*v257*/, v148
	s_set_vgpr_msb 0                        ;  msbs: dst=0 src0=0 src1=0 src2=0
	v_add_f32_e32 v9, v9, v33
	v_add_f32_e32 v11, v11, v17
	s_set_vgpr_msb 1                        ;  msbs: dst=0 src0=1 src1=0 src2=0
	v_dual_mul_f32 v39, v4 /*v260*/, v153 :: v_dual_mul_f32 v41, v14 /*v270*/, v155
	v_dual_mul_f32 v23, v5 /*v261*/, v153 :: v_dual_mul_f32 v25, v15 /*v271*/, v155
	s_wait_loadcnt_dscnt 0x110c
	v_mul_f32_e32 v17, v27 /*v283*/, v163
	v_fmac_f32_e32 v37, v3 /*v259*/, v150
	v_dual_fma_f32 v21, v2 /*v258*/, v150, -v21 :: v_dual_fmac_f32 v39, v5 /*v261*/, v152
	s_set_vgpr_msb 0                        ;  msbs: dst=0 src0=0 src1=0 src2=0
	v_add_f32_e32 v9, v9, v35
	v_add_f32_e32 v11, v11, v19
	s_set_vgpr_msb 1                        ;  msbs: dst=0 src0=1 src1=0 src2=0
	v_dual_mul_f32 v19, v29 /*v285*/, v165 :: v_dual_fma_f32 v23, v4 /*v260*/, v152, -v23
	v_dual_mul_f32 v43, v16 /*v272*/, v157 :: v_dual_mul_f32 v45, v18 /*v274*/, v159
	s_set_vgpr_msb 0                        ;  msbs: dst=0 src0=0 src1=0 src2=0
	v_add_f32_e32 v9, v9, v37
	v_add_f32_e32 v11, v11, v21
	s_set_vgpr_msb 1                        ;  msbs: dst=0 src0=1 src1=0 src2=0
	v_dual_mul_f32 v27, v17 /*v273*/, v157 :: v_dual_mul_f32 v13, v19 /*v275*/, v159
	s_wait_loadcnt_dscnt 0x100b
	v_mul_f32_e32 v21, v31 /*v287*/, v167
	v_fmac_f32_e32 v41, v15 /*v271*/, v154
	v_dual_fma_f32 v25, v14 /*v270*/, v154, -v25 :: v_dual_fmac_f32 v43, v17 /*v273*/, v156
	s_set_vgpr_msb 0                        ;  msbs: dst=0 src0=0 src1=0 src2=0
	v_add_f32_e32 v9, v9, v39
	v_add_f32_e32 v11, v11, v23
	s_set_vgpr_msb 1                        ;  msbs: dst=0 src0=1 src1=0 src2=0
	v_dual_mul_f32 v23, v33 /*v289*/, v169 :: v_dual_fma_f32 v27, v16 /*v272*/, v156, -v27
	v_dual_mul_f32 v47, v20 /*v276*/, v161 :: v_dual_mul_f32 v49, v26 /*v282*/, v163
	s_set_vgpr_msb 0                        ;  msbs: dst=0 src0=0 src1=0 src2=0
	v_add_f32_e32 v9, v9, v41
	v_add_f32_e32 v11, v11, v25
	s_wait_loadcnt_dscnt 0xf0a
	s_set_vgpr_msb 1                        ;  msbs: dst=0 src0=1 src1=0 src2=0
	v_mul_f32_e32 v25, v35 /*v291*/, v171
	v_fmac_f32_e32 v45, v19 /*v275*/, v158
	v_dual_fma_f32 v13, v18 /*v274*/, v158, -v13 :: v_dual_fmac_f32 v47, v21 /*v277*/, v160
	s_set_vgpr_msb 0                        ;  msbs: dst=0 src0=0 src1=0 src2=0
	v_add_f32_e32 v9, v9, v43
	v_add_f32_e32 v11, v11, v27
	s_set_vgpr_msb 1                        ;  msbs: dst=0 src0=1 src1=0 src2=0
	v_dual_mul_f32 v27, v37 /*v293*/, v173 :: v_dual_fma_f32 v15, v20 /*v276*/, v160, -v15
	v_dual_mul_f32 v51, v28 /*v284*/, v165 :: v_dual_mul_f32 v53, v30 /*v286*/, v167
	s_set_vgpr_msb 0                        ;  msbs: dst=0 src0=0 src1=0 src2=0
	v_add_f32_e32 v9, v9, v45
	v_add_f32_e32 v11, v11, v13
	s_wait_loadcnt_dscnt 0xe09
	s_set_vgpr_msb 1                        ;  msbs: dst=0 src0=1 src1=0 src2=0
	;; [unrolled: 14-line block ×10, first 2 shown]
	v_mul_f32_e32 v13, v71 /*v327*/, v207
	v_fmac_f32_e32 v81, v59 /*v315*/, v194
	v_dual_fma_f32 v17, v58 /*v314*/, v194, -v17 :: v_dual_fmac_f32 v83, v61 /*v317*/, v196
	s_set_vgpr_msb 0                        ;  msbs: dst=0 src0=0 src1=0 src2=0
	v_add_f32_e32 v9, v9, v79
	v_add_f32_e32 v11, v11, v15
	s_set_vgpr_msb 1                        ;  msbs: dst=0 src0=1 src1=0 src2=0
	v_dual_mul_f32 v15, v73 /*v329*/, v209 :: v_dual_fma_f32 v19, v60 /*v316*/, v196, -v19
	v_fmac_f32_e32 v85, v63 /*v319*/, v198
	s_set_vgpr_msb 0                        ;  msbs: dst=0 src0=0 src1=0 src2=0
	v_add_f32_e32 v9, v9, v81
	v_add_f32_e32 v11, v11, v17
	s_set_vgpr_msb 1                        ;  msbs: dst=0 src0=1 src1=0 src2=0
	v_dual_mul_f32 v87, v64 /*v320*/, v201 :: v_dual_mul_f32 v89, v66 /*v322*/, v203
	v_fma_f32 v21, v62 /*v318*/, v198, -v21
	s_set_vgpr_msb 0                        ;  msbs: dst=0 src0=0 src1=0 src2=0
	v_add_f32_e32 v9, v9, v83
	v_add_f32_e32 v11, v11, v19
	s_set_vgpr_msb 1                        ;  msbs: dst=0 src0=1 src1=0 src2=0
	v_fmac_f32_e32 v87, v65 /*v321*/, v200
	v_dual_fma_f32 v19, v64 /*v320*/, v200, -v23 :: v_dual_fmac_f32 v89, v67 /*v323*/, v202
	s_set_vgpr_msb 0                        ;  msbs: dst=0 src0=0 src1=0 src2=0
	v_add_f32_e32 v9, v9, v85
	v_add_f32_e32 v11, v11, v21
	s_set_vgpr_msb 1                        ;  msbs: dst=0 src0=1 src1=0 src2=0
	v_dual_mul_f32 v91, v68 /*v324*/, v205 :: v_dual_mul_f32 v93, v70 /*v326*/, v207
	v_fma_f32 v21, v66 /*v322*/, v202, -v25
	s_set_vgpr_msb 0                        ;  msbs: dst=0 src0=0 src1=0 src2=0
	v_add_f32_e32 v9, v9, v87
	s_wait_loadcnt 0x4
	v_dual_add_f32 v11, v11, v19 :: v_dual_mov_b32 v126, v217
	v_dual_mul_f32 v17, v251, v211 :: v_dual_mov_b32 v122, v213
	s_set_vgpr_msb 1                        ;  msbs: dst=0 src0=1 src1=0 src2=0
	v_fmac_f32_e32 v91, v69 /*v325*/, v204
	v_dual_fma_f32 v19, v68 /*v324*/, v204, -v27 :: v_dual_fmac_f32 v93, v71 /*v327*/, v206
	s_set_vgpr_msb 0                        ;  msbs: dst=0 src0=0 src1=0 src2=0
	v_add_f32_e32 v11, v11, v21
	v_add_f32_e32 v9, v9, v89
	s_set_vgpr_msb 0x41                     ;  msbs: dst=1 src0=1 src1=0 src2=0
	v_dual_mul_f32 v89 /*v345*/, v72 /*v328*/, v209 :: v_dual_fma_f32 v88 /*v344*/, v72 /*v328*/, v208, -v15
	s_set_vgpr_msb 1                        ;  msbs: dst=0 src0=1 src1=0 src2=0
	v_fma_f32 v13, v70 /*v326*/, v206, -v13
	s_set_vgpr_msb 0                        ;  msbs: dst=0 src0=0 src1=0 src2=0
	v_add_f32_e32 v11, v11, v19
	v_add_f32_e32 v9, v9, v91
	s_set_vgpr_msb 1                        ;  msbs: dst=0 src0=1 src1=0 src2=0
	v_pk_mul_f32 v[122:123], v[80:81] /*v[336:337]*/, v[122:123] op_sel_hi:[1,0]
	s_set_vgpr_msb 64                       ;  msbs: dst=1 src0=0 src1=0 src2=0
	v_dual_mul_f32 v91 /*v347*/, v250, v211 :: v_dual_fma_f32 v90 /*v346*/, v250, v210, -v17
	s_set_vgpr_msb 0x41                     ;  msbs: dst=1 src0=1 src1=0 src2=0
	v_fmac_f32_e32 v89 /*v345*/, v73 /*v329*/, v208
	s_wait_loadcnt 0x3
	s_set_vgpr_msb 0                        ;  msbs: dst=0 src0=0 src1=0 src2=0
	v_dual_add_f32 v130, v11, v13 :: v_dual_mov_b32 v132, v221
	v_pk_fma_f32 v[134:135], v[252:253], v[212:213], v[122:123] op_sel_hi:[1,0,1]
	v_add_f32_e32 v131, v9, v93
	v_pk_fma_f32 v[122:123], v[252:253], v[212:213], v[122:123] neg_lo:[0,0,1] neg_hi:[0,0,1]
	s_set_vgpr_msb 1                        ;  msbs: dst=0 src0=1 src1=0 src2=0
	v_pk_mul_f32 v[124:125], v[6:7] /*v[262:263]*/, v[214:215] op_sel:[1,1] op_sel_hi:[0,1]
	s_set_vgpr_msb 64                       ;  msbs: dst=1 src0=0 src1=0 src2=0
	v_fmac_f32_e32 v91 /*v347*/, v251, v210
	s_set_vgpr_msb 4                        ;  msbs: dst=0 src0=0 src1=1 src2=0
	v_mov_b32_e32 v123, v135
	v_pk_add_f32 v[130:131], v[130:131], v[88:89] /*v[344:345]*/
	s_set_vgpr_msb 1                        ;  msbs: dst=0 src0=1 src1=0 src2=0
	v_pk_mul_f32 v[126:127], v[82:83] /*v[338:339]*/, v[126:127] op_sel_hi:[1,0]
	v_pk_fma_f32 v[136:137], v[6:7] /*v[262:263]*/, v[214:215], v[124:125] op_sel_hi:[1,0,1]
	v_pk_fma_f32 v[124:125], v[6:7] /*v[262:263]*/, v[214:215], v[124:125] neg_lo:[0,0,1] neg_hi:[0,0,1]
	v_pk_mul_f32 v[128:129], v[10:11] /*v[266:267]*/, v[218:219] op_sel:[1,1] op_sel_hi:[0,1]
	s_set_vgpr_msb 4                        ;  msbs: dst=0 src0=0 src1=1 src2=0
	v_pk_add_f32 v[130:131], v[130:131], v[90:91] /*v[346:347]*/
	s_set_vgpr_msb 1                        ;  msbs: dst=0 src0=1 src1=0 src2=0
	v_pk_mul_f32 v[132:133], v[84:85] /*v[340:341]*/, v[132:133] op_sel_hi:[1,0]
	s_set_vgpr_msb 0                        ;  msbs: dst=0 src0=0 src1=0 src2=0
	v_mov_b32_e32 v125, v137
	s_set_vgpr_msb 1                        ;  msbs: dst=0 src0=1 src1=0 src2=0
	v_pk_fma_f32 v[136:137], v[8:9] /*v[264:265]*/, v[216:217], v[126:127] op_sel_hi:[1,0,1]
	v_pk_fma_f32 v[126:127], v[8:9] /*v[264:265]*/, v[216:217], v[126:127] neg_lo:[0,0,1] neg_hi:[0,0,1]
	s_set_vgpr_msb 0                        ;  msbs: dst=0 src0=0 src1=0 src2=0
	v_pk_add_f32 v[122:123], v[130:131], v[122:123]
	s_set_vgpr_msb 1                        ;  msbs: dst=0 src0=1 src1=0 src2=0
	v_pk_fma_f32 v[130:131], v[10:11] /*v[266:267]*/, v[218:219], v[128:129] op_sel_hi:[1,0,1]
	v_pk_fma_f32 v[128:129], v[10:11] /*v[266:267]*/, v[218:219], v[128:129] neg_lo:[0,0,1] neg_hi:[0,0,1]
	s_set_vgpr_msb 0                        ;  msbs: dst=0 src0=0 src1=0 src2=0
	v_mov_b32_e32 v127, v137
	s_wait_loadcnt 0x2
	s_set_vgpr_msb 1                        ;  msbs: dst=0 src0=1 src1=0 src2=0
	v_pk_mul_f32 v[134:135], v[22:23] /*v[278:279]*/, v[222:223] op_sel:[1,1] op_sel_hi:[0,1]
	s_set_vgpr_msb 0                        ;  msbs: dst=0 src0=0 src1=0 src2=0
	v_pk_add_f32 v[122:123], v[122:123], v[124:125]
	v_dual_mov_b32 v124, v225 :: v_dual_mov_b32 v129, v131
	s_set_vgpr_msb 1                        ;  msbs: dst=0 src0=1 src1=0 src2=0
	v_pk_fma_f32 v[130:131], v[12:13] /*v[268:269]*/, v[220:221], v[132:133] op_sel_hi:[1,0,1]
	v_pk_fma_f32 v[132:133], v[12:13] /*v[268:269]*/, v[220:221], v[132:133] neg_lo:[0,0,1] neg_hi:[0,0,1]
	s_set_vgpr_msb 0                        ;  msbs: dst=0 src0=0 src1=0 src2=0
	v_pk_add_f32 v[122:123], v[122:123], v[126:127]
	s_set_vgpr_msb 1                        ;  msbs: dst=0 src0=1 src1=0 src2=0
	v_pk_fma_f32 v[126:127], v[22:23] /*v[278:279]*/, v[222:223], v[134:135] op_sel_hi:[1,0,1]
	v_pk_mul_f32 v[124:125], v[86:87] /*v[342:343]*/, v[124:125] op_sel_hi:[1,0]
	s_set_vgpr_msb 0                        ;  msbs: dst=0 src0=0 src1=0 src2=0
	v_mov_b32_e32 v133, v131
	s_wait_loadcnt_dscnt 0x100
	s_set_vgpr_msb 5                        ;  msbs: dst=0 src0=1 src1=1 src2=0
	v_pk_mul_f32 v[130:131], v[78:79] /*v[334:335]*/, v[74:75] /*v[330:331]*/ op_sel:[1,1] op_sel_hi:[0,1]
	s_set_vgpr_msb 0                        ;  msbs: dst=0 src0=0 src1=0 src2=0
	v_pk_add_f32 v[122:123], v[122:123], v[128:129]
	s_set_vgpr_msb 1                        ;  msbs: dst=0 src0=1 src1=0 src2=0
	v_pk_fma_f32 v[128:129], v[22:23] /*v[278:279]*/, v[222:223], v[134:135] neg_lo:[0,0,1] neg_hi:[0,0,1]
	s_set_vgpr_msb 0                        ;  msbs: dst=0 src0=0 src1=0 src2=0
	v_mov_b32_e32 v129, v127
	s_set_vgpr_msb 1                        ;  msbs: dst=0 src0=1 src1=0 src2=0
	v_pk_fma_f32 v[126:127], v[24:25] /*v[280:281]*/, v[224:225], v[124:125] op_sel_hi:[1,0,1]
	v_pk_fma_f32 v[124:125], v[24:25] /*v[280:281]*/, v[224:225], v[124:125] neg_lo:[0,0,1] neg_hi:[0,0,1]
	s_set_vgpr_msb 0                        ;  msbs: dst=0 src0=0 src1=0 src2=0
	v_pk_add_f32 v[122:123], v[122:123], v[132:133]
	s_delay_alu instid0(VALU_DEP_3)
	v_mov_b32_e32 v125, v127
	s_set_vgpr_msb 5                        ;  msbs: dst=0 src0=1 src1=1 src2=0
	v_pk_fma_f32 v[126:127], v[78:79] /*v[334:335]*/, v[74:75] /*v[330:331]*/, v[130:131] op_sel_hi:[1,0,1]
	s_set_vgpr_msb 0                        ;  msbs: dst=0 src0=0 src1=0 src2=0
	v_pk_add_f32 v[122:123], v[122:123], v[128:129]
	s_set_vgpr_msb 5                        ;  msbs: dst=0 src0=1 src1=1 src2=0
	v_pk_fma_f32 v[128:129], v[78:79] /*v[334:335]*/, v[74:75] /*v[330:331]*/, v[130:131] neg_lo:[0,0,1] neg_hi:[0,0,1]
	s_set_vgpr_msb 0                        ;  msbs: dst=0 src0=0 src1=0 src2=0
	v_mov_b32_e32 v129, v127
	v_pk_add_f32 v[122:123], v[122:123], v[124:125]
	s_delay_alu instid0(VALU_DEP_1) | instskip(SKIP_2) | instid1(VALU_DEP_1)
	v_pk_add_f32 v[122:123], v[122:123], v[128:129]
	s_wait_loadcnt 0x0
	s_set_vgpr_msb 1                        ;  msbs: dst=0 src0=1 src1=0 src2=0
	v_pk_add_f32 v[122:123], v[76:77] /*v[332:333]*/, v[122:123] neg_lo:[0,1] neg_hi:[0,1]
	scratch_store_b64 off, v[122:123], off offset:48
	s_wait_xcnt 0x0
	v_cmpx_lt_u32_e32 5, v0
	s_set_vgpr_msb 0                        ;  msbs: dst=0 src0=0 src1=0 src2=0
	s_cbranch_execz .LBB123_363
; %bb.362:
	scratch_load_b64 v[122:123], off, off offset:40
	v_mov_b64_e32 v[124:125], 0
	scratch_store_b64 off, v[124:125], off offset:40
	s_wait_loadcnt 0x0
	ds_store_b64 v1, v[122:123]
.LBB123_363:
	s_wait_xcnt 0x0
	s_or_b32 exec_lo, exec_lo, s0
	s_wait_storecnt_dscnt 0x0
	s_barrier_signal -1
	s_barrier_wait -1
	ds_load_b128 v[122:125], v7 offset:528
	ds_load_b128 v[126:129], v7 offset:544
	;; [unrolled: 1-line block ×4, first 2 shown]
	s_clause 0x14
	scratch_load_b128 v[138:141], off, off offset:48
	scratch_load_b128 v[142:145], off, off offset:64
	;; [unrolled: 1-line block ×17, first 2 shown]
	s_set_vgpr_msb 64                       ;  msbs: dst=1 src0=0 src1=0 src2=0
	scratch_load_b128 v[6:9] /*v[262:265]*/, off, off offset:320
	scratch_load_b128 v[14:17] /*v[270:273]*/, off, off offset:336
	;; [unrolled: 1-line block ×3, first 2 shown]
	s_set_vgpr_msb 0                        ;  msbs: dst=0 src0=0 src1=0 src2=0
	ds_load_b128 v[154:157], v7 offset:592
	ds_load_b128 v[162:165], v7 offset:608
	s_set_vgpr_msb 64                       ;  msbs: dst=1 src0=0 src1=0 src2=0
	s_clause 0x1
	scratch_load_b128 v[30:33] /*v[286:289]*/, off, off offset:368
	scratch_load_b128 v[38:41] /*v[294:297]*/, off, off offset:384
	s_set_vgpr_msb 0                        ;  msbs: dst=0 src0=0 src1=0 src2=0
	ds_load_b128 v[170:173], v7 offset:624
	ds_load_b128 v[178:181], v7 offset:640
	;; [unrolled: 1-line block ×11, first 2 shown]
	s_set_vgpr_msb 64                       ;  msbs: dst=1 src0=0 src1=0 src2=0
	ds_load_b128 v[2:5] /*v[258:261]*/, v7 offset:800
	ds_load_b128 v[10:13] /*v[266:269]*/, v7 offset:816
	;; [unrolled: 1-line block ×4, first 2 shown]
	scratch_load_b128 v[46:49] /*v[302:305]*/, off, off offset:400
	ds_load_b128 v[26:29] /*v[282:285]*/, v7 offset:848
	ds_load_b128 v[34:37] /*v[290:293]*/, v7 offset:864
	s_clause 0x3
	scratch_load_b128 v[50:53] /*v[306:309]*/, off, off offset:416
	scratch_load_b128 v[54:57] /*v[310:313]*/, off, off offset:432
	;; [unrolled: 1-line block ×4, first 2 shown]
	s_mov_b32 s0, exec_lo
	s_wait_loadcnt_dscnt 0x1a16
	s_set_vgpr_msb 0                        ;  msbs: dst=0 src0=0 src1=0 src2=0
	v_dual_mul_f32 v9, v122, v139 :: v_dual_mul_f32 v11, v124, v141
	s_delay_alu instid0(VALU_DEP_1) | instskip(NEXT) | instid1(VALU_DEP_1)
	v_dual_fmac_f32 v9, v123, v138 :: v_dual_fmac_f32 v11, v125, v140
	v_add_f32_e32 v9, 0, v9
	s_delay_alu instid0(VALU_DEP_1) | instskip(SKIP_2) | instid1(VALU_DEP_1)
	v_add_f32_e32 v9, v9, v11
	s_wait_loadcnt_dscnt 0x1915
	v_mul_f32_e32 v11, v126, v143
	v_fmac_f32_e32 v11, v127, v142
	s_delay_alu instid0(VALU_DEP_1) | instskip(NEXT) | instid1(VALU_DEP_1)
	v_dual_add_f32 v9, v9, v11 :: v_dual_mul_f32 v11, v128, v145
	v_fmac_f32_e32 v11, v129, v144
	s_delay_alu instid0(VALU_DEP_1)
	v_add_f32_e32 v9, v9, v11
	s_wait_loadcnt_dscnt 0x1814
	v_mul_f32_e32 v11, v130, v147
	s_wait_loadcnt_dscnt 0x402
	s_set_vgpr_msb 0x45                     ;  msbs: dst=1 src0=1 src1=1 src2=0
	v_dual_mul_f32 v69 /*v325*/, v42 /*v298*/, v47 /*v303*/ :: v_dual_mul_f32 v71 /*v327*/, v44 /*v300*/, v49 /*v305*/
	s_set_vgpr_msb 0                        ;  msbs: dst=0 src0=0 src1=0 src2=0
	v_fmac_f32_e32 v11, v131, v146
	s_set_vgpr_msb 0x45                     ;  msbs: dst=1 src0=1 src1=1 src2=0
	s_delay_alu instid0(VALU_DEP_2) | instskip(SKIP_1) | instid1(VALU_DEP_2)
	v_dual_fmac_f32 v69 /*v325*/, v43 /*v299*/, v46 /*v302*/ :: v_dual_fmac_f32 v71 /*v327*/, v45 /*v301*/, v48 /*v304*/
	s_set_vgpr_msb 0                        ;  msbs: dst=0 src0=0 src1=0 src2=0
	v_dual_add_f32 v9, v9, v11 :: v_dual_mul_f32 v11, v132, v149
	s_delay_alu instid0(VALU_DEP_1) | instskip(NEXT) | instid1(VALU_DEP_1)
	v_fmac_f32_e32 v11, v133, v148
	v_add_f32_e32 v9, v9, v11
	v_mul_f32_e32 v11, v134, v151
	s_delay_alu instid0(VALU_DEP_1) | instskip(NEXT) | instid1(VALU_DEP_1)
	v_fmac_f32_e32 v11, v135, v150
	v_dual_add_f32 v9, v9, v11 :: v_dual_mul_f32 v11, v136, v153
	s_delay_alu instid0(VALU_DEP_1) | instskip(NEXT) | instid1(VALU_DEP_1)
	v_fmac_f32_e32 v11, v137, v152
	v_add_f32_e32 v9, v9, v11
	v_mul_f32_e32 v11, v154, v159
	s_delay_alu instid0(VALU_DEP_1) | instskip(NEXT) | instid1(VALU_DEP_1)
	v_fmac_f32_e32 v11, v155, v158
	;; [unrolled: 7-line block ×14, first 2 shown]
	v_add_f32_e32 v9, v9, v11
	s_set_vgpr_msb 4                        ;  msbs: dst=0 src0=0 src1=1 src2=0
	v_mul_f32_e32 v11, v252, v1 /*v257*/
	s_delay_alu instid0(VALU_DEP_1) | instskip(SKIP_1) | instid1(VALU_DEP_1)
	v_fmac_f32_e32 v11, v253, v0 /*v256*/
	s_set_vgpr_msb 0                        ;  msbs: dst=0 src0=0 src1=0 src2=0
	v_add_f32_e32 v9, v9, v11
	s_set_vgpr_msb 5                        ;  msbs: dst=0 src0=1 src1=1 src2=0
	v_mul_f32_e32 v11, v2 /*v258*/, v7 /*v263*/
	s_delay_alu instid0(VALU_DEP_1) | instskip(SKIP_1) | instid1(VALU_DEP_1)
	v_fmac_f32_e32 v11, v3 /*v259*/, v6 /*v262*/
	s_set_vgpr_msb 0                        ;  msbs: dst=0 src0=0 src1=0 src2=0
	v_add_f32_e32 v9, v9, v11
	s_set_vgpr_msb 5                        ;  msbs: dst=0 src0=1 src1=1 src2=0
	v_mul_f32_e32 v11, v4 /*v260*/, v9 /*v265*/
	s_delay_alu instid0(VALU_DEP_1) | instskip(SKIP_1) | instid1(VALU_DEP_1)
	v_fmac_f32_e32 v11, v5 /*v261*/, v8 /*v264*/
	;; [unrolled: 6-line block ×6, first 2 shown]
	s_set_vgpr_msb 0                        ;  msbs: dst=0 src0=0 src1=0 src2=0
	v_add_f32_e32 v9, v9, v11
	s_wait_dscnt 0x1
	s_set_vgpr_msb 5                        ;  msbs: dst=0 src0=1 src1=1 src2=0
	v_mul_f32_e32 v11, v26 /*v282*/, v31 /*v287*/
	s_delay_alu instid0(VALU_DEP_1) | instskip(SKIP_1) | instid1(VALU_DEP_1)
	v_fmac_f32_e32 v11, v27 /*v283*/, v30 /*v286*/
	s_set_vgpr_msb 0                        ;  msbs: dst=0 src0=0 src1=0 src2=0
	v_add_f32_e32 v9, v9, v11
	s_set_vgpr_msb 5                        ;  msbs: dst=0 src0=1 src1=1 src2=0
	v_mul_f32_e32 v11, v28 /*v284*/, v33 /*v289*/
	s_delay_alu instid0(VALU_DEP_1) | instskip(SKIP_1) | instid1(VALU_DEP_1)
	v_fmac_f32_e32 v11, v29 /*v285*/, v32 /*v288*/
	s_set_vgpr_msb 0                        ;  msbs: dst=0 src0=0 src1=0 src2=0
	v_add_f32_e32 v9, v9, v11
	s_wait_dscnt 0x0
	s_set_vgpr_msb 5                        ;  msbs: dst=0 src0=1 src1=1 src2=0
	v_mul_f32_e32 v11, v34 /*v290*/, v39 /*v295*/
	s_delay_alu instid0(VALU_DEP_1) | instskip(SKIP_1) | instid1(VALU_DEP_1)
	v_fmac_f32_e32 v11, v35 /*v291*/, v38 /*v294*/
	s_set_vgpr_msb 0                        ;  msbs: dst=0 src0=0 src1=0 src2=0
	v_add_f32_e32 v9, v9, v11
	s_set_vgpr_msb 5                        ;  msbs: dst=0 src0=1 src1=1 src2=0
	v_mul_f32_e32 v11, v36 /*v292*/, v41 /*v297*/
	s_delay_alu instid0(VALU_DEP_1) | instskip(SKIP_1) | instid1(VALU_DEP_1)
	v_fmac_f32_e32 v11, v37 /*v293*/, v40 /*v296*/
	s_set_vgpr_msb 64                       ;  msbs: dst=1 src0=0 src1=0 src2=0
	v_add_f32_e32 v67 /*v323*/, v9, v11
	s_set_vgpr_msb 0                        ;  msbs: dst=0 src0=0 src1=0 src2=0
	v_dual_mul_f32 v9, v123, v139 :: v_dual_mul_f32 v11, v125, v141
	s_delay_alu instid0(VALU_DEP_1) | instskip(NEXT) | instid1(VALU_DEP_1)
	v_dual_fma_f32 v9, v122, v138, -v9 :: v_dual_fma_f32 v11, v124, v140, -v11
	v_add_f32_e32 v9, 0, v9
	s_delay_alu instid0(VALU_DEP_1) | instskip(SKIP_1) | instid1(VALU_DEP_1)
	v_add_f32_e32 v9, v9, v11
	v_mul_f32_e32 v11, v127, v143
	v_fma_f32 v11, v126, v142, -v11
	s_delay_alu instid0(VALU_DEP_1) | instskip(SKIP_1) | instid1(VALU_DEP_1)
	v_add_f32_e32 v9, v9, v11
	v_mul_f32_e32 v11, v129, v145
	v_fma_f32 v11, v128, v144, -v11
	;; [unrolled: 4-line block ×6, first 2 shown]
	ds_load_b128 v[122:125], v7 offset:896
	ds_load_b128 v[126:129], v7 offset:912
	;; [unrolled: 1-line block ×4, first 2 shown]
	v_add_f32_e32 v9, v9, v11
	v_mul_f32_e32 v11, v155, v159
	s_delay_alu instid0(VALU_DEP_1) | instskip(NEXT) | instid1(VALU_DEP_1)
	v_fma_f32 v11, v154, v158, -v11
	v_add_f32_e32 v9, v9, v11
	v_mul_f32_e32 v11, v157, v161
	s_wait_loadcnt_dscnt 0x303
	s_set_vgpr_msb 4                        ;  msbs: dst=0 src0=0 src1=1 src2=0
	v_pk_mul_f32 v[140:141], v[122:123], v[50:51] /*v[306:307]*/ op_sel:[1,1] op_sel_hi:[0,1]
	s_set_vgpr_msb 0                        ;  msbs: dst=0 src0=0 src1=0 src2=0
	v_fma_f32 v11, v156, v160, -v11
	s_set_vgpr_msb 4                        ;  msbs: dst=0 src0=0 src1=1 src2=0
	s_delay_alu instid0(VALU_DEP_2)
	v_pk_fma_f32 v[142:143], v[122:123], v[50:51] /*v[306:307]*/, v[140:141] neg_lo:[0,0,1] neg_hi:[0,0,1]
	v_pk_fma_f32 v[122:123], v[122:123], v[50:51] /*v[306:307]*/, v[140:141] op_sel_hi:[1,0,1]
	s_set_vgpr_msb 1                        ;  msbs: dst=0 src0=1 src1=0 src2=0
	v_mov_b32_e32 v140, v53 /*v309*/
	s_set_vgpr_msb 0                        ;  msbs: dst=0 src0=0 src1=0 src2=0
	v_add_f32_e32 v9, v9, v11
	v_mul_f32_e32 v11, v163, v167
	s_delay_alu instid0(VALU_DEP_1) | instskip(NEXT) | instid1(VALU_DEP_1)
	v_dual_mov_b32 v143, v123 :: v_dual_fma_f32 v11, v162, v166, -v11
	v_add_f32_e32 v9, v9, v11
	v_mul_f32_e32 v11, v165, v169
	s_delay_alu instid0(VALU_DEP_1) | instskip(NEXT) | instid1(VALU_DEP_1)
	v_fma_f32 v11, v164, v168, -v11
	v_add_f32_e32 v9, v9, v11
	v_mul_f32_e32 v11, v171, v175
	s_delay_alu instid0(VALU_DEP_1) | instskip(NEXT) | instid1(VALU_DEP_1)
	v_fma_f32 v11, v170, v174, -v11
	v_add_f32_e32 v9, v9, v11
	v_mul_f32_e32 v11, v173, v177
	s_delay_alu instid0(VALU_DEP_1) | instskip(NEXT) | instid1(VALU_DEP_1)
	v_fma_f32 v11, v172, v176, -v11
	v_add_f32_e32 v9, v9, v11
	v_mul_f32_e32 v11, v179, v183
	s_delay_alu instid0(VALU_DEP_1) | instskip(NEXT) | instid1(VALU_DEP_1)
	v_fma_f32 v11, v178, v182, -v11
	v_add_f32_e32 v9, v9, v11
	v_mul_f32_e32 v11, v181, v185
	s_delay_alu instid0(VALU_DEP_1) | instskip(NEXT) | instid1(VALU_DEP_1)
	v_fma_f32 v11, v180, v184, -v11
	v_add_f32_e32 v9, v9, v11
	v_mul_f32_e32 v11, v187, v191
	s_delay_alu instid0(VALU_DEP_1) | instskip(NEXT) | instid1(VALU_DEP_1)
	v_fma_f32 v11, v186, v190, -v11
	v_add_f32_e32 v9, v9, v11
	v_mul_f32_e32 v11, v189, v193
	s_delay_alu instid0(VALU_DEP_1) | instskip(NEXT) | instid1(VALU_DEP_1)
	v_fma_f32 v11, v188, v192, -v11
	v_add_f32_e32 v9, v9, v11
	v_mul_f32_e32 v11, v195, v199
	s_delay_alu instid0(VALU_DEP_1) | instskip(NEXT) | instid1(VALU_DEP_1)
	v_fma_f32 v11, v194, v198, -v11
	v_add_f32_e32 v9, v9, v11
	v_mul_f32_e32 v11, v197, v201
	s_delay_alu instid0(VALU_DEP_1) | instskip(NEXT) | instid1(VALU_DEP_1)
	v_fma_f32 v11, v196, v200, -v11
	v_add_f32_e32 v9, v9, v11
	v_mul_f32_e32 v11, v203, v207
	s_delay_alu instid0(VALU_DEP_1) | instskip(NEXT) | instid1(VALU_DEP_1)
	v_fma_f32 v11, v202, v206, -v11
	v_add_f32_e32 v9, v9, v11
	v_mul_f32_e32 v11, v205, v209
	s_delay_alu instid0(VALU_DEP_1) | instskip(NEXT) | instid1(VALU_DEP_1)
	v_fma_f32 v11, v204, v208, -v11
	v_add_f32_e32 v9, v9, v11
	v_mul_f32_e32 v11, v211, v215
	s_delay_alu instid0(VALU_DEP_1) | instskip(NEXT) | instid1(VALU_DEP_1)
	v_fma_f32 v11, v210, v214, -v11
	v_add_f32_e32 v9, v9, v11
	v_mul_f32_e32 v11, v213, v217
	s_delay_alu instid0(VALU_DEP_1) | instskip(NEXT) | instid1(VALU_DEP_1)
	v_fma_f32 v11, v212, v216, -v11
	v_add_f32_e32 v9, v9, v11
	v_mul_f32_e32 v11, v219, v223
	s_delay_alu instid0(VALU_DEP_1) | instskip(NEXT) | instid1(VALU_DEP_1)
	v_fma_f32 v11, v218, v222, -v11
	v_add_f32_e32 v9, v9, v11
	v_mul_f32_e32 v11, v221, v225
	s_delay_alu instid0(VALU_DEP_1) | instskip(NEXT) | instid1(VALU_DEP_1)
	v_fma_f32 v11, v220, v224, -v11
	v_add_f32_e32 v9, v9, v11
	v_mul_f32_e32 v11, v227, v231
	s_delay_alu instid0(VALU_DEP_1) | instskip(NEXT) | instid1(VALU_DEP_1)
	v_fma_f32 v11, v226, v230, -v11
	v_add_f32_e32 v9, v9, v11
	v_mul_f32_e32 v11, v229, v233
	s_delay_alu instid0(VALU_DEP_1) | instskip(NEXT) | instid1(VALU_DEP_1)
	v_fma_f32 v11, v228, v232, -v11
	v_add_f32_e32 v9, v9, v11
	v_mul_f32_e32 v11, v235, v239
	s_delay_alu instid0(VALU_DEP_1) | instskip(NEXT) | instid1(VALU_DEP_1)
	v_fma_f32 v11, v234, v238, -v11
	v_add_f32_e32 v9, v9, v11
	v_mul_f32_e32 v11, v237, v241
	s_delay_alu instid0(VALU_DEP_1) | instskip(NEXT) | instid1(VALU_DEP_1)
	v_fma_f32 v11, v236, v240, -v11
	v_add_f32_e32 v9, v9, v11
	v_mul_f32_e32 v11, v243, v247
	s_delay_alu instid0(VALU_DEP_1) | instskip(NEXT) | instid1(VALU_DEP_1)
	v_fma_f32 v11, v242, v246, -v11
	v_add_f32_e32 v9, v9, v11
	v_mul_f32_e32 v11, v245, v249
	s_delay_alu instid0(VALU_DEP_1) | instskip(NEXT) | instid1(VALU_DEP_1)
	v_fma_f32 v11, v244, v248, -v11
	v_add_f32_e32 v9, v9, v11
	v_mul_f32_e32 v11, v251, v255
	s_delay_alu instid0(VALU_DEP_1) | instskip(NEXT) | instid1(VALU_DEP_1)
	v_fma_f32 v11, v250, v254, -v11
	v_add_f32_e32 v9, v9, v11
	s_set_vgpr_msb 4                        ;  msbs: dst=0 src0=0 src1=1 src2=0
	v_mul_f32_e32 v11, v253, v1 /*v257*/
	s_delay_alu instid0(VALU_DEP_1) | instskip(SKIP_1) | instid1(VALU_DEP_1)
	v_fma_f32 v11, v252, v0 /*v256*/, -v11
	s_set_vgpr_msb 0                        ;  msbs: dst=0 src0=0 src1=0 src2=0
	v_add_f32_e32 v9, v9, v11
	s_set_vgpr_msb 5                        ;  msbs: dst=0 src0=1 src1=1 src2=0
	v_mul_f32_e32 v11, v3 /*v259*/, v7 /*v263*/
	s_delay_alu instid0(VALU_DEP_1) | instskip(SKIP_1) | instid1(VALU_DEP_1)
	v_fma_f32 v11, v2 /*v258*/, v6 /*v262*/, -v11
	s_set_vgpr_msb 0                        ;  msbs: dst=0 src0=0 src1=0 src2=0
	v_add_f32_e32 v9, v9, v11
	s_set_vgpr_msb 5                        ;  msbs: dst=0 src0=1 src1=1 src2=0
	v_mul_f32_e32 v11, v5 /*v261*/, v9 /*v265*/
	s_delay_alu instid0(VALU_DEP_1) | instskip(SKIP_1) | instid1(VALU_DEP_1)
	v_fma_f32 v11, v4 /*v260*/, v8 /*v264*/, -v11
	;; [unrolled: 6-line block ×10, first 2 shown]
	s_set_vgpr_msb 64                       ;  msbs: dst=1 src0=0 src1=0 src2=0
	v_add_f32_e32 v66 /*v322*/, v9, v11
	s_set_vgpr_msb 5                        ;  msbs: dst=0 src0=1 src1=1 src2=0
	v_mul_f32_e32 v9, v43 /*v299*/, v47 /*v303*/
	s_set_vgpr_msb 0x45                     ;  msbs: dst=1 src0=1 src1=1 src2=0
	s_delay_alu instid0(VALU_DEP_1) | instskip(SKIP_3) | instid1(VALU_DEP_1)
	v_fma_f32 v68 /*v324*/, v42 /*v298*/, v46 /*v302*/, -v9
	s_set_vgpr_msb 5                        ;  msbs: dst=0 src0=1 src1=1 src2=0
	v_mul_f32_e32 v9, v45 /*v301*/, v49 /*v305*/
	s_set_vgpr_msb 0x45                     ;  msbs: dst=1 src0=1 src1=1 src2=0
	v_fma_f32 v70 /*v326*/, v44 /*v300*/, v48 /*v304*/, -v9
	s_set_vgpr_msb 5                        ;  msbs: dst=0 src0=1 src1=1 src2=0
	v_pk_add_f32 v[138:139], v[66:67] /*v[322:323]*/, v[68:69] /*v[324:325]*/
	s_set_vgpr_msb 4                        ;  msbs: dst=0 src0=0 src1=1 src2=0
	s_delay_alu instid0(VALU_DEP_1) | instskip(SKIP_1) | instid1(VALU_DEP_1)
	v_pk_add_f32 v[138:139], v[138:139], v[70:71] /*v[326:327]*/
	s_set_vgpr_msb 0                        ;  msbs: dst=0 src0=0 src1=0 src2=0
	v_pk_add_f32 v[122:123], v[138:139], v[142:143]
	v_dual_mov_b32 v138, v125 :: v_dual_mov_b32 v139, v124
	s_delay_alu instid0(VALU_DEP_1) | instskip(SKIP_1) | instid1(VALU_DEP_1)
	v_pk_mul_f32 v[138:139], v[138:139], v[140:141] op_sel_hi:[1,0]
	s_set_vgpr_msb 4                        ;  msbs: dst=0 src0=0 src1=1 src2=0
	v_pk_fma_f32 v[140:141], v[124:125], v[52:53] /*v[308:309]*/, v[138:139] neg_lo:[0,0,1] neg_hi:[0,0,1]
	v_pk_fma_f32 v[124:125], v[124:125], v[52:53] /*v[308:309]*/, v[138:139] op_sel_hi:[1,0,1]
	s_delay_alu instid0(VALU_DEP_1) | instskip(SKIP_3) | instid1(VALU_DEP_2)
	v_mov_b32_e32 v141, v125
	s_wait_loadcnt_dscnt 0x202
	v_pk_mul_f32 v[124:125], v[126:127], v[54:55] /*v[310:311]*/ op_sel:[1,1] op_sel_hi:[0,1]
	s_set_vgpr_msb 0                        ;  msbs: dst=0 src0=0 src1=0 src2=0
	v_pk_add_f32 v[122:123], v[122:123], v[140:141]
	s_set_vgpr_msb 4                        ;  msbs: dst=0 src0=0 src1=1 src2=0
	s_delay_alu instid0(VALU_DEP_2)
	v_pk_fma_f32 v[138:139], v[126:127], v[54:55] /*v[310:311]*/, v[124:125] neg_lo:[0,0,1] neg_hi:[0,0,1]
	v_pk_fma_f32 v[124:125], v[126:127], v[54:55] /*v[310:311]*/, v[124:125] op_sel_hi:[1,0,1]
	v_mov_b32_e32 v124, v129
	s_set_vgpr_msb 1                        ;  msbs: dst=0 src0=1 src1=0 src2=0
	v_mov_b32_e32 v126, v57 /*v313*/
	s_set_vgpr_msb 0                        ;  msbs: dst=0 src0=0 src1=0 src2=0
	v_dual_mov_b32 v139, v125 :: v_dual_mov_b32 v125, v128
	s_delay_alu instid0(VALU_DEP_1) | instskip(NEXT) | instid1(VALU_DEP_2)
	v_pk_add_f32 v[122:123], v[122:123], v[138:139]
	v_pk_mul_f32 v[124:125], v[124:125], v[126:127] op_sel_hi:[1,0]
	s_set_vgpr_msb 4                        ;  msbs: dst=0 src0=0 src1=1 src2=0
	s_delay_alu instid0(VALU_DEP_1) | instskip(SKIP_1) | instid1(VALU_DEP_1)
	v_pk_fma_f32 v[126:127], v[128:129], v[56:57] /*v[312:313]*/, v[124:125] neg_lo:[0,0,1] neg_hi:[0,0,1]
	v_pk_fma_f32 v[124:125], v[128:129], v[56:57] /*v[312:313]*/, v[124:125] op_sel_hi:[1,0,1]
	v_mov_b32_e32 v127, v125
	s_wait_loadcnt_dscnt 0x101
	v_pk_mul_f32 v[124:125], v[130:131], v[58:59] /*v[314:315]*/ op_sel:[1,1] op_sel_hi:[0,1]
	s_set_vgpr_msb 0                        ;  msbs: dst=0 src0=0 src1=0 src2=0
	s_delay_alu instid0(VALU_DEP_2) | instskip(SKIP_1) | instid1(VALU_DEP_2)
	v_pk_add_f32 v[122:123], v[122:123], v[126:127]
	s_set_vgpr_msb 4                        ;  msbs: dst=0 src0=0 src1=1 src2=0
	v_pk_fma_f32 v[126:127], v[130:131], v[58:59] /*v[314:315]*/, v[124:125] neg_lo:[0,0,1] neg_hi:[0,0,1]
	v_pk_fma_f32 v[124:125], v[130:131], v[58:59] /*v[314:315]*/, v[124:125] op_sel_hi:[1,0,1]
	s_delay_alu instid0(VALU_DEP_1) | instskip(SKIP_2) | instid1(VALU_DEP_2)
	v_dual_mov_b32 v124, v133 :: v_dual_mov_b32 v127, v125
	v_mov_b32_e32 v125, v132
	s_set_vgpr_msb 0                        ;  msbs: dst=0 src0=0 src1=0 src2=0
	v_pk_add_f32 v[122:123], v[122:123], v[126:127]
	s_set_vgpr_msb 1                        ;  msbs: dst=0 src0=1 src1=0 src2=0
	v_mov_b32_e32 v126, v61 /*v317*/
	s_set_vgpr_msb 0                        ;  msbs: dst=0 src0=0 src1=0 src2=0
	s_delay_alu instid0(VALU_DEP_1) | instskip(SKIP_1) | instid1(VALU_DEP_1)
	v_pk_mul_f32 v[124:125], v[124:125], v[126:127] op_sel_hi:[1,0]
	s_set_vgpr_msb 4                        ;  msbs: dst=0 src0=0 src1=1 src2=0
	v_pk_fma_f32 v[126:127], v[132:133], v[60:61] /*v[316:317]*/, v[124:125] neg_lo:[0,0,1] neg_hi:[0,0,1]
	v_pk_fma_f32 v[124:125], v[132:133], v[60:61] /*v[316:317]*/, v[124:125] op_sel_hi:[1,0,1]
	s_delay_alu instid0(VALU_DEP_1) | instskip(SKIP_3) | instid1(VALU_DEP_2)
	v_mov_b32_e32 v127, v125
	s_wait_loadcnt_dscnt 0x0
	v_pk_mul_f32 v[124:125], v[134:135], v[62:63] /*v[318:319]*/ op_sel:[1,1] op_sel_hi:[0,1]
	s_set_vgpr_msb 0                        ;  msbs: dst=0 src0=0 src1=0 src2=0
	v_pk_add_f32 v[122:123], v[122:123], v[126:127]
	s_set_vgpr_msb 4                        ;  msbs: dst=0 src0=0 src1=1 src2=0
	s_delay_alu instid0(VALU_DEP_2) | instskip(SKIP_1) | instid1(VALU_DEP_1)
	v_pk_fma_f32 v[126:127], v[134:135], v[62:63] /*v[318:319]*/, v[124:125] neg_lo:[0,0,1] neg_hi:[0,0,1]
	v_pk_fma_f32 v[124:125], v[134:135], v[62:63] /*v[318:319]*/, v[124:125] op_sel_hi:[1,0,1]
	v_dual_mov_b32 v124, v137 :: v_dual_mov_b32 v127, v125
	v_mov_b32_e32 v125, v136
	s_set_vgpr_msb 0                        ;  msbs: dst=0 src0=0 src1=0 src2=0
	s_delay_alu instid0(VALU_DEP_2) | instskip(SKIP_3) | instid1(VALU_DEP_1)
	v_pk_add_f32 v[122:123], v[122:123], v[126:127]
	s_set_vgpr_msb 1                        ;  msbs: dst=0 src0=1 src1=0 src2=0
	v_mov_b32_e32 v126, v65 /*v321*/
	s_set_vgpr_msb 0                        ;  msbs: dst=0 src0=0 src1=0 src2=0
	v_pk_mul_f32 v[124:125], v[124:125], v[126:127] op_sel_hi:[1,0]
	s_set_vgpr_msb 4                        ;  msbs: dst=0 src0=0 src1=1 src2=0
	s_delay_alu instid0(VALU_DEP_1) | instskip(SKIP_1) | instid1(VALU_DEP_1)
	v_pk_fma_f32 v[126:127], v[136:137], v[64:65] /*v[320:321]*/, v[124:125] neg_lo:[0,0,1] neg_hi:[0,0,1]
	v_pk_fma_f32 v[124:125], v[136:137], v[64:65] /*v[320:321]*/, v[124:125] op_sel_hi:[1,0,1]
	v_mov_b32_e32 v127, v125
	scratch_load_b64 v[124:125], off, off offset:40
	s_set_vgpr_msb 0                        ;  msbs: dst=0 src0=0 src1=0 src2=0
	v_pk_add_f32 v[122:123], v[122:123], v[126:127]
	s_wait_loadcnt 0x0
	s_delay_alu instid0(VALU_DEP_1)
	v_pk_add_f32 v[122:123], v[124:125], v[122:123] neg_lo:[0,1] neg_hi:[0,1]
	scratch_store_b64 off, v[122:123], off offset:40
	s_wait_xcnt 0x0
	v_cmpx_lt_u32_e32 4, v0
	s_cbranch_execz .LBB123_365
; %bb.364:
	scratch_load_b64 v[122:123], off, off offset:32
	v_mov_b64_e32 v[124:125], 0
	scratch_store_b64 off, v[124:125], off offset:32
	s_wait_loadcnt 0x0
	ds_store_b64 v1, v[122:123]
.LBB123_365:
	s_wait_xcnt 0x0
	s_or_b32 exec_lo, exec_lo, s0
	s_wait_storecnt_dscnt 0x0
	s_barrier_signal -1
	s_barrier_wait -1
	s_clause 0xf
	scratch_load_b128 v[126:129], off, off offset:40
	scratch_load_b128 v[134:137], off, off offset:56
	;; [unrolled: 1-line block ×16, first 2 shown]
	v_mov_b32_e32 v7, 0
	s_clause 0x4
	scratch_load_b128 v[254:257], off, off offset:296
	s_set_vgpr_msb 64                       ;  msbs: dst=1 src0=0 src1=0 src2=0
	scratch_load_b128 v[6:9] /*v[262:265]*/, off, off offset:312
	scratch_load_b128 v[14:17] /*v[270:273]*/, off, off offset:328
	;; [unrolled: 1-line block ×3, first 2 shown]
	s_set_vgpr_msb 0                        ;  msbs: dst=0 src0=0 src1=0 src2=0
	ds_load_2addr_b64 v[122:125], v7 offset0:65 offset1:66
	ds_load_2addr_b64 v[130:133], v7 offset0:67 offset1:68
	s_set_vgpr_msb 64                       ;  msbs: dst=1 src0=0 src1=0 src2=0
	s_clause 0x3
	scratch_load_b128 v[30:33] /*v[286:289]*/, off, off offset:360
	scratch_load_b128 v[38:41] /*v[294:297]*/, off, off offset:376
	;; [unrolled: 1-line block ×4, first 2 shown]
	s_mov_b32 s0, exec_lo
	s_wait_loadcnt_dscnt 0x1701
	s_set_vgpr_msb 0                        ;  msbs: dst=0 src0=0 src1=0 src2=0
	v_dual_mul_f32 v9, v122, v127 :: v_dual_mul_f32 v11, v124, v129
	ds_load_2addr_b64 v[138:141], v7 offset0:69 offset1:70
	ds_load_2addr_b64 v[146:149], v7 offset0:71 offset1:72
	;; [unrolled: 1-line block ×4, first 2 shown]
	v_dual_fmac_f32 v9, v123, v126 :: v_dual_fmac_f32 v11, v125, v128
	ds_load_2addr_b64 v[170:173], v7 offset0:77 offset1:78
	ds_load_2addr_b64 v[178:181], v7 offset0:79 offset1:80
	;; [unrolled: 1-line block ×4, first 2 shown]
	v_add_f32_e32 v9, 0, v9
	ds_load_2addr_b64 v[202:205], v7 offset0:85 offset1:86
	ds_load_2addr_b64 v[210:213], v7 offset0:87 offset1:88
	;; [unrolled: 1-line block ×4, first 2 shown]
	v_add_f32_e32 v9, v9, v11
	s_wait_loadcnt_dscnt 0x160c
	v_mul_f32_e32 v11, v130, v135
	ds_load_2addr_b64 v[234:237], v7 offset0:93 offset1:94
	ds_load_2addr_b64 v[242:245], v7 offset0:95 offset1:96
	;; [unrolled: 1-line block ×3, first 2 shown]
	s_set_vgpr_msb 64                       ;  msbs: dst=1 src0=0 src1=0 src2=0
	ds_load_2addr_b64 v[2:5] /*v[258:261]*/, v7 offset0:99 offset1:100
	s_set_vgpr_msb 0                        ;  msbs: dst=0 src0=0 src1=0 src2=0
	v_fmac_f32_e32 v11, v131, v134
	s_set_vgpr_msb 64                       ;  msbs: dst=1 src0=0 src1=0 src2=0
	ds_load_2addr_b64 v[10:13] /*v[266:269]*/, v7 offset0:101 offset1:102
	ds_load_2addr_b64 v[18:21] /*v[274:277]*/, v7 offset0:103 offset1:104
	;; [unrolled: 1-line block ×4, first 2 shown]
	s_set_vgpr_msb 0                        ;  msbs: dst=0 src0=0 src1=0 src2=0
	v_dual_add_f32 v9, v9, v11 :: v_dual_mul_f32 v11, v132, v137
	s_set_vgpr_msb 64                       ;  msbs: dst=1 src0=0 src1=0 src2=0
	ds_load_2addr_b64 v[26:29] /*v[282:285]*/, v7 offset0:105 offset1:106
	ds_load_2addr_b64 v[34:37] /*v[290:293]*/, v7 offset0:107 offset1:108
	s_clause 0x3
	scratch_load_b128 v[58:61] /*v[314:317]*/, off, off offset:424
	scratch_load_b128 v[62:65] /*v[318:321]*/, off, off offset:440
	;; [unrolled: 1-line block ×3, first 2 shown]
	scratch_load_b64 v[76:77] /*v[332:333]*/, off, off offset:472
	s_set_vgpr_msb 0                        ;  msbs: dst=0 src0=0 src1=0 src2=0
	v_fmac_f32_e32 v11, v133, v136
	s_delay_alu instid0(VALU_DEP_1) | instskip(SKIP_2) | instid1(VALU_DEP_1)
	v_add_f32_e32 v9, v9, v11
	s_wait_loadcnt_dscnt 0x1915
	v_mul_f32_e32 v11, v138, v143
	v_fmac_f32_e32 v11, v139, v142
	s_wait_loadcnt_dscnt 0x402
	s_set_vgpr_msb 0x45                     ;  msbs: dst=1 src0=1 src1=1 src2=0
	v_dual_mul_f32 v73 /*v329*/, v44 /*v300*/, v49 /*v305*/ :: v_dual_mul_f32 v75 /*v331*/, v50 /*v306*/, v55 /*v311*/
	s_set_vgpr_msb 0                        ;  msbs: dst=0 src0=0 src1=0 src2=0
	v_dual_add_f32 v9, v9, v11 :: v_dual_mul_f32 v11, v140, v145
	s_set_vgpr_msb 0x45                     ;  msbs: dst=1 src0=1 src1=1 src2=0
	s_delay_alu instid0(VALU_DEP_2) | instskip(SKIP_1) | instid1(VALU_DEP_2)
	v_dual_fmac_f32 v73 /*v329*/, v45 /*v301*/, v48 /*v304*/ :: v_dual_fmac_f32 v75 /*v331*/, v51 /*v307*/, v54 /*v310*/
	s_set_vgpr_msb 0                        ;  msbs: dst=0 src0=0 src1=0 src2=0
	v_fmac_f32_e32 v11, v141, v144
	s_delay_alu instid0(VALU_DEP_1) | instskip(SKIP_1) | instid1(VALU_DEP_1)
	v_add_f32_e32 v9, v9, v11
	v_mul_f32_e32 v11, v146, v151
	v_fmac_f32_e32 v11, v147, v150
	s_delay_alu instid0(VALU_DEP_1) | instskip(NEXT) | instid1(VALU_DEP_1)
	v_dual_add_f32 v9, v9, v11 :: v_dual_mul_f32 v11, v148, v153
	v_fmac_f32_e32 v11, v149, v152
	s_delay_alu instid0(VALU_DEP_1) | instskip(SKIP_1) | instid1(VALU_DEP_1)
	v_add_f32_e32 v9, v9, v11
	v_mul_f32_e32 v11, v154, v159
	v_fmac_f32_e32 v11, v155, v158
	s_delay_alu instid0(VALU_DEP_1) | instskip(NEXT) | instid1(VALU_DEP_1)
	v_dual_add_f32 v9, v9, v11 :: v_dual_mul_f32 v11, v156, v161
	v_fmac_f32_e32 v11, v157, v160
	s_delay_alu instid0(VALU_DEP_1) | instskip(SKIP_1) | instid1(VALU_DEP_1)
	v_add_f32_e32 v9, v9, v11
	v_mul_f32_e32 v11, v162, v167
	v_fmac_f32_e32 v11, v163, v166
	s_delay_alu instid0(VALU_DEP_1) | instskip(NEXT) | instid1(VALU_DEP_1)
	v_dual_add_f32 v9, v9, v11 :: v_dual_mul_f32 v11, v164, v169
	v_fmac_f32_e32 v11, v165, v168
	s_delay_alu instid0(VALU_DEP_1) | instskip(SKIP_1) | instid1(VALU_DEP_1)
	v_add_f32_e32 v9, v9, v11
	v_mul_f32_e32 v11, v170, v175
	v_fmac_f32_e32 v11, v171, v174
	s_delay_alu instid0(VALU_DEP_1) | instskip(NEXT) | instid1(VALU_DEP_1)
	v_dual_add_f32 v9, v9, v11 :: v_dual_mul_f32 v11, v172, v177
	v_fmac_f32_e32 v11, v173, v176
	s_delay_alu instid0(VALU_DEP_1) | instskip(SKIP_1) | instid1(VALU_DEP_1)
	v_add_f32_e32 v9, v9, v11
	v_mul_f32_e32 v11, v178, v183
	v_fmac_f32_e32 v11, v179, v182
	s_delay_alu instid0(VALU_DEP_1) | instskip(NEXT) | instid1(VALU_DEP_1)
	v_dual_add_f32 v9, v9, v11 :: v_dual_mul_f32 v11, v180, v185
	v_fmac_f32_e32 v11, v181, v184
	s_delay_alu instid0(VALU_DEP_1) | instskip(SKIP_1) | instid1(VALU_DEP_1)
	v_add_f32_e32 v9, v9, v11
	v_mul_f32_e32 v11, v186, v191
	v_fmac_f32_e32 v11, v187, v190
	s_delay_alu instid0(VALU_DEP_1) | instskip(NEXT) | instid1(VALU_DEP_1)
	v_dual_add_f32 v9, v9, v11 :: v_dual_mul_f32 v11, v188, v193
	v_fmac_f32_e32 v11, v189, v192
	s_delay_alu instid0(VALU_DEP_1) | instskip(SKIP_1) | instid1(VALU_DEP_1)
	v_add_f32_e32 v9, v9, v11
	v_mul_f32_e32 v11, v194, v199
	v_fmac_f32_e32 v11, v195, v198
	s_delay_alu instid0(VALU_DEP_1) | instskip(NEXT) | instid1(VALU_DEP_1)
	v_dual_add_f32 v9, v9, v11 :: v_dual_mul_f32 v11, v196, v201
	v_fmac_f32_e32 v11, v197, v200
	s_delay_alu instid0(VALU_DEP_1) | instskip(SKIP_1) | instid1(VALU_DEP_1)
	v_add_f32_e32 v9, v9, v11
	v_mul_f32_e32 v11, v202, v207
	v_fmac_f32_e32 v11, v203, v206
	s_delay_alu instid0(VALU_DEP_1) | instskip(NEXT) | instid1(VALU_DEP_1)
	v_dual_add_f32 v9, v9, v11 :: v_dual_mul_f32 v11, v204, v209
	v_fmac_f32_e32 v11, v205, v208
	s_delay_alu instid0(VALU_DEP_1) | instskip(SKIP_1) | instid1(VALU_DEP_1)
	v_add_f32_e32 v9, v9, v11
	v_mul_f32_e32 v11, v210, v215
	v_fmac_f32_e32 v11, v211, v214
	s_delay_alu instid0(VALU_DEP_1) | instskip(NEXT) | instid1(VALU_DEP_1)
	v_dual_add_f32 v9, v9, v11 :: v_dual_mul_f32 v11, v212, v217
	v_fmac_f32_e32 v11, v213, v216
	s_delay_alu instid0(VALU_DEP_1) | instskip(SKIP_1) | instid1(VALU_DEP_1)
	v_add_f32_e32 v9, v9, v11
	v_mul_f32_e32 v11, v218, v223
	v_fmac_f32_e32 v11, v219, v222
	s_delay_alu instid0(VALU_DEP_1) | instskip(NEXT) | instid1(VALU_DEP_1)
	v_dual_add_f32 v9, v9, v11 :: v_dual_mul_f32 v11, v220, v225
	v_fmac_f32_e32 v11, v221, v224
	s_delay_alu instid0(VALU_DEP_1) | instskip(SKIP_1) | instid1(VALU_DEP_1)
	v_add_f32_e32 v9, v9, v11
	v_mul_f32_e32 v11, v226, v231
	v_fmac_f32_e32 v11, v227, v230
	s_delay_alu instid0(VALU_DEP_1) | instskip(NEXT) | instid1(VALU_DEP_1)
	v_dual_add_f32 v9, v9, v11 :: v_dual_mul_f32 v11, v228, v233
	v_fmac_f32_e32 v11, v229, v232
	s_delay_alu instid0(VALU_DEP_1) | instskip(SKIP_1) | instid1(VALU_DEP_1)
	v_add_f32_e32 v9, v9, v11
	v_mul_f32_e32 v11, v234, v239
	v_fmac_f32_e32 v11, v235, v238
	s_delay_alu instid0(VALU_DEP_1) | instskip(NEXT) | instid1(VALU_DEP_1)
	v_dual_add_f32 v9, v9, v11 :: v_dual_mul_f32 v11, v236, v241
	v_fmac_f32_e32 v11, v237, v240
	s_delay_alu instid0(VALU_DEP_1) | instskip(SKIP_1) | instid1(VALU_DEP_1)
	v_add_f32_e32 v9, v9, v11
	v_mul_f32_e32 v11, v242, v247
	v_fmac_f32_e32 v11, v243, v246
	s_delay_alu instid0(VALU_DEP_1) | instskip(NEXT) | instid1(VALU_DEP_1)
	v_dual_add_f32 v9, v9, v11 :: v_dual_mul_f32 v11, v244, v249
	v_fmac_f32_e32 v11, v245, v248
	s_delay_alu instid0(VALU_DEP_1) | instskip(SKIP_1) | instid1(VALU_DEP_1)
	v_add_f32_e32 v9, v9, v11
	v_mul_f32_e32 v11, v250, v255
	v_fmac_f32_e32 v11, v251, v254
	s_delay_alu instid0(VALU_DEP_1) | instskip(SKIP_2) | instid1(VALU_DEP_1)
	v_add_f32_e32 v9, v9, v11
	s_set_vgpr_msb 4                        ;  msbs: dst=0 src0=0 src1=1 src2=0
	v_mul_f32_e32 v11, v252, v1 /*v257*/
	v_fmac_f32_e32 v11, v253, v0 /*v256*/
	s_set_vgpr_msb 0                        ;  msbs: dst=0 src0=0 src1=0 src2=0
	s_delay_alu instid0(VALU_DEP_1) | instskip(SKIP_2) | instid1(VALU_DEP_1)
	v_add_f32_e32 v9, v9, v11
	s_set_vgpr_msb 5                        ;  msbs: dst=0 src0=1 src1=1 src2=0
	v_mul_f32_e32 v11, v2 /*v258*/, v7 /*v263*/
	v_fmac_f32_e32 v11, v3 /*v259*/, v6 /*v262*/
	s_set_vgpr_msb 0                        ;  msbs: dst=0 src0=0 src1=0 src2=0
	s_delay_alu instid0(VALU_DEP_1) | instskip(SKIP_2) | instid1(VALU_DEP_1)
	v_add_f32_e32 v9, v9, v11
	s_set_vgpr_msb 5                        ;  msbs: dst=0 src0=1 src1=1 src2=0
	v_mul_f32_e32 v11, v4 /*v260*/, v9 /*v265*/
	v_fmac_f32_e32 v11, v5 /*v261*/, v8 /*v264*/
	;; [unrolled: 6-line block ×6, first 2 shown]
	s_set_vgpr_msb 0                        ;  msbs: dst=0 src0=0 src1=0 src2=0
	s_delay_alu instid0(VALU_DEP_1) | instskip(SKIP_3) | instid1(VALU_DEP_1)
	v_add_f32_e32 v9, v9, v11
	s_wait_dscnt 0x1
	s_set_vgpr_msb 5                        ;  msbs: dst=0 src0=1 src1=1 src2=0
	v_mul_f32_e32 v11, v26 /*v282*/, v31 /*v287*/
	v_fmac_f32_e32 v11, v27 /*v283*/, v30 /*v286*/
	s_set_vgpr_msb 0                        ;  msbs: dst=0 src0=0 src1=0 src2=0
	s_delay_alu instid0(VALU_DEP_1) | instskip(SKIP_2) | instid1(VALU_DEP_1)
	v_add_f32_e32 v9, v9, v11
	s_set_vgpr_msb 5                        ;  msbs: dst=0 src0=1 src1=1 src2=0
	v_mul_f32_e32 v11, v28 /*v284*/, v33 /*v289*/
	v_fmac_f32_e32 v11, v29 /*v285*/, v32 /*v288*/
	s_set_vgpr_msb 0                        ;  msbs: dst=0 src0=0 src1=0 src2=0
	s_delay_alu instid0(VALU_DEP_1) | instskip(SKIP_3) | instid1(VALU_DEP_1)
	v_add_f32_e32 v9, v9, v11
	s_wait_dscnt 0x0
	s_set_vgpr_msb 5                        ;  msbs: dst=0 src0=1 src1=1 src2=0
	v_mul_f32_e32 v11, v34 /*v290*/, v39 /*v295*/
	v_fmac_f32_e32 v11, v35 /*v291*/, v38 /*v294*/
	s_set_vgpr_msb 0                        ;  msbs: dst=0 src0=0 src1=0 src2=0
	s_delay_alu instid0(VALU_DEP_1) | instskip(SKIP_2) | instid1(VALU_DEP_1)
	v_add_f32_e32 v9, v9, v11
	s_set_vgpr_msb 5                        ;  msbs: dst=0 src0=1 src1=1 src2=0
	v_mul_f32_e32 v11, v36 /*v292*/, v41 /*v297*/
	v_fmac_f32_e32 v11, v37 /*v293*/, v40 /*v296*/
	s_set_vgpr_msb 0                        ;  msbs: dst=0 src0=0 src1=0 src2=0
	s_delay_alu instid0(VALU_DEP_1) | instskip(SKIP_2) | instid1(VALU_DEP_1)
	v_add_f32_e32 v9, v9, v11
	s_set_vgpr_msb 5                        ;  msbs: dst=0 src0=1 src1=1 src2=0
	v_mul_f32_e32 v11, v42 /*v298*/, v47 /*v303*/
	v_fmac_f32_e32 v11, v43 /*v299*/, v46 /*v302*/
	s_set_vgpr_msb 64                       ;  msbs: dst=1 src0=0 src1=0 src2=0
	s_delay_alu instid0(VALU_DEP_1) | instskip(SKIP_2) | instid1(VALU_DEP_1)
	v_add_f32_e32 v71 /*v327*/, v9, v11
	s_set_vgpr_msb 0                        ;  msbs: dst=0 src0=0 src1=0 src2=0
	v_dual_mul_f32 v9, v123, v127 :: v_dual_mul_f32 v11, v125, v129
	v_dual_fma_f32 v9, v122, v126, -v9 :: v_dual_fma_f32 v11, v124, v128, -v11
	s_delay_alu instid0(VALU_DEP_1) | instskip(NEXT) | instid1(VALU_DEP_1)
	v_add_f32_e32 v9, 0, v9
	v_add_f32_e32 v9, v9, v11
	v_mul_f32_e32 v11, v131, v135
	s_delay_alu instid0(VALU_DEP_1) | instskip(NEXT) | instid1(VALU_DEP_1)
	v_fma_f32 v11, v130, v134, -v11
	v_add_f32_e32 v9, v9, v11
	v_mul_f32_e32 v11, v133, v137
	s_delay_alu instid0(VALU_DEP_1)
	v_fma_f32 v11, v132, v136, -v11
	ds_load_2addr_b64 v[122:125], v7 offset0:113 offset1:114
	ds_load_2addr_b64 v[126:129], v7 offset0:115 offset1:116
	;; [unrolled: 1-line block ×3, first 2 shown]
	ds_load_b64 v[134:135], v7 offset:952
	v_add_f32_e32 v9, v9, v11
	v_mul_f32_e32 v11, v139, v143
	s_set_vgpr_msb 1                        ;  msbs: dst=0 src0=1 src1=0 src2=0
	v_mov_b32_e32 v139, v52 /*v308*/
	s_set_vgpr_msb 0                        ;  msbs: dst=0 src0=0 src1=0 src2=0
	s_delay_alu instid0(VALU_DEP_2) | instskip(SKIP_3) | instid1(VALU_DEP_2)
	v_fma_f32 v11, v138, v142, -v11
	s_set_vgpr_msb 1                        ;  msbs: dst=0 src0=1 src1=0 src2=0
	v_mov_b32_e32 v138, v53 /*v309*/
	s_set_vgpr_msb 0                        ;  msbs: dst=0 src0=0 src1=0 src2=0
	v_add_f32_e32 v9, v9, v11
	v_mul_f32_e32 v11, v141, v145
	s_delay_alu instid0(VALU_DEP_1) | instskip(SKIP_3) | instid1(VALU_DEP_2)
	v_fma_f32 v11, v140, v144, -v11
	s_set_vgpr_msb 1                        ;  msbs: dst=0 src0=1 src1=0 src2=0
	v_mov_b32_e32 v140, v57 /*v313*/
	s_set_vgpr_msb 0                        ;  msbs: dst=0 src0=0 src1=0 src2=0
	v_add_f32_e32 v9, v9, v11
	v_mul_f32_e32 v11, v147, v151
	s_delay_alu instid0(VALU_DEP_3) | instskip(NEXT) | instid1(VALU_DEP_2)
	v_pk_mul_f32 v[138:139], v[138:139], v[140:141] op_sel_hi:[1,0]
	v_fma_f32 v11, v146, v150, -v11
	s_set_vgpr_msb 5                        ;  msbs: dst=0 src0=1 src1=1 src2=0
	s_delay_alu instid0(VALU_DEP_2) | instskip(SKIP_3) | instid1(VALU_DEP_2)
	v_pk_fma_f32 v[140:141], v[52:53] /*v[308:309]*/, v[56:57] /*v[312:313]*/, v[138:139] neg_lo:[0,0,1] neg_hi:[0,0,1]
	v_pk_fma_f32 v[138:139], v[52:53] /*v[308:309]*/, v[56:57] /*v[312:313]*/, v[138:139] op_sel_hi:[1,0,1]
	s_set_vgpr_msb 0                        ;  msbs: dst=0 src0=0 src1=0 src2=0
	v_add_f32_e32 v9, v9, v11
	v_dual_mul_f32 v11, v149, v153 :: v_dual_mov_b32 v141, v139
	s_wait_loadcnt_dscnt 0x303
	s_set_vgpr_msb 4                        ;  msbs: dst=0 src0=0 src1=1 src2=0
	v_pk_mul_f32 v[138:139], v[122:123], v[58:59] /*v[314:315]*/ op_sel:[1,1] op_sel_hi:[0,1]
	s_set_vgpr_msb 0                        ;  msbs: dst=0 src0=0 src1=0 src2=0
	v_fma_f32 v11, v148, v152, -v11
	s_delay_alu instid0(VALU_DEP_1) | instskip(SKIP_1) | instid1(VALU_DEP_1)
	v_add_f32_e32 v9, v9, v11
	v_mul_f32_e32 v11, v155, v159
	v_fma_f32 v11, v154, v158, -v11
	s_delay_alu instid0(VALU_DEP_1) | instskip(SKIP_1) | instid1(VALU_DEP_1)
	v_add_f32_e32 v9, v9, v11
	v_mul_f32_e32 v11, v157, v161
	;; [unrolled: 4-line block ×25, first 2 shown]
	v_fma_f32 v11, v250, v254, -v11
	s_delay_alu instid0(VALU_DEP_1) | instskip(SKIP_2) | instid1(VALU_DEP_1)
	v_add_f32_e32 v9, v9, v11
	s_set_vgpr_msb 4                        ;  msbs: dst=0 src0=0 src1=1 src2=0
	v_mul_f32_e32 v11, v253, v1 /*v257*/
	v_fma_f32 v11, v252, v0 /*v256*/, -v11
	s_set_vgpr_msb 0                        ;  msbs: dst=0 src0=0 src1=0 src2=0
	s_delay_alu instid0(VALU_DEP_1) | instskip(SKIP_2) | instid1(VALU_DEP_1)
	v_add_f32_e32 v9, v9, v11
	s_set_vgpr_msb 5                        ;  msbs: dst=0 src0=1 src1=1 src2=0
	v_mul_f32_e32 v11, v3 /*v259*/, v7 /*v263*/
	v_fma_f32 v11, v2 /*v258*/, v6 /*v262*/, -v11
	s_set_vgpr_msb 0                        ;  msbs: dst=0 src0=0 src1=0 src2=0
	s_delay_alu instid0(VALU_DEP_1) | instskip(SKIP_2) | instid1(VALU_DEP_1)
	v_add_f32_e32 v9, v9, v11
	s_set_vgpr_msb 5                        ;  msbs: dst=0 src0=1 src1=1 src2=0
	v_mul_f32_e32 v11, v5 /*v261*/, v9 /*v265*/
	v_fma_f32 v11, v4 /*v260*/, v8 /*v264*/, -v11
	;; [unrolled: 6-line block ×11, first 2 shown]
	s_set_vgpr_msb 64                       ;  msbs: dst=1 src0=0 src1=0 src2=0
	s_delay_alu instid0(VALU_DEP_1) | instskip(SKIP_3) | instid1(VALU_DEP_1)
	v_add_f32_e32 v70 /*v326*/, v9, v11
	s_set_vgpr_msb 5                        ;  msbs: dst=0 src0=1 src1=1 src2=0
	v_mul_f32_e32 v9, v45 /*v301*/, v49 /*v305*/
	s_set_vgpr_msb 0x45                     ;  msbs: dst=1 src0=1 src1=1 src2=0
	v_fma_f32 v72 /*v328*/, v44 /*v300*/, v48 /*v304*/, -v9
	s_set_vgpr_msb 5                        ;  msbs: dst=0 src0=1 src1=1 src2=0
	v_mul_f32_e32 v9, v51 /*v307*/, v55 /*v311*/
	s_set_vgpr_msb 0x45                     ;  msbs: dst=1 src0=1 src1=1 src2=0
	s_delay_alu instid0(VALU_DEP_1) | instskip(SKIP_3) | instid1(VALU_DEP_1)
	v_fma_f32 v74 /*v330*/, v50 /*v306*/, v54 /*v310*/, -v9
	s_set_vgpr_msb 5                        ;  msbs: dst=0 src0=1 src1=1 src2=0
	v_pk_add_f32 v[136:137], v[70:71] /*v[326:327]*/, v[72:73] /*v[328:329]*/
	s_set_vgpr_msb 4                        ;  msbs: dst=0 src0=0 src1=1 src2=0
	v_pk_add_f32 v[136:137], v[136:137], v[74:75] /*v[330:331]*/
	s_set_vgpr_msb 0                        ;  msbs: dst=0 src0=0 src1=0 src2=0
	s_delay_alu instid0(VALU_DEP_1)
	v_pk_add_f32 v[136:137], v[136:137], v[140:141]
	s_set_vgpr_msb 4                        ;  msbs: dst=0 src0=0 src1=1 src2=0
	v_pk_fma_f32 v[140:141], v[122:123], v[58:59] /*v[314:315]*/, v[138:139] neg_lo:[0,0,1] neg_hi:[0,0,1]
	v_pk_fma_f32 v[122:123], v[122:123], v[58:59] /*v[314:315]*/, v[138:139] op_sel_hi:[1,0,1]
	s_set_vgpr_msb 1                        ;  msbs: dst=0 src0=1 src1=0 src2=0
	v_mov_b32_e32 v138, v61 /*v317*/
	s_set_vgpr_msb 0                        ;  msbs: dst=0 src0=0 src1=0 src2=0
	s_delay_alu instid0(VALU_DEP_2) | instskip(NEXT) | instid1(VALU_DEP_1)
	v_mov_b32_e32 v141, v123
	v_pk_add_f32 v[122:123], v[136:137], v[140:141]
	v_dual_mov_b32 v136, v125 :: v_dual_mov_b32 v137, v124
	s_delay_alu instid0(VALU_DEP_1) | instskip(SKIP_1) | instid1(VALU_DEP_1)
	v_pk_mul_f32 v[136:137], v[136:137], v[138:139] op_sel_hi:[1,0]
	s_set_vgpr_msb 4                        ;  msbs: dst=0 src0=0 src1=1 src2=0
	v_pk_fma_f32 v[138:139], v[124:125], v[60:61] /*v[316:317]*/, v[136:137] neg_lo:[0,0,1] neg_hi:[0,0,1]
	v_pk_fma_f32 v[124:125], v[124:125], v[60:61] /*v[316:317]*/, v[136:137] op_sel_hi:[1,0,1]
	s_delay_alu instid0(VALU_DEP_1) | instskip(SKIP_3) | instid1(VALU_DEP_2)
	v_mov_b32_e32 v139, v125
	s_wait_loadcnt_dscnt 0x202
	v_pk_mul_f32 v[124:125], v[126:127], v[62:63] /*v[318:319]*/ op_sel:[1,1] op_sel_hi:[0,1]
	s_set_vgpr_msb 0                        ;  msbs: dst=0 src0=0 src1=0 src2=0
	v_pk_add_f32 v[122:123], v[122:123], v[138:139]
	s_set_vgpr_msb 4                        ;  msbs: dst=0 src0=0 src1=1 src2=0
	s_delay_alu instid0(VALU_DEP_2)
	v_pk_fma_f32 v[136:137], v[126:127], v[62:63] /*v[318:319]*/, v[124:125] neg_lo:[0,0,1] neg_hi:[0,0,1]
	v_pk_fma_f32 v[124:125], v[126:127], v[62:63] /*v[318:319]*/, v[124:125] op_sel_hi:[1,0,1]
	v_mov_b32_e32 v124, v129
	s_set_vgpr_msb 1                        ;  msbs: dst=0 src0=1 src1=0 src2=0
	v_mov_b32_e32 v126, v65 /*v321*/
	s_set_vgpr_msb 0                        ;  msbs: dst=0 src0=0 src1=0 src2=0
	v_dual_mov_b32 v137, v125 :: v_dual_mov_b32 v125, v128
	s_delay_alu instid0(VALU_DEP_1) | instskip(NEXT) | instid1(VALU_DEP_2)
	v_pk_add_f32 v[122:123], v[122:123], v[136:137]
	v_pk_mul_f32 v[124:125], v[124:125], v[126:127] op_sel_hi:[1,0]
	s_set_vgpr_msb 4                        ;  msbs: dst=0 src0=0 src1=1 src2=0
	s_delay_alu instid0(VALU_DEP_1) | instskip(SKIP_1) | instid1(VALU_DEP_1)
	v_pk_fma_f32 v[126:127], v[128:129], v[64:65] /*v[320:321]*/, v[124:125] neg_lo:[0,0,1] neg_hi:[0,0,1]
	v_pk_fma_f32 v[124:125], v[128:129], v[64:65] /*v[320:321]*/, v[124:125] op_sel_hi:[1,0,1]
	v_mov_b32_e32 v127, v125
	s_wait_loadcnt_dscnt 0x101
	v_pk_mul_f32 v[124:125], v[130:131], v[66:67] /*v[322:323]*/ op_sel:[1,1] op_sel_hi:[0,1]
	s_set_vgpr_msb 0                        ;  msbs: dst=0 src0=0 src1=0 src2=0
	s_delay_alu instid0(VALU_DEP_2) | instskip(SKIP_1) | instid1(VALU_DEP_2)
	v_pk_add_f32 v[122:123], v[122:123], v[126:127]
	s_set_vgpr_msb 4                        ;  msbs: dst=0 src0=0 src1=1 src2=0
	v_pk_fma_f32 v[126:127], v[130:131], v[66:67] /*v[322:323]*/, v[124:125] neg_lo:[0,0,1] neg_hi:[0,0,1]
	v_pk_fma_f32 v[124:125], v[130:131], v[66:67] /*v[322:323]*/, v[124:125] op_sel_hi:[1,0,1]
	s_delay_alu instid0(VALU_DEP_1) | instskip(SKIP_2) | instid1(VALU_DEP_2)
	v_dual_mov_b32 v124, v133 :: v_dual_mov_b32 v127, v125
	v_mov_b32_e32 v125, v132
	s_set_vgpr_msb 0                        ;  msbs: dst=0 src0=0 src1=0 src2=0
	v_pk_add_f32 v[122:123], v[122:123], v[126:127]
	s_set_vgpr_msb 1                        ;  msbs: dst=0 src0=1 src1=0 src2=0
	v_mov_b32_e32 v126, v69 /*v325*/
	s_set_vgpr_msb 0                        ;  msbs: dst=0 src0=0 src1=0 src2=0
	s_delay_alu instid0(VALU_DEP_1) | instskip(SKIP_1) | instid1(VALU_DEP_1)
	v_pk_mul_f32 v[124:125], v[124:125], v[126:127] op_sel_hi:[1,0]
	s_set_vgpr_msb 4                        ;  msbs: dst=0 src0=0 src1=1 src2=0
	v_pk_fma_f32 v[126:127], v[132:133], v[68:69] /*v[324:325]*/, v[124:125] neg_lo:[0,0,1] neg_hi:[0,0,1]
	v_pk_fma_f32 v[124:125], v[132:133], v[68:69] /*v[324:325]*/, v[124:125] op_sel_hi:[1,0,1]
	s_delay_alu instid0(VALU_DEP_1) | instskip(SKIP_3) | instid1(VALU_DEP_2)
	v_mov_b32_e32 v127, v125
	s_wait_loadcnt_dscnt 0x0
	v_pk_mul_f32 v[124:125], v[134:135], v[76:77] /*v[332:333]*/ op_sel:[1,1] op_sel_hi:[0,1]
	s_set_vgpr_msb 0                        ;  msbs: dst=0 src0=0 src1=0 src2=0
	v_pk_add_f32 v[122:123], v[122:123], v[126:127]
	s_set_vgpr_msb 4                        ;  msbs: dst=0 src0=0 src1=1 src2=0
	s_delay_alu instid0(VALU_DEP_2) | instskip(SKIP_1) | instid1(VALU_DEP_1)
	v_pk_fma_f32 v[126:127], v[134:135], v[76:77] /*v[332:333]*/, v[124:125] neg_lo:[0,0,1] neg_hi:[0,0,1]
	v_pk_fma_f32 v[124:125], v[134:135], v[76:77] /*v[332:333]*/, v[124:125] op_sel_hi:[1,0,1]
	v_mov_b32_e32 v127, v125
	scratch_load_b64 v[124:125], off, off offset:32
	s_set_vgpr_msb 0                        ;  msbs: dst=0 src0=0 src1=0 src2=0
	v_pk_add_f32 v[122:123], v[122:123], v[126:127]
	s_wait_loadcnt 0x0
	s_delay_alu instid0(VALU_DEP_1)
	v_pk_add_f32 v[122:123], v[124:125], v[122:123] neg_lo:[0,1] neg_hi:[0,1]
	scratch_store_b64 off, v[122:123], off offset:32
	s_wait_xcnt 0x0
	v_cmpx_lt_u32_e32 3, v0
	s_cbranch_execz .LBB123_367
; %bb.366:
	scratch_load_b64 v[122:123], off, off offset:24
	v_mov_b64_e32 v[124:125], 0
	scratch_store_b64 off, v[124:125], off offset:24
	s_wait_loadcnt 0x0
	ds_store_b64 v1, v[122:123]
.LBB123_367:
	s_wait_xcnt 0x0
	s_or_b32 exec_lo, exec_lo, s0
	s_wait_storecnt_dscnt 0x0
	s_barrier_signal -1
	s_barrier_wait -1
	ds_load_b128 v[122:125], v7 offset:512
	ds_load_b128 v[126:129], v7 offset:528
	;; [unrolled: 1-line block ×4, first 2 shown]
	s_clause 0x14
	scratch_load_b128 v[138:141], off, off offset:32
	scratch_load_b128 v[142:145], off, off offset:48
	;; [unrolled: 1-line block ×17, first 2 shown]
	s_set_vgpr_msb 64                       ;  msbs: dst=1 src0=0 src1=0 src2=0
	scratch_load_b128 v[6:9] /*v[262:265]*/, off, off offset:304
	scratch_load_b128 v[14:17] /*v[270:273]*/, off, off offset:320
	scratch_load_b128 v[22:25] /*v[278:281]*/, off, off offset:336
	s_set_vgpr_msb 0                        ;  msbs: dst=0 src0=0 src1=0 src2=0
	ds_load_b128 v[154:157], v7 offset:576
	ds_load_b128 v[162:165], v7 offset:592
	s_set_vgpr_msb 64                       ;  msbs: dst=1 src0=0 src1=0 src2=0
	s_clause 0x1
	scratch_load_b128 v[30:33] /*v[286:289]*/, off, off offset:352
	scratch_load_b128 v[38:41] /*v[294:297]*/, off, off offset:368
	s_set_vgpr_msb 0                        ;  msbs: dst=0 src0=0 src1=0 src2=0
	ds_load_b128 v[170:173], v7 offset:608
	ds_load_b128 v[178:181], v7 offset:624
	s_set_vgpr_msb 64                       ;  msbs: dst=1 src0=0 src1=0 src2=0
	s_clause 0x1
	scratch_load_b128 v[46:49] /*v[302:305]*/, off, off offset:384
	scratch_load_b128 v[54:57] /*v[310:313]*/, off, off offset:400
	s_set_vgpr_msb 0                        ;  msbs: dst=0 src0=0 src1=0 src2=0
	ds_load_b128 v[186:189], v7 offset:640
	ds_load_b128 v[194:197], v7 offset:656
	ds_load_b128 v[202:205], v7 offset:672
	ds_load_b128 v[210:213], v7 offset:688
	ds_load_b128 v[218:221], v7 offset:704
	ds_load_b128 v[226:229], v7 offset:720
	ds_load_b128 v[234:237], v7 offset:736
	ds_load_b128 v[242:245], v7 offset:752
	ds_load_b128 v[250:253], v7 offset:768
	s_set_vgpr_msb 64                       ;  msbs: dst=1 src0=0 src1=0 src2=0
	ds_load_b128 v[2:5] /*v[258:261]*/, v7 offset:784
	ds_load_b128 v[10:13] /*v[266:269]*/, v7 offset:800
	;; [unrolled: 1-line block ×7, first 2 shown]
	s_clause 0x3
	scratch_load_b128 v[58:61] /*v[314:317]*/, off, off offset:416
	scratch_load_b128 v[62:65] /*v[318:321]*/, off, off offset:432
	;; [unrolled: 1-line block ×4, first 2 shown]
	s_mov_b32 s0, exec_lo
	s_wait_loadcnt_dscnt 0x1b17
	s_set_vgpr_msb 0                        ;  msbs: dst=0 src0=0 src1=0 src2=0
	v_dual_mul_f32 v9, v122, v139 :: v_dual_mul_f32 v11, v124, v141
	s_delay_alu instid0(VALU_DEP_1) | instskip(NEXT) | instid1(VALU_DEP_1)
	v_dual_fmac_f32 v9, v123, v138 :: v_dual_fmac_f32 v11, v125, v140
	v_add_f32_e32 v9, 0, v9
	s_delay_alu instid0(VALU_DEP_1) | instskip(SKIP_2) | instid1(VALU_DEP_1)
	v_add_f32_e32 v9, v9, v11
	s_wait_loadcnt_dscnt 0x1a16
	v_mul_f32_e32 v11, v126, v143
	v_fmac_f32_e32 v11, v127, v142
	s_delay_alu instid0(VALU_DEP_1)
	v_dual_add_f32 v9, v9, v11 :: v_dual_mul_f32 v11, v128, v145
	s_wait_loadcnt_dscnt 0x402
	s_set_vgpr_msb 0x45                     ;  msbs: dst=1 src0=1 src1=1 src2=0
	v_dual_mul_f32 v77 /*v333*/, v50 /*v306*/, v55 /*v311*/ :: v_dual_mul_f32 v79 /*v335*/, v52 /*v308*/, v57 /*v313*/
	s_set_vgpr_msb 0                        ;  msbs: dst=0 src0=0 src1=0 src2=0
	v_fmac_f32_e32 v11, v129, v144
	s_set_vgpr_msb 0x45                     ;  msbs: dst=1 src0=1 src1=1 src2=0
	s_delay_alu instid0(VALU_DEP_2) | instskip(SKIP_1) | instid1(VALU_DEP_2)
	v_dual_fmac_f32 v77 /*v333*/, v51 /*v307*/, v54 /*v310*/ :: v_dual_fmac_f32 v79 /*v335*/, v53 /*v309*/, v56 /*v312*/
	s_set_vgpr_msb 0                        ;  msbs: dst=0 src0=0 src1=0 src2=0
	v_add_f32_e32 v9, v9, v11
	v_mul_f32_e32 v11, v130, v147
	s_delay_alu instid0(VALU_DEP_1) | instskip(NEXT) | instid1(VALU_DEP_1)
	v_fmac_f32_e32 v11, v131, v146
	v_dual_add_f32 v9, v9, v11 :: v_dual_mul_f32 v11, v132, v149
	s_delay_alu instid0(VALU_DEP_1) | instskip(NEXT) | instid1(VALU_DEP_1)
	v_fmac_f32_e32 v11, v133, v148
	v_add_f32_e32 v9, v9, v11
	v_mul_f32_e32 v11, v134, v151
	s_delay_alu instid0(VALU_DEP_1) | instskip(NEXT) | instid1(VALU_DEP_1)
	v_fmac_f32_e32 v11, v135, v150
	v_dual_add_f32 v9, v9, v11 :: v_dual_mul_f32 v11, v136, v153
	s_delay_alu instid0(VALU_DEP_1) | instskip(NEXT) | instid1(VALU_DEP_1)
	v_fmac_f32_e32 v11, v137, v152
	;; [unrolled: 7-line block ×14, first 2 shown]
	v_add_f32_e32 v9, v9, v11
	v_mul_f32_e32 v11, v250, v255
	s_delay_alu instid0(VALU_DEP_1) | instskip(NEXT) | instid1(VALU_DEP_1)
	v_fmac_f32_e32 v11, v251, v254
	v_add_f32_e32 v9, v9, v11
	s_set_vgpr_msb 4                        ;  msbs: dst=0 src0=0 src1=1 src2=0
	v_mul_f32_e32 v11, v252, v1 /*v257*/
	s_delay_alu instid0(VALU_DEP_1) | instskip(SKIP_1) | instid1(VALU_DEP_1)
	v_fmac_f32_e32 v11, v253, v0 /*v256*/
	s_set_vgpr_msb 0                        ;  msbs: dst=0 src0=0 src1=0 src2=0
	v_add_f32_e32 v9, v9, v11
	s_set_vgpr_msb 5                        ;  msbs: dst=0 src0=1 src1=1 src2=0
	v_mul_f32_e32 v11, v2 /*v258*/, v7 /*v263*/
	s_delay_alu instid0(VALU_DEP_1) | instskip(SKIP_1) | instid1(VALU_DEP_1)
	v_fmac_f32_e32 v11, v3 /*v259*/, v6 /*v262*/
	s_set_vgpr_msb 0                        ;  msbs: dst=0 src0=0 src1=0 src2=0
	v_add_f32_e32 v9, v9, v11
	s_set_vgpr_msb 5                        ;  msbs: dst=0 src0=1 src1=1 src2=0
	v_mul_f32_e32 v11, v4 /*v260*/, v9 /*v265*/
	s_delay_alu instid0(VALU_DEP_1) | instskip(SKIP_1) | instid1(VALU_DEP_1)
	v_fmac_f32_e32 v11, v5 /*v261*/, v8 /*v264*/
	;; [unrolled: 6-line block ×6, first 2 shown]
	s_set_vgpr_msb 0                        ;  msbs: dst=0 src0=0 src1=0 src2=0
	v_add_f32_e32 v9, v9, v11
	s_wait_dscnt 0x1
	s_set_vgpr_msb 5                        ;  msbs: dst=0 src0=1 src1=1 src2=0
	v_mul_f32_e32 v11, v26 /*v282*/, v31 /*v287*/
	s_delay_alu instid0(VALU_DEP_1) | instskip(SKIP_1) | instid1(VALU_DEP_1)
	v_fmac_f32_e32 v11, v27 /*v283*/, v30 /*v286*/
	s_set_vgpr_msb 0                        ;  msbs: dst=0 src0=0 src1=0 src2=0
	v_add_f32_e32 v9, v9, v11
	s_set_vgpr_msb 5                        ;  msbs: dst=0 src0=1 src1=1 src2=0
	v_mul_f32_e32 v11, v28 /*v284*/, v33 /*v289*/
	s_delay_alu instid0(VALU_DEP_1) | instskip(SKIP_1) | instid1(VALU_DEP_1)
	v_fmac_f32_e32 v11, v29 /*v285*/, v32 /*v288*/
	s_set_vgpr_msb 0                        ;  msbs: dst=0 src0=0 src1=0 src2=0
	v_add_f32_e32 v9, v9, v11
	s_wait_dscnt 0x0
	s_set_vgpr_msb 5                        ;  msbs: dst=0 src0=1 src1=1 src2=0
	v_mul_f32_e32 v11, v34 /*v290*/, v39 /*v295*/
	s_delay_alu instid0(VALU_DEP_1) | instskip(SKIP_1) | instid1(VALU_DEP_1)
	v_fmac_f32_e32 v11, v35 /*v291*/, v38 /*v294*/
	s_set_vgpr_msb 0                        ;  msbs: dst=0 src0=0 src1=0 src2=0
	v_add_f32_e32 v9, v9, v11
	s_set_vgpr_msb 5                        ;  msbs: dst=0 src0=1 src1=1 src2=0
	v_mul_f32_e32 v11, v36 /*v292*/, v41 /*v297*/
	s_delay_alu instid0(VALU_DEP_1) | instskip(SKIP_1) | instid1(VALU_DEP_1)
	v_fmac_f32_e32 v11, v37 /*v293*/, v40 /*v296*/
	s_set_vgpr_msb 0                        ;  msbs: dst=0 src0=0 src1=0 src2=0
	v_add_f32_e32 v9, v9, v11
	;; [unrolled: 6-line block ×3, first 2 shown]
	s_set_vgpr_msb 5                        ;  msbs: dst=0 src0=1 src1=1 src2=0
	v_mul_f32_e32 v11, v44 /*v300*/, v49 /*v305*/
	s_delay_alu instid0(VALU_DEP_1) | instskip(SKIP_1) | instid1(VALU_DEP_1)
	v_fmac_f32_e32 v11, v45 /*v301*/, v48 /*v304*/
	s_set_vgpr_msb 64                       ;  msbs: dst=1 src0=0 src1=0 src2=0
	v_add_f32_e32 v75 /*v331*/, v9, v11
	s_set_vgpr_msb 0                        ;  msbs: dst=0 src0=0 src1=0 src2=0
	v_dual_mul_f32 v9, v123, v139 :: v_dual_mul_f32 v11, v125, v141
	s_delay_alu instid0(VALU_DEP_1) | instskip(NEXT) | instid1(VALU_DEP_1)
	v_dual_fma_f32 v9, v122, v138, -v9 :: v_dual_fma_f32 v11, v124, v140, -v11
	v_add_f32_e32 v9, 0, v9
	s_delay_alu instid0(VALU_DEP_1) | instskip(SKIP_1) | instid1(VALU_DEP_1)
	v_add_f32_e32 v9, v9, v11
	v_mul_f32_e32 v11, v127, v143
	v_fma_f32 v11, v126, v142, -v11
	s_delay_alu instid0(VALU_DEP_1) | instskip(SKIP_1) | instid1(VALU_DEP_1)
	v_add_f32_e32 v9, v9, v11
	v_mul_f32_e32 v11, v129, v145
	v_fma_f32 v11, v128, v144, -v11
	s_delay_alu instid0(VALU_DEP_1) | instskip(SKIP_1) | instid1(VALU_DEP_1)
	v_add_f32_e32 v9, v9, v11
	v_mul_f32_e32 v11, v131, v147
	v_fma_f32 v11, v130, v146, -v11
	s_delay_alu instid0(VALU_DEP_1) | instskip(SKIP_1) | instid1(VALU_DEP_1)
	v_add_f32_e32 v9, v9, v11
	v_mul_f32_e32 v11, v133, v149
	v_fma_f32 v11, v132, v148, -v11
	s_delay_alu instid0(VALU_DEP_1) | instskip(SKIP_1) | instid1(VALU_DEP_1)
	v_add_f32_e32 v9, v9, v11
	v_mul_f32_e32 v11, v135, v151
	v_fma_f32 v11, v134, v150, -v11
	s_delay_alu instid0(VALU_DEP_1) | instskip(SKIP_1) | instid1(VALU_DEP_1)
	v_add_f32_e32 v9, v9, v11
	v_mul_f32_e32 v11, v137, v153
	v_fma_f32 v11, v136, v152, -v11
	ds_load_b128 v[122:125], v7 offset:896
	ds_load_b128 v[126:129], v7 offset:912
	;; [unrolled: 1-line block ×4, first 2 shown]
	v_add_f32_e32 v9, v9, v11
	v_mul_f32_e32 v11, v155, v159
	s_delay_alu instid0(VALU_DEP_1) | instskip(NEXT) | instid1(VALU_DEP_1)
	v_fma_f32 v11, v154, v158, -v11
	v_add_f32_e32 v9, v9, v11
	v_mul_f32_e32 v11, v157, v161
	s_wait_loadcnt_dscnt 0x303
	s_set_vgpr_msb 4                        ;  msbs: dst=0 src0=0 src1=1 src2=0
	v_pk_mul_f32 v[140:141], v[122:123], v[58:59] /*v[314:315]*/ op_sel:[1,1] op_sel_hi:[0,1]
	s_set_vgpr_msb 0                        ;  msbs: dst=0 src0=0 src1=0 src2=0
	v_fma_f32 v11, v156, v160, -v11
	s_set_vgpr_msb 4                        ;  msbs: dst=0 src0=0 src1=1 src2=0
	s_delay_alu instid0(VALU_DEP_2)
	v_pk_fma_f32 v[142:143], v[122:123], v[58:59] /*v[314:315]*/, v[140:141] neg_lo:[0,0,1] neg_hi:[0,0,1]
	v_pk_fma_f32 v[122:123], v[122:123], v[58:59] /*v[314:315]*/, v[140:141] op_sel_hi:[1,0,1]
	s_set_vgpr_msb 1                        ;  msbs: dst=0 src0=1 src1=0 src2=0
	v_mov_b32_e32 v140, v61 /*v317*/
	s_set_vgpr_msb 0                        ;  msbs: dst=0 src0=0 src1=0 src2=0
	v_add_f32_e32 v9, v9, v11
	v_mul_f32_e32 v11, v163, v167
	s_delay_alu instid0(VALU_DEP_1) | instskip(NEXT) | instid1(VALU_DEP_1)
	v_dual_mov_b32 v143, v123 :: v_dual_fma_f32 v11, v162, v166, -v11
	v_add_f32_e32 v9, v9, v11
	v_mul_f32_e32 v11, v165, v169
	s_delay_alu instid0(VALU_DEP_1) | instskip(NEXT) | instid1(VALU_DEP_1)
	v_fma_f32 v11, v164, v168, -v11
	v_add_f32_e32 v9, v9, v11
	v_mul_f32_e32 v11, v171, v175
	s_delay_alu instid0(VALU_DEP_1) | instskip(NEXT) | instid1(VALU_DEP_1)
	v_fma_f32 v11, v170, v174, -v11
	;; [unrolled: 4-line block ×22, first 2 shown]
	v_add_f32_e32 v9, v9, v11
	s_set_vgpr_msb 4                        ;  msbs: dst=0 src0=0 src1=1 src2=0
	v_mul_f32_e32 v11, v253, v1 /*v257*/
	s_delay_alu instid0(VALU_DEP_1) | instskip(SKIP_1) | instid1(VALU_DEP_1)
	v_fma_f32 v11, v252, v0 /*v256*/, -v11
	s_set_vgpr_msb 0                        ;  msbs: dst=0 src0=0 src1=0 src2=0
	v_add_f32_e32 v9, v9, v11
	s_set_vgpr_msb 5                        ;  msbs: dst=0 src0=1 src1=1 src2=0
	v_mul_f32_e32 v11, v3 /*v259*/, v7 /*v263*/
	s_delay_alu instid0(VALU_DEP_1) | instskip(SKIP_1) | instid1(VALU_DEP_1)
	v_fma_f32 v11, v2 /*v258*/, v6 /*v262*/, -v11
	s_set_vgpr_msb 0                        ;  msbs: dst=0 src0=0 src1=0 src2=0
	v_add_f32_e32 v9, v9, v11
	s_set_vgpr_msb 5                        ;  msbs: dst=0 src0=1 src1=1 src2=0
	v_mul_f32_e32 v11, v5 /*v261*/, v9 /*v265*/
	s_delay_alu instid0(VALU_DEP_1) | instskip(SKIP_1) | instid1(VALU_DEP_1)
	v_fma_f32 v11, v4 /*v260*/, v8 /*v264*/, -v11
	;; [unrolled: 6-line block ×12, first 2 shown]
	s_set_vgpr_msb 64                       ;  msbs: dst=1 src0=0 src1=0 src2=0
	v_add_f32_e32 v74 /*v330*/, v9, v11
	s_set_vgpr_msb 5                        ;  msbs: dst=0 src0=1 src1=1 src2=0
	v_mul_f32_e32 v9, v51 /*v307*/, v55 /*v311*/
	s_set_vgpr_msb 0x45                     ;  msbs: dst=1 src0=1 src1=1 src2=0
	s_delay_alu instid0(VALU_DEP_1) | instskip(SKIP_3) | instid1(VALU_DEP_1)
	v_fma_f32 v76 /*v332*/, v50 /*v306*/, v54 /*v310*/, -v9
	s_set_vgpr_msb 5                        ;  msbs: dst=0 src0=1 src1=1 src2=0
	v_mul_f32_e32 v9, v53 /*v309*/, v57 /*v313*/
	s_set_vgpr_msb 0x45                     ;  msbs: dst=1 src0=1 src1=1 src2=0
	v_fma_f32 v78 /*v334*/, v52 /*v308*/, v56 /*v312*/, -v9
	s_set_vgpr_msb 5                        ;  msbs: dst=0 src0=1 src1=1 src2=0
	v_pk_add_f32 v[138:139], v[74:75] /*v[330:331]*/, v[76:77] /*v[332:333]*/
	s_set_vgpr_msb 4                        ;  msbs: dst=0 src0=0 src1=1 src2=0
	s_delay_alu instid0(VALU_DEP_1) | instskip(SKIP_1) | instid1(VALU_DEP_1)
	v_pk_add_f32 v[138:139], v[138:139], v[78:79] /*v[334:335]*/
	s_set_vgpr_msb 0                        ;  msbs: dst=0 src0=0 src1=0 src2=0
	v_pk_add_f32 v[122:123], v[138:139], v[142:143]
	v_dual_mov_b32 v138, v125 :: v_dual_mov_b32 v139, v124
	s_delay_alu instid0(VALU_DEP_1) | instskip(SKIP_1) | instid1(VALU_DEP_1)
	v_pk_mul_f32 v[138:139], v[138:139], v[140:141] op_sel_hi:[1,0]
	s_set_vgpr_msb 4                        ;  msbs: dst=0 src0=0 src1=1 src2=0
	v_pk_fma_f32 v[140:141], v[124:125], v[60:61] /*v[316:317]*/, v[138:139] neg_lo:[0,0,1] neg_hi:[0,0,1]
	v_pk_fma_f32 v[124:125], v[124:125], v[60:61] /*v[316:317]*/, v[138:139] op_sel_hi:[1,0,1]
	s_delay_alu instid0(VALU_DEP_1) | instskip(SKIP_3) | instid1(VALU_DEP_2)
	v_mov_b32_e32 v141, v125
	s_wait_loadcnt_dscnt 0x202
	v_pk_mul_f32 v[124:125], v[126:127], v[62:63] /*v[318:319]*/ op_sel:[1,1] op_sel_hi:[0,1]
	s_set_vgpr_msb 0                        ;  msbs: dst=0 src0=0 src1=0 src2=0
	v_pk_add_f32 v[122:123], v[122:123], v[140:141]
	s_set_vgpr_msb 4                        ;  msbs: dst=0 src0=0 src1=1 src2=0
	s_delay_alu instid0(VALU_DEP_2)
	v_pk_fma_f32 v[138:139], v[126:127], v[62:63] /*v[318:319]*/, v[124:125] neg_lo:[0,0,1] neg_hi:[0,0,1]
	v_pk_fma_f32 v[124:125], v[126:127], v[62:63] /*v[318:319]*/, v[124:125] op_sel_hi:[1,0,1]
	v_mov_b32_e32 v124, v129
	s_set_vgpr_msb 1                        ;  msbs: dst=0 src0=1 src1=0 src2=0
	v_mov_b32_e32 v126, v65 /*v321*/
	s_set_vgpr_msb 0                        ;  msbs: dst=0 src0=0 src1=0 src2=0
	v_dual_mov_b32 v139, v125 :: v_dual_mov_b32 v125, v128
	s_delay_alu instid0(VALU_DEP_1) | instskip(NEXT) | instid1(VALU_DEP_2)
	v_pk_add_f32 v[122:123], v[122:123], v[138:139]
	v_pk_mul_f32 v[124:125], v[124:125], v[126:127] op_sel_hi:[1,0]
	s_set_vgpr_msb 4                        ;  msbs: dst=0 src0=0 src1=1 src2=0
	s_delay_alu instid0(VALU_DEP_1) | instskip(SKIP_1) | instid1(VALU_DEP_1)
	v_pk_fma_f32 v[126:127], v[128:129], v[64:65] /*v[320:321]*/, v[124:125] neg_lo:[0,0,1] neg_hi:[0,0,1]
	v_pk_fma_f32 v[124:125], v[128:129], v[64:65] /*v[320:321]*/, v[124:125] op_sel_hi:[1,0,1]
	v_mov_b32_e32 v127, v125
	s_wait_loadcnt_dscnt 0x101
	v_pk_mul_f32 v[124:125], v[130:131], v[66:67] /*v[322:323]*/ op_sel:[1,1] op_sel_hi:[0,1]
	s_set_vgpr_msb 0                        ;  msbs: dst=0 src0=0 src1=0 src2=0
	s_delay_alu instid0(VALU_DEP_2) | instskip(SKIP_1) | instid1(VALU_DEP_2)
	v_pk_add_f32 v[122:123], v[122:123], v[126:127]
	s_set_vgpr_msb 4                        ;  msbs: dst=0 src0=0 src1=1 src2=0
	v_pk_fma_f32 v[126:127], v[130:131], v[66:67] /*v[322:323]*/, v[124:125] neg_lo:[0,0,1] neg_hi:[0,0,1]
	v_pk_fma_f32 v[124:125], v[130:131], v[66:67] /*v[322:323]*/, v[124:125] op_sel_hi:[1,0,1]
	s_delay_alu instid0(VALU_DEP_1) | instskip(SKIP_2) | instid1(VALU_DEP_2)
	v_dual_mov_b32 v124, v133 :: v_dual_mov_b32 v127, v125
	v_mov_b32_e32 v125, v132
	s_set_vgpr_msb 0                        ;  msbs: dst=0 src0=0 src1=0 src2=0
	v_pk_add_f32 v[122:123], v[122:123], v[126:127]
	s_set_vgpr_msb 1                        ;  msbs: dst=0 src0=1 src1=0 src2=0
	v_mov_b32_e32 v126, v69 /*v325*/
	s_set_vgpr_msb 0                        ;  msbs: dst=0 src0=0 src1=0 src2=0
	s_delay_alu instid0(VALU_DEP_1) | instskip(SKIP_1) | instid1(VALU_DEP_1)
	v_pk_mul_f32 v[124:125], v[124:125], v[126:127] op_sel_hi:[1,0]
	s_set_vgpr_msb 4                        ;  msbs: dst=0 src0=0 src1=1 src2=0
	v_pk_fma_f32 v[126:127], v[132:133], v[68:69] /*v[324:325]*/, v[124:125] neg_lo:[0,0,1] neg_hi:[0,0,1]
	v_pk_fma_f32 v[124:125], v[132:133], v[68:69] /*v[324:325]*/, v[124:125] op_sel_hi:[1,0,1]
	s_delay_alu instid0(VALU_DEP_1) | instskip(SKIP_3) | instid1(VALU_DEP_2)
	v_mov_b32_e32 v127, v125
	s_wait_loadcnt_dscnt 0x0
	v_pk_mul_f32 v[124:125], v[134:135], v[70:71] /*v[326:327]*/ op_sel:[1,1] op_sel_hi:[0,1]
	s_set_vgpr_msb 0                        ;  msbs: dst=0 src0=0 src1=0 src2=0
	v_pk_add_f32 v[122:123], v[122:123], v[126:127]
	s_set_vgpr_msb 4                        ;  msbs: dst=0 src0=0 src1=1 src2=0
	s_delay_alu instid0(VALU_DEP_2) | instskip(SKIP_1) | instid1(VALU_DEP_1)
	v_pk_fma_f32 v[126:127], v[134:135], v[70:71] /*v[326:327]*/, v[124:125] neg_lo:[0,0,1] neg_hi:[0,0,1]
	v_pk_fma_f32 v[124:125], v[134:135], v[70:71] /*v[326:327]*/, v[124:125] op_sel_hi:[1,0,1]
	v_dual_mov_b32 v124, v137 :: v_dual_mov_b32 v127, v125
	v_mov_b32_e32 v125, v136
	s_set_vgpr_msb 0                        ;  msbs: dst=0 src0=0 src1=0 src2=0
	s_delay_alu instid0(VALU_DEP_2) | instskip(SKIP_3) | instid1(VALU_DEP_1)
	v_pk_add_f32 v[122:123], v[122:123], v[126:127]
	s_set_vgpr_msb 1                        ;  msbs: dst=0 src0=1 src1=0 src2=0
	v_mov_b32_e32 v126, v73 /*v329*/
	s_set_vgpr_msb 0                        ;  msbs: dst=0 src0=0 src1=0 src2=0
	v_pk_mul_f32 v[124:125], v[124:125], v[126:127] op_sel_hi:[1,0]
	s_set_vgpr_msb 4                        ;  msbs: dst=0 src0=0 src1=1 src2=0
	s_delay_alu instid0(VALU_DEP_1) | instskip(SKIP_1) | instid1(VALU_DEP_1)
	v_pk_fma_f32 v[126:127], v[136:137], v[72:73] /*v[328:329]*/, v[124:125] neg_lo:[0,0,1] neg_hi:[0,0,1]
	v_pk_fma_f32 v[124:125], v[136:137], v[72:73] /*v[328:329]*/, v[124:125] op_sel_hi:[1,0,1]
	v_mov_b32_e32 v127, v125
	scratch_load_b64 v[124:125], off, off offset:24
	s_set_vgpr_msb 0                        ;  msbs: dst=0 src0=0 src1=0 src2=0
	v_pk_add_f32 v[122:123], v[122:123], v[126:127]
	s_wait_loadcnt 0x0
	s_delay_alu instid0(VALU_DEP_1)
	v_pk_add_f32 v[122:123], v[124:125], v[122:123] neg_lo:[0,1] neg_hi:[0,1]
	scratch_store_b64 off, v[122:123], off offset:24
	s_wait_xcnt 0x0
	v_cmpx_lt_u32_e32 2, v0
	s_cbranch_execz .LBB123_369
; %bb.368:
	scratch_load_b64 v[122:123], off, off offset:16
	v_mov_b64_e32 v[124:125], 0
	scratch_store_b64 off, v[124:125], off offset:16
	s_wait_loadcnt 0x0
	ds_store_b64 v1, v[122:123]
.LBB123_369:
	s_wait_xcnt 0x0
	s_or_b32 exec_lo, exec_lo, s0
	s_wait_storecnt_dscnt 0x0
	s_barrier_signal -1
	s_barrier_wait -1
	s_clause 0xf
	scratch_load_b128 v[126:129], off, off offset:24
	scratch_load_b128 v[134:137], off, off offset:40
	;; [unrolled: 1-line block ×16, first 2 shown]
	v_mov_b32_e32 v101, 0
	s_clause 0x4
	scratch_load_b128 v[254:257], off, off offset:280
	s_set_vgpr_msb 64                       ;  msbs: dst=1 src0=0 src1=0 src2=0
	scratch_load_b128 v[6:9] /*v[262:265]*/, off, off offset:296
	scratch_load_b128 v[14:17] /*v[270:273]*/, off, off offset:312
	;; [unrolled: 1-line block ×3, first 2 shown]
	s_set_vgpr_msb 0                        ;  msbs: dst=0 src0=0 src1=0 src2=0
	ds_load_2addr_b64 v[122:125], v101 offset0:63 offset1:64
	ds_load_2addr_b64 v[130:133], v101 offset0:65 offset1:66
	s_set_vgpr_msb 64                       ;  msbs: dst=1 src0=0 src1=0 src2=0
	s_clause 0x4
	scratch_load_b128 v[30:33] /*v[286:289]*/, off, off offset:344
	scratch_load_b128 v[38:41] /*v[294:297]*/, off, off offset:360
	;; [unrolled: 1-line block ×5, first 2 shown]
	s_mov_b32 s0, exec_lo
	s_wait_loadcnt_dscnt 0x1801
	s_set_vgpr_msb 0                        ;  msbs: dst=0 src0=0 src1=0 src2=0
	v_dual_mul_f32 v7, v122, v127 :: v_dual_mul_f32 v9, v124, v129
	ds_load_2addr_b64 v[138:141], v101 offset0:67 offset1:68
	ds_load_2addr_b64 v[146:149], v101 offset0:69 offset1:70
	;; [unrolled: 1-line block ×4, first 2 shown]
	v_dual_fmac_f32 v7, v123, v126 :: v_dual_fmac_f32 v9, v125, v128
	ds_load_2addr_b64 v[170:173], v101 offset0:75 offset1:76
	ds_load_2addr_b64 v[178:181], v101 offset0:77 offset1:78
	;; [unrolled: 1-line block ×4, first 2 shown]
	v_add_f32_e32 v7, 0, v7
	ds_load_2addr_b64 v[202:205], v101 offset0:83 offset1:84
	ds_load_2addr_b64 v[210:213], v101 offset0:85 offset1:86
	;; [unrolled: 1-line block ×4, first 2 shown]
	s_wait_loadcnt_dscnt 0x170c
	v_dual_add_f32 v7, v7, v9 :: v_dual_mul_f32 v9, v130, v135
	ds_load_2addr_b64 v[234:237], v101 offset0:91 offset1:92
	ds_load_2addr_b64 v[242:245], v101 offset0:93 offset1:94
	;; [unrolled: 1-line block ×3, first 2 shown]
	s_set_vgpr_msb 64                       ;  msbs: dst=1 src0=0 src1=0 src2=0
	ds_load_2addr_b64 v[2:5] /*v[258:261]*/, v101 offset0:97 offset1:98
	s_set_vgpr_msb 0                        ;  msbs: dst=0 src0=0 src1=0 src2=0
	v_fmac_f32_e32 v9, v131, v134
	s_set_vgpr_msb 64                       ;  msbs: dst=1 src0=0 src1=0 src2=0
	ds_load_2addr_b64 v[10:13] /*v[266:269]*/, v101 offset0:99 offset1:100
	ds_load_2addr_b64 v[18:21] /*v[274:277]*/, v101 offset0:101 offset1:102
	;; [unrolled: 1-line block ×4, first 2 shown]
	s_set_vgpr_msb 0                        ;  msbs: dst=0 src0=0 src1=0 src2=0
	v_add_f32_e32 v7, v7, v9
	v_mul_f32_e32 v9, v132, v137
	s_set_vgpr_msb 64                       ;  msbs: dst=1 src0=0 src1=0 src2=0
	ds_load_2addr_b64 v[58:61] /*v[314:317]*/, v101 offset0:111 offset1:112
	ds_load_2addr_b64 v[26:29] /*v[282:285]*/, v101 offset0:103 offset1:104
	ds_load_2addr_b64 v[34:37] /*v[290:293]*/, v101 offset0:105 offset1:106
	s_clause 0x3
	scratch_load_b128 v[66:69] /*v[322:325]*/, off, off offset:424
	scratch_load_b128 v[70:73] /*v[326:329]*/, off, off offset:440
	;; [unrolled: 1-line block ×3, first 2 shown]
	scratch_load_b64 v[84:85] /*v[340:341]*/, off, off offset:472
	s_set_vgpr_msb 0                        ;  msbs: dst=0 src0=0 src1=0 src2=0
	v_fmac_f32_e32 v9, v133, v136
	s_wait_loadcnt_dscnt 0x1a16
	s_delay_alu instid0(VALU_DEP_1) | instskip(NEXT) | instid1(VALU_DEP_1)
	v_dual_add_f32 v7, v7, v9 :: v_dual_mul_f32 v9, v138, v143
	v_fmac_f32_e32 v9, v139, v142
	s_wait_loadcnt_dscnt 0x402
	s_set_vgpr_msb 0x45                     ;  msbs: dst=1 src0=1 src1=1 src2=0
	v_dual_mul_f32 v81 /*v337*/, v52 /*v308*/, v57 /*v313*/ :: v_dual_mul_f32 v83 /*v339*/, v58 /*v314*/, v63 /*v319*/
	s_set_vgpr_msb 0                        ;  msbs: dst=0 src0=0 src1=0 src2=0
	v_add_f32_e32 v7, v7, v9
	v_mul_f32_e32 v9, v140, v145
	s_set_vgpr_msb 0x45                     ;  msbs: dst=1 src0=1 src1=1 src2=0
	v_dual_fmac_f32 v81 /*v337*/, v53 /*v309*/, v56 /*v312*/ :: v_dual_fmac_f32 v83 /*v339*/, v59 /*v315*/, v62 /*v318*/
	s_set_vgpr_msb 0                        ;  msbs: dst=0 src0=0 src1=0 src2=0
	s_delay_alu instid0(VALU_DEP_2) | instskip(NEXT) | instid1(VALU_DEP_1)
	v_fmac_f32_e32 v9, v141, v144
	v_dual_add_f32 v7, v7, v9 :: v_dual_mul_f32 v9, v146, v151
	s_delay_alu instid0(VALU_DEP_1) | instskip(NEXT) | instid1(VALU_DEP_1)
	v_fmac_f32_e32 v9, v147, v150
	v_add_f32_e32 v7, v7, v9
	v_mul_f32_e32 v9, v148, v153
	s_delay_alu instid0(VALU_DEP_1) | instskip(NEXT) | instid1(VALU_DEP_1)
	v_fmac_f32_e32 v9, v149, v152
	v_dual_add_f32 v7, v7, v9 :: v_dual_mul_f32 v9, v154, v159
	s_delay_alu instid0(VALU_DEP_1) | instskip(NEXT) | instid1(VALU_DEP_1)
	v_fmac_f32_e32 v9, v155, v158
	v_add_f32_e32 v7, v7, v9
	v_mul_f32_e32 v9, v156, v161
	s_delay_alu instid0(VALU_DEP_1) | instskip(NEXT) | instid1(VALU_DEP_1)
	;; [unrolled: 7-line block ×13, first 2 shown]
	v_fmac_f32_e32 v9, v245, v248
	v_dual_add_f32 v7, v7, v9 :: v_dual_mul_f32 v9, v250, v255
	s_delay_alu instid0(VALU_DEP_1) | instskip(NEXT) | instid1(VALU_DEP_1)
	v_fmac_f32_e32 v9, v251, v254
	v_add_f32_e32 v7, v7, v9
	s_set_vgpr_msb 4                        ;  msbs: dst=0 src0=0 src1=1 src2=0
	v_mul_f32_e32 v9, v252, v1 /*v257*/
	s_delay_alu instid0(VALU_DEP_1) | instskip(SKIP_1) | instid1(VALU_DEP_1)
	v_fmac_f32_e32 v9, v253, v0 /*v256*/
	s_set_vgpr_msb 0                        ;  msbs: dst=0 src0=0 src1=0 src2=0
	v_add_f32_e32 v7, v7, v9
	s_set_vgpr_msb 5                        ;  msbs: dst=0 src0=1 src1=1 src2=0
	v_mul_f32_e32 v9, v2 /*v258*/, v7 /*v263*/
	s_delay_alu instid0(VALU_DEP_1) | instskip(SKIP_1) | instid1(VALU_DEP_1)
	v_fmac_f32_e32 v9, v3 /*v259*/, v6 /*v262*/
	s_set_vgpr_msb 0                        ;  msbs: dst=0 src0=0 src1=0 src2=0
	v_add_f32_e32 v7, v7, v9
	s_set_vgpr_msb 5                        ;  msbs: dst=0 src0=1 src1=1 src2=0
	v_mul_f32_e32 v9, v4 /*v260*/, v9 /*v265*/
	s_delay_alu instid0(VALU_DEP_1) | instskip(SKIP_1) | instid1(VALU_DEP_1)
	v_fmac_f32_e32 v9, v5 /*v261*/, v8 /*v264*/
	;; [unrolled: 6-line block ×6, first 2 shown]
	s_set_vgpr_msb 0                        ;  msbs: dst=0 src0=0 src1=0 src2=0
	v_add_f32_e32 v7, v7, v9
	s_wait_dscnt 0x1
	s_set_vgpr_msb 5                        ;  msbs: dst=0 src0=1 src1=1 src2=0
	v_mul_f32_e32 v9, v26 /*v282*/, v31 /*v287*/
	s_delay_alu instid0(VALU_DEP_1) | instskip(SKIP_1) | instid1(VALU_DEP_1)
	v_fmac_f32_e32 v9, v27 /*v283*/, v30 /*v286*/
	s_set_vgpr_msb 0                        ;  msbs: dst=0 src0=0 src1=0 src2=0
	v_add_f32_e32 v7, v7, v9
	s_set_vgpr_msb 5                        ;  msbs: dst=0 src0=1 src1=1 src2=0
	v_mul_f32_e32 v9, v28 /*v284*/, v33 /*v289*/
	s_delay_alu instid0(VALU_DEP_1) | instskip(SKIP_1) | instid1(VALU_DEP_1)
	v_fmac_f32_e32 v9, v29 /*v285*/, v32 /*v288*/
	s_set_vgpr_msb 0                        ;  msbs: dst=0 src0=0 src1=0 src2=0
	v_add_f32_e32 v7, v7, v9
	s_wait_dscnt 0x0
	s_set_vgpr_msb 5                        ;  msbs: dst=0 src0=1 src1=1 src2=0
	v_mul_f32_e32 v9, v34 /*v290*/, v39 /*v295*/
	s_delay_alu instid0(VALU_DEP_1) | instskip(SKIP_1) | instid1(VALU_DEP_1)
	v_fmac_f32_e32 v9, v35 /*v291*/, v38 /*v294*/
	s_set_vgpr_msb 0                        ;  msbs: dst=0 src0=0 src1=0 src2=0
	v_add_f32_e32 v7, v7, v9
	s_set_vgpr_msb 5                        ;  msbs: dst=0 src0=1 src1=1 src2=0
	v_mul_f32_e32 v9, v36 /*v292*/, v41 /*v297*/
	s_delay_alu instid0(VALU_DEP_1) | instskip(SKIP_1) | instid1(VALU_DEP_1)
	v_fmac_f32_e32 v9, v37 /*v293*/, v40 /*v296*/
	s_set_vgpr_msb 0                        ;  msbs: dst=0 src0=0 src1=0 src2=0
	v_add_f32_e32 v7, v7, v9
	;; [unrolled: 6-line block ×4, first 2 shown]
	s_set_vgpr_msb 5                        ;  msbs: dst=0 src0=1 src1=1 src2=0
	v_mul_f32_e32 v9, v50 /*v306*/, v55 /*v311*/
	s_delay_alu instid0(VALU_DEP_1) | instskip(SKIP_1) | instid1(VALU_DEP_1)
	v_fmac_f32_e32 v9, v51 /*v307*/, v54 /*v310*/
	s_set_vgpr_msb 64                       ;  msbs: dst=1 src0=0 src1=0 src2=0
	v_add_f32_e32 v79 /*v335*/, v7, v9
	s_set_vgpr_msb 0                        ;  msbs: dst=0 src0=0 src1=0 src2=0
	v_dual_mul_f32 v7, v123, v127 :: v_dual_mul_f32 v9, v125, v129
	s_delay_alu instid0(VALU_DEP_1) | instskip(NEXT) | instid1(VALU_DEP_1)
	v_dual_fma_f32 v7, v122, v126, -v7 :: v_dual_fma_f32 v9, v124, v128, -v9
	v_add_f32_e32 v7, 0, v7
	s_delay_alu instid0(VALU_DEP_1) | instskip(SKIP_1) | instid1(VALU_DEP_1)
	v_add_f32_e32 v7, v7, v9
	v_mul_f32_e32 v9, v131, v135
	v_fma_f32 v9, v130, v134, -v9
	s_delay_alu instid0(VALU_DEP_1) | instskip(SKIP_1) | instid1(VALU_DEP_1)
	v_add_f32_e32 v7, v7, v9
	v_mul_f32_e32 v9, v133, v137
	v_fma_f32 v9, v132, v136, -v9
	ds_load_2addr_b64 v[122:125], v101 offset0:113 offset1:114
	ds_load_2addr_b64 v[126:129], v101 offset0:115 offset1:116
	ds_load_2addr_b64 v[130:133], v101 offset0:117 offset1:118
	ds_load_b64 v[134:135], v101 offset:952
	v_add_f32_e32 v7, v7, v9
	v_mul_f32_e32 v9, v139, v143
	s_set_vgpr_msb 1                        ;  msbs: dst=0 src0=1 src1=0 src2=0
	v_mov_b32_e32 v139, v60 /*v316*/
	s_set_vgpr_msb 0                        ;  msbs: dst=0 src0=0 src1=0 src2=0
	s_delay_alu instid0(VALU_DEP_2) | instskip(SKIP_3) | instid1(VALU_DEP_2)
	v_fma_f32 v9, v138, v142, -v9
	s_set_vgpr_msb 1                        ;  msbs: dst=0 src0=1 src1=0 src2=0
	v_mov_b32_e32 v138, v61 /*v317*/
	s_set_vgpr_msb 0                        ;  msbs: dst=0 src0=0 src1=0 src2=0
	v_add_f32_e32 v7, v7, v9
	v_mul_f32_e32 v9, v141, v145
	s_delay_alu instid0(VALU_DEP_1) | instskip(SKIP_3) | instid1(VALU_DEP_2)
	v_fma_f32 v9, v140, v144, -v9
	s_set_vgpr_msb 1                        ;  msbs: dst=0 src0=1 src1=0 src2=0
	v_mov_b32_e32 v140, v65 /*v321*/
	s_set_vgpr_msb 0                        ;  msbs: dst=0 src0=0 src1=0 src2=0
	v_add_f32_e32 v7, v7, v9
	v_mul_f32_e32 v9, v147, v151
	s_delay_alu instid0(VALU_DEP_3) | instskip(NEXT) | instid1(VALU_DEP_2)
	v_pk_mul_f32 v[138:139], v[138:139], v[140:141] op_sel_hi:[1,0]
	v_fma_f32 v9, v146, v150, -v9
	s_set_vgpr_msb 5                        ;  msbs: dst=0 src0=1 src1=1 src2=0
	s_delay_alu instid0(VALU_DEP_2) | instskip(SKIP_3) | instid1(VALU_DEP_2)
	v_pk_fma_f32 v[140:141], v[60:61] /*v[316:317]*/, v[64:65] /*v[320:321]*/, v[138:139] neg_lo:[0,0,1] neg_hi:[0,0,1]
	v_pk_fma_f32 v[138:139], v[60:61] /*v[316:317]*/, v[64:65] /*v[320:321]*/, v[138:139] op_sel_hi:[1,0,1]
	s_set_vgpr_msb 0                        ;  msbs: dst=0 src0=0 src1=0 src2=0
	v_add_f32_e32 v7, v7, v9
	v_dual_mul_f32 v9, v149, v153 :: v_dual_mov_b32 v141, v139
	s_wait_loadcnt_dscnt 0x303
	s_set_vgpr_msb 4                        ;  msbs: dst=0 src0=0 src1=1 src2=0
	v_pk_mul_f32 v[138:139], v[122:123], v[66:67] /*v[322:323]*/ op_sel:[1,1] op_sel_hi:[0,1]
	s_set_vgpr_msb 0                        ;  msbs: dst=0 src0=0 src1=0 src2=0
	v_fma_f32 v9, v148, v152, -v9
	s_delay_alu instid0(VALU_DEP_1) | instskip(SKIP_1) | instid1(VALU_DEP_1)
	v_add_f32_e32 v7, v7, v9
	v_mul_f32_e32 v9, v155, v159
	v_fma_f32 v9, v154, v158, -v9
	s_delay_alu instid0(VALU_DEP_1) | instskip(SKIP_1) | instid1(VALU_DEP_1)
	v_add_f32_e32 v7, v7, v9
	v_mul_f32_e32 v9, v157, v161
	;; [unrolled: 4-line block ×25, first 2 shown]
	v_fma_f32 v9, v250, v254, -v9
	s_delay_alu instid0(VALU_DEP_1) | instskip(SKIP_2) | instid1(VALU_DEP_1)
	v_add_f32_e32 v7, v7, v9
	s_set_vgpr_msb 4                        ;  msbs: dst=0 src0=0 src1=1 src2=0
	v_mul_f32_e32 v9, v253, v1 /*v257*/
	v_fma_f32 v9, v252, v0 /*v256*/, -v9
	s_set_vgpr_msb 0                        ;  msbs: dst=0 src0=0 src1=0 src2=0
	s_delay_alu instid0(VALU_DEP_1) | instskip(SKIP_2) | instid1(VALU_DEP_1)
	v_add_f32_e32 v7, v7, v9
	s_set_vgpr_msb 5                        ;  msbs: dst=0 src0=1 src1=1 src2=0
	v_mul_f32_e32 v9, v3 /*v259*/, v7 /*v263*/
	v_fma_f32 v9, v2 /*v258*/, v6 /*v262*/, -v9
	s_set_vgpr_msb 0                        ;  msbs: dst=0 src0=0 src1=0 src2=0
	s_delay_alu instid0(VALU_DEP_1) | instskip(SKIP_2) | instid1(VALU_DEP_1)
	v_add_f32_e32 v7, v7, v9
	s_set_vgpr_msb 5                        ;  msbs: dst=0 src0=1 src1=1 src2=0
	v_mul_f32_e32 v9, v5 /*v261*/, v9 /*v265*/
	v_fma_f32 v9, v4 /*v260*/, v8 /*v264*/, -v9
	;; [unrolled: 6-line block ×13, first 2 shown]
	s_set_vgpr_msb 64                       ;  msbs: dst=1 src0=0 src1=0 src2=0
	s_delay_alu instid0(VALU_DEP_1) | instskip(SKIP_3) | instid1(VALU_DEP_1)
	v_add_f32_e32 v78 /*v334*/, v7, v9
	s_set_vgpr_msb 5                        ;  msbs: dst=0 src0=1 src1=1 src2=0
	v_mul_f32_e32 v7, v53 /*v309*/, v57 /*v313*/
	s_set_vgpr_msb 0x45                     ;  msbs: dst=1 src0=1 src1=1 src2=0
	v_fma_f32 v80 /*v336*/, v52 /*v308*/, v56 /*v312*/, -v7
	s_set_vgpr_msb 5                        ;  msbs: dst=0 src0=1 src1=1 src2=0
	v_mul_f32_e32 v7, v59 /*v315*/, v63 /*v319*/
	s_set_vgpr_msb 0x45                     ;  msbs: dst=1 src0=1 src1=1 src2=0
	s_delay_alu instid0(VALU_DEP_1) | instskip(SKIP_3) | instid1(VALU_DEP_1)
	v_fma_f32 v82 /*v338*/, v58 /*v314*/, v62 /*v318*/, -v7
	s_set_vgpr_msb 5                        ;  msbs: dst=0 src0=1 src1=1 src2=0
	v_pk_add_f32 v[136:137], v[78:79] /*v[334:335]*/, v[80:81] /*v[336:337]*/
	s_set_vgpr_msb 4                        ;  msbs: dst=0 src0=0 src1=1 src2=0
	v_pk_add_f32 v[136:137], v[136:137], v[82:83] /*v[338:339]*/
	s_set_vgpr_msb 0                        ;  msbs: dst=0 src0=0 src1=0 src2=0
	s_delay_alu instid0(VALU_DEP_1)
	v_pk_add_f32 v[136:137], v[136:137], v[140:141]
	s_set_vgpr_msb 4                        ;  msbs: dst=0 src0=0 src1=1 src2=0
	v_pk_fma_f32 v[140:141], v[122:123], v[66:67] /*v[322:323]*/, v[138:139] neg_lo:[0,0,1] neg_hi:[0,0,1]
	v_pk_fma_f32 v[122:123], v[122:123], v[66:67] /*v[322:323]*/, v[138:139] op_sel_hi:[1,0,1]
	s_set_vgpr_msb 1                        ;  msbs: dst=0 src0=1 src1=0 src2=0
	v_mov_b32_e32 v138, v69 /*v325*/
	s_set_vgpr_msb 0                        ;  msbs: dst=0 src0=0 src1=0 src2=0
	s_delay_alu instid0(VALU_DEP_2) | instskip(NEXT) | instid1(VALU_DEP_1)
	v_mov_b32_e32 v141, v123
	v_pk_add_f32 v[122:123], v[136:137], v[140:141]
	v_dual_mov_b32 v136, v125 :: v_dual_mov_b32 v137, v124
	s_delay_alu instid0(VALU_DEP_1) | instskip(SKIP_1) | instid1(VALU_DEP_1)
	v_pk_mul_f32 v[136:137], v[136:137], v[138:139] op_sel_hi:[1,0]
	s_set_vgpr_msb 4                        ;  msbs: dst=0 src0=0 src1=1 src2=0
	v_pk_fma_f32 v[138:139], v[124:125], v[68:69] /*v[324:325]*/, v[136:137] neg_lo:[0,0,1] neg_hi:[0,0,1]
	v_pk_fma_f32 v[124:125], v[124:125], v[68:69] /*v[324:325]*/, v[136:137] op_sel_hi:[1,0,1]
	s_delay_alu instid0(VALU_DEP_1) | instskip(SKIP_3) | instid1(VALU_DEP_2)
	v_mov_b32_e32 v139, v125
	s_wait_loadcnt_dscnt 0x202
	v_pk_mul_f32 v[124:125], v[126:127], v[70:71] /*v[326:327]*/ op_sel:[1,1] op_sel_hi:[0,1]
	s_set_vgpr_msb 0                        ;  msbs: dst=0 src0=0 src1=0 src2=0
	v_pk_add_f32 v[122:123], v[122:123], v[138:139]
	s_set_vgpr_msb 4                        ;  msbs: dst=0 src0=0 src1=1 src2=0
	s_delay_alu instid0(VALU_DEP_2)
	v_pk_fma_f32 v[136:137], v[126:127], v[70:71] /*v[326:327]*/, v[124:125] neg_lo:[0,0,1] neg_hi:[0,0,1]
	v_pk_fma_f32 v[124:125], v[126:127], v[70:71] /*v[326:327]*/, v[124:125] op_sel_hi:[1,0,1]
	v_mov_b32_e32 v124, v129
	s_set_vgpr_msb 1                        ;  msbs: dst=0 src0=1 src1=0 src2=0
	v_mov_b32_e32 v126, v73 /*v329*/
	s_set_vgpr_msb 0                        ;  msbs: dst=0 src0=0 src1=0 src2=0
	v_dual_mov_b32 v137, v125 :: v_dual_mov_b32 v125, v128
	s_delay_alu instid0(VALU_DEP_1) | instskip(NEXT) | instid1(VALU_DEP_2)
	v_pk_add_f32 v[122:123], v[122:123], v[136:137]
	v_pk_mul_f32 v[124:125], v[124:125], v[126:127] op_sel_hi:[1,0]
	s_set_vgpr_msb 4                        ;  msbs: dst=0 src0=0 src1=1 src2=0
	s_delay_alu instid0(VALU_DEP_1) | instskip(SKIP_1) | instid1(VALU_DEP_1)
	v_pk_fma_f32 v[126:127], v[128:129], v[72:73] /*v[328:329]*/, v[124:125] neg_lo:[0,0,1] neg_hi:[0,0,1]
	v_pk_fma_f32 v[124:125], v[128:129], v[72:73] /*v[328:329]*/, v[124:125] op_sel_hi:[1,0,1]
	v_mov_b32_e32 v127, v125
	s_wait_loadcnt_dscnt 0x101
	v_pk_mul_f32 v[124:125], v[130:131], v[74:75] /*v[330:331]*/ op_sel:[1,1] op_sel_hi:[0,1]
	s_set_vgpr_msb 0                        ;  msbs: dst=0 src0=0 src1=0 src2=0
	s_delay_alu instid0(VALU_DEP_2) | instskip(SKIP_1) | instid1(VALU_DEP_2)
	v_pk_add_f32 v[122:123], v[122:123], v[126:127]
	s_set_vgpr_msb 4                        ;  msbs: dst=0 src0=0 src1=1 src2=0
	v_pk_fma_f32 v[126:127], v[130:131], v[74:75] /*v[330:331]*/, v[124:125] neg_lo:[0,0,1] neg_hi:[0,0,1]
	v_pk_fma_f32 v[124:125], v[130:131], v[74:75] /*v[330:331]*/, v[124:125] op_sel_hi:[1,0,1]
	s_delay_alu instid0(VALU_DEP_1) | instskip(SKIP_2) | instid1(VALU_DEP_2)
	v_dual_mov_b32 v124, v133 :: v_dual_mov_b32 v127, v125
	v_mov_b32_e32 v125, v132
	s_set_vgpr_msb 0                        ;  msbs: dst=0 src0=0 src1=0 src2=0
	v_pk_add_f32 v[122:123], v[122:123], v[126:127]
	s_set_vgpr_msb 1                        ;  msbs: dst=0 src0=1 src1=0 src2=0
	v_mov_b32_e32 v126, v77 /*v333*/
	s_set_vgpr_msb 0                        ;  msbs: dst=0 src0=0 src1=0 src2=0
	s_delay_alu instid0(VALU_DEP_1) | instskip(SKIP_1) | instid1(VALU_DEP_1)
	v_pk_mul_f32 v[124:125], v[124:125], v[126:127] op_sel_hi:[1,0]
	s_set_vgpr_msb 4                        ;  msbs: dst=0 src0=0 src1=1 src2=0
	v_pk_fma_f32 v[126:127], v[132:133], v[76:77] /*v[332:333]*/, v[124:125] neg_lo:[0,0,1] neg_hi:[0,0,1]
	v_pk_fma_f32 v[124:125], v[132:133], v[76:77] /*v[332:333]*/, v[124:125] op_sel_hi:[1,0,1]
	s_delay_alu instid0(VALU_DEP_1) | instskip(SKIP_3) | instid1(VALU_DEP_2)
	v_mov_b32_e32 v127, v125
	s_wait_loadcnt_dscnt 0x0
	v_pk_mul_f32 v[124:125], v[134:135], v[84:85] /*v[340:341]*/ op_sel:[1,1] op_sel_hi:[0,1]
	s_set_vgpr_msb 0                        ;  msbs: dst=0 src0=0 src1=0 src2=0
	v_pk_add_f32 v[122:123], v[122:123], v[126:127]
	s_set_vgpr_msb 4                        ;  msbs: dst=0 src0=0 src1=1 src2=0
	s_delay_alu instid0(VALU_DEP_2) | instskip(SKIP_1) | instid1(VALU_DEP_1)
	v_pk_fma_f32 v[126:127], v[134:135], v[84:85] /*v[340:341]*/, v[124:125] neg_lo:[0,0,1] neg_hi:[0,0,1]
	v_pk_fma_f32 v[124:125], v[134:135], v[84:85] /*v[340:341]*/, v[124:125] op_sel_hi:[1,0,1]
	v_mov_b32_e32 v127, v125
	scratch_load_b64 v[124:125], off, off offset:16
	s_set_vgpr_msb 0                        ;  msbs: dst=0 src0=0 src1=0 src2=0
	v_pk_add_f32 v[122:123], v[122:123], v[126:127]
	s_wait_loadcnt 0x0
	s_delay_alu instid0(VALU_DEP_1)
	v_pk_add_f32 v[122:123], v[124:125], v[122:123] neg_lo:[0,1] neg_hi:[0,1]
	scratch_store_b64 off, v[122:123], off offset:16
	s_wait_xcnt 0x0
	v_cmpx_lt_u32_e32 1, v0
	s_cbranch_execz .LBB123_371
; %bb.370:
	scratch_load_b64 v[122:123], off, off offset:8
	v_mov_b64_e32 v[124:125], 0
	scratch_store_b64 off, v[124:125], off offset:8
	s_wait_loadcnt 0x0
	ds_store_b64 v1, v[122:123]
.LBB123_371:
	s_wait_xcnt 0x0
	s_or_b32 exec_lo, exec_lo, s0
	s_wait_storecnt_dscnt 0x0
	s_barrier_signal -1
	s_barrier_wait -1
	s_clause 0x19
	scratch_load_b128 v[122:125], off, off offset:16
	scratch_load_b128 v[126:129], off, off offset:32
	;; [unrolled: 1-line block ×26, first 2 shown]
	ds_load_b128 v[226:229], v101 offset:496
	ds_load_b128 v[230:233], v101 offset:512
	;; [unrolled: 1-line block ×8, first 2 shown]
	v_ashrrev_i32_e32 v99, 31, v98
	s_set_vgpr_msb 64                       ;  msbs: dst=1 src0=0 src1=0 src2=0
	scratch_load_b128 v[2:5] /*v[258:261]*/, off, off offset:432
	ds_load_b128 v[6:9] /*v[262:265]*/, v101 offset:624
	ds_load_b128 v[10:13] /*v[266:269]*/, v101 offset:640
	ds_load_b128 v[14:17] /*v[270:273]*/, v101 offset:880
	ds_load_b128 v[18:21] /*v[274:277]*/, v101 offset:896
	ds_load_b128 v[22:25] /*v[278:281]*/, v101 offset:656
	ds_load_b128 v[26:29] /*v[282:285]*/, v101 offset:672
	ds_load_b128 v[30:33] /*v[286:289]*/, v101 offset:912
	ds_load_b128 v[34:37] /*v[290:293]*/, v101 offset:928
	ds_load_b128 v[38:41] /*v[294:297]*/, v101 offset:688
	ds_load_b128 v[42:45] /*v[298:301]*/, v101 offset:704
	ds_load_b128 v[46:49] /*v[302:305]*/, v101 offset:944
	ds_load_b128 v[50:53] /*v[306:309]*/, v101 offset:720
	ds_load_b128 v[54:57] /*v[310:313]*/, v101 offset:736
	ds_load_b128 v[58:61] /*v[314:317]*/, v101 offset:752
	ds_load_b128 v[62:65] /*v[318:321]*/, v101 offset:768
	scratch_load_b128 v[66:69] /*v[322:325]*/, off, off offset:448
	ds_load_b128 v[70:73] /*v[326:329]*/, v101 offset:784
	ds_load_b128 v[74:77] /*v[330:333]*/, v101 offset:800
	;; [unrolled: 1-line block ×4, first 2 shown]
	s_clause 0x1
	scratch_load_b128 v[86:89] /*v[342:345]*/, off, off offset:464
	scratch_load_b64 v[98:99] /*v[354:355]*/, off, off offset:8
	ds_load_b128 v[90:93] /*v[346:349]*/, v101 offset:848
	ds_load_b128 v[94:97] /*v[350:353]*/, v101 offset:864
	s_set_vgpr_msb 0                        ;  msbs: dst=0 src0=0 src1=0 src2=0
	v_dual_ashrrev_i32 v7, 31, v6 :: v_dual_ashrrev_i32 v9, 31, v8
	v_dual_ashrrev_i32 v11, 31, v10 :: v_dual_ashrrev_i32 v13, 31, v12
	s_wait_dscnt 0x11
	s_set_vgpr_msb 0x41                     ;  msbs: dst=1 src0=1 src1=0 src2=0
	v_dual_mov_b32 v100 /*v356*/, v21 /*v277*/ :: v_dual_mov_b32 v101 /*v357*/, v20 /*v276*/
	s_set_vgpr_msb 0                        ;  msbs: dst=0 src0=0 src1=0 src2=0
	v_dual_ashrrev_i32 v15, 31, v14 :: v_dual_ashrrev_i32 v17, 31, v16
	s_wait_dscnt 0xe
	s_set_vgpr_msb 0x41                     ;  msbs: dst=1 src0=1 src1=0 src2=0
	v_dual_mov_b32 v102 /*v358*/, v33 /*v289*/ :: v_dual_mov_b32 v103 /*v359*/, v32 /*v288*/
	s_wait_dscnt 0xd
	v_dual_mov_b32 v104 /*v360*/, v37 /*v293*/ :: v_dual_mov_b32 v105 /*v361*/, v36 /*v292*/
	s_wait_dscnt 0xa
	v_dual_mov_b32 v106 /*v362*/, v49 /*v305*/ :: v_dual_mov_b32 v107 /*v363*/, v48 /*v304*/
	s_set_vgpr_msb 0                        ;  msbs: dst=0 src0=0 src1=0 src2=0
	v_dual_ashrrev_i32 v19, 31, v18 :: v_dual_ashrrev_i32 v21, 31, v20
	v_dual_ashrrev_i32 v23, 31, v22 :: v_dual_ashrrev_i32 v25, 31, v24
	;; [unrolled: 1-line block ×20, first 2 shown]
	s_mov_b32 s0, exec_lo
	s_wait_loadcnt 0x1d
	v_dual_mul_f32 v101, v226, v123 :: v_dual_mul_f32 v103, v228, v125
	s_wait_loadcnt 0x1c
	v_dual_mul_f32 v105, v230, v127 :: v_dual_mul_f32 v107, v232, v129
	v_dual_mul_f32 v109, v227, v123 :: v_dual_mul_f32 v111, v229, v125
	v_mul_f32_e32 v113, v231, v127
	v_dual_fmac_f32 v101, v227, v122 :: v_dual_fmac_f32 v103, v229, v124
	s_wait_loadcnt 0x16
	s_set_vgpr_msb 64                       ;  msbs: dst=1 src0=0 src1=0 src2=0
	v_dual_mul_f32 v110 /*v366*/, v252, v149 :: v_dual_mul_f32 v111 /*v367*/, v254, v151
	s_set_vgpr_msb 0                        ;  msbs: dst=0 src0=0 src1=0 src2=0
	v_dual_mul_f32 v151, v255, v151 :: v_dual_fma_f32 v109, v226, v122, -v109
	v_dual_fma_f32 v111, v228, v124, -v111 :: v_dual_add_f32 v101, 0, v101
	v_dual_mul_f32 v115, v233, v129 :: v_dual_mul_f32 v117, v234, v131
	s_delay_alu instid0(VALU_DEP_3) | instskip(NEXT) | instid1(VALU_DEP_3)
	v_dual_add_f32 v109, 0, v109 :: v_dual_fmac_f32 v105, v231, v126
	v_dual_fma_f32 v113, v230, v126, -v113 :: v_dual_add_f32 v101, v101, v103
	v_dual_mul_f32 v123, v240, v137 :: v_dual_mul_f32 v125, v235, v131
	s_delay_alu instid0(VALU_DEP_3) | instskip(SKIP_1) | instid1(VALU_DEP_4)
	v_dual_add_f32 v103, v109, v111 :: v_dual_fma_f32 v111, v232, v128, -v115
	v_fmac_f32_e32 v107, v233, v128
	v_dual_add_f32 v101, v101, v105 :: v_dual_fmac_f32 v117, v235, v130
	v_dual_mul_f32 v119, v236, v133 :: v_dual_mul_f32 v121, v238, v135
	v_dual_mul_f32 v127, v237, v133 :: v_dual_mul_f32 v129, v239, v135
	v_dual_add_f32 v103, v103, v113 :: v_dual_fma_f32 v113, v234, v130, -v125
	s_delay_alu instid0(VALU_DEP_4) | instskip(NEXT) | instid1(VALU_DEP_4)
	v_add_f32_e32 v101, v101, v107
	v_fmac_f32_e32 v119, v237, v132
	v_dual_mul_f32 v131, v241, v137 :: v_dual_mul_f32 v133, v242, v139
	s_delay_alu instid0(VALU_DEP_4) | instskip(NEXT) | instid1(VALU_DEP_4)
	v_dual_add_f32 v103, v103, v111 :: v_dual_fma_f32 v111, v236, v132, -v127
	v_dual_add_f32 v101, v101, v117 :: v_dual_fmac_f32 v121, v239, v134
	s_delay_alu instid0(VALU_DEP_2) | instskip(SKIP_1) | instid1(VALU_DEP_3)
	v_dual_fma_f32 v115, v238, v134, -v129 :: v_dual_add_f32 v103, v103, v113
	v_fmac_f32_e32 v123, v241, v136
	v_dual_add_f32 v101, v101, v119 :: v_dual_fma_f32 v117, v240, v136, -v131
	v_dual_mul_f32 v135, v244, v141 :: v_dual_mul_f32 v137, v243, v139
	s_delay_alu instid0(VALU_DEP_2) | instskip(SKIP_2) | instid1(VALU_DEP_3)
	v_dual_add_f32 v103, v103, v111 :: v_dual_add_f32 v101, v101, v121
	v_dual_mul_f32 v139, v245, v141 :: v_dual_mul_f32 v141, v246, v143
	v_fmac_f32_e32 v133, v243, v138
	v_dual_add_f32 v103, v103, v115 :: v_dual_fma_f32 v119, v242, v138, -v137
	s_delay_alu instid0(VALU_DEP_4) | instskip(SKIP_1) | instid1(VALU_DEP_3)
	v_add_f32_e32 v101, v101, v123
	v_fmac_f32_e32 v135, v245, v140
	v_dual_fma_f32 v121, v244, v140, -v139 :: v_dual_add_f32 v103, v103, v117
	s_set_vgpr_msb 64                       ;  msbs: dst=1 src0=0 src1=0 src2=0
	v_dual_mul_f32 v108 /*v364*/, v248, v145 :: v_dual_mul_f32 v109 /*v365*/, v250, v147
	s_set_vgpr_msb 0                        ;  msbs: dst=0 src0=0 src1=0 src2=0
	v_dual_add_f32 v101, v101, v133 :: v_dual_fmac_f32 v141, v247, v142
	v_dual_mul_f32 v147, v251, v147 :: v_dual_mul_f32 v149, v253, v149
	s_set_vgpr_msb 64                       ;  msbs: dst=1 src0=0 src1=0 src2=0
	v_dual_fmac_f32 v108 /*v364*/, v249, v144 :: v_dual_fmac_f32 v109 /*v365*/, v251, v146
	s_set_vgpr_msb 0                        ;  msbs: dst=0 src0=0 src1=0 src2=0
	s_delay_alu instid0(VALU_DEP_2)
	v_dual_add_f32 v101, v101, v135 :: v_dual_fma_f32 v126, v250, v146, -v147
	s_set_vgpr_msb 64                       ;  msbs: dst=1 src0=0 src1=0 src2=0
	v_dual_fmac_f32 v110 /*v366*/, v253, v148 :: v_dual_fmac_f32 v111 /*v367*/, v255, v150
	s_wait_loadcnt 0x15
	s_set_vgpr_msb 0x41                     ;  msbs: dst=1 src0=1 src1=0 src2=0
	v_dual_mul_f32 v112 /*v368*/, v0 /*v256*/, v153 :: v_dual_mul_f32 v113 /*v369*/, v6 /*v262*/, v155
	s_set_vgpr_msb 0                        ;  msbs: dst=0 src0=0 src1=0 src2=0
	v_add_f32_e32 v101, v101, v141
	s_wait_loadcnt_dscnt 0xa04
	s_set_vgpr_msb 0x41                     ;  msbs: dst=1 src0=1 src1=0 src2=0
	v_mul_f32_e32 v136 /*v392*/, v76 /*v332*/, v201
	v_dual_mul_f32 v114 /*v370*/, v8 /*v264*/, v157 :: v_dual_mul_f32 v115 /*v371*/, v10 /*v266*/, v159
	v_fmac_f32_e32 v112 /*v368*/, v1 /*v257*/, v152
	s_set_vgpr_msb 4                        ;  msbs: dst=0 src0=0 src1=1 src2=0
	v_add_f32_e32 v101, v101, v108 /*v364*/
	s_set_vgpr_msb 0x41                     ;  msbs: dst=1 src0=1 src1=0 src2=0
	v_dual_fmac_f32 v113 /*v369*/, v7 /*v263*/, v154 :: v_dual_fmac_f32 v114 /*v370*/, v9 /*v265*/, v156
	v_dual_mul_f32 v116 /*v372*/, v12 /*v268*/, v161 :: v_dual_mul_f32 v117 /*v373*/, v22 /*v278*/, v163
	s_set_vgpr_msb 4                        ;  msbs: dst=0 src0=0 src1=1 src2=0
	v_add_f32_e32 v101, v101, v109 /*v365*/
	s_set_vgpr_msb 0x41                     ;  msbs: dst=1 src0=1 src1=0 src2=0
	v_dual_fmac_f32 v115 /*v371*/, v11 /*v267*/, v158 :: v_dual_mul_f32 v118 /*v374*/, v24 /*v280*/, v165
	v_dual_mul_f32 v119 /*v375*/, v26 /*v282*/, v167 :: v_dual_fmac_f32 v116 /*v372*/, v13 /*v269*/, v160
	s_set_vgpr_msb 4                        ;  msbs: dst=0 src0=0 src1=1 src2=0
	v_add_f32_e32 v101, v101, v110 /*v366*/
	s_set_vgpr_msb 0x41                     ;  msbs: dst=1 src0=1 src1=0 src2=0
	v_dual_fmac_f32 v117 /*v373*/, v23 /*v279*/, v162 :: v_dual_fmac_f32 v118 /*v374*/, v25 /*v281*/, v164
	v_dual_mul_f32 v120 /*v376*/, v28 /*v284*/, v169 :: v_dual_mul_f32 v121 /*v377*/, v38 /*v294*/, v171
	s_set_vgpr_msb 4                        ;  msbs: dst=0 src0=0 src1=1 src2=0
	v_add_f32_e32 v101, v101, v111 /*v367*/
	s_set_vgpr_msb 0x41                     ;  msbs: dst=1 src0=1 src1=0 src2=0
	v_dual_fmac_f32 v119 /*v375*/, v27 /*v283*/, v166 :: v_dual_mul_f32 v122 /*v378*/, v40 /*v296*/, v173
	v_dual_mul_f32 v123 /*v379*/, v42 /*v298*/, v175 :: v_dual_fmac_f32 v120 /*v376*/, v29 /*v285*/, v168
	;; [unrolled: 10-line block ×5, first 2 shown]
	s_set_vgpr_msb 4                        ;  msbs: dst=0 src0=0 src1=1 src2=0
	v_add_f32_e32 v101, v101, v118 /*v374*/
	s_set_vgpr_msb 0x41                     ;  msbs: dst=1 src0=1 src1=0 src2=0
	v_dual_fmac_f32 v133 /*v389*/, v71 /*v327*/, v194 :: v_dual_fmac_f32 v134 /*v390*/, v73 /*v329*/, v196
	s_set_vgpr_msb 0                        ;  msbs: dst=0 src0=0 src1=0 src2=0
	v_dual_mul_f32 v143, v247, v143 :: v_dual_mul_f32 v145, v249, v145
	s_set_vgpr_msb 4                        ;  msbs: dst=0 src0=0 src1=1 src2=0
	v_add_f32_e32 v101, v101, v119 /*v375*/
	s_set_vgpr_msb 0                        ;  msbs: dst=0 src0=0 src1=0 src2=0
	v_add_f32_e32 v103, v103, v119
	s_set_vgpr_msb 0x41                     ;  msbs: dst=1 src0=1 src1=0 src2=0
	v_dual_fmac_f32 v135 /*v391*/, v75 /*v331*/, v198 :: v_dual_fmac_f32 v136 /*v392*/, v77 /*v333*/, v200
	s_set_vgpr_msb 0                        ;  msbs: dst=0 src0=0 src1=0 src2=0
	v_fma_f32 v125, v246, v142, -v143
	s_set_vgpr_msb 4                        ;  msbs: dst=0 src0=0 src1=1 src2=0
	v_add_f32_e32 v101, v101, v120 /*v376*/
	s_set_vgpr_msb 0                        ;  msbs: dst=0 src0=0 src1=0 src2=0
	v_dual_add_f32 v103, v103, v121 :: v_dual_fma_f32 v121, v248, v144, -v145
	s_wait_loadcnt_dscnt 0x903
	s_set_vgpr_msb 1                        ;  msbs: dst=0 src0=1 src1=0 src2=0
	v_dual_mul_f32 v124, v9 /*v265*/, v157 :: v_dual_mul_f32 v109, v78 /*v334*/, v203
	s_set_vgpr_msb 4                        ;  msbs: dst=0 src0=0 src1=1 src2=0
	v_add_f32_e32 v101, v101, v121 /*v377*/
	s_set_vgpr_msb 0                        ;  msbs: dst=0 src0=0 src1=0 src2=0
	v_dual_add_f32 v103, v103, v125 :: v_dual_fma_f32 v127, v252, v148, -v149
	s_wait_loadcnt_dscnt 0x802
	s_set_vgpr_msb 1                        ;  msbs: dst=0 src0=1 src1=0 src2=0
	v_dual_mul_f32 v105, v80 /*v336*/, v205 :: v_dual_mul_f32 v107, v82 /*v338*/, v207
	s_set_vgpr_msb 4                        ;  msbs: dst=0 src0=0 src1=1 src2=0
	v_add_f32_e32 v101, v101, v122 /*v378*/
	s_set_vgpr_msb 0                        ;  msbs: dst=0 src0=0 src1=0 src2=0
	v_dual_add_f32 v103, v103, v121 :: v_dual_fma_f32 v128, v254, v150, -v151
	s_set_vgpr_msb 1                        ;  msbs: dst=0 src0=1 src1=0 src2=0
	v_fmac_f32_e32 v109, v79 /*v335*/, v202
	v_dual_fmac_f32 v105, v81 /*v337*/, v204 :: v_dual_fmac_f32 v107, v83 /*v339*/, v206
	s_set_vgpr_msb 4                        ;  msbs: dst=0 src0=0 src1=1 src2=0
	v_add_f32_e32 v101, v101, v123 /*v379*/
	s_set_vgpr_msb 1                        ;  msbs: dst=0 src0=1 src1=0 src2=0
	v_dual_mul_f32 v153, v1 /*v257*/, v153 :: v_dual_mul_f32 v122, v7 /*v263*/, v155
	s_wait_loadcnt_dscnt 0x701
	v_dual_mul_f32 v113, v84 /*v340*/, v209 :: v_dual_mul_f32 v111, v90 /*v346*/, v211
	s_set_vgpr_msb 4                        ;  msbs: dst=0 src0=0 src1=1 src2=0
	v_add_f32_e32 v101, v101, v124 /*v380*/
	s_set_vgpr_msb 1                        ;  msbs: dst=0 src0=1 src1=0 src2=0
	v_fma_f32 v129, v0 /*v256*/, v152, -v153
	s_wait_loadcnt_dscnt 0x600
	v_dual_mul_f32 v115, v92 /*v348*/, v213 :: v_dual_mul_f32 v117, v94 /*v350*/, v215
	v_fma_f32 v122, v6 /*v262*/, v154, -v122
	s_set_vgpr_msb 4                        ;  msbs: dst=0 src0=0 src1=1 src2=0
	v_add_f32_e32 v101, v101, v125 /*v381*/
	s_wait_loadcnt 0x5
	s_set_vgpr_msb 1                        ;  msbs: dst=0 src0=1 src1=0 src2=0
	v_dual_fmac_f32 v111, v91 /*v347*/, v210 :: v_dual_mul_f32 v125, v16 /*v272*/, v221
	v_dual_mul_f32 v121, v11 /*v267*/, v159 :: v_dual_fma_f32 v124, v8 /*v264*/, v156, -v124
	s_set_vgpr_msb 4                        ;  msbs: dst=0 src0=0 src1=1 src2=0
	v_add_f32_e32 v101, v101, v126 /*v382*/
	s_set_vgpr_msb 1                        ;  msbs: dst=0 src0=1 src1=0 src2=0
	v_dual_fmac_f32 v115, v93 /*v349*/, v212 :: v_dual_mul_f32 v119, v96 /*v352*/, v217
	v_mul_f32_e32 v123, v14 /*v270*/, v219
	v_fma_f32 v121, v10 /*v266*/, v158, -v121
	s_set_vgpr_msb 4                        ;  msbs: dst=0 src0=0 src1=1 src2=0
	v_add_f32_e32 v101, v101, v127 /*v383*/
	s_set_vgpr_msb 1                        ;  msbs: dst=0 src0=1 src1=0 src2=0
	v_dual_fmac_f32 v117, v95 /*v351*/, v214 :: v_dual_fmac_f32 v119, v97 /*v353*/, v216
	v_fmac_f32_e32 v125, v17 /*v273*/, v220
	s_wait_loadcnt 0x3
	s_set_vgpr_msb 5                        ;  msbs: dst=0 src0=1 src1=1 src2=0
	v_pk_mul_f32 v[130:131], v[30:31] /*v[286:287]*/, v[2:3] /*v[258:259]*/ op_sel:[1,1] op_sel_hi:[0,1]
	s_set_vgpr_msb 4                        ;  msbs: dst=0 src0=0 src1=1 src2=0
	v_add_f32_e32 v101, v101, v128 /*v384*/
	s_set_vgpr_msb 1                        ;  msbs: dst=0 src0=1 src1=0 src2=0
	v_fmac_f32_e32 v113, v85 /*v341*/, v208
	v_dual_mov_b32 v132, v5 /*v261*/ :: v_dual_fmac_f32 v123, v15 /*v271*/, v218
	s_set_vgpr_msb 4                        ;  msbs: dst=0 src0=0 src1=1 src2=0
	v_add_f32_e32 v101, v101, v129 /*v385*/
	s_set_vgpr_msb 1                        ;  msbs: dst=0 src0=1 src1=0 src2=0
	s_delay_alu instid0(VALU_DEP_2) | instskip(SKIP_1) | instid1(VALU_DEP_2)
	v_pk_mul_f32 v[132:133], v[102:103] /*v[358:359]*/, v[132:133] op_sel_hi:[1,0]
	s_set_vgpr_msb 4                        ;  msbs: dst=0 src0=0 src1=1 src2=0
	v_add_f32_e32 v101, v101, v130 /*v386*/
	s_delay_alu instid0(VALU_DEP_1) | instskip(NEXT) | instid1(VALU_DEP_1)
	v_add_f32_e32 v101, v101, v131 /*v387*/
	v_add_f32_e32 v101, v101, v132 /*v388*/
	s_delay_alu instid0(VALU_DEP_1) | instskip(NEXT) | instid1(VALU_DEP_1)
	v_add_f32_e32 v101, v101, v133 /*v389*/
	;; [unrolled: 3-line block ×3, first 2 shown]
	v_add_f32_e32 v101, v101, v136 /*v392*/
	s_set_vgpr_msb 0                        ;  msbs: dst=0 src0=0 src1=0 src2=0
	v_add_f32_e32 v103, v103, v126
	s_set_vgpr_msb 1                        ;  msbs: dst=0 src0=1 src1=0 src2=0
	v_mul_f32_e32 v126, v13 /*v269*/, v161
	s_set_vgpr_msb 0                        ;  msbs: dst=0 src0=0 src1=0 src2=0
	s_delay_alu instid0(VALU_DEP_2) | instskip(SKIP_1) | instid1(VALU_DEP_2)
	v_dual_add_f32 v101, v101, v109 :: v_dual_add_f32 v103, v103, v127
	s_set_vgpr_msb 1                        ;  msbs: dst=0 src0=1 src1=0 src2=0
	v_dual_mul_f32 v127, v23 /*v279*/, v163 :: v_dual_fma_f32 v126, v12 /*v268*/, v160, -v126
	s_set_vgpr_msb 0                        ;  msbs: dst=0 src0=0 src1=0 src2=0
	s_delay_alu instid0(VALU_DEP_2)
	v_dual_add_f32 v101, v101, v105 :: v_dual_add_f32 v103, v103, v128
	s_set_vgpr_msb 1                        ;  msbs: dst=0 src0=1 src1=0 src2=0
	v_dual_mul_f32 v105, v15 /*v271*/, v219 :: v_dual_mul_f32 v128, v25 /*v281*/, v165
	v_fma_f32 v127, v22 /*v278*/, v162, -v127
	s_set_vgpr_msb 0                        ;  msbs: dst=0 src0=0 src1=0 src2=0
	v_add_f32_e32 v101, v101, v107
	s_set_vgpr_msb 1                        ;  msbs: dst=0 src0=1 src1=0 src2=0
	v_dual_mul_f32 v107, v17 /*v273*/, v221 :: v_dual_fma_f32 v128, v24 /*v280*/, v164, -v128
	s_set_vgpr_msb 0                        ;  msbs: dst=0 src0=0 src1=0 src2=0
	s_delay_alu instid0(VALU_DEP_2) | instskip(SKIP_4) | instid1(VALU_DEP_2)
	v_add_f32_e32 v101, v101, v113
	v_add_f32_e32 v103, v103, v129
	s_set_vgpr_msb 1                        ;  msbs: dst=0 src0=1 src1=0 src2=0
	v_mul_f32_e32 v129, v27 /*v283*/, v167
	s_set_vgpr_msb 0                        ;  msbs: dst=0 src0=0 src1=0 src2=0
	v_dual_add_f32 v101, v101, v111 :: v_dual_add_f32 v103, v103, v122
	s_set_vgpr_msb 1                        ;  msbs: dst=0 src0=1 src1=0 src2=0
	s_delay_alu instid0(VALU_DEP_2) | instskip(SKIP_1) | instid1(VALU_DEP_2)
	v_dual_mul_f32 v122, v29 /*v285*/, v169 :: v_dual_fma_f32 v129, v26 /*v282*/, v166, -v129
	s_set_vgpr_msb 0                        ;  msbs: dst=0 src0=0 src1=0 src2=0
	v_dual_add_f32 v101, v101, v115 :: v_dual_add_f32 v103, v103, v124
	s_set_vgpr_msb 1                        ;  msbs: dst=0 src0=1 src1=0 src2=0
	s_delay_alu instid0(VALU_DEP_2) | instskip(SKIP_1) | instid1(VALU_DEP_2)
	v_dual_mul_f32 v124, v39 /*v295*/, v171 :: v_dual_fma_f32 v122, v28 /*v284*/, v168, -v122
	s_set_vgpr_msb 0                        ;  msbs: dst=0 src0=0 src1=0 src2=0
	v_dual_ashrrev_i32 v115, 31, v114 :: v_dual_add_f32 v101, v101, v117
	v_add_f32_e32 v103, v103, v121
	s_set_vgpr_msb 1                        ;  msbs: dst=0 src0=1 src1=0 src2=0
	v_dual_mul_f32 v121, v41 /*v297*/, v173 :: v_dual_fma_f32 v124, v38 /*v294*/, v170, -v124
	s_set_vgpr_msb 0                        ;  msbs: dst=0 src0=0 src1=0 src2=0
	v_dual_ashrrev_i32 v117, 31, v116 :: v_dual_add_f32 v135, v101, v119
	v_add_f32_e32 v103, v103, v126
	s_set_vgpr_msb 1                        ;  msbs: dst=0 src0=1 src1=0 src2=0
	v_dual_mul_f32 v126, v43 /*v299*/, v175 :: v_dual_fma_f32 v121, v40 /*v296*/, v172, -v121
	v_dual_ashrrev_i32 v101, 31, v100 :: v_dual_ashrrev_i32 v119, 31, v118
	s_set_vgpr_msb 0                        ;  msbs: dst=0 src0=0 src1=0 src2=0
	v_add_f32_e32 v103, v103, v127
	s_set_vgpr_msb 1                        ;  msbs: dst=0 src0=1 src1=0 src2=0
	v_dual_mul_f32 v127, v45 /*v301*/, v177 :: v_dual_fma_f32 v126, v42 /*v298*/, v174, -v126
	s_set_vgpr_msb 0                        ;  msbs: dst=0 src0=0 src1=0 src2=0
	s_delay_alu instid0(VALU_DEP_2) | instskip(SKIP_1) | instid1(VALU_DEP_2)
	v_add_f32_e32 v103, v103, v128
	s_set_vgpr_msb 1                        ;  msbs: dst=0 src0=1 src1=0 src2=0
	v_dual_mul_f32 v128, v51 /*v307*/, v179 :: v_dual_fma_f32 v127, v44 /*v300*/, v176, -v127
	s_set_vgpr_msb 0                        ;  msbs: dst=0 src0=0 src1=0 src2=0
	s_delay_alu instid0(VALU_DEP_2) | instskip(SKIP_1) | instid1(VALU_DEP_2)
	;; [unrolled: 5-line block ×15, first 2 shown]
	v_add_f32_e32 v103, v103, v128
	s_set_vgpr_msb 1                        ;  msbs: dst=0 src0=1 src1=0 src2=0
	v_dual_mul_f32 v128, v83 /*v339*/, v207 :: v_dual_fma_f32 v127, v80 /*v336*/, v204, -v127
	v_mul_f32_e32 v109, v97 /*v353*/, v217
	s_set_vgpr_msb 0                        ;  msbs: dst=0 src0=0 src1=0 src2=0
	v_add_f32_e32 v103, v103, v129
	s_set_vgpr_msb 1                        ;  msbs: dst=0 src0=1 src1=0 src2=0
	v_mul_f32_e32 v129, v85 /*v341*/, v209
	s_set_vgpr_msb 0                        ;  msbs: dst=0 src0=0 src1=0 src2=0
	s_delay_alu instid0(VALU_DEP_2) | instskip(SKIP_3) | instid1(VALU_DEP_2)
	v_add_f32_e32 v103, v103, v122
	s_set_vgpr_msb 1                        ;  msbs: dst=0 src0=1 src1=0 src2=0
	v_mul_f32_e32 v122, v91 /*v347*/, v211
	s_set_vgpr_msb 0                        ;  msbs: dst=0 src0=0 src1=0 src2=0
	v_add_f32_e32 v103, v103, v124
	s_set_vgpr_msb 1                        ;  msbs: dst=0 src0=1 src1=0 src2=0
	s_delay_alu instid0(VALU_DEP_2) | instskip(SKIP_1) | instid1(VALU_DEP_2)
	v_dual_mul_f32 v124, v93 /*v349*/, v213 :: v_dual_fma_f32 v122, v90 /*v346*/, v210, -v122
	s_set_vgpr_msb 0                        ;  msbs: dst=0 src0=0 src1=0 src2=0
	v_add_f32_e32 v103, v103, v121
	s_set_vgpr_msb 1                        ;  msbs: dst=0 src0=1 src1=0 src2=0
	s_delay_alu instid0(VALU_DEP_2)
	v_dual_mul_f32 v121, v95 /*v351*/, v215 :: v_dual_fma_f32 v113, v92 /*v348*/, v212, -v124
	v_dual_fma_f32 v124, v16 /*v272*/, v220, -v107 :: v_dual_ashrrev_i32 v107, 31, v106
	s_set_vgpr_msb 0                        ;  msbs: dst=0 src0=0 src1=0 src2=0
	v_add_f32_e32 v103, v103, v126
	s_set_vgpr_msb 1                        ;  msbs: dst=0 src0=1 src1=0 src2=0
	v_fma_f32 v126, v82 /*v338*/, v206, -v128
	v_fma_f32 v111, v94 /*v350*/, v214, -v121
	;; [unrolled: 1-line block ×3, first 2 shown]
	s_set_vgpr_msb 0                        ;  msbs: dst=0 src0=0 src1=0 src2=0
	v_dual_mov_b32 v128, v225 :: v_dual_add_f32 v103, v103, v127
	s_set_vgpr_msb 1                        ;  msbs: dst=0 src0=1 src1=0 src2=0
	v_fma_f32 v127, v84 /*v340*/, v208, -v129
	v_ashrrev_i32_e32 v121, 31, v120
	s_delay_alu instid0(VALU_DEP_3) | instskip(SKIP_2) | instid1(VALU_DEP_1)
	v_pk_mul_f32 v[128:129], v[100:101] /*v[356:357]*/, v[128:129] op_sel_hi:[1,0]
	s_set_vgpr_msb 0                        ;  msbs: dst=0 src0=0 src1=0 src2=0
	v_add_f32_e32 v103, v103, v126
	v_add_f32_e32 v103, v103, v127
	s_set_vgpr_msb 1                        ;  msbs: dst=0 src0=1 src1=0 src2=0
	v_pk_mul_f32 v[126:127], v[18:19] /*v[274:275]*/, v[222:223] op_sel:[1,1] op_sel_hi:[0,1]
	s_set_vgpr_msb 0                        ;  msbs: dst=0 src0=0 src1=0 src2=0
	s_delay_alu instid0(VALU_DEP_2)
	v_add_f32_e32 v103, v103, v122
	s_set_vgpr_msb 1                        ;  msbs: dst=0 src0=1 src1=0 src2=0
	v_fma_f32 v122, v14 /*v270*/, v218, -v105
	v_pk_fma_f32 v[136:137], v[18:19] /*v[274:275]*/, v[222:223], v[126:127] op_sel_hi:[1,0,1]
	v_pk_fma_f32 v[126:127], v[18:19] /*v[274:275]*/, v[222:223], v[126:127] neg_lo:[0,0,1] neg_hi:[0,0,1]
	s_set_vgpr_msb 0                        ;  msbs: dst=0 src0=0 src1=0 src2=0
	v_dual_ashrrev_i32 v105, 31, v104 :: v_dual_add_f32 v103, v103, v113
	s_delay_alu instid0(VALU_DEP_3)
	v_dual_ashrrev_i32 v113, 31, v112 :: v_dual_mov_b32 v127, v137
	s_set_vgpr_msb 1                        ;  msbs: dst=0 src0=1 src1=0 src2=0
	v_pk_fma_f32 v[136:137], v[20:21] /*v[276:277]*/, v[224:225], v[128:129] op_sel_hi:[1,0,1]
	v_pk_fma_f32 v[128:129], v[20:21] /*v[276:277]*/, v[224:225], v[128:129] neg_lo:[0,0,1] neg_hi:[0,0,1]
	s_set_vgpr_msb 0                        ;  msbs: dst=0 src0=0 src1=0 src2=0
	v_dual_add_f32 v103, v103, v111 :: v_dual_ashrrev_i32 v111, 31, v110
	s_delay_alu instid0(VALU_DEP_1) | instskip(SKIP_1) | instid1(VALU_DEP_2)
	v_dual_mov_b32 v129, v137 :: v_dual_add_f32 v134, v103, v109
	v_dual_ashrrev_i32 v103, 31, v102 :: v_dual_ashrrev_i32 v109, 31, v108
	v_pk_add_f32 v[122:123], v[134:135], v[122:123]
	s_wait_loadcnt 0x2
	s_set_vgpr_msb 5                        ;  msbs: dst=0 src0=1 src1=1 src2=0
	v_pk_mul_f32 v[134:135], v[34:35] /*v[290:291]*/, v[66:67] /*v[322:323]*/ op_sel:[1,1] op_sel_hi:[0,1]
	s_set_vgpr_msb 0                        ;  msbs: dst=0 src0=0 src1=0 src2=0
	v_pk_add_f32 v[122:123], v[122:123], v[124:125]
	s_set_vgpr_msb 5                        ;  msbs: dst=0 src0=1 src1=1 src2=0
	v_pk_fma_f32 v[124:125], v[30:31] /*v[286:287]*/, v[2:3] /*v[258:259]*/, v[130:131] op_sel_hi:[1,0,1]
	v_mov_b32_e32 v124, v69 /*v325*/
	s_set_vgpr_msb 0                        ;  msbs: dst=0 src0=0 src1=0 src2=0
	v_pk_add_f32 v[122:123], v[122:123], v[126:127]
	s_set_vgpr_msb 5                        ;  msbs: dst=0 src0=1 src1=1 src2=0
	v_pk_fma_f32 v[126:127], v[30:31] /*v[286:287]*/, v[2:3] /*v[258:259]*/, v[130:131] neg_lo:[0,0,1] neg_hi:[0,0,1]
	s_set_vgpr_msb 0                        ;  msbs: dst=0 src0=0 src1=0 src2=0
	v_mov_b32_e32 v127, v125
	s_set_vgpr_msb 5                        ;  msbs: dst=0 src0=1 src1=1 src2=0
	v_pk_fma_f32 v[130:131], v[32:33] /*v[288:289]*/, v[4:5] /*v[260:261]*/, v[132:133] op_sel_hi:[1,0,1]
	s_set_vgpr_msb 1                        ;  msbs: dst=0 src0=1 src1=0 src2=0
	v_pk_mul_f32 v[124:125], v[104:105] /*v[360:361]*/, v[124:125] op_sel_hi:[1,0]
	s_set_vgpr_msb 0                        ;  msbs: dst=0 src0=0 src1=0 src2=0
	v_pk_add_f32 v[122:123], v[122:123], v[128:129]
	s_set_vgpr_msb 5                        ;  msbs: dst=0 src0=1 src1=1 src2=0
	v_pk_fma_f32 v[128:129], v[34:35] /*v[290:291]*/, v[66:67] /*v[322:323]*/, v[134:135] op_sel_hi:[1,0,1]
	v_pk_fma_f32 v[132:133], v[32:33] /*v[288:289]*/, v[4:5] /*v[260:261]*/, v[132:133] neg_lo:[0,0,1] neg_hi:[0,0,1]
	s_set_vgpr_msb 0                        ;  msbs: dst=0 src0=0 src1=0 src2=0
	v_mov_b32_e32 v133, v131
	s_set_vgpr_msb 5                        ;  msbs: dst=0 src0=1 src1=1 src2=0
	v_pk_fma_f32 v[130:131], v[34:35] /*v[290:291]*/, v[66:67] /*v[322:323]*/, v[134:135] neg_lo:[0,0,1] neg_hi:[0,0,1]
	s_set_vgpr_msb 0                        ;  msbs: dst=0 src0=0 src1=0 src2=0
	v_pk_add_f32 v[122:123], v[122:123], v[126:127]
	v_mov_b32_e32 v131, v129
	s_set_vgpr_msb 5                        ;  msbs: dst=0 src0=1 src1=1 src2=0
	v_pk_fma_f32 v[128:129], v[36:37] /*v[292:293]*/, v[68:69] /*v[324:325]*/, v[124:125] op_sel_hi:[1,0,1]
	s_wait_loadcnt 0x1
	v_pk_mul_f32 v[126:127], v[46:47] /*v[302:303]*/, v[86:87] /*v[342:343]*/ op_sel:[1,1] op_sel_hi:[0,1]
	v_mov_b32_e32 v128, v89 /*v345*/
	s_set_vgpr_msb 0                        ;  msbs: dst=0 src0=0 src1=0 src2=0
	v_pk_add_f32 v[122:123], v[122:123], v[132:133]
	s_set_vgpr_msb 5                        ;  msbs: dst=0 src0=1 src1=1 src2=0
	v_pk_fma_f32 v[124:125], v[36:37] /*v[292:293]*/, v[68:69] /*v[324:325]*/, v[124:125] neg_lo:[0,0,1] neg_hi:[0,0,1]
	s_set_vgpr_msb 0                        ;  msbs: dst=0 src0=0 src1=0 src2=0
	v_mov_b32_e32 v125, v129
	s_set_vgpr_msb 5                        ;  msbs: dst=0 src0=1 src1=1 src2=0
	v_pk_fma_f32 v[132:133], v[46:47] /*v[302:303]*/, v[86:87] /*v[342:343]*/, v[126:127] op_sel_hi:[1,0,1]
	s_set_vgpr_msb 1                        ;  msbs: dst=0 src0=1 src1=0 src2=0
	v_pk_mul_f32 v[128:129], v[106:107] /*v[362:363]*/, v[128:129] op_sel_hi:[1,0]
	s_set_vgpr_msb 0                        ;  msbs: dst=0 src0=0 src1=0 src2=0
	v_pk_add_f32 v[122:123], v[122:123], v[130:131]
	s_set_vgpr_msb 5                        ;  msbs: dst=0 src0=1 src1=1 src2=0
	v_pk_fma_f32 v[126:127], v[46:47] /*v[302:303]*/, v[86:87] /*v[342:343]*/, v[126:127] neg_lo:[0,0,1] neg_hi:[0,0,1]
	s_set_vgpr_msb 0                        ;  msbs: dst=0 src0=0 src1=0 src2=0
	v_mov_b32_e32 v127, v133
	v_pk_add_f32 v[122:123], v[122:123], v[124:125]
	s_set_vgpr_msb 5                        ;  msbs: dst=0 src0=1 src1=1 src2=0
	v_pk_fma_f32 v[124:125], v[48:49] /*v[304:305]*/, v[88:89] /*v[344:345]*/, v[128:129] op_sel_hi:[1,0,1]
	v_pk_fma_f32 v[128:129], v[48:49] /*v[304:305]*/, v[88:89] /*v[344:345]*/, v[128:129] neg_lo:[0,0,1] neg_hi:[0,0,1]
	s_set_vgpr_msb 0                        ;  msbs: dst=0 src0=0 src1=0 src2=0
	v_pk_add_f32 v[122:123], v[122:123], v[126:127]
	s_delay_alu instid0(VALU_DEP_3) | instskip(NEXT) | instid1(VALU_DEP_1)
	v_mov_b32_e32 v129, v125
	v_pk_add_f32 v[122:123], v[122:123], v[128:129]
	s_wait_loadcnt 0x0
	s_set_vgpr_msb 1                        ;  msbs: dst=0 src0=1 src1=0 src2=0
	s_delay_alu instid0(VALU_DEP_1)
	v_pk_add_f32 v[122:123], v[98:99] /*v[354:355]*/, v[122:123] neg_lo:[0,1] neg_hi:[0,1]
	scratch_store_b64 off, v[122:123], off offset:8
	s_wait_xcnt 0x0
	v_cmpx_ne_u32_e32 0, v0
	s_set_vgpr_msb 0                        ;  msbs: dst=0 src0=0 src1=0 src2=0
	s_cbranch_execz .LBB123_373
; %bb.372:
	scratch_load_b64 v[122:123], off, off
	v_mov_b64_e32 v[124:125], 0
	scratch_store_b64 off, v[124:125], off
	s_wait_loadcnt 0x0
	ds_store_b64 v1, v[122:123]
.LBB123_373:
	s_wait_xcnt 0x0
	s_or_b32 exec_lo, exec_lo, s0
	s_wait_storecnt_dscnt 0x0
	s_barrier_signal -1
	s_barrier_wait -1
	s_clause 0x19
	scratch_load_b128 v[122:125], off, off offset:8
	scratch_load_b128 v[126:129], off, off offset:24
	scratch_load_b128 v[130:133], off, off offset:40
	scratch_load_b128 v[134:137], off, off offset:56
	scratch_load_b128 v[138:141], off, off offset:72
	scratch_load_b128 v[142:145], off, off offset:88
	scratch_load_b128 v[146:149], off, off offset:104
	scratch_load_b128 v[150:153], off, off offset:120
	scratch_load_b128 v[154:157], off, off offset:136
	scratch_load_b128 v[158:161], off, off offset:152
	scratch_load_b128 v[162:165], off, off offset:168
	scratch_load_b128 v[166:169], off, off offset:184
	scratch_load_b128 v[170:173], off, off offset:200
	scratch_load_b128 v[174:177], off, off offset:216
	scratch_load_b128 v[178:181], off, off offset:232
	scratch_load_b128 v[182:185], off, off offset:248
	scratch_load_b128 v[186:189], off, off offset:264
	scratch_load_b128 v[190:193], off, off offset:280
	scratch_load_b128 v[194:197], off, off offset:296
	scratch_load_b128 v[198:201], off, off offset:312
	scratch_load_b128 v[202:205], off, off offset:328
	scratch_load_b128 v[206:209], off, off offset:344
	scratch_load_b128 v[210:213], off, off offset:360
	scratch_load_b128 v[214:217], off, off offset:376
	scratch_load_b128 v[218:221], off, off offset:392
	scratch_load_b128 v[222:225], off, off offset:408
	v_mov_b32_e32 v0, 0
	s_clause 0x5
	scratch_load_b128 v[226:229], off, off offset:424
	scratch_load_b128 v[230:233], off, off offset:440
	scratch_load_b128 v[234:237], off, off offset:456
	s_set_vgpr_msb 64                       ;  msbs: dst=1 src0=0 src1=0 src2=0
	scratch_load_b64 v[98:99] /*v[354:355]*/, off, off offset:472
	scratch_load_b64 v[100:101] /*v[356:357]*/, off, off
	s_set_vgpr_msb 0                        ;  msbs: dst=0 src0=0 src1=0 src2=0
	ds_load_2addr_b64 v[238:241], v0 offset0:61 offset1:62
	ds_load_2addr_b64 v[242:245], v0 offset0:63 offset1:64
	;; [unrolled: 1-line block ×5, first 2 shown]
	s_set_vgpr_msb 64                       ;  msbs: dst=1 src0=0 src1=0 src2=0
	ds_load_2addr_b64 v[2:5] /*v[258:261]*/, v0 offset0:71 offset1:72
	ds_load_2addr_b64 v[6:9] /*v[262:265]*/, v0 offset0:73 offset1:74
	;; [unrolled: 1-line block ×24, first 2 shown]
	ds_load_b64 v[102:103] /*v[358:359]*/, v0 offset:952
	s_wait_dscnt 0x14
	s_set_vgpr_msb 0x41                     ;  msbs: dst=1 src0=1 src1=0 src2=0
	v_dual_mov_b32 v104 /*v360*/, v21 /*v277*/ :: v_dual_mov_b32 v105 /*v361*/, v20 /*v276*/
	s_wait_dscnt 0x11
	v_dual_mov_b32 v106 /*v362*/, v33 /*v289*/ :: v_dual_mov_b32 v107 /*v363*/, v32 /*v288*/
	s_wait_dscnt 0x10
	;; [unrolled: 2-line block ×3, first 2 shown]
	v_dual_mov_b32 v110 /*v366*/, v49 /*v305*/ :: v_dual_mov_b32 v111 /*v367*/, v48 /*v304*/
	s_and_b32 vcc_lo, exec_lo, s12
	s_wait_loadcnt 0x1e
	s_set_vgpr_msb 0                        ;  msbs: dst=0 src0=0 src1=0 src2=0
	v_dual_mul_f32 v1, v238, v123 :: v_dual_mul_f32 v123, v239, v123
	s_wait_loadcnt 0x1d
	s_set_vgpr_msb 64                       ;  msbs: dst=1 src0=0 src1=0 src2=0
	v_dual_mul_f32 v112 /*v368*/, v240, v125 :: v_dual_mul_f32 v114 /*v370*/, v242, v127
	s_wait_loadcnt 0x1b
	v_dual_mul_f32 v118 /*v374*/, v248, v133 :: v_dual_mul_f32 v119 /*v375*/, v250, v135
	s_set_vgpr_msb 0                        ;  msbs: dst=0 src0=0 src1=0 src2=0
	v_dual_mul_f32 v125, v241, v125 :: v_dual_mul_f32 v135, v251, v135
	v_dual_fmac_f32 v1, v239, v122 :: v_dual_fma_f32 v122, v238, v122, -v123
	v_dual_mul_f32 v127, v243, v127 :: v_dual_mul_f32 v123, v253, v137
	s_set_vgpr_msb 64                       ;  msbs: dst=1 src0=0 src1=0 src2=0
	v_dual_fmac_f32 v112 /*v368*/, v241, v124 :: v_dual_fmac_f32 v114 /*v370*/, v243, v126
	s_set_vgpr_msb 0                        ;  msbs: dst=0 src0=0 src1=0 src2=0
	v_dual_fma_f32 v124, v240, v124, -v125 :: v_dual_add_f32 v1, 0, v1
	s_wait_loadcnt 0x1a
	v_dual_add_f32 v122, 0, v122 :: v_dual_mul_f32 v125, v255, v139
	s_set_vgpr_msb 64                       ;  msbs: dst=1 src0=0 src1=0 src2=0
	v_dual_mul_f32 v116 /*v372*/, v244, v129 :: v_dual_mul_f32 v117 /*v373*/, v246, v131
	s_set_vgpr_msb 0                        ;  msbs: dst=0 src0=0 src1=0 src2=0
	v_dual_mul_f32 v129, v245, v129 :: v_dual_fma_f32 v126, v242, v126, -v127
	v_dual_add_f32 v122, v122, v124 :: v_dual_mul_f32 v131, v247, v131
	s_delay_alu instid0(VALU_DEP_2) | instskip(SKIP_3) | instid1(VALU_DEP_2)
	v_dual_mul_f32 v133, v249, v133 :: v_dual_fma_f32 v127, v244, v128, -v129
	s_set_vgpr_msb 64                       ;  msbs: dst=1 src0=0 src1=0 src2=0
	v_dual_fmac_f32 v116 /*v372*/, v245, v128 :: v_dual_fmac_f32 v117 /*v373*/, v247, v130
	s_set_vgpr_msb 0                        ;  msbs: dst=0 src0=0 src1=0 src2=0
	v_dual_add_f32 v122, v122, v126 :: v_dual_fma_f32 v129, v248, v132, -v133
	v_fma_f32 v128, v246, v130, -v131
	v_fma_f32 v123, v252, v136, -v123
	;; [unrolled: 1-line block ×3, first 2 shown]
	s_delay_alu instid0(VALU_DEP_4)
	v_add_f32_e32 v122, v122, v127
	s_wait_loadcnt 0x19
	s_set_vgpr_msb 1                        ;  msbs: dst=0 src0=1 src1=0 src2=0
	v_dual_mul_f32 v124, v1 /*v257*/, v141 :: v_dual_mul_f32 v126, v3 /*v259*/, v143
	s_set_vgpr_msb 0                        ;  msbs: dst=0 src0=0 src1=0 src2=0
	v_fma_f32 v125, v254, v138, -v125
	s_set_vgpr_msb 1                        ;  msbs: dst=0 src0=1 src1=0 src2=0
	v_mul_f32_e32 v127, v5 /*v261*/, v145
	s_set_vgpr_msb 0                        ;  msbs: dst=0 src0=0 src1=0 src2=0
	v_add_f32_e32 v122, v122, v128
	s_wait_loadcnt 0x18
	s_set_vgpr_msb 1                        ;  msbs: dst=0 src0=1 src1=0 src2=0
	v_mul_f32_e32 v128, v7 /*v263*/, v147
	s_set_vgpr_msb 64                       ;  msbs: dst=1 src0=0 src1=0 src2=0
	v_dual_fmac_f32 v118 /*v374*/, v249, v132 :: v_dual_fmac_f32 v119 /*v375*/, v251, v134
	s_set_vgpr_msb 1                        ;  msbs: dst=0 src0=1 src1=0 src2=0
	v_fma_f32 v124, v0 /*v256*/, v140, -v124
	s_set_vgpr_msb 0                        ;  msbs: dst=0 src0=0 src1=0 src2=0
	v_add_f32_e32 v122, v122, v129
	s_set_vgpr_msb 1                        ;  msbs: dst=0 src0=1 src1=0 src2=0
	v_mul_f32_e32 v129, v9 /*v265*/, v149
	s_set_vgpr_msb 64                       ;  msbs: dst=1 src0=0 src1=0 src2=0
	v_dual_mul_f32 v120 /*v376*/, v252, v137 :: v_dual_mul_f32 v121 /*v377*/, v254, v139
	s_set_vgpr_msb 1                        ;  msbs: dst=0 src0=1 src1=0 src2=0
	v_fma_f32 v126, v2 /*v258*/, v142, -v126
	s_set_vgpr_msb 0                        ;  msbs: dst=0 src0=0 src1=0 src2=0
	v_add_f32_e32 v122, v122, v130
	s_wait_loadcnt 0x17
	s_set_vgpr_msb 1                        ;  msbs: dst=0 src0=1 src1=0 src2=0
	v_mul_f32_e32 v130, v11 /*v267*/, v151
	s_set_vgpr_msb 64                       ;  msbs: dst=1 src0=0 src1=0 src2=0
	v_dual_fmac_f32 v120 /*v376*/, v253, v136 :: v_dual_fmac_f32 v121 /*v377*/, v255, v138
	s_set_vgpr_msb 1                        ;  msbs: dst=0 src0=1 src1=0 src2=0
	v_fma_f32 v127, v4 /*v260*/, v144, -v127
	s_set_vgpr_msb 0                        ;  msbs: dst=0 src0=0 src1=0 src2=0
	v_add_f32_e32 v122, v122, v123
	s_set_vgpr_msb 1                        ;  msbs: dst=0 src0=1 src1=0 src2=0
	v_mul_f32_e32 v123, v13 /*v269*/, v153
	s_set_vgpr_msb 0x41                     ;  msbs: dst=1 src0=1 src1=0 src2=0
	v_dual_mul_f32 v122 /*v378*/, v0 /*v256*/, v141 :: v_dual_mul_f32 v123 /*v379*/, v2 /*v258*/, v143
	s_set_vgpr_msb 1                        ;  msbs: dst=0 src0=1 src1=0 src2=0
	v_fma_f32 v128, v6 /*v262*/, v146, -v128
	s_set_vgpr_msb 0                        ;  msbs: dst=0 src0=0 src1=0 src2=0
	v_add_f32_e32 v122, v122, v125
	s_wait_loadcnt 0x16
	s_set_vgpr_msb 1                        ;  msbs: dst=0 src0=1 src1=0 src2=0
	v_mul_f32_e32 v125, v23 /*v279*/, v155
	s_set_vgpr_msb 0x41                     ;  msbs: dst=1 src0=1 src1=0 src2=0
	v_dual_fmac_f32 v122 /*v378*/, v1 /*v257*/, v140 :: v_dual_fmac_f32 v123 /*v379*/, v3 /*v259*/, v142
	s_set_vgpr_msb 1                        ;  msbs: dst=0 src0=1 src1=0 src2=0
	v_fma_f32 v129, v8 /*v264*/, v148, -v129
	s_set_vgpr_msb 0                        ;  msbs: dst=0 src0=0 src1=0 src2=0
	v_add_f32_e32 v122, v122, v124
	s_set_vgpr_msb 1                        ;  msbs: dst=0 src0=1 src1=0 src2=0
	v_mul_f32_e32 v124, v25 /*v281*/, v157
	s_set_vgpr_msb 0x41                     ;  msbs: dst=1 src0=1 src1=0 src2=0
	v_dual_mul_f32 v124 /*v380*/, v4 /*v260*/, v145 :: v_dual_mul_f32 v125 /*v381*/, v6 /*v262*/, v147
	s_set_vgpr_msb 1                        ;  msbs: dst=0 src0=1 src1=0 src2=0
	v_fma_f32 v130, v10 /*v266*/, v150, -v130
	s_set_vgpr_msb 0                        ;  msbs: dst=0 src0=0 src1=0 src2=0
	v_add_f32_e32 v122, v122, v126
	s_wait_loadcnt 0x15
	s_set_vgpr_msb 1                        ;  msbs: dst=0 src0=1 src1=0 src2=0
	v_mul_f32_e32 v126, v27 /*v283*/, v159
	s_set_vgpr_msb 0x41                     ;  msbs: dst=1 src0=1 src1=0 src2=0
	v_dual_fmac_f32 v124 /*v380*/, v5 /*v261*/, v144 :: v_dual_fmac_f32 v125 /*v381*/, v7 /*v263*/, v146
	;; [unrolled: 17-line block ×4, first 2 shown]
	s_set_vgpr_msb 1                        ;  msbs: dst=0 src0=1 src1=0 src2=0
	v_fma_f32 v127, v28 /*v284*/, v160, -v127
	s_set_vgpr_msb 0                        ;  msbs: dst=0 src0=0 src1=0 src2=0
	v_add_f32_e32 v122, v122, v123
	s_set_vgpr_msb 1                        ;  msbs: dst=0 src0=1 src1=0 src2=0
	v_mul_f32_e32 v123, v45 /*v301*/, v169
	s_set_vgpr_msb 0x41                     ;  msbs: dst=1 src0=1 src1=0 src2=0
	v_dual_mul_f32 v130 /*v386*/, v24 /*v280*/, v157 :: v_dual_mul_f32 v131 /*v387*/, v26 /*v282*/, v159
	s_set_vgpr_msb 1                        ;  msbs: dst=0 src0=1 src1=0 src2=0
	v_fma_f32 v128, v38 /*v294*/, v162, -v128
	s_set_vgpr_msb 0                        ;  msbs: dst=0 src0=0 src1=0 src2=0
	v_add_f32_e32 v122, v122, v125
	s_wait_loadcnt_dscnt 0x120c
	s_set_vgpr_msb 1                        ;  msbs: dst=0 src0=1 src1=0 src2=0
	v_mul_f32_e32 v125, v51 /*v307*/, v171
	s_set_vgpr_msb 0x41                     ;  msbs: dst=1 src0=1 src1=0 src2=0
	v_dual_fmac_f32 v130 /*v386*/, v25 /*v281*/, v156 :: v_dual_fmac_f32 v131 /*v387*/, v27 /*v283*/, v158
	s_set_vgpr_msb 1                        ;  msbs: dst=0 src0=1 src1=0 src2=0
	v_fma_f32 v129, v40 /*v296*/, v164, -v129
	s_set_vgpr_msb 0                        ;  msbs: dst=0 src0=0 src1=0 src2=0
	v_add_f32_e32 v122, v122, v124
	s_set_vgpr_msb 1                        ;  msbs: dst=0 src0=1 src1=0 src2=0
	v_mul_f32_e32 v124, v53 /*v309*/, v173
	s_set_vgpr_msb 0x41                     ;  msbs: dst=1 src0=1 src1=0 src2=0
	v_dual_mul_f32 v132 /*v388*/, v28 /*v284*/, v161 :: v_dual_mul_f32 v133 /*v389*/, v38 /*v294*/, v163
	s_set_vgpr_msb 1                        ;  msbs: dst=0 src0=1 src1=0 src2=0
	v_fma_f32 v130, v42 /*v298*/, v166, -v130
	s_set_vgpr_msb 0                        ;  msbs: dst=0 src0=0 src1=0 src2=0
	v_add_f32_e32 v122, v122, v126
	s_wait_loadcnt_dscnt 0x110b
	s_set_vgpr_msb 1                        ;  msbs: dst=0 src0=1 src1=0 src2=0
	v_mul_f32_e32 v126, v55 /*v311*/, v175
	s_set_vgpr_msb 0x41                     ;  msbs: dst=1 src0=1 src1=0 src2=0
	v_dual_fmac_f32 v132 /*v388*/, v29 /*v285*/, v160 :: v_dual_fmac_f32 v133 /*v389*/, v39 /*v295*/, v162
	;; [unrolled: 17-line block ×9, first 2 shown]
	s_set_vgpr_msb 1                        ;  msbs: dst=0 src0=1 src1=0 src2=0
	v_fma_f32 v129, v76 /*v332*/, v196, -v129
	s_set_vgpr_msb 0                        ;  msbs: dst=0 src0=0 src1=0 src2=0
	v_add_f32_e32 v122, v122, v124
	s_set_vgpr_msb 1                        ;  msbs: dst=0 src0=1 src1=0 src2=0
	v_mul_f32_e32 v124, v85 /*v341*/, v205
	s_set_vgpr_msb 0x41                     ;  msbs: dst=1 src0=1 src1=0 src2=0
	v_dual_mul_f32 v148 /*v404*/, v72 /*v328*/, v193 :: v_dual_mul_f32 v149 /*v405*/, v74 /*v330*/, v195
	s_set_vgpr_msb 1                        ;  msbs: dst=0 src0=1 src1=0 src2=0
	v_fma_f32 v130, v78 /*v334*/, v198, -v130
	s_set_vgpr_msb 0                        ;  msbs: dst=0 src0=0 src1=0 src2=0
	v_add_f32_e32 v122, v122, v126
	s_wait_loadcnt_dscnt 0x903
	s_set_vgpr_msb 1                        ;  msbs: dst=0 src0=1 src1=0 src2=0
	v_mul_f32_e32 v126, v87 /*v343*/, v207
	s_wait_loadcnt 0x6
	v_dual_mul_f32 v131, v15 /*v271*/, v219 :: v_dual_fma_f32 v123, v80 /*v336*/, v200, -v123
	s_set_vgpr_msb 0x41                     ;  msbs: dst=1 src0=1 src1=0 src2=0
	v_dual_fmac_f32 v148 /*v404*/, v73 /*v329*/, v192 :: v_dual_fmac_f32 v149 /*v405*/, v75 /*v331*/, v194
	s_set_vgpr_msb 0                        ;  msbs: dst=0 src0=0 src1=0 src2=0
	v_add_f32_e32 v122, v122, v127
	s_set_vgpr_msb 1                        ;  msbs: dst=0 src0=1 src1=0 src2=0
	v_dual_mul_f32 v127, v89 /*v345*/, v209 :: v_dual_fma_f32 v125, v82 /*v338*/, v202, -v125
	v_mul_f32_e32 v132, v17 /*v273*/, v221
	s_set_vgpr_msb 0x41                     ;  msbs: dst=1 src0=1 src1=0 src2=0
	v_dual_mul_f32 v150 /*v406*/, v76 /*v332*/, v197 :: v_dual_mul_f32 v151 /*v407*/, v78 /*v334*/, v199
	s_set_vgpr_msb 0                        ;  msbs: dst=0 src0=0 src1=0 src2=0
	v_add_f32_e32 v122, v122, v128
	s_wait_dscnt 0x2
	s_set_vgpr_msb 1                        ;  msbs: dst=0 src0=1 src1=0 src2=0
	v_dual_mul_f32 v128, v91 /*v347*/, v211 :: v_dual_fma_f32 v124, v84 /*v340*/, v204, -v124
	s_set_vgpr_msb 0x41                     ;  msbs: dst=1 src0=1 src1=0 src2=0
	v_dual_fmac_f32 v150 /*v406*/, v77 /*v333*/, v196 :: v_dual_fmac_f32 v151 /*v407*/, v79 /*v335*/, v198
	s_set_vgpr_msb 0                        ;  msbs: dst=0 src0=0 src1=0 src2=0
	v_add_f32_e32 v122, v122, v129
	s_set_vgpr_msb 1                        ;  msbs: dst=0 src0=1 src1=0 src2=0
	v_mul_f32_e32 v129, v93 /*v349*/, v213
	s_set_vgpr_msb 0x41                     ;  msbs: dst=1 src0=1 src1=0 src2=0
	v_dual_mul_f32 v152 /*v408*/, v80 /*v336*/, v201 :: v_dual_mul_f32 v153 /*v409*/, v82 /*v338*/, v203
	v_dual_mul_f32 v154 /*v410*/, v84 /*v340*/, v205 :: v_dual_mul_f32 v155 /*v411*/, v86 /*v342*/, v207
	s_set_vgpr_msb 0                        ;  msbs: dst=0 src0=0 src1=0 src2=0
	v_add_f32_e32 v122, v122, v130
	s_wait_dscnt 0x1
	s_set_vgpr_msb 1                        ;  msbs: dst=0 src0=1 src1=0 src2=0
	v_mul_f32_e32 v130, v95 /*v351*/, v215
	s_set_vgpr_msb 0x41                     ;  msbs: dst=1 src0=1 src1=0 src2=0
	v_dual_fmac_f32 v152 /*v408*/, v81 /*v337*/, v200 :: v_dual_fmac_f32 v153 /*v409*/, v83 /*v339*/, v202
	v_dual_fmac_f32 v154 /*v410*/, v85 /*v341*/, v204 :: v_dual_fmac_f32 v155 /*v411*/, v87 /*v343*/, v206
	s_set_vgpr_msb 0                        ;  msbs: dst=0 src0=0 src1=0 src2=0
	v_add_f32_e32 v122, v122, v123
	s_set_vgpr_msb 1                        ;  msbs: dst=0 src0=1 src1=0 src2=0
	v_mul_f32_e32 v123, v97 /*v353*/, v217
	s_set_vgpr_msb 0x41                     ;  msbs: dst=1 src0=1 src1=0 src2=0
	v_dual_mul_f32 v156 /*v412*/, v88 /*v344*/, v209 :: v_dual_mul_f32 v157 /*v413*/, v90 /*v346*/, v211
	v_dual_mul_f32 v158 /*v414*/, v92 /*v348*/, v213 :: v_dual_mul_f32 v159 /*v415*/, v94 /*v350*/, v215
	s_set_vgpr_msb 0                        ;  msbs: dst=0 src0=0 src1=0 src2=0
	v_add_f32_e32 v122, v122, v125
	s_set_vgpr_msb 1                        ;  msbs: dst=0 src0=1 src1=0 src2=0
	v_dual_fma_f32 v125, v86 /*v342*/, v206, -v126 :: v_dual_fma_f32 v126, v92 /*v348*/, v212, -v129
	v_dual_fma_f32 v129, v94 /*v350*/, v214, -v130 :: v_dual_fma_f32 v123, v96 /*v352*/, v216, -v123
	s_set_vgpr_msb 0                        ;  msbs: dst=0 src0=0 src1=0 src2=0
	v_add_f32_e32 v122, v122, v124
	s_wait_loadcnt 0x5
	s_set_vgpr_msb 1                        ;  msbs: dst=0 src0=1 src1=0 src2=0
	v_dual_fma_f32 v124, v88 /*v344*/, v208, -v127 :: v_dual_mul_f32 v127, v19 /*v275*/, v223
	s_set_vgpr_msb 0x41                     ;  msbs: dst=1 src0=1 src1=0 src2=0
	v_dual_fmac_f32 v156 /*v412*/, v89 /*v345*/, v208 :: v_dual_fmac_f32 v157 /*v413*/, v91 /*v347*/, v210
	s_set_vgpr_msb 0                        ;  msbs: dst=0 src0=0 src1=0 src2=0
	v_add_f32_e32 v122, v122, v125
	s_set_vgpr_msb 1                        ;  msbs: dst=0 src0=1 src1=0 src2=0
	v_fma_f32 v125, v90 /*v346*/, v210, -v128
	s_set_vgpr_msb 0x41                     ;  msbs: dst=1 src0=1 src1=0 src2=0
	v_dual_fmac_f32 v158 /*v414*/, v93 /*v349*/, v212 :: v_dual_fmac_f32 v159 /*v415*/, v95 /*v351*/, v214
	v_dual_mul_f32 v160 /*v416*/, v96 /*v352*/, v217 :: v_dual_mul_f32 v161 /*v417*/, v14 /*v270*/, v219
	s_set_vgpr_msb 0                        ;  msbs: dst=0 src0=0 src1=0 src2=0
	v_dual_add_f32 v124, v122, v124 :: v_dual_mov_b32 v122, v225
	s_set_vgpr_msb 0x41                     ;  msbs: dst=1 src0=1 src1=0 src2=0
	v_dual_mul_f32 v113 /*v369*/, v16 /*v272*/, v221 :: v_dual_mul_f32 v115 /*v371*/, v18 /*v274*/, v223
	v_dual_fmac_f32 v160 /*v416*/, v97 /*v353*/, v216 :: v_dual_fmac_f32 v161 /*v417*/, v15 /*v271*/, v218
	s_set_vgpr_msb 0                        ;  msbs: dst=0 src0=0 src1=0 src2=0
	v_add_f32_e32 v128, v124, v125
	s_set_vgpr_msb 1                        ;  msbs: dst=0 src0=1 src1=0 src2=0
	v_fma_f32 v133, v14 /*v270*/, v218, -v131
	s_set_vgpr_msb 0x41                     ;  msbs: dst=1 src0=1 src1=0 src2=0
	v_dual_fmac_f32 v113 /*v369*/, v17 /*v273*/, v220 :: v_dual_fmac_f32 v115 /*v371*/, v19 /*v275*/, v222
	s_wait_loadcnt 0x4
	s_set_vgpr_msb 1                        ;  msbs: dst=0 src0=1 src1=0 src2=0
	v_pk_mul_f32 v[124:125], v[30:31] /*v[286:287]*/, v[226:227] op_sel:[1,1] op_sel_hi:[0,1]
	s_set_vgpr_msb 0                        ;  msbs: dst=0 src0=0 src1=0 src2=0
	v_dual_add_f32 v128, v128, v126 :: v_dual_mov_b32 v126, v229
	s_set_vgpr_msb 1                        ;  msbs: dst=0 src0=1 src1=0 src2=0
	s_delay_alu instid0(VALU_DEP_2) | instskip(SKIP_1) | instid1(VALU_DEP_2)
	v_pk_fma_f32 v[136:137], v[30:31] /*v[286:287]*/, v[226:227], v[124:125] op_sel_hi:[1,0,1]
	s_set_vgpr_msb 0                        ;  msbs: dst=0 src0=0 src1=0 src2=0
	v_add_f32_e32 v130, v128, v129
	s_set_vgpr_msb 1                        ;  msbs: dst=0 src0=1 src1=0 src2=0
	v_pk_fma_f32 v[124:125], v[30:31] /*v[286:287]*/, v[226:227], v[124:125] neg_lo:[0,0,1] neg_hi:[0,0,1]
	s_wait_loadcnt 0x3
	v_pk_mul_f32 v[128:129], v[34:35] /*v[290:291]*/, v[230:231] op_sel:[1,1] op_sel_hi:[0,1]
	s_set_vgpr_msb 0                        ;  msbs: dst=0 src0=0 src1=0 src2=0
	v_dual_mov_b32 v125, v137 :: v_dual_add_f32 v130, v130, v123
	s_set_vgpr_msb 1                        ;  msbs: dst=0 src0=1 src1=0 src2=0
	v_pk_mul_f32 v[122:123], v[104:105] /*v[360:361]*/, v[122:123] op_sel_hi:[1,0]
	s_set_vgpr_msb 0                        ;  msbs: dst=0 src0=0 src1=0 src2=0
	s_delay_alu instid0(VALU_DEP_2) | instskip(SKIP_1) | instid1(VALU_DEP_2)
	v_add_f32_e32 v130, v130, v133
	s_set_vgpr_msb 1                        ;  msbs: dst=0 src0=1 src1=0 src2=0
	v_pk_fma_f32 v[134:135], v[20:21] /*v[276:277]*/, v[224:225], v[122:123] op_sel_hi:[1,0,1]
	s_set_vgpr_msb 4                        ;  msbs: dst=0 src0=0 src1=1 src2=0
	v_add_f32_e32 v1, v1, v112 /*v368*/
	s_set_vgpr_msb 1                        ;  msbs: dst=0 src0=1 src1=0 src2=0
	v_pk_fma_f32 v[122:123], v[20:21] /*v[276:277]*/, v[224:225], v[122:123] neg_lo:[0,0,1] neg_hi:[0,0,1]
	s_set_vgpr_msb 0x41                     ;  msbs: dst=1 src0=1 src1=0 src2=0
	v_fma_f32 v112 /*v368*/, v16 /*v272*/, v220, -v132
	s_set_vgpr_msb 4                        ;  msbs: dst=0 src0=0 src1=1 src2=0
	v_dual_mov_b32 v132, v233 :: v_dual_mov_b32 v123, v135
	v_add_f32_e32 v1, v1, v114 /*v370*/
	s_set_vgpr_msb 0x41                     ;  msbs: dst=1 src0=1 src1=0 src2=0
	v_fma_f32 v114 /*v370*/, v18 /*v274*/, v222, -v127
	s_set_vgpr_msb 1                        ;  msbs: dst=0 src0=1 src1=0 src2=0
	v_pk_mul_f32 v[126:127], v[106:107] /*v[362:363]*/, v[126:127] op_sel_hi:[1,0]
	v_pk_mul_f32 v[132:133], v[108:109] /*v[364:365]*/, v[132:133] op_sel_hi:[1,0]
	s_wait_loadcnt 0x2
	v_pk_mul_f32 v[134:135], v[46:47] /*v[302:303]*/, v[234:235] op_sel:[1,1] op_sel_hi:[0,1]
	s_set_vgpr_msb 4                        ;  msbs: dst=0 src0=0 src1=1 src2=0
	v_add_f32_e32 v1, v1, v116 /*v372*/
	s_set_vgpr_msb 1                        ;  msbs: dst=0 src0=1 src1=0 src2=0
	v_pk_fma_f32 v[136:137], v[32:33] /*v[288:289]*/, v[228:229], v[126:127] op_sel_hi:[1,0,1]
	v_pk_fma_f32 v[126:127], v[32:33] /*v[288:289]*/, v[228:229], v[126:127] neg_lo:[0,0,1] neg_hi:[0,0,1]
	s_set_vgpr_msb 4                        ;  msbs: dst=0 src0=0 src1=1 src2=0
	v_add_f32_e32 v1, v1, v117 /*v373*/
	s_delay_alu instid0(VALU_DEP_3) | instskip(NEXT) | instid1(VALU_DEP_2)
	v_mov_b32_e32 v127, v137
	v_add_f32_e32 v1, v1, v118 /*v374*/
	s_delay_alu instid0(VALU_DEP_1) | instskip(NEXT) | instid1(VALU_DEP_1)
	v_add_f32_e32 v1, v1, v119 /*v375*/
	v_add_f32_e32 v1, v1, v120 /*v376*/
	s_delay_alu instid0(VALU_DEP_1) | instskip(NEXT) | instid1(VALU_DEP_1)
	v_add_f32_e32 v1, v1, v121 /*v377*/
	;; [unrolled: 3-line block ×22, first 2 shown]
	v_pk_add_f32 v[130:131], v[130:131], v[112:113] /*v[368:369]*/
	s_delay_alu instid0(VALU_DEP_1) | instskip(SKIP_1) | instid1(VALU_DEP_1)
	v_pk_add_f32 v[130:131], v[130:131], v[114:115] /*v[370:371]*/
	s_set_vgpr_msb 0                        ;  msbs: dst=0 src0=0 src1=0 src2=0
	v_pk_add_f32 v[122:123], v[130:131], v[122:123]
	s_set_vgpr_msb 1                        ;  msbs: dst=0 src0=1 src1=0 src2=0
	v_pk_fma_f32 v[130:131], v[34:35] /*v[290:291]*/, v[230:231], v[128:129] op_sel_hi:[1,0,1]
	v_pk_fma_f32 v[128:129], v[34:35] /*v[290:291]*/, v[230:231], v[128:129] neg_lo:[0,0,1] neg_hi:[0,0,1]
	s_set_vgpr_msb 0                        ;  msbs: dst=0 src0=0 src1=0 src2=0
	v_pk_add_f32 v[122:123], v[122:123], v[124:125]
	s_delay_alu instid0(VALU_DEP_3)
	v_dual_mov_b32 v124, v237 :: v_dual_mov_b32 v129, v131
	s_set_vgpr_msb 1                        ;  msbs: dst=0 src0=1 src1=0 src2=0
	v_pk_fma_f32 v[130:131], v[36:37] /*v[292:293]*/, v[232:233], v[132:133] op_sel_hi:[1,0,1]
	v_pk_fma_f32 v[132:133], v[36:37] /*v[292:293]*/, v[232:233], v[132:133] neg_lo:[0,0,1] neg_hi:[0,0,1]
	s_set_vgpr_msb 0                        ;  msbs: dst=0 src0=0 src1=0 src2=0
	v_pk_add_f32 v[122:123], v[122:123], v[126:127]
	s_set_vgpr_msb 1                        ;  msbs: dst=0 src0=1 src1=0 src2=0
	v_pk_fma_f32 v[126:127], v[46:47] /*v[302:303]*/, v[234:235], v[134:135] op_sel_hi:[1,0,1]
	v_pk_mul_f32 v[124:125], v[110:111] /*v[366:367]*/, v[124:125] op_sel_hi:[1,0]
	s_set_vgpr_msb 0                        ;  msbs: dst=0 src0=0 src1=0 src2=0
	v_mov_b32_e32 v133, v131
	s_set_vgpr_msb 1                        ;  msbs: dst=0 src0=1 src1=0 src2=0
	v_pk_fma_f32 v[130:131], v[46:47] /*v[302:303]*/, v[234:235], v[134:135] neg_lo:[0,0,1] neg_hi:[0,0,1]
	s_set_vgpr_msb 0                        ;  msbs: dst=0 src0=0 src1=0 src2=0
	v_pk_add_f32 v[122:123], v[122:123], v[128:129]
	s_wait_loadcnt_dscnt 0x100
	s_set_vgpr_msb 5                        ;  msbs: dst=0 src0=1 src1=1 src2=0
	v_pk_mul_f32 v[128:129], v[102:103] /*v[358:359]*/, v[98:99] /*v[354:355]*/ op_sel:[1,1] op_sel_hi:[0,1]
	s_set_vgpr_msb 0                        ;  msbs: dst=0 src0=0 src1=0 src2=0
	v_mov_b32_e32 v131, v127
	s_set_vgpr_msb 1                        ;  msbs: dst=0 src0=1 src1=0 src2=0
	v_pk_fma_f32 v[126:127], v[48:49] /*v[304:305]*/, v[236:237], v[124:125] op_sel_hi:[1,0,1]
	v_pk_fma_f32 v[124:125], v[48:49] /*v[304:305]*/, v[236:237], v[124:125] neg_lo:[0,0,1] neg_hi:[0,0,1]
	s_set_vgpr_msb 0                        ;  msbs: dst=0 src0=0 src1=0 src2=0
	v_pk_add_f32 v[122:123], v[122:123], v[132:133]
	s_set_vgpr_msb 5                        ;  msbs: dst=0 src0=1 src1=1 src2=0
	v_pk_fma_f32 v[132:133], v[102:103] /*v[358:359]*/, v[98:99] /*v[354:355]*/, v[128:129] op_sel_hi:[1,0,1]
	s_set_vgpr_msb 0                        ;  msbs: dst=0 src0=0 src1=0 src2=0
	v_mov_b32_e32 v125, v127
	s_set_vgpr_msb 5                        ;  msbs: dst=0 src0=1 src1=1 src2=0
	v_pk_fma_f32 v[126:127], v[102:103] /*v[358:359]*/, v[98:99] /*v[354:355]*/, v[128:129] neg_lo:[0,0,1] neg_hi:[0,0,1]
	s_set_vgpr_msb 0                        ;  msbs: dst=0 src0=0 src1=0 src2=0
	v_pk_add_f32 v[122:123], v[122:123], v[130:131]
	v_mov_b32_e32 v127, v133
	s_delay_alu instid0(VALU_DEP_2) | instskip(NEXT) | instid1(VALU_DEP_1)
	v_pk_add_f32 v[122:123], v[122:123], v[124:125]
	v_pk_add_f32 v[122:123], v[122:123], v[126:127]
	s_wait_loadcnt 0x0
	s_set_vgpr_msb 1                        ;  msbs: dst=0 src0=1 src1=0 src2=0
	s_delay_alu instid0(VALU_DEP_1)
	v_pk_add_f32 v[130:131], v[100:101] /*v[356:357]*/, v[122:123] neg_lo:[0,1] neg_hi:[0,1]
	scratch_store_b64 off, v[130:131], off
	s_set_vgpr_msb 0                        ;  msbs: dst=0 src0=0 src1=0 src2=0
	s_cbranch_vccz .LBB123_492
; %bb.374:
	global_load_b32 v0, v0, s[8:9] offset:232
	s_wait_loadcnt 0x0
	v_cmp_ne_u32_e32 vcc_lo, 59, v0
	s_cbranch_vccz .LBB123_376
; %bb.375:
	s_wait_xcnt 0x0
	v_lshlrev_b32_e32 v0, 3, v0
	s_delay_alu instid0(VALU_DEP_1)
	v_mov_b32_e32 v124, v0
	scratch_load_b64 v[0:1], v124, off offset:-8
	scratch_load_b64 v[122:123], off, off offset:464
	s_wait_loadcnt 0x1
	scratch_store_b64 off, v[0:1], off offset:464
	s_wait_loadcnt 0x0
	scratch_store_b64 v124, v[122:123], off offset:-8
.LBB123_376:
	s_wait_xcnt 0x0
	v_mov_b32_e32 v0, 0
	global_load_b32 v1, v0, s[8:9] offset:228
	s_wait_loadcnt 0x0
	v_cmp_eq_u32_e32 vcc_lo, 58, v1
	s_cbranch_vccnz .LBB123_378
; %bb.377:
	v_lshlrev_b32_e32 v1, 3, v1
	scratch_load_b64 v[122:123], v1, off offset:-8
	scratch_load_b64 v[124:125], off, off offset:456
	s_wait_loadcnt 0x1
	scratch_store_b64 off, v[122:123], off offset:456
	s_wait_loadcnt 0x0
	scratch_store_b64 v1, v[124:125], off offset:-8
.LBB123_378:
	global_load_b32 v0, v0, s[8:9] offset:224
	s_wait_loadcnt 0x0
	v_cmp_eq_u32_e32 vcc_lo, 57, v0
	s_cbranch_vccnz .LBB123_380
; %bb.379:
	s_wait_xcnt 0x0
	v_lshlrev_b32_e32 v0, 3, v0
	s_delay_alu instid0(VALU_DEP_1)
	v_mov_b32_e32 v124, v0
	scratch_load_b64 v[0:1], v124, off offset:-8
	scratch_load_b64 v[122:123], off, off offset:448
	s_wait_loadcnt 0x1
	scratch_store_b64 off, v[0:1], off offset:448
	s_wait_loadcnt 0x0
	scratch_store_b64 v124, v[122:123], off offset:-8
.LBB123_380:
	s_wait_xcnt 0x0
	v_mov_b32_e32 v0, 0
	global_load_b32 v1, v0, s[8:9] offset:220
	s_wait_loadcnt 0x0
	v_cmp_eq_u32_e32 vcc_lo, 56, v1
	s_cbranch_vccnz .LBB123_382
; %bb.381:
	v_lshlrev_b32_e32 v1, 3, v1
	scratch_load_b64 v[122:123], v1, off offset:-8
	scratch_load_b64 v[124:125], off, off offset:440
	s_wait_loadcnt 0x1
	scratch_store_b64 off, v[122:123], off offset:440
	s_wait_loadcnt 0x0
	scratch_store_b64 v1, v[124:125], off offset:-8
.LBB123_382:
	global_load_b32 v0, v0, s[8:9] offset:216
	s_wait_loadcnt 0x0
	v_cmp_eq_u32_e32 vcc_lo, 55, v0
	s_cbranch_vccnz .LBB123_384
; %bb.383:
	s_wait_xcnt 0x0
	v_lshlrev_b32_e32 v0, 3, v0
	s_delay_alu instid0(VALU_DEP_1)
	v_mov_b32_e32 v124, v0
	scratch_load_b64 v[0:1], v124, off offset:-8
	scratch_load_b64 v[122:123], off, off offset:432
	s_wait_loadcnt 0x1
	scratch_store_b64 off, v[0:1], off offset:432
	s_wait_loadcnt 0x0
	scratch_store_b64 v124, v[122:123], off offset:-8
.LBB123_384:
	s_wait_xcnt 0x0
	v_mov_b32_e32 v0, 0
	global_load_b32 v1, v0, s[8:9] offset:212
	s_wait_loadcnt 0x0
	v_cmp_eq_u32_e32 vcc_lo, 54, v1
	s_cbranch_vccnz .LBB123_386
; %bb.385:
	v_lshlrev_b32_e32 v1, 3, v1
	scratch_load_b64 v[122:123], v1, off offset:-8
	scratch_load_b64 v[124:125], off, off offset:424
	s_wait_loadcnt 0x1
	scratch_store_b64 off, v[122:123], off offset:424
	s_wait_loadcnt 0x0
	scratch_store_b64 v1, v[124:125], off offset:-8
.LBB123_386:
	global_load_b32 v0, v0, s[8:9] offset:208
	s_wait_loadcnt 0x0
	v_cmp_eq_u32_e32 vcc_lo, 53, v0
	s_cbranch_vccnz .LBB123_388
; %bb.387:
	s_wait_xcnt 0x0
	v_lshlrev_b32_e32 v0, 3, v0
	s_delay_alu instid0(VALU_DEP_1)
	v_mov_b32_e32 v124, v0
	scratch_load_b64 v[0:1], v124, off offset:-8
	scratch_load_b64 v[122:123], off, off offset:416
	s_wait_loadcnt 0x1
	scratch_store_b64 off, v[0:1], off offset:416
	s_wait_loadcnt 0x0
	scratch_store_b64 v124, v[122:123], off offset:-8
.LBB123_388:
	s_wait_xcnt 0x0
	v_mov_b32_e32 v0, 0
	global_load_b32 v1, v0, s[8:9] offset:204
	s_wait_loadcnt 0x0
	v_cmp_eq_u32_e32 vcc_lo, 52, v1
	s_cbranch_vccnz .LBB123_390
; %bb.389:
	v_lshlrev_b32_e32 v1, 3, v1
	scratch_load_b64 v[122:123], v1, off offset:-8
	scratch_load_b64 v[124:125], off, off offset:408
	s_wait_loadcnt 0x1
	scratch_store_b64 off, v[122:123], off offset:408
	s_wait_loadcnt 0x0
	scratch_store_b64 v1, v[124:125], off offset:-8
.LBB123_390:
	global_load_b32 v0, v0, s[8:9] offset:200
	s_wait_loadcnt 0x0
	v_cmp_eq_u32_e32 vcc_lo, 51, v0
	s_cbranch_vccnz .LBB123_392
; %bb.391:
	s_wait_xcnt 0x0
	v_lshlrev_b32_e32 v0, 3, v0
	s_delay_alu instid0(VALU_DEP_1)
	v_mov_b32_e32 v124, v0
	scratch_load_b64 v[0:1], v124, off offset:-8
	scratch_load_b64 v[122:123], off, off offset:400
	s_wait_loadcnt 0x1
	scratch_store_b64 off, v[0:1], off offset:400
	s_wait_loadcnt 0x0
	scratch_store_b64 v124, v[122:123], off offset:-8
.LBB123_392:
	s_wait_xcnt 0x0
	v_mov_b32_e32 v0, 0
	global_load_b32 v1, v0, s[8:9] offset:196
	s_wait_loadcnt 0x0
	v_cmp_eq_u32_e32 vcc_lo, 50, v1
	s_cbranch_vccnz .LBB123_394
; %bb.393:
	v_lshlrev_b32_e32 v1, 3, v1
	scratch_load_b64 v[122:123], v1, off offset:-8
	scratch_load_b64 v[124:125], off, off offset:392
	s_wait_loadcnt 0x1
	scratch_store_b64 off, v[122:123], off offset:392
	s_wait_loadcnt 0x0
	scratch_store_b64 v1, v[124:125], off offset:-8
.LBB123_394:
	global_load_b32 v0, v0, s[8:9] offset:192
	s_wait_loadcnt 0x0
	v_cmp_eq_u32_e32 vcc_lo, 49, v0
	s_cbranch_vccnz .LBB123_396
; %bb.395:
	s_wait_xcnt 0x0
	v_lshlrev_b32_e32 v0, 3, v0
	s_delay_alu instid0(VALU_DEP_1)
	v_mov_b32_e32 v124, v0
	scratch_load_b64 v[0:1], v124, off offset:-8
	scratch_load_b64 v[122:123], off, off offset:384
	s_wait_loadcnt 0x1
	scratch_store_b64 off, v[0:1], off offset:384
	s_wait_loadcnt 0x0
	scratch_store_b64 v124, v[122:123], off offset:-8
.LBB123_396:
	s_wait_xcnt 0x0
	v_mov_b32_e32 v0, 0
	global_load_b32 v1, v0, s[8:9] offset:188
	s_wait_loadcnt 0x0
	v_cmp_eq_u32_e32 vcc_lo, 48, v1
	s_cbranch_vccnz .LBB123_398
; %bb.397:
	v_lshlrev_b32_e32 v1, 3, v1
	scratch_load_b64 v[122:123], v1, off offset:-8
	scratch_load_b64 v[124:125], off, off offset:376
	s_wait_loadcnt 0x1
	scratch_store_b64 off, v[122:123], off offset:376
	s_wait_loadcnt 0x0
	scratch_store_b64 v1, v[124:125], off offset:-8
.LBB123_398:
	global_load_b32 v0, v0, s[8:9] offset:184
	s_wait_loadcnt 0x0
	v_cmp_eq_u32_e32 vcc_lo, 47, v0
	s_cbranch_vccnz .LBB123_400
; %bb.399:
	s_wait_xcnt 0x0
	v_lshlrev_b32_e32 v0, 3, v0
	s_delay_alu instid0(VALU_DEP_1)
	v_mov_b32_e32 v124, v0
	scratch_load_b64 v[0:1], v124, off offset:-8
	scratch_load_b64 v[122:123], off, off offset:368
	s_wait_loadcnt 0x1
	scratch_store_b64 off, v[0:1], off offset:368
	s_wait_loadcnt 0x0
	scratch_store_b64 v124, v[122:123], off offset:-8
.LBB123_400:
	s_wait_xcnt 0x0
	v_mov_b32_e32 v0, 0
	global_load_b32 v1, v0, s[8:9] offset:180
	s_wait_loadcnt 0x0
	v_cmp_eq_u32_e32 vcc_lo, 46, v1
	s_cbranch_vccnz .LBB123_402
; %bb.401:
	v_lshlrev_b32_e32 v1, 3, v1
	scratch_load_b64 v[122:123], v1, off offset:-8
	scratch_load_b64 v[124:125], off, off offset:360
	s_wait_loadcnt 0x1
	scratch_store_b64 off, v[122:123], off offset:360
	s_wait_loadcnt 0x0
	scratch_store_b64 v1, v[124:125], off offset:-8
.LBB123_402:
	global_load_b32 v0, v0, s[8:9] offset:176
	s_wait_loadcnt 0x0
	v_cmp_eq_u32_e32 vcc_lo, 45, v0
	s_cbranch_vccnz .LBB123_404
; %bb.403:
	s_wait_xcnt 0x0
	v_lshlrev_b32_e32 v0, 3, v0
	s_delay_alu instid0(VALU_DEP_1)
	v_mov_b32_e32 v124, v0
	scratch_load_b64 v[0:1], v124, off offset:-8
	scratch_load_b64 v[122:123], off, off offset:352
	s_wait_loadcnt 0x1
	scratch_store_b64 off, v[0:1], off offset:352
	s_wait_loadcnt 0x0
	scratch_store_b64 v124, v[122:123], off offset:-8
.LBB123_404:
	s_wait_xcnt 0x0
	v_mov_b32_e32 v0, 0
	global_load_b32 v1, v0, s[8:9] offset:172
	s_wait_loadcnt 0x0
	v_cmp_eq_u32_e32 vcc_lo, 44, v1
	s_cbranch_vccnz .LBB123_406
; %bb.405:
	v_lshlrev_b32_e32 v1, 3, v1
	scratch_load_b64 v[122:123], v1, off offset:-8
	scratch_load_b64 v[124:125], off, off offset:344
	s_wait_loadcnt 0x1
	scratch_store_b64 off, v[122:123], off offset:344
	s_wait_loadcnt 0x0
	scratch_store_b64 v1, v[124:125], off offset:-8
.LBB123_406:
	global_load_b32 v0, v0, s[8:9] offset:168
	s_wait_loadcnt 0x0
	v_cmp_eq_u32_e32 vcc_lo, 43, v0
	s_cbranch_vccnz .LBB123_408
; %bb.407:
	s_wait_xcnt 0x0
	v_lshlrev_b32_e32 v0, 3, v0
	s_delay_alu instid0(VALU_DEP_1)
	v_mov_b32_e32 v124, v0
	scratch_load_b64 v[0:1], v124, off offset:-8
	scratch_load_b64 v[122:123], off, off offset:336
	s_wait_loadcnt 0x1
	scratch_store_b64 off, v[0:1], off offset:336
	s_wait_loadcnt 0x0
	scratch_store_b64 v124, v[122:123], off offset:-8
.LBB123_408:
	s_wait_xcnt 0x0
	v_mov_b32_e32 v0, 0
	global_load_b32 v1, v0, s[8:9] offset:164
	s_wait_loadcnt 0x0
	v_cmp_eq_u32_e32 vcc_lo, 42, v1
	s_cbranch_vccnz .LBB123_410
; %bb.409:
	v_lshlrev_b32_e32 v1, 3, v1
	scratch_load_b64 v[122:123], v1, off offset:-8
	scratch_load_b64 v[124:125], off, off offset:328
	s_wait_loadcnt 0x1
	scratch_store_b64 off, v[122:123], off offset:328
	s_wait_loadcnt 0x0
	scratch_store_b64 v1, v[124:125], off offset:-8
.LBB123_410:
	global_load_b32 v0, v0, s[8:9] offset:160
	s_wait_loadcnt 0x0
	v_cmp_eq_u32_e32 vcc_lo, 41, v0
	s_cbranch_vccnz .LBB123_412
; %bb.411:
	s_wait_xcnt 0x0
	v_lshlrev_b32_e32 v0, 3, v0
	s_delay_alu instid0(VALU_DEP_1)
	v_mov_b32_e32 v124, v0
	scratch_load_b64 v[0:1], v124, off offset:-8
	scratch_load_b64 v[122:123], off, off offset:320
	s_wait_loadcnt 0x1
	scratch_store_b64 off, v[0:1], off offset:320
	s_wait_loadcnt 0x0
	scratch_store_b64 v124, v[122:123], off offset:-8
.LBB123_412:
	s_wait_xcnt 0x0
	v_mov_b32_e32 v0, 0
	global_load_b32 v1, v0, s[8:9] offset:156
	s_wait_loadcnt 0x0
	v_cmp_eq_u32_e32 vcc_lo, 40, v1
	s_cbranch_vccnz .LBB123_414
; %bb.413:
	v_lshlrev_b32_e32 v1, 3, v1
	scratch_load_b64 v[122:123], v1, off offset:-8
	scratch_load_b64 v[124:125], off, off offset:312
	s_wait_loadcnt 0x1
	scratch_store_b64 off, v[122:123], off offset:312
	s_wait_loadcnt 0x0
	scratch_store_b64 v1, v[124:125], off offset:-8
.LBB123_414:
	global_load_b32 v0, v0, s[8:9] offset:152
	s_wait_loadcnt 0x0
	v_cmp_eq_u32_e32 vcc_lo, 39, v0
	s_cbranch_vccnz .LBB123_416
; %bb.415:
	s_wait_xcnt 0x0
	v_lshlrev_b32_e32 v0, 3, v0
	s_delay_alu instid0(VALU_DEP_1)
	v_mov_b32_e32 v124, v0
	scratch_load_b64 v[0:1], v124, off offset:-8
	scratch_load_b64 v[122:123], off, off offset:304
	s_wait_loadcnt 0x1
	scratch_store_b64 off, v[0:1], off offset:304
	s_wait_loadcnt 0x0
	scratch_store_b64 v124, v[122:123], off offset:-8
.LBB123_416:
	s_wait_xcnt 0x0
	v_mov_b32_e32 v0, 0
	global_load_b32 v1, v0, s[8:9] offset:148
	s_wait_loadcnt 0x0
	v_cmp_eq_u32_e32 vcc_lo, 38, v1
	s_cbranch_vccnz .LBB123_418
; %bb.417:
	v_lshlrev_b32_e32 v1, 3, v1
	scratch_load_b64 v[122:123], v1, off offset:-8
	scratch_load_b64 v[124:125], off, off offset:296
	s_wait_loadcnt 0x1
	scratch_store_b64 off, v[122:123], off offset:296
	s_wait_loadcnt 0x0
	scratch_store_b64 v1, v[124:125], off offset:-8
.LBB123_418:
	global_load_b32 v0, v0, s[8:9] offset:144
	s_wait_loadcnt 0x0
	v_cmp_eq_u32_e32 vcc_lo, 37, v0
	s_cbranch_vccnz .LBB123_420
; %bb.419:
	s_wait_xcnt 0x0
	v_lshlrev_b32_e32 v0, 3, v0
	s_delay_alu instid0(VALU_DEP_1)
	v_mov_b32_e32 v124, v0
	scratch_load_b64 v[0:1], v124, off offset:-8
	scratch_load_b64 v[122:123], off, off offset:288
	s_wait_loadcnt 0x1
	scratch_store_b64 off, v[0:1], off offset:288
	s_wait_loadcnt 0x0
	scratch_store_b64 v124, v[122:123], off offset:-8
.LBB123_420:
	s_wait_xcnt 0x0
	v_mov_b32_e32 v0, 0
	global_load_b32 v1, v0, s[8:9] offset:140
	s_wait_loadcnt 0x0
	v_cmp_eq_u32_e32 vcc_lo, 36, v1
	s_cbranch_vccnz .LBB123_422
; %bb.421:
	v_lshlrev_b32_e32 v1, 3, v1
	scratch_load_b64 v[122:123], v1, off offset:-8
	scratch_load_b64 v[124:125], off, off offset:280
	s_wait_loadcnt 0x1
	scratch_store_b64 off, v[122:123], off offset:280
	s_wait_loadcnt 0x0
	scratch_store_b64 v1, v[124:125], off offset:-8
.LBB123_422:
	global_load_b32 v0, v0, s[8:9] offset:136
	s_wait_loadcnt 0x0
	v_cmp_eq_u32_e32 vcc_lo, 35, v0
	s_cbranch_vccnz .LBB123_424
; %bb.423:
	s_wait_xcnt 0x0
	v_lshlrev_b32_e32 v0, 3, v0
	s_delay_alu instid0(VALU_DEP_1)
	v_mov_b32_e32 v124, v0
	scratch_load_b64 v[0:1], v124, off offset:-8
	scratch_load_b64 v[122:123], off, off offset:272
	s_wait_loadcnt 0x1
	scratch_store_b64 off, v[0:1], off offset:272
	s_wait_loadcnt 0x0
	scratch_store_b64 v124, v[122:123], off offset:-8
.LBB123_424:
	s_wait_xcnt 0x0
	v_mov_b32_e32 v0, 0
	global_load_b32 v1, v0, s[8:9] offset:132
	s_wait_loadcnt 0x0
	v_cmp_eq_u32_e32 vcc_lo, 34, v1
	s_cbranch_vccnz .LBB123_426
; %bb.425:
	v_lshlrev_b32_e32 v1, 3, v1
	scratch_load_b64 v[122:123], v1, off offset:-8
	scratch_load_b64 v[124:125], off, off offset:264
	s_wait_loadcnt 0x1
	scratch_store_b64 off, v[122:123], off offset:264
	s_wait_loadcnt 0x0
	scratch_store_b64 v1, v[124:125], off offset:-8
.LBB123_426:
	global_load_b32 v0, v0, s[8:9] offset:128
	s_wait_loadcnt 0x0
	v_cmp_eq_u32_e32 vcc_lo, 33, v0
	s_cbranch_vccnz .LBB123_428
; %bb.427:
	s_wait_xcnt 0x0
	v_lshlrev_b32_e32 v0, 3, v0
	s_delay_alu instid0(VALU_DEP_1)
	v_mov_b32_e32 v124, v0
	scratch_load_b64 v[0:1], v124, off offset:-8
	scratch_load_b64 v[122:123], off, off offset:256
	s_wait_loadcnt 0x1
	scratch_store_b64 off, v[0:1], off offset:256
	s_wait_loadcnt 0x0
	scratch_store_b64 v124, v[122:123], off offset:-8
.LBB123_428:
	s_wait_xcnt 0x0
	v_mov_b32_e32 v0, 0
	global_load_b32 v1, v0, s[8:9] offset:124
	s_wait_loadcnt 0x0
	v_cmp_eq_u32_e32 vcc_lo, 32, v1
	s_cbranch_vccnz .LBB123_430
; %bb.429:
	v_lshlrev_b32_e32 v1, 3, v1
	scratch_load_b64 v[122:123], v1, off offset:-8
	scratch_load_b64 v[124:125], off, off offset:248
	s_wait_loadcnt 0x1
	scratch_store_b64 off, v[122:123], off offset:248
	s_wait_loadcnt 0x0
	scratch_store_b64 v1, v[124:125], off offset:-8
.LBB123_430:
	global_load_b32 v0, v0, s[8:9] offset:120
	s_wait_loadcnt 0x0
	v_cmp_eq_u32_e32 vcc_lo, 31, v0
	s_cbranch_vccnz .LBB123_432
; %bb.431:
	s_wait_xcnt 0x0
	v_lshlrev_b32_e32 v0, 3, v0
	s_delay_alu instid0(VALU_DEP_1)
	v_mov_b32_e32 v124, v0
	scratch_load_b64 v[0:1], v124, off offset:-8
	scratch_load_b64 v[122:123], off, off offset:240
	s_wait_loadcnt 0x1
	scratch_store_b64 off, v[0:1], off offset:240
	s_wait_loadcnt 0x0
	scratch_store_b64 v124, v[122:123], off offset:-8
.LBB123_432:
	s_wait_xcnt 0x0
	v_mov_b32_e32 v0, 0
	global_load_b32 v1, v0, s[8:9] offset:116
	s_wait_loadcnt 0x0
	v_cmp_eq_u32_e32 vcc_lo, 30, v1
	s_cbranch_vccnz .LBB123_434
; %bb.433:
	v_lshlrev_b32_e32 v1, 3, v1
	scratch_load_b64 v[122:123], v1, off offset:-8
	scratch_load_b64 v[124:125], off, off offset:232
	s_wait_loadcnt 0x1
	scratch_store_b64 off, v[122:123], off offset:232
	s_wait_loadcnt 0x0
	scratch_store_b64 v1, v[124:125], off offset:-8
.LBB123_434:
	global_load_b32 v0, v0, s[8:9] offset:112
	s_wait_loadcnt 0x0
	v_cmp_eq_u32_e32 vcc_lo, 29, v0
	s_cbranch_vccnz .LBB123_436
; %bb.435:
	s_wait_xcnt 0x0
	v_lshlrev_b32_e32 v0, 3, v0
	s_delay_alu instid0(VALU_DEP_1)
	v_mov_b32_e32 v124, v0
	scratch_load_b64 v[0:1], v124, off offset:-8
	scratch_load_b64 v[122:123], off, off offset:224
	s_wait_loadcnt 0x1
	scratch_store_b64 off, v[0:1], off offset:224
	s_wait_loadcnt 0x0
	scratch_store_b64 v124, v[122:123], off offset:-8
.LBB123_436:
	s_wait_xcnt 0x0
	v_mov_b32_e32 v0, 0
	global_load_b32 v1, v0, s[8:9] offset:108
	s_wait_loadcnt 0x0
	v_cmp_eq_u32_e32 vcc_lo, 28, v1
	s_cbranch_vccnz .LBB123_438
; %bb.437:
	v_lshlrev_b32_e32 v1, 3, v1
	scratch_load_b64 v[122:123], v1, off offset:-8
	scratch_load_b64 v[124:125], off, off offset:216
	s_wait_loadcnt 0x1
	scratch_store_b64 off, v[122:123], off offset:216
	s_wait_loadcnt 0x0
	scratch_store_b64 v1, v[124:125], off offset:-8
.LBB123_438:
	global_load_b32 v0, v0, s[8:9] offset:104
	s_wait_loadcnt 0x0
	v_cmp_eq_u32_e32 vcc_lo, 27, v0
	s_cbranch_vccnz .LBB123_440
; %bb.439:
	s_wait_xcnt 0x0
	v_lshlrev_b32_e32 v0, 3, v0
	s_delay_alu instid0(VALU_DEP_1)
	v_mov_b32_e32 v124, v0
	scratch_load_b64 v[0:1], v124, off offset:-8
	scratch_load_b64 v[122:123], off, off offset:208
	s_wait_loadcnt 0x1
	scratch_store_b64 off, v[0:1], off offset:208
	s_wait_loadcnt 0x0
	scratch_store_b64 v124, v[122:123], off offset:-8
.LBB123_440:
	s_wait_xcnt 0x0
	v_mov_b32_e32 v0, 0
	global_load_b32 v1, v0, s[8:9] offset:100
	s_wait_loadcnt 0x0
	v_cmp_eq_u32_e32 vcc_lo, 26, v1
	s_cbranch_vccnz .LBB123_442
; %bb.441:
	v_lshlrev_b32_e32 v1, 3, v1
	scratch_load_b64 v[122:123], v1, off offset:-8
	scratch_load_b64 v[124:125], off, off offset:200
	s_wait_loadcnt 0x1
	scratch_store_b64 off, v[122:123], off offset:200
	s_wait_loadcnt 0x0
	scratch_store_b64 v1, v[124:125], off offset:-8
.LBB123_442:
	global_load_b32 v0, v0, s[8:9] offset:96
	s_wait_loadcnt 0x0
	v_cmp_eq_u32_e32 vcc_lo, 25, v0
	s_cbranch_vccnz .LBB123_444
; %bb.443:
	s_wait_xcnt 0x0
	v_lshlrev_b32_e32 v0, 3, v0
	s_delay_alu instid0(VALU_DEP_1)
	v_mov_b32_e32 v124, v0
	scratch_load_b64 v[0:1], v124, off offset:-8
	scratch_load_b64 v[122:123], off, off offset:192
	s_wait_loadcnt 0x1
	scratch_store_b64 off, v[0:1], off offset:192
	s_wait_loadcnt 0x0
	scratch_store_b64 v124, v[122:123], off offset:-8
.LBB123_444:
	s_wait_xcnt 0x0
	v_mov_b32_e32 v0, 0
	global_load_b32 v1, v0, s[8:9] offset:92
	s_wait_loadcnt 0x0
	v_cmp_eq_u32_e32 vcc_lo, 24, v1
	s_cbranch_vccnz .LBB123_446
; %bb.445:
	v_lshlrev_b32_e32 v1, 3, v1
	scratch_load_b64 v[122:123], v1, off offset:-8
	scratch_load_b64 v[124:125], off, off offset:184
	s_wait_loadcnt 0x1
	scratch_store_b64 off, v[122:123], off offset:184
	s_wait_loadcnt 0x0
	scratch_store_b64 v1, v[124:125], off offset:-8
.LBB123_446:
	global_load_b32 v0, v0, s[8:9] offset:88
	s_wait_loadcnt 0x0
	v_cmp_eq_u32_e32 vcc_lo, 23, v0
	s_cbranch_vccnz .LBB123_448
; %bb.447:
	s_wait_xcnt 0x0
	v_lshlrev_b32_e32 v0, 3, v0
	s_delay_alu instid0(VALU_DEP_1)
	v_mov_b32_e32 v124, v0
	scratch_load_b64 v[0:1], v124, off offset:-8
	scratch_load_b64 v[122:123], off, off offset:176
	s_wait_loadcnt 0x1
	scratch_store_b64 off, v[0:1], off offset:176
	s_wait_loadcnt 0x0
	scratch_store_b64 v124, v[122:123], off offset:-8
.LBB123_448:
	s_wait_xcnt 0x0
	v_mov_b32_e32 v0, 0
	global_load_b32 v1, v0, s[8:9] offset:84
	s_wait_loadcnt 0x0
	v_cmp_eq_u32_e32 vcc_lo, 22, v1
	s_cbranch_vccnz .LBB123_450
; %bb.449:
	v_lshlrev_b32_e32 v1, 3, v1
	scratch_load_b64 v[122:123], v1, off offset:-8
	scratch_load_b64 v[124:125], off, off offset:168
	s_wait_loadcnt 0x1
	scratch_store_b64 off, v[122:123], off offset:168
	s_wait_loadcnt 0x0
	scratch_store_b64 v1, v[124:125], off offset:-8
.LBB123_450:
	global_load_b32 v0, v0, s[8:9] offset:80
	s_wait_loadcnt 0x0
	v_cmp_eq_u32_e32 vcc_lo, 21, v0
	s_cbranch_vccnz .LBB123_452
; %bb.451:
	s_wait_xcnt 0x0
	v_lshlrev_b32_e32 v0, 3, v0
	s_delay_alu instid0(VALU_DEP_1)
	v_mov_b32_e32 v124, v0
	scratch_load_b64 v[0:1], v124, off offset:-8
	scratch_load_b64 v[122:123], off, off offset:160
	s_wait_loadcnt 0x1
	scratch_store_b64 off, v[0:1], off offset:160
	s_wait_loadcnt 0x0
	scratch_store_b64 v124, v[122:123], off offset:-8
.LBB123_452:
	s_wait_xcnt 0x0
	v_mov_b32_e32 v0, 0
	global_load_b32 v1, v0, s[8:9] offset:76
	s_wait_loadcnt 0x0
	v_cmp_eq_u32_e32 vcc_lo, 20, v1
	s_cbranch_vccnz .LBB123_454
; %bb.453:
	v_lshlrev_b32_e32 v1, 3, v1
	scratch_load_b64 v[122:123], v1, off offset:-8
	scratch_load_b64 v[124:125], off, off offset:152
	s_wait_loadcnt 0x1
	scratch_store_b64 off, v[122:123], off offset:152
	s_wait_loadcnt 0x0
	scratch_store_b64 v1, v[124:125], off offset:-8
.LBB123_454:
	global_load_b32 v0, v0, s[8:9] offset:72
	s_wait_loadcnt 0x0
	v_cmp_eq_u32_e32 vcc_lo, 19, v0
	s_cbranch_vccnz .LBB123_456
; %bb.455:
	s_wait_xcnt 0x0
	v_lshlrev_b32_e32 v0, 3, v0
	s_delay_alu instid0(VALU_DEP_1)
	v_mov_b32_e32 v124, v0
	scratch_load_b64 v[0:1], v124, off offset:-8
	scratch_load_b64 v[122:123], off, off offset:144
	s_wait_loadcnt 0x1
	scratch_store_b64 off, v[0:1], off offset:144
	s_wait_loadcnt 0x0
	scratch_store_b64 v124, v[122:123], off offset:-8
.LBB123_456:
	s_wait_xcnt 0x0
	v_mov_b32_e32 v0, 0
	global_load_b32 v1, v0, s[8:9] offset:68
	s_wait_loadcnt 0x0
	v_cmp_eq_u32_e32 vcc_lo, 18, v1
	s_cbranch_vccnz .LBB123_458
; %bb.457:
	v_lshlrev_b32_e32 v1, 3, v1
	scratch_load_b64 v[122:123], v1, off offset:-8
	scratch_load_b64 v[124:125], off, off offset:136
	s_wait_loadcnt 0x1
	scratch_store_b64 off, v[122:123], off offset:136
	s_wait_loadcnt 0x0
	scratch_store_b64 v1, v[124:125], off offset:-8
.LBB123_458:
	global_load_b32 v0, v0, s[8:9] offset:64
	s_wait_loadcnt 0x0
	v_cmp_eq_u32_e32 vcc_lo, 17, v0
	s_cbranch_vccnz .LBB123_460
; %bb.459:
	s_wait_xcnt 0x0
	v_lshlrev_b32_e32 v0, 3, v0
	s_delay_alu instid0(VALU_DEP_1)
	v_mov_b32_e32 v124, v0
	scratch_load_b64 v[0:1], v124, off offset:-8
	scratch_load_b64 v[122:123], off, off offset:128
	s_wait_loadcnt 0x1
	scratch_store_b64 off, v[0:1], off offset:128
	s_wait_loadcnt 0x0
	scratch_store_b64 v124, v[122:123], off offset:-8
.LBB123_460:
	s_wait_xcnt 0x0
	v_mov_b32_e32 v0, 0
	global_load_b32 v1, v0, s[8:9] offset:60
	s_wait_loadcnt 0x0
	v_cmp_eq_u32_e32 vcc_lo, 16, v1
	s_cbranch_vccnz .LBB123_462
; %bb.461:
	v_lshlrev_b32_e32 v1, 3, v1
	scratch_load_b64 v[122:123], v1, off offset:-8
	scratch_load_b64 v[124:125], off, off offset:120
	s_wait_loadcnt 0x1
	scratch_store_b64 off, v[122:123], off offset:120
	s_wait_loadcnt 0x0
	scratch_store_b64 v1, v[124:125], off offset:-8
.LBB123_462:
	global_load_b32 v0, v0, s[8:9] offset:56
	s_wait_loadcnt 0x0
	v_cmp_eq_u32_e32 vcc_lo, 15, v0
	s_cbranch_vccnz .LBB123_464
; %bb.463:
	s_wait_xcnt 0x0
	v_lshlrev_b32_e32 v0, 3, v0
	s_delay_alu instid0(VALU_DEP_1)
	v_mov_b32_e32 v124, v0
	scratch_load_b64 v[0:1], v124, off offset:-8
	scratch_load_b64 v[122:123], off, off offset:112
	s_wait_loadcnt 0x1
	scratch_store_b64 off, v[0:1], off offset:112
	s_wait_loadcnt 0x0
	scratch_store_b64 v124, v[122:123], off offset:-8
.LBB123_464:
	s_wait_xcnt 0x0
	v_mov_b32_e32 v0, 0
	global_load_b32 v1, v0, s[8:9] offset:52
	s_wait_loadcnt 0x0
	v_cmp_eq_u32_e32 vcc_lo, 14, v1
	s_cbranch_vccnz .LBB123_466
; %bb.465:
	v_lshlrev_b32_e32 v1, 3, v1
	scratch_load_b64 v[122:123], v1, off offset:-8
	scratch_load_b64 v[124:125], off, off offset:104
	s_wait_loadcnt 0x1
	scratch_store_b64 off, v[122:123], off offset:104
	s_wait_loadcnt 0x0
	scratch_store_b64 v1, v[124:125], off offset:-8
.LBB123_466:
	global_load_b32 v0, v0, s[8:9] offset:48
	s_wait_loadcnt 0x0
	v_cmp_eq_u32_e32 vcc_lo, 13, v0
	s_cbranch_vccnz .LBB123_468
; %bb.467:
	s_wait_xcnt 0x0
	v_lshlrev_b32_e32 v0, 3, v0
	s_delay_alu instid0(VALU_DEP_1)
	v_mov_b32_e32 v124, v0
	scratch_load_b64 v[0:1], v124, off offset:-8
	scratch_load_b64 v[122:123], off, off offset:96
	s_wait_loadcnt 0x1
	scratch_store_b64 off, v[0:1], off offset:96
	s_wait_loadcnt 0x0
	scratch_store_b64 v124, v[122:123], off offset:-8
.LBB123_468:
	s_wait_xcnt 0x0
	v_mov_b32_e32 v0, 0
	global_load_b32 v1, v0, s[8:9] offset:44
	s_wait_loadcnt 0x0
	v_cmp_eq_u32_e32 vcc_lo, 12, v1
	s_cbranch_vccnz .LBB123_470
; %bb.469:
	v_lshlrev_b32_e32 v1, 3, v1
	scratch_load_b64 v[122:123], v1, off offset:-8
	scratch_load_b64 v[124:125], off, off offset:88
	s_wait_loadcnt 0x1
	scratch_store_b64 off, v[122:123], off offset:88
	s_wait_loadcnt 0x0
	scratch_store_b64 v1, v[124:125], off offset:-8
.LBB123_470:
	global_load_b32 v0, v0, s[8:9] offset:40
	s_wait_loadcnt 0x0
	v_cmp_eq_u32_e32 vcc_lo, 11, v0
	s_cbranch_vccnz .LBB123_472
; %bb.471:
	s_wait_xcnt 0x0
	v_lshlrev_b32_e32 v0, 3, v0
	s_delay_alu instid0(VALU_DEP_1)
	v_mov_b32_e32 v124, v0
	scratch_load_b64 v[0:1], v124, off offset:-8
	scratch_load_b64 v[122:123], off, off offset:80
	s_wait_loadcnt 0x1
	scratch_store_b64 off, v[0:1], off offset:80
	s_wait_loadcnt 0x0
	scratch_store_b64 v124, v[122:123], off offset:-8
.LBB123_472:
	s_wait_xcnt 0x0
	v_mov_b32_e32 v0, 0
	global_load_b32 v1, v0, s[8:9] offset:36
	s_wait_loadcnt 0x0
	v_cmp_eq_u32_e32 vcc_lo, 10, v1
	s_cbranch_vccnz .LBB123_474
; %bb.473:
	v_lshlrev_b32_e32 v1, 3, v1
	scratch_load_b64 v[122:123], v1, off offset:-8
	scratch_load_b64 v[124:125], off, off offset:72
	s_wait_loadcnt 0x1
	scratch_store_b64 off, v[122:123], off offset:72
	s_wait_loadcnt 0x0
	scratch_store_b64 v1, v[124:125], off offset:-8
.LBB123_474:
	global_load_b32 v0, v0, s[8:9] offset:32
	s_wait_loadcnt 0x0
	v_cmp_eq_u32_e32 vcc_lo, 9, v0
	s_cbranch_vccnz .LBB123_476
; %bb.475:
	s_wait_xcnt 0x0
	v_lshlrev_b32_e32 v0, 3, v0
	s_delay_alu instid0(VALU_DEP_1)
	v_mov_b32_e32 v124, v0
	scratch_load_b64 v[0:1], v124, off offset:-8
	scratch_load_b64 v[122:123], off, off offset:64
	s_wait_loadcnt 0x1
	scratch_store_b64 off, v[0:1], off offset:64
	s_wait_loadcnt 0x0
	scratch_store_b64 v124, v[122:123], off offset:-8
.LBB123_476:
	s_wait_xcnt 0x0
	v_mov_b32_e32 v0, 0
	global_load_b32 v1, v0, s[8:9] offset:28
	s_wait_loadcnt 0x0
	v_cmp_eq_u32_e32 vcc_lo, 8, v1
	s_cbranch_vccnz .LBB123_478
; %bb.477:
	v_lshlrev_b32_e32 v1, 3, v1
	scratch_load_b64 v[122:123], v1, off offset:-8
	scratch_load_b64 v[124:125], off, off offset:56
	s_wait_loadcnt 0x1
	scratch_store_b64 off, v[122:123], off offset:56
	s_wait_loadcnt 0x0
	scratch_store_b64 v1, v[124:125], off offset:-8
.LBB123_478:
	global_load_b32 v0, v0, s[8:9] offset:24
	s_wait_loadcnt 0x0
	v_cmp_eq_u32_e32 vcc_lo, 7, v0
	s_cbranch_vccnz .LBB123_480
; %bb.479:
	s_wait_xcnt 0x0
	v_lshlrev_b32_e32 v0, 3, v0
	s_delay_alu instid0(VALU_DEP_1)
	v_mov_b32_e32 v124, v0
	scratch_load_b64 v[0:1], v124, off offset:-8
	scratch_load_b64 v[122:123], off, off offset:48
	s_wait_loadcnt 0x1
	scratch_store_b64 off, v[0:1], off offset:48
	s_wait_loadcnt 0x0
	scratch_store_b64 v124, v[122:123], off offset:-8
.LBB123_480:
	s_wait_xcnt 0x0
	v_mov_b32_e32 v0, 0
	global_load_b32 v1, v0, s[8:9] offset:20
	s_wait_loadcnt 0x0
	v_cmp_eq_u32_e32 vcc_lo, 6, v1
	s_cbranch_vccnz .LBB123_482
; %bb.481:
	v_lshlrev_b32_e32 v1, 3, v1
	scratch_load_b64 v[122:123], v1, off offset:-8
	scratch_load_b64 v[124:125], off, off offset:40
	s_wait_loadcnt 0x1
	scratch_store_b64 off, v[122:123], off offset:40
	s_wait_loadcnt 0x0
	scratch_store_b64 v1, v[124:125], off offset:-8
.LBB123_482:
	global_load_b32 v0, v0, s[8:9] offset:16
	s_wait_loadcnt 0x0
	v_cmp_eq_u32_e32 vcc_lo, 5, v0
	s_cbranch_vccnz .LBB123_484
; %bb.483:
	s_wait_xcnt 0x0
	v_lshlrev_b32_e32 v0, 3, v0
	s_delay_alu instid0(VALU_DEP_1)
	v_mov_b32_e32 v124, v0
	scratch_load_b64 v[0:1], v124, off offset:-8
	scratch_load_b64 v[122:123], off, off offset:32
	s_wait_loadcnt 0x1
	scratch_store_b64 off, v[0:1], off offset:32
	s_wait_loadcnt 0x0
	scratch_store_b64 v124, v[122:123], off offset:-8
.LBB123_484:
	s_wait_xcnt 0x0
	v_mov_b32_e32 v0, 0
	global_load_b32 v1, v0, s[8:9] offset:12
	s_wait_loadcnt 0x0
	v_cmp_eq_u32_e32 vcc_lo, 4, v1
	s_cbranch_vccnz .LBB123_486
; %bb.485:
	v_lshlrev_b32_e32 v1, 3, v1
	scratch_load_b64 v[122:123], v1, off offset:-8
	scratch_load_b64 v[124:125], off, off offset:24
	s_wait_loadcnt 0x1
	scratch_store_b64 off, v[122:123], off offset:24
	s_wait_loadcnt 0x0
	scratch_store_b64 v1, v[124:125], off offset:-8
.LBB123_486:
	global_load_b32 v0, v0, s[8:9] offset:8
	s_wait_loadcnt 0x0
	v_cmp_eq_u32_e32 vcc_lo, 3, v0
	s_cbranch_vccnz .LBB123_488
; %bb.487:
	s_wait_xcnt 0x0
	v_lshlrev_b32_e32 v0, 3, v0
	s_delay_alu instid0(VALU_DEP_1)
	v_mov_b32_e32 v124, v0
	scratch_load_b64 v[0:1], v124, off offset:-8
	scratch_load_b64 v[122:123], off, off offset:16
	s_wait_loadcnt 0x1
	scratch_store_b64 off, v[0:1], off offset:16
	s_wait_loadcnt 0x0
	scratch_store_b64 v124, v[122:123], off offset:-8
.LBB123_488:
	s_wait_xcnt 0x0
	v_mov_b32_e32 v0, 0
	global_load_b32 v1, v0, s[8:9] offset:4
	s_wait_loadcnt 0x0
	v_cmp_eq_u32_e32 vcc_lo, 2, v1
	s_cbranch_vccnz .LBB123_490
; %bb.489:
	v_lshlrev_b32_e32 v1, 3, v1
	scratch_load_b64 v[122:123], v1, off offset:-8
	scratch_load_b64 v[124:125], off, off offset:8
	s_wait_loadcnt 0x1
	scratch_store_b64 off, v[122:123], off offset:8
	s_wait_loadcnt 0x0
	scratch_store_b64 v1, v[124:125], off offset:-8
.LBB123_490:
	global_load_b32 v0, v0, s[8:9]
	scratch_load_b64 v[130:131], off, off
	s_wait_loadcnt 0x1
	v_cmp_eq_u32_e32 vcc_lo, 1, v0
	s_cbranch_vccnz .LBB123_492
; %bb.491:
	s_wait_xcnt 0x1
	v_lshlrev_b32_e32 v0, 3, v0
	s_delay_alu instid0(VALU_DEP_1)
	v_mov_b32_e32 v122, v0
	scratch_load_b64 v[0:1], v122, off offset:-8
	s_wait_loadcnt 0x0
	scratch_store_b64 off, v[0:1], off
	scratch_store_b64 v122, v[130:131], off offset:-8
	scratch_load_b64 v[130:131], off, off
.LBB123_492:
	s_wait_loadcnt 0x0
	flat_store_b64 v[2:3], v[130:131]
	scratch_load_b64 v[2:3], off, off offset:8
	v_lshl_add_u64 v[178:179], v[6:7], 3, s[2:3]
	v_lshl_add_u64 v[176:177], v[8:9], 3, s[2:3]
	;; [unrolled: 1-line block ×58, first 2 shown]
	s_wait_loadcnt 0x0
	flat_store_b64 v[4:5], v[2:3]
	scratch_load_b64 v[2:3], off, off offset:16
	s_wait_loadcnt 0x0
	flat_store_b64 v[178:179], v[2:3]
	scratch_load_b64 v[2:3], off, off offset:24
	;; [unrolled: 3-line block ×58, first 2 shown]
	s_wait_loadcnt 0x0
	flat_store_b64 v[0:1], v[2:3]
	s_sendmsg sendmsg(MSG_DEALLOC_VGPRS)
	s_endpgm
	.section	.rodata,"a",@progbits
	.p2align	6, 0x0
	.amdhsa_kernel _ZN9rocsolver6v33100L18getri_kernel_smallILi60E19rocblas_complex_numIfEPKPS3_EEvT1_iilPiilS8_bb
		.amdhsa_group_segment_fixed_size 964
		.amdhsa_private_segment_fixed_size 496
		.amdhsa_kernarg_size 60
		.amdhsa_user_sgpr_count 2
		.amdhsa_user_sgpr_dispatch_ptr 0
		.amdhsa_user_sgpr_queue_ptr 0
		.amdhsa_user_sgpr_kernarg_segment_ptr 1
		.amdhsa_user_sgpr_dispatch_id 0
		.amdhsa_user_sgpr_kernarg_preload_length 0
		.amdhsa_user_sgpr_kernarg_preload_offset 0
		.amdhsa_user_sgpr_private_segment_size 0
		.amdhsa_wavefront_size32 1
		.amdhsa_uses_dynamic_stack 0
		.amdhsa_enable_private_segment 1
		.amdhsa_system_sgpr_workgroup_id_x 1
		.amdhsa_system_sgpr_workgroup_id_y 0
		.amdhsa_system_sgpr_workgroup_id_z 0
		.amdhsa_system_sgpr_workgroup_info 0
		.amdhsa_system_vgpr_workitem_id 0
		.amdhsa_next_free_vgpr 418
		.amdhsa_next_free_sgpr 19
		.amdhsa_named_barrier_count 0
		.amdhsa_reserve_vcc 1
		.amdhsa_float_round_mode_32 0
		.amdhsa_float_round_mode_16_64 0
		.amdhsa_float_denorm_mode_32 3
		.amdhsa_float_denorm_mode_16_64 3
		.amdhsa_fp16_overflow 0
		.amdhsa_memory_ordered 1
		.amdhsa_forward_progress 1
		.amdhsa_inst_pref_size 255
		.amdhsa_round_robin_scheduling 0
		.amdhsa_exception_fp_ieee_invalid_op 0
		.amdhsa_exception_fp_denorm_src 0
		.amdhsa_exception_fp_ieee_div_zero 0
		.amdhsa_exception_fp_ieee_overflow 0
		.amdhsa_exception_fp_ieee_underflow 0
		.amdhsa_exception_fp_ieee_inexact 0
		.amdhsa_exception_int_div_zero 0
	.end_amdhsa_kernel
	.section	.text._ZN9rocsolver6v33100L18getri_kernel_smallILi60E19rocblas_complex_numIfEPKPS3_EEvT1_iilPiilS8_bb,"axG",@progbits,_ZN9rocsolver6v33100L18getri_kernel_smallILi60E19rocblas_complex_numIfEPKPS3_EEvT1_iilPiilS8_bb,comdat
.Lfunc_end123:
	.size	_ZN9rocsolver6v33100L18getri_kernel_smallILi60E19rocblas_complex_numIfEPKPS3_EEvT1_iilPiilS8_bb, .Lfunc_end123-_ZN9rocsolver6v33100L18getri_kernel_smallILi60E19rocblas_complex_numIfEPKPS3_EEvT1_iilPiilS8_bb
                                        ; -- End function
	.set _ZN9rocsolver6v33100L18getri_kernel_smallILi60E19rocblas_complex_numIfEPKPS3_EEvT1_iilPiilS8_bb.num_vgpr, 418
	.set _ZN9rocsolver6v33100L18getri_kernel_smallILi60E19rocblas_complex_numIfEPKPS3_EEvT1_iilPiilS8_bb.num_agpr, 0
	.set _ZN9rocsolver6v33100L18getri_kernel_smallILi60E19rocblas_complex_numIfEPKPS3_EEvT1_iilPiilS8_bb.numbered_sgpr, 19
	.set _ZN9rocsolver6v33100L18getri_kernel_smallILi60E19rocblas_complex_numIfEPKPS3_EEvT1_iilPiilS8_bb.num_named_barrier, 0
	.set _ZN9rocsolver6v33100L18getri_kernel_smallILi60E19rocblas_complex_numIfEPKPS3_EEvT1_iilPiilS8_bb.private_seg_size, 496
	.set _ZN9rocsolver6v33100L18getri_kernel_smallILi60E19rocblas_complex_numIfEPKPS3_EEvT1_iilPiilS8_bb.uses_vcc, 1
	.set _ZN9rocsolver6v33100L18getri_kernel_smallILi60E19rocblas_complex_numIfEPKPS3_EEvT1_iilPiilS8_bb.uses_flat_scratch, 1
	.set _ZN9rocsolver6v33100L18getri_kernel_smallILi60E19rocblas_complex_numIfEPKPS3_EEvT1_iilPiilS8_bb.has_dyn_sized_stack, 0
	.set _ZN9rocsolver6v33100L18getri_kernel_smallILi60E19rocblas_complex_numIfEPKPS3_EEvT1_iilPiilS8_bb.has_recursion, 0
	.set _ZN9rocsolver6v33100L18getri_kernel_smallILi60E19rocblas_complex_numIfEPKPS3_EEvT1_iilPiilS8_bb.has_indirect_call, 0
	.section	.AMDGPU.csdata,"",@progbits
; Kernel info:
; codeLenInByte = 131784
; TotalNumSgprs: 21
; NumVgprs: 418
; ScratchSize: 496
; MemoryBound: 0
; FloatMode: 240
; IeeeMode: 1
; LDSByteSize: 964 bytes/workgroup (compile time only)
; SGPRBlocks: 0
; VGPRBlocks: 26
; NumSGPRsForWavesPerEU: 21
; NumVGPRsForWavesPerEU: 418
; NamedBarCnt: 0
; Occupancy: 2
; WaveLimiterHint : 1
; COMPUTE_PGM_RSRC2:SCRATCH_EN: 1
; COMPUTE_PGM_RSRC2:USER_SGPR: 2
; COMPUTE_PGM_RSRC2:TRAP_HANDLER: 0
; COMPUTE_PGM_RSRC2:TGID_X_EN: 1
; COMPUTE_PGM_RSRC2:TGID_Y_EN: 0
; COMPUTE_PGM_RSRC2:TGID_Z_EN: 0
; COMPUTE_PGM_RSRC2:TIDIG_COMP_CNT: 0
	.section	.text._ZN9rocsolver6v33100L18getri_kernel_smallILi61E19rocblas_complex_numIfEPKPS3_EEvT1_iilPiilS8_bb,"axG",@progbits,_ZN9rocsolver6v33100L18getri_kernel_smallILi61E19rocblas_complex_numIfEPKPS3_EEvT1_iilPiilS8_bb,comdat
	.globl	_ZN9rocsolver6v33100L18getri_kernel_smallILi61E19rocblas_complex_numIfEPKPS3_EEvT1_iilPiilS8_bb ; -- Begin function _ZN9rocsolver6v33100L18getri_kernel_smallILi61E19rocblas_complex_numIfEPKPS3_EEvT1_iilPiilS8_bb
	.p2align	8
	.type	_ZN9rocsolver6v33100L18getri_kernel_smallILi61E19rocblas_complex_numIfEPKPS3_EEvT1_iilPiilS8_bb,@function
_ZN9rocsolver6v33100L18getri_kernel_smallILi61E19rocblas_complex_numIfEPKPS3_EEvT1_iilPiilS8_bb: ; @_ZN9rocsolver6v33100L18getri_kernel_smallILi61E19rocblas_complex_numIfEPKPS3_EEvT1_iilPiilS8_bb
; %bb.0:
	s_mov_b32 s2, exec_lo
	v_cmpx_gt_u32_e32 61, v0
	s_cbranch_execz .LBB124_258
; %bb.1:
	s_clause 0x1
	s_load_b32 s13, s[0:1], 0x38
	s_load_b64 s[2:3], s[0:1], 0x0
	s_getreg_b32 s6, hwreg(HW_REG_IB_STS2, 6, 4)
	s_wait_kmcnt 0x0
	s_bitcmp1_b32 s13, 8
	s_cselect_b32 s12, -1, 0
	s_bfe_u32 s4, ttmp6, 0x4000c
	s_and_b32 s5, ttmp6, 15
	s_add_co_i32 s4, s4, 1
	s_delay_alu instid0(SALU_CYCLE_1) | instskip(NEXT) | instid1(SALU_CYCLE_1)
	s_mul_i32 s4, ttmp9, s4
	s_add_co_i32 s5, s5, s4
	s_cmp_eq_u32 s6, 0
	s_cselect_b32 s10, ttmp9, s5
	s_load_b128 s[4:7], s[0:1], 0x28
	s_ashr_i32 s11, s10, 31
	s_delay_alu instid0(SALU_CYCLE_1) | instskip(NEXT) | instid1(SALU_CYCLE_1)
	s_lshl_b64 s[8:9], s[10:11], 3
	s_add_nc_u64 s[2:3], s[2:3], s[8:9]
	s_bfe_u32 s8, s13, 0x10008
	s_load_b64 s[2:3], s[2:3], 0x0
	s_cmp_eq_u32 s8, 0
                                        ; implicit-def: $sgpr8_sgpr9
	s_cbranch_scc1 .LBB124_3
; %bb.2:
	s_load_b96 s[16:18], s[0:1], 0x18
	s_wait_kmcnt 0x0
	s_mul_u64 s[4:5], s[4:5], s[10:11]
	s_delay_alu instid0(SALU_CYCLE_1) | instskip(SKIP_4) | instid1(SALU_CYCLE_1)
	s_lshl_b64 s[4:5], s[4:5], 2
	s_ashr_i32 s9, s18, 31
	s_mov_b32 s8, s18
	s_add_nc_u64 s[4:5], s[16:17], s[4:5]
	s_lshl_b64 s[8:9], s[8:9], 2
	s_add_nc_u64 s[8:9], s[4:5], s[8:9]
.LBB124_3:
	s_wait_kmcnt 0x0
	s_clause 0x1
	s_load_b64 s[4:5], s[0:1], 0x8
	s_load_b32 s13, s[0:1], 0x38
	v_dual_mov_b32 v125, 0 :: v_dual_lshlrev_b32 v124, 3, v0
	s_wait_kmcnt 0x0
	s_ashr_i32 s1, s4, 31
	s_mov_b32 s0, s4
	s_delay_alu instid0(SALU_CYCLE_1) | instskip(NEXT) | instid1(SALU_CYCLE_1)
	s_lshl_b64 s[0:1], s[0:1], 3
	s_add_nc_u64 s[2:3], s[2:3], s[0:1]
	s_ashr_i32 s1, s5, 31
	flat_load_b64 v[6:7], v0, s[2:3] scale_offset
	v_add_nc_u64_e32 v[2:3], s[2:3], v[124:125]
	s_mov_b32 s0, s5
	s_bitcmp0_b32 s13, 0
	s_delay_alu instid0(VALU_DEP_1)
	v_lshl_add_u64 v[4:5], s[0:1], 3, v[2:3]
	s_mov_b32 s1, -1
	s_wait_loadcnt_dscnt 0x0
	scratch_store_b64 off, v[6:7], off
	flat_load_b64 v[8:9], v[4:5]
	s_wait_xcnt 0x1
	v_add3_u32 v6, s5, s5, v0
	s_wait_loadcnt_dscnt 0x0
	scratch_store_b64 off, v[8:9], off offset:8
	flat_load_b64 v[10:11], v6, s[2:3] scale_offset
	s_wait_xcnt 0x1
	v_add_nc_u32_e32 v8, s5, v6
	s_wait_loadcnt_dscnt 0x0
	scratch_store_b64 off, v[10:11], off offset:16
	flat_load_b64 v[12:13], v8, s[2:3] scale_offset
	s_wait_xcnt 0x1
	v_add_nc_u32_e32 v10, s5, v8
	;; [unrolled: 5-line block ×58, first 2 shown]
	s_wait_loadcnt_dscnt 0x0
	scratch_store_b64 off, v[126:127], off offset:472
	flat_load_b64 v[126:127], v122, s[2:3] scale_offset
	s_wait_loadcnt_dscnt 0x0
	scratch_store_b64 off, v[126:127], off offset:480
	s_cbranch_scc1 .LBB124_256
; %bb.4:
	v_cmp_eq_u32_e64 s0, 0, v0
	s_wait_xcnt 0x0
	s_and_saveexec_b32 s1, s0
; %bb.5:
	v_mov_b32_e32 v1, 0
	ds_store_b32 v1, v1 offset:488
; %bb.6:
	s_or_b32 exec_lo, exec_lo, s1
	s_wait_storecnt_dscnt 0x0
	s_barrier_signal -1
	s_barrier_wait -1
	scratch_load_b64 v[126:127], v0, off scale_offset
	s_wait_loadcnt 0x0
	v_cmp_eq_f32_e32 vcc_lo, 0, v126
	v_cmp_eq_f32_e64 s1, 0, v127
	s_and_b32 s1, vcc_lo, s1
	s_delay_alu instid0(SALU_CYCLE_1)
	s_and_saveexec_b32 s4, s1
	s_cbranch_execz .LBB124_10
; %bb.7:
	v_mov_b32_e32 v1, 0
	s_mov_b32 s5, 0
	ds_load_b32 v7, v1 offset:488
	s_wait_dscnt 0x0
	v_readfirstlane_b32 s1, v7
	v_add_nc_u32_e32 v7, 1, v0
	s_cmp_eq_u32 s1, 0
	s_delay_alu instid0(VALU_DEP_1) | instskip(SKIP_1) | instid1(SALU_CYCLE_1)
	v_cmp_gt_i32_e32 vcc_lo, s1, v7
	s_cselect_b32 s13, -1, 0
	s_or_b32 s13, s13, vcc_lo
	s_delay_alu instid0(SALU_CYCLE_1)
	s_and_b32 exec_lo, exec_lo, s13
	s_cbranch_execz .LBB124_10
; %bb.8:
	v_mov_b32_e32 v9, s1
.LBB124_9:                              ; =>This Inner Loop Header: Depth=1
	ds_cmpstore_rtn_b32 v9, v1, v7, v9 offset:488
	s_wait_dscnt 0x0
	v_cmp_ne_u32_e32 vcc_lo, 0, v9
	v_cmp_le_i32_e64 s1, v9, v7
	s_and_b32 s1, vcc_lo, s1
	s_delay_alu instid0(SALU_CYCLE_1) | instskip(NEXT) | instid1(SALU_CYCLE_1)
	s_and_b32 s1, exec_lo, s1
	s_or_b32 s5, s1, s5
	s_delay_alu instid0(SALU_CYCLE_1)
	s_and_not1_b32 exec_lo, exec_lo, s5
	s_cbranch_execnz .LBB124_9
.LBB124_10:
	s_or_b32 exec_lo, exec_lo, s4
	v_mov_b32_e32 v1, 0
	s_barrier_signal -1
	s_barrier_wait -1
	ds_load_b32 v7, v1 offset:488
	s_and_saveexec_b32 s1, s0
	s_cbranch_execz .LBB124_12
; %bb.11:
	s_lshl_b64 s[4:5], s[10:11], 2
	s_delay_alu instid0(SALU_CYCLE_1)
	s_add_nc_u64 s[4:5], s[6:7], s[4:5]
	s_wait_dscnt 0x0
	global_store_b32 v1, v7, s[4:5]
.LBB124_12:
	s_wait_xcnt 0x0
	s_or_b32 exec_lo, exec_lo, s1
	s_wait_dscnt 0x0
	v_cmp_ne_u32_e32 vcc_lo, 0, v7
	s_mov_b32 s1, 0
	s_cbranch_vccnz .LBB124_256
; %bb.13:
	v_lshl_add_u32 v7, v0, 3, 0
                                        ; implicit-def: $vgpr129
                                        ; implicit-def: $vgpr130
	scratch_load_b64 v[126:127], v7, off
	s_wait_loadcnt 0x0
	v_cmp_ngt_f32_e64 s1, |v126|, |v127|
	s_wait_xcnt 0x0
	s_and_saveexec_b32 s4, s1
	s_delay_alu instid0(SALU_CYCLE_1)
	s_xor_b32 s1, exec_lo, s4
	s_cbranch_execz .LBB124_15
; %bb.14:
	v_div_scale_f32 v1, null, v127, v127, v126
	v_div_scale_f32 v13, vcc_lo, v126, v127, v126
	s_delay_alu instid0(VALU_DEP_2) | instskip(SKIP_1) | instid1(TRANS32_DEP_1)
	v_rcp_f32_e32 v9, v1
	v_nop
	v_fma_f32 v11, -v1, v9, 1.0
	s_delay_alu instid0(VALU_DEP_1) | instskip(NEXT) | instid1(VALU_DEP_1)
	v_fmac_f32_e32 v9, v11, v9
	v_mul_f32_e32 v11, v13, v9
	s_delay_alu instid0(VALU_DEP_1) | instskip(NEXT) | instid1(VALU_DEP_1)
	v_fma_f32 v15, -v1, v11, v13
	v_fmac_f32_e32 v11, v15, v9
	s_delay_alu instid0(VALU_DEP_1) | instskip(NEXT) | instid1(VALU_DEP_1)
	v_fma_f32 v1, -v1, v11, v13
	v_div_fmas_f32 v1, v1, v9, v11
	s_delay_alu instid0(VALU_DEP_1) | instskip(NEXT) | instid1(VALU_DEP_1)
	v_div_fixup_f32 v1, v1, v127, v126
	v_fmac_f32_e32 v127, v126, v1
	s_delay_alu instid0(VALU_DEP_1) | instskip(NEXT) | instid1(VALU_DEP_1)
	v_div_scale_f32 v9, null, v127, v127, -1.0
	v_rcp_f32_e32 v11, v9
	v_nop
	s_delay_alu instid0(TRANS32_DEP_1) | instskip(NEXT) | instid1(VALU_DEP_1)
	v_fma_f32 v13, -v9, v11, 1.0
	v_fmac_f32_e32 v11, v13, v11
	v_div_scale_f32 v13, vcc_lo, -1.0, v127, -1.0
	s_delay_alu instid0(VALU_DEP_1) | instskip(NEXT) | instid1(VALU_DEP_1)
	v_mul_f32_e32 v15, v13, v11
	v_fma_f32 v17, -v9, v15, v13
	s_delay_alu instid0(VALU_DEP_1) | instskip(NEXT) | instid1(VALU_DEP_1)
	v_fmac_f32_e32 v15, v17, v11
	v_fma_f32 v9, -v9, v15, v13
	s_delay_alu instid0(VALU_DEP_1) | instskip(NEXT) | instid1(VALU_DEP_1)
	v_div_fmas_f32 v9, v9, v11, v15
	v_div_fixup_f32 v129, v9, v127, -1.0
                                        ; implicit-def: $vgpr126_vgpr127
	s_delay_alu instid0(VALU_DEP_1) | instskip(NEXT) | instid1(VALU_DEP_1)
	v_mul_f32_e32 v130, v1, v129
	v_xor_b32_e32 v128, 0x80000000, v130
.LBB124_15:
	s_and_not1_saveexec_b32 s1, s1
	s_cbranch_execz .LBB124_17
; %bb.16:
	v_div_scale_f32 v1, null, v126, v126, v127
	v_div_scale_f32 v13, vcc_lo, v127, v126, v127
	s_delay_alu instid0(VALU_DEP_2) | instskip(SKIP_1) | instid1(TRANS32_DEP_1)
	v_rcp_f32_e32 v9, v1
	v_nop
	v_fma_f32 v11, -v1, v9, 1.0
	s_delay_alu instid0(VALU_DEP_1) | instskip(NEXT) | instid1(VALU_DEP_1)
	v_fmac_f32_e32 v9, v11, v9
	v_mul_f32_e32 v11, v13, v9
	s_delay_alu instid0(VALU_DEP_1) | instskip(NEXT) | instid1(VALU_DEP_1)
	v_fma_f32 v15, -v1, v11, v13
	v_fmac_f32_e32 v11, v15, v9
	s_delay_alu instid0(VALU_DEP_1) | instskip(NEXT) | instid1(VALU_DEP_1)
	v_fma_f32 v1, -v1, v11, v13
	v_div_fmas_f32 v1, v1, v9, v11
	s_delay_alu instid0(VALU_DEP_1) | instskip(NEXT) | instid1(VALU_DEP_1)
	v_div_fixup_f32 v1, v1, v126, v127
	v_fmac_f32_e32 v126, v127, v1
	s_delay_alu instid0(VALU_DEP_1) | instskip(SKIP_1) | instid1(VALU_DEP_2)
	v_div_scale_f32 v9, null, v126, v126, 1.0
	v_div_scale_f32 v15, vcc_lo, 1.0, v126, 1.0
	v_rcp_f32_e32 v11, v9
	v_nop
	s_delay_alu instid0(TRANS32_DEP_1) | instskip(NEXT) | instid1(VALU_DEP_1)
	v_fma_f32 v13, -v9, v11, 1.0
	v_fmac_f32_e32 v11, v13, v11
	s_delay_alu instid0(VALU_DEP_1) | instskip(NEXT) | instid1(VALU_DEP_1)
	v_mul_f32_e32 v13, v15, v11
	v_fma_f32 v17, -v9, v13, v15
	s_delay_alu instid0(VALU_DEP_1) | instskip(NEXT) | instid1(VALU_DEP_1)
	v_fmac_f32_e32 v13, v17, v11
	v_fma_f32 v9, -v9, v13, v15
	s_delay_alu instid0(VALU_DEP_1) | instskip(NEXT) | instid1(VALU_DEP_1)
	v_div_fmas_f32 v9, v9, v11, v13
	v_div_fixup_f32 v128, v9, v126, 1.0
	s_delay_alu instid0(VALU_DEP_1)
	v_xor_b32_e32 v130, 0x80000000, v128
	v_mul_f32_e64 v129, v1, -v128
.LBB124_17:
	s_or_b32 exec_lo, exec_lo, s1
	scratch_store_b64 v7, v[128:129], off
	scratch_load_b64 v[126:127], off, off offset:8
	v_xor_b32_e32 v131, 0x80000000, v129
	v_add_nc_u32_e32 v1, 0x1f0, v124
	s_wait_loadcnt 0x0
	ds_store_2addr_b64 v124, v[130:131], v[126:127] offset1:62
	s_wait_storecnt_dscnt 0x0
	s_barrier_signal -1
	s_barrier_wait -1
	s_wait_xcnt 0x0
	s_and_saveexec_b32 s1, s0
	s_cbranch_execz .LBB124_19
; %bb.18:
	scratch_load_b64 v[126:127], v7, off
	ds_load_b64 v[128:129], v1
	s_wait_loadcnt_dscnt 0x0
	v_pk_mul_f32 v[132:133], v[128:129], v[126:127] op_sel:[1,1] op_sel_hi:[0,1]
	s_delay_alu instid0(VALU_DEP_1) | instskip(SKIP_2) | instid1(VALU_DEP_3)
	v_pk_fma_f32 v[134:135], v[128:129], v[126:127], v[132:133] op_sel_hi:[1,0,1]
	v_mov_b32_e32 v9, 0
	v_pk_fma_f32 v[126:127], v[128:129], v[126:127], v[132:133] neg_lo:[0,0,1] neg_hi:[0,0,1]
	v_mov_b32_e32 v127, v135
	ds_load_b64 v[130:131], v9 offset:8
	v_pk_add_f32 v[126:127], v[126:127], 0 op_sel_hi:[1,0]
	s_wait_dscnt 0x0
	s_delay_alu instid0(VALU_DEP_1) | instskip(NEXT) | instid1(VALU_DEP_1)
	v_pk_mul_f32 v[128:129], v[126:127], v[130:131] op_sel:[1,1] op_sel_hi:[0,1]
	v_pk_fma_f32 v[132:133], v[126:127], v[130:131], v[128:129] op_sel_hi:[1,0,1]
	v_pk_fma_f32 v[126:127], v[126:127], v[130:131], v[128:129] neg_lo:[0,0,1] neg_hi:[0,0,1]
	s_delay_alu instid0(VALU_DEP_2)
	v_mov_b32_e32 v127, v133
	scratch_store_b64 off, v[126:127], off offset:8
.LBB124_19:
	s_wait_xcnt 0x0
	s_or_b32 exec_lo, exec_lo, s1
	s_wait_storecnt 0x0
	s_barrier_signal -1
	s_barrier_wait -1
	scratch_load_b64 v[126:127], off, off offset:16
	s_mov_b32 s1, exec_lo
	s_wait_loadcnt 0x0
	ds_store_b64 v1, v[126:127]
	s_wait_dscnt 0x0
	s_barrier_signal -1
	s_barrier_wait -1
	v_cmpx_gt_u32_e32 2, v0
	s_cbranch_execz .LBB124_23
; %bb.20:
	scratch_load_b64 v[126:127], v7, off
	ds_load_b64 v[128:129], v1
	s_wait_loadcnt_dscnt 0x0
	v_pk_mul_f32 v[130:131], v[128:129], v[126:127] op_sel:[1,1] op_sel_hi:[0,1]
	s_delay_alu instid0(VALU_DEP_1) | instskip(SKIP_1) | instid1(VALU_DEP_2)
	v_pk_fma_f32 v[132:133], v[128:129], v[126:127], v[130:131] op_sel_hi:[1,0,1]
	v_pk_fma_f32 v[126:127], v[128:129], v[126:127], v[130:131] neg_lo:[0,0,1] neg_hi:[0,0,1]
	v_mov_b32_e32 v127, v133
	s_delay_alu instid0(VALU_DEP_1)
	v_pk_add_f32 v[126:127], v[126:127], 0 op_sel_hi:[1,0]
	s_and_saveexec_b32 s4, s0
	s_cbranch_execz .LBB124_22
; %bb.21:
	scratch_load_b64 v[128:129], off, off offset:8
	v_mov_b32_e32 v7, 0
	ds_load_b64 v[130:131], v7 offset:504
	s_wait_loadcnt_dscnt 0x0
	v_pk_mul_f32 v[132:133], v[130:131], v[128:129] op_sel:[1,1] op_sel_hi:[0,1]
	s_delay_alu instid0(VALU_DEP_1) | instskip(SKIP_1) | instid1(VALU_DEP_2)
	v_pk_fma_f32 v[134:135], v[130:131], v[128:129], v[132:133] op_sel_hi:[1,0,1]
	v_pk_fma_f32 v[128:129], v[130:131], v[128:129], v[132:133] neg_lo:[0,0,1] neg_hi:[0,0,1]
	v_mov_b32_e32 v129, v135
	s_delay_alu instid0(VALU_DEP_1)
	v_pk_add_f32 v[126:127], v[126:127], v[128:129]
.LBB124_22:
	s_or_b32 exec_lo, exec_lo, s4
	v_mov_b32_e32 v7, 0
	ds_load_b64 v[128:129], v7 offset:16
	s_wait_dscnt 0x0
	v_pk_mul_f32 v[130:131], v[126:127], v[128:129] op_sel:[1,1] op_sel_hi:[0,1]
	s_delay_alu instid0(VALU_DEP_1) | instskip(SKIP_1) | instid1(VALU_DEP_2)
	v_pk_fma_f32 v[132:133], v[126:127], v[128:129], v[130:131] op_sel_hi:[1,0,1]
	v_pk_fma_f32 v[126:127], v[126:127], v[128:129], v[130:131] neg_lo:[0,0,1] neg_hi:[0,0,1]
	v_mov_b32_e32 v127, v133
	scratch_store_b64 off, v[126:127], off offset:16
.LBB124_23:
	s_wait_xcnt 0x0
	s_or_b32 exec_lo, exec_lo, s1
	s_wait_storecnt 0x0
	s_barrier_signal -1
	s_barrier_wait -1
	scratch_load_b64 v[126:127], off, off offset:24
	v_add_nc_u32_e32 v7, -1, v0
	s_mov_b32 s0, exec_lo
	s_wait_loadcnt 0x0
	ds_store_b64 v1, v[126:127]
	s_wait_dscnt 0x0
	s_barrier_signal -1
	s_barrier_wait -1
	v_cmpx_gt_u32_e32 3, v0
	s_cbranch_execz .LBB124_27
; %bb.24:
	v_dual_mov_b32 v126, 0 :: v_dual_add_nc_u32 v9, -1, v0
	v_add_nc_u32_e32 v11, 0x1f0, v124
	v_mov_b32_e32 v13, v124
	s_mov_b32 s1, 0
	s_delay_alu instid0(VALU_DEP_3)
	v_mov_b32_e32 v127, v126
.LBB124_25:                             ; =>This Inner Loop Header: Depth=1
	scratch_load_b64 v[128:129], v13, off
	ds_load_b64 v[130:131], v11
	s_wait_xcnt 0x0
	v_dual_add_nc_u32 v11, 8, v11 :: v_dual_add_nc_u32 v13, 8, v13
	s_wait_loadcnt_dscnt 0x0
	v_pk_mul_f32 v[132:133], v[130:131], v[128:129] op_sel:[1,1] op_sel_hi:[0,1]
	s_delay_alu instid0(VALU_DEP_1) | instskip(SKIP_2) | instid1(VALU_DEP_3)
	v_pk_fma_f32 v[134:135], v[130:131], v[128:129], v[132:133] op_sel_hi:[1,0,1]
	v_add_nc_u32_e32 v9, 1, v9
	v_pk_fma_f32 v[128:129], v[130:131], v[128:129], v[132:133] neg_lo:[0,0,1] neg_hi:[0,0,1]
	v_mov_b32_e32 v129, v135
	s_delay_alu instid0(VALU_DEP_3) | instskip(NEXT) | instid1(VALU_DEP_2)
	v_cmp_lt_u32_e32 vcc_lo, 1, v9
	v_pk_add_f32 v[126:127], v[126:127], v[128:129]
	s_or_b32 s1, vcc_lo, s1
	s_delay_alu instid0(SALU_CYCLE_1)
	s_and_not1_b32 exec_lo, exec_lo, s1
	s_cbranch_execnz .LBB124_25
; %bb.26:
	s_or_b32 exec_lo, exec_lo, s1
	v_mov_b32_e32 v9, 0
	ds_load_b64 v[128:129], v9 offset:24
	s_wait_dscnt 0x0
	v_pk_mul_f32 v[130:131], v[126:127], v[128:129] op_sel:[1,1] op_sel_hi:[0,1]
	s_delay_alu instid0(VALU_DEP_1) | instskip(SKIP_1) | instid1(VALU_DEP_2)
	v_pk_fma_f32 v[132:133], v[126:127], v[128:129], v[130:131] op_sel_hi:[1,0,1]
	v_pk_fma_f32 v[126:127], v[126:127], v[128:129], v[130:131] neg_lo:[0,0,1] neg_hi:[0,0,1]
	v_mov_b32_e32 v127, v133
	scratch_store_b64 off, v[126:127], off offset:24
.LBB124_27:
	s_wait_xcnt 0x0
	s_or_b32 exec_lo, exec_lo, s0
	s_wait_storecnt 0x0
	s_barrier_signal -1
	s_barrier_wait -1
	scratch_load_b64 v[126:127], off, off offset:32
	s_mov_b32 s0, exec_lo
	s_wait_loadcnt 0x0
	ds_store_b64 v1, v[126:127]
	s_wait_dscnt 0x0
	s_barrier_signal -1
	s_barrier_wait -1
	v_cmpx_gt_u32_e32 4, v0
	s_cbranch_execz .LBB124_31
; %bb.28:
	v_dual_mov_b32 v126, 0 :: v_dual_add_nc_u32 v9, -1, v0
	v_add_nc_u32_e32 v11, 0x1f0, v124
	v_mov_b32_e32 v13, v124
	s_mov_b32 s1, 0
	s_delay_alu instid0(VALU_DEP_3)
	v_mov_b32_e32 v127, v126
.LBB124_29:                             ; =>This Inner Loop Header: Depth=1
	scratch_load_b64 v[128:129], v13, off
	ds_load_b64 v[130:131], v11
	s_wait_xcnt 0x0
	v_dual_add_nc_u32 v11, 8, v11 :: v_dual_add_nc_u32 v13, 8, v13
	s_wait_loadcnt_dscnt 0x0
	v_pk_mul_f32 v[132:133], v[130:131], v[128:129] op_sel:[1,1] op_sel_hi:[0,1]
	s_delay_alu instid0(VALU_DEP_1) | instskip(SKIP_2) | instid1(VALU_DEP_3)
	v_pk_fma_f32 v[134:135], v[130:131], v[128:129], v[132:133] op_sel_hi:[1,0,1]
	v_add_nc_u32_e32 v9, 1, v9
	v_pk_fma_f32 v[128:129], v[130:131], v[128:129], v[132:133] neg_lo:[0,0,1] neg_hi:[0,0,1]
	v_mov_b32_e32 v129, v135
	s_delay_alu instid0(VALU_DEP_3) | instskip(NEXT) | instid1(VALU_DEP_2)
	v_cmp_lt_u32_e32 vcc_lo, 2, v9
	v_pk_add_f32 v[126:127], v[126:127], v[128:129]
	s_or_b32 s1, vcc_lo, s1
	s_delay_alu instid0(SALU_CYCLE_1)
	s_and_not1_b32 exec_lo, exec_lo, s1
	s_cbranch_execnz .LBB124_29
; %bb.30:
	s_or_b32 exec_lo, exec_lo, s1
	v_mov_b32_e32 v9, 0
	ds_load_b64 v[128:129], v9 offset:32
	s_wait_dscnt 0x0
	v_pk_mul_f32 v[130:131], v[126:127], v[128:129] op_sel:[1,1] op_sel_hi:[0,1]
	s_delay_alu instid0(VALU_DEP_1) | instskip(SKIP_1) | instid1(VALU_DEP_2)
	v_pk_fma_f32 v[132:133], v[126:127], v[128:129], v[130:131] op_sel_hi:[1,0,1]
	v_pk_fma_f32 v[126:127], v[126:127], v[128:129], v[130:131] neg_lo:[0,0,1] neg_hi:[0,0,1]
	v_mov_b32_e32 v127, v133
	scratch_store_b64 off, v[126:127], off offset:32
.LBB124_31:
	s_wait_xcnt 0x0
	s_or_b32 exec_lo, exec_lo, s0
	s_wait_storecnt 0x0
	s_barrier_signal -1
	s_barrier_wait -1
	scratch_load_b64 v[126:127], off, off offset:40
	;; [unrolled: 52-line block ×19, first 2 shown]
	s_mov_b32 s0, exec_lo
	s_wait_loadcnt 0x0
	ds_store_b64 v1, v[126:127]
	s_wait_dscnt 0x0
	s_barrier_signal -1
	s_barrier_wait -1
	v_cmpx_gt_u32_e32 22, v0
	s_cbranch_execz .LBB124_103
; %bb.100:
	v_dual_mov_b32 v126, 0 :: v_dual_add_nc_u32 v9, -1, v0
	v_add_nc_u32_e32 v11, 0x1f0, v124
	v_mov_b32_e32 v13, v124
	s_mov_b32 s1, 0
	s_delay_alu instid0(VALU_DEP_3)
	v_mov_b32_e32 v127, v126
.LBB124_101:                            ; =>This Inner Loop Header: Depth=1
	scratch_load_b64 v[128:129], v13, off
	ds_load_b64 v[130:131], v11
	s_wait_xcnt 0x0
	v_dual_add_nc_u32 v11, 8, v11 :: v_dual_add_nc_u32 v13, 8, v13
	s_wait_loadcnt_dscnt 0x0
	v_pk_mul_f32 v[132:133], v[130:131], v[128:129] op_sel:[1,1] op_sel_hi:[0,1]
	s_delay_alu instid0(VALU_DEP_1) | instskip(SKIP_2) | instid1(VALU_DEP_3)
	v_pk_fma_f32 v[134:135], v[130:131], v[128:129], v[132:133] op_sel_hi:[1,0,1]
	v_add_nc_u32_e32 v9, 1, v9
	v_pk_fma_f32 v[128:129], v[130:131], v[128:129], v[132:133] neg_lo:[0,0,1] neg_hi:[0,0,1]
	v_mov_b32_e32 v129, v135
	s_delay_alu instid0(VALU_DEP_3) | instskip(NEXT) | instid1(VALU_DEP_2)
	v_cmp_lt_u32_e32 vcc_lo, 20, v9
	v_pk_add_f32 v[126:127], v[126:127], v[128:129]
	s_or_b32 s1, vcc_lo, s1
	s_delay_alu instid0(SALU_CYCLE_1)
	s_and_not1_b32 exec_lo, exec_lo, s1
	s_cbranch_execnz .LBB124_101
; %bb.102:
	s_or_b32 exec_lo, exec_lo, s1
	v_mov_b32_e32 v9, 0
	ds_load_b64 v[128:129], v9 offset:176
	s_wait_dscnt 0x0
	v_pk_mul_f32 v[130:131], v[126:127], v[128:129] op_sel:[1,1] op_sel_hi:[0,1]
	s_delay_alu instid0(VALU_DEP_1) | instskip(SKIP_1) | instid1(VALU_DEP_2)
	v_pk_fma_f32 v[132:133], v[126:127], v[128:129], v[130:131] op_sel_hi:[1,0,1]
	v_pk_fma_f32 v[126:127], v[126:127], v[128:129], v[130:131] neg_lo:[0,0,1] neg_hi:[0,0,1]
	v_mov_b32_e32 v127, v133
	scratch_store_b64 off, v[126:127], off offset:176
.LBB124_103:
	s_wait_xcnt 0x0
	s_or_b32 exec_lo, exec_lo, s0
	s_wait_storecnt 0x0
	s_barrier_signal -1
	s_barrier_wait -1
	scratch_load_b64 v[126:127], off, off offset:184
	s_mov_b32 s0, exec_lo
	s_wait_loadcnt 0x0
	ds_store_b64 v1, v[126:127]
	s_wait_dscnt 0x0
	s_barrier_signal -1
	s_barrier_wait -1
	v_cmpx_gt_u32_e32 23, v0
	s_cbranch_execz .LBB124_107
; %bb.104:
	v_dual_mov_b32 v126, 0 :: v_dual_add_nc_u32 v9, -1, v0
	v_add_nc_u32_e32 v11, 0x1f0, v124
	v_mov_b32_e32 v13, v124
	s_mov_b32 s1, 0
	s_delay_alu instid0(VALU_DEP_3)
	v_mov_b32_e32 v127, v126
.LBB124_105:                            ; =>This Inner Loop Header: Depth=1
	scratch_load_b64 v[128:129], v13, off
	ds_load_b64 v[130:131], v11
	s_wait_xcnt 0x0
	v_dual_add_nc_u32 v11, 8, v11 :: v_dual_add_nc_u32 v13, 8, v13
	s_wait_loadcnt_dscnt 0x0
	v_pk_mul_f32 v[132:133], v[130:131], v[128:129] op_sel:[1,1] op_sel_hi:[0,1]
	s_delay_alu instid0(VALU_DEP_1) | instskip(SKIP_2) | instid1(VALU_DEP_3)
	v_pk_fma_f32 v[134:135], v[130:131], v[128:129], v[132:133] op_sel_hi:[1,0,1]
	v_add_nc_u32_e32 v9, 1, v9
	v_pk_fma_f32 v[128:129], v[130:131], v[128:129], v[132:133] neg_lo:[0,0,1] neg_hi:[0,0,1]
	v_mov_b32_e32 v129, v135
	s_delay_alu instid0(VALU_DEP_3) | instskip(NEXT) | instid1(VALU_DEP_2)
	v_cmp_lt_u32_e32 vcc_lo, 21, v9
	v_pk_add_f32 v[126:127], v[126:127], v[128:129]
	s_or_b32 s1, vcc_lo, s1
	s_delay_alu instid0(SALU_CYCLE_1)
	s_and_not1_b32 exec_lo, exec_lo, s1
	s_cbranch_execnz .LBB124_105
; %bb.106:
	s_or_b32 exec_lo, exec_lo, s1
	v_mov_b32_e32 v9, 0
	ds_load_b64 v[128:129], v9 offset:184
	s_wait_dscnt 0x0
	v_pk_mul_f32 v[130:131], v[126:127], v[128:129] op_sel:[1,1] op_sel_hi:[0,1]
	s_delay_alu instid0(VALU_DEP_1) | instskip(SKIP_1) | instid1(VALU_DEP_2)
	v_pk_fma_f32 v[132:133], v[126:127], v[128:129], v[130:131] op_sel_hi:[1,0,1]
	v_pk_fma_f32 v[126:127], v[126:127], v[128:129], v[130:131] neg_lo:[0,0,1] neg_hi:[0,0,1]
	v_mov_b32_e32 v127, v133
	scratch_store_b64 off, v[126:127], off offset:184
.LBB124_107:
	s_wait_xcnt 0x0
	s_or_b32 exec_lo, exec_lo, s0
	s_wait_storecnt 0x0
	s_barrier_signal -1
	s_barrier_wait -1
	scratch_load_b64 v[126:127], off, off offset:192
	;; [unrolled: 52-line block ×38, first 2 shown]
	s_mov_b32 s0, exec_lo
	s_wait_loadcnt 0x0
	ds_store_b64 v1, v[126:127]
	s_wait_dscnt 0x0
	s_barrier_signal -1
	s_barrier_wait -1
	v_cmpx_ne_u32_e32 60, v0
	s_cbranch_execz .LBB124_255
; %bb.252:
	v_dual_mov_b32 v126, 0 :: v_dual_mov_b32 v9, v124
	s_mov_b32 s1, 0
	s_delay_alu instid0(VALU_DEP_1)
	v_mov_b32_e32 v127, v126
.LBB124_253:                            ; =>This Inner Loop Header: Depth=1
	scratch_load_b64 v[124:125], v9, off
	ds_load_b64 v[128:129], v1
	v_add_nc_u32_e32 v1, 8, v1
	s_wait_xcnt 0x0
	v_add_nc_u32_e32 v9, 8, v9
	s_wait_loadcnt_dscnt 0x0
	v_pk_mul_f32 v[130:131], v[128:129], v[124:125] op_sel:[1,1] op_sel_hi:[0,1]
	s_delay_alu instid0(VALU_DEP_1) | instskip(SKIP_2) | instid1(VALU_DEP_3)
	v_pk_fma_f32 v[132:133], v[128:129], v[124:125], v[130:131] op_sel_hi:[1,0,1]
	v_add_nc_u32_e32 v7, 1, v7
	v_pk_fma_f32 v[124:125], v[128:129], v[124:125], v[130:131] neg_lo:[0,0,1] neg_hi:[0,0,1]
	v_mov_b32_e32 v125, v133
	s_delay_alu instid0(VALU_DEP_3) | instskip(NEXT) | instid1(VALU_DEP_2)
	v_cmp_lt_u32_e32 vcc_lo, 58, v7
	v_pk_add_f32 v[126:127], v[126:127], v[124:125]
	s_or_b32 s1, vcc_lo, s1
	s_delay_alu instid0(SALU_CYCLE_1)
	s_and_not1_b32 exec_lo, exec_lo, s1
	s_cbranch_execnz .LBB124_253
; %bb.254:
	s_or_b32 exec_lo, exec_lo, s1
	v_mov_b32_e32 v1, 0
	ds_load_b64 v[124:125], v1 offset:480
	s_wait_dscnt 0x0
	v_pk_mul_f32 v[128:129], v[126:127], v[124:125] op_sel:[1,1] op_sel_hi:[0,1]
	s_delay_alu instid0(VALU_DEP_1) | instskip(SKIP_1) | instid1(VALU_DEP_2)
	v_pk_fma_f32 v[130:131], v[126:127], v[124:125], v[128:129] op_sel_hi:[1,0,1]
	v_pk_fma_f32 v[124:125], v[126:127], v[124:125], v[128:129] neg_lo:[0,0,1] neg_hi:[0,0,1]
	v_mov_b32_e32 v125, v131
	scratch_store_b64 off, v[124:125], off offset:480
.LBB124_255:
	s_wait_xcnt 0x0
	s_or_b32 exec_lo, exec_lo, s0
	s_mov_b32 s1, -1
	s_wait_storecnt 0x0
	s_barrier_signal -1
	s_barrier_wait -1
.LBB124_256:
	s_and_b32 vcc_lo, exec_lo, s1
	s_cbranch_vccz .LBB124_258
; %bb.257:
	v_mov_b32_e32 v1, 0
	s_lshl_b64 s[0:1], s[10:11], 2
	s_delay_alu instid0(SALU_CYCLE_1)
	s_add_nc_u64 s[0:1], s[6:7], s[0:1]
	global_load_b32 v1, v1, s[0:1]
	s_wait_loadcnt 0x0
	v_cmp_ne_u32_e32 vcc_lo, 0, v1
	s_cbranch_vccz .LBB124_259
.LBB124_258:
	s_sendmsg sendmsg(MSG_DEALLOC_VGPRS)
	s_endpgm
.LBB124_259:
	s_wait_xcnt 0x0
	v_lshl_add_u32 v1, v0, 3, 0x1f0
	s_mov_b32 s0, exec_lo
	v_cmpx_eq_u32_e32 60, v0
	s_cbranch_execz .LBB124_261
; %bb.260:
	scratch_load_b64 v[124:125], off, off offset:472
	v_mov_b64_e32 v[126:127], 0
	scratch_store_b64 off, v[126:127], off offset:472
	s_wait_loadcnt 0x0
	ds_store_b64 v1, v[124:125]
.LBB124_261:
	s_wait_xcnt 0x0
	s_or_b32 exec_lo, exec_lo, s0
	s_wait_storecnt_dscnt 0x0
	s_barrier_signal -1
	s_barrier_wait -1
	s_clause 0x1
	scratch_load_b64 v[124:125], off, off offset:480
	scratch_load_b64 v[126:127], off, off offset:472
	v_mov_b32_e32 v7, 0
	s_mov_b32 s0, exec_lo
	ds_load_b64 v[128:129], v7 offset:976
	s_wait_loadcnt_dscnt 0x100
	v_pk_mul_f32 v[130:131], v[128:129], v[124:125] op_sel:[1,1] op_sel_hi:[0,1]
	s_delay_alu instid0(VALU_DEP_1) | instskip(SKIP_1) | instid1(VALU_DEP_2)
	v_pk_fma_f32 v[132:133], v[128:129], v[124:125], v[130:131] op_sel_hi:[1,0,1]
	v_pk_fma_f32 v[124:125], v[128:129], v[124:125], v[130:131] neg_lo:[0,0,1] neg_hi:[0,0,1]
	v_mov_b32_e32 v125, v133
	s_delay_alu instid0(VALU_DEP_1) | instskip(SKIP_1) | instid1(VALU_DEP_1)
	v_pk_add_f32 v[124:125], v[124:125], 0 op_sel_hi:[1,0]
	s_wait_loadcnt 0x0
	v_pk_add_f32 v[124:125], v[126:127], v[124:125] neg_lo:[0,1] neg_hi:[0,1]
	scratch_store_b64 off, v[124:125], off offset:472
	s_wait_xcnt 0x0
	v_cmpx_lt_u32_e32 58, v0
	s_cbranch_execz .LBB124_263
; %bb.262:
	scratch_load_b64 v[124:125], off, off offset:464
	v_mov_b64_e32 v[126:127], 0
	scratch_store_b64 off, v[126:127], off offset:464
	s_wait_loadcnt 0x0
	ds_store_b64 v1, v[124:125]
.LBB124_263:
	s_wait_xcnt 0x0
	s_or_b32 exec_lo, exec_lo, s0
	s_wait_storecnt_dscnt 0x0
	s_barrier_signal -1
	s_barrier_wait -1
	s_clause 0x1
	scratch_load_b128 v[124:127], off, off offset:472
	scratch_load_b64 v[132:133], off, off offset:464
	ds_load_2addr_b64 v[128:131], v7 offset0:121 offset1:122
	s_mov_b32 s0, exec_lo
	s_wait_dscnt 0x0
	v_dual_mov_b32 v134, v131 :: v_dual_mov_b32 v135, v130
	s_wait_loadcnt 0x1
	v_pk_mul_f32 v[136:137], v[128:129], v[124:125] op_sel:[1,1] op_sel_hi:[0,1]
	s_delay_alu instid0(VALU_DEP_1) | instskip(SKIP_2) | instid1(VALU_DEP_3)
	v_pk_fma_f32 v[140:141], v[128:129], v[124:125], v[136:137] op_sel_hi:[1,0,1]
	v_mov_b32_e32 v138, v127
	v_pk_fma_f32 v[124:125], v[128:129], v[124:125], v[136:137] neg_lo:[0,0,1] neg_hi:[0,0,1]
	v_mov_b32_e32 v125, v141
	s_delay_alu instid0(VALU_DEP_3) | instskip(NEXT) | instid1(VALU_DEP_2)
	v_pk_mul_f32 v[134:135], v[134:135], v[138:139] op_sel_hi:[1,0]
	v_pk_add_f32 v[124:125], v[124:125], 0 op_sel_hi:[1,0]
	s_delay_alu instid0(VALU_DEP_2) | instskip(SKIP_1) | instid1(VALU_DEP_2)
	v_pk_fma_f32 v[128:129], v[130:131], v[126:127], v[134:135] op_sel_hi:[1,0,1]
	v_pk_fma_f32 v[126:127], v[130:131], v[126:127], v[134:135] neg_lo:[0,0,1] neg_hi:[0,0,1]
	v_mov_b32_e32 v127, v129
	s_delay_alu instid0(VALU_DEP_1) | instskip(SKIP_1) | instid1(VALU_DEP_1)
	v_pk_add_f32 v[124:125], v[124:125], v[126:127]
	s_wait_loadcnt 0x0
	v_pk_add_f32 v[124:125], v[132:133], v[124:125] neg_lo:[0,1] neg_hi:[0,1]
	scratch_store_b64 off, v[124:125], off offset:464
	s_wait_xcnt 0x0
	v_cmpx_lt_u32_e32 57, v0
	s_cbranch_execz .LBB124_265
; %bb.264:
	scratch_load_b64 v[124:125], off, off offset:456
	v_mov_b64_e32 v[126:127], 0
	scratch_store_b64 off, v[126:127], off offset:456
	s_wait_loadcnt 0x0
	ds_store_b64 v1, v[124:125]
.LBB124_265:
	s_wait_xcnt 0x0
	s_or_b32 exec_lo, exec_lo, s0
	s_wait_storecnt_dscnt 0x0
	s_barrier_signal -1
	s_barrier_wait -1
	s_clause 0x2
	scratch_load_b128 v[124:127], off, off offset:464
	scratch_load_b64 v[132:133], off, off offset:480
	scratch_load_b64 v[134:135], off, off offset:456
	v_mov_b32_e32 v7, 0
	ds_load_b128 v[128:131], v7 offset:960
	ds_load_b64 v[136:137], v7 offset:976
	s_mov_b32 s0, exec_lo
	s_wait_dscnt 0x1
	v_dual_mov_b32 v138, v131 :: v_dual_mov_b32 v139, v130
	s_wait_loadcnt 0x2
	v_mov_b32_e32 v142, v127
	v_pk_mul_f32 v[140:141], v[128:129], v[124:125] op_sel:[1,1] op_sel_hi:[0,1]
	s_delay_alu instid0(VALU_DEP_2) | instskip(NEXT) | instid1(VALU_DEP_2)
	v_pk_mul_f32 v[138:139], v[138:139], v[142:143] op_sel_hi:[1,0]
	v_pk_fma_f32 v[144:145], v[128:129], v[124:125], v[140:141] op_sel_hi:[1,0,1]
	v_pk_fma_f32 v[124:125], v[128:129], v[124:125], v[140:141] neg_lo:[0,0,1] neg_hi:[0,0,1]
	s_wait_loadcnt_dscnt 0x100
	v_pk_mul_f32 v[140:141], v[136:137], v[132:133] op_sel:[1,1] op_sel_hi:[0,1]
	v_pk_fma_f32 v[128:129], v[130:131], v[126:127], v[138:139] op_sel_hi:[1,0,1]
	v_mov_b32_e32 v125, v145
	v_pk_fma_f32 v[126:127], v[130:131], v[126:127], v[138:139] neg_lo:[0,0,1] neg_hi:[0,0,1]
	s_delay_alu instid0(VALU_DEP_4) | instskip(NEXT) | instid1(VALU_DEP_4)
	v_pk_fma_f32 v[130:131], v[136:137], v[132:133], v[140:141] neg_lo:[0,0,1] neg_hi:[0,0,1]
	v_mov_b32_e32 v127, v129
	s_delay_alu instid0(VALU_DEP_4) | instskip(SKIP_1) | instid1(VALU_DEP_2)
	v_pk_add_f32 v[124:125], v[124:125], 0 op_sel_hi:[1,0]
	v_pk_fma_f32 v[128:129], v[136:137], v[132:133], v[140:141] op_sel_hi:[1,0,1]
	v_pk_add_f32 v[124:125], v[124:125], v[126:127]
	s_delay_alu instid0(VALU_DEP_2) | instskip(NEXT) | instid1(VALU_DEP_1)
	v_mov_b32_e32 v131, v129
	v_pk_add_f32 v[124:125], v[124:125], v[130:131]
	s_wait_loadcnt 0x0
	s_delay_alu instid0(VALU_DEP_1)
	v_pk_add_f32 v[124:125], v[134:135], v[124:125] neg_lo:[0,1] neg_hi:[0,1]
	scratch_store_b64 off, v[124:125], off offset:456
	s_wait_xcnt 0x0
	v_cmpx_lt_u32_e32 56, v0
	s_cbranch_execz .LBB124_267
; %bb.266:
	scratch_load_b64 v[124:125], off, off offset:448
	v_mov_b64_e32 v[126:127], 0
	scratch_store_b64 off, v[126:127], off offset:448
	s_wait_loadcnt 0x0
	ds_store_b64 v1, v[124:125]
.LBB124_267:
	s_wait_xcnt 0x0
	s_or_b32 exec_lo, exec_lo, s0
	s_wait_storecnt_dscnt 0x0
	s_barrier_signal -1
	s_barrier_wait -1
	s_clause 0x2
	scratch_load_b128 v[124:127], off, off offset:456
	scratch_load_b128 v[128:131], off, off offset:472
	scratch_load_b64 v[140:141], off, off offset:448
	ds_load_2addr_b64 v[132:135], v7 offset0:119 offset1:120
	ds_load_2addr_b64 v[136:139], v7 offset0:121 offset1:122
	s_mov_b32 s0, exec_lo
	s_wait_dscnt 0x1
	v_dual_mov_b32 v142, v135 :: v_dual_mov_b32 v143, v134
	s_wait_loadcnt_dscnt 0x200
	v_dual_mov_b32 v148, v139 :: v_dual_mov_b32 v146, v127
	v_pk_mul_f32 v[144:145], v[132:133], v[124:125] op_sel:[1,1] op_sel_hi:[0,1]
	s_delay_alu instid0(VALU_DEP_2) | instskip(NEXT) | instid1(VALU_DEP_2)
	v_pk_mul_f32 v[142:143], v[142:143], v[146:147] op_sel_hi:[1,0]
	v_pk_fma_f32 v[150:151], v[132:133], v[124:125], v[144:145] op_sel_hi:[1,0,1]
	v_pk_fma_f32 v[124:125], v[132:133], v[124:125], v[144:145] neg_lo:[0,0,1] neg_hi:[0,0,1]
	v_mov_b32_e32 v149, v138
	s_wait_loadcnt 0x1
	v_pk_mul_f32 v[146:147], v[136:137], v[128:129] op_sel:[1,1] op_sel_hi:[0,1]
	v_pk_fma_f32 v[132:133], v[134:135], v[126:127], v[142:143] op_sel_hi:[1,0,1]
	v_dual_mov_b32 v125, v151 :: v_dual_mov_b32 v132, v131
	v_pk_fma_f32 v[126:127], v[134:135], v[126:127], v[142:143] neg_lo:[0,0,1] neg_hi:[0,0,1]
	s_delay_alu instid0(VALU_DEP_4) | instskip(NEXT) | instid1(VALU_DEP_4)
	v_pk_fma_f32 v[144:145], v[136:137], v[128:129], v[146:147] op_sel_hi:[1,0,1]
	v_mov_b32_e32 v127, v133
	s_delay_alu instid0(VALU_DEP_4) | instskip(SKIP_2) | instid1(VALU_DEP_3)
	v_pk_add_f32 v[124:125], v[124:125], 0 op_sel_hi:[1,0]
	v_pk_mul_f32 v[132:133], v[148:149], v[132:133] op_sel_hi:[1,0]
	v_pk_fma_f32 v[128:129], v[136:137], v[128:129], v[146:147] neg_lo:[0,0,1] neg_hi:[0,0,1]
	v_pk_add_f32 v[124:125], v[124:125], v[126:127]
	s_delay_alu instid0(VALU_DEP_3) | instskip(SKIP_2) | instid1(VALU_DEP_3)
	v_pk_fma_f32 v[126:127], v[138:139], v[130:131], v[132:133] op_sel_hi:[1,0,1]
	v_mov_b32_e32 v129, v145
	v_pk_fma_f32 v[130:131], v[138:139], v[130:131], v[132:133] neg_lo:[0,0,1] neg_hi:[0,0,1]
	v_mov_b32_e32 v131, v127
	s_delay_alu instid0(VALU_DEP_3) | instskip(NEXT) | instid1(VALU_DEP_1)
	v_pk_add_f32 v[124:125], v[124:125], v[128:129]
	v_pk_add_f32 v[124:125], v[124:125], v[130:131]
	s_wait_loadcnt 0x0
	s_delay_alu instid0(VALU_DEP_1)
	v_pk_add_f32 v[124:125], v[140:141], v[124:125] neg_lo:[0,1] neg_hi:[0,1]
	scratch_store_b64 off, v[124:125], off offset:448
	s_wait_xcnt 0x0
	v_cmpx_lt_u32_e32 55, v0
	s_cbranch_execz .LBB124_269
; %bb.268:
	scratch_load_b64 v[124:125], off, off offset:440
	v_mov_b64_e32 v[126:127], 0
	scratch_store_b64 off, v[126:127], off offset:440
	s_wait_loadcnt 0x0
	ds_store_b64 v1, v[124:125]
.LBB124_269:
	s_wait_xcnt 0x0
	s_or_b32 exec_lo, exec_lo, s0
	s_wait_storecnt_dscnt 0x0
	s_barrier_signal -1
	s_barrier_wait -1
	s_clause 0x3
	scratch_load_b128 v[124:127], off, off offset:448
	scratch_load_b128 v[128:131], off, off offset:464
	scratch_load_b64 v[140:141], off, off offset:480
	scratch_load_b64 v[142:143], off, off offset:440
	v_mov_b32_e32 v7, 0
	ds_load_b128 v[132:135], v7 offset:944
	ds_load_b128 v[136:139], v7 offset:960
	s_mov_b32 s0, exec_lo
	s_wait_dscnt 0x1
	v_dual_mov_b32 v144, v135 :: v_dual_mov_b32 v145, v134
	ds_load_b64 v[150:151], v7 offset:976
	s_wait_dscnt 0x1
	v_dual_mov_b32 v152, v139 :: v_dual_mov_b32 v153, v138
	s_wait_loadcnt 0x3
	v_pk_mul_f32 v[146:147], v[132:133], v[124:125] op_sel:[1,1] op_sel_hi:[0,1]
	v_mov_b32_e32 v148, v127
	s_delay_alu instid0(VALU_DEP_2) | instskip(NEXT) | instid1(VALU_DEP_2)
	v_pk_fma_f32 v[154:155], v[132:133], v[124:125], v[146:147] op_sel_hi:[1,0,1]
	v_pk_mul_f32 v[144:145], v[144:145], v[148:149] op_sel_hi:[1,0]
	v_pk_fma_f32 v[124:125], v[132:133], v[124:125], v[146:147] neg_lo:[0,0,1] neg_hi:[0,0,1]
	s_wait_loadcnt 0x2
	v_pk_mul_f32 v[148:149], v[136:137], v[128:129] op_sel:[1,1] op_sel_hi:[0,1]
	v_dual_mov_b32 v154, v131 :: v_dual_mov_b32 v125, v155
	v_pk_fma_f32 v[132:133], v[134:135], v[126:127], v[144:145] op_sel_hi:[1,0,1]
	v_pk_fma_f32 v[126:127], v[134:135], v[126:127], v[144:145] neg_lo:[0,0,1] neg_hi:[0,0,1]
	s_delay_alu instid0(VALU_DEP_4) | instskip(NEXT) | instid1(VALU_DEP_4)
	v_pk_fma_f32 v[146:147], v[136:137], v[128:129], v[148:149] op_sel_hi:[1,0,1]
	v_pk_mul_f32 v[152:153], v[152:153], v[154:155] op_sel_hi:[1,0]
	v_pk_add_f32 v[124:125], v[124:125], 0 op_sel_hi:[1,0]
	v_mov_b32_e32 v127, v133
	v_pk_fma_f32 v[128:129], v[136:137], v[128:129], v[148:149] neg_lo:[0,0,1] neg_hi:[0,0,1]
	v_mov_b32_e32 v129, v147
	v_pk_fma_f32 v[132:133], v[138:139], v[130:131], v[152:153] op_sel_hi:[1,0,1]
	v_pk_fma_f32 v[130:131], v[138:139], v[130:131], v[152:153] neg_lo:[0,0,1] neg_hi:[0,0,1]
	v_pk_add_f32 v[124:125], v[124:125], v[126:127]
	s_wait_loadcnt_dscnt 0x100
	v_pk_mul_f32 v[126:127], v[150:151], v[140:141] op_sel:[1,1] op_sel_hi:[0,1]
	s_delay_alu instid0(VALU_DEP_2) | instskip(NEXT) | instid1(VALU_DEP_2)
	v_pk_add_f32 v[124:125], v[124:125], v[128:129]
	v_pk_fma_f32 v[128:129], v[150:151], v[140:141], v[126:127] op_sel_hi:[1,0,1]
	v_mov_b32_e32 v131, v133
	v_pk_fma_f32 v[126:127], v[150:151], v[140:141], v[126:127] neg_lo:[0,0,1] neg_hi:[0,0,1]
	s_delay_alu instid0(VALU_DEP_3) | instskip(NEXT) | instid1(VALU_DEP_3)
	v_mov_b32_e32 v127, v129
	v_pk_add_f32 v[124:125], v[124:125], v[130:131]
	s_delay_alu instid0(VALU_DEP_1) | instskip(SKIP_1) | instid1(VALU_DEP_1)
	v_pk_add_f32 v[124:125], v[124:125], v[126:127]
	s_wait_loadcnt 0x0
	v_pk_add_f32 v[124:125], v[142:143], v[124:125] neg_lo:[0,1] neg_hi:[0,1]
	scratch_store_b64 off, v[124:125], off offset:440
	s_wait_xcnt 0x0
	v_cmpx_lt_u32_e32 54, v0
	s_cbranch_execz .LBB124_271
; %bb.270:
	scratch_load_b64 v[124:125], off, off offset:432
	v_mov_b64_e32 v[126:127], 0
	scratch_store_b64 off, v[126:127], off offset:432
	s_wait_loadcnt 0x0
	ds_store_b64 v1, v[124:125]
.LBB124_271:
	s_wait_xcnt 0x0
	s_or_b32 exec_lo, exec_lo, s0
	s_wait_storecnt_dscnt 0x0
	s_barrier_signal -1
	s_barrier_wait -1
	s_clause 0x3
	scratch_load_b128 v[124:127], off, off offset:440
	scratch_load_b128 v[128:131], off, off offset:456
	;; [unrolled: 1-line block ×3, first 2 shown]
	scratch_load_b64 v[148:149], off, off offset:432
	ds_load_2addr_b64 v[136:139], v7 offset0:117 offset1:118
	ds_load_2addr_b64 v[140:143], v7 offset0:119 offset1:120
	;; [unrolled: 1-line block ×3, first 2 shown]
	s_mov_b32 s0, exec_lo
	s_wait_dscnt 0x2
	v_dual_mov_b32 v150, v139 :: v_dual_mov_b32 v151, v138
	s_wait_dscnt 0x1
	v_dual_mov_b32 v152, v143 :: v_dual_mov_b32 v153, v142
	;; [unrolled: 2-line block ×3, first 2 shown]
	s_wait_loadcnt 0x3
	v_pk_mul_f32 v[154:155], v[136:137], v[124:125] op_sel:[1,1] op_sel_hi:[0,1]
	v_mov_b32_e32 v156, v127
	s_delay_alu instid0(VALU_DEP_2) | instskip(NEXT) | instid1(VALU_DEP_2)
	v_pk_fma_f32 v[160:161], v[136:137], v[124:125], v[154:155] op_sel_hi:[1,0,1]
	v_pk_mul_f32 v[150:151], v[150:151], v[156:157] op_sel_hi:[1,0]
	v_pk_fma_f32 v[124:125], v[136:137], v[124:125], v[154:155] neg_lo:[0,0,1] neg_hi:[0,0,1]
	s_wait_loadcnt 0x2
	v_pk_mul_f32 v[156:157], v[140:141], v[128:129] op_sel:[1,1] op_sel_hi:[0,1]
	v_mov_b32_e32 v160, v131
	v_pk_fma_f32 v[136:137], v[138:139], v[126:127], v[150:151] op_sel_hi:[1,0,1]
	v_mov_b32_e32 v125, v161
	v_pk_fma_f32 v[126:127], v[138:139], v[126:127], v[150:151] neg_lo:[0,0,1] neg_hi:[0,0,1]
	v_pk_fma_f32 v[154:155], v[140:141], v[128:129], v[156:157] op_sel_hi:[1,0,1]
	v_pk_mul_f32 v[152:153], v[152:153], v[160:161] op_sel_hi:[1,0]
	v_mov_b32_e32 v127, v137
	v_pk_add_f32 v[124:125], v[124:125], 0 op_sel_hi:[1,0]
	v_pk_fma_f32 v[128:129], v[140:141], v[128:129], v[156:157] neg_lo:[0,0,1] neg_hi:[0,0,1]
	s_wait_loadcnt 0x1
	v_pk_mul_f32 v[136:137], v[144:145], v[132:133] op_sel:[1,1] op_sel_hi:[0,1]
	v_mov_b32_e32 v129, v155
	v_pk_fma_f32 v[138:139], v[142:143], v[130:131], v[152:153] op_sel_hi:[1,0,1]
	v_pk_add_f32 v[124:125], v[124:125], v[126:127]
	v_mov_b32_e32 v126, v135
	v_pk_fma_f32 v[130:131], v[142:143], v[130:131], v[152:153] neg_lo:[0,0,1] neg_hi:[0,0,1]
	v_pk_fma_f32 v[140:141], v[144:145], v[132:133], v[136:137] op_sel_hi:[1,0,1]
	v_mov_b32_e32 v131, v139
	v_pk_add_f32 v[124:125], v[124:125], v[128:129]
	v_pk_mul_f32 v[126:127], v[158:159], v[126:127] op_sel_hi:[1,0]
	v_pk_fma_f32 v[128:129], v[144:145], v[132:133], v[136:137] neg_lo:[0,0,1] neg_hi:[0,0,1]
	v_mov_b32_e32 v129, v141
	s_delay_alu instid0(VALU_DEP_4) | instskip(NEXT) | instid1(VALU_DEP_4)
	v_pk_add_f32 v[124:125], v[124:125], v[130:131]
	v_pk_fma_f32 v[130:131], v[146:147], v[134:135], v[126:127] op_sel_hi:[1,0,1]
	v_pk_fma_f32 v[126:127], v[146:147], v[134:135], v[126:127] neg_lo:[0,0,1] neg_hi:[0,0,1]
	s_delay_alu instid0(VALU_DEP_3) | instskip(NEXT) | instid1(VALU_DEP_3)
	v_pk_add_f32 v[124:125], v[124:125], v[128:129]
	v_mov_b32_e32 v127, v131
	s_delay_alu instid0(VALU_DEP_1) | instskip(SKIP_1) | instid1(VALU_DEP_1)
	v_pk_add_f32 v[124:125], v[124:125], v[126:127]
	s_wait_loadcnt 0x0
	v_pk_add_f32 v[124:125], v[148:149], v[124:125] neg_lo:[0,1] neg_hi:[0,1]
	scratch_store_b64 off, v[124:125], off offset:432
	s_wait_xcnt 0x0
	v_cmpx_lt_u32_e32 53, v0
	s_cbranch_execz .LBB124_273
; %bb.272:
	scratch_load_b64 v[124:125], off, off offset:424
	v_mov_b64_e32 v[126:127], 0
	scratch_store_b64 off, v[126:127], off offset:424
	s_wait_loadcnt 0x0
	ds_store_b64 v1, v[124:125]
.LBB124_273:
	s_wait_xcnt 0x0
	s_or_b32 exec_lo, exec_lo, s0
	s_wait_storecnt_dscnt 0x0
	s_barrier_signal -1
	s_barrier_wait -1
	s_clause 0x4
	scratch_load_b128 v[124:127], off, off offset:432
	scratch_load_b128 v[128:131], off, off offset:448
	scratch_load_b128 v[132:135], off, off offset:464
	scratch_load_b64 v[148:149], off, off offset:480
	scratch_load_b64 v[150:151], off, off offset:424
	v_mov_b32_e32 v7, 0
	ds_load_b128 v[136:139], v7 offset:928
	ds_load_b128 v[140:143], v7 offset:944
	;; [unrolled: 1-line block ×3, first 2 shown]
	ds_load_b64 v[152:153], v7 offset:976
	s_mov_b32 s0, exec_lo
	s_wait_dscnt 0x3
	v_dual_mov_b32 v154, v139 :: v_dual_mov_b32 v155, v138
	s_wait_dscnt 0x2
	v_dual_mov_b32 v156, v143 :: v_dual_mov_b32 v157, v142
	;; [unrolled: 2-line block ×3, first 2 shown]
	s_wait_loadcnt 0x4
	v_pk_mul_f32 v[158:159], v[136:137], v[124:125] op_sel:[1,1] op_sel_hi:[0,1]
	v_mov_b32_e32 v160, v127
	s_wait_loadcnt 0x3
	v_pk_mul_f32 v[164:165], v[140:141], v[128:129] op_sel:[1,1] op_sel_hi:[0,1]
	s_wait_loadcnt 0x2
	v_pk_mul_f32 v[168:169], v[144:145], v[132:133] op_sel:[1,1] op_sel_hi:[0,1]
	v_pk_fma_f32 v[166:167], v[136:137], v[124:125], v[158:159] op_sel_hi:[1,0,1]
	v_pk_mul_f32 v[154:155], v[154:155], v[160:161] op_sel_hi:[1,0]
	v_pk_fma_f32 v[124:125], v[136:137], v[124:125], v[158:159] neg_lo:[0,0,1] neg_hi:[0,0,1]
	v_mov_b32_e32 v160, v131
	v_pk_fma_f32 v[158:159], v[140:141], v[128:129], v[164:165] op_sel_hi:[1,0,1]
	v_mov_b32_e32 v125, v167
	v_pk_fma_f32 v[136:137], v[138:139], v[126:127], v[154:155] op_sel_hi:[1,0,1]
	v_pk_fma_f32 v[126:127], v[138:139], v[126:127], v[154:155] neg_lo:[0,0,1] neg_hi:[0,0,1]
	v_pk_mul_f32 v[156:157], v[156:157], v[160:161] op_sel_hi:[1,0]
	v_pk_fma_f32 v[128:129], v[140:141], v[128:129], v[164:165] neg_lo:[0,0,1] neg_hi:[0,0,1]
	v_pk_add_f32 v[124:125], v[124:125], 0 op_sel_hi:[1,0]
	v_dual_mov_b32 v127, v137 :: v_dual_mov_b32 v136, v135
	s_delay_alu instid0(VALU_DEP_4) | instskip(SKIP_2) | instid1(VALU_DEP_4)
	v_pk_fma_f32 v[138:139], v[142:143], v[130:131], v[156:157] op_sel_hi:[1,0,1]
	v_mov_b32_e32 v129, v159
	v_pk_fma_f32 v[130:131], v[142:143], v[130:131], v[156:157] neg_lo:[0,0,1] neg_hi:[0,0,1]
	v_pk_add_f32 v[124:125], v[124:125], v[126:127]
	v_pk_fma_f32 v[126:127], v[144:145], v[132:133], v[168:169] op_sel_hi:[1,0,1]
	v_pk_mul_f32 v[136:137], v[162:163], v[136:137] op_sel_hi:[1,0]
	v_mov_b32_e32 v131, v139
	s_delay_alu instid0(VALU_DEP_4)
	v_pk_add_f32 v[124:125], v[124:125], v[128:129]
	v_pk_fma_f32 v[128:129], v[144:145], v[132:133], v[168:169] neg_lo:[0,0,1] neg_hi:[0,0,1]
	v_mov_b32_e32 v129, v127
	v_pk_fma_f32 v[126:127], v[146:147], v[134:135], v[136:137] op_sel_hi:[1,0,1]
	v_pk_fma_f32 v[132:133], v[146:147], v[134:135], v[136:137] neg_lo:[0,0,1] neg_hi:[0,0,1]
	v_pk_add_f32 v[124:125], v[124:125], v[130:131]
	s_wait_loadcnt_dscnt 0x100
	v_pk_mul_f32 v[130:131], v[152:153], v[148:149] op_sel:[1,1] op_sel_hi:[0,1]
	v_mov_b32_e32 v133, v127
	s_delay_alu instid0(VALU_DEP_3) | instskip(NEXT) | instid1(VALU_DEP_3)
	v_pk_add_f32 v[124:125], v[124:125], v[128:129]
	v_pk_fma_f32 v[126:127], v[152:153], v[148:149], v[130:131] op_sel_hi:[1,0,1]
	v_pk_fma_f32 v[128:129], v[152:153], v[148:149], v[130:131] neg_lo:[0,0,1] neg_hi:[0,0,1]
	s_delay_alu instid0(VALU_DEP_3) | instskip(NEXT) | instid1(VALU_DEP_3)
	v_pk_add_f32 v[124:125], v[124:125], v[132:133]
	v_mov_b32_e32 v129, v127
	s_delay_alu instid0(VALU_DEP_1) | instskip(SKIP_1) | instid1(VALU_DEP_1)
	v_pk_add_f32 v[124:125], v[124:125], v[128:129]
	s_wait_loadcnt 0x0
	v_pk_add_f32 v[124:125], v[150:151], v[124:125] neg_lo:[0,1] neg_hi:[0,1]
	scratch_store_b64 off, v[124:125], off offset:424
	s_wait_xcnt 0x0
	v_cmpx_lt_u32_e32 52, v0
	s_cbranch_execz .LBB124_275
; %bb.274:
	scratch_load_b64 v[124:125], off, off offset:416
	v_mov_b64_e32 v[126:127], 0
	scratch_store_b64 off, v[126:127], off offset:416
	s_wait_loadcnt 0x0
	ds_store_b64 v1, v[124:125]
.LBB124_275:
	s_wait_xcnt 0x0
	s_or_b32 exec_lo, exec_lo, s0
	s_wait_storecnt_dscnt 0x0
	s_barrier_signal -1
	s_barrier_wait -1
	s_clause 0x4
	scratch_load_b128 v[124:127], off, off offset:424
	scratch_load_b128 v[128:131], off, off offset:440
	;; [unrolled: 1-line block ×4, first 2 shown]
	scratch_load_b64 v[156:157], off, off offset:416
	ds_load_2addr_b64 v[140:143], v7 offset0:115 offset1:116
	ds_load_2addr_b64 v[144:147], v7 offset0:117 offset1:118
	;; [unrolled: 1-line block ×4, first 2 shown]
	s_mov_b32 s0, exec_lo
	s_wait_dscnt 0x3
	v_dual_mov_b32 v158, v143 :: v_dual_mov_b32 v159, v142
	s_wait_dscnt 0x2
	v_dual_mov_b32 v160, v147 :: v_dual_mov_b32 v161, v146
	;; [unrolled: 2-line block ×3, first 2 shown]
	v_dual_mov_b32 v163, v150 :: v_dual_mov_b32 v168, v155
	s_wait_loadcnt 0x4
	v_mov_b32_e32 v166, v127
	v_pk_mul_f32 v[164:165], v[140:141], v[124:125] op_sel:[1,1] op_sel_hi:[0,1]
	s_wait_loadcnt 0x3
	v_pk_mul_f32 v[170:171], v[144:145], v[128:129] op_sel:[1,1] op_sel_hi:[0,1]
	s_wait_loadcnt 0x2
	v_pk_mul_f32 v[174:175], v[148:149], v[132:133] op_sel:[1,1] op_sel_hi:[0,1]
	v_pk_mul_f32 v[158:159], v[158:159], v[166:167] op_sel_hi:[1,0]
	v_pk_fma_f32 v[172:173], v[140:141], v[124:125], v[164:165] op_sel_hi:[1,0,1]
	v_pk_fma_f32 v[124:125], v[140:141], v[124:125], v[164:165] neg_lo:[0,0,1] neg_hi:[0,0,1]
	v_mov_b32_e32 v166, v131
	v_pk_fma_f32 v[164:165], v[144:145], v[128:129], v[170:171] op_sel_hi:[1,0,1]
	v_pk_fma_f32 v[140:141], v[142:143], v[126:127], v[158:159] op_sel_hi:[1,0,1]
	v_mov_b32_e32 v125, v173
	v_pk_fma_f32 v[126:127], v[142:143], v[126:127], v[158:159] neg_lo:[0,0,1] neg_hi:[0,0,1]
	v_pk_mul_f32 v[160:161], v[160:161], v[166:167] op_sel_hi:[1,0]
	s_delay_alu instid0(VALU_DEP_4) | instskip(NEXT) | instid1(VALU_DEP_4)
	v_dual_mov_b32 v140, v135 :: v_dual_mov_b32 v127, v141
	v_pk_add_f32 v[124:125], v[124:125], 0 op_sel_hi:[1,0]
	v_pk_fma_f32 v[128:129], v[144:145], v[128:129], v[170:171] neg_lo:[0,0,1] neg_hi:[0,0,1]
	v_mov_b32_e32 v129, v165
	v_pk_fma_f32 v[142:143], v[146:147], v[130:131], v[160:161] op_sel_hi:[1,0,1]
	v_pk_mul_f32 v[140:141], v[162:163], v[140:141] op_sel_hi:[1,0]
	v_pk_add_f32 v[124:125], v[124:125], v[126:127]
	v_pk_fma_f32 v[126:127], v[148:149], v[132:133], v[174:175] op_sel_hi:[1,0,1]
	v_pk_fma_f32 v[130:131], v[146:147], v[130:131], v[160:161] neg_lo:[0,0,1] neg_hi:[0,0,1]
	v_mov_b32_e32 v131, v143
	v_pk_fma_f32 v[132:133], v[148:149], v[132:133], v[174:175] neg_lo:[0,0,1] neg_hi:[0,0,1]
	v_pk_add_f32 v[124:125], v[124:125], v[128:129]
	v_mov_b32_e32 v133, v127
	v_pk_fma_f32 v[126:127], v[150:151], v[134:135], v[140:141] op_sel_hi:[1,0,1]
	s_wait_loadcnt 0x1
	v_pk_mul_f32 v[128:129], v[152:153], v[136:137] op_sel:[1,1] op_sel_hi:[0,1]
	v_mov_b32_e32 v126, v139
	v_pk_add_f32 v[124:125], v[124:125], v[130:131]
	v_pk_fma_f32 v[134:135], v[150:151], v[134:135], v[140:141] neg_lo:[0,0,1] neg_hi:[0,0,1]
	v_mov_b32_e32 v135, v127
	v_pk_fma_f32 v[130:131], v[152:153], v[136:137], v[128:129] op_sel_hi:[1,0,1]
	v_pk_mul_f32 v[126:127], v[168:169], v[126:127] op_sel_hi:[1,0]
	v_pk_add_f32 v[124:125], v[124:125], v[132:133]
	v_pk_fma_f32 v[128:129], v[152:153], v[136:137], v[128:129] neg_lo:[0,0,1] neg_hi:[0,0,1]
	s_delay_alu instid0(VALU_DEP_4) | instskip(NEXT) | instid1(VALU_DEP_4)
	v_mov_b32_e32 v129, v131
	v_pk_fma_f32 v[130:131], v[154:155], v[138:139], v[126:127] op_sel_hi:[1,0,1]
	s_delay_alu instid0(VALU_DEP_4) | instskip(SKIP_1) | instid1(VALU_DEP_3)
	v_pk_add_f32 v[124:125], v[124:125], v[134:135]
	v_pk_fma_f32 v[126:127], v[154:155], v[138:139], v[126:127] neg_lo:[0,0,1] neg_hi:[0,0,1]
	v_mov_b32_e32 v127, v131
	s_delay_alu instid0(VALU_DEP_3) | instskip(NEXT) | instid1(VALU_DEP_1)
	v_pk_add_f32 v[124:125], v[124:125], v[128:129]
	v_pk_add_f32 v[124:125], v[124:125], v[126:127]
	s_wait_loadcnt 0x0
	s_delay_alu instid0(VALU_DEP_1)
	v_pk_add_f32 v[124:125], v[156:157], v[124:125] neg_lo:[0,1] neg_hi:[0,1]
	scratch_store_b64 off, v[124:125], off offset:416
	s_wait_xcnt 0x0
	v_cmpx_lt_u32_e32 51, v0
	s_cbranch_execz .LBB124_277
; %bb.276:
	scratch_load_b64 v[124:125], off, off offset:408
	v_mov_b64_e32 v[126:127], 0
	scratch_store_b64 off, v[126:127], off offset:408
	s_wait_loadcnt 0x0
	ds_store_b64 v1, v[124:125]
.LBB124_277:
	s_wait_xcnt 0x0
	s_or_b32 exec_lo, exec_lo, s0
	s_wait_storecnt_dscnt 0x0
	s_barrier_signal -1
	s_barrier_wait -1
	s_clause 0x5
	scratch_load_b128 v[124:127], off, off offset:416
	scratch_load_b128 v[128:131], off, off offset:432
	;; [unrolled: 1-line block ×4, first 2 shown]
	scratch_load_b64 v[156:157], off, off offset:480
	scratch_load_b64 v[158:159], off, off offset:408
	v_mov_b32_e32 v7, 0
	ds_load_b128 v[140:143], v7 offset:912
	ds_load_b128 v[144:147], v7 offset:928
	;; [unrolled: 1-line block ×4, first 2 shown]
	ds_load_b64 v[160:161], v7 offset:976
	s_mov_b32 s0, exec_lo
	s_wait_dscnt 0x4
	v_dual_mov_b32 v162, v143 :: v_dual_mov_b32 v163, v142
	s_wait_dscnt 0x1
	v_dual_mov_b32 v164, v147 :: v_dual_mov_b32 v169, v154
	v_dual_mov_b32 v165, v146 :: v_dual_mov_b32 v166, v151
	;; [unrolled: 1-line block ×3, first 2 shown]
	s_wait_loadcnt 0x5
	v_dual_mov_b32 v170, v127 :: v_dual_mul_f32 v171, v140, v125
	v_mul_f32_e32 v9, v141, v125
	s_wait_loadcnt 0x4
	v_pk_mul_f32 v[172:173], v[144:145], v[128:129] op_sel:[1,1] op_sel_hi:[0,1]
	v_mov_b32_e32 v174, v131
	s_wait_loadcnt 0x3
	v_pk_mul_f32 v[176:177], v[148:149], v[132:133] op_sel:[1,1] op_sel_hi:[0,1]
	v_pk_mul_f32 v[162:163], v[162:163], v[170:171] op_sel_hi:[1,0]
	v_dual_fmac_f32 v171, v141, v124 :: v_dual_fma_f32 v170, v140, v124, -v9
	v_mov_b32_e32 v124, v135
	v_pk_fma_f32 v[178:179], v[144:145], v[128:129], v[172:173] op_sel_hi:[1,0,1]
	s_delay_alu instid0(VALU_DEP_4)
	v_pk_fma_f32 v[140:141], v[142:143], v[126:127], v[162:163] op_sel_hi:[1,0,1]
	v_pk_fma_f32 v[126:127], v[142:143], v[126:127], v[162:163] neg_lo:[0,0,1] neg_hi:[0,0,1]
	v_pk_mul_f32 v[164:165], v[164:165], v[174:175] op_sel_hi:[1,0]
	v_pk_add_f32 v[170:171], v[170:171], 0 op_sel_hi:[1,0]
	v_pk_fma_f32 v[128:129], v[144:145], v[128:129], v[172:173] neg_lo:[0,0,1] neg_hi:[0,0,1]
	v_dual_mov_b32 v127, v141 :: v_dual_mov_b32 v129, v179
	s_delay_alu instid0(VALU_DEP_4) | instskip(SKIP_2) | instid1(VALU_DEP_4)
	v_pk_fma_f32 v[142:143], v[146:147], v[130:131], v[164:165] op_sel_hi:[1,0,1]
	v_pk_fma_f32 v[130:131], v[146:147], v[130:131], v[164:165] neg_lo:[0,0,1] neg_hi:[0,0,1]
	v_pk_fma_f32 v[144:145], v[148:149], v[132:133], v[176:177] op_sel_hi:[1,0,1]
	v_pk_add_f32 v[126:127], v[170:171], v[126:127]
	v_pk_mul_f32 v[124:125], v[166:167], v[124:125] op_sel_hi:[1,0]
	v_mov_b32_e32 v131, v143
	v_pk_fma_f32 v[132:133], v[148:149], v[132:133], v[176:177] neg_lo:[0,0,1] neg_hi:[0,0,1]
	s_wait_loadcnt 0x2
	v_pk_mul_f32 v[140:141], v[152:153], v[136:137] op_sel:[1,1] op_sel_hi:[0,1]
	v_pk_add_f32 v[126:127], v[126:127], v[128:129]
	v_mov_b32_e32 v128, v139
	v_pk_fma_f32 v[142:143], v[150:151], v[134:135], v[124:125] op_sel_hi:[1,0,1]
	v_mov_b32_e32 v133, v145
	v_pk_fma_f32 v[124:125], v[150:151], v[134:135], v[124:125] neg_lo:[0,0,1] neg_hi:[0,0,1]
	v_pk_add_f32 v[126:127], v[126:127], v[130:131]
	v_pk_fma_f32 v[130:131], v[152:153], v[136:137], v[140:141] op_sel_hi:[1,0,1]
	v_pk_mul_f32 v[128:129], v[168:169], v[128:129] op_sel_hi:[1,0]
	v_mov_b32_e32 v125, v143
	s_delay_alu instid0(VALU_DEP_4)
	v_pk_add_f32 v[126:127], v[126:127], v[132:133]
	v_pk_fma_f32 v[132:133], v[152:153], v[136:137], v[140:141] neg_lo:[0,0,1] neg_hi:[0,0,1]
	v_mov_b32_e32 v133, v131
	v_pk_fma_f32 v[130:131], v[154:155], v[138:139], v[128:129] op_sel_hi:[1,0,1]
	v_pk_fma_f32 v[128:129], v[154:155], v[138:139], v[128:129] neg_lo:[0,0,1] neg_hi:[0,0,1]
	v_pk_add_f32 v[124:125], v[126:127], v[124:125]
	s_wait_loadcnt_dscnt 0x100
	v_pk_mul_f32 v[126:127], v[160:161], v[156:157] op_sel:[1,1] op_sel_hi:[0,1]
	v_mov_b32_e32 v129, v131
	s_delay_alu instid0(VALU_DEP_3) | instskip(NEXT) | instid1(VALU_DEP_3)
	v_pk_add_f32 v[124:125], v[124:125], v[132:133]
	v_pk_fma_f32 v[130:131], v[160:161], v[156:157], v[126:127] op_sel_hi:[1,0,1]
	v_pk_fma_f32 v[126:127], v[160:161], v[156:157], v[126:127] neg_lo:[0,0,1] neg_hi:[0,0,1]
	s_delay_alu instid0(VALU_DEP_3) | instskip(NEXT) | instid1(VALU_DEP_3)
	v_pk_add_f32 v[124:125], v[124:125], v[128:129]
	v_mov_b32_e32 v127, v131
	s_delay_alu instid0(VALU_DEP_1) | instskip(SKIP_1) | instid1(VALU_DEP_1)
	v_pk_add_f32 v[124:125], v[124:125], v[126:127]
	s_wait_loadcnt 0x0
	v_pk_add_f32 v[124:125], v[158:159], v[124:125] neg_lo:[0,1] neg_hi:[0,1]
	scratch_store_b64 off, v[124:125], off offset:408
	s_wait_xcnt 0x0
	v_cmpx_lt_u32_e32 50, v0
	s_cbranch_execz .LBB124_279
; %bb.278:
	scratch_load_b64 v[124:125], off, off offset:400
	v_mov_b64_e32 v[126:127], 0
	scratch_store_b64 off, v[126:127], off offset:400
	s_wait_loadcnt 0x0
	ds_store_b64 v1, v[124:125]
.LBB124_279:
	s_wait_xcnt 0x0
	s_or_b32 exec_lo, exec_lo, s0
	s_wait_storecnt_dscnt 0x0
	s_barrier_signal -1
	s_barrier_wait -1
	s_clause 0x5
	scratch_load_b128 v[124:127], off, off offset:408
	scratch_load_b128 v[128:131], off, off offset:424
	;; [unrolled: 1-line block ×5, first 2 shown]
	scratch_load_b64 v[164:165], off, off offset:400
	ds_load_2addr_b64 v[144:147], v7 offset0:115 offset1:116
	ds_load_2addr_b64 v[148:151], v7 offset0:117 offset1:118
	ds_load_2addr_b64 v[152:155], v7 offset0:119 offset1:120
	ds_load_2addr_b64 v[156:159], v7 offset0:121 offset1:122
	ds_load_2addr_b64 v[160:163], v7 offset0:113 offset1:114
	s_mov_b32 s0, exec_lo
	s_wait_dscnt 0x4
	v_dual_mov_b32 v166, v147 :: v_dual_mov_b32 v167, v146
	s_wait_dscnt 0x3
	v_dual_mov_b32 v168, v151 :: v_dual_mov_b32 v169, v150
	;; [unrolled: 2-line block ×4, first 2 shown]
	s_wait_loadcnt_dscnt 0x500
	v_dual_mul_f32 v175, v160, v125 :: v_dual_mul_f32 v177, v162, v127
	v_dual_mul_f32 v7, v161, v125 :: v_dual_mul_f32 v9, v163, v127
	s_wait_loadcnt 0x4
	v_pk_mul_f32 v[178:179], v[144:145], v[128:129] op_sel:[1,1] op_sel_hi:[0,1]
	s_wait_loadcnt 0x3
	v_dual_mov_b32 v180, v131 :: v_dual_mov_b32 v184, v135
	v_dual_fmac_f32 v175, v161, v124 :: v_dual_fmac_f32 v177, v163, v126
	v_dual_fma_f32 v174, v160, v124, -v7 :: v_dual_fma_f32 v176, v162, v126, -v9
	v_pk_fma_f32 v[124:125], v[144:145], v[128:129], v[178:179] op_sel_hi:[1,0,1]
	s_delay_alu instid0(VALU_DEP_4) | instskip(SKIP_1) | instid1(VALU_DEP_4)
	v_pk_mul_f32 v[126:127], v[166:167], v[180:181] op_sel_hi:[1,0]
	v_pk_fma_f32 v[128:129], v[144:145], v[128:129], v[178:179] neg_lo:[0,0,1] neg_hi:[0,0,1]
	v_pk_add_f32 v[160:161], v[174:175], 0 op_sel_hi:[1,0]
	v_pk_mul_f32 v[182:183], v[148:149], v[132:133] op_sel:[1,1] op_sel_hi:[0,1]
	v_mov_b32_e32 v129, v125
	v_pk_fma_f32 v[124:125], v[146:147], v[130:131], v[126:127] op_sel_hi:[1,0,1]
	v_pk_fma_f32 v[126:127], v[146:147], v[130:131], v[126:127] neg_lo:[0,0,1] neg_hi:[0,0,1]
	v_pk_add_f32 v[144:145], v[160:161], v[176:177]
	v_pk_fma_f32 v[160:161], v[148:149], v[132:133], v[182:183] op_sel_hi:[1,0,1]
	v_pk_mul_f32 v[166:167], v[168:169], v[184:185] op_sel_hi:[1,0]
	v_mov_b32_e32 v127, v125
	s_wait_loadcnt 0x2
	v_pk_mul_f32 v[162:163], v[152:153], v[136:137] op_sel:[1,1] op_sel_hi:[0,1]
	v_pk_add_f32 v[124:125], v[144:145], v[128:129]
	v_mov_b32_e32 v128, v139
	v_pk_fma_f32 v[130:131], v[148:149], v[132:133], v[182:183] neg_lo:[0,0,1] neg_hi:[0,0,1]
	v_mov_b32_e32 v131, v161
	v_pk_fma_f32 v[132:133], v[150:151], v[134:135], v[166:167] op_sel_hi:[1,0,1]
	v_pk_add_f32 v[124:125], v[124:125], v[126:127]
	v_pk_fma_f32 v[126:127], v[152:153], v[136:137], v[162:163] op_sel_hi:[1,0,1]
	v_pk_mul_f32 v[128:129], v[170:171], v[128:129] op_sel_hi:[1,0]
	v_pk_fma_f32 v[134:135], v[150:151], v[134:135], v[166:167] neg_lo:[0,0,1] neg_hi:[0,0,1]
	v_mov_b32_e32 v135, v133
	v_pk_add_f32 v[124:125], v[124:125], v[130:131]
	v_pk_fma_f32 v[132:133], v[152:153], v[136:137], v[162:163] neg_lo:[0,0,1] neg_hi:[0,0,1]
	v_mov_b32_e32 v133, v127
	v_pk_fma_f32 v[126:127], v[154:155], v[138:139], v[128:129] op_sel_hi:[1,0,1]
	s_wait_loadcnt 0x1
	v_pk_mul_f32 v[130:131], v[156:157], v[140:141] op_sel:[1,1] op_sel_hi:[0,1]
	v_pk_add_f32 v[124:125], v[124:125], v[134:135]
	v_mov_b32_e32 v126, v143
	v_pk_fma_f32 v[128:129], v[154:155], v[138:139], v[128:129] neg_lo:[0,0,1] neg_hi:[0,0,1]
	v_mov_b32_e32 v129, v127
	v_pk_fma_f32 v[134:135], v[156:157], v[140:141], v[130:131] op_sel_hi:[1,0,1]
	v_pk_add_f32 v[124:125], v[124:125], v[132:133]
	v_pk_mul_f32 v[126:127], v[172:173], v[126:127] op_sel_hi:[1,0]
	v_pk_fma_f32 v[130:131], v[156:157], v[140:141], v[130:131] neg_lo:[0,0,1] neg_hi:[0,0,1]
	s_delay_alu instid0(VALU_DEP_3) | instskip(NEXT) | instid1(VALU_DEP_3)
	v_pk_add_f32 v[124:125], v[124:125], v[128:129]
	v_pk_fma_f32 v[128:129], v[158:159], v[142:143], v[126:127] op_sel_hi:[1,0,1]
	v_mov_b32_e32 v131, v135
	v_pk_fma_f32 v[126:127], v[158:159], v[142:143], v[126:127] neg_lo:[0,0,1] neg_hi:[0,0,1]
	s_delay_alu instid0(VALU_DEP_3) | instskip(NEXT) | instid1(VALU_DEP_3)
	v_mov_b32_e32 v127, v129
	v_pk_add_f32 v[124:125], v[124:125], v[130:131]
	s_delay_alu instid0(VALU_DEP_1) | instskip(SKIP_1) | instid1(VALU_DEP_1)
	v_pk_add_f32 v[124:125], v[124:125], v[126:127]
	s_wait_loadcnt 0x0
	v_pk_add_f32 v[124:125], v[164:165], v[124:125] neg_lo:[0,1] neg_hi:[0,1]
	scratch_store_b64 off, v[124:125], off offset:400
	s_wait_xcnt 0x0
	v_cmpx_lt_u32_e32 49, v0
	s_cbranch_execz .LBB124_281
; %bb.280:
	scratch_load_b64 v[124:125], off, off offset:392
	v_mov_b64_e32 v[126:127], 0
	scratch_store_b64 off, v[126:127], off offset:392
	s_wait_loadcnt 0x0
	ds_store_b64 v1, v[124:125]
.LBB124_281:
	s_wait_xcnt 0x0
	s_or_b32 exec_lo, exec_lo, s0
	s_wait_storecnt_dscnt 0x0
	s_barrier_signal -1
	s_barrier_wait -1
	s_clause 0x6
	scratch_load_b128 v[124:127], off, off offset:400
	scratch_load_b128 v[128:131], off, off offset:416
	;; [unrolled: 1-line block ×5, first 2 shown]
	scratch_load_b64 v[164:165], off, off offset:480
	scratch_load_b64 v[166:167], off, off offset:392
	v_mov_b32_e32 v7, 0
	ds_load_b128 v[144:147], v7 offset:912
	ds_load_b128 v[148:151], v7 offset:928
	;; [unrolled: 1-line block ×5, first 2 shown]
	ds_load_b64 v[168:169], v7 offset:976
	s_mov_b32 s0, exec_lo
	s_wait_dscnt 0x5
	v_dual_mov_b32 v170, v147 :: v_dual_mov_b32 v171, v146
	s_wait_dscnt 0x2
	v_dual_mov_b32 v172, v151 :: v_dual_mov_b32 v177, v158
	v_dual_mov_b32 v173, v150 :: v_dual_mov_b32 v174, v155
	;; [unrolled: 1-line block ×3, first 2 shown]
	s_wait_loadcnt_dscnt 0x601
	v_dual_mul_f32 v9, v160, v125 :: v_dual_mul_f32 v11, v161, v125
	v_dual_mul_f32 v13, v163, v127 :: v_dual_mul_f32 v179, v162, v127
	s_wait_loadcnt 0x5
	v_dual_mul_f32 v181, v144, v129 :: v_dual_mul_f32 v15, v145, v129
	s_wait_loadcnt 0x4
	v_dual_mov_b32 v180, v131 :: v_dual_mov_b32 v184, v135
	v_dual_fmac_f32 v9, v161, v124 :: v_dual_fma_f32 v11, v160, v124, -v11
	v_dual_fma_f32 v178, v162, v126, -v13 :: v_dual_fmac_f32 v179, v163, v126
	s_delay_alu instid0(VALU_DEP_3) | instskip(NEXT) | instid1(VALU_DEP_3)
	v_pk_mul_f32 v[124:125], v[170:171], v[180:181] op_sel_hi:[1,0]
	v_dual_add_f32 v127, 0, v9 :: v_dual_add_f32 v126, 0, v11
	s_wait_loadcnt 0x3
	v_mov_b32_e32 v160, v139
	v_pk_mul_f32 v[182:183], v[148:149], v[132:133] op_sel:[1,1] op_sel_hi:[0,1]
	v_dual_fmac_f32 v181, v145, v128 :: v_dual_fma_f32 v180, v144, v128, -v15
	v_pk_fma_f32 v[128:129], v[146:147], v[130:131], v[124:125] op_sel_hi:[1,0,1]
	v_pk_add_f32 v[126:127], v[126:127], v[178:179]
	v_pk_fma_f32 v[124:125], v[146:147], v[130:131], v[124:125] neg_lo:[0,0,1] neg_hi:[0,0,1]
	v_pk_fma_f32 v[144:145], v[148:149], v[132:133], v[182:183] op_sel_hi:[1,0,1]
	v_pk_mul_f32 v[162:163], v[172:173], v[184:185] op_sel_hi:[1,0]
	v_mov_b32_e32 v125, v129
	v_pk_add_f32 v[126:127], v[126:127], v[180:181]
	v_pk_fma_f32 v[130:131], v[148:149], v[132:133], v[182:183] neg_lo:[0,0,1] neg_hi:[0,0,1]
	v_pk_mul_f32 v[186:187], v[152:153], v[136:137] op_sel:[1,1] op_sel_hi:[0,1]
	v_mov_b32_e32 v131, v145
	v_pk_fma_f32 v[132:133], v[150:151], v[134:135], v[162:163] op_sel_hi:[1,0,1]
	v_pk_add_f32 v[124:125], v[126:127], v[124:125]
	v_pk_fma_f32 v[134:135], v[150:151], v[134:135], v[162:163] neg_lo:[0,0,1] neg_hi:[0,0,1]
	v_pk_fma_f32 v[126:127], v[152:153], v[136:137], v[186:187] op_sel_hi:[1,0,1]
	v_pk_mul_f32 v[144:145], v[174:175], v[160:161] op_sel_hi:[1,0]
	s_wait_loadcnt 0x2
	v_dual_mov_b32 v135, v133 :: v_dual_mov_b32 v126, v143
	v_pk_add_f32 v[124:125], v[124:125], v[130:131]
	v_pk_fma_f32 v[130:131], v[152:153], v[136:137], v[186:187] neg_lo:[0,0,1] neg_hi:[0,0,1]
	v_pk_mul_f32 v[128:129], v[156:157], v[140:141] op_sel:[1,1] op_sel_hi:[0,1]
	v_pk_fma_f32 v[132:133], v[154:155], v[138:139], v[144:145] op_sel_hi:[1,0,1]
	v_mov_b32_e32 v131, v127
	v_pk_add_f32 v[124:125], v[124:125], v[134:135]
	v_pk_fma_f32 v[136:137], v[154:155], v[138:139], v[144:145] neg_lo:[0,0,1] neg_hi:[0,0,1]
	v_pk_fma_f32 v[134:135], v[156:157], v[140:141], v[128:129] op_sel_hi:[1,0,1]
	v_pk_mul_f32 v[126:127], v[176:177], v[126:127] op_sel_hi:[1,0]
	v_mov_b32_e32 v137, v133
	v_pk_add_f32 v[124:125], v[124:125], v[130:131]
	v_pk_fma_f32 v[128:129], v[156:157], v[140:141], v[128:129] neg_lo:[0,0,1] neg_hi:[0,0,1]
	s_wait_loadcnt_dscnt 0x100
	v_pk_mul_f32 v[132:133], v[168:169], v[164:165] op_sel:[1,1] op_sel_hi:[0,1]
	v_pk_fma_f32 v[130:131], v[158:159], v[142:143], v[126:127] op_sel_hi:[1,0,1]
	v_mov_b32_e32 v129, v135
	v_pk_add_f32 v[124:125], v[124:125], v[136:137]
	v_pk_fma_f32 v[126:127], v[158:159], v[142:143], v[126:127] neg_lo:[0,0,1] neg_hi:[0,0,1]
	s_delay_alu instid0(VALU_DEP_4) | instskip(SKIP_1) | instid1(VALU_DEP_4)
	v_mov_b32_e32 v127, v131
	v_pk_fma_f32 v[130:131], v[168:169], v[164:165], v[132:133] neg_lo:[0,0,1] neg_hi:[0,0,1]
	v_pk_add_f32 v[124:125], v[124:125], v[128:129]
	v_pk_fma_f32 v[128:129], v[168:169], v[164:165], v[132:133] op_sel_hi:[1,0,1]
	s_delay_alu instid0(VALU_DEP_2) | instskip(NEXT) | instid1(VALU_DEP_2)
	v_pk_add_f32 v[124:125], v[124:125], v[126:127]
	v_mov_b32_e32 v131, v129
	s_delay_alu instid0(VALU_DEP_1) | instskip(SKIP_1) | instid1(VALU_DEP_1)
	v_pk_add_f32 v[124:125], v[124:125], v[130:131]
	s_wait_loadcnt 0x0
	v_pk_add_f32 v[124:125], v[166:167], v[124:125] neg_lo:[0,1] neg_hi:[0,1]
	scratch_store_b64 off, v[124:125], off offset:392
	s_wait_xcnt 0x0
	v_cmpx_lt_u32_e32 48, v0
	s_cbranch_execz .LBB124_283
; %bb.282:
	scratch_load_b64 v[124:125], off, off offset:384
	v_mov_b64_e32 v[126:127], 0
	scratch_store_b64 off, v[126:127], off offset:384
	s_wait_loadcnt 0x0
	ds_store_b64 v1, v[124:125]
.LBB124_283:
	s_wait_xcnt 0x0
	s_or_b32 exec_lo, exec_lo, s0
	s_wait_storecnt_dscnt 0x0
	s_barrier_signal -1
	s_barrier_wait -1
	s_clause 0x6
	scratch_load_b128 v[124:127], off, off offset:392
	scratch_load_b128 v[128:131], off, off offset:408
	;; [unrolled: 1-line block ×6, first 2 shown]
	scratch_load_b64 v[172:173], off, off offset:384
	ds_load_2addr_b64 v[148:151], v7 offset0:115 offset1:116
	ds_load_2addr_b64 v[152:155], v7 offset0:117 offset1:118
	;; [unrolled: 1-line block ×6, first 2 shown]
	s_mov_b32 s0, exec_lo
	s_wait_dscnt 0x5
	v_dual_mov_b32 v174, v151 :: v_dual_mov_b32 v175, v150
	s_wait_dscnt 0x4
	v_dual_mov_b32 v176, v155 :: v_dual_mov_b32 v177, v154
	;; [unrolled: 2-line block ×4, first 2 shown]
	s_wait_loadcnt_dscnt 0x601
	v_dual_mul_f32 v7, v164, v125 :: v_dual_mul_f32 v9, v166, v127
	v_dual_mul_f32 v11, v165, v125 :: v_dual_mul_f32 v13, v167, v127
	s_wait_loadcnt 0x4
	s_delay_alu instid0(VALU_DEP_2)
	v_dual_mov_b32 v188, v135 :: v_dual_fmac_f32 v7, v165, v124
	s_wait_dscnt 0x0
	v_dual_mul_f32 v183, v168, v129 :: v_dual_mul_f32 v185, v170, v131
	v_dual_fma_f32 v11, v164, v124, -v11 :: v_dual_fmac_f32 v9, v167, v126
	v_dual_mul_f32 v15, v169, v129 :: v_dual_mul_f32 v17, v171, v131
	v_dual_fma_f32 v13, v166, v126, -v13 :: v_dual_add_f32 v7, 0, v7
	s_wait_loadcnt 0x3
	s_delay_alu instid0(VALU_DEP_3) | instskip(SKIP_3) | instid1(VALU_DEP_4)
	v_dual_add_f32 v11, 0, v11 :: v_dual_mov_b32 v126, v139
	v_pk_mul_f32 v[186:187], v[148:149], v[132:133] op_sel:[1,1] op_sel_hi:[0,1]
	v_pk_mul_f32 v[124:125], v[152:153], v[136:137] op_sel:[1,1] op_sel_hi:[0,1]
	v_dual_fmac_f32 v183, v169, v128 :: v_dual_add_f32 v129, v7, v9
	v_dual_fma_f32 v182, v168, v128, -v15 :: v_dual_add_f32 v128, v11, v13
	v_fmac_f32_e32 v185, v171, v130
	v_fma_f32 v184, v170, v130, -v17
	v_pk_fma_f32 v[130:131], v[148:149], v[132:133], v[186:187] op_sel_hi:[1,0,1]
	v_pk_mul_f32 v[164:165], v[174:175], v[188:189] op_sel_hi:[1,0]
	v_pk_add_f32 v[128:129], v[128:129], v[182:183]
	v_pk_fma_f32 v[132:133], v[148:149], v[132:133], v[186:187] neg_lo:[0,0,1] neg_hi:[0,0,1]
	v_pk_fma_f32 v[148:149], v[152:153], v[136:137], v[124:125] op_sel_hi:[1,0,1]
	v_pk_fma_f32 v[124:125], v[152:153], v[136:137], v[124:125] neg_lo:[0,0,1] neg_hi:[0,0,1]
	v_mov_b32_e32 v133, v131
	v_pk_fma_f32 v[130:131], v[150:151], v[134:135], v[164:165] op_sel_hi:[1,0,1]
	v_pk_fma_f32 v[134:135], v[150:151], v[134:135], v[164:165] neg_lo:[0,0,1] neg_hi:[0,0,1]
	v_mov_b32_e32 v125, v149
	v_pk_add_f32 v[128:129], v[128:129], v[184:185]
	v_pk_mul_f32 v[126:127], v[176:177], v[126:127] op_sel_hi:[1,0]
	s_wait_loadcnt 0x2
	v_dual_mov_b32 v135, v131 :: v_dual_mov_b32 v130, v143
	v_pk_mul_f32 v[166:167], v[156:157], v[140:141] op_sel:[1,1] op_sel_hi:[0,1]
	v_pk_add_f32 v[128:129], v[128:129], v[132:133]
	v_pk_fma_f32 v[132:133], v[154:155], v[138:139], v[126:127] op_sel_hi:[1,0,1]
	v_pk_fma_f32 v[126:127], v[154:155], v[138:139], v[126:127] neg_lo:[0,0,1] neg_hi:[0,0,1]
	v_pk_mul_f32 v[130:131], v[178:179], v[130:131] op_sel_hi:[1,0]
	s_delay_alu instid0(VALU_DEP_4) | instskip(SKIP_3) | instid1(VALU_DEP_4)
	v_pk_add_f32 v[128:129], v[128:129], v[134:135]
	v_pk_fma_f32 v[134:135], v[156:157], v[140:141], v[166:167] op_sel_hi:[1,0,1]
	v_mov_b32_e32 v127, v133
	v_pk_fma_f32 v[132:133], v[156:157], v[140:141], v[166:167] neg_lo:[0,0,1] neg_hi:[0,0,1]
	v_pk_add_f32 v[124:125], v[128:129], v[124:125]
	s_wait_loadcnt 0x1
	v_pk_mul_f32 v[128:129], v[160:161], v[144:145] op_sel:[1,1] op_sel_hi:[0,1]
	v_mov_b32_e32 v133, v135
	v_pk_fma_f32 v[134:135], v[158:159], v[142:143], v[130:131] op_sel_hi:[1,0,1]
	v_pk_fma_f32 v[130:131], v[158:159], v[142:143], v[130:131] neg_lo:[0,0,1] neg_hi:[0,0,1]
	v_pk_add_f32 v[124:125], v[124:125], v[126:127]
	v_mov_b32_e32 v126, v147
	v_pk_fma_f32 v[136:137], v[160:161], v[144:145], v[128:129] op_sel_hi:[1,0,1]
	v_mov_b32_e32 v131, v135
	v_pk_fma_f32 v[128:129], v[160:161], v[144:145], v[128:129] neg_lo:[0,0,1] neg_hi:[0,0,1]
	v_pk_add_f32 v[124:125], v[124:125], v[132:133]
	v_pk_mul_f32 v[126:127], v[180:181], v[126:127] op_sel_hi:[1,0]
	s_delay_alu instid0(VALU_DEP_2) | instskip(NEXT) | instid1(VALU_DEP_2)
	v_pk_add_f32 v[124:125], v[124:125], v[130:131]
	v_pk_fma_f32 v[130:131], v[162:163], v[146:147], v[126:127] op_sel_hi:[1,0,1]
	v_mov_b32_e32 v129, v137
	v_pk_fma_f32 v[126:127], v[162:163], v[146:147], v[126:127] neg_lo:[0,0,1] neg_hi:[0,0,1]
	s_delay_alu instid0(VALU_DEP_3) | instskip(NEXT) | instid1(VALU_DEP_3)
	v_mov_b32_e32 v127, v131
	v_pk_add_f32 v[124:125], v[124:125], v[128:129]
	s_delay_alu instid0(VALU_DEP_1) | instskip(SKIP_1) | instid1(VALU_DEP_1)
	v_pk_add_f32 v[124:125], v[124:125], v[126:127]
	s_wait_loadcnt 0x0
	v_pk_add_f32 v[124:125], v[172:173], v[124:125] neg_lo:[0,1] neg_hi:[0,1]
	scratch_store_b64 off, v[124:125], off offset:384
	s_wait_xcnt 0x0
	v_cmpx_lt_u32_e32 47, v0
	s_cbranch_execz .LBB124_285
; %bb.284:
	scratch_load_b64 v[124:125], off, off offset:376
	v_mov_b64_e32 v[126:127], 0
	scratch_store_b64 off, v[126:127], off offset:376
	s_wait_loadcnt 0x0
	ds_store_b64 v1, v[124:125]
.LBB124_285:
	s_wait_xcnt 0x0
	s_or_b32 exec_lo, exec_lo, s0
	s_wait_storecnt_dscnt 0x0
	s_barrier_signal -1
	s_barrier_wait -1
	s_clause 0x7
	scratch_load_b128 v[124:127], off, off offset:384
	scratch_load_b128 v[128:131], off, off offset:400
	;; [unrolled: 1-line block ×6, first 2 shown]
	scratch_load_b64 v[172:173], off, off offset:480
	scratch_load_b64 v[174:175], off, off offset:376
	v_mov_b32_e32 v7, 0
	ds_load_b128 v[148:151], v7 offset:912
	ds_load_b128 v[152:155], v7 offset:928
	;; [unrolled: 1-line block ×6, first 2 shown]
	ds_load_b64 v[176:177], v7 offset:976
	s_mov_b32 s0, exec_lo
	s_wait_dscnt 0x6
	v_dual_mov_b32 v178, v151 :: v_dual_mov_b32 v179, v150
	s_wait_dscnt 0x3
	v_dual_mov_b32 v180, v155 :: v_dual_mov_b32 v185, v162
	v_dual_mov_b32 v181, v154 :: v_dual_mov_b32 v182, v159
	;; [unrolled: 1-line block ×3, first 2 shown]
	s_wait_loadcnt_dscnt 0x702
	v_dual_mul_f32 v9, v164, v125 :: v_dual_mul_f32 v15, v165, v125
	v_dual_mul_f32 v17, v167, v127 :: v_dual_mul_f32 v11, v166, v127
	s_wait_loadcnt_dscnt 0x601
	s_delay_alu instid0(VALU_DEP_2) | instskip(NEXT) | instid1(VALU_DEP_3)
	v_dual_mul_f32 v13, v168, v129 :: v_dual_fmac_f32 v9, v165, v124
	v_dual_fma_f32 v15, v164, v124, -v15 :: v_dual_mul_f32 v19, v169, v129
	v_mul_f32_e32 v21, v171, v131
	s_wait_loadcnt 0x4
	v_dual_mov_b32 v124, v139 :: v_dual_fma_f32 v17, v166, v126, -v17
	v_dual_fmac_f32 v11, v167, v126 :: v_dual_add_f32 v9, 0, v9
	v_dual_add_f32 v15, 0, v15 :: v_dual_fmac_f32 v13, v169, v128
	v_dual_mul_f32 v187, v170, v131 :: v_dual_mul_f32 v189, v148, v133
	v_dual_mul_f32 v23, v149, v133 :: v_dual_mov_b32 v188, v135
	s_delay_alu instid0(VALU_DEP_4) | instskip(NEXT) | instid1(VALU_DEP_4)
	v_dual_fma_f32 v19, v168, v128, -v19 :: v_dual_add_f32 v9, v9, v11
	v_dual_add_f32 v11, v15, v17 :: v_dual_fma_f32 v186, v170, v130, -v21
	s_delay_alu instid0(VALU_DEP_4) | instskip(NEXT) | instid1(VALU_DEP_4)
	v_fmac_f32_e32 v187, v171, v130
	v_pk_mul_f32 v[128:129], v[178:179], v[188:189] op_sel_hi:[1,0]
	s_delay_alu instid0(VALU_DEP_3)
	v_dual_add_f32 v131, v9, v13 :: v_dual_add_f32 v130, v11, v19
	v_fmac_f32_e32 v189, v149, v132
	v_pk_mul_f32 v[190:191], v[152:153], v[136:137] op_sel:[1,1] op_sel_hi:[0,1]
	s_wait_loadcnt 0x3
	v_dual_mov_b32 v164, v143 :: v_dual_fma_f32 v188, v148, v132, -v23
	v_pk_fma_f32 v[132:133], v[150:151], v[134:135], v[128:129] op_sel_hi:[1,0,1]
	v_pk_add_f32 v[130:131], v[130:131], v[186:187]
	v_pk_fma_f32 v[128:129], v[150:151], v[134:135], v[128:129] neg_lo:[0,0,1] neg_hi:[0,0,1]
	v_pk_fma_f32 v[148:149], v[152:153], v[136:137], v[190:191] op_sel_hi:[1,0,1]
	v_pk_mul_f32 v[124:125], v[180:181], v[124:125] op_sel_hi:[1,0]
	v_mov_b32_e32 v129, v133
	v_pk_add_f32 v[130:131], v[130:131], v[188:189]
	v_pk_fma_f32 v[134:135], v[152:153], v[136:137], v[190:191] neg_lo:[0,0,1] neg_hi:[0,0,1]
	v_pk_mul_f32 v[126:127], v[156:157], v[140:141] op_sel:[1,1] op_sel_hi:[0,1]
	v_mov_b32_e32 v135, v149
	v_pk_fma_f32 v[136:137], v[154:155], v[138:139], v[124:125] op_sel_hi:[1,0,1]
	v_pk_add_f32 v[128:129], v[130:131], v[128:129]
	v_pk_fma_f32 v[124:125], v[154:155], v[138:139], v[124:125] neg_lo:[0,0,1] neg_hi:[0,0,1]
	v_pk_fma_f32 v[130:131], v[156:157], v[140:141], v[126:127] op_sel_hi:[1,0,1]
	v_pk_mul_f32 v[148:149], v[182:183], v[164:165] op_sel_hi:[1,0]
	s_wait_loadcnt 0x2
	v_dual_mov_b32 v125, v137 :: v_dual_mov_b32 v130, v147
	v_pk_add_f32 v[128:129], v[128:129], v[134:135]
	v_pk_fma_f32 v[126:127], v[156:157], v[140:141], v[126:127] neg_lo:[0,0,1] neg_hi:[0,0,1]
	v_pk_mul_f32 v[132:133], v[160:161], v[144:145] op_sel:[1,1] op_sel_hi:[0,1]
	v_pk_fma_f32 v[134:135], v[158:159], v[142:143], v[148:149] op_sel_hi:[1,0,1]
	v_mov_b32_e32 v127, v131
	v_pk_add_f32 v[124:125], v[128:129], v[124:125]
	v_pk_fma_f32 v[136:137], v[158:159], v[142:143], v[148:149] neg_lo:[0,0,1] neg_hi:[0,0,1]
	v_pk_fma_f32 v[128:129], v[160:161], v[144:145], v[132:133] op_sel_hi:[1,0,1]
	v_pk_mul_f32 v[130:131], v[184:185], v[130:131] op_sel_hi:[1,0]
	v_mov_b32_e32 v137, v135
	v_pk_add_f32 v[124:125], v[124:125], v[126:127]
	v_pk_fma_f32 v[126:127], v[160:161], v[144:145], v[132:133] neg_lo:[0,0,1] neg_hi:[0,0,1]
	v_mov_b32_e32 v127, v129
	v_pk_fma_f32 v[128:129], v[162:163], v[146:147], v[130:131] op_sel_hi:[1,0,1]
	s_wait_loadcnt_dscnt 0x100
	v_pk_mul_f32 v[132:133], v[176:177], v[172:173] op_sel:[1,1] op_sel_hi:[0,1]
	v_pk_add_f32 v[124:125], v[124:125], v[136:137]
	v_pk_fma_f32 v[130:131], v[162:163], v[146:147], v[130:131] neg_lo:[0,0,1] neg_hi:[0,0,1]
	v_mov_b32_e32 v131, v129
	s_delay_alu instid0(VALU_DEP_4) | instskip(NEXT) | instid1(VALU_DEP_4)
	v_pk_fma_f32 v[128:129], v[176:177], v[172:173], v[132:133] neg_lo:[0,0,1] neg_hi:[0,0,1]
	v_pk_add_f32 v[124:125], v[124:125], v[126:127]
	v_pk_fma_f32 v[126:127], v[176:177], v[172:173], v[132:133] op_sel_hi:[1,0,1]
	s_delay_alu instid0(VALU_DEP_2) | instskip(NEXT) | instid1(VALU_DEP_2)
	v_pk_add_f32 v[124:125], v[124:125], v[130:131]
	v_mov_b32_e32 v129, v127
	s_delay_alu instid0(VALU_DEP_1) | instskip(SKIP_1) | instid1(VALU_DEP_1)
	v_pk_add_f32 v[124:125], v[124:125], v[128:129]
	s_wait_loadcnt 0x0
	v_pk_add_f32 v[124:125], v[174:175], v[124:125] neg_lo:[0,1] neg_hi:[0,1]
	scratch_store_b64 off, v[124:125], off offset:376
	s_wait_xcnt 0x0
	v_cmpx_lt_u32_e32 46, v0
	s_cbranch_execz .LBB124_287
; %bb.286:
	scratch_load_b64 v[124:125], off, off offset:368
	v_mov_b64_e32 v[126:127], 0
	scratch_store_b64 off, v[126:127], off offset:368
	s_wait_loadcnt 0x0
	ds_store_b64 v1, v[124:125]
.LBB124_287:
	s_wait_xcnt 0x0
	s_or_b32 exec_lo, exec_lo, s0
	s_wait_storecnt_dscnt 0x0
	s_barrier_signal -1
	s_barrier_wait -1
	s_clause 0x7
	scratch_load_b128 v[124:127], off, off offset:376
	scratch_load_b128 v[128:131], off, off offset:392
	;; [unrolled: 1-line block ×7, first 2 shown]
	scratch_load_b64 v[180:181], off, off offset:368
	ds_load_2addr_b64 v[152:155], v7 offset0:115 offset1:116
	ds_load_2addr_b64 v[156:159], v7 offset0:117 offset1:118
	;; [unrolled: 1-line block ×7, first 2 shown]
	s_mov_b32 s0, exec_lo
	s_wait_dscnt 0x6
	v_dual_mov_b32 v182, v155 :: v_dual_mov_b32 v183, v154
	s_wait_dscnt 0x5
	v_dual_mov_b32 v184, v159 :: v_dual_mov_b32 v185, v158
	;; [unrolled: 2-line block ×4, first 2 shown]
	s_wait_loadcnt_dscnt 0x702
	v_dual_mul_f32 v7, v168, v125 :: v_dual_mul_f32 v9, v170, v127
	v_dual_mul_f32 v15, v169, v125 :: v_dual_mul_f32 v17, v171, v127
	s_wait_loadcnt_dscnt 0x601
	v_dual_mul_f32 v11, v172, v129 :: v_dual_mul_f32 v13, v174, v131
	s_delay_alu instid0(VALU_DEP_3) | instskip(NEXT) | instid1(VALU_DEP_3)
	v_dual_fmac_f32 v7, v169, v124 :: v_dual_fmac_f32 v9, v171, v126
	v_dual_fma_f32 v15, v168, v124, -v15 :: v_dual_fma_f32 v17, v170, v126, -v17
	v_dual_mul_f32 v19, v173, v129 :: v_dual_mul_f32 v21, v175, v131
	s_wait_loadcnt 0x4
	s_delay_alu instid0(VALU_DEP_3) | instskip(NEXT) | instid1(VALU_DEP_3)
	v_dual_add_f32 v7, 0, v7 :: v_dual_mov_b32 v126, v139
	v_dual_add_f32 v15, 0, v15 :: v_dual_fmac_f32 v11, v173, v128
	s_delay_alu instid0(VALU_DEP_2) | instskip(SKIP_2) | instid1(VALU_DEP_3)
	v_dual_fma_f32 v19, v172, v128, -v19 :: v_dual_add_f32 v7, v7, v9
	s_wait_dscnt 0x0
	v_dual_mul_f32 v191, v176, v133 :: v_dual_mul_f32 v193, v178, v135
	v_dual_add_f32 v9, v15, v17 :: v_dual_fma_f32 v15, v174, v130, -v21
	v_dual_mul_f32 v23, v177, v133 :: v_dual_mul_f32 v25, v179, v135
	s_delay_alu instid0(VALU_DEP_2) | instskip(NEXT) | instid1(VALU_DEP_4)
	v_dual_fmac_f32 v13, v175, v130 :: v_dual_add_f32 v9, v9, v19
	v_dual_add_f32 v7, v7, v11 :: v_dual_fmac_f32 v191, v177, v132
	v_pk_mul_f32 v[124:125], v[152:153], v[136:137] op_sel:[1,1] op_sel_hi:[0,1]
	s_wait_loadcnt 0x3
	v_pk_mul_f32 v[128:129], v[156:157], v[140:141] op_sel:[1,1] op_sel_hi:[0,1]
	v_dual_mov_b32 v130, v143 :: v_dual_fma_f32 v190, v176, v132, -v23
	v_dual_add_f32 v133, v7, v13 :: v_dual_add_f32 v132, v9, v15
	v_fmac_f32_e32 v193, v179, v134
	v_fma_f32 v192, v178, v134, -v25
	v_pk_fma_f32 v[134:135], v[152:153], v[136:137], v[124:125] op_sel_hi:[1,0,1]
	v_pk_mul_f32 v[126:127], v[182:183], v[126:127] op_sel_hi:[1,0]
	v_pk_add_f32 v[132:133], v[132:133], v[190:191]
	v_pk_fma_f32 v[124:125], v[152:153], v[136:137], v[124:125] neg_lo:[0,0,1] neg_hi:[0,0,1]
	v_pk_fma_f32 v[136:137], v[156:157], v[140:141], v[128:129] op_sel_hi:[1,0,1]
	v_pk_fma_f32 v[128:129], v[156:157], v[140:141], v[128:129] neg_lo:[0,0,1] neg_hi:[0,0,1]
	v_mov_b32_e32 v125, v135
	v_pk_fma_f32 v[134:135], v[154:155], v[138:139], v[126:127] op_sel_hi:[1,0,1]
	v_pk_fma_f32 v[126:127], v[154:155], v[138:139], v[126:127] neg_lo:[0,0,1] neg_hi:[0,0,1]
	v_mov_b32_e32 v129, v137
	v_pk_add_f32 v[132:133], v[132:133], v[192:193]
	v_pk_mul_f32 v[130:131], v[184:185], v[130:131] op_sel_hi:[1,0]
	v_mov_b32_e32 v127, v135
	s_wait_loadcnt 0x2
	v_pk_mul_f32 v[168:169], v[160:161], v[144:145] op_sel:[1,1] op_sel_hi:[0,1]
	v_pk_add_f32 v[124:125], v[132:133], v[124:125]
	v_mov_b32_e32 v132, v147
	v_pk_fma_f32 v[134:135], v[158:159], v[142:143], v[130:131] op_sel_hi:[1,0,1]
	v_pk_fma_f32 v[130:131], v[158:159], v[142:143], v[130:131] neg_lo:[0,0,1] neg_hi:[0,0,1]
	s_delay_alu instid0(VALU_DEP_4)
	v_pk_add_f32 v[124:125], v[124:125], v[126:127]
	v_pk_fma_f32 v[126:127], v[160:161], v[144:145], v[168:169] op_sel_hi:[1,0,1]
	v_pk_mul_f32 v[132:133], v[186:187], v[132:133] op_sel_hi:[1,0]
	v_mov_b32_e32 v131, v135
	v_pk_fma_f32 v[134:135], v[160:161], v[144:145], v[168:169] neg_lo:[0,0,1] neg_hi:[0,0,1]
	v_pk_add_f32 v[124:125], v[124:125], v[128:129]
	v_mov_b32_e32 v135, v127
	v_pk_fma_f32 v[126:127], v[162:163], v[146:147], v[132:133] op_sel_hi:[1,0,1]
	s_wait_loadcnt 0x1
	v_pk_mul_f32 v[128:129], v[164:165], v[148:149] op_sel:[1,1] op_sel_hi:[0,1]
	v_mov_b32_e32 v126, v151
	v_pk_add_f32 v[124:125], v[124:125], v[130:131]
	v_pk_fma_f32 v[132:133], v[162:163], v[146:147], v[132:133] neg_lo:[0,0,1] neg_hi:[0,0,1]
	v_mov_b32_e32 v133, v127
	v_pk_fma_f32 v[130:131], v[164:165], v[148:149], v[128:129] op_sel_hi:[1,0,1]
	v_pk_mul_f32 v[126:127], v[188:189], v[126:127] op_sel_hi:[1,0]
	v_pk_add_f32 v[124:125], v[124:125], v[134:135]
	v_pk_fma_f32 v[128:129], v[164:165], v[148:149], v[128:129] neg_lo:[0,0,1] neg_hi:[0,0,1]
	s_delay_alu instid0(VALU_DEP_4) | instskip(NEXT) | instid1(VALU_DEP_4)
	v_mov_b32_e32 v129, v131
	v_pk_fma_f32 v[130:131], v[166:167], v[150:151], v[126:127] op_sel_hi:[1,0,1]
	s_delay_alu instid0(VALU_DEP_4) | instskip(SKIP_1) | instid1(VALU_DEP_3)
	v_pk_add_f32 v[124:125], v[124:125], v[132:133]
	v_pk_fma_f32 v[126:127], v[166:167], v[150:151], v[126:127] neg_lo:[0,0,1] neg_hi:[0,0,1]
	v_mov_b32_e32 v127, v131
	s_delay_alu instid0(VALU_DEP_3) | instskip(NEXT) | instid1(VALU_DEP_1)
	v_pk_add_f32 v[124:125], v[124:125], v[128:129]
	v_pk_add_f32 v[124:125], v[124:125], v[126:127]
	s_wait_loadcnt 0x0
	s_delay_alu instid0(VALU_DEP_1)
	v_pk_add_f32 v[124:125], v[180:181], v[124:125] neg_lo:[0,1] neg_hi:[0,1]
	scratch_store_b64 off, v[124:125], off offset:368
	s_wait_xcnt 0x0
	v_cmpx_lt_u32_e32 45, v0
	s_cbranch_execz .LBB124_289
; %bb.288:
	scratch_load_b64 v[124:125], off, off offset:360
	v_mov_b64_e32 v[126:127], 0
	scratch_store_b64 off, v[126:127], off offset:360
	s_wait_loadcnt 0x0
	ds_store_b64 v1, v[124:125]
.LBB124_289:
	s_wait_xcnt 0x0
	s_or_b32 exec_lo, exec_lo, s0
	s_wait_storecnt_dscnt 0x0
	s_barrier_signal -1
	s_barrier_wait -1
	s_clause 0x8
	scratch_load_b128 v[124:127], off, off offset:368
	scratch_load_b128 v[128:131], off, off offset:384
	;; [unrolled: 1-line block ×7, first 2 shown]
	scratch_load_b64 v[180:181], off, off offset:480
	scratch_load_b64 v[182:183], off, off offset:360
	v_mov_b32_e32 v7, 0
	ds_load_b128 v[152:155], v7 offset:912
	ds_load_b128 v[156:159], v7 offset:928
	;; [unrolled: 1-line block ×7, first 2 shown]
	ds_load_b64 v[184:185], v7 offset:976
	s_mov_b32 s0, exec_lo
	s_wait_dscnt 0x7
	v_dual_mov_b32 v186, v155 :: v_dual_mov_b32 v187, v154
	s_wait_dscnt 0x4
	v_dual_mov_b32 v188, v159 :: v_dual_mov_b32 v193, v166
	v_dual_mov_b32 v189, v158 :: v_dual_mov_b32 v190, v163
	;; [unrolled: 1-line block ×3, first 2 shown]
	s_wait_loadcnt_dscnt 0x803
	v_dual_mul_f32 v9, v168, v125 :: v_dual_mul_f32 v19, v169, v125
	v_dual_mul_f32 v21, v171, v127 :: v_dual_mul_f32 v11, v170, v127
	s_wait_loadcnt_dscnt 0x702
	v_mul_f32_e32 v13, v172, v129
	s_wait_loadcnt 0x5
	v_dual_mul_f32 v31, v153, v137 :: v_dual_fma_f32 v19, v168, v124, -v19
	v_dual_fmac_f32 v9, v169, v124 :: v_dual_mov_b32 v124, v139
	v_dual_mul_f32 v23, v173, v129 :: v_dual_mul_f32 v25, v175, v131
	v_dual_fmac_f32 v11, v171, v126 :: v_dual_fma_f32 v21, v170, v126, -v21
	s_delay_alu instid0(VALU_DEP_3) | instskip(SKIP_3) | instid1(VALU_DEP_3)
	v_dual_add_f32 v9, 0, v9 :: v_dual_add_f32 v19, 0, v19
	s_wait_dscnt 0x1
	v_dual_mul_f32 v15, v174, v131 :: v_dual_mul_f32 v17, v176, v133
	v_dual_fmac_f32 v13, v173, v128 :: v_dual_fma_f32 v23, v172, v128, -v23
	v_dual_add_f32 v9, v9, v11 :: v_dual_add_f32 v11, v19, v21
	v_dual_mul_f32 v27, v177, v133 :: v_dual_mul_f32 v29, v179, v135
	s_wait_loadcnt 0x4
	v_dual_mov_b32 v128, v143 :: v_dual_fma_f32 v19, v174, v130, -v25
	s_delay_alu instid0(VALU_DEP_3) | instskip(SKIP_2) | instid1(VALU_DEP_3)
	v_dual_fmac_f32 v15, v175, v130 :: v_dual_add_f32 v9, v9, v13
	v_dual_add_f32 v11, v11, v23 :: v_dual_fmac_f32 v17, v177, v132
	v_dual_mul_f32 v195, v178, v135 :: v_dual_mul_f32 v197, v152, v137
	v_dual_fma_f32 v13, v176, v132, -v27 :: v_dual_add_f32 v9, v9, v15
	s_delay_alu instid0(VALU_DEP_3) | instskip(NEXT) | instid1(VALU_DEP_3)
	v_dual_add_f32 v11, v11, v19 :: v_dual_fma_f32 v194, v178, v134, -v29
	v_fmac_f32_e32 v195, v179, v134
	v_pk_mul_f32 v[124:125], v[186:187], v[124:125] op_sel_hi:[1,0]
	s_delay_alu instid0(VALU_DEP_4) | instskip(NEXT) | instid1(VALU_DEP_4)
	v_add_f32_e32 v133, v9, v17
	v_dual_add_f32 v132, v11, v13 :: v_dual_fmac_f32 v197, v153, v136
	v_pk_mul_f32 v[126:127], v[156:157], v[140:141] op_sel:[1,1] op_sel_hi:[0,1]
	s_wait_loadcnt 0x3
	v_dual_mov_b32 v134, v147 :: v_dual_fma_f32 v196, v152, v136, -v31
	v_pk_fma_f32 v[136:137], v[154:155], v[138:139], v[124:125] op_sel_hi:[1,0,1]
	v_pk_add_f32 v[132:133], v[132:133], v[194:195]
	v_pk_fma_f32 v[124:125], v[154:155], v[138:139], v[124:125] neg_lo:[0,0,1] neg_hi:[0,0,1]
	v_pk_fma_f32 v[152:153], v[156:157], v[140:141], v[126:127] op_sel_hi:[1,0,1]
	v_pk_mul_f32 v[128:129], v[188:189], v[128:129] op_sel_hi:[1,0]
	v_mov_b32_e32 v125, v137
	v_pk_add_f32 v[132:133], v[132:133], v[196:197]
	v_pk_fma_f32 v[126:127], v[156:157], v[140:141], v[126:127] neg_lo:[0,0,1] neg_hi:[0,0,1]
	v_pk_mul_f32 v[130:131], v[160:161], v[144:145] op_sel:[1,1] op_sel_hi:[0,1]
	v_mov_b32_e32 v127, v153
	v_pk_fma_f32 v[138:139], v[158:159], v[142:143], v[128:129] op_sel_hi:[1,0,1]
	v_pk_add_f32 v[124:125], v[132:133], v[124:125]
	v_pk_fma_f32 v[128:129], v[158:159], v[142:143], v[128:129] neg_lo:[0,0,1] neg_hi:[0,0,1]
	v_pk_fma_f32 v[132:133], v[160:161], v[144:145], v[130:131] op_sel_hi:[1,0,1]
	v_pk_mul_f32 v[134:135], v[190:191], v[134:135] op_sel_hi:[1,0]
	v_mov_b32_e32 v129, v139
	v_pk_add_f32 v[124:125], v[124:125], v[126:127]
	v_pk_fma_f32 v[130:131], v[160:161], v[144:145], v[130:131] neg_lo:[0,0,1] neg_hi:[0,0,1]
	s_wait_loadcnt 0x2
	v_pk_mul_f32 v[136:137], v[164:165], v[148:149] op_sel:[1,1] op_sel_hi:[0,1]
	v_dual_mov_b32 v126, v151 :: v_dual_mov_b32 v131, v133
	v_pk_fma_f32 v[132:133], v[162:163], v[146:147], v[134:135] op_sel_hi:[1,0,1]
	v_pk_add_f32 v[124:125], v[124:125], v[128:129]
	v_pk_fma_f32 v[134:135], v[162:163], v[146:147], v[134:135] neg_lo:[0,0,1] neg_hi:[0,0,1]
	v_pk_fma_f32 v[128:129], v[164:165], v[148:149], v[136:137] op_sel_hi:[1,0,1]
	v_pk_mul_f32 v[126:127], v[192:193], v[126:127] op_sel_hi:[1,0]
	v_mov_b32_e32 v135, v133
	v_pk_add_f32 v[124:125], v[124:125], v[130:131]
	v_pk_fma_f32 v[130:131], v[164:165], v[148:149], v[136:137] neg_lo:[0,0,1] neg_hi:[0,0,1]
	v_mov_b32_e32 v131, v129
	v_pk_fma_f32 v[128:129], v[166:167], v[150:151], v[126:127] op_sel_hi:[1,0,1]
	s_wait_loadcnt_dscnt 0x100
	v_pk_mul_f32 v[132:133], v[184:185], v[180:181] op_sel:[1,1] op_sel_hi:[0,1]
	v_pk_add_f32 v[124:125], v[124:125], v[134:135]
	v_pk_fma_f32 v[126:127], v[166:167], v[150:151], v[126:127] neg_lo:[0,0,1] neg_hi:[0,0,1]
	v_mov_b32_e32 v127, v129
	s_delay_alu instid0(VALU_DEP_4) | instskip(NEXT) | instid1(VALU_DEP_4)
	v_pk_fma_f32 v[128:129], v[184:185], v[180:181], v[132:133] op_sel_hi:[1,0,1]
	v_pk_add_f32 v[124:125], v[124:125], v[130:131]
	v_pk_fma_f32 v[130:131], v[184:185], v[180:181], v[132:133] neg_lo:[0,0,1] neg_hi:[0,0,1]
	s_delay_alu instid0(VALU_DEP_3) | instskip(NEXT) | instid1(VALU_DEP_3)
	v_mov_b32_e32 v131, v129
	v_pk_add_f32 v[124:125], v[124:125], v[126:127]
	s_delay_alu instid0(VALU_DEP_1) | instskip(SKIP_1) | instid1(VALU_DEP_1)
	v_pk_add_f32 v[124:125], v[124:125], v[130:131]
	s_wait_loadcnt 0x0
	v_pk_add_f32 v[124:125], v[182:183], v[124:125] neg_lo:[0,1] neg_hi:[0,1]
	scratch_store_b64 off, v[124:125], off offset:360
	s_wait_xcnt 0x0
	v_cmpx_lt_u32_e32 44, v0
	s_cbranch_execz .LBB124_291
; %bb.290:
	scratch_load_b64 v[124:125], off, off offset:352
	v_mov_b64_e32 v[126:127], 0
	scratch_store_b64 off, v[126:127], off offset:352
	s_wait_loadcnt 0x0
	ds_store_b64 v1, v[124:125]
.LBB124_291:
	s_wait_xcnt 0x0
	s_or_b32 exec_lo, exec_lo, s0
	s_wait_storecnt_dscnt 0x0
	s_barrier_signal -1
	s_barrier_wait -1
	s_clause 0x8
	scratch_load_b128 v[124:127], off, off offset:360
	scratch_load_b128 v[128:131], off, off offset:376
	;; [unrolled: 1-line block ×8, first 2 shown]
	scratch_load_b64 v[188:189], off, off offset:352
	ds_load_2addr_b64 v[156:159], v7 offset0:115 offset1:116
	ds_load_2addr_b64 v[160:163], v7 offset0:117 offset1:118
	;; [unrolled: 1-line block ×8, first 2 shown]
	s_mov_b32 s0, exec_lo
	s_wait_dscnt 0x7
	v_dual_mov_b32 v190, v159 :: v_dual_mov_b32 v191, v158
	s_wait_dscnt 0x6
	v_dual_mov_b32 v192, v163 :: v_dual_mov_b32 v193, v162
	;; [unrolled: 2-line block ×4, first 2 shown]
	s_wait_loadcnt_dscnt 0x803
	v_dual_mul_f32 v7, v172, v125 :: v_dual_mul_f32 v9, v174, v127
	v_dual_mul_f32 v19, v173, v125 :: v_dual_mul_f32 v21, v175, v127
	s_wait_loadcnt_dscnt 0x702
	v_dual_mul_f32 v11, v176, v129 :: v_dual_mul_f32 v13, v178, v131
	s_delay_alu instid0(VALU_DEP_3) | instskip(SKIP_3) | instid1(VALU_DEP_3)
	v_dual_fmac_f32 v7, v173, v124 :: v_dual_fmac_f32 v9, v175, v126
	s_wait_loadcnt_dscnt 0x500
	v_dual_fma_f32 v19, v172, v124, -v19 :: v_dual_mul_f32 v31, v185, v137
	v_dual_mul_f32 v23, v177, v129 :: v_dual_mul_f32 v25, v179, v131
	v_dual_fma_f32 v21, v174, v126, -v21 :: v_dual_add_f32 v7, 0, v7
	s_delay_alu instid0(VALU_DEP_3) | instskip(SKIP_1) | instid1(VALU_DEP_4)
	v_dual_add_f32 v19, 0, v19 :: v_dual_fmac_f32 v11, v177, v128
	v_dual_mul_f32 v15, v180, v133 :: v_dual_mul_f32 v17, v182, v135
	v_dual_mul_f32 v33, v187, v139 :: v_dual_fma_f32 v23, v176, v128, -v23
	s_delay_alu instid0(VALU_DEP_4) | instskip(NEXT) | instid1(VALU_DEP_3)
	v_add_f32_e32 v7, v7, v9
	v_dual_add_f32 v9, v19, v21 :: v_dual_fmac_f32 v15, v181, v132
	v_dual_mul_f32 v27, v181, v133 :: v_dual_mul_f32 v29, v183, v135
	s_delay_alu instid0(VALU_DEP_2) | instskip(NEXT) | instid1(VALU_DEP_4)
	v_dual_fmac_f32 v13, v179, v130 :: v_dual_add_f32 v9, v9, v23
	v_dual_fma_f32 v19, v178, v130, -v25 :: v_dual_add_f32 v7, v7, v11
	s_wait_loadcnt 0x4
	s_delay_alu instid0(VALU_DEP_3) | instskip(SKIP_1) | instid1(VALU_DEP_3)
	v_dual_fma_f32 v11, v180, v132, -v27 :: v_dual_mov_b32 v126, v143
	v_dual_mul_f32 v199, v184, v137 :: v_dual_mul_f32 v201, v186, v139
	v_dual_add_f32 v7, v7, v13 :: v_dual_fma_f32 v13, v182, v134, -v29
	v_dual_add_f32 v9, v9, v19 :: v_dual_fmac_f32 v17, v183, v134
	v_pk_mul_f32 v[124:125], v[156:157], v[140:141] op_sel:[1,1] op_sel_hi:[0,1]
	s_delay_alu instid0(VALU_DEP_3) | instskip(SKIP_1) | instid1(VALU_DEP_3)
	v_dual_add_f32 v7, v7, v15 :: v_dual_fmac_f32 v199, v185, v136
	s_wait_loadcnt 0x3
	v_dual_add_f32 v9, v9, v11 :: v_dual_mov_b32 v130, v147
	s_delay_alu instid0(VALU_DEP_2) | instskip(NEXT) | instid1(VALU_DEP_2)
	v_dual_fma_f32 v198, v184, v136, -v31 :: v_dual_add_f32 v133, v7, v17
	v_dual_fma_f32 v200, v186, v138, -v33 :: v_dual_add_f32 v132, v9, v13
	v_fmac_f32_e32 v201, v187, v138
	v_pk_fma_f32 v[134:135], v[156:157], v[140:141], v[124:125] op_sel_hi:[1,0,1]
	v_pk_mul_f32 v[126:127], v[190:191], v[126:127] op_sel_hi:[1,0]
	v_pk_fma_f32 v[124:125], v[156:157], v[140:141], v[124:125] neg_lo:[0,0,1] neg_hi:[0,0,1]
	v_pk_add_f32 v[132:133], v[132:133], v[198:199]
	v_pk_mul_f32 v[128:129], v[160:161], v[144:145] op_sel:[1,1] op_sel_hi:[0,1]
	v_mov_b32_e32 v125, v135
	v_pk_fma_f32 v[134:135], v[158:159], v[142:143], v[126:127] op_sel_hi:[1,0,1]
	v_pk_fma_f32 v[126:127], v[158:159], v[142:143], v[126:127] neg_lo:[0,0,1] neg_hi:[0,0,1]
	v_pk_add_f32 v[132:133], v[132:133], v[200:201]
	v_pk_fma_f32 v[138:139], v[160:161], v[144:145], v[128:129] op_sel_hi:[1,0,1]
	v_pk_mul_f32 v[130:131], v[192:193], v[130:131] op_sel_hi:[1,0]
	v_mov_b32_e32 v127, v135
	s_wait_loadcnt 0x2
	v_pk_mul_f32 v[136:137], v[164:165], v[148:149] op_sel:[1,1] op_sel_hi:[0,1]
	v_pk_add_f32 v[124:125], v[132:133], v[124:125]
	v_mov_b32_e32 v132, v151
	v_pk_fma_f32 v[128:129], v[160:161], v[144:145], v[128:129] neg_lo:[0,0,1] neg_hi:[0,0,1]
	v_mov_b32_e32 v129, v139
	v_pk_fma_f32 v[134:135], v[162:163], v[146:147], v[130:131] op_sel_hi:[1,0,1]
	v_pk_add_f32 v[124:125], v[124:125], v[126:127]
	v_pk_fma_f32 v[126:127], v[164:165], v[148:149], v[136:137] op_sel_hi:[1,0,1]
	v_pk_mul_f32 v[132:133], v[194:195], v[132:133] op_sel_hi:[1,0]
	v_pk_fma_f32 v[130:131], v[162:163], v[146:147], v[130:131] neg_lo:[0,0,1] neg_hi:[0,0,1]
	v_mov_b32_e32 v131, v135
	v_pk_add_f32 v[124:125], v[124:125], v[128:129]
	v_pk_fma_f32 v[134:135], v[164:165], v[148:149], v[136:137] neg_lo:[0,0,1] neg_hi:[0,0,1]
	v_mov_b32_e32 v135, v127
	v_pk_fma_f32 v[126:127], v[166:167], v[150:151], v[132:133] op_sel_hi:[1,0,1]
	s_wait_loadcnt 0x1
	v_pk_mul_f32 v[128:129], v[168:169], v[152:153] op_sel:[1,1] op_sel_hi:[0,1]
	v_pk_add_f32 v[124:125], v[124:125], v[130:131]
	v_mov_b32_e32 v126, v155
	v_pk_fma_f32 v[132:133], v[166:167], v[150:151], v[132:133] neg_lo:[0,0,1] neg_hi:[0,0,1]
	v_mov_b32_e32 v133, v127
	v_pk_fma_f32 v[130:131], v[168:169], v[152:153], v[128:129] op_sel_hi:[1,0,1]
	v_pk_add_f32 v[124:125], v[124:125], v[134:135]
	v_pk_mul_f32 v[126:127], v[196:197], v[126:127] op_sel_hi:[1,0]
	v_pk_fma_f32 v[128:129], v[168:169], v[152:153], v[128:129] neg_lo:[0,0,1] neg_hi:[0,0,1]
	s_delay_alu instid0(VALU_DEP_4) | instskip(NEXT) | instid1(VALU_DEP_4)
	v_mov_b32_e32 v129, v131
	v_pk_add_f32 v[124:125], v[124:125], v[132:133]
	s_delay_alu instid0(VALU_DEP_4) | instskip(SKIP_1) | instid1(VALU_DEP_2)
	v_pk_fma_f32 v[130:131], v[170:171], v[154:155], v[126:127] op_sel_hi:[1,0,1]
	v_pk_fma_f32 v[126:127], v[170:171], v[154:155], v[126:127] neg_lo:[0,0,1] neg_hi:[0,0,1]
	v_mov_b32_e32 v127, v131
	s_delay_alu instid0(VALU_DEP_4) | instskip(NEXT) | instid1(VALU_DEP_1)
	v_pk_add_f32 v[124:125], v[124:125], v[128:129]
	v_pk_add_f32 v[124:125], v[124:125], v[126:127]
	s_wait_loadcnt 0x0
	s_delay_alu instid0(VALU_DEP_1)
	v_pk_add_f32 v[124:125], v[188:189], v[124:125] neg_lo:[0,1] neg_hi:[0,1]
	scratch_store_b64 off, v[124:125], off offset:352
	s_wait_xcnt 0x0
	v_cmpx_lt_u32_e32 43, v0
	s_cbranch_execz .LBB124_293
; %bb.292:
	scratch_load_b64 v[124:125], off, off offset:344
	v_mov_b64_e32 v[126:127], 0
	scratch_store_b64 off, v[126:127], off offset:344
	s_wait_loadcnt 0x0
	ds_store_b64 v1, v[124:125]
.LBB124_293:
	s_wait_xcnt 0x0
	s_or_b32 exec_lo, exec_lo, s0
	s_wait_storecnt_dscnt 0x0
	s_barrier_signal -1
	s_barrier_wait -1
	s_clause 0x9
	scratch_load_b128 v[124:127], off, off offset:352
	scratch_load_b128 v[128:131], off, off offset:368
	;; [unrolled: 1-line block ×8, first 2 shown]
	scratch_load_b64 v[188:189], off, off offset:480
	scratch_load_b64 v[190:191], off, off offset:344
	v_mov_b32_e32 v7, 0
	ds_load_b128 v[156:159], v7 offset:912
	ds_load_b128 v[160:163], v7 offset:928
	;; [unrolled: 1-line block ×8, first 2 shown]
	ds_load_b64 v[192:193], v7 offset:976
	s_mov_b32 s0, exec_lo
	s_wait_dscnt 0x8
	v_dual_mov_b32 v194, v159 :: v_dual_mov_b32 v195, v158
	s_wait_dscnt 0x5
	v_dual_mov_b32 v196, v163 :: v_dual_mov_b32 v201, v170
	v_dual_mov_b32 v197, v162 :: v_dual_mov_b32 v198, v167
	v_dual_mov_b32 v199, v166 :: v_dual_mov_b32 v200, v171
	s_wait_loadcnt_dscnt 0x904
	v_dual_mul_f32 v9, v172, v125 :: v_dual_mul_f32 v23, v173, v125
	v_dual_mul_f32 v25, v175, v127 :: v_dual_mul_f32 v11, v174, v127
	s_wait_loadcnt_dscnt 0x803
	v_mul_f32_e32 v13, v176, v129
	s_wait_loadcnt_dscnt 0x601
	v_dual_mul_f32 v35, v185, v137 :: v_dual_fma_f32 v23, v172, v124, -v23
	v_dual_fmac_f32 v9, v173, v124 :: v_dual_mul_f32 v37, v187, v139
	v_dual_mul_f32 v27, v177, v129 :: v_dual_mul_f32 v29, v179, v131
	v_dual_fmac_f32 v11, v175, v126 :: v_dual_fma_f32 v25, v174, v126, -v25
	s_delay_alu instid0(VALU_DEP_3)
	v_dual_add_f32 v9, 0, v9 :: v_dual_add_f32 v23, 0, v23
	v_dual_mul_f32 v15, v178, v131 :: v_dual_mul_f32 v17, v180, v133
	s_wait_loadcnt 0x5
	v_dual_mul_f32 v39, v157, v141 :: v_dual_fma_f32 v27, v176, v128, -v27
	v_fmac_f32_e32 v13, v177, v128
	v_dual_add_f32 v9, v9, v11 :: v_dual_mov_b32 v124, v143
	v_add_f32_e32 v11, v23, v25
	v_dual_mul_f32 v31, v181, v133 :: v_dual_mul_f32 v33, v183, v135
	v_dual_fmac_f32 v15, v179, v130 :: v_dual_fma_f32 v23, v178, v130, -v29
	s_delay_alu instid0(VALU_DEP_3) | instskip(SKIP_1) | instid1(VALU_DEP_4)
	v_dual_add_f32 v9, v9, v13 :: v_dual_add_f32 v11, v11, v27
	v_dual_mul_f32 v19, v182, v135 :: v_dual_mul_f32 v21, v184, v137
	v_dual_fmac_f32 v17, v181, v132 :: v_dual_fma_f32 v13, v180, v132, -v31
	s_wait_loadcnt 0x4
	s_delay_alu instid0(VALU_DEP_3) | instskip(SKIP_1) | instid1(VALU_DEP_2)
	v_dual_add_f32 v9, v9, v15 :: v_dual_mov_b32 v128, v147
	v_dual_add_f32 v11, v11, v23 :: v_dual_fma_f32 v15, v182, v134, -v33
	v_dual_fmac_f32 v19, v183, v134 :: v_dual_add_f32 v9, v9, v17
	v_dual_mul_f32 v203, v186, v139 :: v_dual_mul_f32 v205, v156, v141
	s_delay_alu instid0(VALU_DEP_3) | instskip(NEXT) | instid1(VALU_DEP_3)
	v_dual_add_f32 v11, v11, v13 :: v_dual_fmac_f32 v21, v185, v136
	v_dual_fma_f32 v13, v184, v136, -v35 :: v_dual_add_f32 v9, v9, v19
	s_delay_alu instid0(VALU_DEP_3) | instskip(NEXT) | instid1(VALU_DEP_3)
	v_fmac_f32_e32 v203, v187, v138
	v_dual_add_f32 v11, v11, v15 :: v_dual_fma_f32 v202, v186, v138, -v37
	v_pk_mul_f32 v[124:125], v[194:195], v[124:125] op_sel_hi:[1,0]
	s_delay_alu instid0(VALU_DEP_4) | instskip(SKIP_1) | instid1(VALU_DEP_4)
	v_add_f32_e32 v133, v9, v21
	v_pk_mul_f32 v[126:127], v[160:161], v[144:145] op_sel:[1,1] op_sel_hi:[0,1]
	v_dual_add_f32 v132, v11, v13 :: v_dual_fmac_f32 v205, v157, v140
	s_wait_loadcnt 0x3
	v_dual_mov_b32 v134, v151 :: v_dual_fma_f32 v204, v156, v140, -v39
	v_pk_fma_f32 v[136:137], v[158:159], v[142:143], v[124:125] op_sel_hi:[1,0,1]
	s_delay_alu instid0(VALU_DEP_3)
	v_pk_add_f32 v[132:133], v[132:133], v[202:203]
	v_pk_fma_f32 v[124:125], v[158:159], v[142:143], v[124:125] neg_lo:[0,0,1] neg_hi:[0,0,1]
	v_pk_fma_f32 v[138:139], v[160:161], v[144:145], v[126:127] op_sel_hi:[1,0,1]
	v_pk_mul_f32 v[128:129], v[196:197], v[128:129] op_sel_hi:[1,0]
	v_mov_b32_e32 v125, v137
	v_pk_add_f32 v[132:133], v[132:133], v[204:205]
	v_pk_fma_f32 v[126:127], v[160:161], v[144:145], v[126:127] neg_lo:[0,0,1] neg_hi:[0,0,1]
	v_pk_mul_f32 v[130:131], v[164:165], v[148:149] op_sel:[1,1] op_sel_hi:[0,1]
	v_mov_b32_e32 v127, v139
	v_pk_fma_f32 v[138:139], v[162:163], v[146:147], v[128:129] op_sel_hi:[1,0,1]
	v_pk_add_f32 v[124:125], v[132:133], v[124:125]
	v_pk_fma_f32 v[128:129], v[162:163], v[146:147], v[128:129] neg_lo:[0,0,1] neg_hi:[0,0,1]
	v_pk_fma_f32 v[132:133], v[164:165], v[148:149], v[130:131] op_sel_hi:[1,0,1]
	v_pk_mul_f32 v[134:135], v[198:199], v[134:135] op_sel_hi:[1,0]
	v_mov_b32_e32 v129, v139
	v_pk_add_f32 v[124:125], v[124:125], v[126:127]
	v_pk_fma_f32 v[130:131], v[164:165], v[148:149], v[130:131] neg_lo:[0,0,1] neg_hi:[0,0,1]
	s_wait_loadcnt 0x2
	v_pk_mul_f32 v[136:137], v[168:169], v[152:153] op_sel:[1,1] op_sel_hi:[0,1]
	v_dual_mov_b32 v126, v155 :: v_dual_mov_b32 v131, v133
	v_pk_fma_f32 v[132:133], v[166:167], v[150:151], v[134:135] op_sel_hi:[1,0,1]
	v_pk_add_f32 v[124:125], v[124:125], v[128:129]
	v_pk_fma_f32 v[134:135], v[166:167], v[150:151], v[134:135] neg_lo:[0,0,1] neg_hi:[0,0,1]
	v_pk_fma_f32 v[128:129], v[168:169], v[152:153], v[136:137] op_sel_hi:[1,0,1]
	v_pk_mul_f32 v[126:127], v[200:201], v[126:127] op_sel_hi:[1,0]
	v_mov_b32_e32 v135, v133
	v_pk_add_f32 v[124:125], v[124:125], v[130:131]
	v_pk_fma_f32 v[130:131], v[168:169], v[152:153], v[136:137] neg_lo:[0,0,1] neg_hi:[0,0,1]
	v_mov_b32_e32 v131, v129
	v_pk_fma_f32 v[128:129], v[170:171], v[154:155], v[126:127] op_sel_hi:[1,0,1]
	s_wait_loadcnt_dscnt 0x100
	v_pk_mul_f32 v[132:133], v[192:193], v[188:189] op_sel:[1,1] op_sel_hi:[0,1]
	v_pk_add_f32 v[124:125], v[124:125], v[134:135]
	v_pk_fma_f32 v[126:127], v[170:171], v[154:155], v[126:127] neg_lo:[0,0,1] neg_hi:[0,0,1]
	v_mov_b32_e32 v127, v129
	s_delay_alu instid0(VALU_DEP_4) | instskip(NEXT) | instid1(VALU_DEP_4)
	v_pk_fma_f32 v[128:129], v[192:193], v[188:189], v[132:133] op_sel_hi:[1,0,1]
	v_pk_add_f32 v[124:125], v[124:125], v[130:131]
	v_pk_fma_f32 v[130:131], v[192:193], v[188:189], v[132:133] neg_lo:[0,0,1] neg_hi:[0,0,1]
	s_delay_alu instid0(VALU_DEP_3) | instskip(NEXT) | instid1(VALU_DEP_3)
	v_mov_b32_e32 v131, v129
	v_pk_add_f32 v[124:125], v[124:125], v[126:127]
	s_delay_alu instid0(VALU_DEP_1) | instskip(SKIP_1) | instid1(VALU_DEP_1)
	v_pk_add_f32 v[124:125], v[124:125], v[130:131]
	s_wait_loadcnt 0x0
	v_pk_add_f32 v[124:125], v[190:191], v[124:125] neg_lo:[0,1] neg_hi:[0,1]
	scratch_store_b64 off, v[124:125], off offset:344
	s_wait_xcnt 0x0
	v_cmpx_lt_u32_e32 42, v0
	s_cbranch_execz .LBB124_295
; %bb.294:
	scratch_load_b64 v[124:125], off, off offset:336
	v_mov_b64_e32 v[126:127], 0
	scratch_store_b64 off, v[126:127], off offset:336
	s_wait_loadcnt 0x0
	ds_store_b64 v1, v[124:125]
.LBB124_295:
	s_wait_xcnt 0x0
	s_or_b32 exec_lo, exec_lo, s0
	s_wait_storecnt_dscnt 0x0
	s_barrier_signal -1
	s_barrier_wait -1
	s_clause 0x9
	scratch_load_b128 v[124:127], off, off offset:344
	scratch_load_b128 v[128:131], off, off offset:360
	scratch_load_b128 v[132:135], off, off offset:376
	scratch_load_b128 v[136:139], off, off offset:392
	scratch_load_b128 v[140:143], off, off offset:408
	scratch_load_b128 v[144:147], off, off offset:424
	scratch_load_b128 v[148:151], off, off offset:440
	scratch_load_b128 v[152:155], off, off offset:456
	scratch_load_b128 v[156:159], off, off offset:472
	scratch_load_b64 v[196:197], off, off offset:336
	ds_load_2addr_b64 v[160:163], v7 offset0:115 offset1:116
	ds_load_2addr_b64 v[164:167], v7 offset0:117 offset1:118
	;; [unrolled: 1-line block ×9, first 2 shown]
	s_mov_b32 s0, exec_lo
	s_wait_dscnt 0x8
	v_dual_mov_b32 v198, v163 :: v_dual_mov_b32 v199, v162
	s_wait_dscnt 0x7
	v_dual_mov_b32 v200, v167 :: v_dual_mov_b32 v201, v166
	;; [unrolled: 2-line block ×4, first 2 shown]
	s_wait_loadcnt_dscnt 0x904
	v_dual_mul_f32 v7, v176, v125 :: v_dual_mul_f32 v9, v178, v127
	v_dual_mul_f32 v23, v177, v125 :: v_dual_mul_f32 v25, v179, v127
	s_wait_loadcnt_dscnt 0x803
	v_dual_mul_f32 v11, v180, v129 :: v_dual_mul_f32 v13, v182, v131
	s_delay_alu instid0(VALU_DEP_3) | instskip(SKIP_3) | instid1(VALU_DEP_3)
	v_dual_fmac_f32 v7, v177, v124 :: v_dual_fmac_f32 v9, v179, v126
	s_wait_loadcnt_dscnt 0x601
	v_dual_fma_f32 v23, v176, v124, -v23 :: v_dual_mul_f32 v35, v189, v137
	v_dual_mul_f32 v27, v181, v129 :: v_dual_mul_f32 v29, v183, v131
	v_dual_fma_f32 v25, v178, v126, -v25 :: v_dual_add_f32 v7, 0, v7
	s_delay_alu instid0(VALU_DEP_3) | instskip(SKIP_1) | instid1(VALU_DEP_4)
	v_dual_add_f32 v23, 0, v23 :: v_dual_fmac_f32 v11, v181, v128
	v_dual_mul_f32 v15, v184, v133 :: v_dual_mul_f32 v17, v186, v135
	v_dual_mul_f32 v37, v191, v139 :: v_dual_fma_f32 v27, v180, v128, -v27
	s_delay_alu instid0(VALU_DEP_4) | instskip(NEXT) | instid1(VALU_DEP_3)
	v_add_f32_e32 v7, v7, v9
	v_dual_add_f32 v9, v23, v25 :: v_dual_fmac_f32 v15, v185, v132
	v_dual_mul_f32 v31, v185, v133 :: v_dual_mul_f32 v33, v187, v135
	s_wait_loadcnt_dscnt 0x500
	v_dual_mul_f32 v23, v193, v141 :: v_dual_fmac_f32 v13, v183, v130
	v_dual_fma_f32 v25, v182, v130, -v29 :: v_dual_add_f32 v7, v7, v11
	s_delay_alu instid0(VALU_DEP_3) | instskip(SKIP_1) | instid1(VALU_DEP_3)
	v_dual_add_f32 v9, v9, v27 :: v_dual_fma_f32 v27, v184, v132, -v31
	v_dual_mul_f32 v19, v188, v137 :: v_dual_mul_f32 v21, v190, v139
	v_add_f32_e32 v7, v7, v13
	s_delay_alu instid0(VALU_DEP_3) | instskip(SKIP_1) | instid1(VALU_DEP_3)
	v_dual_mul_f32 v11, v195, v143 :: v_dual_add_f32 v9, v9, v25
	v_fmac_f32_e32 v17, v187, v134
	v_dual_fma_f32 v13, v186, v134, -v33 :: v_dual_add_f32 v7, v7, v15
	s_wait_loadcnt 0x4
	v_dual_mov_b32 v126, v147 :: v_dual_fmac_f32 v19, v189, v136
	v_dual_add_f32 v9, v9, v27 :: v_dual_fma_f32 v15, v188, v136, -v35
	s_delay_alu instid0(VALU_DEP_3) | instskip(SKIP_1) | instid1(VALU_DEP_3)
	v_add_f32_e32 v7, v7, v17
	v_dual_mul_f32 v207, v192, v141 :: v_dual_mul_f32 v209, v194, v143
	v_dual_add_f32 v9, v9, v13 :: v_dual_fmac_f32 v21, v191, v138
	s_delay_alu instid0(VALU_DEP_3) | instskip(SKIP_2) | instid1(VALU_DEP_3)
	v_dual_fma_f32 v13, v190, v138, -v37 :: v_dual_add_f32 v7, v7, v19
	v_pk_mul_f32 v[124:125], v[160:161], v[144:145] op_sel:[1,1] op_sel_hi:[0,1]
	s_wait_loadcnt 0x3
	v_dual_add_f32 v9, v9, v15 :: v_dual_mov_b32 v130, v151
	s_delay_alu instid0(VALU_DEP_3) | instskip(NEXT) | instid1(VALU_DEP_2)
	v_dual_fmac_f32 v207, v193, v140 :: v_dual_add_f32 v133, v7, v21
	v_dual_fma_f32 v206, v192, v140, -v23 :: v_dual_add_f32 v132, v9, v13
	v_dual_fmac_f32 v209, v195, v142 :: v_dual_fma_f32 v208, v194, v142, -v11
	v_pk_fma_f32 v[134:135], v[160:161], v[144:145], v[124:125] op_sel_hi:[1,0,1]
	v_pk_mul_f32 v[126:127], v[198:199], v[126:127] op_sel_hi:[1,0]
	s_delay_alu instid0(VALU_DEP_4)
	v_pk_add_f32 v[132:133], v[132:133], v[206:207]
	v_pk_fma_f32 v[124:125], v[160:161], v[144:145], v[124:125] neg_lo:[0,0,1] neg_hi:[0,0,1]
	v_pk_mul_f32 v[128:129], v[164:165], v[148:149] op_sel:[1,1] op_sel_hi:[0,1]
	v_mov_b32_e32 v125, v135
	v_pk_fma_f32 v[134:135], v[162:163], v[146:147], v[126:127] op_sel_hi:[1,0,1]
	v_pk_add_f32 v[132:133], v[132:133], v[208:209]
	v_pk_fma_f32 v[126:127], v[162:163], v[146:147], v[126:127] neg_lo:[0,0,1] neg_hi:[0,0,1]
	v_pk_fma_f32 v[138:139], v[164:165], v[148:149], v[128:129] op_sel_hi:[1,0,1]
	v_pk_mul_f32 v[130:131], v[200:201], v[130:131] op_sel_hi:[1,0]
	v_mov_b32_e32 v127, v135
	v_pk_add_f32 v[124:125], v[132:133], v[124:125]
	s_wait_loadcnt 0x2
	v_pk_mul_f32 v[136:137], v[168:169], v[152:153] op_sel:[1,1] op_sel_hi:[0,1]
	v_mov_b32_e32 v132, v155
	v_pk_fma_f32 v[128:129], v[164:165], v[148:149], v[128:129] neg_lo:[0,0,1] neg_hi:[0,0,1]
	v_mov_b32_e32 v129, v139
	v_pk_fma_f32 v[134:135], v[166:167], v[150:151], v[130:131] op_sel_hi:[1,0,1]
	v_pk_add_f32 v[124:125], v[124:125], v[126:127]
	v_pk_fma_f32 v[126:127], v[168:169], v[152:153], v[136:137] op_sel_hi:[1,0,1]
	v_pk_mul_f32 v[132:133], v[202:203], v[132:133] op_sel_hi:[1,0]
	v_pk_fma_f32 v[130:131], v[166:167], v[150:151], v[130:131] neg_lo:[0,0,1] neg_hi:[0,0,1]
	v_mov_b32_e32 v131, v135
	v_pk_add_f32 v[124:125], v[124:125], v[128:129]
	v_pk_fma_f32 v[134:135], v[168:169], v[152:153], v[136:137] neg_lo:[0,0,1] neg_hi:[0,0,1]
	v_mov_b32_e32 v135, v127
	v_pk_fma_f32 v[126:127], v[170:171], v[154:155], v[132:133] op_sel_hi:[1,0,1]
	s_wait_loadcnt 0x1
	v_pk_mul_f32 v[128:129], v[172:173], v[156:157] op_sel:[1,1] op_sel_hi:[0,1]
	v_pk_add_f32 v[124:125], v[124:125], v[130:131]
	v_mov_b32_e32 v126, v159
	v_pk_fma_f32 v[132:133], v[170:171], v[154:155], v[132:133] neg_lo:[0,0,1] neg_hi:[0,0,1]
	v_mov_b32_e32 v133, v127
	v_pk_fma_f32 v[130:131], v[172:173], v[156:157], v[128:129] op_sel_hi:[1,0,1]
	v_pk_add_f32 v[124:125], v[124:125], v[134:135]
	v_pk_mul_f32 v[126:127], v[204:205], v[126:127] op_sel_hi:[1,0]
	v_pk_fma_f32 v[128:129], v[172:173], v[156:157], v[128:129] neg_lo:[0,0,1] neg_hi:[0,0,1]
	s_delay_alu instid0(VALU_DEP_4) | instskip(NEXT) | instid1(VALU_DEP_4)
	v_mov_b32_e32 v129, v131
	v_pk_add_f32 v[124:125], v[124:125], v[132:133]
	s_delay_alu instid0(VALU_DEP_4) | instskip(SKIP_1) | instid1(VALU_DEP_2)
	v_pk_fma_f32 v[130:131], v[174:175], v[158:159], v[126:127] op_sel_hi:[1,0,1]
	v_pk_fma_f32 v[126:127], v[174:175], v[158:159], v[126:127] neg_lo:[0,0,1] neg_hi:[0,0,1]
	v_mov_b32_e32 v127, v131
	s_delay_alu instid0(VALU_DEP_4) | instskip(NEXT) | instid1(VALU_DEP_1)
	v_pk_add_f32 v[124:125], v[124:125], v[128:129]
	v_pk_add_f32 v[124:125], v[124:125], v[126:127]
	s_wait_loadcnt 0x0
	s_delay_alu instid0(VALU_DEP_1)
	v_pk_add_f32 v[124:125], v[196:197], v[124:125] neg_lo:[0,1] neg_hi:[0,1]
	scratch_store_b64 off, v[124:125], off offset:336
	s_wait_xcnt 0x0
	v_cmpx_lt_u32_e32 41, v0
	s_cbranch_execz .LBB124_297
; %bb.296:
	scratch_load_b64 v[124:125], off, off offset:328
	v_mov_b64_e32 v[126:127], 0
	scratch_store_b64 off, v[126:127], off offset:328
	s_wait_loadcnt 0x0
	ds_store_b64 v1, v[124:125]
.LBB124_297:
	s_wait_xcnt 0x0
	s_or_b32 exec_lo, exec_lo, s0
	s_wait_storecnt_dscnt 0x0
	s_barrier_signal -1
	s_barrier_wait -1
	s_clause 0xa
	scratch_load_b128 v[124:127], off, off offset:336
	scratch_load_b128 v[128:131], off, off offset:352
	;; [unrolled: 1-line block ×9, first 2 shown]
	scratch_load_b64 v[196:197], off, off offset:480
	scratch_load_b64 v[198:199], off, off offset:328
	v_mov_b32_e32 v7, 0
	ds_load_b128 v[160:163], v7 offset:912
	ds_load_b128 v[164:167], v7 offset:928
	;; [unrolled: 1-line block ×9, first 2 shown]
	ds_load_b64 v[200:201], v7 offset:976
	s_mov_b32 s0, exec_lo
	s_wait_dscnt 0x9
	v_dual_mov_b32 v202, v163 :: v_dual_mov_b32 v203, v162
	s_wait_dscnt 0x6
	v_dual_mov_b32 v204, v167 :: v_dual_mov_b32 v209, v174
	v_dual_mov_b32 v205, v166 :: v_dual_mov_b32 v206, v171
	;; [unrolled: 1-line block ×3, first 2 shown]
	s_wait_loadcnt_dscnt 0xa05
	v_dual_mul_f32 v9, v176, v125 :: v_dual_mul_f32 v27, v177, v125
	v_dual_mul_f32 v29, v179, v127 :: v_dual_mul_f32 v11, v178, v127
	s_wait_loadcnt_dscnt 0x904
	v_mul_f32_e32 v13, v180, v129
	s_wait_loadcnt_dscnt 0x702
	v_dual_mul_f32 v39, v189, v137 :: v_dual_fma_f32 v27, v176, v124, -v27
	v_dual_fmac_f32 v9, v177, v124 :: v_dual_mul_f32 v41, v191, v139
	v_dual_mul_f32 v31, v181, v129 :: v_dual_mul_f32 v33, v183, v131
	v_dual_fmac_f32 v11, v179, v126 :: v_dual_fma_f32 v29, v178, v126, -v29
	s_delay_alu instid0(VALU_DEP_3) | instskip(SKIP_4) | instid1(VALU_DEP_3)
	v_dual_add_f32 v9, 0, v9 :: v_dual_add_f32 v27, 0, v27
	v_dual_mul_f32 v15, v182, v131 :: v_dual_mul_f32 v17, v184, v133
	s_wait_loadcnt_dscnt 0x601
	v_dual_mul_f32 v43, v193, v141 :: v_dual_fma_f32 v31, v180, v128, -v31
	v_fmac_f32_e32 v13, v181, v128
	v_dual_add_f32 v9, v9, v11 :: v_dual_fmac_f32 v15, v183, v130
	v_add_f32_e32 v11, v27, v29
	v_dual_mul_f32 v35, v185, v133 :: v_dual_mul_f32 v37, v187, v135
	v_dual_mul_f32 v27, v195, v143 :: v_dual_fma_f32 v29, v182, v130, -v33
	s_delay_alu instid0(VALU_DEP_3) | instskip(SKIP_3) | instid1(VALU_DEP_3)
	v_dual_add_f32 v9, v9, v13 :: v_dual_add_f32 v11, v11, v31
	v_dual_mul_f32 v19, v186, v135 :: v_dual_mul_f32 v21, v188, v137
	s_wait_loadcnt 0x5
	v_dual_mul_f32 v13, v161, v145 :: v_dual_fma_f32 v31, v184, v132, -v35
	v_dual_fmac_f32 v17, v185, v132 :: v_dual_add_f32 v11, v11, v29
	v_dual_add_f32 v9, v9, v15 :: v_dual_mov_b32 v124, v147
	v_dual_fmac_f32 v19, v187, v134 :: v_dual_fma_f32 v15, v186, v134, -v37
	s_delay_alu instid0(VALU_DEP_2) | instskip(SKIP_3) | instid1(VALU_DEP_3)
	v_dual_add_f32 v11, v11, v31 :: v_dual_add_f32 v9, v9, v17
	v_dual_mul_f32 v23, v190, v139 :: v_dual_mul_f32 v25, v192, v141
	v_dual_fmac_f32 v21, v189, v136 :: v_dual_fma_f32 v17, v188, v136, -v39
	s_wait_loadcnt 0x4
	v_dual_add_f32 v9, v9, v19 :: v_dual_mov_b32 v128, v151
	v_dual_add_f32 v11, v11, v15 :: v_dual_fma_f32 v15, v190, v138, -v41
	s_delay_alu instid0(VALU_DEP_2) | instskip(SKIP_1) | instid1(VALU_DEP_3)
	v_dual_fmac_f32 v23, v191, v138 :: v_dual_add_f32 v9, v9, v21
	v_dual_mul_f32 v211, v194, v143 :: v_dual_mul_f32 v213, v160, v145
	v_dual_add_f32 v11, v11, v17 :: v_dual_fmac_f32 v25, v193, v140
	s_delay_alu instid0(VALU_DEP_3) | instskip(NEXT) | instid1(VALU_DEP_3)
	v_dual_fma_f32 v17, v192, v140, -v43 :: v_dual_add_f32 v9, v9, v23
	v_fmac_f32_e32 v211, v195, v142
	s_delay_alu instid0(VALU_DEP_3) | instskip(SKIP_1) | instid1(VALU_DEP_4)
	v_dual_add_f32 v11, v11, v15 :: v_dual_fma_f32 v210, v194, v142, -v27
	v_pk_mul_f32 v[124:125], v[202:203], v[124:125] op_sel_hi:[1,0]
	v_add_f32_e32 v133, v9, v25
	v_pk_mul_f32 v[126:127], v[164:165], v[148:149] op_sel:[1,1] op_sel_hi:[0,1]
	s_delay_alu instid0(VALU_DEP_4) | instskip(SKIP_3) | instid1(VALU_DEP_3)
	v_dual_add_f32 v132, v11, v17 :: v_dual_fmac_f32 v213, v161, v144
	s_wait_loadcnt 0x3
	v_dual_mov_b32 v134, v155 :: v_dual_fma_f32 v212, v160, v144, -v13
	v_pk_fma_f32 v[136:137], v[162:163], v[146:147], v[124:125] op_sel_hi:[1,0,1]
	v_pk_add_f32 v[132:133], v[132:133], v[210:211]
	v_pk_fma_f32 v[124:125], v[162:163], v[146:147], v[124:125] neg_lo:[0,0,1] neg_hi:[0,0,1]
	v_pk_fma_f32 v[138:139], v[164:165], v[148:149], v[126:127] op_sel_hi:[1,0,1]
	v_pk_mul_f32 v[128:129], v[204:205], v[128:129] op_sel_hi:[1,0]
	v_mov_b32_e32 v125, v137
	v_pk_add_f32 v[132:133], v[132:133], v[212:213]
	v_pk_fma_f32 v[126:127], v[164:165], v[148:149], v[126:127] neg_lo:[0,0,1] neg_hi:[0,0,1]
	v_pk_mul_f32 v[130:131], v[168:169], v[152:153] op_sel:[1,1] op_sel_hi:[0,1]
	v_mov_b32_e32 v127, v139
	v_pk_fma_f32 v[138:139], v[166:167], v[150:151], v[128:129] op_sel_hi:[1,0,1]
	v_pk_add_f32 v[124:125], v[132:133], v[124:125]
	v_pk_fma_f32 v[128:129], v[166:167], v[150:151], v[128:129] neg_lo:[0,0,1] neg_hi:[0,0,1]
	v_pk_fma_f32 v[132:133], v[168:169], v[152:153], v[130:131] op_sel_hi:[1,0,1]
	v_pk_mul_f32 v[134:135], v[206:207], v[134:135] op_sel_hi:[1,0]
	v_mov_b32_e32 v129, v139
	v_pk_add_f32 v[124:125], v[124:125], v[126:127]
	v_pk_fma_f32 v[130:131], v[168:169], v[152:153], v[130:131] neg_lo:[0,0,1] neg_hi:[0,0,1]
	s_wait_loadcnt 0x2
	v_pk_mul_f32 v[136:137], v[172:173], v[156:157] op_sel:[1,1] op_sel_hi:[0,1]
	v_dual_mov_b32 v126, v159 :: v_dual_mov_b32 v131, v133
	v_pk_fma_f32 v[132:133], v[170:171], v[154:155], v[134:135] op_sel_hi:[1,0,1]
	v_pk_add_f32 v[124:125], v[124:125], v[128:129]
	v_pk_fma_f32 v[134:135], v[170:171], v[154:155], v[134:135] neg_lo:[0,0,1] neg_hi:[0,0,1]
	v_pk_fma_f32 v[128:129], v[172:173], v[156:157], v[136:137] op_sel_hi:[1,0,1]
	v_pk_mul_f32 v[126:127], v[208:209], v[126:127] op_sel_hi:[1,0]
	v_mov_b32_e32 v135, v133
	v_pk_add_f32 v[124:125], v[124:125], v[130:131]
	v_pk_fma_f32 v[130:131], v[172:173], v[156:157], v[136:137] neg_lo:[0,0,1] neg_hi:[0,0,1]
	v_mov_b32_e32 v131, v129
	v_pk_fma_f32 v[128:129], v[174:175], v[158:159], v[126:127] op_sel_hi:[1,0,1]
	s_wait_loadcnt_dscnt 0x100
	v_pk_mul_f32 v[132:133], v[200:201], v[196:197] op_sel:[1,1] op_sel_hi:[0,1]
	v_pk_add_f32 v[124:125], v[124:125], v[134:135]
	v_pk_fma_f32 v[126:127], v[174:175], v[158:159], v[126:127] neg_lo:[0,0,1] neg_hi:[0,0,1]
	v_mov_b32_e32 v127, v129
	s_delay_alu instid0(VALU_DEP_4) | instskip(NEXT) | instid1(VALU_DEP_4)
	v_pk_fma_f32 v[128:129], v[200:201], v[196:197], v[132:133] op_sel_hi:[1,0,1]
	v_pk_add_f32 v[124:125], v[124:125], v[130:131]
	v_pk_fma_f32 v[130:131], v[200:201], v[196:197], v[132:133] neg_lo:[0,0,1] neg_hi:[0,0,1]
	s_delay_alu instid0(VALU_DEP_3) | instskip(NEXT) | instid1(VALU_DEP_3)
	v_mov_b32_e32 v131, v129
	v_pk_add_f32 v[124:125], v[124:125], v[126:127]
	s_delay_alu instid0(VALU_DEP_1) | instskip(SKIP_1) | instid1(VALU_DEP_1)
	v_pk_add_f32 v[124:125], v[124:125], v[130:131]
	s_wait_loadcnt 0x0
	v_pk_add_f32 v[124:125], v[198:199], v[124:125] neg_lo:[0,1] neg_hi:[0,1]
	scratch_store_b64 off, v[124:125], off offset:328
	s_wait_xcnt 0x0
	v_cmpx_lt_u32_e32 40, v0
	s_cbranch_execz .LBB124_299
; %bb.298:
	scratch_load_b64 v[124:125], off, off offset:320
	v_mov_b64_e32 v[126:127], 0
	scratch_store_b64 off, v[126:127], off offset:320
	s_wait_loadcnt 0x0
	ds_store_b64 v1, v[124:125]
.LBB124_299:
	s_wait_xcnt 0x0
	s_or_b32 exec_lo, exec_lo, s0
	s_wait_storecnt_dscnt 0x0
	s_barrier_signal -1
	s_barrier_wait -1
	s_clause 0xa
	scratch_load_b128 v[124:127], off, off offset:328
	scratch_load_b128 v[128:131], off, off offset:344
	;; [unrolled: 1-line block ×10, first 2 shown]
	scratch_load_b64 v[204:205], off, off offset:320
	ds_load_2addr_b64 v[164:167], v7 offset0:115 offset1:116
	ds_load_2addr_b64 v[168:171], v7 offset0:117 offset1:118
	;; [unrolled: 1-line block ×10, first 2 shown]
	s_mov_b32 s0, exec_lo
	s_wait_dscnt 0x9
	v_dual_mov_b32 v206, v167 :: v_dual_mov_b32 v207, v166
	s_wait_dscnt 0x8
	v_dual_mov_b32 v208, v171 :: v_dual_mov_b32 v209, v170
	;; [unrolled: 2-line block ×4, first 2 shown]
	s_wait_loadcnt_dscnt 0xa05
	v_dual_mul_f32 v7, v180, v125 :: v_dual_mul_f32 v9, v182, v127
	v_dual_mul_f32 v27, v181, v125 :: v_dual_mul_f32 v29, v183, v127
	s_wait_loadcnt_dscnt 0x904
	v_dual_mul_f32 v11, v184, v129 :: v_dual_mul_f32 v13, v186, v131
	s_delay_alu instid0(VALU_DEP_3) | instskip(SKIP_3) | instid1(VALU_DEP_3)
	v_dual_fmac_f32 v7, v181, v124 :: v_dual_fmac_f32 v9, v183, v126
	s_wait_loadcnt_dscnt 0x702
	v_dual_fma_f32 v27, v180, v124, -v27 :: v_dual_mul_f32 v39, v193, v137
	v_dual_mul_f32 v31, v185, v129 :: v_dual_mul_f32 v33, v187, v131
	v_dual_fma_f32 v29, v182, v126, -v29 :: v_dual_add_f32 v7, 0, v7
	s_delay_alu instid0(VALU_DEP_3) | instskip(SKIP_1) | instid1(VALU_DEP_4)
	v_dual_add_f32 v27, 0, v27 :: v_dual_fmac_f32 v11, v185, v128
	v_dual_mul_f32 v15, v188, v133 :: v_dual_mul_f32 v17, v190, v135
	v_dual_mul_f32 v41, v195, v139 :: v_dual_fma_f32 v31, v184, v128, -v31
	s_delay_alu instid0(VALU_DEP_4) | instskip(NEXT) | instid1(VALU_DEP_3)
	v_add_f32_e32 v7, v7, v9
	v_dual_add_f32 v9, v27, v29 :: v_dual_fmac_f32 v15, v189, v132
	v_dual_mul_f32 v35, v189, v133 :: v_dual_mul_f32 v37, v191, v135
	s_wait_loadcnt_dscnt 0x601
	v_dual_mul_f32 v27, v197, v141 :: v_dual_fmac_f32 v13, v187, v130
	v_dual_fma_f32 v29, v186, v130, -v33 :: v_dual_add_f32 v7, v7, v11
	s_delay_alu instid0(VALU_DEP_3) | instskip(SKIP_1) | instid1(VALU_DEP_3)
	v_dual_add_f32 v9, v9, v31 :: v_dual_fma_f32 v31, v188, v132, -v35
	v_dual_mul_f32 v19, v192, v137 :: v_dual_mul_f32 v21, v194, v139
	v_add_f32_e32 v7, v7, v13
	s_delay_alu instid0(VALU_DEP_3) | instskip(SKIP_2) | instid1(VALU_DEP_3)
	v_dual_mul_f32 v11, v199, v143 :: v_dual_add_f32 v9, v9, v29
	s_wait_loadcnt_dscnt 0x500
	v_dual_mul_f32 v13, v201, v145 :: v_dual_fmac_f32 v17, v191, v134
	v_dual_fma_f32 v29, v190, v134, -v37 :: v_dual_add_f32 v7, v7, v15
	s_delay_alu instid0(VALU_DEP_3) | instskip(SKIP_1) | instid1(VALU_DEP_3)
	v_dual_add_f32 v9, v9, v31 :: v_dual_fma_f32 v31, v192, v136, -v39
	v_dual_mul_f32 v15, v203, v147 :: v_dual_fmac_f32 v19, v193, v136
	v_dual_add_f32 v7, v7, v17 :: v_dual_fma_f32 v17, v194, v138, -v41
	s_delay_alu instid0(VALU_DEP_3) | instskip(SKIP_1) | instid1(VALU_DEP_3)
	v_dual_add_f32 v9, v9, v29 :: v_dual_fmac_f32 v21, v195, v138
	v_dual_mul_f32 v23, v196, v141 :: v_dual_mul_f32 v25, v198, v143
	v_add_f32_e32 v7, v7, v19
	s_wait_loadcnt 0x4
	s_delay_alu instid0(VALU_DEP_3) | instskip(NEXT) | instid1(VALU_DEP_3)
	v_dual_add_f32 v9, v9, v31 :: v_dual_mov_b32 v126, v151
	v_fmac_f32_e32 v23, v197, v140
	s_delay_alu instid0(VALU_DEP_3) | instskip(NEXT) | instid1(VALU_DEP_3)
	v_dual_fma_f32 v19, v196, v140, -v27 :: v_dual_add_f32 v7, v7, v21
	v_dual_add_f32 v9, v9, v17 :: v_dual_fmac_f32 v25, v199, v142
	v_dual_mul_f32 v215, v200, v145 :: v_dual_mul_f32 v217, v202, v147
	s_delay_alu instid0(VALU_DEP_3) | instskip(SKIP_1) | instid1(VALU_DEP_3)
	v_dual_fma_f32 v11, v198, v142, -v11 :: v_dual_add_f32 v7, v7, v23
	s_wait_loadcnt 0x3
	v_dual_add_f32 v9, v9, v19 :: v_dual_mov_b32 v130, v155
	v_pk_mul_f32 v[124:125], v[164:165], v[148:149] op_sel:[1,1] op_sel_hi:[0,1]
	v_dual_fmac_f32 v215, v201, v144 :: v_dual_fma_f32 v214, v200, v144, -v13
	s_delay_alu instid0(VALU_DEP_3) | instskip(SKIP_1) | instid1(VALU_DEP_4)
	v_dual_add_f32 v133, v7, v25 :: v_dual_add_f32 v132, v9, v11
	v_dual_fmac_f32 v217, v203, v146 :: v_dual_fma_f32 v216, v202, v146, -v15
	v_pk_fma_f32 v[134:135], v[164:165], v[148:149], v[124:125] op_sel_hi:[1,0,1]
	v_pk_mul_f32 v[126:127], v[206:207], v[126:127] op_sel_hi:[1,0]
	s_delay_alu instid0(VALU_DEP_4)
	v_pk_add_f32 v[132:133], v[132:133], v[214:215]
	v_pk_fma_f32 v[124:125], v[164:165], v[148:149], v[124:125] neg_lo:[0,0,1] neg_hi:[0,0,1]
	v_pk_mul_f32 v[128:129], v[168:169], v[152:153] op_sel:[1,1] op_sel_hi:[0,1]
	v_mov_b32_e32 v125, v135
	v_pk_fma_f32 v[134:135], v[166:167], v[150:151], v[126:127] op_sel_hi:[1,0,1]
	v_pk_add_f32 v[132:133], v[132:133], v[216:217]
	v_pk_fma_f32 v[126:127], v[166:167], v[150:151], v[126:127] neg_lo:[0,0,1] neg_hi:[0,0,1]
	v_pk_fma_f32 v[138:139], v[168:169], v[152:153], v[128:129] op_sel_hi:[1,0,1]
	v_pk_mul_f32 v[130:131], v[208:209], v[130:131] op_sel_hi:[1,0]
	v_mov_b32_e32 v127, v135
	v_pk_add_f32 v[124:125], v[132:133], v[124:125]
	s_wait_loadcnt 0x2
	v_pk_mul_f32 v[136:137], v[172:173], v[156:157] op_sel:[1,1] op_sel_hi:[0,1]
	v_mov_b32_e32 v132, v159
	v_pk_fma_f32 v[128:129], v[168:169], v[152:153], v[128:129] neg_lo:[0,0,1] neg_hi:[0,0,1]
	v_mov_b32_e32 v129, v139
	v_pk_fma_f32 v[134:135], v[170:171], v[154:155], v[130:131] op_sel_hi:[1,0,1]
	v_pk_add_f32 v[124:125], v[124:125], v[126:127]
	v_pk_fma_f32 v[126:127], v[172:173], v[156:157], v[136:137] op_sel_hi:[1,0,1]
	v_pk_mul_f32 v[132:133], v[210:211], v[132:133] op_sel_hi:[1,0]
	v_pk_fma_f32 v[130:131], v[170:171], v[154:155], v[130:131] neg_lo:[0,0,1] neg_hi:[0,0,1]
	v_mov_b32_e32 v131, v135
	v_pk_add_f32 v[124:125], v[124:125], v[128:129]
	v_pk_fma_f32 v[134:135], v[172:173], v[156:157], v[136:137] neg_lo:[0,0,1] neg_hi:[0,0,1]
	v_mov_b32_e32 v135, v127
	v_pk_fma_f32 v[126:127], v[174:175], v[158:159], v[132:133] op_sel_hi:[1,0,1]
	s_wait_loadcnt 0x1
	v_pk_mul_f32 v[128:129], v[176:177], v[160:161] op_sel:[1,1] op_sel_hi:[0,1]
	v_pk_add_f32 v[124:125], v[124:125], v[130:131]
	v_mov_b32_e32 v126, v163
	v_pk_fma_f32 v[132:133], v[174:175], v[158:159], v[132:133] neg_lo:[0,0,1] neg_hi:[0,0,1]
	v_mov_b32_e32 v133, v127
	v_pk_fma_f32 v[130:131], v[176:177], v[160:161], v[128:129] op_sel_hi:[1,0,1]
	v_pk_add_f32 v[124:125], v[124:125], v[134:135]
	v_pk_mul_f32 v[126:127], v[212:213], v[126:127] op_sel_hi:[1,0]
	v_pk_fma_f32 v[128:129], v[176:177], v[160:161], v[128:129] neg_lo:[0,0,1] neg_hi:[0,0,1]
	s_delay_alu instid0(VALU_DEP_4) | instskip(NEXT) | instid1(VALU_DEP_4)
	v_mov_b32_e32 v129, v131
	v_pk_add_f32 v[124:125], v[124:125], v[132:133]
	s_delay_alu instid0(VALU_DEP_4) | instskip(SKIP_1) | instid1(VALU_DEP_2)
	v_pk_fma_f32 v[130:131], v[178:179], v[162:163], v[126:127] op_sel_hi:[1,0,1]
	v_pk_fma_f32 v[126:127], v[178:179], v[162:163], v[126:127] neg_lo:[0,0,1] neg_hi:[0,0,1]
	v_mov_b32_e32 v127, v131
	s_delay_alu instid0(VALU_DEP_4) | instskip(NEXT) | instid1(VALU_DEP_1)
	v_pk_add_f32 v[124:125], v[124:125], v[128:129]
	v_pk_add_f32 v[124:125], v[124:125], v[126:127]
	s_wait_loadcnt 0x0
	s_delay_alu instid0(VALU_DEP_1)
	v_pk_add_f32 v[124:125], v[204:205], v[124:125] neg_lo:[0,1] neg_hi:[0,1]
	scratch_store_b64 off, v[124:125], off offset:320
	s_wait_xcnt 0x0
	v_cmpx_lt_u32_e32 39, v0
	s_cbranch_execz .LBB124_301
; %bb.300:
	scratch_load_b64 v[124:125], off, off offset:312
	v_mov_b64_e32 v[126:127], 0
	scratch_store_b64 off, v[126:127], off offset:312
	s_wait_loadcnt 0x0
	ds_store_b64 v1, v[124:125]
.LBB124_301:
	s_wait_xcnt 0x0
	s_or_b32 exec_lo, exec_lo, s0
	s_wait_storecnt_dscnt 0x0
	s_barrier_signal -1
	s_barrier_wait -1
	s_clause 0xb
	scratch_load_b128 v[124:127], off, off offset:320
	scratch_load_b128 v[128:131], off, off offset:336
	;; [unrolled: 1-line block ×10, first 2 shown]
	scratch_load_b64 v[204:205], off, off offset:480
	scratch_load_b64 v[206:207], off, off offset:312
	v_mov_b32_e32 v7, 0
	ds_load_b128 v[164:167], v7 offset:912
	ds_load_b128 v[168:171], v7 offset:928
	;; [unrolled: 1-line block ×10, first 2 shown]
	ds_load_b64 v[208:209], v7 offset:976
	s_mov_b32 s0, exec_lo
	s_wait_dscnt 0xa
	v_dual_mov_b32 v210, v167 :: v_dual_mov_b32 v211, v166
	s_wait_dscnt 0x7
	v_dual_mov_b32 v212, v171 :: v_dual_mov_b32 v217, v178
	v_dual_mov_b32 v213, v170 :: v_dual_mov_b32 v214, v175
	;; [unrolled: 1-line block ×3, first 2 shown]
	s_wait_loadcnt_dscnt 0xb06
	v_dual_mul_f32 v9, v180, v125 :: v_dual_mul_f32 v31, v181, v125
	v_dual_mul_f32 v33, v183, v127 :: v_dual_mul_f32 v11, v182, v127
	s_wait_loadcnt_dscnt 0xa05
	v_mul_f32_e32 v13, v184, v129
	s_wait_loadcnt_dscnt 0x803
	v_dual_mul_f32 v43, v193, v137 :: v_dual_fma_f32 v31, v180, v124, -v31
	v_dual_fmac_f32 v9, v181, v124 :: v_dual_mul_f32 v45, v195, v139
	v_dual_mul_f32 v35, v185, v129 :: v_dual_mul_f32 v37, v187, v131
	v_dual_fmac_f32 v11, v183, v126 :: v_dual_fma_f32 v33, v182, v126, -v33
	s_delay_alu instid0(VALU_DEP_3) | instskip(SKIP_4) | instid1(VALU_DEP_3)
	v_dual_add_f32 v9, 0, v9 :: v_dual_add_f32 v31, 0, v31
	v_dual_mul_f32 v15, v186, v131 :: v_dual_mul_f32 v17, v188, v133
	s_wait_loadcnt_dscnt 0x702
	v_dual_mul_f32 v47, v197, v141 :: v_dual_fma_f32 v35, v184, v128, -v35
	v_fmac_f32_e32 v13, v185, v128
	v_dual_add_f32 v9, v9, v11 :: v_dual_fmac_f32 v15, v187, v130
	v_add_f32_e32 v11, v31, v33
	v_dual_mul_f32 v39, v189, v133 :: v_dual_mul_f32 v41, v191, v135
	v_dual_mul_f32 v31, v199, v143 :: v_dual_fma_f32 v33, v186, v130, -v37
	s_delay_alu instid0(VALU_DEP_3) | instskip(SKIP_3) | instid1(VALU_DEP_3)
	v_dual_add_f32 v9, v9, v13 :: v_dual_add_f32 v11, v11, v35
	v_dual_mul_f32 v19, v190, v135 :: v_dual_mul_f32 v21, v192, v137
	s_wait_loadcnt_dscnt 0x601
	v_dual_mul_f32 v13, v201, v145 :: v_dual_fma_f32 v35, v188, v132, -v39
	v_dual_fmac_f32 v17, v189, v132 :: v_dual_add_f32 v11, v11, v33
	s_delay_alu instid0(VALU_DEP_3) | instskip(SKIP_1) | instid1(VALU_DEP_2)
	v_dual_add_f32 v9, v9, v15 :: v_dual_fmac_f32 v19, v191, v134
	v_dual_mul_f32 v15, v203, v147 :: v_dual_fma_f32 v33, v190, v134, -v41
	v_dual_add_f32 v11, v11, v35 :: v_dual_add_f32 v9, v9, v17
	v_dual_mul_f32 v23, v194, v139 :: v_dual_mul_f32 v25, v196, v141
	s_wait_loadcnt 0x5
	v_dual_mul_f32 v17, v165, v149 :: v_dual_fma_f32 v35, v192, v136, -v43
	s_delay_alu instid0(VALU_DEP_3) | instskip(SKIP_2) | instid1(VALU_DEP_2)
	v_dual_fmac_f32 v21, v193, v136 :: v_dual_add_f32 v11, v11, v33
	v_dual_add_f32 v9, v9, v19 :: v_dual_mov_b32 v124, v151
	v_dual_fmac_f32 v23, v195, v138 :: v_dual_fma_f32 v19, v194, v138, -v45
	v_dual_add_f32 v11, v11, v35 :: v_dual_add_f32 v9, v9, v21
	v_dual_mul_f32 v27, v198, v143 :: v_dual_mul_f32 v29, v200, v145
	v_dual_fmac_f32 v25, v197, v140 :: v_dual_fma_f32 v21, v196, v140, -v47
	s_wait_loadcnt 0x4
	s_delay_alu instid0(VALU_DEP_3) | instskip(SKIP_1) | instid1(VALU_DEP_2)
	v_dual_add_f32 v9, v9, v23 :: v_dual_mov_b32 v128, v155
	v_dual_add_f32 v11, v11, v19 :: v_dual_fma_f32 v19, v198, v142, -v31
	v_dual_fmac_f32 v27, v199, v142 :: v_dual_add_f32 v9, v9, v25
	v_dual_mul_f32 v219, v202, v147 :: v_dual_mul_f32 v221, v164, v149
	s_delay_alu instid0(VALU_DEP_3) | instskip(NEXT) | instid1(VALU_DEP_3)
	v_dual_add_f32 v11, v11, v21 :: v_dual_fmac_f32 v29, v201, v144
	v_dual_fma_f32 v13, v200, v144, -v13 :: v_dual_add_f32 v9, v9, v27
	s_delay_alu instid0(VALU_DEP_3) | instskip(NEXT) | instid1(VALU_DEP_3)
	v_fmac_f32_e32 v219, v203, v146
	v_dual_add_f32 v11, v11, v19 :: v_dual_fma_f32 v218, v202, v146, -v15
	v_pk_mul_f32 v[124:125], v[210:211], v[124:125] op_sel_hi:[1,0]
	s_delay_alu instid0(VALU_DEP_4) | instskip(SKIP_1) | instid1(VALU_DEP_4)
	v_add_f32_e32 v133, v9, v29
	v_pk_mul_f32 v[126:127], v[168:169], v[152:153] op_sel:[1,1] op_sel_hi:[0,1]
	v_dual_add_f32 v132, v11, v13 :: v_dual_fmac_f32 v221, v165, v148
	s_wait_loadcnt 0x3
	v_dual_mov_b32 v134, v159 :: v_dual_fma_f32 v220, v164, v148, -v17
	v_pk_fma_f32 v[136:137], v[166:167], v[150:151], v[124:125] op_sel_hi:[1,0,1]
	s_delay_alu instid0(VALU_DEP_3)
	v_pk_add_f32 v[132:133], v[132:133], v[218:219]
	v_pk_fma_f32 v[124:125], v[166:167], v[150:151], v[124:125] neg_lo:[0,0,1] neg_hi:[0,0,1]
	v_pk_fma_f32 v[138:139], v[168:169], v[152:153], v[126:127] op_sel_hi:[1,0,1]
	v_pk_mul_f32 v[128:129], v[212:213], v[128:129] op_sel_hi:[1,0]
	v_mov_b32_e32 v125, v137
	v_pk_add_f32 v[132:133], v[132:133], v[220:221]
	v_pk_fma_f32 v[126:127], v[168:169], v[152:153], v[126:127] neg_lo:[0,0,1] neg_hi:[0,0,1]
	v_pk_mul_f32 v[130:131], v[172:173], v[156:157] op_sel:[1,1] op_sel_hi:[0,1]
	v_mov_b32_e32 v127, v139
	v_pk_fma_f32 v[138:139], v[170:171], v[154:155], v[128:129] op_sel_hi:[1,0,1]
	v_pk_add_f32 v[124:125], v[132:133], v[124:125]
	v_pk_fma_f32 v[128:129], v[170:171], v[154:155], v[128:129] neg_lo:[0,0,1] neg_hi:[0,0,1]
	v_pk_fma_f32 v[132:133], v[172:173], v[156:157], v[130:131] op_sel_hi:[1,0,1]
	v_pk_mul_f32 v[134:135], v[214:215], v[134:135] op_sel_hi:[1,0]
	v_mov_b32_e32 v129, v139
	v_pk_add_f32 v[124:125], v[124:125], v[126:127]
	v_pk_fma_f32 v[130:131], v[172:173], v[156:157], v[130:131] neg_lo:[0,0,1] neg_hi:[0,0,1]
	s_wait_loadcnt 0x2
	v_pk_mul_f32 v[136:137], v[176:177], v[160:161] op_sel:[1,1] op_sel_hi:[0,1]
	v_dual_mov_b32 v126, v163 :: v_dual_mov_b32 v131, v133
	v_pk_fma_f32 v[132:133], v[174:175], v[158:159], v[134:135] op_sel_hi:[1,0,1]
	v_pk_add_f32 v[124:125], v[124:125], v[128:129]
	v_pk_fma_f32 v[134:135], v[174:175], v[158:159], v[134:135] neg_lo:[0,0,1] neg_hi:[0,0,1]
	v_pk_fma_f32 v[128:129], v[176:177], v[160:161], v[136:137] op_sel_hi:[1,0,1]
	v_pk_mul_f32 v[126:127], v[216:217], v[126:127] op_sel_hi:[1,0]
	v_mov_b32_e32 v135, v133
	v_pk_add_f32 v[124:125], v[124:125], v[130:131]
	v_pk_fma_f32 v[130:131], v[176:177], v[160:161], v[136:137] neg_lo:[0,0,1] neg_hi:[0,0,1]
	v_mov_b32_e32 v131, v129
	v_pk_fma_f32 v[128:129], v[178:179], v[162:163], v[126:127] op_sel_hi:[1,0,1]
	s_wait_loadcnt_dscnt 0x100
	v_pk_mul_f32 v[132:133], v[208:209], v[204:205] op_sel:[1,1] op_sel_hi:[0,1]
	v_pk_add_f32 v[124:125], v[124:125], v[134:135]
	v_pk_fma_f32 v[126:127], v[178:179], v[162:163], v[126:127] neg_lo:[0,0,1] neg_hi:[0,0,1]
	v_mov_b32_e32 v127, v129
	s_delay_alu instid0(VALU_DEP_4) | instskip(NEXT) | instid1(VALU_DEP_4)
	v_pk_fma_f32 v[128:129], v[208:209], v[204:205], v[132:133] op_sel_hi:[1,0,1]
	v_pk_add_f32 v[124:125], v[124:125], v[130:131]
	v_pk_fma_f32 v[130:131], v[208:209], v[204:205], v[132:133] neg_lo:[0,0,1] neg_hi:[0,0,1]
	s_delay_alu instid0(VALU_DEP_3) | instskip(NEXT) | instid1(VALU_DEP_3)
	v_mov_b32_e32 v131, v129
	v_pk_add_f32 v[124:125], v[124:125], v[126:127]
	s_delay_alu instid0(VALU_DEP_1) | instskip(SKIP_1) | instid1(VALU_DEP_1)
	v_pk_add_f32 v[124:125], v[124:125], v[130:131]
	s_wait_loadcnt 0x0
	v_pk_add_f32 v[124:125], v[206:207], v[124:125] neg_lo:[0,1] neg_hi:[0,1]
	scratch_store_b64 off, v[124:125], off offset:312
	s_wait_xcnt 0x0
	v_cmpx_lt_u32_e32 38, v0
	s_cbranch_execz .LBB124_303
; %bb.302:
	scratch_load_b64 v[124:125], off, off offset:304
	v_mov_b64_e32 v[126:127], 0
	scratch_store_b64 off, v[126:127], off offset:304
	s_wait_loadcnt 0x0
	ds_store_b64 v1, v[124:125]
.LBB124_303:
	s_wait_xcnt 0x0
	s_or_b32 exec_lo, exec_lo, s0
	s_wait_storecnt_dscnt 0x0
	s_barrier_signal -1
	s_barrier_wait -1
	s_clause 0xb
	scratch_load_b128 v[124:127], off, off offset:312
	scratch_load_b128 v[128:131], off, off offset:328
	;; [unrolled: 1-line block ×11, first 2 shown]
	scratch_load_b64 v[212:213], off, off offset:304
	ds_load_2addr_b64 v[168:171], v7 offset0:115 offset1:116
	ds_load_2addr_b64 v[172:175], v7 offset0:117 offset1:118
	;; [unrolled: 1-line block ×11, first 2 shown]
	s_mov_b32 s0, exec_lo
	s_wait_dscnt 0xa
	v_dual_mov_b32 v214, v171 :: v_dual_mov_b32 v215, v170
	s_wait_dscnt 0x9
	v_dual_mov_b32 v216, v175 :: v_dual_mov_b32 v217, v174
	;; [unrolled: 2-line block ×4, first 2 shown]
	s_wait_loadcnt_dscnt 0xb06
	v_dual_mul_f32 v7, v184, v125 :: v_dual_mul_f32 v9, v186, v127
	v_dual_mul_f32 v31, v185, v125 :: v_dual_mul_f32 v33, v187, v127
	s_wait_loadcnt_dscnt 0xa05
	v_dual_mul_f32 v11, v188, v129 :: v_dual_mul_f32 v13, v190, v131
	s_delay_alu instid0(VALU_DEP_3) | instskip(SKIP_3) | instid1(VALU_DEP_3)
	v_dual_fmac_f32 v7, v185, v124 :: v_dual_fmac_f32 v9, v187, v126
	s_wait_loadcnt_dscnt 0x803
	v_dual_fma_f32 v31, v184, v124, -v31 :: v_dual_mul_f32 v43, v197, v137
	v_dual_mul_f32 v35, v189, v129 :: v_dual_mul_f32 v37, v191, v131
	v_dual_fma_f32 v33, v186, v126, -v33 :: v_dual_add_f32 v7, 0, v7
	s_delay_alu instid0(VALU_DEP_3) | instskip(SKIP_1) | instid1(VALU_DEP_4)
	v_dual_add_f32 v31, 0, v31 :: v_dual_fmac_f32 v11, v189, v128
	v_dual_mul_f32 v15, v192, v133 :: v_dual_mul_f32 v17, v194, v135
	v_dual_mul_f32 v45, v199, v139 :: v_dual_fma_f32 v35, v188, v128, -v35
	s_delay_alu instid0(VALU_DEP_4) | instskip(NEXT) | instid1(VALU_DEP_3)
	v_add_f32_e32 v7, v7, v9
	v_dual_add_f32 v9, v31, v33 :: v_dual_fmac_f32 v15, v193, v132
	v_dual_mul_f32 v39, v193, v133 :: v_dual_mul_f32 v41, v195, v135
	s_wait_loadcnt_dscnt 0x702
	v_dual_mul_f32 v31, v201, v141 :: v_dual_fmac_f32 v13, v191, v130
	v_dual_fma_f32 v33, v190, v130, -v37 :: v_dual_add_f32 v7, v7, v11
	s_delay_alu instid0(VALU_DEP_3) | instskip(SKIP_1) | instid1(VALU_DEP_3)
	v_dual_add_f32 v9, v9, v35 :: v_dual_fma_f32 v35, v192, v132, -v39
	v_dual_mul_f32 v19, v196, v137 :: v_dual_mul_f32 v21, v198, v139
	v_add_f32_e32 v7, v7, v13
	s_delay_alu instid0(VALU_DEP_3) | instskip(SKIP_2) | instid1(VALU_DEP_3)
	v_dual_mul_f32 v11, v203, v143 :: v_dual_add_f32 v9, v9, v33
	s_wait_loadcnt_dscnt 0x601
	v_dual_mul_f32 v13, v205, v145 :: v_dual_fmac_f32 v17, v195, v134
	v_dual_fma_f32 v33, v194, v134, -v41 :: v_dual_add_f32 v7, v7, v15
	s_delay_alu instid0(VALU_DEP_3) | instskip(SKIP_1) | instid1(VALU_DEP_3)
	v_dual_add_f32 v9, v9, v35 :: v_dual_fma_f32 v35, v196, v136, -v43
	v_dual_mul_f32 v15, v207, v147 :: v_dual_fmac_f32 v19, v197, v136
	v_add_f32_e32 v7, v7, v17
	s_delay_alu instid0(VALU_DEP_3)
	v_dual_add_f32 v9, v9, v33 :: v_dual_fmac_f32 v21, v199, v138
	v_dual_mul_f32 v23, v200, v141 :: v_dual_mul_f32 v25, v202, v143
	s_wait_loadcnt_dscnt 0x500
	v_dual_fma_f32 v33, v198, v138, -v45 :: v_dual_mul_f32 v17, v209, v149
	v_add_f32_e32 v7, v7, v19
	v_dual_add_f32 v9, v9, v35 :: v_dual_fma_f32 v31, v200, v140, -v31
	v_dual_mul_f32 v19, v211, v151 :: v_dual_fmac_f32 v23, v201, v140
	s_delay_alu instid0(VALU_DEP_3) | instskip(NEXT) | instid1(VALU_DEP_3)
	v_dual_add_f32 v7, v7, v21 :: v_dual_fma_f32 v11, v202, v142, -v11
	v_dual_add_f32 v9, v9, v33 :: v_dual_fmac_f32 v25, v203, v142
	v_dual_mul_f32 v27, v204, v145 :: v_dual_mul_f32 v29, v206, v147
	s_delay_alu instid0(VALU_DEP_3) | instskip(SKIP_1) | instid1(VALU_DEP_3)
	v_add_f32_e32 v7, v7, v23
	s_wait_loadcnt 0x4
	v_dual_add_f32 v9, v9, v31 :: v_dual_mov_b32 v126, v155
	s_delay_alu instid0(VALU_DEP_3) | instskip(NEXT) | instid1(VALU_DEP_2)
	v_dual_fmac_f32 v27, v205, v144 :: v_dual_fma_f32 v13, v204, v144, -v13
	v_dual_add_f32 v7, v7, v25 :: v_dual_add_f32 v9, v9, v11
	v_dual_fmac_f32 v29, v207, v146 :: v_dual_mul_f32 v223, v208, v149
	v_mul_f32_e32 v225, v210, v151
	s_delay_alu instid0(VALU_DEP_3) | instskip(SKIP_4) | instid1(VALU_DEP_3)
	v_dual_fma_f32 v11, v206, v146, -v15 :: v_dual_add_f32 v7, v7, v27
	s_wait_loadcnt 0x3
	v_dual_add_f32 v9, v9, v13 :: v_dual_mov_b32 v130, v159
	v_pk_mul_f32 v[124:125], v[168:169], v[152:153] op_sel:[1,1] op_sel_hi:[0,1]
	v_dual_fmac_f32 v223, v209, v148 :: v_dual_fma_f32 v222, v208, v148, -v17
	v_dual_add_f32 v133, v7, v29 :: v_dual_add_f32 v132, v9, v11
	v_dual_fmac_f32 v225, v211, v150 :: v_dual_fma_f32 v224, v210, v150, -v19
	s_delay_alu instid0(VALU_DEP_4) | instskip(SKIP_1) | instid1(VALU_DEP_4)
	v_pk_fma_f32 v[134:135], v[168:169], v[152:153], v[124:125] op_sel_hi:[1,0,1]
	v_pk_mul_f32 v[126:127], v[214:215], v[126:127] op_sel_hi:[1,0]
	v_pk_add_f32 v[132:133], v[132:133], v[222:223]
	v_pk_fma_f32 v[124:125], v[168:169], v[152:153], v[124:125] neg_lo:[0,0,1] neg_hi:[0,0,1]
	v_pk_mul_f32 v[128:129], v[172:173], v[156:157] op_sel:[1,1] op_sel_hi:[0,1]
	v_mov_b32_e32 v125, v135
	v_pk_fma_f32 v[134:135], v[170:171], v[154:155], v[126:127] op_sel_hi:[1,0,1]
	v_pk_add_f32 v[132:133], v[132:133], v[224:225]
	v_pk_fma_f32 v[126:127], v[170:171], v[154:155], v[126:127] neg_lo:[0,0,1] neg_hi:[0,0,1]
	v_pk_fma_f32 v[138:139], v[172:173], v[156:157], v[128:129] op_sel_hi:[1,0,1]
	v_pk_mul_f32 v[130:131], v[216:217], v[130:131] op_sel_hi:[1,0]
	v_mov_b32_e32 v127, v135
	v_pk_add_f32 v[124:125], v[132:133], v[124:125]
	s_wait_loadcnt 0x2
	v_pk_mul_f32 v[136:137], v[176:177], v[160:161] op_sel:[1,1] op_sel_hi:[0,1]
	v_mov_b32_e32 v132, v163
	v_pk_fma_f32 v[128:129], v[172:173], v[156:157], v[128:129] neg_lo:[0,0,1] neg_hi:[0,0,1]
	v_mov_b32_e32 v129, v139
	v_pk_fma_f32 v[134:135], v[174:175], v[158:159], v[130:131] op_sel_hi:[1,0,1]
	v_pk_add_f32 v[124:125], v[124:125], v[126:127]
	v_pk_fma_f32 v[126:127], v[176:177], v[160:161], v[136:137] op_sel_hi:[1,0,1]
	v_pk_mul_f32 v[132:133], v[218:219], v[132:133] op_sel_hi:[1,0]
	v_pk_fma_f32 v[130:131], v[174:175], v[158:159], v[130:131] neg_lo:[0,0,1] neg_hi:[0,0,1]
	v_mov_b32_e32 v131, v135
	v_pk_add_f32 v[124:125], v[124:125], v[128:129]
	v_pk_fma_f32 v[134:135], v[176:177], v[160:161], v[136:137] neg_lo:[0,0,1] neg_hi:[0,0,1]
	v_mov_b32_e32 v135, v127
	v_pk_fma_f32 v[126:127], v[178:179], v[162:163], v[132:133] op_sel_hi:[1,0,1]
	s_wait_loadcnt 0x1
	v_pk_mul_f32 v[128:129], v[180:181], v[164:165] op_sel:[1,1] op_sel_hi:[0,1]
	v_pk_add_f32 v[124:125], v[124:125], v[130:131]
	v_mov_b32_e32 v126, v167
	v_pk_fma_f32 v[132:133], v[178:179], v[162:163], v[132:133] neg_lo:[0,0,1] neg_hi:[0,0,1]
	v_mov_b32_e32 v133, v127
	v_pk_fma_f32 v[130:131], v[180:181], v[164:165], v[128:129] op_sel_hi:[1,0,1]
	v_pk_add_f32 v[124:125], v[124:125], v[134:135]
	v_pk_mul_f32 v[126:127], v[220:221], v[126:127] op_sel_hi:[1,0]
	v_pk_fma_f32 v[128:129], v[180:181], v[164:165], v[128:129] neg_lo:[0,0,1] neg_hi:[0,0,1]
	s_delay_alu instid0(VALU_DEP_4) | instskip(NEXT) | instid1(VALU_DEP_4)
	v_mov_b32_e32 v129, v131
	v_pk_add_f32 v[124:125], v[124:125], v[132:133]
	s_delay_alu instid0(VALU_DEP_4) | instskip(SKIP_1) | instid1(VALU_DEP_2)
	v_pk_fma_f32 v[130:131], v[182:183], v[166:167], v[126:127] op_sel_hi:[1,0,1]
	v_pk_fma_f32 v[126:127], v[182:183], v[166:167], v[126:127] neg_lo:[0,0,1] neg_hi:[0,0,1]
	v_mov_b32_e32 v127, v131
	s_delay_alu instid0(VALU_DEP_4) | instskip(NEXT) | instid1(VALU_DEP_1)
	v_pk_add_f32 v[124:125], v[124:125], v[128:129]
	v_pk_add_f32 v[124:125], v[124:125], v[126:127]
	s_wait_loadcnt 0x0
	s_delay_alu instid0(VALU_DEP_1)
	v_pk_add_f32 v[124:125], v[212:213], v[124:125] neg_lo:[0,1] neg_hi:[0,1]
	scratch_store_b64 off, v[124:125], off offset:304
	s_wait_xcnt 0x0
	v_cmpx_lt_u32_e32 37, v0
	s_cbranch_execz .LBB124_305
; %bb.304:
	scratch_load_b64 v[124:125], off, off offset:296
	v_mov_b64_e32 v[126:127], 0
	scratch_store_b64 off, v[126:127], off offset:296
	s_wait_loadcnt 0x0
	ds_store_b64 v1, v[124:125]
.LBB124_305:
	s_wait_xcnt 0x0
	s_or_b32 exec_lo, exec_lo, s0
	s_wait_storecnt_dscnt 0x0
	s_barrier_signal -1
	s_barrier_wait -1
	s_clause 0xc
	scratch_load_b128 v[124:127], off, off offset:304
	scratch_load_b128 v[128:131], off, off offset:320
	;; [unrolled: 1-line block ×11, first 2 shown]
	scratch_load_b64 v[212:213], off, off offset:480
	scratch_load_b64 v[214:215], off, off offset:296
	v_mov_b32_e32 v7, 0
	ds_load_b128 v[168:171], v7 offset:912
	ds_load_b128 v[172:175], v7 offset:928
	;; [unrolled: 1-line block ×11, first 2 shown]
	ds_load_b64 v[216:217], v7 offset:976
	s_mov_b32 s0, exec_lo
	s_wait_dscnt 0xb
	v_dual_mov_b32 v218, v171 :: v_dual_mov_b32 v219, v170
	s_wait_dscnt 0x8
	v_dual_mov_b32 v220, v175 :: v_dual_mov_b32 v225, v182
	v_dual_mov_b32 v221, v174 :: v_dual_mov_b32 v222, v179
	;; [unrolled: 1-line block ×3, first 2 shown]
	s_wait_loadcnt_dscnt 0xc07
	v_dual_mul_f32 v9, v184, v125 :: v_dual_mul_f32 v35, v185, v125
	v_dual_mul_f32 v37, v187, v127 :: v_dual_mul_f32 v11, v186, v127
	s_wait_loadcnt_dscnt 0xb06
	v_mul_f32_e32 v13, v188, v129
	s_wait_loadcnt_dscnt 0x904
	v_dual_mul_f32 v47, v197, v137 :: v_dual_fma_f32 v35, v184, v124, -v35
	v_dual_fmac_f32 v9, v185, v124 :: v_dual_mul_f32 v49, v199, v139
	v_dual_mul_f32 v39, v189, v129 :: v_dual_mul_f32 v41, v191, v131
	v_dual_fmac_f32 v11, v187, v126 :: v_dual_fma_f32 v37, v186, v126, -v37
	s_delay_alu instid0(VALU_DEP_3) | instskip(SKIP_4) | instid1(VALU_DEP_3)
	v_dual_add_f32 v9, 0, v9 :: v_dual_add_f32 v35, 0, v35
	v_dual_mul_f32 v15, v190, v131 :: v_dual_mul_f32 v17, v192, v133
	s_wait_loadcnt_dscnt 0x803
	v_dual_mul_f32 v51, v201, v141 :: v_dual_fma_f32 v39, v188, v128, -v39
	v_fmac_f32_e32 v13, v189, v128
	v_dual_add_f32 v9, v9, v11 :: v_dual_fmac_f32 v15, v191, v130
	v_add_f32_e32 v11, v35, v37
	v_dual_mul_f32 v43, v193, v133 :: v_dual_mul_f32 v45, v195, v135
	v_dual_mul_f32 v35, v203, v143 :: v_dual_fma_f32 v37, v190, v130, -v41
	s_delay_alu instid0(VALU_DEP_3) | instskip(SKIP_3) | instid1(VALU_DEP_3)
	v_dual_add_f32 v9, v9, v13 :: v_dual_add_f32 v11, v11, v39
	v_dual_mul_f32 v19, v194, v135 :: v_dual_mul_f32 v21, v196, v137
	s_wait_loadcnt_dscnt 0x701
	v_dual_mul_f32 v13, v209, v145 :: v_dual_fma_f32 v39, v192, v132, -v43
	v_dual_fmac_f32 v17, v193, v132 :: v_dual_add_f32 v11, v11, v37
	s_delay_alu instid0(VALU_DEP_3) | instskip(SKIP_1) | instid1(VALU_DEP_2)
	v_dual_add_f32 v9, v9, v15 :: v_dual_fmac_f32 v19, v195, v134
	v_dual_mul_f32 v15, v211, v147 :: v_dual_fma_f32 v37, v194, v134, -v45
	v_dual_add_f32 v11, v11, v39 :: v_dual_add_f32 v9, v9, v17
	v_dual_mul_f32 v23, v198, v139 :: v_dual_mul_f32 v25, v200, v141
	s_wait_loadcnt 0x6
	v_dual_mul_f32 v17, v205, v149 :: v_dual_fma_f32 v39, v196, v136, -v47
	s_delay_alu instid0(VALU_DEP_3) | instskip(NEXT) | instid1(VALU_DEP_3)
	v_dual_fmac_f32 v21, v197, v136 :: v_dual_add_f32 v11, v11, v37
	v_dual_add_f32 v9, v9, v19 :: v_dual_fmac_f32 v23, v199, v138
	v_dual_mul_f32 v19, v207, v151 :: v_dual_fma_f32 v37, v198, v138, -v49
	s_delay_alu instid0(VALU_DEP_2) | instskip(SKIP_3) | instid1(VALU_DEP_3)
	v_dual_add_f32 v11, v11, v39 :: v_dual_add_f32 v9, v9, v21
	v_dual_mul_f32 v27, v202, v143 :: v_dual_mul_f32 v29, v208, v145
	s_wait_loadcnt 0x5
	v_dual_mul_f32 v21, v169, v153 :: v_dual_fma_f32 v39, v200, v140, -v51
	v_dual_fmac_f32 v25, v201, v140 :: v_dual_add_f32 v11, v11, v37
	v_dual_add_f32 v9, v9, v23 :: v_dual_mov_b32 v124, v155
	v_fmac_f32_e32 v27, v203, v142
	s_delay_alu instid0(VALU_DEP_3) | instskip(NEXT) | instid1(VALU_DEP_3)
	v_dual_fma_f32 v23, v202, v142, -v35 :: v_dual_add_f32 v11, v11, v39
	v_dual_add_f32 v9, v9, v25 :: v_dual_mul_f32 v31, v210, v147
	v_dual_mul_f32 v33, v204, v149 :: v_dual_fmac_f32 v29, v209, v144
	s_delay_alu instid0(VALU_DEP_3) | instskip(SKIP_1) | instid1(VALU_DEP_3)
	v_dual_add_f32 v11, v11, v23 :: v_dual_fma_f32 v13, v208, v144, -v13
	s_wait_loadcnt 0x4
	v_dual_add_f32 v9, v9, v27 :: v_dual_mov_b32 v128, v159
	v_fma_f32 v15, v210, v146, -v15
	v_fmac_f32_e32 v31, v211, v146
	v_dual_add_f32 v11, v11, v13 :: v_dual_fmac_f32 v33, v205, v148
	s_delay_alu instid0(VALU_DEP_4) | instskip(SKIP_1) | instid1(VALU_DEP_3)
	v_dual_add_f32 v9, v9, v29 :: v_dual_mul_f32 v227, v206, v151
	v_mul_f32_e32 v229, v168, v153
	v_dual_fma_f32 v13, v204, v148, -v17 :: v_dual_add_f32 v11, v11, v15
	s_delay_alu instid0(VALU_DEP_3) | instskip(NEXT) | instid1(VALU_DEP_4)
	v_dual_fma_f32 v226, v206, v150, -v19 :: v_dual_add_f32 v9, v9, v31
	v_fmac_f32_e32 v227, v207, v150
	v_pk_mul_f32 v[124:125], v[218:219], v[124:125] op_sel_hi:[1,0]
	s_delay_alu instid0(VALU_DEP_4) | instskip(NEXT) | instid1(VALU_DEP_4)
	v_dual_add_f32 v132, v11, v13 :: v_dual_fmac_f32 v229, v169, v152
	v_add_f32_e32 v133, v9, v33
	v_pk_mul_f32 v[126:127], v[172:173], v[156:157] op_sel:[1,1] op_sel_hi:[0,1]
	s_wait_loadcnt 0x3
	v_dual_mov_b32 v134, v163 :: v_dual_fma_f32 v228, v168, v152, -v21
	v_pk_fma_f32 v[136:137], v[170:171], v[154:155], v[124:125] op_sel_hi:[1,0,1]
	v_pk_add_f32 v[132:133], v[132:133], v[226:227]
	v_pk_fma_f32 v[124:125], v[170:171], v[154:155], v[124:125] neg_lo:[0,0,1] neg_hi:[0,0,1]
	v_pk_fma_f32 v[138:139], v[172:173], v[156:157], v[126:127] op_sel_hi:[1,0,1]
	v_pk_mul_f32 v[128:129], v[220:221], v[128:129] op_sel_hi:[1,0]
	v_mov_b32_e32 v125, v137
	v_pk_add_f32 v[132:133], v[132:133], v[228:229]
	v_pk_fma_f32 v[126:127], v[172:173], v[156:157], v[126:127] neg_lo:[0,0,1] neg_hi:[0,0,1]
	v_pk_mul_f32 v[130:131], v[176:177], v[160:161] op_sel:[1,1] op_sel_hi:[0,1]
	v_mov_b32_e32 v127, v139
	v_pk_fma_f32 v[138:139], v[174:175], v[158:159], v[128:129] op_sel_hi:[1,0,1]
	v_pk_add_f32 v[124:125], v[132:133], v[124:125]
	v_pk_fma_f32 v[128:129], v[174:175], v[158:159], v[128:129] neg_lo:[0,0,1] neg_hi:[0,0,1]
	v_pk_fma_f32 v[132:133], v[176:177], v[160:161], v[130:131] op_sel_hi:[1,0,1]
	v_pk_mul_f32 v[134:135], v[222:223], v[134:135] op_sel_hi:[1,0]
	v_mov_b32_e32 v129, v139
	v_pk_add_f32 v[124:125], v[124:125], v[126:127]
	v_pk_fma_f32 v[130:131], v[176:177], v[160:161], v[130:131] neg_lo:[0,0,1] neg_hi:[0,0,1]
	s_wait_loadcnt 0x2
	v_pk_mul_f32 v[136:137], v[180:181], v[164:165] op_sel:[1,1] op_sel_hi:[0,1]
	v_dual_mov_b32 v126, v167 :: v_dual_mov_b32 v131, v133
	v_pk_fma_f32 v[132:133], v[178:179], v[162:163], v[134:135] op_sel_hi:[1,0,1]
	v_pk_add_f32 v[124:125], v[124:125], v[128:129]
	v_pk_fma_f32 v[134:135], v[178:179], v[162:163], v[134:135] neg_lo:[0,0,1] neg_hi:[0,0,1]
	v_pk_fma_f32 v[128:129], v[180:181], v[164:165], v[136:137] op_sel_hi:[1,0,1]
	v_pk_mul_f32 v[126:127], v[224:225], v[126:127] op_sel_hi:[1,0]
	v_mov_b32_e32 v135, v133
	v_pk_add_f32 v[124:125], v[124:125], v[130:131]
	v_pk_fma_f32 v[130:131], v[180:181], v[164:165], v[136:137] neg_lo:[0,0,1] neg_hi:[0,0,1]
	v_mov_b32_e32 v131, v129
	v_pk_fma_f32 v[128:129], v[182:183], v[166:167], v[126:127] op_sel_hi:[1,0,1]
	s_wait_loadcnt_dscnt 0x100
	v_pk_mul_f32 v[132:133], v[216:217], v[212:213] op_sel:[1,1] op_sel_hi:[0,1]
	v_pk_add_f32 v[124:125], v[124:125], v[134:135]
	v_pk_fma_f32 v[126:127], v[182:183], v[166:167], v[126:127] neg_lo:[0,0,1] neg_hi:[0,0,1]
	v_mov_b32_e32 v127, v129
	s_delay_alu instid0(VALU_DEP_4) | instskip(NEXT) | instid1(VALU_DEP_4)
	v_pk_fma_f32 v[128:129], v[216:217], v[212:213], v[132:133] op_sel_hi:[1,0,1]
	v_pk_add_f32 v[124:125], v[124:125], v[130:131]
	v_pk_fma_f32 v[130:131], v[216:217], v[212:213], v[132:133] neg_lo:[0,0,1] neg_hi:[0,0,1]
	s_delay_alu instid0(VALU_DEP_3) | instskip(NEXT) | instid1(VALU_DEP_3)
	v_mov_b32_e32 v131, v129
	v_pk_add_f32 v[124:125], v[124:125], v[126:127]
	s_delay_alu instid0(VALU_DEP_1) | instskip(SKIP_1) | instid1(VALU_DEP_1)
	v_pk_add_f32 v[124:125], v[124:125], v[130:131]
	s_wait_loadcnt 0x0
	v_pk_add_f32 v[124:125], v[214:215], v[124:125] neg_lo:[0,1] neg_hi:[0,1]
	scratch_store_b64 off, v[124:125], off offset:296
	s_wait_xcnt 0x0
	v_cmpx_lt_u32_e32 36, v0
	s_cbranch_execz .LBB124_307
; %bb.306:
	scratch_load_b64 v[124:125], off, off offset:288
	v_mov_b64_e32 v[126:127], 0
	scratch_store_b64 off, v[126:127], off offset:288
	s_wait_loadcnt 0x0
	ds_store_b64 v1, v[124:125]
.LBB124_307:
	s_wait_xcnt 0x0
	s_or_b32 exec_lo, exec_lo, s0
	s_wait_storecnt_dscnt 0x0
	s_barrier_signal -1
	s_barrier_wait -1
	s_clause 0xc
	scratch_load_b128 v[124:127], off, off offset:296
	scratch_load_b128 v[128:131], off, off offset:312
	;; [unrolled: 1-line block ×12, first 2 shown]
	scratch_load_b64 v[220:221], off, off offset:288
	ds_load_2addr_b64 v[172:175], v7 offset0:115 offset1:116
	ds_load_2addr_b64 v[176:179], v7 offset0:117 offset1:118
	;; [unrolled: 1-line block ×12, first 2 shown]
	s_mov_b32 s0, exec_lo
	s_wait_dscnt 0xb
	v_dual_mov_b32 v222, v175 :: v_dual_mov_b32 v223, v174
	s_wait_dscnt 0xa
	v_dual_mov_b32 v224, v179 :: v_dual_mov_b32 v225, v178
	;; [unrolled: 2-line block ×4, first 2 shown]
	s_wait_loadcnt_dscnt 0xc07
	v_dual_mul_f32 v7, v188, v125 :: v_dual_mul_f32 v9, v190, v127
	v_dual_mul_f32 v35, v189, v125 :: v_dual_mul_f32 v37, v191, v127
	s_wait_loadcnt_dscnt 0xb06
	v_dual_mul_f32 v11, v192, v129 :: v_dual_mul_f32 v13, v194, v131
	s_delay_alu instid0(VALU_DEP_3) | instskip(SKIP_3) | instid1(VALU_DEP_3)
	v_dual_fmac_f32 v7, v189, v124 :: v_dual_fmac_f32 v9, v191, v126
	s_wait_loadcnt_dscnt 0x904
	v_dual_fma_f32 v35, v188, v124, -v35 :: v_dual_mul_f32 v47, v201, v137
	v_dual_mul_f32 v39, v193, v129 :: v_dual_mul_f32 v41, v195, v131
	v_dual_fma_f32 v37, v190, v126, -v37 :: v_dual_add_f32 v7, 0, v7
	s_delay_alu instid0(VALU_DEP_3) | instskip(SKIP_1) | instid1(VALU_DEP_4)
	v_dual_add_f32 v35, 0, v35 :: v_dual_fmac_f32 v11, v193, v128
	v_dual_mul_f32 v15, v196, v133 :: v_dual_mul_f32 v17, v198, v135
	v_dual_mul_f32 v49, v203, v139 :: v_dual_fma_f32 v39, v192, v128, -v39
	s_delay_alu instid0(VALU_DEP_4) | instskip(NEXT) | instid1(VALU_DEP_3)
	v_add_f32_e32 v7, v7, v9
	v_dual_add_f32 v9, v35, v37 :: v_dual_fmac_f32 v15, v197, v132
	v_dual_mul_f32 v43, v197, v133 :: v_dual_mul_f32 v45, v199, v135
	s_wait_loadcnt_dscnt 0x803
	v_dual_mul_f32 v35, v205, v141 :: v_dual_fmac_f32 v13, v195, v130
	v_dual_fma_f32 v37, v194, v130, -v41 :: v_dual_add_f32 v7, v7, v11
	s_delay_alu instid0(VALU_DEP_3) | instskip(SKIP_1) | instid1(VALU_DEP_3)
	v_dual_add_f32 v9, v9, v39 :: v_dual_fma_f32 v39, v196, v132, -v43
	v_dual_mul_f32 v19, v200, v137 :: v_dual_mul_f32 v21, v202, v139
	v_add_f32_e32 v7, v7, v13
	s_delay_alu instid0(VALU_DEP_3) | instskip(SKIP_2) | instid1(VALU_DEP_3)
	v_dual_mul_f32 v11, v207, v143 :: v_dual_add_f32 v9, v9, v37
	s_wait_loadcnt_dscnt 0x702
	v_dual_mul_f32 v13, v209, v145 :: v_dual_fmac_f32 v17, v199, v134
	v_dual_fma_f32 v37, v198, v134, -v45 :: v_dual_add_f32 v7, v7, v15
	s_delay_alu instid0(VALU_DEP_3) | instskip(SKIP_1) | instid1(VALU_DEP_3)
	v_dual_add_f32 v9, v9, v39 :: v_dual_fma_f32 v39, v200, v136, -v47
	v_dual_mul_f32 v15, v211, v147 :: v_dual_fmac_f32 v19, v201, v136
	v_add_f32_e32 v7, v7, v17
	s_delay_alu instid0(VALU_DEP_3)
	v_dual_add_f32 v9, v9, v37 :: v_dual_fmac_f32 v21, v203, v138
	v_dual_mul_f32 v23, v204, v141 :: v_dual_mul_f32 v25, v206, v143
	s_wait_loadcnt_dscnt 0x601
	v_dual_fma_f32 v37, v202, v138, -v49 :: v_dual_mul_f32 v17, v213, v149
	v_add_f32_e32 v7, v7, v19
	v_dual_add_f32 v9, v9, v39 :: v_dual_fma_f32 v35, v204, v140, -v35
	v_dual_mul_f32 v19, v215, v151 :: v_dual_fmac_f32 v23, v205, v140
	s_delay_alu instid0(VALU_DEP_3) | instskip(NEXT) | instid1(VALU_DEP_3)
	v_dual_add_f32 v7, v7, v21 :: v_dual_fma_f32 v11, v206, v142, -v11
	v_dual_add_f32 v9, v9, v37 :: v_dual_fmac_f32 v25, v207, v142
	v_dual_mul_f32 v27, v208, v145 :: v_dual_mul_f32 v29, v210, v147
	s_wait_loadcnt_dscnt 0x500
	s_delay_alu instid0(VALU_DEP_3) | instskip(NEXT) | instid1(VALU_DEP_3)
	v_dual_mul_f32 v21, v217, v153 :: v_dual_add_f32 v7, v7, v23
	v_dual_add_f32 v9, v9, v35 :: v_dual_fma_f32 v13, v208, v144, -v13
	s_delay_alu instid0(VALU_DEP_3) | instskip(NEXT) | instid1(VALU_DEP_2)
	v_dual_mul_f32 v23, v219, v155 :: v_dual_fmac_f32 v27, v209, v144
	v_dual_add_f32 v7, v7, v25 :: v_dual_add_f32 v9, v9, v11
	v_dual_mul_f32 v31, v212, v149 :: v_dual_mul_f32 v33, v214, v151
	v_dual_fmac_f32 v29, v211, v146 :: v_dual_fma_f32 v11, v210, v146, -v15
	s_delay_alu instid0(VALU_DEP_3) | instskip(SKIP_1) | instid1(VALU_DEP_3)
	v_dual_add_f32 v7, v7, v27 :: v_dual_add_f32 v9, v9, v13
	s_wait_loadcnt 0x4
	v_dual_mov_b32 v126, v159 :: v_dual_fmac_f32 v31, v213, v148
	s_delay_alu instid0(VALU_DEP_2) | instskip(NEXT) | instid1(VALU_DEP_3)
	v_dual_fma_f32 v13, v212, v148, -v17 :: v_dual_add_f32 v7, v7, v29
	v_dual_add_f32 v9, v9, v11 :: v_dual_fmac_f32 v33, v215, v150
	v_dual_mul_f32 v231, v216, v153 :: v_dual_mul_f32 v233, v218, v155
	s_delay_alu instid0(VALU_DEP_3) | instskip(SKIP_1) | instid1(VALU_DEP_3)
	v_dual_fma_f32 v11, v214, v150, -v19 :: v_dual_add_f32 v7, v7, v31
	s_wait_loadcnt 0x3
	v_dual_add_f32 v9, v9, v13 :: v_dual_mov_b32 v130, v163
	v_pk_mul_f32 v[124:125], v[172:173], v[156:157] op_sel:[1,1] op_sel_hi:[0,1]
	v_dual_fmac_f32 v231, v217, v152 :: v_dual_fma_f32 v230, v216, v152, -v21
	s_delay_alu instid0(VALU_DEP_3) | instskip(SKIP_1) | instid1(VALU_DEP_4)
	v_dual_add_f32 v133, v7, v33 :: v_dual_add_f32 v132, v9, v11
	v_dual_fmac_f32 v233, v219, v154 :: v_dual_fma_f32 v232, v218, v154, -v23
	v_pk_fma_f32 v[134:135], v[172:173], v[156:157], v[124:125] op_sel_hi:[1,0,1]
	v_pk_mul_f32 v[126:127], v[222:223], v[126:127] op_sel_hi:[1,0]
	s_delay_alu instid0(VALU_DEP_4)
	v_pk_add_f32 v[132:133], v[132:133], v[230:231]
	v_pk_fma_f32 v[124:125], v[172:173], v[156:157], v[124:125] neg_lo:[0,0,1] neg_hi:[0,0,1]
	v_pk_mul_f32 v[128:129], v[176:177], v[160:161] op_sel:[1,1] op_sel_hi:[0,1]
	v_mov_b32_e32 v125, v135
	v_pk_fma_f32 v[134:135], v[174:175], v[158:159], v[126:127] op_sel_hi:[1,0,1]
	v_pk_add_f32 v[132:133], v[132:133], v[232:233]
	v_pk_fma_f32 v[126:127], v[174:175], v[158:159], v[126:127] neg_lo:[0,0,1] neg_hi:[0,0,1]
	v_pk_fma_f32 v[138:139], v[176:177], v[160:161], v[128:129] op_sel_hi:[1,0,1]
	v_pk_mul_f32 v[130:131], v[224:225], v[130:131] op_sel_hi:[1,0]
	v_mov_b32_e32 v127, v135
	v_pk_add_f32 v[124:125], v[132:133], v[124:125]
	s_wait_loadcnt 0x2
	v_pk_mul_f32 v[136:137], v[180:181], v[164:165] op_sel:[1,1] op_sel_hi:[0,1]
	v_mov_b32_e32 v132, v167
	v_pk_fma_f32 v[128:129], v[176:177], v[160:161], v[128:129] neg_lo:[0,0,1] neg_hi:[0,0,1]
	v_mov_b32_e32 v129, v139
	v_pk_fma_f32 v[134:135], v[178:179], v[162:163], v[130:131] op_sel_hi:[1,0,1]
	v_pk_add_f32 v[124:125], v[124:125], v[126:127]
	v_pk_fma_f32 v[126:127], v[180:181], v[164:165], v[136:137] op_sel_hi:[1,0,1]
	v_pk_mul_f32 v[132:133], v[226:227], v[132:133] op_sel_hi:[1,0]
	v_pk_fma_f32 v[130:131], v[178:179], v[162:163], v[130:131] neg_lo:[0,0,1] neg_hi:[0,0,1]
	v_mov_b32_e32 v131, v135
	v_pk_add_f32 v[124:125], v[124:125], v[128:129]
	v_pk_fma_f32 v[134:135], v[180:181], v[164:165], v[136:137] neg_lo:[0,0,1] neg_hi:[0,0,1]
	v_mov_b32_e32 v135, v127
	v_pk_fma_f32 v[126:127], v[182:183], v[166:167], v[132:133] op_sel_hi:[1,0,1]
	s_wait_loadcnt 0x1
	v_pk_mul_f32 v[128:129], v[184:185], v[168:169] op_sel:[1,1] op_sel_hi:[0,1]
	v_pk_add_f32 v[124:125], v[124:125], v[130:131]
	v_mov_b32_e32 v126, v171
	v_pk_fma_f32 v[132:133], v[182:183], v[166:167], v[132:133] neg_lo:[0,0,1] neg_hi:[0,0,1]
	v_mov_b32_e32 v133, v127
	v_pk_fma_f32 v[130:131], v[184:185], v[168:169], v[128:129] op_sel_hi:[1,0,1]
	v_pk_add_f32 v[124:125], v[124:125], v[134:135]
	v_pk_mul_f32 v[126:127], v[228:229], v[126:127] op_sel_hi:[1,0]
	v_pk_fma_f32 v[128:129], v[184:185], v[168:169], v[128:129] neg_lo:[0,0,1] neg_hi:[0,0,1]
	s_delay_alu instid0(VALU_DEP_4) | instskip(NEXT) | instid1(VALU_DEP_4)
	v_mov_b32_e32 v129, v131
	v_pk_add_f32 v[124:125], v[124:125], v[132:133]
	s_delay_alu instid0(VALU_DEP_4) | instskip(SKIP_1) | instid1(VALU_DEP_2)
	v_pk_fma_f32 v[130:131], v[186:187], v[170:171], v[126:127] op_sel_hi:[1,0,1]
	v_pk_fma_f32 v[126:127], v[186:187], v[170:171], v[126:127] neg_lo:[0,0,1] neg_hi:[0,0,1]
	v_mov_b32_e32 v127, v131
	s_delay_alu instid0(VALU_DEP_4) | instskip(NEXT) | instid1(VALU_DEP_1)
	v_pk_add_f32 v[124:125], v[124:125], v[128:129]
	v_pk_add_f32 v[124:125], v[124:125], v[126:127]
	s_wait_loadcnt 0x0
	s_delay_alu instid0(VALU_DEP_1)
	v_pk_add_f32 v[124:125], v[220:221], v[124:125] neg_lo:[0,1] neg_hi:[0,1]
	scratch_store_b64 off, v[124:125], off offset:288
	s_wait_xcnt 0x0
	v_cmpx_lt_u32_e32 35, v0
	s_cbranch_execz .LBB124_309
; %bb.308:
	scratch_load_b64 v[124:125], off, off offset:280
	v_mov_b64_e32 v[126:127], 0
	scratch_store_b64 off, v[126:127], off offset:280
	s_wait_loadcnt 0x0
	ds_store_b64 v1, v[124:125]
.LBB124_309:
	s_wait_xcnt 0x0
	s_or_b32 exec_lo, exec_lo, s0
	s_wait_storecnt_dscnt 0x0
	s_barrier_signal -1
	s_barrier_wait -1
	s_clause 0xd
	scratch_load_b128 v[124:127], off, off offset:288
	scratch_load_b128 v[128:131], off, off offset:304
	scratch_load_b128 v[132:135], off, off offset:320
	scratch_load_b128 v[136:139], off, off offset:336
	scratch_load_b128 v[140:143], off, off offset:352
	scratch_load_b128 v[144:147], off, off offset:368
	scratch_load_b128 v[148:151], off, off offset:384
	scratch_load_b128 v[152:155], off, off offset:400
	scratch_load_b128 v[156:159], off, off offset:416
	scratch_load_b128 v[160:163], off, off offset:432
	scratch_load_b128 v[164:167], off, off offset:448
	scratch_load_b128 v[168:171], off, off offset:464
	scratch_load_b64 v[220:221], off, off offset:480
	scratch_load_b64 v[222:223], off, off offset:280
	v_mov_b32_e32 v7, 0
	ds_load_b128 v[172:175], v7 offset:912
	ds_load_b128 v[176:179], v7 offset:928
	;; [unrolled: 1-line block ×12, first 2 shown]
	ds_load_b64 v[224:225], v7 offset:976
	s_mov_b32 s0, exec_lo
	s_wait_dscnt 0xc
	v_dual_mov_b32 v226, v175 :: v_dual_mov_b32 v227, v174
	s_wait_dscnt 0x9
	v_dual_mov_b32 v228, v179 :: v_dual_mov_b32 v233, v186
	v_dual_mov_b32 v229, v178 :: v_dual_mov_b32 v230, v183
	;; [unrolled: 1-line block ×3, first 2 shown]
	s_wait_loadcnt_dscnt 0xd08
	v_dual_mul_f32 v9, v188, v125 :: v_dual_mul_f32 v39, v189, v125
	v_dual_mul_f32 v41, v191, v127 :: v_dual_mul_f32 v11, v190, v127
	s_wait_loadcnt_dscnt 0xc07
	v_mul_f32_e32 v13, v192, v129
	s_wait_loadcnt_dscnt 0xa05
	v_dual_mul_f32 v51, v201, v137 :: v_dual_fma_f32 v39, v188, v124, -v39
	v_dual_fmac_f32 v9, v189, v124 :: v_dual_mul_f32 v53, v203, v139
	v_dual_mul_f32 v43, v193, v129 :: v_dual_mul_f32 v45, v195, v131
	v_dual_fmac_f32 v11, v191, v126 :: v_dual_fma_f32 v41, v190, v126, -v41
	s_delay_alu instid0(VALU_DEP_3) | instskip(SKIP_4) | instid1(VALU_DEP_3)
	v_dual_add_f32 v9, 0, v9 :: v_dual_add_f32 v39, 0, v39
	v_dual_mul_f32 v15, v194, v131 :: v_dual_mul_f32 v17, v196, v133
	s_wait_loadcnt_dscnt 0x904
	v_dual_mul_f32 v55, v205, v141 :: v_dual_fma_f32 v43, v192, v128, -v43
	v_fmac_f32_e32 v13, v193, v128
	v_dual_add_f32 v9, v9, v11 :: v_dual_fmac_f32 v15, v195, v130
	v_add_f32_e32 v11, v39, v41
	v_dual_mul_f32 v47, v197, v133 :: v_dual_mul_f32 v49, v199, v135
	v_dual_mul_f32 v39, v207, v143 :: v_dual_fma_f32 v41, v194, v130, -v45
	s_delay_alu instid0(VALU_DEP_3) | instskip(SKIP_3) | instid1(VALU_DEP_3)
	v_dual_add_f32 v9, v9, v13 :: v_dual_add_f32 v11, v11, v43
	v_dual_mul_f32 v19, v198, v135 :: v_dual_mul_f32 v21, v200, v137
	s_wait_loadcnt_dscnt 0x803
	v_dual_mul_f32 v13, v209, v145 :: v_dual_fma_f32 v43, v196, v132, -v47
	v_dual_fmac_f32 v17, v197, v132 :: v_dual_add_f32 v11, v11, v41
	s_delay_alu instid0(VALU_DEP_3) | instskip(SKIP_1) | instid1(VALU_DEP_2)
	v_dual_add_f32 v9, v9, v15 :: v_dual_fmac_f32 v19, v199, v134
	v_dual_mul_f32 v15, v211, v147 :: v_dual_fma_f32 v41, v198, v134, -v49
	v_dual_add_f32 v11, v11, v43 :: v_dual_add_f32 v9, v9, v17
	v_dual_mul_f32 v23, v202, v139 :: v_dual_mul_f32 v25, v204, v141
	s_wait_loadcnt_dscnt 0x702
	v_dual_mul_f32 v17, v213, v149 :: v_dual_fma_f32 v43, v200, v136, -v51
	s_delay_alu instid0(VALU_DEP_3) | instskip(NEXT) | instid1(VALU_DEP_3)
	v_dual_fmac_f32 v21, v201, v136 :: v_dual_add_f32 v11, v11, v41
	v_dual_add_f32 v9, v9, v19 :: v_dual_fmac_f32 v23, v203, v138
	v_dual_mul_f32 v19, v215, v151 :: v_dual_fma_f32 v41, v202, v138, -v53
	s_delay_alu instid0(VALU_DEP_2) | instskip(SKIP_3) | instid1(VALU_DEP_3)
	v_dual_add_f32 v11, v11, v43 :: v_dual_add_f32 v9, v9, v21
	v_dual_mul_f32 v27, v206, v143 :: v_dual_mul_f32 v29, v208, v145
	s_wait_loadcnt_dscnt 0x601
	v_dual_mul_f32 v21, v217, v153 :: v_dual_fma_f32 v43, v204, v140, -v55
	v_dual_fmac_f32 v25, v205, v140 :: v_dual_add_f32 v11, v11, v41
	s_delay_alu instid0(VALU_DEP_3) | instskip(SKIP_1) | instid1(VALU_DEP_2)
	v_dual_add_f32 v9, v9, v23 :: v_dual_fmac_f32 v27, v207, v142
	v_dual_mul_f32 v23, v219, v155 :: v_dual_fma_f32 v39, v206, v142, -v39
	v_dual_add_f32 v11, v11, v43 :: v_dual_add_f32 v9, v9, v25
	v_dual_mul_f32 v31, v210, v147 :: v_dual_mul_f32 v33, v212, v149
	s_wait_loadcnt 0x5
	v_dual_mul_f32 v25, v173, v157 :: v_dual_fma_f32 v13, v208, v144, -v13
	s_delay_alu instid0(VALU_DEP_3) | instskip(SKIP_2) | instid1(VALU_DEP_3)
	v_dual_fmac_f32 v29, v209, v144 :: v_dual_add_f32 v11, v11, v39
	v_dual_add_f32 v9, v9, v27 :: v_dual_mov_b32 v124, v159
	v_fmac_f32_e32 v31, v211, v146
	v_dual_fma_f32 v15, v210, v146, -v15 :: v_dual_add_f32 v11, v11, v13
	s_delay_alu instid0(VALU_DEP_3) | instskip(SKIP_1) | instid1(VALU_DEP_3)
	v_dual_add_f32 v9, v9, v29 :: v_dual_mul_f32 v35, v214, v151
	v_dual_mul_f32 v37, v216, v153 :: v_dual_fmac_f32 v33, v213, v148
	v_dual_add_f32 v11, v11, v15 :: v_dual_fma_f32 v13, v212, v148, -v17
	s_wait_loadcnt 0x4
	s_delay_alu instid0(VALU_DEP_3) | instskip(SKIP_3) | instid1(VALU_DEP_4)
	v_dual_add_f32 v9, v9, v31 :: v_dual_mov_b32 v128, v163
	v_fma_f32 v15, v214, v150, -v19
	v_fmac_f32_e32 v35, v215, v150
	v_dual_add_f32 v11, v11, v13 :: v_dual_fmac_f32 v37, v217, v152
	v_dual_add_f32 v9, v9, v33 :: v_dual_mul_f32 v235, v218, v155
	v_mul_f32_e32 v237, v172, v157
	s_delay_alu instid0(VALU_DEP_3) | instskip(NEXT) | instid1(VALU_DEP_3)
	v_dual_fma_f32 v13, v216, v152, -v21 :: v_dual_add_f32 v11, v11, v15
	v_dual_fma_f32 v234, v218, v154, -v23 :: v_dual_add_f32 v9, v9, v35
	s_delay_alu instid0(VALU_DEP_4) | instskip(SKIP_1) | instid1(VALU_DEP_4)
	v_fmac_f32_e32 v235, v219, v154
	v_pk_mul_f32 v[124:125], v[226:227], v[124:125] op_sel_hi:[1,0]
	v_dual_add_f32 v132, v11, v13 :: v_dual_fmac_f32 v237, v173, v156
	s_delay_alu instid0(VALU_DEP_4)
	v_add_f32_e32 v133, v9, v37
	v_pk_mul_f32 v[126:127], v[176:177], v[160:161] op_sel:[1,1] op_sel_hi:[0,1]
	s_wait_loadcnt 0x3
	v_dual_mov_b32 v134, v167 :: v_dual_fma_f32 v236, v172, v156, -v25
	v_pk_fma_f32 v[136:137], v[174:175], v[158:159], v[124:125] op_sel_hi:[1,0,1]
	v_pk_add_f32 v[132:133], v[132:133], v[234:235]
	v_pk_fma_f32 v[124:125], v[174:175], v[158:159], v[124:125] neg_lo:[0,0,1] neg_hi:[0,0,1]
	v_pk_fma_f32 v[138:139], v[176:177], v[160:161], v[126:127] op_sel_hi:[1,0,1]
	v_pk_mul_f32 v[128:129], v[228:229], v[128:129] op_sel_hi:[1,0]
	v_mov_b32_e32 v125, v137
	v_pk_add_f32 v[132:133], v[132:133], v[236:237]
	v_pk_fma_f32 v[126:127], v[176:177], v[160:161], v[126:127] neg_lo:[0,0,1] neg_hi:[0,0,1]
	v_pk_mul_f32 v[130:131], v[180:181], v[164:165] op_sel:[1,1] op_sel_hi:[0,1]
	v_mov_b32_e32 v127, v139
	v_pk_fma_f32 v[138:139], v[178:179], v[162:163], v[128:129] op_sel_hi:[1,0,1]
	v_pk_add_f32 v[124:125], v[132:133], v[124:125]
	v_pk_fma_f32 v[128:129], v[178:179], v[162:163], v[128:129] neg_lo:[0,0,1] neg_hi:[0,0,1]
	v_pk_fma_f32 v[132:133], v[180:181], v[164:165], v[130:131] op_sel_hi:[1,0,1]
	v_pk_mul_f32 v[134:135], v[230:231], v[134:135] op_sel_hi:[1,0]
	v_mov_b32_e32 v129, v139
	v_pk_add_f32 v[124:125], v[124:125], v[126:127]
	v_pk_fma_f32 v[130:131], v[180:181], v[164:165], v[130:131] neg_lo:[0,0,1] neg_hi:[0,0,1]
	s_wait_loadcnt 0x2
	v_pk_mul_f32 v[136:137], v[184:185], v[168:169] op_sel:[1,1] op_sel_hi:[0,1]
	v_dual_mov_b32 v126, v171 :: v_dual_mov_b32 v131, v133
	v_pk_fma_f32 v[132:133], v[182:183], v[166:167], v[134:135] op_sel_hi:[1,0,1]
	v_pk_add_f32 v[124:125], v[124:125], v[128:129]
	v_pk_fma_f32 v[134:135], v[182:183], v[166:167], v[134:135] neg_lo:[0,0,1] neg_hi:[0,0,1]
	v_pk_fma_f32 v[128:129], v[184:185], v[168:169], v[136:137] op_sel_hi:[1,0,1]
	v_pk_mul_f32 v[126:127], v[232:233], v[126:127] op_sel_hi:[1,0]
	v_mov_b32_e32 v135, v133
	v_pk_add_f32 v[124:125], v[124:125], v[130:131]
	v_pk_fma_f32 v[130:131], v[184:185], v[168:169], v[136:137] neg_lo:[0,0,1] neg_hi:[0,0,1]
	v_mov_b32_e32 v131, v129
	v_pk_fma_f32 v[128:129], v[186:187], v[170:171], v[126:127] op_sel_hi:[1,0,1]
	s_wait_loadcnt_dscnt 0x100
	v_pk_mul_f32 v[132:133], v[224:225], v[220:221] op_sel:[1,1] op_sel_hi:[0,1]
	v_pk_add_f32 v[124:125], v[124:125], v[134:135]
	v_pk_fma_f32 v[126:127], v[186:187], v[170:171], v[126:127] neg_lo:[0,0,1] neg_hi:[0,0,1]
	v_mov_b32_e32 v127, v129
	s_delay_alu instid0(VALU_DEP_4) | instskip(NEXT) | instid1(VALU_DEP_4)
	v_pk_fma_f32 v[128:129], v[224:225], v[220:221], v[132:133] op_sel_hi:[1,0,1]
	v_pk_add_f32 v[124:125], v[124:125], v[130:131]
	v_pk_fma_f32 v[130:131], v[224:225], v[220:221], v[132:133] neg_lo:[0,0,1] neg_hi:[0,0,1]
	s_delay_alu instid0(VALU_DEP_3) | instskip(NEXT) | instid1(VALU_DEP_3)
	v_mov_b32_e32 v131, v129
	v_pk_add_f32 v[124:125], v[124:125], v[126:127]
	s_delay_alu instid0(VALU_DEP_1) | instskip(SKIP_1) | instid1(VALU_DEP_1)
	v_pk_add_f32 v[124:125], v[124:125], v[130:131]
	s_wait_loadcnt 0x0
	v_pk_add_f32 v[124:125], v[222:223], v[124:125] neg_lo:[0,1] neg_hi:[0,1]
	scratch_store_b64 off, v[124:125], off offset:280
	s_wait_xcnt 0x0
	v_cmpx_lt_u32_e32 34, v0
	s_cbranch_execz .LBB124_311
; %bb.310:
	scratch_load_b64 v[124:125], off, off offset:272
	v_mov_b64_e32 v[126:127], 0
	scratch_store_b64 off, v[126:127], off offset:272
	s_wait_loadcnt 0x0
	ds_store_b64 v1, v[124:125]
.LBB124_311:
	s_wait_xcnt 0x0
	s_or_b32 exec_lo, exec_lo, s0
	s_wait_storecnt_dscnt 0x0
	s_barrier_signal -1
	s_barrier_wait -1
	s_clause 0xd
	scratch_load_b128 v[124:127], off, off offset:280
	scratch_load_b128 v[128:131], off, off offset:296
	;; [unrolled: 1-line block ×13, first 2 shown]
	scratch_load_b64 v[228:229], off, off offset:272
	ds_load_2addr_b64 v[176:179], v7 offset0:115 offset1:116
	ds_load_2addr_b64 v[180:183], v7 offset0:117 offset1:118
	;; [unrolled: 1-line block ×13, first 2 shown]
	s_mov_b32 s0, exec_lo
	s_wait_dscnt 0xc
	v_dual_mov_b32 v230, v179 :: v_dual_mov_b32 v231, v178
	s_wait_dscnt 0xb
	v_dual_mov_b32 v232, v183 :: v_dual_mov_b32 v233, v182
	;; [unrolled: 2-line block ×4, first 2 shown]
	s_wait_loadcnt_dscnt 0xd08
	v_dual_mul_f32 v7, v192, v125 :: v_dual_mul_f32 v9, v194, v127
	v_dual_mul_f32 v39, v193, v125 :: v_dual_mul_f32 v41, v195, v127
	s_wait_loadcnt_dscnt 0xc07
	v_dual_mul_f32 v11, v196, v129 :: v_dual_mul_f32 v13, v198, v131
	s_delay_alu instid0(VALU_DEP_3) | instskip(SKIP_3) | instid1(VALU_DEP_3)
	v_dual_fmac_f32 v7, v193, v124 :: v_dual_fmac_f32 v9, v195, v126
	s_wait_loadcnt_dscnt 0xa05
	v_dual_fma_f32 v39, v192, v124, -v39 :: v_dual_mul_f32 v51, v205, v137
	v_dual_mul_f32 v43, v197, v129 :: v_dual_mul_f32 v45, v199, v131
	v_dual_fma_f32 v41, v194, v126, -v41 :: v_dual_add_f32 v7, 0, v7
	s_delay_alu instid0(VALU_DEP_3) | instskip(SKIP_1) | instid1(VALU_DEP_4)
	v_dual_add_f32 v39, 0, v39 :: v_dual_fmac_f32 v11, v197, v128
	v_dual_mul_f32 v15, v200, v133 :: v_dual_mul_f32 v17, v202, v135
	v_dual_mul_f32 v53, v207, v139 :: v_dual_fma_f32 v43, v196, v128, -v43
	s_delay_alu instid0(VALU_DEP_4) | instskip(NEXT) | instid1(VALU_DEP_3)
	v_add_f32_e32 v7, v7, v9
	v_dual_add_f32 v9, v39, v41 :: v_dual_fmac_f32 v15, v201, v132
	v_dual_mul_f32 v47, v201, v133 :: v_dual_mul_f32 v49, v203, v135
	s_wait_loadcnt_dscnt 0x903
	v_dual_mul_f32 v39, v213, v141 :: v_dual_fmac_f32 v13, v199, v130
	v_dual_fma_f32 v41, v198, v130, -v45 :: v_dual_add_f32 v7, v7, v11
	s_delay_alu instid0(VALU_DEP_3) | instskip(SKIP_1) | instid1(VALU_DEP_3)
	v_dual_add_f32 v9, v9, v43 :: v_dual_fma_f32 v43, v200, v132, -v47
	v_dual_mul_f32 v19, v204, v137 :: v_dual_mul_f32 v21, v206, v139
	v_add_f32_e32 v7, v7, v13
	s_delay_alu instid0(VALU_DEP_3) | instskip(SKIP_2) | instid1(VALU_DEP_3)
	v_dual_mul_f32 v11, v215, v143 :: v_dual_add_f32 v9, v9, v41
	s_wait_loadcnt_dscnt 0x802
	v_dual_mul_f32 v13, v217, v145 :: v_dual_fmac_f32 v17, v203, v134
	v_dual_fma_f32 v41, v202, v134, -v49 :: v_dual_add_f32 v7, v7, v15
	s_delay_alu instid0(VALU_DEP_3) | instskip(SKIP_1) | instid1(VALU_DEP_3)
	v_dual_add_f32 v9, v9, v43 :: v_dual_fma_f32 v43, v204, v136, -v51
	v_dual_mul_f32 v15, v219, v147 :: v_dual_fmac_f32 v19, v205, v136
	v_add_f32_e32 v7, v7, v17
	s_delay_alu instid0(VALU_DEP_3)
	v_dual_add_f32 v9, v9, v41 :: v_dual_fmac_f32 v21, v207, v138
	v_dual_mul_f32 v23, v212, v141 :: v_dual_mul_f32 v25, v214, v143
	s_wait_loadcnt_dscnt 0x701
	v_dual_fma_f32 v41, v206, v138, -v53 :: v_dual_mul_f32 v17, v221, v149
	v_add_f32_e32 v7, v7, v19
	v_dual_add_f32 v9, v9, v43 :: v_dual_fma_f32 v39, v212, v140, -v39
	v_dual_mul_f32 v19, v223, v151 :: v_dual_fmac_f32 v23, v213, v140
	s_delay_alu instid0(VALU_DEP_3) | instskip(NEXT) | instid1(VALU_DEP_3)
	v_dual_add_f32 v7, v7, v21 :: v_dual_fma_f32 v11, v214, v142, -v11
	v_dual_add_f32 v9, v9, v41 :: v_dual_fmac_f32 v25, v215, v142
	v_dual_mul_f32 v27, v216, v145 :: v_dual_mul_f32 v29, v218, v147
	s_wait_loadcnt_dscnt 0x600
	s_delay_alu instid0(VALU_DEP_3) | instskip(NEXT) | instid1(VALU_DEP_3)
	v_dual_mul_f32 v21, v225, v153 :: v_dual_add_f32 v7, v7, v23
	v_dual_add_f32 v9, v9, v39 :: v_dual_fma_f32 v13, v216, v144, -v13
	s_delay_alu instid0(VALU_DEP_3) | instskip(NEXT) | instid1(VALU_DEP_2)
	v_dual_mul_f32 v23, v227, v155 :: v_dual_fmac_f32 v27, v217, v144
	v_dual_add_f32 v7, v7, v25 :: v_dual_add_f32 v9, v9, v11
	v_dual_mul_f32 v31, v220, v149 :: v_dual_mul_f32 v33, v222, v151
	s_wait_loadcnt 0x5
	v_dual_mul_f32 v11, v209, v157 :: v_dual_fmac_f32 v29, v219, v146
	s_delay_alu instid0(VALU_DEP_3) | instskip(SKIP_2) | instid1(VALU_DEP_2)
	v_dual_fma_f32 v15, v218, v146, -v15 :: v_dual_add_f32 v7, v7, v27
	v_dual_add_f32 v9, v9, v13 :: v_dual_mul_f32 v13, v211, v159
	v_dual_fmac_f32 v31, v221, v148 :: v_dual_fma_f32 v17, v220, v148, -v17
	v_dual_add_f32 v7, v7, v29 :: v_dual_add_f32 v9, v9, v15
	v_dual_mul_f32 v35, v224, v153 :: v_dual_mul_f32 v37, v226, v155
	v_dual_fmac_f32 v33, v223, v150 :: v_dual_fma_f32 v15, v222, v150, -v19
	s_delay_alu instid0(VALU_DEP_3) | instskip(SKIP_1) | instid1(VALU_DEP_3)
	v_dual_add_f32 v7, v7, v31 :: v_dual_add_f32 v9, v9, v17
	s_wait_loadcnt 0x4
	v_dual_mov_b32 v126, v163 :: v_dual_fmac_f32 v35, v225, v152
	s_delay_alu instid0(VALU_DEP_2) | instskip(NEXT) | instid1(VALU_DEP_3)
	v_dual_fma_f32 v17, v224, v152, -v21 :: v_dual_add_f32 v7, v7, v33
	v_dual_add_f32 v9, v9, v15 :: v_dual_fmac_f32 v37, v227, v154
	v_dual_mul_f32 v239, v208, v157 :: v_dual_mul_f32 v241, v210, v159
	s_delay_alu instid0(VALU_DEP_3) | instskip(SKIP_1) | instid1(VALU_DEP_3)
	v_dual_fma_f32 v15, v226, v154, -v23 :: v_dual_add_f32 v7, v7, v35
	s_wait_loadcnt 0x3
	v_dual_add_f32 v9, v9, v17 :: v_dual_mov_b32 v130, v167
	v_pk_mul_f32 v[124:125], v[176:177], v[160:161] op_sel:[1,1] op_sel_hi:[0,1]
	s_delay_alu instid0(VALU_DEP_3) | instskip(NEXT) | instid1(VALU_DEP_3)
	v_dual_fmac_f32 v239, v209, v156 :: v_dual_add_f32 v133, v7, v37
	v_dual_fma_f32 v238, v208, v156, -v11 :: v_dual_add_f32 v132, v9, v15
	v_fmac_f32_e32 v241, v211, v158
	s_delay_alu instid0(VALU_DEP_4)
	v_pk_fma_f32 v[134:135], v[176:177], v[160:161], v[124:125] op_sel_hi:[1,0,1]
	v_fma_f32 v240, v210, v158, -v13
	v_pk_mul_f32 v[126:127], v[230:231], v[126:127] op_sel_hi:[1,0]
	v_pk_add_f32 v[132:133], v[132:133], v[238:239]
	v_pk_fma_f32 v[124:125], v[176:177], v[160:161], v[124:125] neg_lo:[0,0,1] neg_hi:[0,0,1]
	v_pk_mul_f32 v[128:129], v[180:181], v[164:165] op_sel:[1,1] op_sel_hi:[0,1]
	v_mov_b32_e32 v125, v135
	v_pk_fma_f32 v[134:135], v[178:179], v[162:163], v[126:127] op_sel_hi:[1,0,1]
	v_pk_add_f32 v[132:133], v[132:133], v[240:241]
	v_pk_fma_f32 v[126:127], v[178:179], v[162:163], v[126:127] neg_lo:[0,0,1] neg_hi:[0,0,1]
	v_pk_fma_f32 v[138:139], v[180:181], v[164:165], v[128:129] op_sel_hi:[1,0,1]
	v_pk_mul_f32 v[130:131], v[232:233], v[130:131] op_sel_hi:[1,0]
	v_mov_b32_e32 v127, v135
	v_pk_add_f32 v[124:125], v[132:133], v[124:125]
	s_wait_loadcnt 0x2
	v_pk_mul_f32 v[136:137], v[184:185], v[168:169] op_sel:[1,1] op_sel_hi:[0,1]
	v_mov_b32_e32 v132, v171
	v_pk_fma_f32 v[128:129], v[180:181], v[164:165], v[128:129] neg_lo:[0,0,1] neg_hi:[0,0,1]
	v_pk_fma_f32 v[134:135], v[182:183], v[166:167], v[130:131] op_sel_hi:[1,0,1]
	v_mov_b32_e32 v129, v139
	v_pk_add_f32 v[124:125], v[124:125], v[126:127]
	v_pk_fma_f32 v[126:127], v[184:185], v[168:169], v[136:137] op_sel_hi:[1,0,1]
	v_pk_mul_f32 v[132:133], v[234:235], v[132:133] op_sel_hi:[1,0]
	v_pk_fma_f32 v[130:131], v[182:183], v[166:167], v[130:131] neg_lo:[0,0,1] neg_hi:[0,0,1]
	v_mov_b32_e32 v131, v135
	v_pk_add_f32 v[124:125], v[124:125], v[128:129]
	v_pk_fma_f32 v[134:135], v[184:185], v[168:169], v[136:137] neg_lo:[0,0,1] neg_hi:[0,0,1]
	v_mov_b32_e32 v135, v127
	v_pk_fma_f32 v[126:127], v[186:187], v[170:171], v[132:133] op_sel_hi:[1,0,1]
	s_wait_loadcnt 0x1
	v_pk_mul_f32 v[128:129], v[188:189], v[172:173] op_sel:[1,1] op_sel_hi:[0,1]
	v_pk_add_f32 v[124:125], v[124:125], v[130:131]
	v_mov_b32_e32 v126, v175
	v_pk_fma_f32 v[132:133], v[186:187], v[170:171], v[132:133] neg_lo:[0,0,1] neg_hi:[0,0,1]
	s_delay_alu instid0(VALU_DEP_4)
	v_pk_fma_f32 v[130:131], v[188:189], v[172:173], v[128:129] op_sel_hi:[1,0,1]
	v_mov_b32_e32 v133, v127
	v_pk_add_f32 v[124:125], v[124:125], v[134:135]
	v_pk_mul_f32 v[126:127], v[236:237], v[126:127] op_sel_hi:[1,0]
	v_pk_fma_f32 v[128:129], v[188:189], v[172:173], v[128:129] neg_lo:[0,0,1] neg_hi:[0,0,1]
	v_mov_b32_e32 v129, v131
	s_delay_alu instid0(VALU_DEP_4) | instskip(NEXT) | instid1(VALU_DEP_4)
	v_pk_add_f32 v[124:125], v[124:125], v[132:133]
	v_pk_fma_f32 v[130:131], v[190:191], v[174:175], v[126:127] op_sel_hi:[1,0,1]
	v_pk_fma_f32 v[126:127], v[190:191], v[174:175], v[126:127] neg_lo:[0,0,1] neg_hi:[0,0,1]
	s_delay_alu instid0(VALU_DEP_3) | instskip(NEXT) | instid1(VALU_DEP_3)
	v_pk_add_f32 v[124:125], v[124:125], v[128:129]
	v_mov_b32_e32 v127, v131
	s_delay_alu instid0(VALU_DEP_1) | instskip(SKIP_1) | instid1(VALU_DEP_1)
	v_pk_add_f32 v[124:125], v[124:125], v[126:127]
	s_wait_loadcnt 0x0
	v_pk_add_f32 v[124:125], v[228:229], v[124:125] neg_lo:[0,1] neg_hi:[0,1]
	scratch_store_b64 off, v[124:125], off offset:272
	s_wait_xcnt 0x0
	v_cmpx_lt_u32_e32 33, v0
	s_cbranch_execz .LBB124_313
; %bb.312:
	scratch_load_b64 v[124:125], off, off offset:264
	v_mov_b64_e32 v[126:127], 0
	scratch_store_b64 off, v[126:127], off offset:264
	s_wait_loadcnt 0x0
	ds_store_b64 v1, v[124:125]
.LBB124_313:
	s_wait_xcnt 0x0
	s_or_b32 exec_lo, exec_lo, s0
	s_wait_storecnt_dscnt 0x0
	s_barrier_signal -1
	s_barrier_wait -1
	s_clause 0xe
	scratch_load_b128 v[124:127], off, off offset:272
	scratch_load_b128 v[128:131], off, off offset:288
	;; [unrolled: 1-line block ×13, first 2 shown]
	scratch_load_b64 v[228:229], off, off offset:480
	scratch_load_b64 v[230:231], off, off offset:264
	v_mov_b32_e32 v7, 0
	ds_load_b128 v[176:179], v7 offset:912
	ds_load_b128 v[180:183], v7 offset:928
	;; [unrolled: 1-line block ×13, first 2 shown]
	ds_load_b64 v[232:233], v7 offset:976
	s_mov_b32 s0, exec_lo
	s_wait_dscnt 0xd
	v_dual_mov_b32 v234, v179 :: v_dual_mov_b32 v235, v178
	s_wait_dscnt 0xa
	v_dual_mov_b32 v236, v183 :: v_dual_mov_b32 v241, v190
	v_dual_mov_b32 v237, v182 :: v_dual_mov_b32 v238, v187
	;; [unrolled: 1-line block ×3, first 2 shown]
	s_wait_loadcnt_dscnt 0xe09
	v_dual_mul_f32 v9, v192, v125 :: v_dual_mul_f32 v43, v193, v125
	v_dual_mul_f32 v45, v195, v127 :: v_dual_mul_f32 v11, v194, v127
	s_wait_loadcnt_dscnt 0xd08
	v_mul_f32_e32 v13, v196, v129
	s_wait_loadcnt_dscnt 0xb05
	v_dual_mul_f32 v55, v209, v137 :: v_dual_fma_f32 v43, v192, v124, -v43
	v_dual_fmac_f32 v9, v193, v124 :: v_dual_mul_f32 v57, v211, v139
	v_dual_mul_f32 v47, v197, v129 :: v_dual_mul_f32 v49, v199, v131
	v_dual_fmac_f32 v11, v195, v126 :: v_dual_fma_f32 v45, v194, v126, -v45
	s_delay_alu instid0(VALU_DEP_3) | instskip(SKIP_4) | instid1(VALU_DEP_3)
	v_dual_add_f32 v9, 0, v9 :: v_dual_add_f32 v43, 0, v43
	v_dual_mul_f32 v15, v198, v131 :: v_dual_mul_f32 v17, v200, v133
	s_wait_loadcnt_dscnt 0xa04
	v_dual_mul_f32 v59, v213, v141 :: v_dual_fma_f32 v47, v196, v128, -v47
	v_fmac_f32_e32 v13, v197, v128
	v_dual_add_f32 v9, v9, v11 :: v_dual_fmac_f32 v15, v199, v130
	v_add_f32_e32 v11, v43, v45
	v_dual_mul_f32 v51, v201, v133 :: v_dual_mul_f32 v53, v203, v135
	v_dual_mul_f32 v43, v215, v143 :: v_dual_fma_f32 v45, v198, v130, -v49
	s_delay_alu instid0(VALU_DEP_3) | instskip(SKIP_3) | instid1(VALU_DEP_3)
	v_dual_add_f32 v9, v9, v13 :: v_dual_add_f32 v11, v11, v47
	v_dual_mul_f32 v19, v202, v135 :: v_dual_mul_f32 v21, v208, v137
	s_wait_loadcnt_dscnt 0x903
	v_dual_mul_f32 v13, v217, v145 :: v_dual_fma_f32 v47, v200, v132, -v51
	v_dual_fmac_f32 v17, v201, v132 :: v_dual_add_f32 v11, v11, v45
	s_delay_alu instid0(VALU_DEP_3) | instskip(SKIP_1) | instid1(VALU_DEP_2)
	v_dual_add_f32 v9, v9, v15 :: v_dual_fmac_f32 v19, v203, v134
	v_dual_mul_f32 v15, v219, v147 :: v_dual_fma_f32 v45, v202, v134, -v53
	v_dual_add_f32 v11, v11, v47 :: v_dual_add_f32 v9, v9, v17
	v_dual_mul_f32 v23, v210, v139 :: v_dual_mul_f32 v25, v212, v141
	s_wait_loadcnt_dscnt 0x802
	v_dual_mul_f32 v17, v221, v149 :: v_dual_fma_f32 v47, v208, v136, -v55
	s_delay_alu instid0(VALU_DEP_3) | instskip(NEXT) | instid1(VALU_DEP_3)
	v_dual_fmac_f32 v21, v209, v136 :: v_dual_add_f32 v11, v11, v45
	v_dual_add_f32 v9, v9, v19 :: v_dual_fmac_f32 v23, v211, v138
	v_dual_mul_f32 v19, v223, v151 :: v_dual_fma_f32 v45, v210, v138, -v57
	s_delay_alu instid0(VALU_DEP_2) | instskip(SKIP_3) | instid1(VALU_DEP_3)
	v_dual_add_f32 v11, v11, v47 :: v_dual_add_f32 v9, v9, v21
	v_dual_mul_f32 v27, v214, v143 :: v_dual_mul_f32 v29, v216, v145
	s_wait_loadcnt_dscnt 0x701
	v_dual_mul_f32 v21, v225, v153 :: v_dual_fma_f32 v47, v212, v140, -v59
	v_dual_fmac_f32 v25, v213, v140 :: v_dual_add_f32 v11, v11, v45
	s_delay_alu instid0(VALU_DEP_3) | instskip(SKIP_1) | instid1(VALU_DEP_2)
	v_dual_add_f32 v9, v9, v23 :: v_dual_fmac_f32 v27, v215, v142
	v_dual_mul_f32 v23, v227, v155 :: v_dual_fma_f32 v43, v214, v142, -v43
	v_dual_add_f32 v11, v11, v47 :: v_dual_add_f32 v9, v9, v25
	v_dual_mul_f32 v31, v218, v147 :: v_dual_mul_f32 v33, v220, v149
	s_wait_loadcnt 0x6
	v_dual_mul_f32 v25, v205, v157 :: v_dual_fma_f32 v13, v216, v144, -v13
	s_delay_alu instid0(VALU_DEP_3) | instskip(NEXT) | instid1(VALU_DEP_3)
	v_dual_fmac_f32 v29, v217, v144 :: v_dual_add_f32 v11, v11, v43
	v_dual_add_f32 v9, v9, v27 :: v_dual_fmac_f32 v31, v219, v146
	v_dual_mul_f32 v27, v207, v159 :: v_dual_fma_f32 v15, v218, v146, -v15
	s_delay_alu instid0(VALU_DEP_3) | instskip(NEXT) | instid1(VALU_DEP_3)
	v_dual_add_f32 v11, v11, v13 :: v_dual_fmac_f32 v33, v221, v148
	v_dual_add_f32 v9, v9, v29 :: v_dual_fma_f32 v17, v220, v148, -v17
	v_dual_mul_f32 v35, v222, v151 :: v_dual_mul_f32 v37, v224, v153
	s_wait_loadcnt 0x5
	s_delay_alu instid0(VALU_DEP_3) | instskip(NEXT) | instid1(VALU_DEP_3)
	v_dual_mul_f32 v13, v177, v161 :: v_dual_add_f32 v11, v11, v15
	v_dual_add_f32 v9, v9, v31 :: v_dual_mov_b32 v124, v163
	s_delay_alu instid0(VALU_DEP_3) | instskip(NEXT) | instid1(VALU_DEP_3)
	v_fmac_f32_e32 v35, v223, v150
	v_dual_fma_f32 v15, v222, v150, -v19 :: v_dual_add_f32 v11, v11, v17
	s_delay_alu instid0(VALU_DEP_3) | instskip(SKIP_1) | instid1(VALU_DEP_3)
	v_dual_add_f32 v9, v9, v33 :: v_dual_mul_f32 v39, v226, v155
	v_dual_mul_f32 v41, v204, v157 :: v_dual_fmac_f32 v37, v225, v152
	v_dual_add_f32 v11, v11, v15 :: v_dual_fma_f32 v17, v224, v152, -v21
	s_wait_loadcnt 0x4
	s_delay_alu instid0(VALU_DEP_3) | instskip(SKIP_3) | instid1(VALU_DEP_4)
	v_dual_add_f32 v9, v9, v35 :: v_dual_mov_b32 v128, v167
	v_fma_f32 v15, v226, v154, -v23
	v_fmac_f32_e32 v39, v227, v154
	v_dual_add_f32 v11, v11, v17 :: v_dual_fmac_f32 v41, v205, v156
	v_dual_add_f32 v9, v9, v37 :: v_dual_mul_f32 v243, v206, v159
	v_mul_f32_e32 v245, v176, v161
	s_delay_alu instid0(VALU_DEP_3) | instskip(NEXT) | instid1(VALU_DEP_3)
	v_dual_fma_f32 v17, v204, v156, -v25 :: v_dual_add_f32 v11, v11, v15
	v_dual_fma_f32 v242, v206, v158, -v27 :: v_dual_add_f32 v9, v9, v39
	s_delay_alu instid0(VALU_DEP_4) | instskip(SKIP_1) | instid1(VALU_DEP_4)
	v_fmac_f32_e32 v243, v207, v158
	v_pk_mul_f32 v[124:125], v[234:235], v[124:125] op_sel_hi:[1,0]
	v_dual_add_f32 v132, v11, v17 :: v_dual_fmac_f32 v245, v177, v160
	s_delay_alu instid0(VALU_DEP_4)
	v_add_f32_e32 v133, v9, v41
	v_pk_mul_f32 v[126:127], v[180:181], v[164:165] op_sel:[1,1] op_sel_hi:[0,1]
	s_wait_loadcnt 0x3
	v_dual_mov_b32 v134, v171 :: v_dual_fma_f32 v244, v176, v160, -v13
	v_pk_fma_f32 v[136:137], v[178:179], v[162:163], v[124:125] op_sel_hi:[1,0,1]
	v_pk_add_f32 v[132:133], v[132:133], v[242:243]
	v_pk_fma_f32 v[124:125], v[178:179], v[162:163], v[124:125] neg_lo:[0,0,1] neg_hi:[0,0,1]
	v_pk_fma_f32 v[138:139], v[180:181], v[164:165], v[126:127] op_sel_hi:[1,0,1]
	v_pk_mul_f32 v[128:129], v[236:237], v[128:129] op_sel_hi:[1,0]
	v_mov_b32_e32 v125, v137
	v_pk_add_f32 v[132:133], v[132:133], v[244:245]
	v_pk_fma_f32 v[126:127], v[180:181], v[164:165], v[126:127] neg_lo:[0,0,1] neg_hi:[0,0,1]
	v_pk_mul_f32 v[130:131], v[184:185], v[168:169] op_sel:[1,1] op_sel_hi:[0,1]
	v_mov_b32_e32 v127, v139
	v_pk_fma_f32 v[138:139], v[182:183], v[166:167], v[128:129] op_sel_hi:[1,0,1]
	v_pk_add_f32 v[124:125], v[132:133], v[124:125]
	v_pk_fma_f32 v[128:129], v[182:183], v[166:167], v[128:129] neg_lo:[0,0,1] neg_hi:[0,0,1]
	v_pk_fma_f32 v[132:133], v[184:185], v[168:169], v[130:131] op_sel_hi:[1,0,1]
	v_pk_mul_f32 v[134:135], v[238:239], v[134:135] op_sel_hi:[1,0]
	v_mov_b32_e32 v129, v139
	v_pk_add_f32 v[124:125], v[124:125], v[126:127]
	v_pk_fma_f32 v[130:131], v[184:185], v[168:169], v[130:131] neg_lo:[0,0,1] neg_hi:[0,0,1]
	s_wait_loadcnt 0x2
	v_pk_mul_f32 v[136:137], v[188:189], v[172:173] op_sel:[1,1] op_sel_hi:[0,1]
	v_dual_mov_b32 v126, v175 :: v_dual_mov_b32 v131, v133
	v_pk_fma_f32 v[132:133], v[186:187], v[170:171], v[134:135] op_sel_hi:[1,0,1]
	v_pk_add_f32 v[124:125], v[124:125], v[128:129]
	v_pk_fma_f32 v[134:135], v[186:187], v[170:171], v[134:135] neg_lo:[0,0,1] neg_hi:[0,0,1]
	v_pk_fma_f32 v[128:129], v[188:189], v[172:173], v[136:137] op_sel_hi:[1,0,1]
	v_pk_mul_f32 v[126:127], v[240:241], v[126:127] op_sel_hi:[1,0]
	v_mov_b32_e32 v135, v133
	v_pk_add_f32 v[124:125], v[124:125], v[130:131]
	v_pk_fma_f32 v[130:131], v[188:189], v[172:173], v[136:137] neg_lo:[0,0,1] neg_hi:[0,0,1]
	v_mov_b32_e32 v131, v129
	v_pk_fma_f32 v[128:129], v[190:191], v[174:175], v[126:127] op_sel_hi:[1,0,1]
	s_wait_loadcnt_dscnt 0x100
	v_pk_mul_f32 v[132:133], v[232:233], v[228:229] op_sel:[1,1] op_sel_hi:[0,1]
	v_pk_add_f32 v[124:125], v[124:125], v[134:135]
	v_pk_fma_f32 v[126:127], v[190:191], v[174:175], v[126:127] neg_lo:[0,0,1] neg_hi:[0,0,1]
	v_mov_b32_e32 v127, v129
	s_delay_alu instid0(VALU_DEP_4) | instskip(NEXT) | instid1(VALU_DEP_4)
	v_pk_fma_f32 v[128:129], v[232:233], v[228:229], v[132:133] op_sel_hi:[1,0,1]
	v_pk_add_f32 v[124:125], v[124:125], v[130:131]
	v_pk_fma_f32 v[130:131], v[232:233], v[228:229], v[132:133] neg_lo:[0,0,1] neg_hi:[0,0,1]
	s_delay_alu instid0(VALU_DEP_3) | instskip(NEXT) | instid1(VALU_DEP_3)
	v_mov_b32_e32 v131, v129
	v_pk_add_f32 v[124:125], v[124:125], v[126:127]
	s_delay_alu instid0(VALU_DEP_1) | instskip(SKIP_1) | instid1(VALU_DEP_1)
	v_pk_add_f32 v[124:125], v[124:125], v[130:131]
	s_wait_loadcnt 0x0
	v_pk_add_f32 v[124:125], v[230:231], v[124:125] neg_lo:[0,1] neg_hi:[0,1]
	scratch_store_b64 off, v[124:125], off offset:264
	s_wait_xcnt 0x0
	v_cmpx_lt_u32_e32 32, v0
	s_cbranch_execz .LBB124_315
; %bb.314:
	scratch_load_b64 v[124:125], off, off offset:256
	v_mov_b64_e32 v[126:127], 0
	scratch_store_b64 off, v[126:127], off offset:256
	s_wait_loadcnt 0x0
	ds_store_b64 v1, v[124:125]
.LBB124_315:
	s_wait_xcnt 0x0
	s_or_b32 exec_lo, exec_lo, s0
	s_wait_storecnt_dscnt 0x0
	s_barrier_signal -1
	s_barrier_wait -1
	s_clause 0xe
	scratch_load_b128 v[124:127], off, off offset:264
	scratch_load_b128 v[128:131], off, off offset:280
	;; [unrolled: 1-line block ×14, first 2 shown]
	scratch_load_b64 v[236:237], off, off offset:256
	ds_load_2addr_b64 v[180:183], v7 offset0:115 offset1:116
	ds_load_2addr_b64 v[184:187], v7 offset0:117 offset1:118
	;; [unrolled: 1-line block ×14, first 2 shown]
	s_mov_b32 s0, exec_lo
	s_wait_dscnt 0xd
	v_dual_mov_b32 v238, v183 :: v_dual_mov_b32 v239, v182
	s_wait_dscnt 0xc
	v_dual_mov_b32 v240, v187 :: v_dual_mov_b32 v241, v186
	;; [unrolled: 2-line block ×4, first 2 shown]
	s_wait_loadcnt_dscnt 0xe09
	v_dual_mul_f32 v7, v196, v125 :: v_dual_mul_f32 v9, v198, v127
	v_dual_mul_f32 v43, v197, v125 :: v_dual_mul_f32 v45, v199, v127
	s_wait_loadcnt_dscnt 0xd08
	v_dual_mul_f32 v11, v200, v129 :: v_dual_mul_f32 v13, v202, v131
	s_delay_alu instid0(VALU_DEP_3) | instskip(SKIP_3) | instid1(VALU_DEP_3)
	v_dual_fmac_f32 v7, v197, v124 :: v_dual_fmac_f32 v9, v199, v126
	s_wait_loadcnt_dscnt 0xb06
	v_dual_fma_f32 v43, v196, v124, -v43 :: v_dual_mul_f32 v55, v209, v137
	v_dual_mul_f32 v47, v201, v129 :: v_dual_mul_f32 v49, v203, v131
	v_dual_fma_f32 v45, v198, v126, -v45 :: v_dual_add_f32 v7, 0, v7
	s_delay_alu instid0(VALU_DEP_3) | instskip(SKIP_1) | instid1(VALU_DEP_4)
	v_dual_add_f32 v43, 0, v43 :: v_dual_fmac_f32 v11, v201, v128
	v_dual_mul_f32 v15, v204, v133 :: v_dual_mul_f32 v17, v206, v135
	v_dual_mul_f32 v57, v211, v139 :: v_dual_fma_f32 v47, v200, v128, -v47
	s_delay_alu instid0(VALU_DEP_4) | instskip(NEXT) | instid1(VALU_DEP_3)
	v_add_f32_e32 v7, v7, v9
	v_dual_add_f32 v9, v43, v45 :: v_dual_fmac_f32 v15, v205, v132
	v_dual_mul_f32 v51, v205, v133 :: v_dual_mul_f32 v53, v207, v135
	s_wait_loadcnt_dscnt 0xa05
	v_dual_mul_f32 v43, v213, v141 :: v_dual_fmac_f32 v13, v203, v130
	v_dual_fma_f32 v45, v202, v130, -v49 :: v_dual_add_f32 v7, v7, v11
	s_delay_alu instid0(VALU_DEP_3) | instskip(SKIP_1) | instid1(VALU_DEP_3)
	v_dual_add_f32 v9, v9, v47 :: v_dual_fma_f32 v47, v204, v132, -v51
	v_dual_mul_f32 v19, v208, v137 :: v_dual_mul_f32 v21, v210, v139
	v_add_f32_e32 v7, v7, v13
	s_delay_alu instid0(VALU_DEP_3) | instskip(SKIP_2) | instid1(VALU_DEP_3)
	v_dual_mul_f32 v11, v215, v143 :: v_dual_add_f32 v9, v9, v45
	s_wait_loadcnt_dscnt 0x904
	v_dual_mul_f32 v13, v217, v145 :: v_dual_fmac_f32 v17, v207, v134
	v_dual_fma_f32 v45, v206, v134, -v53 :: v_dual_add_f32 v7, v7, v15
	s_delay_alu instid0(VALU_DEP_3) | instskip(SKIP_1) | instid1(VALU_DEP_3)
	v_dual_add_f32 v9, v9, v47 :: v_dual_fma_f32 v47, v208, v136, -v55
	v_dual_mul_f32 v15, v219, v147 :: v_dual_fmac_f32 v19, v209, v136
	v_add_f32_e32 v7, v7, v17
	s_delay_alu instid0(VALU_DEP_3)
	v_dual_add_f32 v9, v9, v45 :: v_dual_fmac_f32 v21, v211, v138
	v_dual_mul_f32 v23, v212, v141 :: v_dual_mul_f32 v25, v214, v143
	s_wait_loadcnt_dscnt 0x803
	v_dual_fma_f32 v45, v210, v138, -v57 :: v_dual_mul_f32 v17, v221, v149
	v_add_f32_e32 v7, v7, v19
	v_dual_add_f32 v9, v9, v47 :: v_dual_fma_f32 v43, v212, v140, -v43
	v_dual_mul_f32 v19, v223, v151 :: v_dual_fmac_f32 v23, v213, v140
	s_delay_alu instid0(VALU_DEP_3) | instskip(NEXT) | instid1(VALU_DEP_3)
	v_dual_add_f32 v7, v7, v21 :: v_dual_fma_f32 v11, v214, v142, -v11
	v_dual_add_f32 v9, v9, v45 :: v_dual_fmac_f32 v25, v215, v142
	v_dual_mul_f32 v27, v216, v145 :: v_dual_mul_f32 v29, v218, v147
	s_wait_loadcnt_dscnt 0x702
	s_delay_alu instid0(VALU_DEP_3) | instskip(NEXT) | instid1(VALU_DEP_3)
	v_dual_mul_f32 v21, v225, v153 :: v_dual_add_f32 v7, v7, v23
	v_dual_add_f32 v9, v9, v43 :: v_dual_fma_f32 v13, v216, v144, -v13
	s_delay_alu instid0(VALU_DEP_3) | instskip(NEXT) | instid1(VALU_DEP_2)
	v_dual_mul_f32 v23, v227, v155 :: v_dual_fmac_f32 v27, v217, v144
	v_dual_add_f32 v7, v7, v25 :: v_dual_add_f32 v9, v9, v11
	v_dual_mul_f32 v31, v220, v149 :: v_dual_mul_f32 v33, v222, v151
	s_wait_loadcnt_dscnt 0x601
	v_dual_mul_f32 v11, v229, v157 :: v_dual_fmac_f32 v29, v219, v146
	s_delay_alu instid0(VALU_DEP_3) | instskip(SKIP_2) | instid1(VALU_DEP_2)
	v_dual_fma_f32 v15, v218, v146, -v15 :: v_dual_add_f32 v7, v7, v27
	v_dual_add_f32 v9, v9, v13 :: v_dual_mul_f32 v13, v231, v159
	v_dual_fmac_f32 v31, v221, v148 :: v_dual_fma_f32 v17, v220, v148, -v17
	v_dual_add_f32 v7, v7, v29 :: v_dual_add_f32 v9, v9, v15
	v_dual_mul_f32 v35, v224, v153 :: v_dual_mul_f32 v37, v226, v155
	s_wait_loadcnt_dscnt 0x500
	v_dual_mul_f32 v15, v233, v161 :: v_dual_fmac_f32 v33, v223, v150
	s_delay_alu instid0(VALU_DEP_3) | instskip(SKIP_2) | instid1(VALU_DEP_2)
	v_dual_fma_f32 v19, v222, v150, -v19 :: v_dual_add_f32 v7, v7, v31
	v_dual_add_f32 v9, v9, v17 :: v_dual_mul_f32 v17, v235, v163
	v_dual_fmac_f32 v35, v225, v152 :: v_dual_fma_f32 v21, v224, v152, -v21
	v_dual_add_f32 v7, v7, v33 :: v_dual_add_f32 v9, v9, v19
	v_dual_mul_f32 v39, v228, v157 :: v_dual_mul_f32 v41, v230, v159
	v_dual_fmac_f32 v37, v227, v154 :: v_dual_fma_f32 v19, v226, v154, -v23
	s_delay_alu instid0(VALU_DEP_3) | instskip(SKIP_1) | instid1(VALU_DEP_3)
	v_dual_add_f32 v7, v7, v35 :: v_dual_add_f32 v9, v9, v21
	s_wait_loadcnt 0x4
	v_dual_mov_b32 v126, v167 :: v_dual_fmac_f32 v39, v229, v156
	s_delay_alu instid0(VALU_DEP_2) | instskip(NEXT) | instid1(VALU_DEP_3)
	v_dual_fma_f32 v11, v228, v156, -v11 :: v_dual_add_f32 v7, v7, v37
	v_dual_add_f32 v9, v9, v19 :: v_dual_fmac_f32 v41, v231, v158
	v_dual_mul_f32 v247, v232, v161 :: v_dual_mul_f32 v249, v234, v163
	s_delay_alu instid0(VALU_DEP_3) | instskip(SKIP_1) | instid1(VALU_DEP_3)
	v_dual_fma_f32 v13, v230, v158, -v13 :: v_dual_add_f32 v7, v7, v39
	s_wait_loadcnt 0x3
	v_dual_add_f32 v9, v9, v11 :: v_dual_mov_b32 v130, v171
	v_pk_mul_f32 v[124:125], v[180:181], v[164:165] op_sel:[1,1] op_sel_hi:[0,1]
	s_delay_alu instid0(VALU_DEP_3) | instskip(NEXT) | instid1(VALU_DEP_3)
	v_dual_fmac_f32 v247, v233, v160 :: v_dual_add_f32 v133, v7, v41
	v_dual_fma_f32 v246, v232, v160, -v15 :: v_dual_add_f32 v132, v9, v13
	v_fmac_f32_e32 v249, v235, v162
	s_delay_alu instid0(VALU_DEP_4)
	v_pk_fma_f32 v[134:135], v[180:181], v[164:165], v[124:125] op_sel_hi:[1,0,1]
	v_fma_f32 v248, v234, v162, -v17
	v_pk_mul_f32 v[126:127], v[238:239], v[126:127] op_sel_hi:[1,0]
	v_pk_add_f32 v[132:133], v[132:133], v[246:247]
	v_pk_fma_f32 v[124:125], v[180:181], v[164:165], v[124:125] neg_lo:[0,0,1] neg_hi:[0,0,1]
	v_pk_mul_f32 v[128:129], v[184:185], v[168:169] op_sel:[1,1] op_sel_hi:[0,1]
	v_mov_b32_e32 v125, v135
	v_pk_fma_f32 v[134:135], v[182:183], v[166:167], v[126:127] op_sel_hi:[1,0,1]
	v_pk_add_f32 v[132:133], v[132:133], v[248:249]
	v_pk_fma_f32 v[126:127], v[182:183], v[166:167], v[126:127] neg_lo:[0,0,1] neg_hi:[0,0,1]
	v_pk_fma_f32 v[138:139], v[184:185], v[168:169], v[128:129] op_sel_hi:[1,0,1]
	v_pk_mul_f32 v[130:131], v[240:241], v[130:131] op_sel_hi:[1,0]
	v_mov_b32_e32 v127, v135
	v_pk_add_f32 v[124:125], v[132:133], v[124:125]
	s_wait_loadcnt 0x2
	v_pk_mul_f32 v[136:137], v[188:189], v[172:173] op_sel:[1,1] op_sel_hi:[0,1]
	v_mov_b32_e32 v132, v175
	v_pk_fma_f32 v[128:129], v[184:185], v[168:169], v[128:129] neg_lo:[0,0,1] neg_hi:[0,0,1]
	v_pk_fma_f32 v[134:135], v[186:187], v[170:171], v[130:131] op_sel_hi:[1,0,1]
	v_mov_b32_e32 v129, v139
	v_pk_add_f32 v[124:125], v[124:125], v[126:127]
	v_pk_fma_f32 v[126:127], v[188:189], v[172:173], v[136:137] op_sel_hi:[1,0,1]
	v_pk_mul_f32 v[132:133], v[242:243], v[132:133] op_sel_hi:[1,0]
	v_pk_fma_f32 v[130:131], v[186:187], v[170:171], v[130:131] neg_lo:[0,0,1] neg_hi:[0,0,1]
	v_mov_b32_e32 v131, v135
	v_pk_add_f32 v[124:125], v[124:125], v[128:129]
	v_pk_fma_f32 v[134:135], v[188:189], v[172:173], v[136:137] neg_lo:[0,0,1] neg_hi:[0,0,1]
	v_mov_b32_e32 v135, v127
	v_pk_fma_f32 v[126:127], v[190:191], v[174:175], v[132:133] op_sel_hi:[1,0,1]
	s_wait_loadcnt 0x1
	v_pk_mul_f32 v[128:129], v[192:193], v[176:177] op_sel:[1,1] op_sel_hi:[0,1]
	v_pk_add_f32 v[124:125], v[124:125], v[130:131]
	v_mov_b32_e32 v126, v179
	v_pk_fma_f32 v[132:133], v[190:191], v[174:175], v[132:133] neg_lo:[0,0,1] neg_hi:[0,0,1]
	s_delay_alu instid0(VALU_DEP_4)
	v_pk_fma_f32 v[130:131], v[192:193], v[176:177], v[128:129] op_sel_hi:[1,0,1]
	v_mov_b32_e32 v133, v127
	v_pk_add_f32 v[124:125], v[124:125], v[134:135]
	v_pk_mul_f32 v[126:127], v[244:245], v[126:127] op_sel_hi:[1,0]
	v_pk_fma_f32 v[128:129], v[192:193], v[176:177], v[128:129] neg_lo:[0,0,1] neg_hi:[0,0,1]
	v_mov_b32_e32 v129, v131
	s_delay_alu instid0(VALU_DEP_4) | instskip(NEXT) | instid1(VALU_DEP_4)
	v_pk_add_f32 v[124:125], v[124:125], v[132:133]
	v_pk_fma_f32 v[130:131], v[194:195], v[178:179], v[126:127] op_sel_hi:[1,0,1]
	v_pk_fma_f32 v[126:127], v[194:195], v[178:179], v[126:127] neg_lo:[0,0,1] neg_hi:[0,0,1]
	s_delay_alu instid0(VALU_DEP_3) | instskip(NEXT) | instid1(VALU_DEP_3)
	v_pk_add_f32 v[124:125], v[124:125], v[128:129]
	v_mov_b32_e32 v127, v131
	s_delay_alu instid0(VALU_DEP_1) | instskip(SKIP_1) | instid1(VALU_DEP_1)
	v_pk_add_f32 v[124:125], v[124:125], v[126:127]
	s_wait_loadcnt 0x0
	v_pk_add_f32 v[124:125], v[236:237], v[124:125] neg_lo:[0,1] neg_hi:[0,1]
	scratch_store_b64 off, v[124:125], off offset:256
	s_wait_xcnt 0x0
	v_cmpx_lt_u32_e32 31, v0
	s_cbranch_execz .LBB124_317
; %bb.316:
	scratch_load_b64 v[124:125], off, off offset:248
	v_mov_b64_e32 v[126:127], 0
	scratch_store_b64 off, v[126:127], off offset:248
	s_wait_loadcnt 0x0
	ds_store_b64 v1, v[124:125]
.LBB124_317:
	s_wait_xcnt 0x0
	s_or_b32 exec_lo, exec_lo, s0
	s_wait_storecnt_dscnt 0x0
	s_barrier_signal -1
	s_barrier_wait -1
	s_clause 0xf
	scratch_load_b128 v[124:127], off, off offset:256
	scratch_load_b128 v[128:131], off, off offset:272
	;; [unrolled: 1-line block ×14, first 2 shown]
	scratch_load_b64 v[236:237], off, off offset:480
	scratch_load_b64 v[238:239], off, off offset:248
	v_mov_b32_e32 v7, 0
	ds_load_b128 v[180:183], v7 offset:912
	ds_load_b128 v[184:187], v7 offset:928
	;; [unrolled: 1-line block ×14, first 2 shown]
	ds_load_b64 v[240:241], v7 offset:976
	s_mov_b32 s0, exec_lo
	s_wait_dscnt 0xe
	v_dual_mov_b32 v242, v183 :: v_dual_mov_b32 v243, v182
	s_wait_dscnt 0xb
	v_dual_mov_b32 v244, v187 :: v_dual_mov_b32 v249, v194
	v_dual_mov_b32 v245, v186 :: v_dual_mov_b32 v246, v191
	;; [unrolled: 1-line block ×3, first 2 shown]
	s_wait_loadcnt_dscnt 0xf0a
	v_dual_mul_f32 v9, v196, v125 :: v_dual_mul_f32 v47, v197, v125
	v_dual_mul_f32 v49, v199, v127 :: v_dual_mul_f32 v11, v198, v127
	s_wait_loadcnt_dscnt 0xe09
	v_mul_f32_e32 v13, v200, v129
	s_wait_loadcnt_dscnt 0xc07
	v_dual_mul_f32 v59, v209, v137 :: v_dual_fma_f32 v47, v196, v124, -v47
	v_dual_fmac_f32 v9, v197, v124 :: v_dual_mul_f32 v61, v211, v139
	v_dual_mul_f32 v51, v201, v129 :: v_dual_mul_f32 v53, v203, v131
	v_dual_fmac_f32 v11, v199, v126 :: v_dual_fma_f32 v49, v198, v126, -v49
	s_delay_alu instid0(VALU_DEP_3) | instskip(SKIP_4) | instid1(VALU_DEP_3)
	v_dual_add_f32 v9, 0, v9 :: v_dual_add_f32 v47, 0, v47
	v_dual_mul_f32 v15, v202, v131 :: v_dual_mul_f32 v17, v204, v133
	s_wait_loadcnt_dscnt 0xb06
	v_dual_mul_f32 v63, v213, v141 :: v_dual_fma_f32 v51, v200, v128, -v51
	v_fmac_f32_e32 v13, v201, v128
	v_dual_add_f32 v9, v9, v11 :: v_dual_fmac_f32 v15, v203, v130
	v_add_f32_e32 v11, v47, v49
	v_dual_mul_f32 v55, v205, v133 :: v_dual_mul_f32 v57, v207, v135
	v_dual_mul_f32 v47, v215, v143 :: v_dual_fma_f32 v49, v202, v130, -v53
	s_delay_alu instid0(VALU_DEP_3) | instskip(SKIP_3) | instid1(VALU_DEP_3)
	v_dual_add_f32 v9, v9, v13 :: v_dual_add_f32 v11, v11, v51
	v_dual_mul_f32 v19, v206, v135 :: v_dual_mul_f32 v21, v208, v137
	s_wait_loadcnt_dscnt 0xa05
	v_dual_mul_f32 v13, v217, v145 :: v_dual_fma_f32 v51, v204, v132, -v55
	v_dual_fmac_f32 v17, v205, v132 :: v_dual_add_f32 v11, v11, v49
	s_delay_alu instid0(VALU_DEP_3) | instskip(SKIP_1) | instid1(VALU_DEP_2)
	v_dual_add_f32 v9, v9, v15 :: v_dual_fmac_f32 v19, v207, v134
	v_dual_mul_f32 v15, v219, v147 :: v_dual_fma_f32 v49, v206, v134, -v57
	v_dual_add_f32 v11, v11, v51 :: v_dual_add_f32 v9, v9, v17
	v_dual_mul_f32 v23, v210, v139 :: v_dual_mul_f32 v25, v212, v141
	s_wait_loadcnt_dscnt 0x904
	v_dual_mul_f32 v17, v221, v149 :: v_dual_fma_f32 v51, v208, v136, -v59
	s_delay_alu instid0(VALU_DEP_3) | instskip(NEXT) | instid1(VALU_DEP_3)
	v_dual_fmac_f32 v21, v209, v136 :: v_dual_add_f32 v11, v11, v49
	v_dual_add_f32 v9, v9, v19 :: v_dual_fmac_f32 v23, v211, v138
	v_dual_mul_f32 v19, v223, v151 :: v_dual_fma_f32 v49, v210, v138, -v61
	s_delay_alu instid0(VALU_DEP_2) | instskip(SKIP_3) | instid1(VALU_DEP_3)
	v_dual_add_f32 v11, v11, v51 :: v_dual_add_f32 v9, v9, v21
	v_dual_mul_f32 v27, v214, v143 :: v_dual_mul_f32 v29, v216, v145
	s_wait_loadcnt_dscnt 0x803
	v_dual_mul_f32 v21, v225, v153 :: v_dual_fma_f32 v51, v212, v140, -v63
	v_dual_fmac_f32 v25, v213, v140 :: v_dual_add_f32 v11, v11, v49
	s_delay_alu instid0(VALU_DEP_3) | instskip(SKIP_1) | instid1(VALU_DEP_2)
	v_dual_add_f32 v9, v9, v23 :: v_dual_fmac_f32 v27, v215, v142
	v_dual_mul_f32 v23, v227, v155 :: v_dual_fma_f32 v47, v214, v142, -v47
	v_dual_add_f32 v11, v11, v51 :: v_dual_add_f32 v9, v9, v25
	v_dual_mul_f32 v31, v218, v147 :: v_dual_mul_f32 v33, v220, v149
	s_wait_loadcnt_dscnt 0x702
	v_dual_mul_f32 v25, v229, v157 :: v_dual_fma_f32 v13, v216, v144, -v13
	s_delay_alu instid0(VALU_DEP_3) | instskip(NEXT) | instid1(VALU_DEP_3)
	v_dual_fmac_f32 v29, v217, v144 :: v_dual_add_f32 v11, v11, v47
	v_dual_add_f32 v9, v9, v27 :: v_dual_fmac_f32 v31, v219, v146
	v_dual_mul_f32 v27, v231, v159 :: v_dual_fma_f32 v15, v218, v146, -v15
	s_delay_alu instid0(VALU_DEP_3) | instskip(NEXT) | instid1(VALU_DEP_3)
	v_dual_add_f32 v11, v11, v13 :: v_dual_fmac_f32 v33, v221, v148
	v_dual_add_f32 v9, v9, v29 :: v_dual_fma_f32 v17, v220, v148, -v17
	v_dual_mul_f32 v35, v222, v151 :: v_dual_mul_f32 v37, v224, v153
	s_wait_loadcnt_dscnt 0x601
	s_delay_alu instid0(VALU_DEP_3) | instskip(NEXT) | instid1(VALU_DEP_2)
	v_dual_mul_f32 v13, v233, v161 :: v_dual_add_f32 v11, v11, v15
	v_dual_add_f32 v9, v9, v31 :: v_dual_fmac_f32 v35, v223, v150
	v_dual_mul_f32 v15, v235, v163 :: v_dual_fma_f32 v19, v222, v150, -v19
	s_delay_alu instid0(VALU_DEP_3) | instskip(NEXT) | instid1(VALU_DEP_3)
	v_dual_add_f32 v11, v11, v17 :: v_dual_fmac_f32 v37, v225, v152
	v_dual_add_f32 v9, v9, v33 :: v_dual_fma_f32 v21, v224, v152, -v21
	v_dual_mul_f32 v39, v226, v155 :: v_dual_mul_f32 v41, v228, v157
	s_wait_loadcnt 0x5
	s_delay_alu instid0(VALU_DEP_3) | instskip(NEXT) | instid1(VALU_DEP_3)
	v_dual_mul_f32 v17, v181, v165 :: v_dual_add_f32 v11, v11, v19
	v_dual_add_f32 v9, v9, v35 :: v_dual_mov_b32 v124, v167
	s_delay_alu instid0(VALU_DEP_3) | instskip(NEXT) | instid1(VALU_DEP_3)
	v_fmac_f32_e32 v39, v227, v154
	v_dual_fma_f32 v19, v226, v154, -v23 :: v_dual_add_f32 v11, v11, v21
	s_delay_alu instid0(VALU_DEP_3) | instskip(SKIP_1) | instid1(VALU_DEP_3)
	v_dual_add_f32 v9, v9, v37 :: v_dual_mul_f32 v43, v230, v159
	v_dual_mul_f32 v45, v232, v161 :: v_dual_fmac_f32 v41, v229, v156
	v_dual_add_f32 v11, v11, v19 :: v_dual_fma_f32 v21, v228, v156, -v25
	s_wait_loadcnt 0x4
	s_delay_alu instid0(VALU_DEP_3) | instskip(SKIP_3) | instid1(VALU_DEP_4)
	v_dual_add_f32 v9, v9, v39 :: v_dual_mov_b32 v128, v171
	v_fma_f32 v19, v230, v158, -v27
	v_fmac_f32_e32 v43, v231, v158
	v_dual_add_f32 v11, v11, v21 :: v_dual_fmac_f32 v45, v233, v160
	v_dual_add_f32 v9, v9, v41 :: v_dual_mul_f32 v251, v234, v163
	v_mul_f32_e32 v253, v180, v165
	s_delay_alu instid0(VALU_DEP_3) | instskip(NEXT) | instid1(VALU_DEP_3)
	v_dual_fma_f32 v13, v232, v160, -v13 :: v_dual_add_f32 v11, v11, v19
	v_dual_fma_f32 v250, v234, v162, -v15 :: v_dual_add_f32 v9, v9, v43
	s_delay_alu instid0(VALU_DEP_4) | instskip(SKIP_1) | instid1(VALU_DEP_4)
	v_fmac_f32_e32 v251, v235, v162
	v_pk_mul_f32 v[124:125], v[242:243], v[124:125] op_sel_hi:[1,0]
	v_dual_add_f32 v132, v11, v13 :: v_dual_fmac_f32 v253, v181, v164
	s_delay_alu instid0(VALU_DEP_4)
	v_add_f32_e32 v133, v9, v45
	v_pk_mul_f32 v[126:127], v[184:185], v[168:169] op_sel:[1,1] op_sel_hi:[0,1]
	s_wait_loadcnt 0x3
	v_dual_mov_b32 v134, v175 :: v_dual_fma_f32 v252, v180, v164, -v17
	v_pk_fma_f32 v[136:137], v[182:183], v[166:167], v[124:125] op_sel_hi:[1,0,1]
	v_pk_add_f32 v[132:133], v[132:133], v[250:251]
	v_pk_fma_f32 v[124:125], v[182:183], v[166:167], v[124:125] neg_lo:[0,0,1] neg_hi:[0,0,1]
	v_pk_fma_f32 v[138:139], v[184:185], v[168:169], v[126:127] op_sel_hi:[1,0,1]
	v_pk_mul_f32 v[128:129], v[244:245], v[128:129] op_sel_hi:[1,0]
	v_mov_b32_e32 v125, v137
	v_pk_add_f32 v[132:133], v[132:133], v[252:253]
	v_pk_fma_f32 v[126:127], v[184:185], v[168:169], v[126:127] neg_lo:[0,0,1] neg_hi:[0,0,1]
	v_pk_mul_f32 v[130:131], v[188:189], v[172:173] op_sel:[1,1] op_sel_hi:[0,1]
	v_mov_b32_e32 v127, v139
	v_pk_fma_f32 v[138:139], v[186:187], v[170:171], v[128:129] op_sel_hi:[1,0,1]
	v_pk_add_f32 v[124:125], v[132:133], v[124:125]
	v_pk_fma_f32 v[128:129], v[186:187], v[170:171], v[128:129] neg_lo:[0,0,1] neg_hi:[0,0,1]
	v_pk_fma_f32 v[132:133], v[188:189], v[172:173], v[130:131] op_sel_hi:[1,0,1]
	v_pk_mul_f32 v[134:135], v[246:247], v[134:135] op_sel_hi:[1,0]
	v_mov_b32_e32 v129, v139
	v_pk_add_f32 v[124:125], v[124:125], v[126:127]
	v_pk_fma_f32 v[130:131], v[188:189], v[172:173], v[130:131] neg_lo:[0,0,1] neg_hi:[0,0,1]
	s_wait_loadcnt 0x2
	v_pk_mul_f32 v[136:137], v[192:193], v[176:177] op_sel:[1,1] op_sel_hi:[0,1]
	v_dual_mov_b32 v126, v179 :: v_dual_mov_b32 v131, v133
	v_pk_fma_f32 v[132:133], v[190:191], v[174:175], v[134:135] op_sel_hi:[1,0,1]
	v_pk_add_f32 v[124:125], v[124:125], v[128:129]
	v_pk_fma_f32 v[134:135], v[190:191], v[174:175], v[134:135] neg_lo:[0,0,1] neg_hi:[0,0,1]
	v_pk_fma_f32 v[128:129], v[192:193], v[176:177], v[136:137] op_sel_hi:[1,0,1]
	v_pk_mul_f32 v[126:127], v[248:249], v[126:127] op_sel_hi:[1,0]
	v_mov_b32_e32 v135, v133
	v_pk_add_f32 v[124:125], v[124:125], v[130:131]
	v_pk_fma_f32 v[130:131], v[192:193], v[176:177], v[136:137] neg_lo:[0,0,1] neg_hi:[0,0,1]
	v_mov_b32_e32 v131, v129
	v_pk_fma_f32 v[128:129], v[194:195], v[178:179], v[126:127] op_sel_hi:[1,0,1]
	s_wait_loadcnt_dscnt 0x100
	v_pk_mul_f32 v[132:133], v[240:241], v[236:237] op_sel:[1,1] op_sel_hi:[0,1]
	v_pk_add_f32 v[124:125], v[124:125], v[134:135]
	v_pk_fma_f32 v[126:127], v[194:195], v[178:179], v[126:127] neg_lo:[0,0,1] neg_hi:[0,0,1]
	v_mov_b32_e32 v127, v129
	s_delay_alu instid0(VALU_DEP_4) | instskip(NEXT) | instid1(VALU_DEP_4)
	v_pk_fma_f32 v[128:129], v[240:241], v[236:237], v[132:133] op_sel_hi:[1,0,1]
	v_pk_add_f32 v[124:125], v[124:125], v[130:131]
	v_pk_fma_f32 v[130:131], v[240:241], v[236:237], v[132:133] neg_lo:[0,0,1] neg_hi:[0,0,1]
	s_delay_alu instid0(VALU_DEP_3) | instskip(NEXT) | instid1(VALU_DEP_3)
	v_mov_b32_e32 v131, v129
	v_pk_add_f32 v[124:125], v[124:125], v[126:127]
	s_delay_alu instid0(VALU_DEP_1) | instskip(SKIP_1) | instid1(VALU_DEP_1)
	v_pk_add_f32 v[124:125], v[124:125], v[130:131]
	s_wait_loadcnt 0x0
	v_pk_add_f32 v[124:125], v[238:239], v[124:125] neg_lo:[0,1] neg_hi:[0,1]
	scratch_store_b64 off, v[124:125], off offset:248
	s_wait_xcnt 0x0
	v_cmpx_lt_u32_e32 30, v0
	s_cbranch_execz .LBB124_319
; %bb.318:
	scratch_load_b64 v[124:125], off, off offset:240
	v_mov_b64_e32 v[126:127], 0
	scratch_store_b64 off, v[126:127], off offset:240
	s_wait_loadcnt 0x0
	ds_store_b64 v1, v[124:125]
.LBB124_319:
	s_wait_xcnt 0x0
	s_or_b32 exec_lo, exec_lo, s0
	s_wait_storecnt_dscnt 0x0
	s_barrier_signal -1
	s_barrier_wait -1
	s_clause 0xf
	scratch_load_b128 v[124:127], off, off offset:248
	scratch_load_b128 v[128:131], off, off offset:264
	scratch_load_b128 v[132:135], off, off offset:280
	scratch_load_b128 v[136:139], off, off offset:296
	scratch_load_b128 v[140:143], off, off offset:312
	scratch_load_b128 v[144:147], off, off offset:328
	scratch_load_b128 v[148:151], off, off offset:344
	scratch_load_b128 v[152:155], off, off offset:360
	scratch_load_b128 v[156:159], off, off offset:376
	scratch_load_b128 v[160:163], off, off offset:392
	scratch_load_b128 v[164:167], off, off offset:408
	scratch_load_b128 v[168:171], off, off offset:424
	scratch_load_b128 v[172:175], off, off offset:440
	scratch_load_b128 v[176:179], off, off offset:456
	scratch_load_b128 v[180:183], off, off offset:472
	scratch_load_b64 v[244:245], off, off offset:240
	ds_load_2addr_b64 v[184:187], v7 offset0:115 offset1:116
	ds_load_2addr_b64 v[188:191], v7 offset0:117 offset1:118
	;; [unrolled: 1-line block ×15, first 2 shown]
	s_mov_b32 s0, exec_lo
	s_wait_dscnt 0xe
	v_dual_mov_b32 v246, v187 :: v_dual_mov_b32 v247, v186
	s_wait_dscnt 0xd
	v_dual_mov_b32 v248, v191 :: v_dual_mov_b32 v249, v190
	;; [unrolled: 2-line block ×4, first 2 shown]
	s_wait_loadcnt_dscnt 0xf0a
	v_dual_mul_f32 v7, v200, v125 :: v_dual_mul_f32 v9, v202, v127
	s_wait_loadcnt_dscnt 0xe09
	v_dual_mul_f32 v47, v201, v125 :: v_dual_mul_f32 v53, v207, v131
	s_wait_loadcnt_dscnt 0xd07
	v_mul_f32_e32 v55, v213, v133
	v_dual_fmac_f32 v7, v201, v124 :: v_dual_fmac_f32 v9, v203, v126
	s_delay_alu instid0(VALU_DEP_3)
	v_dual_mul_f32 v49, v203, v127 :: v_dual_fma_f32 v47, v200, v124, -v47
	v_dual_mul_f32 v11, v204, v129 :: v_dual_mul_f32 v13, v206, v131
	s_wait_loadcnt 0x5
	v_mul_f32_e32 v255, v208, v165
	v_dual_mul_f32 v51, v205, v129 :: v_dual_mul_f32 v57, v215, v135
	s_wait_dscnt 0x6
	v_dual_mul_f32 v59, v217, v137 :: v_dual_fma_f32 v49, v202, v126, -v49
	v_dual_add_f32 v7, 0, v7 :: v_dual_fmac_f32 v11, v205, v128
	s_delay_alu instid0(VALU_DEP_3) | instskip(SKIP_1) | instid1(VALU_DEP_3)
	v_dual_add_f32 v47, 0, v47 :: v_dual_fma_f32 v51, v204, v128, -v51
	v_dual_mul_f32 v15, v212, v133 :: v_dual_mul_f32 v17, v214, v135
	v_add_f32_e32 v7, v7, v9
	s_delay_alu instid0(VALU_DEP_3) | instskip(NEXT) | instid1(VALU_DEP_3)
	v_dual_add_f32 v9, v47, v49 :: v_dual_fma_f32 v49, v206, v130, -v53
	v_dual_fmac_f32 v15, v213, v132 :: v_dual_fmac_f32 v13, v207, v130
	s_delay_alu instid0(VALU_DEP_3) | instskip(NEXT) | instid1(VALU_DEP_3)
	v_add_f32_e32 v7, v7, v11
	v_add_f32_e32 v9, v9, v51
	s_wait_dscnt 0x5
	v_dual_mul_f32 v11, v223, v143 :: v_dual_fma_f32 v51, v212, v132, -v55
	v_dual_mul_f32 v19, v216, v137 :: v_dual_mul_f32 v21, v218, v139
	v_add_f32_e32 v7, v7, v13
	v_add_f32_e32 v9, v9, v49
	s_wait_dscnt 0x4
	v_dual_mul_f32 v13, v225, v145 :: v_dual_fmac_f32 v17, v215, v134
	s_delay_alu instid0(VALU_DEP_3) | instskip(SKIP_3) | instid1(VALU_DEP_2)
	v_dual_fma_f32 v49, v214, v134, -v57 :: v_dual_add_f32 v7, v7, v15
	v_fmac_f32_e32 v19, v217, v136
	v_dual_add_f32 v9, v9, v51 :: v_dual_fma_f32 v51, v216, v136, -v59
	v_dual_mul_f32 v61, v219, v139 :: v_dual_mul_f32 v47, v221, v141
	v_dual_mul_f32 v15, v227, v147 :: v_dual_add_f32 v9, v9, v49
	s_delay_alu instid0(VALU_DEP_2) | instskip(SKIP_3) | instid1(VALU_DEP_2)
	v_dual_add_f32 v7, v7, v17 :: v_dual_fma_f32 v49, v218, v138, -v61
	v_dual_mul_f32 v23, v220, v141 :: v_dual_mul_f32 v25, v222, v143
	s_wait_dscnt 0x3
	v_dual_mul_f32 v17, v229, v149 :: v_dual_fmac_f32 v21, v219, v138
	v_dual_add_f32 v7, v7, v19 :: v_dual_fmac_f32 v23, v221, v140
	v_dual_add_f32 v9, v9, v51 :: v_dual_fma_f32 v47, v220, v140, -v47
	v_mul_f32_e32 v19, v231, v151
	s_delay_alu instid0(VALU_DEP_3) | instskip(NEXT) | instid1(VALU_DEP_3)
	v_dual_add_f32 v7, v7, v21 :: v_dual_fma_f32 v11, v222, v142, -v11
	v_add_f32_e32 v9, v9, v49
	v_dual_mul_f32 v27, v224, v145 :: v_dual_mul_f32 v29, v226, v147
	s_wait_dscnt 0x2
	v_dual_mul_f32 v21, v233, v153 :: v_dual_fmac_f32 v25, v223, v142
	s_delay_alu instid0(VALU_DEP_2) | instskip(SKIP_2) | instid1(VALU_DEP_2)
	v_dual_add_f32 v7, v7, v23 :: v_dual_fmac_f32 v27, v225, v144
	v_dual_add_f32 v9, v9, v47 :: v_dual_fma_f32 v13, v224, v144, -v13
	v_dual_mul_f32 v31, v228, v149 :: v_dual_mul_f32 v33, v230, v151
	v_dual_add_f32 v7, v7, v25 :: v_dual_add_f32 v9, v9, v11
	v_dual_fmac_f32 v29, v227, v146 :: v_dual_fma_f32 v15, v226, v146, -v15
	s_delay_alu instid0(VALU_DEP_2) | instskip(SKIP_1) | instid1(VALU_DEP_3)
	v_dual_fmac_f32 v31, v229, v148 :: v_dual_add_f32 v7, v7, v27
	s_wait_dscnt 0x1
	v_dual_add_f32 v9, v9, v13 :: v_dual_mul_f32 v13, v239, v159
	v_fma_f32 v17, v228, v148, -v17
	v_dual_mul_f32 v35, v232, v153 :: v_dual_mul_f32 v37, v234, v155
	s_delay_alu instid0(VALU_DEP_3) | instskip(SKIP_2) | instid1(VALU_DEP_2)
	v_dual_add_f32 v7, v7, v29 :: v_dual_add_f32 v9, v9, v15
	s_wait_dscnt 0x0
	v_dual_fmac_f32 v33, v231, v150 :: v_dual_mul_f32 v15, v241, v161
	v_dual_fma_f32 v19, v230, v150, -v19 :: v_dual_add_f32 v7, v7, v31
	s_delay_alu instid0(VALU_DEP_3) | instskip(SKIP_2) | instid1(VALU_DEP_3)
	v_dual_add_f32 v9, v9, v17 :: v_dual_mul_f32 v23, v235, v155
	v_dual_mul_f32 v11, v237, v157 :: v_dual_mul_f32 v17, v243, v163
	v_dual_fmac_f32 v35, v233, v152 :: v_dual_fma_f32 v21, v232, v152, -v21
	v_dual_add_f32 v7, v7, v33 :: v_dual_add_f32 v9, v9, v19
	v_dual_fmac_f32 v37, v235, v154 :: v_dual_mul_f32 v39, v236, v157
	v_dual_mul_f32 v41, v238, v159 :: v_dual_mul_f32 v19, v209, v165
	s_delay_alu instid0(VALU_DEP_3) | instskip(NEXT) | instid1(VALU_DEP_4)
	v_dual_fma_f32 v23, v234, v154, -v23 :: v_dual_add_f32 v7, v7, v35
	v_dual_add_f32 v9, v9, v21 :: v_dual_mul_f32 v21, v211, v167
	s_delay_alu instid0(VALU_DEP_4) | instskip(NEXT) | instid1(VALU_DEP_3)
	v_fmac_f32_e32 v39, v237, v156
	v_dual_fma_f32 v11, v236, v156, -v11 :: v_dual_add_f32 v7, v7, v37
	s_delay_alu instid0(VALU_DEP_3) | instskip(SKIP_1) | instid1(VALU_DEP_3)
	v_dual_add_f32 v9, v9, v23 :: v_dual_fmac_f32 v41, v239, v158
	v_dual_mul_f32 v43, v240, v161 :: v_dual_mul_f32 v45, v242, v163
	v_dual_fma_f32 v13, v238, v158, -v13 :: v_dual_add_f32 v7, v7, v39
	s_wait_loadcnt 0x4
	s_delay_alu instid0(VALU_DEP_3) | instskip(NEXT) | instid1(VALU_DEP_3)
	v_dual_add_f32 v9, v9, v11 :: v_dual_mov_b32 v126, v171
	v_fmac_f32_e32 v43, v241, v160
	s_delay_alu instid0(VALU_DEP_3) | instskip(NEXT) | instid1(VALU_DEP_3)
	v_dual_fma_f32 v11, v240, v160, -v15 :: v_dual_add_f32 v7, v7, v41
	v_add_f32_e32 v9, v9, v13
	v_pk_mul_f32 v[124:125], v[184:185], v[168:169] op_sel:[1,1] op_sel_hi:[0,1]
	v_fmac_f32_e32 v45, v243, v162
	s_delay_alu instid0(VALU_DEP_4) | instskip(NEXT) | instid1(VALU_DEP_4)
	v_dual_fma_f32 v13, v242, v162, -v17 :: v_dual_add_f32 v7, v7, v43
	v_add_f32_e32 v9, v9, v11
	s_set_vgpr_msb 64                       ;  msbs: dst=1 src0=0 src1=0 src2=0
	v_dual_mul_f32 v1 /*v257*/, v210, v167 :: v_dual_fma_f32 v0 /*v256*/, v210, v166, -v21
	s_wait_loadcnt 0x3
	s_set_vgpr_msb 0                        ;  msbs: dst=0 src0=0 src1=0 src2=0
	v_dual_mov_b32 v130, v175 :: v_dual_fmac_f32 v255, v209, v164
	v_dual_fma_f32 v254, v208, v164, -v19 :: v_dual_add_f32 v133, v7, v45
	v_pk_fma_f32 v[134:135], v[184:185], v[168:169], v[124:125] op_sel_hi:[1,0,1]
	v_add_f32_e32 v132, v9, v13
	v_pk_fma_f32 v[124:125], v[184:185], v[168:169], v[124:125] neg_lo:[0,0,1] neg_hi:[0,0,1]
	s_set_vgpr_msb 64                       ;  msbs: dst=1 src0=0 src1=0 src2=0
	v_fmac_f32_e32 v1 /*v257*/, v211, v166
	s_set_vgpr_msb 0                        ;  msbs: dst=0 src0=0 src1=0 src2=0
	v_pk_mul_f32 v[126:127], v[246:247], v[126:127] op_sel_hi:[1,0]
	v_mov_b32_e32 v125, v135
	v_pk_add_f32 v[132:133], v[132:133], v[254:255]
	v_pk_mul_f32 v[128:129], v[188:189], v[172:173] op_sel:[1,1] op_sel_hi:[0,1]
	v_pk_mul_f32 v[130:131], v[248:249], v[130:131] op_sel_hi:[1,0]
	v_pk_fma_f32 v[134:135], v[186:187], v[170:171], v[126:127] op_sel_hi:[1,0,1]
	v_pk_fma_f32 v[126:127], v[186:187], v[170:171], v[126:127] neg_lo:[0,0,1] neg_hi:[0,0,1]
	s_set_vgpr_msb 4                        ;  msbs: dst=0 src0=0 src1=1 src2=0
	v_pk_add_f32 v[132:133], v[132:133], v[0:1] /*v[256:257]*/
	s_set_vgpr_msb 0                        ;  msbs: dst=0 src0=0 src1=0 src2=0
	v_pk_fma_f32 v[138:139], v[188:189], v[172:173], v[128:129] op_sel_hi:[1,0,1]
	s_wait_loadcnt 0x2
	v_pk_mul_f32 v[136:137], v[192:193], v[176:177] op_sel:[1,1] op_sel_hi:[0,1]
	v_mov_b32_e32 v127, v135
	v_pk_fma_f32 v[128:129], v[188:189], v[172:173], v[128:129] neg_lo:[0,0,1] neg_hi:[0,0,1]
	v_pk_add_f32 v[124:125], v[132:133], v[124:125]
	v_mov_b32_e32 v132, v179
	v_pk_fma_f32 v[134:135], v[190:191], v[174:175], v[130:131] op_sel_hi:[1,0,1]
	v_mov_b32_e32 v129, v139
	v_pk_fma_f32 v[130:131], v[190:191], v[174:175], v[130:131] neg_lo:[0,0,1] neg_hi:[0,0,1]
	v_pk_add_f32 v[124:125], v[124:125], v[126:127]
	v_pk_fma_f32 v[126:127], v[192:193], v[176:177], v[136:137] op_sel_hi:[1,0,1]
	v_pk_mul_f32 v[132:133], v[250:251], v[132:133] op_sel_hi:[1,0]
	v_mov_b32_e32 v131, v135
	v_pk_fma_f32 v[134:135], v[192:193], v[176:177], v[136:137] neg_lo:[0,0,1] neg_hi:[0,0,1]
	v_pk_add_f32 v[124:125], v[124:125], v[128:129]
	v_mov_b32_e32 v135, v127
	v_pk_fma_f32 v[126:127], v[194:195], v[178:179], v[132:133] op_sel_hi:[1,0,1]
	s_wait_loadcnt 0x1
	v_pk_mul_f32 v[128:129], v[196:197], v[180:181] op_sel:[1,1] op_sel_hi:[0,1]
	v_mov_b32_e32 v126, v183
	v_pk_add_f32 v[124:125], v[124:125], v[130:131]
	v_pk_fma_f32 v[132:133], v[194:195], v[178:179], v[132:133] neg_lo:[0,0,1] neg_hi:[0,0,1]
	s_delay_alu instid0(VALU_DEP_4) | instskip(SKIP_1) | instid1(VALU_DEP_4)
	v_pk_fma_f32 v[130:131], v[196:197], v[180:181], v[128:129] op_sel_hi:[1,0,1]
	v_mov_b32_e32 v133, v127
	v_pk_add_f32 v[124:125], v[124:125], v[134:135]
	v_pk_mul_f32 v[126:127], v[252:253], v[126:127] op_sel_hi:[1,0]
	v_pk_fma_f32 v[128:129], v[196:197], v[180:181], v[128:129] neg_lo:[0,0,1] neg_hi:[0,0,1]
	v_mov_b32_e32 v129, v131
	s_delay_alu instid0(VALU_DEP_4) | instskip(NEXT) | instid1(VALU_DEP_4)
	v_pk_add_f32 v[124:125], v[124:125], v[132:133]
	v_pk_fma_f32 v[130:131], v[198:199], v[182:183], v[126:127] op_sel_hi:[1,0,1]
	v_pk_fma_f32 v[126:127], v[198:199], v[182:183], v[126:127] neg_lo:[0,0,1] neg_hi:[0,0,1]
	s_delay_alu instid0(VALU_DEP_3) | instskip(NEXT) | instid1(VALU_DEP_3)
	v_pk_add_f32 v[124:125], v[124:125], v[128:129]
	v_mov_b32_e32 v127, v131
	s_delay_alu instid0(VALU_DEP_1) | instskip(SKIP_1) | instid1(VALU_DEP_1)
	v_pk_add_f32 v[124:125], v[124:125], v[126:127]
	s_wait_loadcnt 0x0
	v_pk_add_f32 v[124:125], v[244:245], v[124:125] neg_lo:[0,1] neg_hi:[0,1]
	scratch_store_b64 off, v[124:125], off offset:240
	s_wait_xcnt 0x0
	v_cmpx_lt_u32_e32 29, v0
	s_cbranch_execz .LBB124_321
; %bb.320:
	scratch_load_b64 v[124:125], off, off offset:232
	v_mov_b64_e32 v[126:127], 0
	scratch_store_b64 off, v[126:127], off offset:232
	s_wait_loadcnt 0x0
	ds_store_b64 v1, v[124:125]
.LBB124_321:
	s_wait_xcnt 0x0
	s_or_b32 exec_lo, exec_lo, s0
	s_wait_storecnt_dscnt 0x0
	s_barrier_signal -1
	s_barrier_wait -1
	s_clause 0x10
	scratch_load_b128 v[124:127], off, off offset:240
	scratch_load_b128 v[128:131], off, off offset:256
	;; [unrolled: 1-line block ×15, first 2 shown]
	scratch_load_b64 v[244:245], off, off offset:480
	scratch_load_b64 v[246:247], off, off offset:232
	v_mov_b32_e32 v7, 0
	ds_load_b128 v[184:187], v7 offset:912
	ds_load_b128 v[188:191], v7 offset:928
	;; [unrolled: 1-line block ×15, first 2 shown]
	ds_load_b64 v[248:249], v7 offset:976
	s_mov_b32 s0, exec_lo
	s_wait_dscnt 0xf
	v_dual_mov_b32 v250, v187 :: v_dual_mov_b32 v251, v186
	s_wait_dscnt 0xd
	v_dual_mov_b32 v252, v191 :: v_dual_mov_b32 v255, v194
	v_dual_mov_b32 v253, v190 :: v_dual_mov_b32 v254, v195
	s_wait_dscnt 0xc
	s_set_vgpr_msb 64                       ;  msbs: dst=1 src0=0 src1=0 src2=0
	v_dual_mov_b32 v0 /*v256*/, v199 :: v_dual_mov_b32 v1 /*v257*/, v198
	s_wait_loadcnt_dscnt 0x100b
	s_set_vgpr_msb 0                        ;  msbs: dst=0 src0=0 src1=0 src2=0
	v_dual_mul_f32 v9, v200, v125 :: v_dual_mul_f32 v51, v201, v125
	v_dual_mul_f32 v53, v203, v127 :: v_dual_mul_f32 v11, v202, v127
	s_wait_loadcnt_dscnt 0xf09
	v_mul_f32_e32 v13, v208, v129
	s_wait_loadcnt_dscnt 0xd07
	v_dual_mul_f32 v63, v217, v137 :: v_dual_fma_f32 v51, v200, v124, -v51
	v_dual_fmac_f32 v9, v201, v124 :: v_dual_mul_f32 v65, v219, v139
	v_dual_mul_f32 v55, v209, v129 :: v_dual_mul_f32 v57, v211, v131
	v_dual_fmac_f32 v11, v203, v126 :: v_dual_fma_f32 v53, v202, v126, -v53
	s_delay_alu instid0(VALU_DEP_3) | instskip(SKIP_4) | instid1(VALU_DEP_3)
	v_dual_add_f32 v9, 0, v9 :: v_dual_add_f32 v51, 0, v51
	v_dual_mul_f32 v15, v210, v131 :: v_dual_mul_f32 v17, v212, v133
	s_wait_loadcnt_dscnt 0xc06
	v_dual_mul_f32 v67, v221, v141 :: v_dual_fma_f32 v55, v208, v128, -v55
	v_fmac_f32_e32 v13, v209, v128
	v_dual_add_f32 v9, v9, v11 :: v_dual_fmac_f32 v15, v211, v130
	v_add_f32_e32 v11, v51, v53
	v_dual_mul_f32 v59, v213, v133 :: v_dual_mul_f32 v61, v215, v135
	v_dual_mul_f32 v51, v223, v143 :: v_dual_fma_f32 v53, v210, v130, -v57
	s_delay_alu instid0(VALU_DEP_3) | instskip(SKIP_3) | instid1(VALU_DEP_3)
	v_dual_add_f32 v9, v9, v13 :: v_dual_add_f32 v11, v11, v55
	v_dual_mul_f32 v19, v214, v135 :: v_dual_mul_f32 v21, v216, v137
	s_wait_loadcnt_dscnt 0xb05
	v_dual_mul_f32 v13, v225, v145 :: v_dual_fma_f32 v55, v212, v132, -v59
	v_dual_fmac_f32 v17, v213, v132 :: v_dual_add_f32 v11, v11, v53
	s_delay_alu instid0(VALU_DEP_3) | instskip(SKIP_1) | instid1(VALU_DEP_2)
	v_dual_add_f32 v9, v9, v15 :: v_dual_fmac_f32 v19, v215, v134
	v_dual_mul_f32 v15, v227, v147 :: v_dual_fma_f32 v53, v214, v134, -v61
	v_dual_add_f32 v11, v11, v55 :: v_dual_add_f32 v9, v9, v17
	v_dual_mul_f32 v23, v218, v139 :: v_dual_mul_f32 v25, v220, v141
	s_wait_loadcnt_dscnt 0xa04
	v_dual_mul_f32 v17, v229, v149 :: v_dual_fma_f32 v55, v216, v136, -v63
	s_delay_alu instid0(VALU_DEP_3) | instskip(NEXT) | instid1(VALU_DEP_3)
	v_dual_fmac_f32 v21, v217, v136 :: v_dual_add_f32 v11, v11, v53
	v_dual_add_f32 v9, v9, v19 :: v_dual_fmac_f32 v23, v219, v138
	v_dual_mul_f32 v19, v231, v151 :: v_dual_fma_f32 v53, v218, v138, -v65
	s_delay_alu instid0(VALU_DEP_2) | instskip(SKIP_3) | instid1(VALU_DEP_3)
	v_dual_add_f32 v11, v11, v55 :: v_dual_add_f32 v9, v9, v21
	v_dual_mul_f32 v27, v222, v143 :: v_dual_mul_f32 v29, v224, v145
	s_wait_loadcnt_dscnt 0x903
	v_dual_mul_f32 v21, v233, v153 :: v_dual_fma_f32 v55, v220, v140, -v67
	v_dual_fmac_f32 v25, v221, v140 :: v_dual_add_f32 v11, v11, v53
	s_delay_alu instid0(VALU_DEP_3) | instskip(SKIP_1) | instid1(VALU_DEP_2)
	v_dual_add_f32 v9, v9, v23 :: v_dual_fmac_f32 v27, v223, v142
	v_dual_mul_f32 v23, v235, v155 :: v_dual_fma_f32 v51, v222, v142, -v51
	v_dual_add_f32 v11, v11, v55 :: v_dual_add_f32 v9, v9, v25
	v_dual_mul_f32 v31, v226, v147 :: v_dual_mul_f32 v33, v228, v149
	s_wait_loadcnt_dscnt 0x802
	v_dual_mul_f32 v25, v237, v157 :: v_dual_fma_f32 v13, v224, v144, -v13
	s_delay_alu instid0(VALU_DEP_3) | instskip(NEXT) | instid1(VALU_DEP_3)
	v_dual_fmac_f32 v29, v225, v144 :: v_dual_add_f32 v11, v11, v51
	v_dual_add_f32 v9, v9, v27 :: v_dual_fmac_f32 v31, v227, v146
	v_dual_mul_f32 v27, v239, v159 :: v_dual_fma_f32 v15, v226, v146, -v15
	s_delay_alu instid0(VALU_DEP_3) | instskip(NEXT) | instid1(VALU_DEP_3)
	v_dual_add_f32 v11, v11, v13 :: v_dual_fmac_f32 v33, v229, v148
	v_dual_add_f32 v9, v9, v29 :: v_dual_fma_f32 v17, v228, v148, -v17
	v_dual_mul_f32 v35, v230, v151 :: v_dual_mul_f32 v37, v232, v153
	s_wait_loadcnt_dscnt 0x701
	s_delay_alu instid0(VALU_DEP_3) | instskip(NEXT) | instid1(VALU_DEP_2)
	v_dual_mul_f32 v13, v241, v161 :: v_dual_add_f32 v11, v11, v15
	v_dual_add_f32 v9, v9, v31 :: v_dual_fmac_f32 v35, v231, v150
	v_dual_mul_f32 v15, v243, v163 :: v_dual_fma_f32 v19, v230, v150, -v19
	s_delay_alu instid0(VALU_DEP_3) | instskip(NEXT) | instid1(VALU_DEP_3)
	v_dual_add_f32 v11, v11, v17 :: v_dual_fmac_f32 v37, v233, v152
	v_dual_add_f32 v9, v9, v33 :: v_dual_fma_f32 v21, v232, v152, -v21
	v_dual_mul_f32 v39, v234, v155 :: v_dual_mul_f32 v41, v236, v157
	s_wait_loadcnt 0x6
	s_delay_alu instid0(VALU_DEP_3) | instskip(NEXT) | instid1(VALU_DEP_2)
	v_dual_mul_f32 v17, v205, v165 :: v_dual_add_f32 v11, v11, v19
	v_dual_add_f32 v9, v9, v35 :: v_dual_fmac_f32 v39, v235, v154
	v_dual_mul_f32 v19, v207, v167 :: v_dual_fma_f32 v23, v234, v154, -v23
	s_delay_alu instid0(VALU_DEP_3) | instskip(NEXT) | instid1(VALU_DEP_3)
	v_dual_add_f32 v11, v11, v21 :: v_dual_fmac_f32 v41, v237, v156
	v_dual_add_f32 v9, v9, v37 :: v_dual_fma_f32 v25, v236, v156, -v25
	v_dual_mul_f32 v43, v238, v159 :: v_dual_mul_f32 v45, v240, v161
	s_wait_loadcnt 0x5
	s_delay_alu instid0(VALU_DEP_3) | instskip(NEXT) | instid1(VALU_DEP_3)
	v_dual_mul_f32 v21, v185, v169 :: v_dual_add_f32 v11, v11, v23
	v_dual_add_f32 v9, v9, v39 :: v_dual_mov_b32 v124, v171
	s_delay_alu instid0(VALU_DEP_3) | instskip(NEXT) | instid1(VALU_DEP_3)
	v_fmac_f32_e32 v43, v239, v158
	v_dual_fma_f32 v23, v238, v158, -v27 :: v_dual_add_f32 v11, v11, v25
	s_delay_alu instid0(VALU_DEP_3) | instskip(SKIP_1) | instid1(VALU_DEP_3)
	v_dual_add_f32 v9, v9, v41 :: v_dual_mul_f32 v47, v242, v163
	v_dual_mul_f32 v49, v204, v165 :: v_dual_fmac_f32 v45, v241, v160
	v_dual_add_f32 v11, v11, v23 :: v_dual_fma_f32 v13, v240, v160, -v13
	s_wait_loadcnt 0x4
	s_delay_alu instid0(VALU_DEP_3) | instskip(SKIP_3) | instid1(VALU_DEP_4)
	v_dual_add_f32 v9, v9, v43 :: v_dual_mov_b32 v128, v175
	v_fma_f32 v15, v242, v162, -v15
	v_fmac_f32_e32 v47, v243, v162
	v_dual_add_f32 v11, v11, v13 :: v_dual_fmac_f32 v49, v205, v164
	v_add_f32_e32 v9, v9, v45
	s_set_vgpr_msb 64                       ;  msbs: dst=1 src0=0 src1=0 src2=0
	v_dual_mul_f32 v3 /*v259*/, v206, v167 :: v_dual_mul_f32 v5 /*v261*/, v184, v169
	s_set_vgpr_msb 0                        ;  msbs: dst=0 src0=0 src1=0 src2=0
	v_fma_f32 v13, v204, v164, -v17
	v_pk_mul_f32 v[124:125], v[250:251], v[124:125] op_sel_hi:[1,0]
	v_add_f32_e32 v9, v9, v47
	v_add_f32_e32 v11, v11, v15
	s_set_vgpr_msb 64                       ;  msbs: dst=1 src0=0 src1=0 src2=0
	v_dual_fmac_f32 v3 /*v259*/, v207, v166 :: v_dual_fmac_f32 v5 /*v261*/, v185, v168
	v_dual_fma_f32 v2 /*v258*/, v206, v166, -v19 :: v_dual_fma_f32 v4 /*v260*/, v184, v168, -v21
	s_set_vgpr_msb 0                        ;  msbs: dst=0 src0=0 src1=0 src2=0
	v_add_f32_e32 v133, v9, v49
	v_pk_fma_f32 v[136:137], v[186:187], v[170:171], v[124:125] op_sel_hi:[1,0,1]
	v_add_f32_e32 v132, v11, v13
	v_pk_fma_f32 v[124:125], v[186:187], v[170:171], v[124:125] neg_lo:[0,0,1] neg_hi:[0,0,1]
	v_pk_mul_f32 v[126:127], v[188:189], v[172:173] op_sel:[1,1] op_sel_hi:[0,1]
	v_pk_mul_f32 v[128:129], v[252:253], v[128:129] op_sel_hi:[1,0]
	v_mov_b32_e32 v125, v137
	s_set_vgpr_msb 4                        ;  msbs: dst=0 src0=0 src1=1 src2=0
	v_pk_add_f32 v[132:133], v[132:133], v[2:3] /*v[258:259]*/
	s_wait_loadcnt 0x3
	s_set_vgpr_msb 0                        ;  msbs: dst=0 src0=0 src1=0 src2=0
	v_pk_mul_f32 v[130:131], v[192:193], v[176:177] op_sel:[1,1] op_sel_hi:[0,1]
	v_pk_fma_f32 v[138:139], v[188:189], v[172:173], v[126:127] op_sel_hi:[1,0,1]
	v_pk_fma_f32 v[126:127], v[188:189], v[172:173], v[126:127] neg_lo:[0,0,1] neg_hi:[0,0,1]
	v_mov_b32_e32 v134, v179
	s_set_vgpr_msb 4                        ;  msbs: dst=0 src0=0 src1=1 src2=0
	v_pk_add_f32 v[132:133], v[132:133], v[4:5] /*v[260:261]*/
	s_wait_loadcnt 0x2
	s_set_vgpr_msb 0                        ;  msbs: dst=0 src0=0 src1=0 src2=0
	v_pk_mul_f32 v[136:137], v[196:197], v[180:181] op_sel:[1,1] op_sel_hi:[0,1]
	v_mov_b32_e32 v127, v139
	v_pk_fma_f32 v[138:139], v[190:191], v[174:175], v[128:129] op_sel_hi:[1,0,1]
	v_pk_fma_f32 v[128:129], v[190:191], v[174:175], v[128:129] neg_lo:[0,0,1] neg_hi:[0,0,1]
	v_pk_add_f32 v[124:125], v[132:133], v[124:125]
	v_pk_fma_f32 v[132:133], v[192:193], v[176:177], v[130:131] op_sel_hi:[1,0,1]
	v_pk_mul_f32 v[134:135], v[254:255], v[134:135] op_sel_hi:[1,0]
	v_mov_b32_e32 v129, v139
	v_pk_fma_f32 v[130:131], v[192:193], v[176:177], v[130:131] neg_lo:[0,0,1] neg_hi:[0,0,1]
	v_pk_add_f32 v[124:125], v[124:125], v[126:127]
	v_dual_mov_b32 v126, v183 :: v_dual_mov_b32 v131, v133
	v_pk_fma_f32 v[132:133], v[194:195], v[178:179], v[134:135] op_sel_hi:[1,0,1]
	v_pk_fma_f32 v[134:135], v[194:195], v[178:179], v[134:135] neg_lo:[0,0,1] neg_hi:[0,0,1]
	s_delay_alu instid0(VALU_DEP_4)
	v_pk_add_f32 v[124:125], v[124:125], v[128:129]
	v_pk_fma_f32 v[128:129], v[196:197], v[180:181], v[136:137] op_sel_hi:[1,0,1]
	s_set_vgpr_msb 1                        ;  msbs: dst=0 src0=1 src1=0 src2=0
	v_pk_mul_f32 v[126:127], v[0:1] /*v[256:257]*/, v[126:127] op_sel_hi:[1,0]
	s_set_vgpr_msb 0                        ;  msbs: dst=0 src0=0 src1=0 src2=0
	v_mov_b32_e32 v135, v133
	s_wait_loadcnt_dscnt 0x100
	v_pk_mul_f32 v[132:133], v[248:249], v[244:245] op_sel:[1,1] op_sel_hi:[0,1]
	v_pk_add_f32 v[124:125], v[124:125], v[130:131]
	v_pk_fma_f32 v[130:131], v[196:197], v[180:181], v[136:137] neg_lo:[0,0,1] neg_hi:[0,0,1]
	v_mov_b32_e32 v131, v129
	v_pk_fma_f32 v[128:129], v[198:199], v[182:183], v[126:127] op_sel_hi:[1,0,1]
	v_pk_fma_f32 v[126:127], v[198:199], v[182:183], v[126:127] neg_lo:[0,0,1] neg_hi:[0,0,1]
	v_pk_add_f32 v[124:125], v[124:125], v[134:135]
	s_delay_alu instid0(VALU_DEP_3) | instskip(SKIP_1) | instid1(VALU_DEP_3)
	v_mov_b32_e32 v127, v129
	v_pk_fma_f32 v[128:129], v[248:249], v[244:245], v[132:133] op_sel_hi:[1,0,1]
	v_pk_add_f32 v[124:125], v[124:125], v[130:131]
	v_pk_fma_f32 v[130:131], v[248:249], v[244:245], v[132:133] neg_lo:[0,0,1] neg_hi:[0,0,1]
	s_delay_alu instid0(VALU_DEP_3) | instskip(NEXT) | instid1(VALU_DEP_3)
	v_mov_b32_e32 v131, v129
	v_pk_add_f32 v[124:125], v[124:125], v[126:127]
	s_delay_alu instid0(VALU_DEP_1) | instskip(SKIP_1) | instid1(VALU_DEP_1)
	v_pk_add_f32 v[124:125], v[124:125], v[130:131]
	s_wait_loadcnt 0x0
	v_pk_add_f32 v[124:125], v[246:247], v[124:125] neg_lo:[0,1] neg_hi:[0,1]
	scratch_store_b64 off, v[124:125], off offset:232
	s_wait_xcnt 0x0
	v_cmpx_lt_u32_e32 28, v0
	s_cbranch_execz .LBB124_323
; %bb.322:
	scratch_load_b64 v[124:125], off, off offset:224
	v_mov_b64_e32 v[126:127], 0
	scratch_store_b64 off, v[126:127], off offset:224
	s_wait_loadcnt 0x0
	ds_store_b64 v1, v[124:125]
.LBB124_323:
	s_wait_xcnt 0x0
	s_or_b32 exec_lo, exec_lo, s0
	s_wait_storecnt_dscnt 0x0
	s_barrier_signal -1
	s_barrier_wait -1
	s_clause 0x10
	scratch_load_b128 v[124:127], off, off offset:232
	scratch_load_b128 v[128:131], off, off offset:248
	;; [unrolled: 1-line block ×16, first 2 shown]
	scratch_load_b64 v[252:253], off, off offset:224
	ds_load_2addr_b64 v[188:191], v7 offset0:115 offset1:116
	ds_load_2addr_b64 v[192:195], v7 offset0:117 offset1:118
	ds_load_2addr_b64 v[196:199], v7 offset0:119 offset1:120
	ds_load_2addr_b64 v[200:203], v7 offset0:121 offset1:122
	ds_load_2addr_b64 v[204:207], v7 offset0:91 offset1:92
	ds_load_2addr_b64 v[208:211], v7 offset0:93 offset1:94
	ds_load_2addr_b64 v[212:215], v7 offset0:95 offset1:96
	ds_load_2addr_b64 v[216:219], v7 offset0:97 offset1:98
	ds_load_2addr_b64 v[220:223], v7 offset0:99 offset1:100
	ds_load_2addr_b64 v[224:227], v7 offset0:101 offset1:102
	ds_load_2addr_b64 v[228:231], v7 offset0:103 offset1:104
	ds_load_2addr_b64 v[232:235], v7 offset0:105 offset1:106
	ds_load_2addr_b64 v[236:239], v7 offset0:107 offset1:108
	ds_load_2addr_b64 v[240:243], v7 offset0:109 offset1:110
	ds_load_2addr_b64 v[244:247], v7 offset0:111 offset1:112
	ds_load_2addr_b64 v[248:251], v7 offset0:113 offset1:114
	s_mov_b32 s0, exec_lo
	s_wait_dscnt 0xf
	v_dual_mov_b32 v254, v191 :: v_dual_mov_b32 v255, v190
	s_wait_dscnt 0xe
	s_set_vgpr_msb 64                       ;  msbs: dst=1 src0=0 src1=0 src2=0
	v_dual_mov_b32 v0 /*v256*/, v195 :: v_dual_mov_b32 v1 /*v257*/, v194
	s_wait_dscnt 0xd
	v_dual_mov_b32 v2 /*v258*/, v199 :: v_dual_mov_b32 v3 /*v259*/, v198
	s_wait_dscnt 0xc
	v_dual_mov_b32 v4 /*v260*/, v203 :: v_dual_mov_b32 v5 /*v261*/, v202
	s_wait_loadcnt_dscnt 0x100b
	s_set_vgpr_msb 0                        ;  msbs: dst=0 src0=0 src1=0 src2=0
	v_dual_mul_f32 v7, v204, v125 :: v_dual_mul_f32 v9, v206, v127
	v_dual_mul_f32 v51, v205, v125 :: v_dual_mul_f32 v53, v207, v127
	s_wait_loadcnt_dscnt 0xf0a
	v_dual_mul_f32 v11, v208, v129 :: v_dual_mul_f32 v13, v210, v131
	s_delay_alu instid0(VALU_DEP_3) | instskip(SKIP_3) | instid1(VALU_DEP_3)
	v_dual_fmac_f32 v7, v205, v124 :: v_dual_fmac_f32 v9, v207, v126
	s_wait_loadcnt_dscnt 0xd08
	v_dual_fma_f32 v51, v204, v124, -v51 :: v_dual_mul_f32 v63, v217, v137
	v_dual_mul_f32 v55, v209, v129 :: v_dual_mul_f32 v57, v211, v131
	v_dual_fma_f32 v53, v206, v126, -v53 :: v_dual_add_f32 v7, 0, v7
	s_delay_alu instid0(VALU_DEP_3) | instskip(SKIP_1) | instid1(VALU_DEP_4)
	v_dual_add_f32 v51, 0, v51 :: v_dual_fmac_f32 v11, v209, v128
	v_dual_mul_f32 v15, v212, v133 :: v_dual_mul_f32 v17, v214, v135
	v_dual_mul_f32 v65, v219, v139 :: v_dual_fma_f32 v55, v208, v128, -v55
	s_delay_alu instid0(VALU_DEP_4) | instskip(NEXT) | instid1(VALU_DEP_3)
	v_add_f32_e32 v7, v7, v9
	v_dual_add_f32 v9, v51, v53 :: v_dual_fmac_f32 v15, v213, v132
	v_dual_mul_f32 v59, v213, v133 :: v_dual_mul_f32 v61, v215, v135
	s_wait_loadcnt_dscnt 0xc07
	v_dual_mul_f32 v51, v221, v141 :: v_dual_fmac_f32 v13, v211, v130
	v_dual_fma_f32 v53, v210, v130, -v57 :: v_dual_add_f32 v7, v7, v11
	s_delay_alu instid0(VALU_DEP_3) | instskip(SKIP_1) | instid1(VALU_DEP_3)
	v_dual_add_f32 v9, v9, v55 :: v_dual_fma_f32 v55, v212, v132, -v59
	v_dual_mul_f32 v19, v216, v137 :: v_dual_mul_f32 v21, v218, v139
	v_add_f32_e32 v7, v7, v13
	s_delay_alu instid0(VALU_DEP_3) | instskip(SKIP_2) | instid1(VALU_DEP_3)
	v_dual_mul_f32 v11, v223, v143 :: v_dual_add_f32 v9, v9, v53
	s_wait_loadcnt_dscnt 0xb06
	v_dual_mul_f32 v13, v225, v145 :: v_dual_fmac_f32 v17, v215, v134
	v_dual_fma_f32 v53, v214, v134, -v61 :: v_dual_add_f32 v7, v7, v15
	s_delay_alu instid0(VALU_DEP_3) | instskip(SKIP_1) | instid1(VALU_DEP_3)
	v_dual_add_f32 v9, v9, v55 :: v_dual_fma_f32 v55, v216, v136, -v63
	v_dual_mul_f32 v15, v227, v147 :: v_dual_fmac_f32 v19, v217, v136
	v_add_f32_e32 v7, v7, v17
	s_delay_alu instid0(VALU_DEP_3)
	v_dual_add_f32 v9, v9, v53 :: v_dual_fmac_f32 v21, v219, v138
	v_dual_mul_f32 v23, v220, v141 :: v_dual_mul_f32 v25, v222, v143
	s_wait_loadcnt_dscnt 0xa05
	v_dual_fma_f32 v53, v218, v138, -v65 :: v_dual_mul_f32 v17, v229, v149
	v_add_f32_e32 v7, v7, v19
	v_dual_add_f32 v9, v9, v55 :: v_dual_fma_f32 v51, v220, v140, -v51
	v_dual_mul_f32 v19, v231, v151 :: v_dual_fmac_f32 v23, v221, v140
	s_delay_alu instid0(VALU_DEP_3) | instskip(NEXT) | instid1(VALU_DEP_3)
	v_dual_add_f32 v7, v7, v21 :: v_dual_fma_f32 v11, v222, v142, -v11
	v_dual_add_f32 v9, v9, v53 :: v_dual_fmac_f32 v25, v223, v142
	v_dual_mul_f32 v27, v224, v145 :: v_dual_mul_f32 v29, v226, v147
	s_wait_loadcnt_dscnt 0x904
	s_delay_alu instid0(VALU_DEP_3) | instskip(NEXT) | instid1(VALU_DEP_3)
	v_dual_mul_f32 v21, v233, v153 :: v_dual_add_f32 v7, v7, v23
	v_dual_add_f32 v9, v9, v51 :: v_dual_fma_f32 v13, v224, v144, -v13
	s_delay_alu instid0(VALU_DEP_3) | instskip(NEXT) | instid1(VALU_DEP_2)
	v_dual_mul_f32 v23, v235, v155 :: v_dual_fmac_f32 v27, v225, v144
	v_dual_add_f32 v7, v7, v25 :: v_dual_add_f32 v9, v9, v11
	v_dual_mul_f32 v31, v228, v149 :: v_dual_mul_f32 v33, v230, v151
	s_wait_loadcnt_dscnt 0x803
	v_dual_mul_f32 v11, v237, v157 :: v_dual_fmac_f32 v29, v227, v146
	s_delay_alu instid0(VALU_DEP_3) | instskip(SKIP_2) | instid1(VALU_DEP_2)
	v_dual_fma_f32 v15, v226, v146, -v15 :: v_dual_add_f32 v7, v7, v27
	v_dual_add_f32 v9, v9, v13 :: v_dual_mul_f32 v13, v239, v159
	v_dual_fmac_f32 v31, v229, v148 :: v_dual_fma_f32 v17, v228, v148, -v17
	v_dual_add_f32 v7, v7, v29 :: v_dual_add_f32 v9, v9, v15
	v_dual_mul_f32 v35, v232, v153 :: v_dual_mul_f32 v37, v234, v155
	s_wait_loadcnt_dscnt 0x702
	v_dual_mul_f32 v15, v241, v161 :: v_dual_fmac_f32 v33, v231, v150
	s_delay_alu instid0(VALU_DEP_3) | instskip(SKIP_2) | instid1(VALU_DEP_2)
	v_dual_fma_f32 v19, v230, v150, -v19 :: v_dual_add_f32 v7, v7, v31
	v_dual_add_f32 v9, v9, v17 :: v_dual_mul_f32 v17, v243, v163
	v_dual_fmac_f32 v35, v233, v152 :: v_dual_fma_f32 v21, v232, v152, -v21
	v_dual_add_f32 v7, v7, v33 :: v_dual_add_f32 v9, v9, v19
	v_dual_mul_f32 v39, v236, v157 :: v_dual_mul_f32 v41, v238, v159
	s_wait_loadcnt_dscnt 0x601
	v_dual_mul_f32 v19, v245, v165 :: v_dual_fmac_f32 v37, v235, v154
	s_delay_alu instid0(VALU_DEP_3) | instskip(SKIP_2) | instid1(VALU_DEP_3)
	v_dual_fma_f32 v23, v234, v154, -v23 :: v_dual_add_f32 v7, v7, v35
	v_dual_add_f32 v9, v9, v21 :: v_dual_mul_f32 v21, v247, v167
	v_fmac_f32_e32 v39, v237, v156
	v_dual_fma_f32 v11, v236, v156, -v11 :: v_dual_add_f32 v7, v7, v37
	s_delay_alu instid0(VALU_DEP_3)
	v_dual_add_f32 v9, v9, v23 :: v_dual_mul_f32 v43, v240, v161
	s_wait_loadcnt_dscnt 0x500
	v_dual_mul_f32 v45, v242, v163 :: v_dual_mul_f32 v23, v249, v169
	v_fmac_f32_e32 v41, v239, v158
	v_dual_fma_f32 v13, v238, v158, -v13 :: v_dual_add_f32 v7, v7, v39
	v_dual_add_f32 v9, v9, v11 :: v_dual_fma_f32 v15, v240, v160, -v15
	v_dual_mul_f32 v11, v251, v171 :: v_dual_fmac_f32 v43, v241, v160
	s_delay_alu instid0(VALU_DEP_3) | instskip(NEXT) | instid1(VALU_DEP_3)
	v_add_f32_e32 v7, v7, v41
	v_dual_add_f32 v9, v9, v13 :: v_dual_fmac_f32 v45, v243, v162
	v_dual_mul_f32 v47, v244, v165 :: v_dual_mul_f32 v49, v246, v167
	s_delay_alu instid0(VALU_DEP_3) | instskip(SKIP_1) | instid1(VALU_DEP_3)
	v_dual_fma_f32 v13, v242, v162, -v17 :: v_dual_add_f32 v7, v7, v43
	s_wait_loadcnt 0x4
	v_dual_add_f32 v9, v9, v15 :: v_dual_mov_b32 v126, v175
	s_delay_alu instid0(VALU_DEP_3) | instskip(NEXT) | instid1(VALU_DEP_3)
	v_fmac_f32_e32 v47, v245, v164
	v_dual_fma_f32 v15, v244, v164, -v19 :: v_dual_add_f32 v7, v7, v45
	s_delay_alu instid0(VALU_DEP_3)
	v_dual_add_f32 v9, v9, v13 :: v_dual_fmac_f32 v49, v247, v166
	s_set_vgpr_msb 64                       ;  msbs: dst=1 src0=0 src1=0 src2=0
	v_dual_mul_f32 v7 /*v263*/, v248, v169 :: v_dual_mul_f32 v9 /*v265*/, v250, v171
	s_set_vgpr_msb 0                        ;  msbs: dst=0 src0=0 src1=0 src2=0
	v_pk_mul_f32 v[124:125], v[188:189], v[172:173] op_sel:[1,1] op_sel_hi:[0,1]
	v_dual_fma_f32 v13, v246, v166, -v21 :: v_dual_add_f32 v7, v7, v47
	s_wait_loadcnt 0x3
	v_dual_add_f32 v9, v9, v15 :: v_dual_mov_b32 v130, v179
	s_set_vgpr_msb 64                       ;  msbs: dst=1 src0=0 src1=0 src2=0
	v_dual_fmac_f32 v7 /*v263*/, v249, v168 :: v_dual_fmac_f32 v9 /*v265*/, v251, v170
	v_fma_f32 v6 /*v262*/, v248, v168, -v23
	s_set_vgpr_msb 0                        ;  msbs: dst=0 src0=0 src1=0 src2=0
	v_add_f32_e32 v133, v7, v49
	v_pk_fma_f32 v[134:135], v[188:189], v[172:173], v[124:125] op_sel_hi:[1,0,1]
	v_add_f32_e32 v132, v9, v13
	v_pk_fma_f32 v[124:125], v[188:189], v[172:173], v[124:125] neg_lo:[0,0,1] neg_hi:[0,0,1]
	s_set_vgpr_msb 64                       ;  msbs: dst=1 src0=0 src1=0 src2=0
	v_fma_f32 v8 /*v264*/, v250, v170, -v11
	s_set_vgpr_msb 0                        ;  msbs: dst=0 src0=0 src1=0 src2=0
	v_pk_mul_f32 v[126:127], v[254:255], v[126:127] op_sel_hi:[1,0]
	v_mov_b32_e32 v125, v135
	s_set_vgpr_msb 4                        ;  msbs: dst=0 src0=0 src1=1 src2=0
	v_pk_add_f32 v[132:133], v[132:133], v[6:7] /*v[262:263]*/
	s_set_vgpr_msb 0                        ;  msbs: dst=0 src0=0 src1=0 src2=0
	v_pk_mul_f32 v[128:129], v[192:193], v[176:177] op_sel:[1,1] op_sel_hi:[0,1]
	s_set_vgpr_msb 1                        ;  msbs: dst=0 src0=1 src1=0 src2=0
	v_pk_mul_f32 v[130:131], v[0:1] /*v[256:257]*/, v[130:131] op_sel_hi:[1,0]
	s_set_vgpr_msb 0                        ;  msbs: dst=0 src0=0 src1=0 src2=0
	v_pk_fma_f32 v[134:135], v[190:191], v[174:175], v[126:127] op_sel_hi:[1,0,1]
	v_pk_fma_f32 v[126:127], v[190:191], v[174:175], v[126:127] neg_lo:[0,0,1] neg_hi:[0,0,1]
	s_set_vgpr_msb 4                        ;  msbs: dst=0 src0=0 src1=1 src2=0
	v_pk_add_f32 v[132:133], v[132:133], v[8:9] /*v[264:265]*/
	s_set_vgpr_msb 0                        ;  msbs: dst=0 src0=0 src1=0 src2=0
	v_pk_fma_f32 v[138:139], v[192:193], v[176:177], v[128:129] op_sel_hi:[1,0,1]
	s_wait_loadcnt 0x2
	v_pk_mul_f32 v[136:137], v[196:197], v[180:181] op_sel:[1,1] op_sel_hi:[0,1]
	v_mov_b32_e32 v127, v135
	v_pk_fma_f32 v[128:129], v[192:193], v[176:177], v[128:129] neg_lo:[0,0,1] neg_hi:[0,0,1]
	v_pk_add_f32 v[124:125], v[132:133], v[124:125]
	v_mov_b32_e32 v132, v183
	v_pk_fma_f32 v[134:135], v[194:195], v[178:179], v[130:131] op_sel_hi:[1,0,1]
	v_mov_b32_e32 v129, v139
	v_pk_fma_f32 v[130:131], v[194:195], v[178:179], v[130:131] neg_lo:[0,0,1] neg_hi:[0,0,1]
	v_pk_add_f32 v[124:125], v[124:125], v[126:127]
	v_pk_fma_f32 v[126:127], v[196:197], v[180:181], v[136:137] op_sel_hi:[1,0,1]
	s_set_vgpr_msb 1                        ;  msbs: dst=0 src0=1 src1=0 src2=0
	v_pk_mul_f32 v[132:133], v[2:3] /*v[258:259]*/, v[132:133] op_sel_hi:[1,0]
	s_set_vgpr_msb 0                        ;  msbs: dst=0 src0=0 src1=0 src2=0
	v_mov_b32_e32 v131, v135
	v_pk_fma_f32 v[134:135], v[196:197], v[180:181], v[136:137] neg_lo:[0,0,1] neg_hi:[0,0,1]
	v_pk_add_f32 v[124:125], v[124:125], v[128:129]
	v_mov_b32_e32 v135, v127
	v_pk_fma_f32 v[126:127], v[198:199], v[182:183], v[132:133] op_sel_hi:[1,0,1]
	s_wait_loadcnt 0x1
	v_pk_mul_f32 v[128:129], v[200:201], v[184:185] op_sel:[1,1] op_sel_hi:[0,1]
	v_mov_b32_e32 v126, v187
	v_pk_add_f32 v[124:125], v[124:125], v[130:131]
	v_pk_fma_f32 v[132:133], v[198:199], v[182:183], v[132:133] neg_lo:[0,0,1] neg_hi:[0,0,1]
	s_delay_alu instid0(VALU_DEP_4) | instskip(SKIP_1) | instid1(VALU_DEP_4)
	v_pk_fma_f32 v[130:131], v[200:201], v[184:185], v[128:129] op_sel_hi:[1,0,1]
	v_mov_b32_e32 v133, v127
	v_pk_add_f32 v[124:125], v[124:125], v[134:135]
	s_set_vgpr_msb 1                        ;  msbs: dst=0 src0=1 src1=0 src2=0
	v_pk_mul_f32 v[126:127], v[4:5] /*v[260:261]*/, v[126:127] op_sel_hi:[1,0]
	s_set_vgpr_msb 0                        ;  msbs: dst=0 src0=0 src1=0 src2=0
	v_pk_fma_f32 v[128:129], v[200:201], v[184:185], v[128:129] neg_lo:[0,0,1] neg_hi:[0,0,1]
	v_mov_b32_e32 v129, v131
	v_pk_add_f32 v[124:125], v[124:125], v[132:133]
	v_pk_fma_f32 v[130:131], v[202:203], v[186:187], v[126:127] op_sel_hi:[1,0,1]
	v_pk_fma_f32 v[126:127], v[202:203], v[186:187], v[126:127] neg_lo:[0,0,1] neg_hi:[0,0,1]
	s_delay_alu instid0(VALU_DEP_3) | instskip(NEXT) | instid1(VALU_DEP_3)
	v_pk_add_f32 v[124:125], v[124:125], v[128:129]
	v_mov_b32_e32 v127, v131
	s_delay_alu instid0(VALU_DEP_1) | instskip(SKIP_1) | instid1(VALU_DEP_1)
	v_pk_add_f32 v[124:125], v[124:125], v[126:127]
	s_wait_loadcnt 0x0
	v_pk_add_f32 v[124:125], v[252:253], v[124:125] neg_lo:[0,1] neg_hi:[0,1]
	scratch_store_b64 off, v[124:125], off offset:224
	s_wait_xcnt 0x0
	v_cmpx_lt_u32_e32 27, v0
	s_cbranch_execz .LBB124_325
; %bb.324:
	scratch_load_b64 v[124:125], off, off offset:216
	v_mov_b64_e32 v[126:127], 0
	scratch_store_b64 off, v[126:127], off offset:216
	s_wait_loadcnt 0x0
	ds_store_b64 v1, v[124:125]
.LBB124_325:
	s_wait_xcnt 0x0
	s_or_b32 exec_lo, exec_lo, s0
	s_wait_storecnt_dscnt 0x0
	s_barrier_signal -1
	s_barrier_wait -1
	s_clause 0x11
	scratch_load_b128 v[124:127], off, off offset:224
	scratch_load_b128 v[128:131], off, off offset:240
	;; [unrolled: 1-line block ×16, first 2 shown]
	scratch_load_b64 v[252:253], off, off offset:480
	scratch_load_b64 v[254:255], off, off offset:216
	v_mov_b32_e32 v7, 0
	ds_load_b128 v[188:191], v7 offset:912
	ds_load_b128 v[192:195], v7 offset:928
	;; [unrolled: 1-line block ×16, first 2 shown]
	s_set_vgpr_msb 64                       ;  msbs: dst=1 src0=0 src1=0 src2=0
	ds_load_b64 v[0:1] /*v[256:257]*/, v7 offset:976
	s_mov_b32 s0, exec_lo
	s_wait_dscnt 0x10
	v_dual_mov_b32 v2 /*v258*/, v191 :: v_dual_mov_b32 v3 /*v259*/, v190
	s_wait_dscnt 0xf
	v_dual_mov_b32 v4 /*v260*/, v195 :: v_dual_mov_b32 v5 /*v261*/, v194
	;; [unrolled: 2-line block ×4, first 2 shown]
	s_wait_loadcnt_dscnt 0x110c
	s_set_vgpr_msb 0                        ;  msbs: dst=0 src0=0 src1=0 src2=0
	v_dual_mul_f32 v9, v204, v125 :: v_dual_mul_f32 v55, v205, v125
	v_dual_mul_f32 v57, v207, v127 :: v_dual_mul_f32 v11, v206, v127
	s_wait_loadcnt_dscnt 0x100b
	v_mul_f32_e32 v13, v208, v129
	s_wait_loadcnt_dscnt 0xe09
	v_dual_mul_f32 v67, v217, v137 :: v_dual_fma_f32 v55, v204, v124, -v55
	v_dual_fmac_f32 v9, v205, v124 :: v_dual_mul_f32 v69, v219, v139
	v_dual_mul_f32 v59, v209, v129 :: v_dual_mul_f32 v61, v211, v131
	v_dual_fmac_f32 v11, v207, v126 :: v_dual_fma_f32 v57, v206, v126, -v57
	s_delay_alu instid0(VALU_DEP_3) | instskip(SKIP_4) | instid1(VALU_DEP_3)
	v_dual_add_f32 v9, 0, v9 :: v_dual_add_f32 v55, 0, v55
	v_dual_mul_f32 v15, v210, v131 :: v_dual_mul_f32 v17, v212, v133
	s_wait_loadcnt_dscnt 0xd08
	v_dual_mul_f32 v71, v221, v141 :: v_dual_fma_f32 v59, v208, v128, -v59
	v_fmac_f32_e32 v13, v209, v128
	v_dual_add_f32 v9, v9, v11 :: v_dual_fmac_f32 v15, v211, v130
	v_add_f32_e32 v11, v55, v57
	v_dual_mul_f32 v63, v213, v133 :: v_dual_mul_f32 v65, v215, v135
	v_dual_mul_f32 v55, v223, v143 :: v_dual_fma_f32 v57, v210, v130, -v61
	s_delay_alu instid0(VALU_DEP_3) | instskip(SKIP_3) | instid1(VALU_DEP_3)
	v_dual_add_f32 v9, v9, v13 :: v_dual_add_f32 v11, v11, v59
	v_dual_mul_f32 v19, v214, v135 :: v_dual_mul_f32 v21, v216, v137
	s_wait_loadcnt_dscnt 0xc07
	v_dual_mul_f32 v13, v225, v145 :: v_dual_fma_f32 v59, v212, v132, -v63
	v_dual_fmac_f32 v17, v213, v132 :: v_dual_add_f32 v11, v11, v57
	s_delay_alu instid0(VALU_DEP_3) | instskip(SKIP_1) | instid1(VALU_DEP_2)
	v_dual_add_f32 v9, v9, v15 :: v_dual_fmac_f32 v19, v215, v134
	v_dual_mul_f32 v15, v227, v147 :: v_dual_fma_f32 v57, v214, v134, -v65
	v_dual_add_f32 v11, v11, v59 :: v_dual_add_f32 v9, v9, v17
	v_dual_mul_f32 v23, v218, v139 :: v_dual_mul_f32 v25, v220, v141
	s_wait_loadcnt_dscnt 0xb06
	v_dual_mul_f32 v17, v229, v149 :: v_dual_fma_f32 v59, v216, v136, -v67
	s_delay_alu instid0(VALU_DEP_3) | instskip(NEXT) | instid1(VALU_DEP_3)
	v_dual_fmac_f32 v21, v217, v136 :: v_dual_add_f32 v11, v11, v57
	v_dual_add_f32 v9, v9, v19 :: v_dual_fmac_f32 v23, v219, v138
	v_dual_mul_f32 v19, v231, v151 :: v_dual_fma_f32 v57, v218, v138, -v69
	s_delay_alu instid0(VALU_DEP_2) | instskip(SKIP_3) | instid1(VALU_DEP_3)
	v_dual_add_f32 v11, v11, v59 :: v_dual_add_f32 v9, v9, v21
	v_dual_mul_f32 v27, v222, v143 :: v_dual_mul_f32 v29, v224, v145
	s_wait_loadcnt_dscnt 0xa05
	v_dual_mul_f32 v21, v233, v153 :: v_dual_fma_f32 v59, v220, v140, -v71
	v_dual_fmac_f32 v25, v221, v140 :: v_dual_add_f32 v11, v11, v57
	s_delay_alu instid0(VALU_DEP_3) | instskip(SKIP_1) | instid1(VALU_DEP_2)
	v_dual_add_f32 v9, v9, v23 :: v_dual_fmac_f32 v27, v223, v142
	v_dual_mul_f32 v23, v235, v155 :: v_dual_fma_f32 v55, v222, v142, -v55
	v_dual_add_f32 v11, v11, v59 :: v_dual_add_f32 v9, v9, v25
	v_dual_mul_f32 v31, v226, v147 :: v_dual_mul_f32 v33, v228, v149
	s_wait_loadcnt_dscnt 0x904
	v_dual_mul_f32 v25, v237, v157 :: v_dual_fma_f32 v13, v224, v144, -v13
	s_delay_alu instid0(VALU_DEP_3) | instskip(NEXT) | instid1(VALU_DEP_3)
	v_dual_fmac_f32 v29, v225, v144 :: v_dual_add_f32 v11, v11, v55
	v_dual_add_f32 v9, v9, v27 :: v_dual_fmac_f32 v31, v227, v146
	v_dual_mul_f32 v27, v239, v159 :: v_dual_fma_f32 v15, v226, v146, -v15
	s_delay_alu instid0(VALU_DEP_3) | instskip(NEXT) | instid1(VALU_DEP_3)
	v_dual_add_f32 v11, v11, v13 :: v_dual_fmac_f32 v33, v229, v148
	v_dual_add_f32 v9, v9, v29 :: v_dual_fma_f32 v17, v228, v148, -v17
	v_dual_mul_f32 v35, v230, v151 :: v_dual_mul_f32 v37, v232, v153
	s_wait_loadcnt_dscnt 0x803
	s_delay_alu instid0(VALU_DEP_3) | instskip(NEXT) | instid1(VALU_DEP_2)
	v_dual_mul_f32 v13, v241, v161 :: v_dual_add_f32 v11, v11, v15
	v_dual_add_f32 v9, v9, v31 :: v_dual_fmac_f32 v35, v231, v150
	v_dual_mul_f32 v15, v243, v163 :: v_dual_fma_f32 v19, v230, v150, -v19
	s_delay_alu instid0(VALU_DEP_3) | instskip(NEXT) | instid1(VALU_DEP_3)
	v_dual_add_f32 v11, v11, v17 :: v_dual_fmac_f32 v37, v233, v152
	v_dual_add_f32 v9, v9, v33 :: v_dual_fma_f32 v21, v232, v152, -v21
	v_dual_mul_f32 v39, v234, v155 :: v_dual_mul_f32 v41, v236, v157
	s_wait_loadcnt_dscnt 0x702
	s_delay_alu instid0(VALU_DEP_3) | instskip(NEXT) | instid1(VALU_DEP_2)
	v_dual_mul_f32 v17, v245, v165 :: v_dual_add_f32 v11, v11, v19
	;; [unrolled: 9-line block ×3, first 2 shown]
	v_dual_add_f32 v9, v9, v39 :: v_dual_fmac_f32 v43, v239, v158
	v_dual_mul_f32 v23, v251, v171 :: v_dual_fma_f32 v27, v238, v158, -v27
	s_delay_alu instid0(VALU_DEP_3) | instskip(NEXT) | instid1(VALU_DEP_3)
	v_dual_add_f32 v11, v11, v25 :: v_dual_fmac_f32 v45, v241, v160
	v_dual_add_f32 v9, v9, v41 :: v_dual_fma_f32 v13, v240, v160, -v13
	v_dual_mul_f32 v47, v242, v163 :: v_dual_mul_f32 v49, v244, v165
	s_wait_loadcnt 0x5
	s_delay_alu instid0(VALU_DEP_3) | instskip(NEXT) | instid1(VALU_DEP_3)
	v_dual_mul_f32 v25, v189, v173 :: v_dual_add_f32 v11, v11, v27
	v_dual_add_f32 v9, v9, v43 :: v_dual_mov_b32 v124, v175
	s_delay_alu instid0(VALU_DEP_3) | instskip(NEXT) | instid1(VALU_DEP_3)
	v_fmac_f32_e32 v47, v243, v162
	v_dual_fma_f32 v15, v242, v162, -v15 :: v_dual_add_f32 v11, v11, v13
	s_delay_alu instid0(VALU_DEP_3) | instskip(SKIP_1) | instid1(VALU_DEP_3)
	v_dual_add_f32 v9, v9, v45 :: v_dual_mul_f32 v51, v246, v167
	v_dual_mul_f32 v53, v248, v169 :: v_dual_fmac_f32 v49, v245, v164
	v_dual_add_f32 v11, v11, v15 :: v_dual_fma_f32 v13, v244, v164, -v17
	s_wait_loadcnt 0x4
	s_delay_alu instid0(VALU_DEP_3) | instskip(SKIP_3) | instid1(VALU_DEP_4)
	v_dual_add_f32 v9, v9, v47 :: v_dual_mov_b32 v128, v179
	v_fma_f32 v15, v246, v166, -v19
	v_fmac_f32_e32 v51, v247, v166
	v_dual_add_f32 v11, v11, v13 :: v_dual_fmac_f32 v53, v249, v168
	v_add_f32_e32 v9, v9, v49
	s_set_vgpr_msb 64                       ;  msbs: dst=1 src0=0 src1=0 src2=0
	v_dual_mul_f32 v11 /*v267*/, v250, v171 :: v_dual_mul_f32 v13 /*v269*/, v188, v173
	s_set_vgpr_msb 0                        ;  msbs: dst=0 src0=0 src1=0 src2=0
	v_fma_f32 v13, v248, v168, -v21
	s_set_vgpr_msb 1                        ;  msbs: dst=0 src0=1 src1=0 src2=0
	v_pk_mul_f32 v[124:125], v[2:3] /*v[258:259]*/, v[124:125] op_sel_hi:[1,0]
	s_set_vgpr_msb 0                        ;  msbs: dst=0 src0=0 src1=0 src2=0
	v_add_f32_e32 v9, v9, v51
	v_add_f32_e32 v11, v11, v15
	s_set_vgpr_msb 64                       ;  msbs: dst=1 src0=0 src1=0 src2=0
	v_dual_fmac_f32 v11 /*v267*/, v251, v170 :: v_dual_fmac_f32 v13 /*v269*/, v189, v172
	v_dual_fma_f32 v10 /*v266*/, v250, v170, -v23 :: v_dual_fma_f32 v12 /*v268*/, v188, v172, -v25
	s_set_vgpr_msb 0                        ;  msbs: dst=0 src0=0 src1=0 src2=0
	v_add_f32_e32 v133, v9, v53
	v_pk_fma_f32 v[136:137], v[190:191], v[174:175], v[124:125] op_sel_hi:[1,0,1]
	v_add_f32_e32 v132, v11, v13
	v_pk_fma_f32 v[124:125], v[190:191], v[174:175], v[124:125] neg_lo:[0,0,1] neg_hi:[0,0,1]
	v_pk_mul_f32 v[126:127], v[192:193], v[176:177] op_sel:[1,1] op_sel_hi:[0,1]
	s_set_vgpr_msb 1                        ;  msbs: dst=0 src0=1 src1=0 src2=0
	v_pk_mul_f32 v[128:129], v[4:5] /*v[260:261]*/, v[128:129] op_sel_hi:[1,0]
	s_set_vgpr_msb 4                        ;  msbs: dst=0 src0=0 src1=1 src2=0
	v_mov_b32_e32 v125, v137
	v_pk_add_f32 v[132:133], v[132:133], v[10:11] /*v[266:267]*/
	s_wait_loadcnt 0x3
	s_set_vgpr_msb 0                        ;  msbs: dst=0 src0=0 src1=0 src2=0
	v_pk_mul_f32 v[130:131], v[196:197], v[180:181] op_sel:[1,1] op_sel_hi:[0,1]
	v_pk_fma_f32 v[138:139], v[192:193], v[176:177], v[126:127] op_sel_hi:[1,0,1]
	v_pk_fma_f32 v[126:127], v[192:193], v[176:177], v[126:127] neg_lo:[0,0,1] neg_hi:[0,0,1]
	v_mov_b32_e32 v134, v183
	s_set_vgpr_msb 4                        ;  msbs: dst=0 src0=0 src1=1 src2=0
	v_pk_add_f32 v[132:133], v[132:133], v[12:13] /*v[268:269]*/
	s_wait_loadcnt 0x2
	s_set_vgpr_msb 0                        ;  msbs: dst=0 src0=0 src1=0 src2=0
	v_pk_mul_f32 v[136:137], v[200:201], v[184:185] op_sel:[1,1] op_sel_hi:[0,1]
	v_mov_b32_e32 v127, v139
	v_pk_fma_f32 v[138:139], v[194:195], v[178:179], v[128:129] op_sel_hi:[1,0,1]
	v_pk_fma_f32 v[128:129], v[194:195], v[178:179], v[128:129] neg_lo:[0,0,1] neg_hi:[0,0,1]
	v_pk_add_f32 v[124:125], v[132:133], v[124:125]
	v_pk_fma_f32 v[132:133], v[196:197], v[180:181], v[130:131] op_sel_hi:[1,0,1]
	s_set_vgpr_msb 1                        ;  msbs: dst=0 src0=1 src1=0 src2=0
	v_pk_mul_f32 v[134:135], v[6:7] /*v[262:263]*/, v[134:135] op_sel_hi:[1,0]
	s_set_vgpr_msb 0                        ;  msbs: dst=0 src0=0 src1=0 src2=0
	v_mov_b32_e32 v129, v139
	v_pk_fma_f32 v[130:131], v[196:197], v[180:181], v[130:131] neg_lo:[0,0,1] neg_hi:[0,0,1]
	v_pk_add_f32 v[124:125], v[124:125], v[126:127]
	v_dual_mov_b32 v126, v187 :: v_dual_mov_b32 v131, v133
	v_pk_fma_f32 v[132:133], v[198:199], v[182:183], v[134:135] op_sel_hi:[1,0,1]
	v_pk_fma_f32 v[134:135], v[198:199], v[182:183], v[134:135] neg_lo:[0,0,1] neg_hi:[0,0,1]
	s_delay_alu instid0(VALU_DEP_4)
	v_pk_add_f32 v[124:125], v[124:125], v[128:129]
	v_pk_fma_f32 v[128:129], v[200:201], v[184:185], v[136:137] op_sel_hi:[1,0,1]
	s_set_vgpr_msb 1                        ;  msbs: dst=0 src0=1 src1=0 src2=0
	v_pk_mul_f32 v[126:127], v[8:9] /*v[264:265]*/, v[126:127] op_sel_hi:[1,0]
	s_set_vgpr_msb 0                        ;  msbs: dst=0 src0=0 src1=0 src2=0
	v_mov_b32_e32 v135, v133
	s_wait_loadcnt_dscnt 0x100
	s_set_vgpr_msb 1                        ;  msbs: dst=0 src0=1 src1=0 src2=0
	v_pk_mul_f32 v[132:133], v[0:1] /*v[256:257]*/, v[252:253] op_sel:[1,1] op_sel_hi:[0,1]
	s_set_vgpr_msb 0                        ;  msbs: dst=0 src0=0 src1=0 src2=0
	v_pk_add_f32 v[124:125], v[124:125], v[130:131]
	v_pk_fma_f32 v[130:131], v[200:201], v[184:185], v[136:137] neg_lo:[0,0,1] neg_hi:[0,0,1]
	v_mov_b32_e32 v131, v129
	v_pk_fma_f32 v[128:129], v[202:203], v[186:187], v[126:127] op_sel_hi:[1,0,1]
	v_pk_fma_f32 v[126:127], v[202:203], v[186:187], v[126:127] neg_lo:[0,0,1] neg_hi:[0,0,1]
	v_pk_add_f32 v[124:125], v[124:125], v[134:135]
	s_delay_alu instid0(VALU_DEP_3)
	v_mov_b32_e32 v127, v129
	s_set_vgpr_msb 1                        ;  msbs: dst=0 src0=1 src1=0 src2=0
	v_pk_fma_f32 v[128:129], v[0:1] /*v[256:257]*/, v[252:253], v[132:133] op_sel_hi:[1,0,1]
	s_set_vgpr_msb 0                        ;  msbs: dst=0 src0=0 src1=0 src2=0
	v_pk_add_f32 v[124:125], v[124:125], v[130:131]
	s_set_vgpr_msb 1                        ;  msbs: dst=0 src0=1 src1=0 src2=0
	v_pk_fma_f32 v[130:131], v[0:1] /*v[256:257]*/, v[252:253], v[132:133] neg_lo:[0,0,1] neg_hi:[0,0,1]
	s_set_vgpr_msb 0                        ;  msbs: dst=0 src0=0 src1=0 src2=0
	v_mov_b32_e32 v131, v129
	v_pk_add_f32 v[124:125], v[124:125], v[126:127]
	s_delay_alu instid0(VALU_DEP_1) | instskip(SKIP_1) | instid1(VALU_DEP_1)
	v_pk_add_f32 v[124:125], v[124:125], v[130:131]
	s_wait_loadcnt 0x0
	v_pk_add_f32 v[124:125], v[254:255], v[124:125] neg_lo:[0,1] neg_hi:[0,1]
	scratch_store_b64 off, v[124:125], off offset:216
	s_wait_xcnt 0x0
	v_cmpx_lt_u32_e32 26, v0
	s_cbranch_execz .LBB124_327
; %bb.326:
	scratch_load_b64 v[124:125], off, off offset:208
	v_mov_b64_e32 v[126:127], 0
	scratch_store_b64 off, v[126:127], off offset:208
	s_wait_loadcnt 0x0
	ds_store_b64 v1, v[124:125]
.LBB124_327:
	s_wait_xcnt 0x0
	s_or_b32 exec_lo, exec_lo, s0
	s_wait_storecnt_dscnt 0x0
	s_barrier_signal -1
	s_barrier_wait -1
	s_clause 0x12
	scratch_load_b128 v[124:127], off, off offset:216
	scratch_load_b128 v[128:131], off, off offset:232
	;; [unrolled: 1-line block ×17, first 2 shown]
	s_set_vgpr_msb 64                       ;  msbs: dst=1 src0=0 src1=0 src2=0
	scratch_load_b64 v[4:5] /*v[260:261]*/, off, off offset:208
	s_set_vgpr_msb 0                        ;  msbs: dst=0 src0=0 src1=0 src2=0
	ds_load_2addr_b64 v[192:195], v7 offset0:115 offset1:116
	ds_load_2addr_b64 v[196:199], v7 offset0:117 offset1:118
	;; [unrolled: 1-line block ×16, first 2 shown]
	s_set_vgpr_msb 64                       ;  msbs: dst=1 src0=0 src1=0 src2=0
	ds_load_2addr_b64 v[0:3] /*v[256:259]*/, v7 offset0:111 offset1:112
	s_mov_b32 s0, exec_lo
	s_wait_dscnt 0x10
	v_dual_mov_b32 v6 /*v262*/, v195 :: v_dual_mov_b32 v7 /*v263*/, v194
	s_wait_dscnt 0xf
	v_dual_mov_b32 v8 /*v264*/, v199 :: v_dual_mov_b32 v9 /*v265*/, v198
	;; [unrolled: 2-line block ×4, first 2 shown]
	s_wait_loadcnt_dscnt 0x110b
	s_set_vgpr_msb 0                        ;  msbs: dst=0 src0=0 src1=0 src2=0
	v_dual_mul_f32 v7, v212, v125 :: v_dual_mul_f32 v9, v214, v127
	v_dual_mul_f32 v55, v213, v125 :: v_dual_mul_f32 v57, v215, v127
	s_wait_loadcnt_dscnt 0x100a
	v_dual_mul_f32 v11, v216, v129 :: v_dual_mul_f32 v13, v218, v131
	s_delay_alu instid0(VALU_DEP_3) | instskip(SKIP_3) | instid1(VALU_DEP_3)
	v_dual_fmac_f32 v7, v213, v124 :: v_dual_fmac_f32 v9, v215, v126
	s_wait_loadcnt_dscnt 0xe08
	v_dual_fma_f32 v55, v212, v124, -v55 :: v_dual_mul_f32 v67, v225, v137
	v_dual_mul_f32 v59, v217, v129 :: v_dual_mul_f32 v61, v219, v131
	v_dual_fma_f32 v57, v214, v126, -v57 :: v_dual_add_f32 v7, 0, v7
	s_delay_alu instid0(VALU_DEP_3) | instskip(SKIP_1) | instid1(VALU_DEP_4)
	v_dual_add_f32 v55, 0, v55 :: v_dual_fmac_f32 v11, v217, v128
	v_dual_mul_f32 v15, v220, v133 :: v_dual_mul_f32 v17, v222, v135
	v_dual_mul_f32 v69, v227, v139 :: v_dual_fma_f32 v59, v216, v128, -v59
	s_delay_alu instid0(VALU_DEP_4) | instskip(NEXT) | instid1(VALU_DEP_3)
	v_add_f32_e32 v7, v7, v9
	v_dual_add_f32 v9, v55, v57 :: v_dual_fmac_f32 v15, v221, v132
	v_dual_mul_f32 v63, v221, v133 :: v_dual_mul_f32 v65, v223, v135
	s_wait_loadcnt_dscnt 0xd07
	v_dual_mul_f32 v55, v229, v141 :: v_dual_fmac_f32 v13, v219, v130
	v_dual_fma_f32 v57, v218, v130, -v61 :: v_dual_add_f32 v7, v7, v11
	s_delay_alu instid0(VALU_DEP_3) | instskip(SKIP_1) | instid1(VALU_DEP_3)
	v_dual_add_f32 v9, v9, v59 :: v_dual_fma_f32 v59, v220, v132, -v63
	v_dual_mul_f32 v19, v224, v137 :: v_dual_mul_f32 v21, v226, v139
	v_add_f32_e32 v7, v7, v13
	s_delay_alu instid0(VALU_DEP_3) | instskip(SKIP_2) | instid1(VALU_DEP_3)
	v_dual_mul_f32 v11, v231, v143 :: v_dual_add_f32 v9, v9, v57
	s_wait_loadcnt_dscnt 0xc06
	v_dual_mul_f32 v13, v233, v145 :: v_dual_fmac_f32 v17, v223, v134
	v_dual_fma_f32 v57, v222, v134, -v65 :: v_dual_add_f32 v7, v7, v15
	s_delay_alu instid0(VALU_DEP_3) | instskip(SKIP_1) | instid1(VALU_DEP_3)
	v_dual_add_f32 v9, v9, v59 :: v_dual_fma_f32 v59, v224, v136, -v67
	v_dual_mul_f32 v15, v235, v147 :: v_dual_fmac_f32 v19, v225, v136
	v_add_f32_e32 v7, v7, v17
	s_delay_alu instid0(VALU_DEP_3)
	v_dual_add_f32 v9, v9, v57 :: v_dual_fmac_f32 v21, v227, v138
	v_dual_mul_f32 v23, v228, v141 :: v_dual_mul_f32 v25, v230, v143
	s_wait_loadcnt_dscnt 0xb05
	v_dual_fma_f32 v57, v226, v138, -v69 :: v_dual_mul_f32 v17, v237, v149
	v_add_f32_e32 v7, v7, v19
	v_dual_add_f32 v9, v9, v59 :: v_dual_fma_f32 v55, v228, v140, -v55
	v_dual_mul_f32 v19, v239, v151 :: v_dual_fmac_f32 v23, v229, v140
	s_delay_alu instid0(VALU_DEP_3) | instskip(NEXT) | instid1(VALU_DEP_3)
	v_dual_add_f32 v7, v7, v21 :: v_dual_fma_f32 v11, v230, v142, -v11
	v_dual_add_f32 v9, v9, v57 :: v_dual_fmac_f32 v25, v231, v142
	v_dual_mul_f32 v27, v232, v145 :: v_dual_mul_f32 v29, v234, v147
	s_wait_loadcnt_dscnt 0xa04
	s_delay_alu instid0(VALU_DEP_3) | instskip(NEXT) | instid1(VALU_DEP_3)
	v_dual_mul_f32 v21, v241, v153 :: v_dual_add_f32 v7, v7, v23
	v_dual_add_f32 v9, v9, v55 :: v_dual_fma_f32 v13, v232, v144, -v13
	s_delay_alu instid0(VALU_DEP_3) | instskip(NEXT) | instid1(VALU_DEP_2)
	v_dual_mul_f32 v23, v243, v155 :: v_dual_fmac_f32 v27, v233, v144
	v_dual_add_f32 v7, v7, v25 :: v_dual_add_f32 v9, v9, v11
	v_dual_mul_f32 v31, v236, v149 :: v_dual_mul_f32 v33, v238, v151
	s_wait_loadcnt_dscnt 0x903
	v_dual_mul_f32 v11, v245, v157 :: v_dual_fmac_f32 v29, v235, v146
	s_delay_alu instid0(VALU_DEP_3) | instskip(SKIP_2) | instid1(VALU_DEP_2)
	v_dual_fma_f32 v15, v234, v146, -v15 :: v_dual_add_f32 v7, v7, v27
	v_dual_add_f32 v9, v9, v13 :: v_dual_mul_f32 v13, v247, v159
	v_dual_fmac_f32 v31, v237, v148 :: v_dual_fma_f32 v17, v236, v148, -v17
	v_dual_add_f32 v7, v7, v29 :: v_dual_add_f32 v9, v9, v15
	v_dual_mul_f32 v35, v240, v153 :: v_dual_mul_f32 v37, v242, v155
	s_wait_loadcnt_dscnt 0x802
	v_dual_mul_f32 v15, v249, v161 :: v_dual_fmac_f32 v33, v239, v150
	s_delay_alu instid0(VALU_DEP_3) | instskip(SKIP_2) | instid1(VALU_DEP_2)
	v_dual_fma_f32 v19, v238, v150, -v19 :: v_dual_add_f32 v7, v7, v31
	v_dual_add_f32 v9, v9, v17 :: v_dual_mul_f32 v17, v251, v163
	v_dual_fmac_f32 v35, v241, v152 :: v_dual_fma_f32 v21, v240, v152, -v21
	v_dual_add_f32 v7, v7, v33 :: v_dual_add_f32 v9, v9, v19
	v_dual_mul_f32 v39, v244, v157 :: v_dual_mul_f32 v41, v246, v159
	s_wait_loadcnt_dscnt 0x701
	v_dual_mul_f32 v19, v253, v165 :: v_dual_fmac_f32 v37, v243, v154
	s_delay_alu instid0(VALU_DEP_3) | instskip(SKIP_2) | instid1(VALU_DEP_3)
	v_dual_fma_f32 v23, v242, v154, -v23 :: v_dual_add_f32 v7, v7, v35
	v_dual_add_f32 v9, v9, v21 :: v_dual_mul_f32 v21, v255, v167
	v_fmac_f32_e32 v39, v245, v156
	v_dual_fma_f32 v11, v244, v156, -v11 :: v_dual_add_f32 v7, v7, v37
	s_delay_alu instid0(VALU_DEP_3) | instskip(SKIP_1) | instid1(VALU_DEP_3)
	v_dual_add_f32 v9, v9, v23 :: v_dual_mul_f32 v43, v248, v161
	v_dual_mul_f32 v45, v250, v163 :: v_dual_fmac_f32 v41, v247, v158
	v_dual_fma_f32 v13, v246, v158, -v13 :: v_dual_add_f32 v7, v7, v39
	s_delay_alu instid0(VALU_DEP_3) | instskip(NEXT) | instid1(VALU_DEP_4)
	v_add_f32_e32 v9, v9, v11
	v_fmac_f32_e32 v43, v249, v160
	v_fma_f32 v15, v248, v160, -v15
	v_dual_mul_f32 v47, v252, v165 :: v_dual_mul_f32 v49, v254, v167
	v_add_f32_e32 v7, v7, v41
	v_add_f32_e32 v9, v9, v13
	s_wait_loadcnt 0x5
	v_dual_mul_f32 v13, v209, v173 :: v_dual_fmac_f32 v45, v251, v162
	s_delay_alu instid0(VALU_DEP_3) | instskip(NEXT) | instid1(VALU_DEP_3)
	v_dual_fma_f32 v17, v250, v162, -v17 :: v_dual_add_f32 v7, v7, v43
	v_dual_add_f32 v9, v9, v15 :: v_dual_fma_f32 v19, v252, v164, -v19
	v_dual_mul_f32 v15, v211, v175 :: v_dual_fmac_f32 v47, v253, v164
	s_delay_alu instid0(VALU_DEP_3) | instskip(NEXT) | instid1(VALU_DEP_3)
	v_add_f32_e32 v7, v7, v45
	v_dual_add_f32 v9, v9, v17 :: v_dual_fmac_f32 v49, v255, v166
	s_wait_dscnt 0x0
	s_set_vgpr_msb 1                        ;  msbs: dst=0 src0=1 src1=0 src2=0
	v_dual_mul_f32 v51, v0 /*v256*/, v169 :: v_dual_mul_f32 v53, v2 /*v258*/, v171
	v_dual_mul_f32 v23, v1 /*v257*/, v169 :: v_dual_mul_f32 v11, v3 /*v259*/, v171
	s_set_vgpr_msb 0                        ;  msbs: dst=0 src0=0 src1=0 src2=0
	v_dual_fma_f32 v17, v254, v166, -v21 :: v_dual_add_f32 v9, v9, v19
	s_wait_loadcnt 0x4
	v_mov_b32_e32 v126, v179
	v_add_f32_e32 v7, v7, v47
	s_set_vgpr_msb 1                        ;  msbs: dst=0 src0=1 src1=0 src2=0
	v_dual_fmac_f32 v51, v1 /*v257*/, v168 :: v_dual_fmac_f32 v53, v3 /*v259*/, v170
	v_fma_f32 v19, v0 /*v256*/, v168, -v23
	s_set_vgpr_msb 0                        ;  msbs: dst=0 src0=0 src1=0 src2=0
	v_add_f32_e32 v9, v9, v17
	v_add_f32_e32 v7, v7, v49
	s_set_vgpr_msb 64                       ;  msbs: dst=1 src0=0 src1=0 src2=0
	v_dual_mul_f32 v15 /*v271*/, v208, v173 :: v_dual_mul_f32 v17 /*v273*/, v210, v175
	s_set_vgpr_msb 1                        ;  msbs: dst=0 src0=1 src1=0 src2=0
	v_fma_f32 v11, v2 /*v258*/, v170, -v11
	s_set_vgpr_msb 0                        ;  msbs: dst=0 src0=0 src1=0 src2=0
	v_add_f32_e32 v9, v9, v19
	v_add_f32_e32 v7, v7, v51
	v_pk_mul_f32 v[124:125], v[192:193], v[176:177] op_sel:[1,1] op_sel_hi:[0,1]
	s_wait_loadcnt 0x3
	v_mov_b32_e32 v130, v183
	s_set_vgpr_msb 64                       ;  msbs: dst=1 src0=0 src1=0 src2=0
	v_dual_fmac_f32 v15 /*v271*/, v209, v172 :: v_dual_fmac_f32 v17 /*v273*/, v211, v174
	v_dual_fma_f32 v14 /*v270*/, v208, v172, -v13 :: v_dual_fma_f32 v16 /*v272*/, v210, v174, -v15
	s_set_vgpr_msb 0                        ;  msbs: dst=0 src0=0 src1=0 src2=0
	v_dual_add_f32 v133, v7, v53 :: v_dual_add_f32 v132, v9, v11
	v_pk_fma_f32 v[134:135], v[192:193], v[176:177], v[124:125] op_sel_hi:[1,0,1]
	s_set_vgpr_msb 1                        ;  msbs: dst=0 src0=1 src1=0 src2=0
	v_pk_mul_f32 v[126:127], v[6:7] /*v[262:263]*/, v[126:127] op_sel_hi:[1,0]
	s_set_vgpr_msb 0                        ;  msbs: dst=0 src0=0 src1=0 src2=0
	v_pk_fma_f32 v[124:125], v[192:193], v[176:177], v[124:125] neg_lo:[0,0,1] neg_hi:[0,0,1]
	v_pk_mul_f32 v[128:129], v[196:197], v[180:181] op_sel:[1,1] op_sel_hi:[0,1]
	s_set_vgpr_msb 4                        ;  msbs: dst=0 src0=0 src1=1 src2=0
	v_pk_add_f32 v[132:133], v[132:133], v[14:15] /*v[270:271]*/
	v_mov_b32_e32 v125, v135
	s_set_vgpr_msb 0                        ;  msbs: dst=0 src0=0 src1=0 src2=0
	v_pk_fma_f32 v[134:135], v[194:195], v[178:179], v[126:127] op_sel_hi:[1,0,1]
	v_pk_fma_f32 v[126:127], v[194:195], v[178:179], v[126:127] neg_lo:[0,0,1] neg_hi:[0,0,1]
	v_pk_fma_f32 v[138:139], v[196:197], v[180:181], v[128:129] op_sel_hi:[1,0,1]
	s_set_vgpr_msb 4                        ;  msbs: dst=0 src0=0 src1=1 src2=0
	v_pk_add_f32 v[132:133], v[132:133], v[16:17] /*v[272:273]*/
	s_set_vgpr_msb 1                        ;  msbs: dst=0 src0=1 src1=0 src2=0
	v_pk_mul_f32 v[130:131], v[8:9] /*v[264:265]*/, v[130:131] op_sel_hi:[1,0]
	s_set_vgpr_msb 0                        ;  msbs: dst=0 src0=0 src1=0 src2=0
	v_mov_b32_e32 v127, v135
	s_wait_loadcnt 0x2
	v_pk_mul_f32 v[136:137], v[200:201], v[184:185] op_sel:[1,1] op_sel_hi:[0,1]
	v_pk_fma_f32 v[128:129], v[196:197], v[180:181], v[128:129] neg_lo:[0,0,1] neg_hi:[0,0,1]
	v_pk_add_f32 v[124:125], v[132:133], v[124:125]
	v_dual_mov_b32 v132, v187 :: v_dual_mov_b32 v129, v139
	v_pk_fma_f32 v[134:135], v[198:199], v[182:183], v[130:131] op_sel_hi:[1,0,1]
	v_pk_fma_f32 v[130:131], v[198:199], v[182:183], v[130:131] neg_lo:[0,0,1] neg_hi:[0,0,1]
	s_delay_alu instid0(VALU_DEP_4)
	v_pk_add_f32 v[124:125], v[124:125], v[126:127]
	v_pk_fma_f32 v[126:127], v[200:201], v[184:185], v[136:137] op_sel_hi:[1,0,1]
	s_set_vgpr_msb 1                        ;  msbs: dst=0 src0=1 src1=0 src2=0
	v_pk_mul_f32 v[132:133], v[10:11] /*v[266:267]*/, v[132:133] op_sel_hi:[1,0]
	s_set_vgpr_msb 0                        ;  msbs: dst=0 src0=0 src1=0 src2=0
	v_mov_b32_e32 v131, v135
	v_pk_fma_f32 v[134:135], v[200:201], v[184:185], v[136:137] neg_lo:[0,0,1] neg_hi:[0,0,1]
	v_pk_add_f32 v[124:125], v[124:125], v[128:129]
	v_mov_b32_e32 v135, v127
	v_pk_fma_f32 v[126:127], v[202:203], v[186:187], v[132:133] op_sel_hi:[1,0,1]
	s_wait_loadcnt 0x1
	v_pk_mul_f32 v[128:129], v[204:205], v[188:189] op_sel:[1,1] op_sel_hi:[0,1]
	v_mov_b32_e32 v126, v191
	v_pk_add_f32 v[124:125], v[124:125], v[130:131]
	v_pk_fma_f32 v[132:133], v[202:203], v[186:187], v[132:133] neg_lo:[0,0,1] neg_hi:[0,0,1]
	v_mov_b32_e32 v133, v127
	v_pk_fma_f32 v[130:131], v[204:205], v[188:189], v[128:129] op_sel_hi:[1,0,1]
	s_set_vgpr_msb 1                        ;  msbs: dst=0 src0=1 src1=0 src2=0
	v_pk_mul_f32 v[126:127], v[12:13] /*v[268:269]*/, v[126:127] op_sel_hi:[1,0]
	s_set_vgpr_msb 0                        ;  msbs: dst=0 src0=0 src1=0 src2=0
	v_pk_add_f32 v[124:125], v[124:125], v[134:135]
	v_pk_fma_f32 v[128:129], v[204:205], v[188:189], v[128:129] neg_lo:[0,0,1] neg_hi:[0,0,1]
	v_mov_b32_e32 v129, v131
	v_pk_fma_f32 v[130:131], v[206:207], v[190:191], v[126:127] op_sel_hi:[1,0,1]
	s_delay_alu instid0(VALU_DEP_4) | instskip(SKIP_1) | instid1(VALU_DEP_3)
	v_pk_add_f32 v[124:125], v[124:125], v[132:133]
	v_pk_fma_f32 v[126:127], v[206:207], v[190:191], v[126:127] neg_lo:[0,0,1] neg_hi:[0,0,1]
	v_mov_b32_e32 v127, v131
	s_delay_alu instid0(VALU_DEP_3) | instskip(NEXT) | instid1(VALU_DEP_1)
	v_pk_add_f32 v[124:125], v[124:125], v[128:129]
	v_pk_add_f32 v[124:125], v[124:125], v[126:127]
	s_wait_loadcnt 0x0
	s_set_vgpr_msb 1                        ;  msbs: dst=0 src0=1 src1=0 src2=0
	s_delay_alu instid0(VALU_DEP_1)
	v_pk_add_f32 v[124:125], v[4:5] /*v[260:261]*/, v[124:125] neg_lo:[0,1] neg_hi:[0,1]
	scratch_store_b64 off, v[124:125], off offset:208
	s_wait_xcnt 0x0
	v_cmpx_lt_u32_e32 25, v0
	s_set_vgpr_msb 0                        ;  msbs: dst=0 src0=0 src1=0 src2=0
	s_cbranch_execz .LBB124_329
; %bb.328:
	scratch_load_b64 v[124:125], off, off offset:200
	v_mov_b64_e32 v[126:127], 0
	scratch_store_b64 off, v[126:127], off offset:200
	s_wait_loadcnt 0x0
	ds_store_b64 v1, v[124:125]
.LBB124_329:
	s_wait_xcnt 0x0
	s_or_b32 exec_lo, exec_lo, s0
	s_wait_storecnt_dscnt 0x0
	s_barrier_signal -1
	s_barrier_wait -1
	s_clause 0x13
	scratch_load_b128 v[124:127], off, off offset:208
	scratch_load_b128 v[128:131], off, off offset:224
	;; [unrolled: 1-line block ×17, first 2 shown]
	s_set_vgpr_msb 64                       ;  msbs: dst=1 src0=0 src1=0 src2=0
	scratch_load_b64 v[4:5] /*v[260:261]*/, off, off offset:480
	scratch_load_b64 v[6:7] /*v[262:263]*/, off, off offset:200
	s_set_vgpr_msb 0                        ;  msbs: dst=0 src0=0 src1=0 src2=0
	v_mov_b32_e32 v7, 0
	ds_load_b128 v[192:195], v7 offset:912
	ds_load_b128 v[196:199], v7 offset:928
	;; [unrolled: 1-line block ×16, first 2 shown]
	s_set_vgpr_msb 64                       ;  msbs: dst=1 src0=0 src1=0 src2=0
	ds_load_b128 v[0:3] /*v[256:259]*/, v7 offset:880
	ds_load_b64 v[8:9] /*v[264:265]*/, v7 offset:976
	s_mov_b32 s0, exec_lo
	s_wait_dscnt 0x11
	v_dual_mov_b32 v10 /*v266*/, v195 :: v_dual_mov_b32 v11 /*v267*/, v194
	s_wait_dscnt 0x10
	v_dual_mov_b32 v12 /*v268*/, v199 :: v_dual_mov_b32 v13 /*v269*/, v198
	;; [unrolled: 2-line block ×4, first 2 shown]
	s_wait_loadcnt_dscnt 0x120c
	s_set_vgpr_msb 0                        ;  msbs: dst=0 src0=0 src1=0 src2=0
	v_dual_mul_f32 v9, v212, v125 :: v_dual_mul_f32 v59, v213, v125
	v_dual_mul_f32 v61, v215, v127 :: v_dual_mul_f32 v11, v214, v127
	s_wait_loadcnt_dscnt 0x110b
	v_mul_f32_e32 v13, v216, v129
	s_wait_loadcnt_dscnt 0xf09
	v_dual_mul_f32 v71, v225, v137 :: v_dual_fma_f32 v59, v212, v124, -v59
	v_dual_fmac_f32 v9, v213, v124 :: v_dual_mul_f32 v73, v227, v139
	v_dual_mul_f32 v63, v217, v129 :: v_dual_mul_f32 v65, v219, v131
	v_dual_fmac_f32 v11, v215, v126 :: v_dual_fma_f32 v61, v214, v126, -v61
	s_delay_alu instid0(VALU_DEP_3) | instskip(SKIP_4) | instid1(VALU_DEP_3)
	v_dual_add_f32 v9, 0, v9 :: v_dual_add_f32 v59, 0, v59
	v_dual_mul_f32 v15, v218, v131 :: v_dual_mul_f32 v17, v220, v133
	s_wait_loadcnt_dscnt 0xe08
	v_dual_mul_f32 v75, v229, v141 :: v_dual_fma_f32 v63, v216, v128, -v63
	v_fmac_f32_e32 v13, v217, v128
	v_dual_add_f32 v9, v9, v11 :: v_dual_fmac_f32 v15, v219, v130
	v_add_f32_e32 v11, v59, v61
	v_dual_mul_f32 v67, v221, v133 :: v_dual_mul_f32 v69, v223, v135
	v_dual_mul_f32 v59, v231, v143 :: v_dual_fma_f32 v61, v218, v130, -v65
	s_delay_alu instid0(VALU_DEP_3) | instskip(SKIP_3) | instid1(VALU_DEP_3)
	v_dual_add_f32 v9, v9, v13 :: v_dual_add_f32 v11, v11, v63
	v_dual_mul_f32 v19, v222, v135 :: v_dual_mul_f32 v21, v224, v137
	s_wait_loadcnt_dscnt 0xd07
	v_dual_mul_f32 v13, v233, v145 :: v_dual_fma_f32 v63, v220, v132, -v67
	v_dual_fmac_f32 v17, v221, v132 :: v_dual_add_f32 v11, v11, v61
	s_delay_alu instid0(VALU_DEP_3) | instskip(SKIP_1) | instid1(VALU_DEP_2)
	v_dual_add_f32 v9, v9, v15 :: v_dual_fmac_f32 v19, v223, v134
	v_dual_mul_f32 v15, v235, v147 :: v_dual_fma_f32 v61, v222, v134, -v69
	v_dual_add_f32 v11, v11, v63 :: v_dual_add_f32 v9, v9, v17
	v_dual_mul_f32 v23, v226, v139 :: v_dual_mul_f32 v25, v228, v141
	s_wait_loadcnt_dscnt 0xc06
	v_dual_mul_f32 v17, v237, v149 :: v_dual_fma_f32 v63, v224, v136, -v71
	s_delay_alu instid0(VALU_DEP_3) | instskip(NEXT) | instid1(VALU_DEP_3)
	v_dual_fmac_f32 v21, v225, v136 :: v_dual_add_f32 v11, v11, v61
	v_dual_add_f32 v9, v9, v19 :: v_dual_fmac_f32 v23, v227, v138
	v_dual_mul_f32 v19, v239, v151 :: v_dual_fma_f32 v61, v226, v138, -v73
	s_delay_alu instid0(VALU_DEP_2) | instskip(SKIP_3) | instid1(VALU_DEP_3)
	v_dual_add_f32 v11, v11, v63 :: v_dual_add_f32 v9, v9, v21
	v_dual_mul_f32 v27, v230, v143 :: v_dual_mul_f32 v29, v232, v145
	s_wait_loadcnt_dscnt 0xb05
	v_dual_mul_f32 v21, v241, v153 :: v_dual_fma_f32 v63, v228, v140, -v75
	v_dual_fmac_f32 v25, v229, v140 :: v_dual_add_f32 v11, v11, v61
	s_delay_alu instid0(VALU_DEP_3) | instskip(SKIP_1) | instid1(VALU_DEP_2)
	v_dual_add_f32 v9, v9, v23 :: v_dual_fmac_f32 v27, v231, v142
	v_dual_mul_f32 v23, v243, v155 :: v_dual_fma_f32 v59, v230, v142, -v59
	v_dual_add_f32 v11, v11, v63 :: v_dual_add_f32 v9, v9, v25
	v_dual_mul_f32 v31, v234, v147 :: v_dual_mul_f32 v33, v236, v149
	s_wait_loadcnt_dscnt 0xa04
	v_dual_mul_f32 v25, v245, v157 :: v_dual_fma_f32 v13, v232, v144, -v13
	s_delay_alu instid0(VALU_DEP_3) | instskip(NEXT) | instid1(VALU_DEP_3)
	v_dual_fmac_f32 v29, v233, v144 :: v_dual_add_f32 v11, v11, v59
	v_dual_add_f32 v9, v9, v27 :: v_dual_fmac_f32 v31, v235, v146
	v_dual_mul_f32 v27, v247, v159 :: v_dual_fma_f32 v15, v234, v146, -v15
	s_delay_alu instid0(VALU_DEP_3) | instskip(NEXT) | instid1(VALU_DEP_3)
	v_dual_add_f32 v11, v11, v13 :: v_dual_fmac_f32 v33, v237, v148
	v_dual_add_f32 v9, v9, v29 :: v_dual_fma_f32 v17, v236, v148, -v17
	v_dual_mul_f32 v35, v238, v151 :: v_dual_mul_f32 v37, v240, v153
	s_wait_loadcnt_dscnt 0x903
	s_delay_alu instid0(VALU_DEP_3) | instskip(NEXT) | instid1(VALU_DEP_2)
	v_dual_mul_f32 v13, v249, v161 :: v_dual_add_f32 v11, v11, v15
	v_dual_add_f32 v9, v9, v31 :: v_dual_fmac_f32 v35, v239, v150
	v_dual_mul_f32 v15, v251, v163 :: v_dual_fma_f32 v19, v238, v150, -v19
	s_delay_alu instid0(VALU_DEP_3) | instskip(NEXT) | instid1(VALU_DEP_3)
	v_dual_add_f32 v11, v11, v17 :: v_dual_fmac_f32 v37, v241, v152
	v_dual_add_f32 v9, v9, v33 :: v_dual_fma_f32 v21, v240, v152, -v21
	v_dual_mul_f32 v39, v242, v155 :: v_dual_mul_f32 v41, v244, v157
	s_wait_loadcnt_dscnt 0x802
	s_delay_alu instid0(VALU_DEP_3) | instskip(NEXT) | instid1(VALU_DEP_2)
	v_dual_mul_f32 v17, v253, v165 :: v_dual_add_f32 v11, v11, v19
	v_dual_add_f32 v9, v9, v35 :: v_dual_fmac_f32 v39, v243, v154
	v_dual_mul_f32 v19, v255, v167 :: v_dual_fma_f32 v23, v242, v154, -v23
	s_delay_alu instid0(VALU_DEP_3) | instskip(NEXT) | instid1(VALU_DEP_3)
	v_dual_add_f32 v11, v11, v21 :: v_dual_fmac_f32 v41, v245, v156
	v_dual_add_f32 v9, v9, v37 :: v_dual_fma_f32 v25, v244, v156, -v25
	v_dual_mul_f32 v43, v246, v159 :: v_dual_mul_f32 v45, v248, v161
	s_delay_alu instid0(VALU_DEP_3) | instskip(NEXT) | instid1(VALU_DEP_2)
	v_dual_add_f32 v11, v11, v23 :: v_dual_fma_f32 v27, v246, v158, -v27
	v_dual_add_f32 v9, v9, v39 :: v_dual_fmac_f32 v43, v247, v158
	v_dual_mul_f32 v47, v250, v163 :: v_dual_mul_f32 v49, v252, v165
	s_delay_alu instid0(VALU_DEP_3) | instskip(NEXT) | instid1(VALU_DEP_3)
	v_dual_add_f32 v11, v11, v25 :: v_dual_fmac_f32 v45, v249, v160
	v_dual_add_f32 v9, v9, v41 :: v_dual_fma_f32 v13, v248, v160, -v13
	s_wait_loadcnt 0x6
	s_delay_alu instid0(VALU_DEP_2) | instskip(SKIP_1) | instid1(VALU_DEP_3)
	v_dual_mul_f32 v25, v205, v173 :: v_dual_add_f32 v11, v11, v27
	v_dual_mul_f32 v27, v207, v175 :: v_dual_fma_f32 v15, v250, v162, -v15
	v_dual_add_f32 v9, v9, v43 :: v_dual_fmac_f32 v47, v251, v162
	s_delay_alu instid0(VALU_DEP_3) | instskip(SKIP_1) | instid1(VALU_DEP_3)
	v_dual_add_f32 v11, v11, v13 :: v_dual_fmac_f32 v49, v253, v164
	v_dual_mul_f32 v51, v254, v167 :: v_dual_mul_f32 v57, v204, v173
	v_dual_add_f32 v9, v9, v45 :: v_dual_fma_f32 v17, v252, v164, -v17
	s_wait_loadcnt 0x5
	s_delay_alu instid0(VALU_DEP_3)
	v_dual_mul_f32 v13, v193, v177 :: v_dual_add_f32 v11, v11, v15
	s_wait_dscnt 0x1
	s_set_vgpr_msb 1                        ;  msbs: dst=0 src0=1 src1=0 src2=0
	v_dual_mul_f32 v53, v0 /*v256*/, v169 :: v_dual_mul_f32 v55, v2 /*v258*/, v171
	s_set_vgpr_msb 0                        ;  msbs: dst=0 src0=0 src1=0 src2=0
	v_dual_add_f32 v9, v9, v47 :: v_dual_mov_b32 v124, v179
	s_set_vgpr_msb 1                        ;  msbs: dst=0 src0=1 src1=0 src2=0
	v_dual_mul_f32 v21, v1 /*v257*/, v169 :: v_dual_mul_f32 v23, v3 /*v259*/, v171
	s_set_vgpr_msb 0                        ;  msbs: dst=0 src0=0 src1=0 src2=0
	s_delay_alu instid0(VALU_DEP_2)
	v_dual_fmac_f32 v51, v255, v166 :: v_dual_add_f32 v9, v9, v49
	v_dual_fma_f32 v15, v254, v166, -v19 :: v_dual_add_f32 v11, v11, v17
	s_set_vgpr_msb 1                        ;  msbs: dst=0 src0=1 src1=0 src2=0
	v_dual_fmac_f32 v53, v1 /*v257*/, v168 :: v_dual_fmac_f32 v55, v3 /*v259*/, v170
	v_fma_f32 v17, v0 /*v256*/, v168, -v21
	s_wait_loadcnt 0x4
	s_set_vgpr_msb 0                        ;  msbs: dst=0 src0=0 src1=0 src2=0
	v_dual_add_f32 v9, v9, v51 :: v_dual_mov_b32 v128, v183
	v_add_f32_e32 v11, v11, v15
	s_set_vgpr_msb 1                        ;  msbs: dst=0 src0=1 src1=0 src2=0
	v_fma_f32 v15, v2 /*v258*/, v170, -v23
	s_set_vgpr_msb 64                       ;  msbs: dst=1 src0=0 src1=0 src2=0
	v_dual_mul_f32 v19 /*v275*/, v206, v175 :: v_dual_mul_f32 v21 /*v277*/, v192, v177
	s_set_vgpr_msb 0                        ;  msbs: dst=0 src0=0 src1=0 src2=0
	v_add_f32_e32 v9, v9, v53
	v_dual_add_f32 v11, v11, v17 :: v_dual_fmac_f32 v57, v205, v172
	v_fma_f32 v17, v204, v172, -v25
	s_set_vgpr_msb 1                        ;  msbs: dst=0 src0=1 src1=0 src2=0
	v_pk_mul_f32 v[124:125], v[10:11] /*v[266:267]*/, v[124:125] op_sel_hi:[1,0]
	s_set_vgpr_msb 0                        ;  msbs: dst=0 src0=0 src1=0 src2=0
	v_add_f32_e32 v9, v9, v55
	v_add_f32_e32 v11, v11, v15
	s_set_vgpr_msb 64                       ;  msbs: dst=1 src0=0 src1=0 src2=0
	v_dual_fmac_f32 v19 /*v275*/, v207, v174 :: v_dual_fmac_f32 v21 /*v277*/, v193, v176
	v_dual_fma_f32 v18 /*v274*/, v206, v174, -v27 :: v_dual_fma_f32 v20 /*v276*/, v192, v176, -v13
	s_set_vgpr_msb 0                        ;  msbs: dst=0 src0=0 src1=0 src2=0
	v_add_f32_e32 v133, v9, v57
	v_pk_fma_f32 v[136:137], v[194:195], v[178:179], v[124:125] op_sel_hi:[1,0,1]
	v_add_f32_e32 v132, v11, v17
	v_pk_fma_f32 v[124:125], v[194:195], v[178:179], v[124:125] neg_lo:[0,0,1] neg_hi:[0,0,1]
	v_pk_mul_f32 v[126:127], v[196:197], v[180:181] op_sel:[1,1] op_sel_hi:[0,1]
	s_set_vgpr_msb 1                        ;  msbs: dst=0 src0=1 src1=0 src2=0
	v_pk_mul_f32 v[128:129], v[12:13] /*v[268:269]*/, v[128:129] op_sel_hi:[1,0]
	s_set_vgpr_msb 4                        ;  msbs: dst=0 src0=0 src1=1 src2=0
	v_mov_b32_e32 v125, v137
	v_pk_add_f32 v[132:133], v[132:133], v[18:19] /*v[274:275]*/
	s_wait_loadcnt 0x3
	s_set_vgpr_msb 0                        ;  msbs: dst=0 src0=0 src1=0 src2=0
	v_pk_mul_f32 v[130:131], v[200:201], v[184:185] op_sel:[1,1] op_sel_hi:[0,1]
	v_pk_fma_f32 v[138:139], v[196:197], v[180:181], v[126:127] op_sel_hi:[1,0,1]
	v_pk_fma_f32 v[126:127], v[196:197], v[180:181], v[126:127] neg_lo:[0,0,1] neg_hi:[0,0,1]
	v_mov_b32_e32 v134, v187
	s_set_vgpr_msb 4                        ;  msbs: dst=0 src0=0 src1=1 src2=0
	v_pk_add_f32 v[132:133], v[132:133], v[20:21] /*v[276:277]*/
	s_wait_loadcnt 0x2
	s_set_vgpr_msb 0                        ;  msbs: dst=0 src0=0 src1=0 src2=0
	v_pk_mul_f32 v[136:137], v[208:209], v[188:189] op_sel:[1,1] op_sel_hi:[0,1]
	v_mov_b32_e32 v127, v139
	v_pk_fma_f32 v[138:139], v[198:199], v[182:183], v[128:129] op_sel_hi:[1,0,1]
	v_pk_fma_f32 v[128:129], v[198:199], v[182:183], v[128:129] neg_lo:[0,0,1] neg_hi:[0,0,1]
	v_pk_add_f32 v[124:125], v[132:133], v[124:125]
	v_pk_fma_f32 v[132:133], v[200:201], v[184:185], v[130:131] op_sel_hi:[1,0,1]
	s_set_vgpr_msb 1                        ;  msbs: dst=0 src0=1 src1=0 src2=0
	v_pk_mul_f32 v[134:135], v[14:15] /*v[270:271]*/, v[134:135] op_sel_hi:[1,0]
	s_set_vgpr_msb 0                        ;  msbs: dst=0 src0=0 src1=0 src2=0
	v_mov_b32_e32 v129, v139
	v_pk_fma_f32 v[130:131], v[200:201], v[184:185], v[130:131] neg_lo:[0,0,1] neg_hi:[0,0,1]
	v_pk_add_f32 v[124:125], v[124:125], v[126:127]
	v_dual_mov_b32 v126, v191 :: v_dual_mov_b32 v131, v133
	v_pk_fma_f32 v[132:133], v[202:203], v[186:187], v[134:135] op_sel_hi:[1,0,1]
	v_pk_fma_f32 v[134:135], v[202:203], v[186:187], v[134:135] neg_lo:[0,0,1] neg_hi:[0,0,1]
	s_delay_alu instid0(VALU_DEP_4)
	v_pk_add_f32 v[124:125], v[124:125], v[128:129]
	v_pk_fma_f32 v[128:129], v[208:209], v[188:189], v[136:137] op_sel_hi:[1,0,1]
	s_set_vgpr_msb 1                        ;  msbs: dst=0 src0=1 src1=0 src2=0
	v_pk_mul_f32 v[126:127], v[16:17] /*v[272:273]*/, v[126:127] op_sel_hi:[1,0]
	s_set_vgpr_msb 0                        ;  msbs: dst=0 src0=0 src1=0 src2=0
	v_mov_b32_e32 v135, v133
	s_wait_loadcnt_dscnt 0x100
	s_set_vgpr_msb 5                        ;  msbs: dst=0 src0=1 src1=1 src2=0
	v_pk_mul_f32 v[132:133], v[8:9] /*v[264:265]*/, v[4:5] /*v[260:261]*/ op_sel:[1,1] op_sel_hi:[0,1]
	s_set_vgpr_msb 0                        ;  msbs: dst=0 src0=0 src1=0 src2=0
	v_pk_add_f32 v[124:125], v[124:125], v[130:131]
	v_pk_fma_f32 v[130:131], v[208:209], v[188:189], v[136:137] neg_lo:[0,0,1] neg_hi:[0,0,1]
	v_mov_b32_e32 v131, v129
	v_pk_fma_f32 v[128:129], v[210:211], v[190:191], v[126:127] op_sel_hi:[1,0,1]
	v_pk_fma_f32 v[126:127], v[210:211], v[190:191], v[126:127] neg_lo:[0,0,1] neg_hi:[0,0,1]
	v_pk_add_f32 v[124:125], v[124:125], v[134:135]
	s_delay_alu instid0(VALU_DEP_3)
	v_mov_b32_e32 v127, v129
	s_set_vgpr_msb 5                        ;  msbs: dst=0 src0=1 src1=1 src2=0
	v_pk_fma_f32 v[128:129], v[8:9] /*v[264:265]*/, v[4:5] /*v[260:261]*/, v[132:133] op_sel_hi:[1,0,1]
	s_set_vgpr_msb 0                        ;  msbs: dst=0 src0=0 src1=0 src2=0
	v_pk_add_f32 v[124:125], v[124:125], v[130:131]
	s_set_vgpr_msb 5                        ;  msbs: dst=0 src0=1 src1=1 src2=0
	v_pk_fma_f32 v[130:131], v[8:9] /*v[264:265]*/, v[4:5] /*v[260:261]*/, v[132:133] neg_lo:[0,0,1] neg_hi:[0,0,1]
	s_set_vgpr_msb 0                        ;  msbs: dst=0 src0=0 src1=0 src2=0
	v_mov_b32_e32 v131, v129
	v_pk_add_f32 v[124:125], v[124:125], v[126:127]
	s_delay_alu instid0(VALU_DEP_1) | instskip(SKIP_2) | instid1(VALU_DEP_1)
	v_pk_add_f32 v[124:125], v[124:125], v[130:131]
	s_wait_loadcnt 0x0
	s_set_vgpr_msb 1                        ;  msbs: dst=0 src0=1 src1=0 src2=0
	v_pk_add_f32 v[124:125], v[6:7] /*v[262:263]*/, v[124:125] neg_lo:[0,1] neg_hi:[0,1]
	scratch_store_b64 off, v[124:125], off offset:200
	s_wait_xcnt 0x0
	v_cmpx_lt_u32_e32 24, v0
	s_set_vgpr_msb 0                        ;  msbs: dst=0 src0=0 src1=0 src2=0
	s_cbranch_execz .LBB124_331
; %bb.330:
	scratch_load_b64 v[124:125], off, off offset:192
	v_mov_b64_e32 v[126:127], 0
	scratch_store_b64 off, v[126:127], off offset:192
	s_wait_loadcnt 0x0
	ds_store_b64 v1, v[124:125]
.LBB124_331:
	s_wait_xcnt 0x0
	s_or_b32 exec_lo, exec_lo, s0
	s_wait_storecnt_dscnt 0x0
	s_barrier_signal -1
	s_barrier_wait -1
	s_clause 0x13
	scratch_load_b128 v[124:127], off, off offset:200
	scratch_load_b128 v[128:131], off, off offset:216
	;; [unrolled: 1-line block ×18, first 2 shown]
	s_set_vgpr_msb 64                       ;  msbs: dst=1 src0=0 src1=0 src2=0
	scratch_load_b64 v[12:13] /*v[268:269]*/, off, off offset:192
	s_set_vgpr_msb 0                        ;  msbs: dst=0 src0=0 src1=0 src2=0
	ds_load_2addr_b64 v[196:199], v7 offset0:115 offset1:116
	ds_load_2addr_b64 v[200:203], v7 offset0:117 offset1:118
	;; [unrolled: 1-line block ×15, first 2 shown]
	s_set_vgpr_msb 64                       ;  msbs: dst=1 src0=0 src1=0 src2=0
	ds_load_2addr_b64 v[0:3] /*v[256:259]*/, v7 offset0:109 offset1:110
	ds_load_2addr_b64 v[4:7] /*v[260:263]*/, v7 offset0:111 offset1:112
	ds_load_2addr_b64 v[8:11] /*v[264:267]*/, v7 offset0:113 offset1:114
	s_mov_b32 s0, exec_lo
	s_wait_dscnt 0x11
	v_dual_mov_b32 v14 /*v270*/, v199 :: v_dual_mov_b32 v15 /*v271*/, v198
	s_wait_dscnt 0x10
	v_dual_mov_b32 v16 /*v272*/, v203 :: v_dual_mov_b32 v17 /*v273*/, v202
	;; [unrolled: 2-line block ×4, first 2 shown]
	s_wait_loadcnt_dscnt 0x120d
	s_set_vgpr_msb 0                        ;  msbs: dst=0 src0=0 src1=0 src2=0
	v_dual_mul_f32 v7, v212, v125 :: v_dual_mul_f32 v9, v214, v127
	v_dual_mul_f32 v59, v213, v125 :: v_dual_mul_f32 v61, v215, v127
	s_wait_loadcnt_dscnt 0x110c
	v_dual_mul_f32 v11, v216, v129 :: v_dual_mul_f32 v13, v218, v131
	s_delay_alu instid0(VALU_DEP_3) | instskip(SKIP_3) | instid1(VALU_DEP_3)
	v_dual_fmac_f32 v7, v213, v124 :: v_dual_fmac_f32 v9, v215, v126
	s_wait_loadcnt_dscnt 0xf0a
	v_dual_fma_f32 v59, v212, v124, -v59 :: v_dual_mul_f32 v71, v225, v137
	v_dual_mul_f32 v63, v217, v129 :: v_dual_mul_f32 v65, v219, v131
	v_dual_fma_f32 v61, v214, v126, -v61 :: v_dual_add_f32 v7, 0, v7
	s_delay_alu instid0(VALU_DEP_3) | instskip(SKIP_1) | instid1(VALU_DEP_4)
	v_dual_add_f32 v59, 0, v59 :: v_dual_fmac_f32 v11, v217, v128
	v_dual_mul_f32 v15, v220, v133 :: v_dual_mul_f32 v17, v222, v135
	v_dual_mul_f32 v73, v227, v139 :: v_dual_fma_f32 v63, v216, v128, -v63
	s_delay_alu instid0(VALU_DEP_4) | instskip(NEXT) | instid1(VALU_DEP_3)
	v_add_f32_e32 v7, v7, v9
	v_dual_add_f32 v9, v59, v61 :: v_dual_fmac_f32 v15, v221, v132
	v_dual_mul_f32 v67, v221, v133 :: v_dual_mul_f32 v69, v223, v135
	s_wait_loadcnt_dscnt 0xe09
	v_dual_mul_f32 v59, v229, v141 :: v_dual_fmac_f32 v13, v219, v130
	v_dual_fma_f32 v61, v218, v130, -v65 :: v_dual_add_f32 v7, v7, v11
	s_delay_alu instid0(VALU_DEP_3) | instskip(SKIP_1) | instid1(VALU_DEP_3)
	v_dual_add_f32 v9, v9, v63 :: v_dual_fma_f32 v63, v220, v132, -v67
	v_dual_mul_f32 v19, v224, v137 :: v_dual_mul_f32 v21, v226, v139
	v_add_f32_e32 v7, v7, v13
	s_delay_alu instid0(VALU_DEP_3) | instskip(SKIP_2) | instid1(VALU_DEP_3)
	v_dual_mul_f32 v11, v231, v143 :: v_dual_add_f32 v9, v9, v61
	s_wait_loadcnt_dscnt 0xd08
	v_dual_mul_f32 v13, v233, v145 :: v_dual_fmac_f32 v17, v223, v134
	v_dual_fma_f32 v61, v222, v134, -v69 :: v_dual_add_f32 v7, v7, v15
	s_delay_alu instid0(VALU_DEP_3) | instskip(SKIP_1) | instid1(VALU_DEP_3)
	v_dual_add_f32 v9, v9, v63 :: v_dual_fma_f32 v63, v224, v136, -v71
	v_dual_mul_f32 v15, v235, v147 :: v_dual_fmac_f32 v19, v225, v136
	v_add_f32_e32 v7, v7, v17
	s_delay_alu instid0(VALU_DEP_3)
	v_dual_add_f32 v9, v9, v61 :: v_dual_fmac_f32 v21, v227, v138
	v_dual_mul_f32 v23, v228, v141 :: v_dual_mul_f32 v25, v230, v143
	s_wait_loadcnt_dscnt 0xc07
	v_dual_fma_f32 v61, v226, v138, -v73 :: v_dual_mul_f32 v17, v237, v149
	v_add_f32_e32 v7, v7, v19
	v_dual_add_f32 v9, v9, v63 :: v_dual_fma_f32 v59, v228, v140, -v59
	v_dual_mul_f32 v19, v239, v151 :: v_dual_fmac_f32 v23, v229, v140
	s_delay_alu instid0(VALU_DEP_3) | instskip(NEXT) | instid1(VALU_DEP_3)
	v_dual_add_f32 v7, v7, v21 :: v_dual_fma_f32 v11, v230, v142, -v11
	v_dual_add_f32 v9, v9, v61 :: v_dual_fmac_f32 v25, v231, v142
	v_dual_mul_f32 v27, v232, v145 :: v_dual_mul_f32 v29, v234, v147
	s_wait_loadcnt_dscnt 0xb06
	s_delay_alu instid0(VALU_DEP_3) | instskip(NEXT) | instid1(VALU_DEP_3)
	v_dual_mul_f32 v21, v241, v153 :: v_dual_add_f32 v7, v7, v23
	v_dual_add_f32 v9, v9, v59 :: v_dual_fma_f32 v13, v232, v144, -v13
	s_delay_alu instid0(VALU_DEP_3) | instskip(NEXT) | instid1(VALU_DEP_2)
	v_dual_mul_f32 v23, v243, v155 :: v_dual_fmac_f32 v27, v233, v144
	v_dual_add_f32 v7, v7, v25 :: v_dual_add_f32 v9, v9, v11
	v_dual_mul_f32 v31, v236, v149 :: v_dual_mul_f32 v33, v238, v151
	s_wait_loadcnt_dscnt 0xa05
	v_dual_mul_f32 v11, v245, v157 :: v_dual_fmac_f32 v29, v235, v146
	s_delay_alu instid0(VALU_DEP_3) | instskip(SKIP_2) | instid1(VALU_DEP_2)
	v_dual_fma_f32 v15, v234, v146, -v15 :: v_dual_add_f32 v7, v7, v27
	v_dual_add_f32 v9, v9, v13 :: v_dual_mul_f32 v13, v247, v159
	v_dual_fmac_f32 v31, v237, v148 :: v_dual_fma_f32 v17, v236, v148, -v17
	v_dual_add_f32 v7, v7, v29 :: v_dual_add_f32 v9, v9, v15
	v_dual_mul_f32 v35, v240, v153 :: v_dual_mul_f32 v37, v242, v155
	s_wait_loadcnt_dscnt 0x904
	v_dual_mul_f32 v15, v249, v161 :: v_dual_fmac_f32 v33, v239, v150
	s_delay_alu instid0(VALU_DEP_3) | instskip(SKIP_2) | instid1(VALU_DEP_2)
	v_dual_fma_f32 v19, v238, v150, -v19 :: v_dual_add_f32 v7, v7, v31
	v_dual_add_f32 v9, v9, v17 :: v_dual_mul_f32 v17, v251, v163
	v_dual_fmac_f32 v35, v241, v152 :: v_dual_fma_f32 v21, v240, v152, -v21
	v_dual_add_f32 v7, v7, v33 :: v_dual_add_f32 v9, v9, v19
	v_dual_fma_f32 v23, v242, v154, -v23 :: v_dual_mul_f32 v39, v244, v157
	s_wait_loadcnt_dscnt 0x803
	v_dual_mul_f32 v41, v246, v159 :: v_dual_mul_f32 v19, v253, v165
	s_delay_alu instid0(VALU_DEP_3) | instskip(SKIP_3) | instid1(VALU_DEP_4)
	v_dual_fmac_f32 v37, v243, v154 :: v_dual_add_f32 v9, v9, v21
	v_mul_f32_e32 v21, v255, v167
	v_dual_add_f32 v7, v7, v35 :: v_dual_fma_f32 v11, v244, v156, -v11
	v_fmac_f32_e32 v39, v245, v156
	v_dual_add_f32 v9, v9, v23 :: v_dual_fmac_f32 v41, v247, v158
	s_delay_alu instid0(VALU_DEP_3) | instskip(SKIP_1) | instid1(VALU_DEP_3)
	v_dual_add_f32 v7, v7, v37 :: v_dual_fma_f32 v13, v246, v158, -v13
	v_dual_mul_f32 v43, v248, v161 :: v_dual_mul_f32 v45, v250, v163
	v_add_f32_e32 v9, v9, v11
	s_delay_alu instid0(VALU_DEP_3) | instskip(NEXT) | instid1(VALU_DEP_3)
	v_dual_add_f32 v7, v7, v39 :: v_dual_fma_f32 v15, v248, v160, -v15
	v_dual_fmac_f32 v43, v249, v160 :: v_dual_mul_f32 v47, v252, v165
	s_delay_alu instid0(VALU_DEP_3) | instskip(NEXT) | instid1(VALU_DEP_3)
	v_dual_mul_f32 v49, v254, v167 :: v_dual_add_f32 v9, v9, v13
	v_add_f32_e32 v7, v7, v41
	v_fmac_f32_e32 v45, v251, v162
	v_fma_f32 v17, v250, v162, -v17
	s_wait_loadcnt_dscnt 0x702
	s_set_vgpr_msb 1                        ;  msbs: dst=0 src0=1 src1=0 src2=0
	v_dual_mul_f32 v51, v0 /*v256*/, v169 :: v_dual_mul_f32 v53, v2 /*v258*/, v171
	s_set_vgpr_msb 0                        ;  msbs: dst=0 src0=0 src1=0 src2=0
	v_add_f32_e32 v9, v9, v15
	v_dual_add_f32 v7, v7, v43 :: v_dual_fma_f32 v19, v252, v164, -v19
	s_set_vgpr_msb 1                        ;  msbs: dst=0 src0=1 src1=0 src2=0
	v_dual_mul_f32 v23, v1 /*v257*/, v169 :: v_dual_mul_f32 v11, v3 /*v259*/, v171
	s_set_vgpr_msb 0                        ;  msbs: dst=0 src0=0 src1=0 src2=0
	v_add_f32_e32 v9, v9, v17
	v_dual_fmac_f32 v47, v253, v164 :: v_dual_add_f32 v7, v7, v45
	v_fmac_f32_e32 v49, v255, v166
	s_delay_alu instid0(VALU_DEP_3)
	v_dual_fma_f32 v21, v254, v166, -v21 :: v_dual_add_f32 v9, v9, v19
	s_wait_loadcnt_dscnt 0x601
	s_set_vgpr_msb 1                        ;  msbs: dst=0 src0=1 src1=0 src2=0
	v_dual_mul_f32 v55, v4 /*v260*/, v173 :: v_dual_mul_f32 v57, v6 /*v262*/, v175
	s_set_vgpr_msb 0                        ;  msbs: dst=0 src0=0 src1=0 src2=0
	v_add_f32_e32 v7, v7, v47
	s_set_vgpr_msb 1                        ;  msbs: dst=0 src0=1 src1=0 src2=0
	v_dual_fmac_f32 v51, v1 /*v257*/, v168 :: v_dual_fmac_f32 v53, v3 /*v259*/, v170
	v_dual_fma_f32 v23, v0 /*v256*/, v168, -v23 :: v_dual_fmac_f32 v57, v7 /*v263*/, v174
	s_set_vgpr_msb 0                        ;  msbs: dst=0 src0=0 src1=0 src2=0
	v_add_f32_e32 v9, v9, v21
	s_set_vgpr_msb 1                        ;  msbs: dst=0 src0=1 src1=0 src2=0
	v_dual_mul_f32 v13, v5 /*v261*/, v173 :: v_dual_mul_f32 v15, v7 /*v263*/, v175
	s_set_vgpr_msb 0                        ;  msbs: dst=0 src0=0 src1=0 src2=0
	v_add_f32_e32 v7, v7, v49
	s_set_vgpr_msb 1                        ;  msbs: dst=0 src0=1 src1=0 src2=0
	v_fma_f32 v11, v2 /*v258*/, v170, -v11
	s_set_vgpr_msb 0                        ;  msbs: dst=0 src0=0 src1=0 src2=0
	v_add_f32_e32 v9, v9, v23
	s_set_vgpr_msb 1                        ;  msbs: dst=0 src0=1 src1=0 src2=0
	v_fma_f32 v13, v4 /*v260*/, v172, -v13
	s_wait_loadcnt 0x4
	s_set_vgpr_msb 0                        ;  msbs: dst=0 src0=0 src1=0 src2=0
	v_mov_b32_e32 v126, v183
	v_add_f32_e32 v7, v7, v51
	s_set_vgpr_msb 1                        ;  msbs: dst=0 src0=1 src1=0 src2=0
	v_fmac_f32_e32 v55, v5 /*v261*/, v172
	s_set_vgpr_msb 0                        ;  msbs: dst=0 src0=0 src1=0 src2=0
	v_add_f32_e32 v9, v9, v11
	s_set_vgpr_msb 1                        ;  msbs: dst=0 src0=1 src1=0 src2=0
	v_fma_f32 v11, v6 /*v262*/, v174, -v15
	s_wait_loadcnt 0x3
	s_set_vgpr_msb 0                        ;  msbs: dst=0 src0=0 src1=0 src2=0
	v_mov_b32_e32 v130, v187
	s_wait_dscnt 0x0
	s_set_vgpr_msb 0x41                     ;  msbs: dst=1 src0=1 src1=0 src2=0
	v_dual_mul_f32 v23 /*v279*/, v8 /*v264*/, v177 :: v_dual_mul_f32 v25 /*v281*/, v10 /*v266*/, v179
	s_set_vgpr_msb 0                        ;  msbs: dst=0 src0=0 src1=0 src2=0
	v_add_f32_e32 v9, v9, v13
	v_add_f32_e32 v7, v7, v53
	s_set_vgpr_msb 1                        ;  msbs: dst=0 src0=1 src1=0 src2=0
	v_dual_mul_f32 v17, v9 /*v265*/, v177 :: v_dual_mul_f32 v19, v11 /*v267*/, v179
	s_set_vgpr_msb 0                        ;  msbs: dst=0 src0=0 src1=0 src2=0
	v_pk_mul_f32 v[124:125], v[196:197], v[180:181] op_sel:[1,1] op_sel_hi:[0,1]
	v_add_f32_e32 v132, v9, v11
	v_add_f32_e32 v7, v7, v55
	s_set_vgpr_msb 0x41                     ;  msbs: dst=1 src0=1 src1=0 src2=0
	v_dual_fmac_f32 v23 /*v279*/, v9 /*v265*/, v176 :: v_dual_fmac_f32 v25 /*v281*/, v11 /*v267*/, v178
	v_dual_fma_f32 v22 /*v278*/, v8 /*v264*/, v176, -v17 :: v_dual_fma_f32 v24 /*v280*/, v10 /*v266*/, v178, -v19
	s_set_vgpr_msb 0                        ;  msbs: dst=0 src0=0 src1=0 src2=0
	v_add_f32_e32 v133, v7, v57
	v_pk_fma_f32 v[134:135], v[196:197], v[180:181], v[124:125] op_sel_hi:[1,0,1]
	s_set_vgpr_msb 1                        ;  msbs: dst=0 src0=1 src1=0 src2=0
	v_pk_mul_f32 v[126:127], v[14:15] /*v[270:271]*/, v[126:127] op_sel_hi:[1,0]
	s_set_vgpr_msb 0                        ;  msbs: dst=0 src0=0 src1=0 src2=0
	v_pk_fma_f32 v[124:125], v[196:197], v[180:181], v[124:125] neg_lo:[0,0,1] neg_hi:[0,0,1]
	v_pk_mul_f32 v[128:129], v[200:201], v[184:185] op_sel:[1,1] op_sel_hi:[0,1]
	s_set_vgpr_msb 4                        ;  msbs: dst=0 src0=0 src1=1 src2=0
	v_pk_add_f32 v[132:133], v[132:133], v[22:23] /*v[278:279]*/
	v_mov_b32_e32 v125, v135
	s_set_vgpr_msb 0                        ;  msbs: dst=0 src0=0 src1=0 src2=0
	v_pk_fma_f32 v[134:135], v[198:199], v[182:183], v[126:127] op_sel_hi:[1,0,1]
	v_pk_fma_f32 v[126:127], v[198:199], v[182:183], v[126:127] neg_lo:[0,0,1] neg_hi:[0,0,1]
	v_pk_fma_f32 v[138:139], v[200:201], v[184:185], v[128:129] op_sel_hi:[1,0,1]
	s_set_vgpr_msb 4                        ;  msbs: dst=0 src0=0 src1=1 src2=0
	v_pk_add_f32 v[132:133], v[132:133], v[24:25] /*v[280:281]*/
	s_set_vgpr_msb 1                        ;  msbs: dst=0 src0=1 src1=0 src2=0
	v_pk_mul_f32 v[130:131], v[16:17] /*v[272:273]*/, v[130:131] op_sel_hi:[1,0]
	s_set_vgpr_msb 0                        ;  msbs: dst=0 src0=0 src1=0 src2=0
	v_mov_b32_e32 v127, v135
	s_wait_loadcnt 0x2
	v_pk_mul_f32 v[136:137], v[204:205], v[188:189] op_sel:[1,1] op_sel_hi:[0,1]
	v_pk_fma_f32 v[128:129], v[200:201], v[184:185], v[128:129] neg_lo:[0,0,1] neg_hi:[0,0,1]
	v_pk_add_f32 v[124:125], v[132:133], v[124:125]
	v_dual_mov_b32 v132, v191 :: v_dual_mov_b32 v129, v139
	v_pk_fma_f32 v[134:135], v[202:203], v[186:187], v[130:131] op_sel_hi:[1,0,1]
	v_pk_fma_f32 v[130:131], v[202:203], v[186:187], v[130:131] neg_lo:[0,0,1] neg_hi:[0,0,1]
	s_delay_alu instid0(VALU_DEP_4)
	v_pk_add_f32 v[124:125], v[124:125], v[126:127]
	v_pk_fma_f32 v[126:127], v[204:205], v[188:189], v[136:137] op_sel_hi:[1,0,1]
	s_set_vgpr_msb 1                        ;  msbs: dst=0 src0=1 src1=0 src2=0
	v_pk_mul_f32 v[132:133], v[18:19] /*v[274:275]*/, v[132:133] op_sel_hi:[1,0]
	s_set_vgpr_msb 0                        ;  msbs: dst=0 src0=0 src1=0 src2=0
	v_mov_b32_e32 v131, v135
	v_pk_fma_f32 v[134:135], v[204:205], v[188:189], v[136:137] neg_lo:[0,0,1] neg_hi:[0,0,1]
	v_pk_add_f32 v[124:125], v[124:125], v[128:129]
	v_mov_b32_e32 v135, v127
	v_pk_fma_f32 v[126:127], v[206:207], v[190:191], v[132:133] op_sel_hi:[1,0,1]
	s_wait_loadcnt 0x1
	v_pk_mul_f32 v[128:129], v[208:209], v[192:193] op_sel:[1,1] op_sel_hi:[0,1]
	v_mov_b32_e32 v126, v195
	v_pk_add_f32 v[124:125], v[124:125], v[130:131]
	v_pk_fma_f32 v[132:133], v[206:207], v[190:191], v[132:133] neg_lo:[0,0,1] neg_hi:[0,0,1]
	v_mov_b32_e32 v133, v127
	v_pk_fma_f32 v[130:131], v[208:209], v[192:193], v[128:129] op_sel_hi:[1,0,1]
	s_set_vgpr_msb 1                        ;  msbs: dst=0 src0=1 src1=0 src2=0
	v_pk_mul_f32 v[126:127], v[20:21] /*v[276:277]*/, v[126:127] op_sel_hi:[1,0]
	s_set_vgpr_msb 0                        ;  msbs: dst=0 src0=0 src1=0 src2=0
	v_pk_add_f32 v[124:125], v[124:125], v[134:135]
	v_pk_fma_f32 v[128:129], v[208:209], v[192:193], v[128:129] neg_lo:[0,0,1] neg_hi:[0,0,1]
	v_mov_b32_e32 v129, v131
	v_pk_fma_f32 v[130:131], v[210:211], v[194:195], v[126:127] op_sel_hi:[1,0,1]
	s_delay_alu instid0(VALU_DEP_4) | instskip(SKIP_1) | instid1(VALU_DEP_3)
	v_pk_add_f32 v[124:125], v[124:125], v[132:133]
	v_pk_fma_f32 v[126:127], v[210:211], v[194:195], v[126:127] neg_lo:[0,0,1] neg_hi:[0,0,1]
	v_mov_b32_e32 v127, v131
	s_delay_alu instid0(VALU_DEP_3) | instskip(NEXT) | instid1(VALU_DEP_1)
	v_pk_add_f32 v[124:125], v[124:125], v[128:129]
	v_pk_add_f32 v[124:125], v[124:125], v[126:127]
	s_wait_loadcnt 0x0
	s_set_vgpr_msb 1                        ;  msbs: dst=0 src0=1 src1=0 src2=0
	s_delay_alu instid0(VALU_DEP_1)
	v_pk_add_f32 v[124:125], v[12:13] /*v[268:269]*/, v[124:125] neg_lo:[0,1] neg_hi:[0,1]
	scratch_store_b64 off, v[124:125], off offset:192
	s_wait_xcnt 0x0
	v_cmpx_lt_u32_e32 23, v0
	s_set_vgpr_msb 0                        ;  msbs: dst=0 src0=0 src1=0 src2=0
	s_cbranch_execz .LBB124_333
; %bb.332:
	scratch_load_b64 v[124:125], off, off offset:184
	v_mov_b64_e32 v[126:127], 0
	scratch_store_b64 off, v[126:127], off offset:184
	s_wait_loadcnt 0x0
	ds_store_b64 v1, v[124:125]
.LBB124_333:
	s_wait_xcnt 0x0
	s_or_b32 exec_lo, exec_lo, s0
	s_wait_storecnt_dscnt 0x0
	s_barrier_signal -1
	s_barrier_wait -1
	s_clause 0x14
	scratch_load_b128 v[124:127], off, off offset:192
	scratch_load_b128 v[128:131], off, off offset:208
	;; [unrolled: 1-line block ×18, first 2 shown]
	s_set_vgpr_msb 64                       ;  msbs: dst=1 src0=0 src1=0 src2=0
	scratch_load_b64 v[12:13] /*v[268:269]*/, off, off offset:480
	scratch_load_b64 v[14:15] /*v[270:271]*/, off, off offset:184
	s_set_vgpr_msb 0                        ;  msbs: dst=0 src0=0 src1=0 src2=0
	v_mov_b32_e32 v7, 0
	ds_load_b128 v[196:199], v7 offset:912
	ds_load_b128 v[200:203], v7 offset:928
	;; [unrolled: 1-line block ×15, first 2 shown]
	s_set_vgpr_msb 64                       ;  msbs: dst=1 src0=0 src1=0 src2=0
	ds_load_b128 v[0:3] /*v[256:259]*/, v7 offset:864
	ds_load_b128 v[4:7] /*v[260:263]*/, v7 offset:880
	;; [unrolled: 1-line block ×3, first 2 shown]
	ds_load_b64 v[16:17] /*v[272:273]*/, v7 offset:976
	s_mov_b32 s0, exec_lo
	s_wait_dscnt 0x12
	v_dual_mov_b32 v18 /*v274*/, v199 :: v_dual_mov_b32 v19 /*v275*/, v198
	s_wait_dscnt 0x11
	v_dual_mov_b32 v20 /*v276*/, v203 :: v_dual_mov_b32 v21 /*v277*/, v202
	;; [unrolled: 2-line block ×4, first 2 shown]
	s_wait_loadcnt 0x13
	s_set_vgpr_msb 0                        ;  msbs: dst=0 src0=0 src1=0 src2=0
	v_dual_mul_f32 v9, v208, v125 :: v_dual_mul_f32 v11, v210, v127
	s_wait_loadcnt 0x12
	v_dual_mul_f32 v13, v212, v129 :: v_dual_mul_f32 v65, v211, v127
	s_wait_loadcnt_dscnt 0x100b
	v_dual_mul_f32 v67, v213, v129 :: v_dual_mul_f32 v77, v227, v139
	v_dual_mul_f32 v63, v209, v125 :: v_dual_fmac_f32 v9, v209, v124
	s_delay_alu instid0(VALU_DEP_3) | instskip(SKIP_2) | instid1(VALU_DEP_3)
	v_fma_f32 v65, v210, v126, -v65
	v_dual_mul_f32 v15, v214, v131 :: v_dual_mul_f32 v17, v220, v133
	s_wait_loadcnt_dscnt 0x904
	v_dual_mul_f32 v51, v254, v167 :: v_dual_fma_f32 v63, v208, v124, -v63
	s_wait_loadcnt_dscnt 0x601
	s_set_vgpr_msb 1                        ;  msbs: dst=0 src0=1 src1=0 src2=0
	v_mul_f32_e32 v61, v8 /*v264*/, v177
	s_set_vgpr_msb 0                        ;  msbs: dst=0 src0=0 src1=0 src2=0
	v_dual_fmac_f32 v11, v211, v126 :: v_dual_add_f32 v9, 0, v9
	v_dual_mul_f32 v69, v215, v131 :: v_dual_mul_f32 v71, v221, v133
	v_dual_add_f32 v63, 0, v63 :: v_dual_mul_f32 v79, v229, v141
	v_dual_fma_f32 v67, v212, v128, -v67 :: v_dual_fmac_f32 v13, v213, v128
	s_delay_alu instid0(VALU_DEP_4) | instskip(NEXT) | instid1(VALU_DEP_3)
	v_dual_add_f32 v9, v9, v11 :: v_dual_fmac_f32 v15, v215, v130
	v_add_f32_e32 v11, v63, v65
	v_dual_mul_f32 v63, v231, v143 :: v_dual_fma_f32 v65, v214, v130, -v69
	s_delay_alu instid0(VALU_DEP_3) | instskip(NEXT) | instid1(VALU_DEP_3)
	v_dual_add_f32 v9, v9, v13 :: v_dual_mul_f32 v19, v222, v135
	v_dual_mul_f32 v21, v224, v137 :: v_dual_add_f32 v11, v11, v67
	v_dual_mul_f32 v73, v223, v135 :: v_dual_mul_f32 v75, v225, v137
	v_dual_mul_f32 v13, v233, v145 :: v_dual_fma_f32 v67, v220, v132, -v71
	s_delay_alu instid0(VALU_DEP_3) | instskip(SKIP_1) | instid1(VALU_DEP_4)
	v_dual_fmac_f32 v17, v221, v132 :: v_dual_add_f32 v11, v11, v65
	v_dual_add_f32 v9, v9, v15 :: v_dual_fmac_f32 v19, v223, v134
	v_dual_mul_f32 v15, v235, v147 :: v_dual_fma_f32 v65, v222, v134, -v73
	s_delay_alu instid0(VALU_DEP_2) | instskip(SKIP_2) | instid1(VALU_DEP_3)
	v_dual_add_f32 v11, v11, v67 :: v_dual_add_f32 v9, v9, v17
	v_dual_mul_f32 v23, v226, v139 :: v_dual_mul_f32 v25, v228, v141
	v_dual_mul_f32 v17, v237, v149 :: v_dual_fma_f32 v67, v224, v136, -v75
	v_dual_fmac_f32 v21, v225, v136 :: v_dual_add_f32 v11, v11, v65
	s_delay_alu instid0(VALU_DEP_3) | instskip(SKIP_1) | instid1(VALU_DEP_2)
	v_dual_add_f32 v9, v9, v19 :: v_dual_fmac_f32 v23, v227, v138
	v_dual_mul_f32 v19, v239, v151 :: v_dual_fma_f32 v65, v226, v138, -v77
	v_dual_add_f32 v11, v11, v67 :: v_dual_add_f32 v9, v9, v21
	v_dual_mul_f32 v27, v230, v143 :: v_dual_mul_f32 v29, v232, v145
	v_dual_mul_f32 v21, v241, v153 :: v_dual_fma_f32 v67, v228, v140, -v79
	s_delay_alu instid0(VALU_DEP_3) | instskip(NEXT) | instid1(VALU_DEP_3)
	v_dual_fmac_f32 v25, v229, v140 :: v_dual_add_f32 v11, v11, v65
	v_dual_add_f32 v9, v9, v23 :: v_dual_fmac_f32 v27, v231, v142
	v_dual_mul_f32 v23, v243, v155 :: v_dual_fma_f32 v63, v230, v142, -v63
	s_delay_alu instid0(VALU_DEP_2) | instskip(SKIP_2) | instid1(VALU_DEP_3)
	v_dual_add_f32 v11, v11, v67 :: v_dual_add_f32 v9, v9, v25
	v_dual_mul_f32 v31, v234, v147 :: v_dual_mul_f32 v33, v236, v149
	v_dual_mul_f32 v25, v245, v157 :: v_dual_fma_f32 v13, v232, v144, -v13
	v_dual_fmac_f32 v29, v233, v144 :: v_dual_add_f32 v11, v11, v63
	s_delay_alu instid0(VALU_DEP_3) | instskip(SKIP_1) | instid1(VALU_DEP_3)
	v_dual_add_f32 v9, v9, v27 :: v_dual_fmac_f32 v31, v235, v146
	v_dual_mul_f32 v27, v247, v159 :: v_dual_fma_f32 v15, v234, v146, -v15
	v_dual_add_f32 v11, v11, v13 :: v_dual_fmac_f32 v33, v237, v148
	s_delay_alu instid0(VALU_DEP_3) | instskip(SKIP_1) | instid1(VALU_DEP_3)
	v_dual_add_f32 v9, v9, v29 :: v_dual_fma_f32 v17, v236, v148, -v17
	v_dual_mul_f32 v35, v238, v151 :: v_dual_mul_f32 v37, v240, v153
	v_dual_mul_f32 v13, v249, v161 :: v_dual_add_f32 v11, v11, v15
	s_delay_alu instid0(VALU_DEP_2) | instskip(SKIP_1) | instid1(VALU_DEP_3)
	v_dual_add_f32 v9, v9, v31 :: v_dual_fmac_f32 v35, v239, v150
	v_dual_mul_f32 v15, v251, v163 :: v_dual_fma_f32 v19, v238, v150, -v19
	v_dual_add_f32 v11, v11, v17 :: v_dual_fmac_f32 v37, v241, v152
	s_delay_alu instid0(VALU_DEP_3) | instskip(SKIP_1) | instid1(VALU_DEP_3)
	v_dual_add_f32 v9, v9, v33 :: v_dual_fma_f32 v21, v240, v152, -v21
	v_dual_mul_f32 v39, v242, v155 :: v_dual_mul_f32 v41, v244, v157
	v_dual_mul_f32 v17, v253, v165 :: v_dual_add_f32 v11, v11, v19
	s_delay_alu instid0(VALU_DEP_2) | instskip(SKIP_1) | instid1(VALU_DEP_3)
	v_dual_add_f32 v9, v9, v35 :: v_dual_fmac_f32 v39, v243, v154
	v_dual_mul_f32 v19, v255, v167 :: v_dual_fma_f32 v23, v242, v154, -v23
	v_dual_add_f32 v11, v11, v21 :: v_dual_fmac_f32 v41, v245, v156
	s_delay_alu instid0(VALU_DEP_3) | instskip(SKIP_1) | instid1(VALU_DEP_3)
	v_dual_add_f32 v9, v9, v37 :: v_dual_fma_f32 v25, v244, v156, -v25
	v_dual_mul_f32 v43, v246, v159 :: v_dual_mul_f32 v45, v248, v161
	v_dual_add_f32 v11, v11, v23 :: v_dual_fma_f32 v27, v246, v158, -v27
	s_delay_alu instid0(VALU_DEP_2) | instskip(SKIP_1) | instid1(VALU_DEP_3)
	v_dual_add_f32 v9, v9, v39 :: v_dual_fmac_f32 v43, v247, v158
	v_dual_mul_f32 v47, v250, v163 :: v_dual_mul_f32 v49, v252, v165
	v_dual_add_f32 v11, v11, v25 :: v_dual_fmac_f32 v45, v249, v160
	s_delay_alu instid0(VALU_DEP_3) | instskip(NEXT) | instid1(VALU_DEP_3)
	v_dual_add_f32 v9, v9, v41 :: v_dual_fma_f32 v13, v248, v160, -v13
	v_fmac_f32_e32 v47, v251, v162
	s_delay_alu instid0(VALU_DEP_3) | instskip(NEXT) | instid1(VALU_DEP_3)
	v_dual_add_f32 v11, v11, v27 :: v_dual_fma_f32 v15, v250, v162, -v15
	v_add_f32_e32 v9, v9, v43
	v_fmac_f32_e32 v49, v253, v164
	s_delay_alu instid0(VALU_DEP_3)
	v_dual_fma_f32 v17, v252, v164, -v17 :: v_dual_add_f32 v11, v11, v13
	s_set_vgpr_msb 1                        ;  msbs: dst=0 src0=1 src1=0 src2=0
	v_dual_mul_f32 v53, v0 /*v256*/, v169 :: v_dual_mul_f32 v55, v2 /*v258*/, v171
	s_set_vgpr_msb 0                        ;  msbs: dst=0 src0=0 src1=0 src2=0
	v_add_f32_e32 v9, v9, v45
	s_set_vgpr_msb 1                        ;  msbs: dst=0 src0=1 src1=0 src2=0
	v_dual_mul_f32 v21, v1 /*v257*/, v169 :: v_dual_mul_f32 v23, v3 /*v259*/, v171
	s_set_vgpr_msb 0                        ;  msbs: dst=0 src0=0 src1=0 src2=0
	v_dual_add_f32 v11, v11, v15 :: v_dual_fma_f32 v19, v254, v166, -v19
	v_dual_add_f32 v9, v9, v47 :: v_dual_fmac_f32 v51, v255, v166
	s_set_vgpr_msb 1                        ;  msbs: dst=0 src0=1 src1=0 src2=0
	v_dual_fmac_f32 v53, v1 /*v257*/, v168 :: v_dual_fmac_f32 v55, v3 /*v259*/, v170
	s_set_vgpr_msb 0                        ;  msbs: dst=0 src0=0 src1=0 src2=0
	v_add_f32_e32 v11, v11, v17
	v_add_f32_e32 v9, v9, v49
	s_set_vgpr_msb 1                        ;  msbs: dst=0 src0=1 src1=0 src2=0
	v_fma_f32 v21, v0 /*v256*/, v168, -v21
	v_dual_mul_f32 v57, v4 /*v260*/, v173 :: v_dual_mul_f32 v59, v6 /*v262*/, v175
	s_set_vgpr_msb 0                        ;  msbs: dst=0 src0=0 src1=0 src2=0
	v_add_f32_e32 v11, v11, v19
	v_add_f32_e32 v9, v9, v51
	s_set_vgpr_msb 1                        ;  msbs: dst=0 src0=1 src1=0 src2=0
	v_dual_mul_f32 v25, v5 /*v261*/, v173 :: v_dual_mul_f32 v27, v7 /*v263*/, v175
	v_fma_f32 v19, v2 /*v258*/, v170, -v23
	s_set_vgpr_msb 0                        ;  msbs: dst=0 src0=0 src1=0 src2=0
	v_add_f32_e32 v11, v11, v21
	v_add_f32_e32 v9, v9, v53
	s_set_vgpr_msb 1                        ;  msbs: dst=0 src0=1 src1=0 src2=0
	v_dual_fmac_f32 v57, v5 /*v261*/, v172 :: v_dual_fmac_f32 v59, v7 /*v263*/, v174
	v_fma_f32 v21, v4 /*v260*/, v172, -v25
	s_set_vgpr_msb 0                        ;  msbs: dst=0 src0=0 src1=0 src2=0
	v_add_f32_e32 v11, v11, v19
	v_add_f32_e32 v9, v9, v55
	s_set_vgpr_msb 1                        ;  msbs: dst=0 src0=1 src1=0 src2=0
	v_dual_mul_f32 v13, v9 /*v265*/, v177 :: v_dual_mul_f32 v15, v11 /*v267*/, v179
	s_wait_loadcnt 0x5
	s_set_vgpr_msb 0                        ;  msbs: dst=0 src0=0 src1=0 src2=0
	v_dual_mul_f32 v17, v197, v181 :: v_dual_mov_b32 v124, v183
	s_wait_loadcnt 0x4
	v_dual_mov_b32 v128, v187 :: v_dual_add_f32 v9, v9, v57
	s_set_vgpr_msb 1                        ;  msbs: dst=0 src0=1 src1=0 src2=0
	v_fma_f32 v19, v6 /*v262*/, v174, -v27
	s_set_vgpr_msb 0                        ;  msbs: dst=0 src0=0 src1=0 src2=0
	v_add_f32_e32 v11, v11, v21
	s_set_vgpr_msb 0x41                     ;  msbs: dst=1 src0=1 src1=0 src2=0
	v_dual_mul_f32 v27 /*v283*/, v10 /*v266*/, v179 :: v_dual_fma_f32 v26 /*v282*/, v10 /*v266*/, v178, -v15
	s_set_vgpr_msb 1                        ;  msbs: dst=0 src0=1 src1=0 src2=0
	v_fmac_f32_e32 v61, v9 /*v265*/, v176
	v_fma_f32 v13, v8 /*v264*/, v176, -v13
	s_set_vgpr_msb 0                        ;  msbs: dst=0 src0=0 src1=0 src2=0
	v_add_f32_e32 v9, v9, v59
	v_add_f32_e32 v11, v11, v19
	s_set_vgpr_msb 1                        ;  msbs: dst=0 src0=1 src1=0 src2=0
	v_pk_mul_f32 v[124:125], v[18:19] /*v[274:275]*/, v[124:125] op_sel_hi:[1,0]
	s_set_vgpr_msb 64                       ;  msbs: dst=1 src0=0 src1=0 src2=0
	v_dual_mul_f32 v29 /*v285*/, v196, v181 :: v_dual_fma_f32 v28 /*v284*/, v196, v180, -v17
	s_set_vgpr_msb 0x41                     ;  msbs: dst=1 src0=1 src1=0 src2=0
	v_fmac_f32_e32 v27 /*v283*/, v11 /*v267*/, v178
	s_set_vgpr_msb 0                        ;  msbs: dst=0 src0=0 src1=0 src2=0
	v_add_f32_e32 v133, v9, v61
	v_pk_fma_f32 v[136:137], v[198:199], v[182:183], v[124:125] op_sel_hi:[1,0,1]
	v_add_f32_e32 v132, v11, v13
	v_pk_fma_f32 v[124:125], v[198:199], v[182:183], v[124:125] neg_lo:[0,0,1] neg_hi:[0,0,1]
	v_pk_mul_f32 v[126:127], v[200:201], v[184:185] op_sel:[1,1] op_sel_hi:[0,1]
	s_set_vgpr_msb 64                       ;  msbs: dst=1 src0=0 src1=0 src2=0
	v_fmac_f32_e32 v29 /*v285*/, v197, v180
	s_set_vgpr_msb 4                        ;  msbs: dst=0 src0=0 src1=1 src2=0
	v_mov_b32_e32 v125, v137
	v_pk_add_f32 v[132:133], v[132:133], v[26:27] /*v[282:283]*/
	s_set_vgpr_msb 1                        ;  msbs: dst=0 src0=1 src1=0 src2=0
	v_pk_mul_f32 v[128:129], v[20:21] /*v[276:277]*/, v[128:129] op_sel_hi:[1,0]
	s_set_vgpr_msb 0                        ;  msbs: dst=0 src0=0 src1=0 src2=0
	v_pk_fma_f32 v[138:139], v[200:201], v[184:185], v[126:127] op_sel_hi:[1,0,1]
	v_pk_fma_f32 v[126:127], v[200:201], v[184:185], v[126:127] neg_lo:[0,0,1] neg_hi:[0,0,1]
	s_wait_loadcnt 0x3
	v_pk_mul_f32 v[130:131], v[204:205], v[188:189] op_sel:[1,1] op_sel_hi:[0,1]
	s_set_vgpr_msb 4                        ;  msbs: dst=0 src0=0 src1=1 src2=0
	v_pk_add_f32 v[132:133], v[132:133], v[28:29] /*v[284:285]*/
	v_dual_mov_b32 v134, v191 :: v_dual_mov_b32 v127, v139
	s_set_vgpr_msb 0                        ;  msbs: dst=0 src0=0 src1=0 src2=0
	v_pk_fma_f32 v[138:139], v[202:203], v[186:187], v[128:129] op_sel_hi:[1,0,1]
	v_pk_fma_f32 v[128:129], v[202:203], v[186:187], v[128:129] neg_lo:[0,0,1] neg_hi:[0,0,1]
	v_pk_add_f32 v[124:125], v[132:133], v[124:125]
	v_pk_fma_f32 v[132:133], v[204:205], v[188:189], v[130:131] op_sel_hi:[1,0,1]
	s_set_vgpr_msb 1                        ;  msbs: dst=0 src0=1 src1=0 src2=0
	v_pk_mul_f32 v[134:135], v[22:23] /*v[278:279]*/, v[134:135] op_sel_hi:[1,0]
	s_set_vgpr_msb 0                        ;  msbs: dst=0 src0=0 src1=0 src2=0
	v_mov_b32_e32 v129, v139
	v_pk_fma_f32 v[130:131], v[204:205], v[188:189], v[130:131] neg_lo:[0,0,1] neg_hi:[0,0,1]
	v_pk_add_f32 v[124:125], v[124:125], v[126:127]
	s_wait_loadcnt 0x2
	v_pk_mul_f32 v[136:137], v[216:217], v[192:193] op_sel:[1,1] op_sel_hi:[0,1]
	v_dual_mov_b32 v126, v195 :: v_dual_mov_b32 v131, v133
	v_pk_fma_f32 v[132:133], v[206:207], v[190:191], v[134:135] op_sel_hi:[1,0,1]
	v_pk_add_f32 v[124:125], v[124:125], v[128:129]
	v_pk_fma_f32 v[134:135], v[206:207], v[190:191], v[134:135] neg_lo:[0,0,1] neg_hi:[0,0,1]
	v_pk_fma_f32 v[128:129], v[216:217], v[192:193], v[136:137] op_sel_hi:[1,0,1]
	s_set_vgpr_msb 1                        ;  msbs: dst=0 src0=1 src1=0 src2=0
	v_pk_mul_f32 v[126:127], v[24:25] /*v[280:281]*/, v[126:127] op_sel_hi:[1,0]
	s_set_vgpr_msb 0                        ;  msbs: dst=0 src0=0 src1=0 src2=0
	v_mov_b32_e32 v135, v133
	v_pk_add_f32 v[124:125], v[124:125], v[130:131]
	v_pk_fma_f32 v[130:131], v[216:217], v[192:193], v[136:137] neg_lo:[0,0,1] neg_hi:[0,0,1]
	v_mov_b32_e32 v131, v129
	v_pk_fma_f32 v[128:129], v[218:219], v[194:195], v[126:127] op_sel_hi:[1,0,1]
	s_wait_loadcnt_dscnt 0x100
	s_set_vgpr_msb 5                        ;  msbs: dst=0 src0=1 src1=1 src2=0
	v_pk_mul_f32 v[132:133], v[16:17] /*v[272:273]*/, v[12:13] /*v[268:269]*/ op_sel:[1,1] op_sel_hi:[0,1]
	s_set_vgpr_msb 0                        ;  msbs: dst=0 src0=0 src1=0 src2=0
	v_pk_add_f32 v[124:125], v[124:125], v[134:135]
	v_pk_fma_f32 v[126:127], v[218:219], v[194:195], v[126:127] neg_lo:[0,0,1] neg_hi:[0,0,1]
	v_mov_b32_e32 v127, v129
	s_set_vgpr_msb 5                        ;  msbs: dst=0 src0=1 src1=1 src2=0
	v_pk_fma_f32 v[128:129], v[16:17] /*v[272:273]*/, v[12:13] /*v[268:269]*/, v[132:133] op_sel_hi:[1,0,1]
	s_set_vgpr_msb 0                        ;  msbs: dst=0 src0=0 src1=0 src2=0
	v_pk_add_f32 v[124:125], v[124:125], v[130:131]
	s_set_vgpr_msb 5                        ;  msbs: dst=0 src0=1 src1=1 src2=0
	v_pk_fma_f32 v[130:131], v[16:17] /*v[272:273]*/, v[12:13] /*v[268:269]*/, v[132:133] neg_lo:[0,0,1] neg_hi:[0,0,1]
	s_set_vgpr_msb 0                        ;  msbs: dst=0 src0=0 src1=0 src2=0
	v_mov_b32_e32 v131, v129
	v_pk_add_f32 v[124:125], v[124:125], v[126:127]
	s_delay_alu instid0(VALU_DEP_1) | instskip(SKIP_2) | instid1(VALU_DEP_1)
	v_pk_add_f32 v[124:125], v[124:125], v[130:131]
	s_wait_loadcnt 0x0
	s_set_vgpr_msb 1                        ;  msbs: dst=0 src0=1 src1=0 src2=0
	v_pk_add_f32 v[124:125], v[14:15] /*v[270:271]*/, v[124:125] neg_lo:[0,1] neg_hi:[0,1]
	scratch_store_b64 off, v[124:125], off offset:184
	s_wait_xcnt 0x0
	v_cmpx_lt_u32_e32 22, v0
	s_set_vgpr_msb 0                        ;  msbs: dst=0 src0=0 src1=0 src2=0
	s_cbranch_execz .LBB124_335
; %bb.334:
	scratch_load_b64 v[124:125], off, off offset:176
	v_mov_b64_e32 v[126:127], 0
	scratch_store_b64 off, v[126:127], off offset:176
	s_wait_loadcnt 0x0
	ds_store_b64 v1, v[124:125]
.LBB124_335:
	s_wait_xcnt 0x0
	s_or_b32 exec_lo, exec_lo, s0
	s_wait_storecnt_dscnt 0x0
	s_barrier_signal -1
	s_barrier_wait -1
	s_clause 0xd
	scratch_load_b128 v[128:131], off, off offset:184
	scratch_load_b128 v[136:139], off, off offset:200
	;; [unrolled: 1-line block ×14, first 2 shown]
	ds_load_2addr_b64 v[124:127], v7 offset0:85 offset1:86
	ds_load_2addr_b64 v[132:135], v7 offset0:87 offset1:88
	;; [unrolled: 1-line block ×7, first 2 shown]
	scratch_load_b128 v[240:243], off, off offset:408
	ds_load_2addr_b64 v[172:175], v7 offset0:97 offset1:98
	ds_load_2addr_b64 v[180:183], v7 offset0:99 offset1:100
	;; [unrolled: 1-line block ×8, first 2 shown]
	s_clause 0x4
	scratch_load_b128 v[244:247], off, off offset:424
	scratch_load_b128 v[248:251], off, off offset:440
	;; [unrolled: 1-line block ×3, first 2 shown]
	s_set_vgpr_msb 64                       ;  msbs: dst=1 src0=0 src1=0 src2=0
	scratch_load_b128 v[0:3] /*v[256:259]*/, off, off offset:472
	s_mov_b32 s0, exec_lo
	s_wait_loadcnt_dscnt 0x120e
	s_set_vgpr_msb 0                        ;  msbs: dst=0 src0=0 src1=0 src2=0
	v_dual_mul_f32 v9, v124, v129 :: v_dual_mul_f32 v11, v126, v131
	s_delay_alu instid0(VALU_DEP_1) | instskip(NEXT) | instid1(VALU_DEP_1)
	v_dual_fmac_f32 v9, v125, v128 :: v_dual_fmac_f32 v11, v127, v130
	v_add_f32_e32 v9, 0, v9
	s_wait_loadcnt_dscnt 0x110d
	s_delay_alu instid0(VALU_DEP_1) | instskip(NEXT) | instid1(VALU_DEP_1)
	v_dual_add_f32 v9, v9, v11 :: v_dual_mul_f32 v11, v132, v137
	v_fmac_f32_e32 v11, v133, v136
	s_wait_loadcnt_dscnt 0x408
	s_set_vgpr_msb 64                       ;  msbs: dst=1 src0=0 src1=0 src2=0
	v_dual_mul_f32 v7 /*v263*/, v236, v241 :: v_dual_mul_f32 v9 /*v265*/, v238, v243
	s_set_vgpr_msb 0                        ;  msbs: dst=0 src0=0 src1=0 src2=0
	v_add_f32_e32 v9, v9, v11
	v_mul_f32_e32 v11, v134, v139
	s_set_vgpr_msb 64                       ;  msbs: dst=1 src0=0 src1=0 src2=0
	v_fmac_f32_e32 v7 /*v263*/, v237, v240
	s_set_vgpr_msb 0                        ;  msbs: dst=0 src0=0 src1=0 src2=0
	s_delay_alu instid0(VALU_DEP_2) | instskip(NEXT) | instid1(VALU_DEP_1)
	v_fmac_f32_e32 v11, v135, v138
	v_dual_add_f32 v9, v9, v11 :: v_dual_mul_f32 v11, v140, v145
	s_delay_alu instid0(VALU_DEP_1) | instskip(NEXT) | instid1(VALU_DEP_1)
	v_fmac_f32_e32 v11, v141, v144
	v_add_f32_e32 v9, v9, v11
	v_mul_f32_e32 v11, v142, v147
	s_delay_alu instid0(VALU_DEP_1) | instskip(NEXT) | instid1(VALU_DEP_1)
	v_fmac_f32_e32 v11, v143, v146
	v_dual_add_f32 v9, v9, v11 :: v_dual_mul_f32 v11, v148, v153
	s_delay_alu instid0(VALU_DEP_1) | instskip(NEXT) | instid1(VALU_DEP_1)
	v_fmac_f32_e32 v11, v149, v152
	v_add_f32_e32 v9, v9, v11
	v_mul_f32_e32 v11, v150, v155
	s_delay_alu instid0(VALU_DEP_1) | instskip(NEXT) | instid1(VALU_DEP_1)
	;; [unrolled: 7-line block ×3, first 2 shown]
	v_fmac_f32_e32 v11, v159, v162
	v_dual_add_f32 v9, v9, v11 :: v_dual_mul_f32 v11, v164, v169
	s_delay_alu instid0(VALU_DEP_1) | instskip(NEXT) | instid1(VALU_DEP_1)
	v_fmac_f32_e32 v11, v165, v168
	v_add_f32_e32 v9, v9, v11
	v_mul_f32_e32 v11, v166, v171
	s_delay_alu instid0(VALU_DEP_1) | instskip(SKIP_1) | instid1(VALU_DEP_1)
	v_fmac_f32_e32 v11, v167, v170
	s_wait_dscnt 0x7
	v_dual_add_f32 v9, v9, v11 :: v_dual_mul_f32 v11, v172, v177
	s_delay_alu instid0(VALU_DEP_1) | instskip(NEXT) | instid1(VALU_DEP_1)
	v_fmac_f32_e32 v11, v173, v176
	v_add_f32_e32 v9, v9, v11
	v_mul_f32_e32 v11, v174, v179
	s_delay_alu instid0(VALU_DEP_1) | instskip(SKIP_1) | instid1(VALU_DEP_1)
	v_fmac_f32_e32 v11, v175, v178
	s_wait_dscnt 0x6
	;; [unrolled: 8-line block ×8, first 2 shown]
	v_dual_add_f32 v9, v9, v11 :: v_dual_mul_f32 v11, v228, v233
	s_delay_alu instid0(VALU_DEP_1) | instskip(NEXT) | instid1(VALU_DEP_1)
	v_fmac_f32_e32 v11, v229, v232
	v_add_f32_e32 v9, v9, v11
	v_mul_f32_e32 v11, v230, v235
	s_delay_alu instid0(VALU_DEP_1) | instskip(SKIP_1) | instid1(VALU_DEP_1)
	v_fmac_f32_e32 v11, v231, v234
	s_set_vgpr_msb 64                       ;  msbs: dst=1 src0=0 src1=0 src2=0
	v_add_f32_e32 v5 /*v261*/, v9, v11
	s_set_vgpr_msb 0                        ;  msbs: dst=0 src0=0 src1=0 src2=0
	v_dual_mul_f32 v9, v125, v129 :: v_dual_mul_f32 v11, v127, v131
	s_delay_alu instid0(VALU_DEP_1) | instskip(NEXT) | instid1(VALU_DEP_1)
	v_dual_fma_f32 v9, v124, v128, -v9 :: v_dual_fma_f32 v11, v126, v130, -v11
	v_add_f32_e32 v9, 0, v9
	s_delay_alu instid0(VALU_DEP_1) | instskip(SKIP_1) | instid1(VALU_DEP_1)
	v_add_f32_e32 v9, v9, v11
	v_mul_f32_e32 v11, v133, v137
	v_fma_f32 v11, v132, v136, -v11
	s_delay_alu instid0(VALU_DEP_1) | instskip(SKIP_1) | instid1(VALU_DEP_1)
	v_add_f32_e32 v9, v9, v11
	v_mul_f32_e32 v11, v135, v139
	v_fma_f32 v11, v134, v138, -v11
	ds_load_2addr_b64 v[124:127], v7 offset0:115 offset1:116
	ds_load_2addr_b64 v[128:131], v7 offset0:117 offset1:118
	;; [unrolled: 1-line block ×4, first 2 shown]
	v_add_f32_e32 v9, v9, v11
	v_mul_f32_e32 v11, v141, v145
	s_delay_alu instid0(VALU_DEP_1) | instskip(NEXT) | instid1(VALU_DEP_1)
	v_fma_f32 v11, v140, v144, -v11
	v_add_f32_e32 v9, v9, v11
	v_mul_f32_e32 v11, v143, v147
	s_delay_alu instid0(VALU_DEP_1) | instskip(SKIP_2) | instid1(VALU_DEP_2)
	v_fma_f32 v11, v142, v146, -v11
	s_wait_loadcnt_dscnt 0x303
	v_pk_mul_f32 v[142:143], v[124:125], v[244:245] op_sel:[1,1] op_sel_hi:[0,1]
	v_add_f32_e32 v9, v9, v11
	v_mul_f32_e32 v11, v149, v153
	s_delay_alu instid0(VALU_DEP_3) | instskip(SKIP_1) | instid1(VALU_DEP_3)
	v_pk_fma_f32 v[144:145], v[124:125], v[244:245], v[142:143] neg_lo:[0,0,1] neg_hi:[0,0,1]
	v_pk_fma_f32 v[124:125], v[124:125], v[244:245], v[142:143] op_sel_hi:[1,0,1]
	v_dual_mov_b32 v142, v247 :: v_dual_fma_f32 v11, v148, v152, -v11
	s_delay_alu instid0(VALU_DEP_2) | instskip(NEXT) | instid1(VALU_DEP_2)
	v_mov_b32_e32 v145, v125
	v_add_f32_e32 v9, v9, v11
	v_mul_f32_e32 v11, v151, v155
	s_delay_alu instid0(VALU_DEP_1) | instskip(NEXT) | instid1(VALU_DEP_1)
	v_fma_f32 v11, v150, v154, -v11
	v_add_f32_e32 v9, v9, v11
	v_mul_f32_e32 v11, v157, v161
	s_delay_alu instid0(VALU_DEP_1) | instskip(NEXT) | instid1(VALU_DEP_1)
	v_fma_f32 v11, v156, v160, -v11
	;; [unrolled: 4-line block ×20, first 2 shown]
	v_add_f32_e32 v9, v9, v11
	v_mul_f32_e32 v11, v231, v235
	s_delay_alu instid0(VALU_DEP_1) | instskip(SKIP_1) | instid1(VALU_DEP_1)
	v_fma_f32 v11, v230, v234, -v11
	s_set_vgpr_msb 64                       ;  msbs: dst=1 src0=0 src1=0 src2=0
	v_dual_fmac_f32 v9 /*v265*/, v239, v242 :: v_dual_add_f32 v4 /*v260*/, v9, v11
	s_set_vgpr_msb 0                        ;  msbs: dst=0 src0=0 src1=0 src2=0
	v_mul_f32_e32 v9, v237, v241
	s_set_vgpr_msb 64                       ;  msbs: dst=1 src0=0 src1=0 src2=0
	s_delay_alu instid0(VALU_DEP_1) | instskip(SKIP_3) | instid1(VALU_DEP_1)
	v_fma_f32 v6 /*v262*/, v236, v240, -v9
	s_set_vgpr_msb 0                        ;  msbs: dst=0 src0=0 src1=0 src2=0
	v_mul_f32_e32 v9, v239, v243
	s_set_vgpr_msb 64                       ;  msbs: dst=1 src0=0 src1=0 src2=0
	v_fma_f32 v8 /*v264*/, v238, v242, -v9
	s_set_vgpr_msb 5                        ;  msbs: dst=0 src0=1 src1=1 src2=0
	v_pk_add_f32 v[140:141], v[4:5] /*v[260:261]*/, v[6:7] /*v[262:263]*/
	s_set_vgpr_msb 4                        ;  msbs: dst=0 src0=0 src1=1 src2=0
	s_delay_alu instid0(VALU_DEP_1) | instskip(SKIP_1) | instid1(VALU_DEP_1)
	v_pk_add_f32 v[140:141], v[140:141], v[8:9] /*v[264:265]*/
	s_set_vgpr_msb 0                        ;  msbs: dst=0 src0=0 src1=0 src2=0
	v_pk_add_f32 v[124:125], v[140:141], v[144:145]
	v_dual_mov_b32 v140, v127 :: v_dual_mov_b32 v141, v126
	s_delay_alu instid0(VALU_DEP_1) | instskip(NEXT) | instid1(VALU_DEP_1)
	v_pk_mul_f32 v[140:141], v[140:141], v[142:143] op_sel_hi:[1,0]
	v_pk_fma_f32 v[142:143], v[126:127], v[246:247], v[140:141] neg_lo:[0,0,1] neg_hi:[0,0,1]
	v_pk_fma_f32 v[126:127], v[126:127], v[246:247], v[140:141] op_sel_hi:[1,0,1]
	s_delay_alu instid0(VALU_DEP_1) | instskip(SKIP_2) | instid1(VALU_DEP_2)
	v_mov_b32_e32 v143, v127
	s_wait_loadcnt_dscnt 0x202
	v_pk_mul_f32 v[126:127], v[128:129], v[248:249] op_sel:[1,1] op_sel_hi:[0,1]
	v_pk_add_f32 v[124:125], v[124:125], v[142:143]
	s_delay_alu instid0(VALU_DEP_2) | instskip(SKIP_2) | instid1(VALU_DEP_2)
	v_pk_fma_f32 v[140:141], v[128:129], v[248:249], v[126:127] neg_lo:[0,0,1] neg_hi:[0,0,1]
	v_pk_fma_f32 v[126:127], v[128:129], v[248:249], v[126:127] op_sel_hi:[1,0,1]
	v_dual_mov_b32 v126, v131 :: v_dual_mov_b32 v128, v251
	v_dual_mov_b32 v141, v127 :: v_dual_mov_b32 v127, v130
	s_delay_alu instid0(VALU_DEP_1) | instskip(NEXT) | instid1(VALU_DEP_2)
	v_pk_add_f32 v[124:125], v[124:125], v[140:141]
	v_pk_mul_f32 v[126:127], v[126:127], v[128:129] op_sel_hi:[1,0]
	s_delay_alu instid0(VALU_DEP_1) | instskip(SKIP_1) | instid1(VALU_DEP_1)
	v_pk_fma_f32 v[128:129], v[130:131], v[250:251], v[126:127] neg_lo:[0,0,1] neg_hi:[0,0,1]
	v_pk_fma_f32 v[126:127], v[130:131], v[250:251], v[126:127] op_sel_hi:[1,0,1]
	v_mov_b32_e32 v129, v127
	s_wait_loadcnt_dscnt 0x101
	v_pk_mul_f32 v[126:127], v[132:133], v[252:253] op_sel:[1,1] op_sel_hi:[0,1]
	s_delay_alu instid0(VALU_DEP_2) | instskip(NEXT) | instid1(VALU_DEP_2)
	v_pk_add_f32 v[124:125], v[124:125], v[128:129]
	v_pk_fma_f32 v[128:129], v[132:133], v[252:253], v[126:127] neg_lo:[0,0,1] neg_hi:[0,0,1]
	v_pk_fma_f32 v[126:127], v[132:133], v[252:253], v[126:127] op_sel_hi:[1,0,1]
	s_delay_alu instid0(VALU_DEP_1) | instskip(SKIP_1) | instid1(VALU_DEP_2)
	v_dual_mov_b32 v126, v135 :: v_dual_mov_b32 v129, v127
	v_mov_b32_e32 v127, v134
	v_pk_add_f32 v[124:125], v[124:125], v[128:129]
	v_mov_b32_e32 v128, v255
	s_delay_alu instid0(VALU_DEP_1) | instskip(NEXT) | instid1(VALU_DEP_1)
	v_pk_mul_f32 v[126:127], v[126:127], v[128:129] op_sel_hi:[1,0]
	v_pk_fma_f32 v[128:129], v[134:135], v[254:255], v[126:127] neg_lo:[0,0,1] neg_hi:[0,0,1]
	v_pk_fma_f32 v[126:127], v[134:135], v[254:255], v[126:127] op_sel_hi:[1,0,1]
	s_delay_alu instid0(VALU_DEP_1)
	v_mov_b32_e32 v129, v127
	s_wait_loadcnt_dscnt 0x0
	s_set_vgpr_msb 4                        ;  msbs: dst=0 src0=0 src1=1 src2=0
	v_pk_mul_f32 v[126:127], v[136:137], v[0:1] /*v[256:257]*/ op_sel:[1,1] op_sel_hi:[0,1]
	s_set_vgpr_msb 0                        ;  msbs: dst=0 src0=0 src1=0 src2=0
	v_pk_add_f32 v[124:125], v[124:125], v[128:129]
	s_set_vgpr_msb 4                        ;  msbs: dst=0 src0=0 src1=1 src2=0
	s_delay_alu instid0(VALU_DEP_2) | instskip(SKIP_1) | instid1(VALU_DEP_1)
	v_pk_fma_f32 v[128:129], v[136:137], v[0:1] /*v[256:257]*/, v[126:127] neg_lo:[0,0,1] neg_hi:[0,0,1]
	v_pk_fma_f32 v[126:127], v[136:137], v[0:1] /*v[256:257]*/, v[126:127] op_sel_hi:[1,0,1]
	v_dual_mov_b32 v126, v139 :: v_dual_mov_b32 v129, v127
	v_mov_b32_e32 v127, v138
	s_set_vgpr_msb 0                        ;  msbs: dst=0 src0=0 src1=0 src2=0
	s_delay_alu instid0(VALU_DEP_2) | instskip(SKIP_3) | instid1(VALU_DEP_1)
	v_pk_add_f32 v[124:125], v[124:125], v[128:129]
	s_set_vgpr_msb 1                        ;  msbs: dst=0 src0=1 src1=0 src2=0
	v_mov_b32_e32 v128, v3 /*v259*/
	s_set_vgpr_msb 0                        ;  msbs: dst=0 src0=0 src1=0 src2=0
	v_pk_mul_f32 v[126:127], v[126:127], v[128:129] op_sel_hi:[1,0]
	s_set_vgpr_msb 4                        ;  msbs: dst=0 src0=0 src1=1 src2=0
	s_delay_alu instid0(VALU_DEP_1) | instskip(SKIP_1) | instid1(VALU_DEP_1)
	v_pk_fma_f32 v[128:129], v[138:139], v[2:3] /*v[258:259]*/, v[126:127] neg_lo:[0,0,1] neg_hi:[0,0,1]
	v_pk_fma_f32 v[126:127], v[138:139], v[2:3] /*v[258:259]*/, v[126:127] op_sel_hi:[1,0,1]
	v_mov_b32_e32 v129, v127
	scratch_load_b64 v[126:127], off, off offset:176
	s_set_vgpr_msb 0                        ;  msbs: dst=0 src0=0 src1=0 src2=0
	v_pk_add_f32 v[124:125], v[124:125], v[128:129]
	s_wait_loadcnt 0x0
	s_delay_alu instid0(VALU_DEP_1)
	v_pk_add_f32 v[124:125], v[126:127], v[124:125] neg_lo:[0,1] neg_hi:[0,1]
	scratch_store_b64 off, v[124:125], off offset:176
	s_wait_xcnt 0x0
	v_cmpx_lt_u32_e32 21, v0
	s_cbranch_execz .LBB124_337
; %bb.336:
	scratch_load_b64 v[124:125], off, off offset:168
	v_mov_b64_e32 v[126:127], 0
	scratch_store_b64 off, v[126:127], off offset:168
	s_wait_loadcnt 0x0
	ds_store_b64 v1, v[124:125]
.LBB124_337:
	s_wait_xcnt 0x0
	s_or_b32 exec_lo, exec_lo, s0
	v_mov_b32_e32 v7, 0
	s_wait_storecnt_dscnt 0x0
	s_barrier_signal -1
	s_barrier_wait -1
	ds_load_b128 v[124:127], v7 offset:672
	ds_load_b128 v[128:131], v7 offset:688
	;; [unrolled: 1-line block ×4, first 2 shown]
	s_clause 0xf
	scratch_load_b128 v[140:143], off, off offset:176
	scratch_load_b128 v[144:147], off, off offset:192
	;; [unrolled: 1-line block ×16, first 2 shown]
	s_mov_b32 s0, exec_lo
	s_wait_loadcnt_dscnt 0xf03
	v_mul_f32_e32 v9, v124, v141
	ds_load_b128 v[236:239], v7 offset:896
	ds_load_b128 v[244:247], v7 offset:912
	;; [unrolled: 1-line block ×4, first 2 shown]
	v_dual_fmac_f32 v9, v125, v140 :: v_dual_mul_f32 v11, v126, v143
	ds_load_b128 v[172:175], v7 offset:768
	ds_load_b128 v[180:183], v7 offset:784
	ds_load_b128 v[188:191], v7 offset:800
	ds_load_b128 v[196:199], v7 offset:816
	v_dual_add_f32 v9, 0, v9 :: v_dual_fmac_f32 v11, v127, v142
	ds_load_b128 v[204:207], v7 offset:832
	ds_load_b128 v[212:215], v7 offset:848
	ds_load_b128 v[220:223], v7 offset:864
	ds_load_b128 v[228:231], v7 offset:880
	s_wait_loadcnt_dscnt 0xe0e
	v_dual_add_f32 v9, v9, v11 :: v_dual_mul_f32 v11, v128, v145
	s_clause 0x4
	scratch_load_b128 v[252:255], off, off offset:432
	s_set_vgpr_msb 64                       ;  msbs: dst=1 src0=0 src1=0 src2=0
	scratch_load_b128 v[0:3] /*v[256:259]*/, off, off offset:448
	scratch_load_b128 v[4:7] /*v[260:263]*/, off, off offset:464
	scratch_load_b64 v[14:15] /*v[270:271]*/, off, off offset:480
	s_wait_loadcnt_dscnt 0x40a
	v_dual_mul_f32 v11 /*v267*/, v238, v243 :: v_dual_mul_f32 v13 /*v269*/, v244, v249
	s_set_vgpr_msb 0                        ;  msbs: dst=0 src0=0 src1=0 src2=0
	v_fmac_f32_e32 v11, v129, v144
	s_set_vgpr_msb 64                       ;  msbs: dst=1 src0=0 src1=0 src2=0
	s_delay_alu instid0(VALU_DEP_2) | instskip(SKIP_1) | instid1(VALU_DEP_2)
	v_dual_fmac_f32 v11 /*v267*/, v239, v242 :: v_dual_fmac_f32 v13 /*v269*/, v245, v248
	s_set_vgpr_msb 0                        ;  msbs: dst=0 src0=0 src1=0 src2=0
	v_add_f32_e32 v9, v9, v11
	v_mul_f32_e32 v11, v130, v147
	s_delay_alu instid0(VALU_DEP_1) | instskip(NEXT) | instid1(VALU_DEP_1)
	v_fmac_f32_e32 v11, v131, v146
	v_dual_add_f32 v9, v9, v11 :: v_dual_mul_f32 v11, v132, v149
	s_delay_alu instid0(VALU_DEP_1) | instskip(NEXT) | instid1(VALU_DEP_1)
	v_fmac_f32_e32 v11, v133, v148
	v_add_f32_e32 v9, v9, v11
	v_mul_f32_e32 v11, v134, v151
	s_delay_alu instid0(VALU_DEP_1) | instskip(NEXT) | instid1(VALU_DEP_1)
	v_fmac_f32_e32 v11, v135, v150
	v_dual_add_f32 v9, v9, v11 :: v_dual_mul_f32 v11, v136, v153
	s_delay_alu instid0(VALU_DEP_1) | instskip(NEXT) | instid1(VALU_DEP_1)
	v_fmac_f32_e32 v11, v137, v152
	v_add_f32_e32 v9, v9, v11
	v_mul_f32_e32 v11, v138, v155
	s_delay_alu instid0(VALU_DEP_1) | instskip(SKIP_1) | instid1(VALU_DEP_1)
	v_fmac_f32_e32 v11, v139, v154
	s_wait_dscnt 0x9
	v_dual_add_f32 v9, v9, v11 :: v_dual_mul_f32 v11, v156, v161
	s_delay_alu instid0(VALU_DEP_1) | instskip(NEXT) | instid1(VALU_DEP_1)
	v_fmac_f32_e32 v11, v157, v160
	v_add_f32_e32 v9, v9, v11
	v_mul_f32_e32 v11, v158, v163
	s_delay_alu instid0(VALU_DEP_1) | instskip(SKIP_1) | instid1(VALU_DEP_1)
	v_fmac_f32_e32 v11, v159, v162
	s_wait_dscnt 0x8
	;; [unrolled: 8-line block ×10, first 2 shown]
	v_dual_add_f32 v9, v9, v11 :: v_dual_mul_f32 v11, v228, v233
	s_delay_alu instid0(VALU_DEP_1) | instskip(NEXT) | instid1(VALU_DEP_1)
	v_fmac_f32_e32 v11, v229, v232
	v_add_f32_e32 v9, v9, v11
	v_mul_f32_e32 v11, v230, v235
	s_delay_alu instid0(VALU_DEP_1) | instskip(NEXT) | instid1(VALU_DEP_1)
	v_fmac_f32_e32 v11, v231, v234
	v_dual_add_f32 v9, v9, v11 :: v_dual_mul_f32 v11, v236, v241
	s_delay_alu instid0(VALU_DEP_1) | instskip(SKIP_1) | instid1(VALU_DEP_1)
	v_fmac_f32_e32 v11, v237, v240
	s_set_vgpr_msb 64                       ;  msbs: dst=1 src0=0 src1=0 src2=0
	v_add_f32_e32 v9 /*v265*/, v9, v11
	s_set_vgpr_msb 0                        ;  msbs: dst=0 src0=0 src1=0 src2=0
	v_dual_mul_f32 v9, v125, v141 :: v_dual_mul_f32 v11, v127, v143
	s_delay_alu instid0(VALU_DEP_1) | instskip(NEXT) | instid1(VALU_DEP_2)
	v_dual_mov_b32 v141, v246 :: v_dual_fma_f32 v9, v124, v140, -v9
	v_dual_fma_f32 v11, v126, v142, -v11 :: v_dual_mov_b32 v140, v247
	s_delay_alu instid0(VALU_DEP_2) | instskip(NEXT) | instid1(VALU_DEP_1)
	v_dual_mov_b32 v142, v251 :: v_dual_add_f32 v9, 0, v9
	v_pk_mul_f32 v[140:141], v[140:141], v[142:143] op_sel_hi:[1,0]
	s_delay_alu instid0(VALU_DEP_2) | instskip(SKIP_1) | instid1(VALU_DEP_3)
	v_add_f32_e32 v9, v9, v11
	v_mul_f32_e32 v11, v129, v145
	v_pk_fma_f32 v[142:143], v[246:247], v[250:251], v[140:141] neg_lo:[0,0,1] neg_hi:[0,0,1]
	v_pk_fma_f32 v[140:141], v[246:247], v[250:251], v[140:141] op_sel_hi:[1,0,1]
	s_delay_alu instid0(VALU_DEP_1) | instskip(NEXT) | instid1(VALU_DEP_1)
	v_dual_fma_f32 v11, v128, v144, -v11 :: v_dual_mov_b32 v143, v141
	v_add_f32_e32 v9, v9, v11
	v_mul_f32_e32 v11, v131, v147
	s_delay_alu instid0(VALU_DEP_1) | instskip(NEXT) | instid1(VALU_DEP_1)
	v_fma_f32 v11, v130, v146, -v11
	v_add_f32_e32 v9, v9, v11
	v_mul_f32_e32 v11, v133, v149
	s_delay_alu instid0(VALU_DEP_1) | instskip(NEXT) | instid1(VALU_DEP_1)
	v_fma_f32 v11, v132, v148, -v11
	;; [unrolled: 4-line block ×3, first 2 shown]
	v_add_f32_e32 v9, v9, v11
	v_mul_f32_e32 v11, v137, v153
	s_delay_alu instid0(VALU_DEP_1)
	v_fma_f32 v11, v136, v152, -v11
	ds_load_b128 v[124:127], v7 offset:928
	ds_load_b128 v[128:131], v7 offset:944
	;; [unrolled: 1-line block ×3, first 2 shown]
	ds_load_b64 v[136:137], v7 offset:976
	v_add_f32_e32 v9, v9, v11
	v_mul_f32_e32 v11, v139, v155
	s_delay_alu instid0(VALU_DEP_1) | instskip(NEXT) | instid1(VALU_DEP_1)
	v_fma_f32 v11, v138, v154, -v11
	v_add_f32_e32 v9, v9, v11
	v_mul_f32_e32 v11, v157, v161
	s_wait_loadcnt_dscnt 0x303
	v_pk_mul_f32 v[140:141], v[124:125], v[252:253] op_sel:[1,1] op_sel_hi:[0,1]
	s_delay_alu instid0(VALU_DEP_2) | instskip(NEXT) | instid1(VALU_DEP_1)
	v_fma_f32 v11, v156, v160, -v11
	v_add_f32_e32 v9, v9, v11
	v_mul_f32_e32 v11, v159, v163
	s_delay_alu instid0(VALU_DEP_1) | instskip(NEXT) | instid1(VALU_DEP_1)
	v_fma_f32 v11, v158, v162, -v11
	v_add_f32_e32 v9, v9, v11
	v_mul_f32_e32 v11, v165, v169
	s_delay_alu instid0(VALU_DEP_1) | instskip(NEXT) | instid1(VALU_DEP_1)
	;; [unrolled: 4-line block ×19, first 2 shown]
	v_fma_f32 v11, v230, v234, -v11
	v_add_f32_e32 v9, v9, v11
	v_mul_f32_e32 v11, v237, v241
	s_delay_alu instid0(VALU_DEP_1) | instskip(SKIP_1) | instid1(VALU_DEP_1)
	v_fma_f32 v11, v236, v240, -v11
	s_set_vgpr_msb 64                       ;  msbs: dst=1 src0=0 src1=0 src2=0
	v_add_f32_e32 v8 /*v264*/, v9, v11
	s_set_vgpr_msb 0                        ;  msbs: dst=0 src0=0 src1=0 src2=0
	v_mul_f32_e32 v9, v239, v243
	s_set_vgpr_msb 64                       ;  msbs: dst=1 src0=0 src1=0 src2=0
	s_delay_alu instid0(VALU_DEP_1) | instskip(SKIP_3) | instid1(VALU_DEP_2)
	v_fma_f32 v10 /*v266*/, v238, v242, -v9
	s_set_vgpr_msb 0                        ;  msbs: dst=0 src0=0 src1=0 src2=0
	v_mul_f32_e32 v9, v245, v249
	s_set_vgpr_msb 5                        ;  msbs: dst=0 src0=1 src1=1 src2=0
	v_pk_add_f32 v[138:139], v[8:9] /*v[264:265]*/, v[10:11] /*v[266:267]*/
	s_set_vgpr_msb 64                       ;  msbs: dst=1 src0=0 src1=0 src2=0
	s_delay_alu instid0(VALU_DEP_2) | instskip(SKIP_1) | instid1(VALU_DEP_1)
	v_fma_f32 v12 /*v268*/, v244, v248, -v9
	s_set_vgpr_msb 4                        ;  msbs: dst=0 src0=0 src1=1 src2=0
	v_pk_add_f32 v[138:139], v[138:139], v[12:13] /*v[268:269]*/
	s_set_vgpr_msb 0                        ;  msbs: dst=0 src0=0 src1=0 src2=0
	s_delay_alu instid0(VALU_DEP_1) | instskip(SKIP_2) | instid1(VALU_DEP_1)
	v_pk_add_f32 v[138:139], v[138:139], v[142:143]
	v_pk_fma_f32 v[142:143], v[124:125], v[252:253], v[140:141] neg_lo:[0,0,1] neg_hi:[0,0,1]
	v_pk_fma_f32 v[124:125], v[124:125], v[252:253], v[140:141] op_sel_hi:[1,0,1]
	v_dual_mov_b32 v140, v255 :: v_dual_mov_b32 v143, v125
	s_delay_alu instid0(VALU_DEP_1) | instskip(SKIP_1) | instid1(VALU_DEP_1)
	v_pk_add_f32 v[124:125], v[138:139], v[142:143]
	v_dual_mov_b32 v138, v127 :: v_dual_mov_b32 v139, v126
	v_pk_mul_f32 v[138:139], v[138:139], v[140:141] op_sel_hi:[1,0]
	s_delay_alu instid0(VALU_DEP_1) | instskip(SKIP_1) | instid1(VALU_DEP_1)
	v_pk_fma_f32 v[140:141], v[126:127], v[254:255], v[138:139] neg_lo:[0,0,1] neg_hi:[0,0,1]
	v_pk_fma_f32 v[126:127], v[126:127], v[254:255], v[138:139] op_sel_hi:[1,0,1]
	v_mov_b32_e32 v141, v127
	s_wait_loadcnt_dscnt 0x202
	s_set_vgpr_msb 4                        ;  msbs: dst=0 src0=0 src1=1 src2=0
	v_pk_mul_f32 v[126:127], v[128:129], v[0:1] /*v[256:257]*/ op_sel:[1,1] op_sel_hi:[0,1]
	s_set_vgpr_msb 0                        ;  msbs: dst=0 src0=0 src1=0 src2=0
	v_pk_add_f32 v[124:125], v[124:125], v[140:141]
	s_set_vgpr_msb 4                        ;  msbs: dst=0 src0=0 src1=1 src2=0
	s_delay_alu instid0(VALU_DEP_2)
	v_pk_fma_f32 v[138:139], v[128:129], v[0:1] /*v[256:257]*/, v[126:127] neg_lo:[0,0,1] neg_hi:[0,0,1]
	v_pk_fma_f32 v[126:127], v[128:129], v[0:1] /*v[256:257]*/, v[126:127] op_sel_hi:[1,0,1]
	v_mov_b32_e32 v126, v131
	s_set_vgpr_msb 1                        ;  msbs: dst=0 src0=1 src1=0 src2=0
	v_mov_b32_e32 v128, v3 /*v259*/
	s_set_vgpr_msb 0                        ;  msbs: dst=0 src0=0 src1=0 src2=0
	v_dual_mov_b32 v139, v127 :: v_dual_mov_b32 v127, v130
	s_delay_alu instid0(VALU_DEP_1) | instskip(NEXT) | instid1(VALU_DEP_2)
	v_pk_add_f32 v[124:125], v[124:125], v[138:139]
	v_pk_mul_f32 v[126:127], v[126:127], v[128:129] op_sel_hi:[1,0]
	s_set_vgpr_msb 4                        ;  msbs: dst=0 src0=0 src1=1 src2=0
	s_delay_alu instid0(VALU_DEP_1) | instskip(SKIP_1) | instid1(VALU_DEP_1)
	v_pk_fma_f32 v[128:129], v[130:131], v[2:3] /*v[258:259]*/, v[126:127] neg_lo:[0,0,1] neg_hi:[0,0,1]
	v_pk_fma_f32 v[126:127], v[130:131], v[2:3] /*v[258:259]*/, v[126:127] op_sel_hi:[1,0,1]
	v_mov_b32_e32 v129, v127
	s_wait_loadcnt_dscnt 0x101
	v_pk_mul_f32 v[126:127], v[132:133], v[4:5] /*v[260:261]*/ op_sel:[1,1] op_sel_hi:[0,1]
	s_set_vgpr_msb 0                        ;  msbs: dst=0 src0=0 src1=0 src2=0
	s_delay_alu instid0(VALU_DEP_2) | instskip(SKIP_1) | instid1(VALU_DEP_2)
	v_pk_add_f32 v[124:125], v[124:125], v[128:129]
	s_set_vgpr_msb 4                        ;  msbs: dst=0 src0=0 src1=1 src2=0
	v_pk_fma_f32 v[128:129], v[132:133], v[4:5] /*v[260:261]*/, v[126:127] neg_lo:[0,0,1] neg_hi:[0,0,1]
	v_pk_fma_f32 v[126:127], v[132:133], v[4:5] /*v[260:261]*/, v[126:127] op_sel_hi:[1,0,1]
	s_delay_alu instid0(VALU_DEP_1) | instskip(SKIP_2) | instid1(VALU_DEP_2)
	v_dual_mov_b32 v126, v135 :: v_dual_mov_b32 v129, v127
	v_mov_b32_e32 v127, v134
	s_set_vgpr_msb 0                        ;  msbs: dst=0 src0=0 src1=0 src2=0
	v_pk_add_f32 v[124:125], v[124:125], v[128:129]
	s_set_vgpr_msb 1                        ;  msbs: dst=0 src0=1 src1=0 src2=0
	v_mov_b32_e32 v128, v7 /*v263*/
	s_set_vgpr_msb 0                        ;  msbs: dst=0 src0=0 src1=0 src2=0
	s_delay_alu instid0(VALU_DEP_1) | instskip(SKIP_1) | instid1(VALU_DEP_1)
	v_pk_mul_f32 v[126:127], v[126:127], v[128:129] op_sel_hi:[1,0]
	s_set_vgpr_msb 4                        ;  msbs: dst=0 src0=0 src1=1 src2=0
	v_pk_fma_f32 v[128:129], v[134:135], v[6:7] /*v[262:263]*/, v[126:127] neg_lo:[0,0,1] neg_hi:[0,0,1]
	v_pk_fma_f32 v[126:127], v[134:135], v[6:7] /*v[262:263]*/, v[126:127] op_sel_hi:[1,0,1]
	s_delay_alu instid0(VALU_DEP_1) | instskip(SKIP_3) | instid1(VALU_DEP_2)
	v_mov_b32_e32 v129, v127
	s_wait_loadcnt_dscnt 0x0
	v_pk_mul_f32 v[126:127], v[136:137], v[14:15] /*v[270:271]*/ op_sel:[1,1] op_sel_hi:[0,1]
	s_set_vgpr_msb 0                        ;  msbs: dst=0 src0=0 src1=0 src2=0
	v_pk_add_f32 v[124:125], v[124:125], v[128:129]
	s_set_vgpr_msb 4                        ;  msbs: dst=0 src0=0 src1=1 src2=0
	s_delay_alu instid0(VALU_DEP_2) | instskip(SKIP_1) | instid1(VALU_DEP_1)
	v_pk_fma_f32 v[128:129], v[136:137], v[14:15] /*v[270:271]*/, v[126:127] neg_lo:[0,0,1] neg_hi:[0,0,1]
	v_pk_fma_f32 v[126:127], v[136:137], v[14:15] /*v[270:271]*/, v[126:127] op_sel_hi:[1,0,1]
	v_mov_b32_e32 v129, v127
	scratch_load_b64 v[126:127], off, off offset:168
	s_set_vgpr_msb 0                        ;  msbs: dst=0 src0=0 src1=0 src2=0
	v_pk_add_f32 v[124:125], v[124:125], v[128:129]
	s_wait_loadcnt 0x0
	s_delay_alu instid0(VALU_DEP_1)
	v_pk_add_f32 v[124:125], v[126:127], v[124:125] neg_lo:[0,1] neg_hi:[0,1]
	scratch_store_b64 off, v[124:125], off offset:168
	s_wait_xcnt 0x0
	v_cmpx_lt_u32_e32 20, v0
	s_cbranch_execz .LBB124_339
; %bb.338:
	scratch_load_b64 v[124:125], off, off offset:160
	v_mov_b64_e32 v[126:127], 0
	scratch_store_b64 off, v[126:127], off offset:160
	s_wait_loadcnt 0x0
	ds_store_b64 v1, v[124:125]
.LBB124_339:
	s_wait_xcnt 0x0
	s_or_b32 exec_lo, exec_lo, s0
	s_wait_storecnt_dscnt 0x0
	s_barrier_signal -1
	s_barrier_wait -1
	s_clause 0xf
	scratch_load_b128 v[128:131], off, off offset:168
	scratch_load_b128 v[136:139], off, off offset:184
	;; [unrolled: 1-line block ×16, first 2 shown]
	ds_load_2addr_b64 v[124:127], v7 offset0:83 offset1:84
	ds_load_2addr_b64 v[132:135], v7 offset0:85 offset1:86
	;; [unrolled: 1-line block ×16, first 2 shown]
	s_clause 0x4
	scratch_load_b128 v[252:255], off, off offset:424
	s_set_vgpr_msb 64                       ;  msbs: dst=1 src0=0 src1=0 src2=0
	scratch_load_b128 v[0:3] /*v[256:259]*/, off, off offset:440
	scratch_load_b128 v[4:7] /*v[260:263]*/, off, off offset:456
	;; [unrolled: 1-line block ×3, first 2 shown]
	s_mov_b32 s0, exec_lo
	s_wait_loadcnt_dscnt 0x130f
	s_set_vgpr_msb 0                        ;  msbs: dst=0 src0=0 src1=0 src2=0
	v_dual_mul_f32 v9, v124, v129 :: v_dual_mul_f32 v11, v126, v131
	s_delay_alu instid0(VALU_DEP_1) | instskip(NEXT) | instid1(VALU_DEP_1)
	v_dual_fmac_f32 v9, v125, v128 :: v_dual_fmac_f32 v11, v127, v130
	v_add_f32_e32 v9, 0, v9
	s_wait_loadcnt_dscnt 0x120e
	s_delay_alu instid0(VALU_DEP_1)
	v_dual_add_f32 v9, v9, v11 :: v_dual_mul_f32 v11, v132, v137
	s_wait_loadcnt_dscnt 0x408
	s_set_vgpr_msb 64                       ;  msbs: dst=1 src0=0 src1=0 src2=0
	v_dual_mul_f32 v15 /*v271*/, v244, v249 :: v_dual_mul_f32 v17 /*v273*/, v246, v251
	s_set_vgpr_msb 0                        ;  msbs: dst=0 src0=0 src1=0 src2=0
	v_fmac_f32_e32 v11, v133, v136
	s_set_vgpr_msb 64                       ;  msbs: dst=1 src0=0 src1=0 src2=0
	s_delay_alu instid0(VALU_DEP_2) | instskip(SKIP_1) | instid1(VALU_DEP_2)
	v_fmac_f32_e32 v15 /*v271*/, v245, v248
	s_set_vgpr_msb 0                        ;  msbs: dst=0 src0=0 src1=0 src2=0
	v_add_f32_e32 v9, v9, v11
	v_mul_f32_e32 v11, v134, v139
	s_delay_alu instid0(VALU_DEP_1) | instskip(NEXT) | instid1(VALU_DEP_1)
	v_fmac_f32_e32 v11, v135, v138
	v_dual_add_f32 v9, v9, v11 :: v_dual_mul_f32 v11, v140, v145
	s_delay_alu instid0(VALU_DEP_1) | instskip(NEXT) | instid1(VALU_DEP_1)
	v_fmac_f32_e32 v11, v141, v144
	v_add_f32_e32 v9, v9, v11
	v_mul_f32_e32 v11, v142, v147
	s_delay_alu instid0(VALU_DEP_1) | instskip(NEXT) | instid1(VALU_DEP_1)
	v_fmac_f32_e32 v11, v143, v146
	v_dual_add_f32 v9, v9, v11 :: v_dual_mul_f32 v11, v148, v153
	s_delay_alu instid0(VALU_DEP_1) | instskip(NEXT) | instid1(VALU_DEP_1)
	v_fmac_f32_e32 v11, v149, v152
	;; [unrolled: 7-line block ×4, first 2 shown]
	v_add_f32_e32 v9, v9, v11
	v_mul_f32_e32 v11, v166, v171
	s_delay_alu instid0(VALU_DEP_1) | instskip(SKIP_1) | instid1(VALU_DEP_1)
	v_fmac_f32_e32 v11, v167, v170
	s_wait_dscnt 0x7
	v_dual_add_f32 v9, v9, v11 :: v_dual_mul_f32 v11, v172, v177
	s_delay_alu instid0(VALU_DEP_1) | instskip(NEXT) | instid1(VALU_DEP_1)
	v_fmac_f32_e32 v11, v173, v176
	v_add_f32_e32 v9, v9, v11
	v_mul_f32_e32 v11, v174, v179
	s_delay_alu instid0(VALU_DEP_1) | instskip(SKIP_1) | instid1(VALU_DEP_1)
	v_fmac_f32_e32 v11, v175, v178
	s_wait_dscnt 0x6
	v_dual_add_f32 v9, v9, v11 :: v_dual_mul_f32 v11, v180, v185
	s_delay_alu instid0(VALU_DEP_1) | instskip(NEXT) | instid1(VALU_DEP_1)
	v_fmac_f32_e32 v11, v181, v184
	;; [unrolled: 8-line block ×8, first 2 shown]
	v_add_f32_e32 v9, v9, v11
	v_mul_f32_e32 v11, v230, v235
	s_delay_alu instid0(VALU_DEP_1) | instskip(NEXT) | instid1(VALU_DEP_1)
	v_fmac_f32_e32 v11, v231, v234
	v_dual_add_f32 v9, v9, v11 :: v_dual_mul_f32 v11, v236, v241
	s_delay_alu instid0(VALU_DEP_1) | instskip(NEXT) | instid1(VALU_DEP_1)
	v_fmac_f32_e32 v11, v237, v240
	v_add_f32_e32 v9, v9, v11
	v_mul_f32_e32 v11, v238, v243
	s_delay_alu instid0(VALU_DEP_1) | instskip(SKIP_1) | instid1(VALU_DEP_1)
	v_fmac_f32_e32 v11, v239, v242
	s_set_vgpr_msb 64                       ;  msbs: dst=1 src0=0 src1=0 src2=0
	v_add_f32_e32 v13 /*v269*/, v9, v11
	s_set_vgpr_msb 0                        ;  msbs: dst=0 src0=0 src1=0 src2=0
	v_dual_mul_f32 v9, v125, v129 :: v_dual_mul_f32 v11, v127, v131
	s_delay_alu instid0(VALU_DEP_1) | instskip(NEXT) | instid1(VALU_DEP_1)
	v_dual_fma_f32 v9, v124, v128, -v9 :: v_dual_fma_f32 v11, v126, v130, -v11
	v_add_f32_e32 v9, 0, v9
	s_delay_alu instid0(VALU_DEP_1) | instskip(SKIP_1) | instid1(VALU_DEP_1)
	v_add_f32_e32 v9, v9, v11
	v_mul_f32_e32 v11, v133, v137
	v_fma_f32 v11, v132, v136, -v11
	s_delay_alu instid0(VALU_DEP_1) | instskip(SKIP_1) | instid1(VALU_DEP_1)
	v_add_f32_e32 v9, v9, v11
	v_mul_f32_e32 v11, v135, v139
	v_fma_f32 v11, v134, v138, -v11
	ds_load_2addr_b64 v[124:127], v7 offset0:115 offset1:116
	ds_load_2addr_b64 v[128:131], v7 offset0:117 offset1:118
	;; [unrolled: 1-line block ×4, first 2 shown]
	v_add_f32_e32 v9, v9, v11
	v_mul_f32_e32 v11, v141, v145
	s_delay_alu instid0(VALU_DEP_1) | instskip(NEXT) | instid1(VALU_DEP_1)
	v_fma_f32 v11, v140, v144, -v11
	v_add_f32_e32 v9, v9, v11
	v_mul_f32_e32 v11, v143, v147
	s_delay_alu instid0(VALU_DEP_1) | instskip(SKIP_2) | instid1(VALU_DEP_2)
	v_fma_f32 v11, v142, v146, -v11
	s_wait_loadcnt_dscnt 0x303
	v_pk_mul_f32 v[142:143], v[124:125], v[252:253] op_sel:[1,1] op_sel_hi:[0,1]
	v_add_f32_e32 v9, v9, v11
	v_mul_f32_e32 v11, v149, v153
	s_delay_alu instid0(VALU_DEP_3) | instskip(SKIP_1) | instid1(VALU_DEP_3)
	v_pk_fma_f32 v[144:145], v[124:125], v[252:253], v[142:143] neg_lo:[0,0,1] neg_hi:[0,0,1]
	v_pk_fma_f32 v[124:125], v[124:125], v[252:253], v[142:143] op_sel_hi:[1,0,1]
	v_dual_mov_b32 v142, v255 :: v_dual_fma_f32 v11, v148, v152, -v11
	s_delay_alu instid0(VALU_DEP_2) | instskip(NEXT) | instid1(VALU_DEP_2)
	v_mov_b32_e32 v145, v125
	v_add_f32_e32 v9, v9, v11
	v_mul_f32_e32 v11, v151, v155
	s_delay_alu instid0(VALU_DEP_1) | instskip(NEXT) | instid1(VALU_DEP_1)
	v_fma_f32 v11, v150, v154, -v11
	v_add_f32_e32 v9, v9, v11
	v_mul_f32_e32 v11, v157, v161
	s_delay_alu instid0(VALU_DEP_1) | instskip(NEXT) | instid1(VALU_DEP_1)
	v_fma_f32 v11, v156, v160, -v11
	;; [unrolled: 4-line block ×22, first 2 shown]
	v_add_f32_e32 v9, v9, v11
	v_mul_f32_e32 v11, v239, v243
	s_delay_alu instid0(VALU_DEP_1) | instskip(SKIP_1) | instid1(VALU_DEP_1)
	v_fma_f32 v11, v238, v242, -v11
	s_set_vgpr_msb 64                       ;  msbs: dst=1 src0=0 src1=0 src2=0
	v_dual_fmac_f32 v17 /*v273*/, v247, v250 :: v_dual_add_f32 v12 /*v268*/, v9, v11
	s_set_vgpr_msb 0                        ;  msbs: dst=0 src0=0 src1=0 src2=0
	v_mul_f32_e32 v9, v245, v249
	s_set_vgpr_msb 64                       ;  msbs: dst=1 src0=0 src1=0 src2=0
	s_delay_alu instid0(VALU_DEP_1) | instskip(SKIP_3) | instid1(VALU_DEP_1)
	v_fma_f32 v14 /*v270*/, v244, v248, -v9
	s_set_vgpr_msb 0                        ;  msbs: dst=0 src0=0 src1=0 src2=0
	v_mul_f32_e32 v9, v247, v251
	s_set_vgpr_msb 64                       ;  msbs: dst=1 src0=0 src1=0 src2=0
	v_fma_f32 v16 /*v272*/, v246, v250, -v9
	s_set_vgpr_msb 5                        ;  msbs: dst=0 src0=1 src1=1 src2=0
	v_pk_add_f32 v[140:141], v[12:13] /*v[268:269]*/, v[14:15] /*v[270:271]*/
	s_set_vgpr_msb 4                        ;  msbs: dst=0 src0=0 src1=1 src2=0
	s_delay_alu instid0(VALU_DEP_1) | instskip(SKIP_1) | instid1(VALU_DEP_1)
	v_pk_add_f32 v[140:141], v[140:141], v[16:17] /*v[272:273]*/
	s_set_vgpr_msb 0                        ;  msbs: dst=0 src0=0 src1=0 src2=0
	v_pk_add_f32 v[124:125], v[140:141], v[144:145]
	v_dual_mov_b32 v140, v127 :: v_dual_mov_b32 v141, v126
	s_delay_alu instid0(VALU_DEP_1) | instskip(NEXT) | instid1(VALU_DEP_1)
	v_pk_mul_f32 v[140:141], v[140:141], v[142:143] op_sel_hi:[1,0]
	v_pk_fma_f32 v[142:143], v[126:127], v[254:255], v[140:141] neg_lo:[0,0,1] neg_hi:[0,0,1]
	v_pk_fma_f32 v[126:127], v[126:127], v[254:255], v[140:141] op_sel_hi:[1,0,1]
	s_delay_alu instid0(VALU_DEP_1)
	v_mov_b32_e32 v143, v127
	s_wait_loadcnt_dscnt 0x202
	s_set_vgpr_msb 4                        ;  msbs: dst=0 src0=0 src1=1 src2=0
	v_pk_mul_f32 v[126:127], v[128:129], v[0:1] /*v[256:257]*/ op_sel:[1,1] op_sel_hi:[0,1]
	s_set_vgpr_msb 0                        ;  msbs: dst=0 src0=0 src1=0 src2=0
	v_pk_add_f32 v[124:125], v[124:125], v[142:143]
	s_set_vgpr_msb 4                        ;  msbs: dst=0 src0=0 src1=1 src2=0
	s_delay_alu instid0(VALU_DEP_2)
	v_pk_fma_f32 v[140:141], v[128:129], v[0:1] /*v[256:257]*/, v[126:127] neg_lo:[0,0,1] neg_hi:[0,0,1]
	v_pk_fma_f32 v[126:127], v[128:129], v[0:1] /*v[256:257]*/, v[126:127] op_sel_hi:[1,0,1]
	v_mov_b32_e32 v126, v131
	s_set_vgpr_msb 1                        ;  msbs: dst=0 src0=1 src1=0 src2=0
	v_mov_b32_e32 v128, v3 /*v259*/
	s_set_vgpr_msb 0                        ;  msbs: dst=0 src0=0 src1=0 src2=0
	v_dual_mov_b32 v141, v127 :: v_dual_mov_b32 v127, v130
	s_delay_alu instid0(VALU_DEP_1) | instskip(NEXT) | instid1(VALU_DEP_2)
	v_pk_add_f32 v[124:125], v[124:125], v[140:141]
	v_pk_mul_f32 v[126:127], v[126:127], v[128:129] op_sel_hi:[1,0]
	s_set_vgpr_msb 4                        ;  msbs: dst=0 src0=0 src1=1 src2=0
	s_delay_alu instid0(VALU_DEP_1) | instskip(SKIP_1) | instid1(VALU_DEP_1)
	v_pk_fma_f32 v[128:129], v[130:131], v[2:3] /*v[258:259]*/, v[126:127] neg_lo:[0,0,1] neg_hi:[0,0,1]
	v_pk_fma_f32 v[126:127], v[130:131], v[2:3] /*v[258:259]*/, v[126:127] op_sel_hi:[1,0,1]
	v_mov_b32_e32 v129, v127
	s_wait_loadcnt_dscnt 0x101
	v_pk_mul_f32 v[126:127], v[132:133], v[4:5] /*v[260:261]*/ op_sel:[1,1] op_sel_hi:[0,1]
	s_set_vgpr_msb 0                        ;  msbs: dst=0 src0=0 src1=0 src2=0
	s_delay_alu instid0(VALU_DEP_2) | instskip(SKIP_1) | instid1(VALU_DEP_2)
	v_pk_add_f32 v[124:125], v[124:125], v[128:129]
	s_set_vgpr_msb 4                        ;  msbs: dst=0 src0=0 src1=1 src2=0
	v_pk_fma_f32 v[128:129], v[132:133], v[4:5] /*v[260:261]*/, v[126:127] neg_lo:[0,0,1] neg_hi:[0,0,1]
	v_pk_fma_f32 v[126:127], v[132:133], v[4:5] /*v[260:261]*/, v[126:127] op_sel_hi:[1,0,1]
	s_delay_alu instid0(VALU_DEP_1) | instskip(SKIP_2) | instid1(VALU_DEP_2)
	v_dual_mov_b32 v126, v135 :: v_dual_mov_b32 v129, v127
	v_mov_b32_e32 v127, v134
	s_set_vgpr_msb 0                        ;  msbs: dst=0 src0=0 src1=0 src2=0
	v_pk_add_f32 v[124:125], v[124:125], v[128:129]
	s_set_vgpr_msb 1                        ;  msbs: dst=0 src0=1 src1=0 src2=0
	v_mov_b32_e32 v128, v7 /*v263*/
	s_set_vgpr_msb 0                        ;  msbs: dst=0 src0=0 src1=0 src2=0
	s_delay_alu instid0(VALU_DEP_1) | instskip(SKIP_1) | instid1(VALU_DEP_1)
	v_pk_mul_f32 v[126:127], v[126:127], v[128:129] op_sel_hi:[1,0]
	s_set_vgpr_msb 4                        ;  msbs: dst=0 src0=0 src1=1 src2=0
	v_pk_fma_f32 v[128:129], v[134:135], v[6:7] /*v[262:263]*/, v[126:127] neg_lo:[0,0,1] neg_hi:[0,0,1]
	v_pk_fma_f32 v[126:127], v[134:135], v[6:7] /*v[262:263]*/, v[126:127] op_sel_hi:[1,0,1]
	s_delay_alu instid0(VALU_DEP_1) | instskip(SKIP_3) | instid1(VALU_DEP_2)
	v_mov_b32_e32 v129, v127
	s_wait_loadcnt_dscnt 0x0
	v_pk_mul_f32 v[126:127], v[136:137], v[8:9] /*v[264:265]*/ op_sel:[1,1] op_sel_hi:[0,1]
	s_set_vgpr_msb 0                        ;  msbs: dst=0 src0=0 src1=0 src2=0
	v_pk_add_f32 v[124:125], v[124:125], v[128:129]
	s_set_vgpr_msb 4                        ;  msbs: dst=0 src0=0 src1=1 src2=0
	s_delay_alu instid0(VALU_DEP_2) | instskip(SKIP_1) | instid1(VALU_DEP_1)
	v_pk_fma_f32 v[128:129], v[136:137], v[8:9] /*v[264:265]*/, v[126:127] neg_lo:[0,0,1] neg_hi:[0,0,1]
	v_pk_fma_f32 v[126:127], v[136:137], v[8:9] /*v[264:265]*/, v[126:127] op_sel_hi:[1,0,1]
	v_dual_mov_b32 v126, v139 :: v_dual_mov_b32 v129, v127
	v_mov_b32_e32 v127, v138
	s_set_vgpr_msb 0                        ;  msbs: dst=0 src0=0 src1=0 src2=0
	s_delay_alu instid0(VALU_DEP_2) | instskip(SKIP_3) | instid1(VALU_DEP_1)
	v_pk_add_f32 v[124:125], v[124:125], v[128:129]
	s_set_vgpr_msb 1                        ;  msbs: dst=0 src0=1 src1=0 src2=0
	v_mov_b32_e32 v128, v11 /*v267*/
	s_set_vgpr_msb 0                        ;  msbs: dst=0 src0=0 src1=0 src2=0
	v_pk_mul_f32 v[126:127], v[126:127], v[128:129] op_sel_hi:[1,0]
	s_set_vgpr_msb 4                        ;  msbs: dst=0 src0=0 src1=1 src2=0
	s_delay_alu instid0(VALU_DEP_1) | instskip(SKIP_1) | instid1(VALU_DEP_1)
	v_pk_fma_f32 v[128:129], v[138:139], v[10:11] /*v[266:267]*/, v[126:127] neg_lo:[0,0,1] neg_hi:[0,0,1]
	v_pk_fma_f32 v[126:127], v[138:139], v[10:11] /*v[266:267]*/, v[126:127] op_sel_hi:[1,0,1]
	v_mov_b32_e32 v129, v127
	scratch_load_b64 v[126:127], off, off offset:160
	s_set_vgpr_msb 0                        ;  msbs: dst=0 src0=0 src1=0 src2=0
	v_pk_add_f32 v[124:125], v[124:125], v[128:129]
	s_wait_loadcnt 0x0
	s_delay_alu instid0(VALU_DEP_1)
	v_pk_add_f32 v[124:125], v[126:127], v[124:125] neg_lo:[0,1] neg_hi:[0,1]
	scratch_store_b64 off, v[124:125], off offset:160
	s_wait_xcnt 0x0
	v_cmpx_lt_u32_e32 19, v0
	s_cbranch_execz .LBB124_341
; %bb.340:
	scratch_load_b64 v[124:125], off, off offset:152
	v_mov_b64_e32 v[126:127], 0
	scratch_store_b64 off, v[126:127], off offset:152
	s_wait_loadcnt 0x0
	ds_store_b64 v1, v[124:125]
.LBB124_341:
	s_wait_xcnt 0x0
	s_or_b32 exec_lo, exec_lo, s0
	v_mov_b32_e32 v7, 0
	s_wait_storecnt_dscnt 0x0
	s_barrier_signal -1
	s_barrier_wait -1
	ds_load_b128 v[124:127], v7 offset:656
	ds_load_b128 v[128:131], v7 offset:672
	;; [unrolled: 1-line block ×4, first 2 shown]
	s_clause 0x11
	scratch_load_b128 v[140:143], off, off offset:160
	scratch_load_b128 v[144:147], off, off offset:176
	;; [unrolled: 1-line block ×16, first 2 shown]
	s_set_vgpr_msb 64                       ;  msbs: dst=1 src0=0 src1=0 src2=0
	scratch_load_b128 v[0:3] /*v[256:259]*/, off, off offset:416
	s_mov_b32 s0, exec_lo
	s_wait_loadcnt_dscnt 0x1003
	s_set_vgpr_msb 0                        ;  msbs: dst=0 src0=0 src1=0 src2=0
	v_mul_f32_e32 v9, v124, v141
	ds_load_b128 v[236:239], v7 offset:880
	ds_load_b128 v[244:247], v7 offset:896
	;; [unrolled: 1-line block ×4, first 2 shown]
	v_dual_fmac_f32 v9, v125, v140 :: v_dual_mul_f32 v11, v126, v143
	ds_load_b128 v[252:255], v7 offset:912
	ds_load_b128 v[172:175], v7 offset:752
	;; [unrolled: 1-line block ×3, first 2 shown]
	v_dual_add_f32 v9, 0, v9 :: v_dual_fmac_f32 v11, v127, v142
	ds_load_b128 v[188:191], v7 offset:784
	ds_load_b128 v[196:199], v7 offset:800
	;; [unrolled: 1-line block ×4, first 2 shown]
	s_wait_loadcnt_dscnt 0xf0d
	v_dual_add_f32 v9, v9, v11 :: v_dual_mul_f32 v11, v128, v145
	ds_load_b128 v[220:223], v7 offset:848
	ds_load_b128 v[228:231], v7 offset:864
	s_set_vgpr_msb 64                       ;  msbs: dst=1 src0=0 src1=0 src2=0
	s_clause 0x3
	scratch_load_b128 v[4:7] /*v[260:263]*/, off, off offset:432
	scratch_load_b128 v[8:11] /*v[264:267]*/, off, off offset:448
	;; [unrolled: 1-line block ×3, first 2 shown]
	scratch_load_b64 v[22:23] /*v[278:279]*/, off, off offset:480
	s_set_vgpr_msb 0                        ;  msbs: dst=0 src0=0 src1=0 src2=0
	v_fmac_f32_e32 v11, v129, v144
	s_wait_loadcnt_dscnt 0x50b
	s_set_vgpr_msb 64                       ;  msbs: dst=1 src0=0 src1=0 src2=0
	v_mul_f32_e32 v19 /*v275*/, v246, v251
	s_set_vgpr_msb 0                        ;  msbs: dst=0 src0=0 src1=0 src2=0
	v_add_f32_e32 v9, v9, v11
	v_mul_f32_e32 v11, v130, v147
	s_delay_alu instid0(VALU_DEP_1) | instskip(NEXT) | instid1(VALU_DEP_1)
	v_fmac_f32_e32 v11, v131, v146
	v_dual_add_f32 v9, v9, v11 :: v_dual_mul_f32 v11, v132, v149
	s_delay_alu instid0(VALU_DEP_1) | instskip(NEXT) | instid1(VALU_DEP_1)
	v_fmac_f32_e32 v11, v133, v148
	v_add_f32_e32 v9, v9, v11
	v_mul_f32_e32 v11, v134, v151
	s_delay_alu instid0(VALU_DEP_1) | instskip(NEXT) | instid1(VALU_DEP_1)
	v_fmac_f32_e32 v11, v135, v150
	v_dual_add_f32 v9, v9, v11 :: v_dual_mul_f32 v11, v136, v153
	s_delay_alu instid0(VALU_DEP_1) | instskip(NEXT) | instid1(VALU_DEP_1)
	v_fmac_f32_e32 v11, v137, v152
	v_add_f32_e32 v9, v9, v11
	v_mul_f32_e32 v11, v138, v155
	s_delay_alu instid0(VALU_DEP_1) | instskip(SKIP_1) | instid1(VALU_DEP_1)
	v_fmac_f32_e32 v11, v139, v154
	s_wait_dscnt 0xa
	v_dual_add_f32 v9, v9, v11 :: v_dual_mul_f32 v11, v156, v161
	s_delay_alu instid0(VALU_DEP_1) | instskip(NEXT) | instid1(VALU_DEP_1)
	v_fmac_f32_e32 v11, v157, v160
	v_add_f32_e32 v9, v9, v11
	v_mul_f32_e32 v11, v158, v163
	s_delay_alu instid0(VALU_DEP_1) | instskip(SKIP_1) | instid1(VALU_DEP_1)
	v_fmac_f32_e32 v11, v159, v162
	s_wait_dscnt 0x9
	;; [unrolled: 8-line block ×10, first 2 shown]
	v_dual_add_f32 v9, v9, v11 :: v_dual_mul_f32 v11, v228, v233
	s_delay_alu instid0(VALU_DEP_1) | instskip(NEXT) | instid1(VALU_DEP_1)
	v_fmac_f32_e32 v11, v229, v232
	v_add_f32_e32 v9, v9, v11
	v_mul_f32_e32 v11, v230, v235
	s_delay_alu instid0(VALU_DEP_1) | instskip(NEXT) | instid1(VALU_DEP_1)
	v_fmac_f32_e32 v11, v231, v234
	v_dual_add_f32 v9, v9, v11 :: v_dual_mul_f32 v11, v236, v241
	s_delay_alu instid0(VALU_DEP_1) | instskip(NEXT) | instid1(VALU_DEP_1)
	v_fmac_f32_e32 v11, v237, v240
	v_add_f32_e32 v9, v9, v11
	v_mul_f32_e32 v11, v238, v243
	s_delay_alu instid0(VALU_DEP_1) | instskip(NEXT) | instid1(VALU_DEP_1)
	v_fmac_f32_e32 v11, v239, v242
	v_dual_add_f32 v9, v9, v11 :: v_dual_mul_f32 v11, v244, v249
	s_delay_alu instid0(VALU_DEP_1) | instskip(SKIP_1) | instid1(VALU_DEP_1)
	v_fmac_f32_e32 v11, v245, v248
	s_set_vgpr_msb 64                       ;  msbs: dst=1 src0=0 src1=0 src2=0
	v_add_f32_e32 v17 /*v273*/, v9, v11
	s_set_vgpr_msb 0                        ;  msbs: dst=0 src0=0 src1=0 src2=0
	v_dual_mul_f32 v9, v125, v141 :: v_dual_mul_f32 v11, v127, v143
	s_delay_alu instid0(VALU_DEP_1) | instskip(NEXT) | instid1(VALU_DEP_2)
	v_dual_mov_b32 v141, v254 :: v_dual_fma_f32 v9, v124, v140, -v9
	v_dual_fma_f32 v11, v126, v142, -v11 :: v_dual_mov_b32 v140, v255
	s_wait_loadcnt 0x4
	s_set_vgpr_msb 1                        ;  msbs: dst=0 src0=1 src1=0 src2=0
	s_delay_alu instid0(VALU_DEP_2) | instskip(SKIP_1) | instid1(VALU_DEP_1)
	v_dual_mov_b32 v142, v3 /*v259*/ :: v_dual_add_f32 v9, 0, v9
	s_set_vgpr_msb 0                        ;  msbs: dst=0 src0=0 src1=0 src2=0
	v_pk_mul_f32 v[140:141], v[140:141], v[142:143] op_sel_hi:[1,0]
	s_delay_alu instid0(VALU_DEP_2) | instskip(SKIP_2) | instid1(VALU_DEP_3)
	v_add_f32_e32 v9, v9, v11
	v_mul_f32_e32 v11, v129, v145
	s_set_vgpr_msb 4                        ;  msbs: dst=0 src0=0 src1=1 src2=0
	v_pk_fma_f32 v[142:143], v[254:255], v[2:3] /*v[258:259]*/, v[140:141] neg_lo:[0,0,1] neg_hi:[0,0,1]
	v_pk_fma_f32 v[140:141], v[254:255], v[2:3] /*v[258:259]*/, v[140:141] op_sel_hi:[1,0,1]
	s_set_vgpr_msb 0                        ;  msbs: dst=0 src0=0 src1=0 src2=0
	s_delay_alu instid0(VALU_DEP_1) | instskip(NEXT) | instid1(VALU_DEP_1)
	v_dual_fma_f32 v11, v128, v144, -v11 :: v_dual_mov_b32 v143, v141
	v_add_f32_e32 v9, v9, v11
	v_mul_f32_e32 v11, v131, v147
	s_delay_alu instid0(VALU_DEP_1) | instskip(NEXT) | instid1(VALU_DEP_1)
	v_fma_f32 v11, v130, v146, -v11
	v_add_f32_e32 v9, v9, v11
	v_mul_f32_e32 v11, v133, v149
	s_delay_alu instid0(VALU_DEP_1) | instskip(NEXT) | instid1(VALU_DEP_1)
	v_fma_f32 v11, v132, v148, -v11
	;; [unrolled: 4-line block ×3, first 2 shown]
	v_add_f32_e32 v9, v9, v11
	v_mul_f32_e32 v11, v137, v153
	s_delay_alu instid0(VALU_DEP_1)
	v_fma_f32 v11, v136, v152, -v11
	ds_load_b128 v[124:127], v7 offset:928
	ds_load_b128 v[128:131], v7 offset:944
	;; [unrolled: 1-line block ×3, first 2 shown]
	ds_load_b64 v[136:137], v7 offset:976
	v_add_f32_e32 v9, v9, v11
	v_mul_f32_e32 v11, v139, v155
	s_delay_alu instid0(VALU_DEP_1) | instskip(NEXT) | instid1(VALU_DEP_1)
	v_fma_f32 v11, v138, v154, -v11
	v_add_f32_e32 v9, v9, v11
	v_mul_f32_e32 v11, v157, v161
	s_wait_loadcnt_dscnt 0x303
	s_set_vgpr_msb 4                        ;  msbs: dst=0 src0=0 src1=1 src2=0
	v_pk_mul_f32 v[140:141], v[124:125], v[4:5] /*v[260:261]*/ op_sel:[1,1] op_sel_hi:[0,1]
	s_set_vgpr_msb 0                        ;  msbs: dst=0 src0=0 src1=0 src2=0
	v_fma_f32 v11, v156, v160, -v11
	s_delay_alu instid0(VALU_DEP_1) | instskip(SKIP_1) | instid1(VALU_DEP_1)
	v_add_f32_e32 v9, v9, v11
	v_mul_f32_e32 v11, v159, v163
	v_fma_f32 v11, v158, v162, -v11
	s_delay_alu instid0(VALU_DEP_1) | instskip(SKIP_1) | instid1(VALU_DEP_1)
	v_add_f32_e32 v9, v9, v11
	v_mul_f32_e32 v11, v165, v169
	v_fma_f32 v11, v164, v168, -v11
	s_delay_alu instid0(VALU_DEP_1) | instskip(SKIP_1) | instid1(VALU_DEP_1)
	v_add_f32_e32 v9, v9, v11
	v_mul_f32_e32 v11, v167, v171
	v_fma_f32 v11, v166, v170, -v11
	s_delay_alu instid0(VALU_DEP_1) | instskip(SKIP_1) | instid1(VALU_DEP_1)
	v_add_f32_e32 v9, v9, v11
	v_mul_f32_e32 v11, v173, v177
	v_fma_f32 v11, v172, v176, -v11
	s_delay_alu instid0(VALU_DEP_1) | instskip(SKIP_1) | instid1(VALU_DEP_1)
	v_add_f32_e32 v9, v9, v11
	v_mul_f32_e32 v11, v175, v179
	v_fma_f32 v11, v174, v178, -v11
	s_delay_alu instid0(VALU_DEP_1) | instskip(SKIP_1) | instid1(VALU_DEP_1)
	v_add_f32_e32 v9, v9, v11
	v_mul_f32_e32 v11, v181, v185
	v_fma_f32 v11, v180, v184, -v11
	s_delay_alu instid0(VALU_DEP_1) | instskip(SKIP_1) | instid1(VALU_DEP_1)
	v_add_f32_e32 v9, v9, v11
	v_mul_f32_e32 v11, v183, v187
	v_fma_f32 v11, v182, v186, -v11
	s_delay_alu instid0(VALU_DEP_1) | instskip(SKIP_1) | instid1(VALU_DEP_1)
	v_add_f32_e32 v9, v9, v11
	v_mul_f32_e32 v11, v189, v193
	v_fma_f32 v11, v188, v192, -v11
	s_delay_alu instid0(VALU_DEP_1) | instskip(SKIP_1) | instid1(VALU_DEP_1)
	v_add_f32_e32 v9, v9, v11
	v_mul_f32_e32 v11, v191, v195
	v_fma_f32 v11, v190, v194, -v11
	s_delay_alu instid0(VALU_DEP_1) | instskip(SKIP_1) | instid1(VALU_DEP_1)
	v_add_f32_e32 v9, v9, v11
	v_mul_f32_e32 v11, v197, v201
	v_fma_f32 v11, v196, v200, -v11
	s_delay_alu instid0(VALU_DEP_1) | instskip(SKIP_1) | instid1(VALU_DEP_1)
	v_add_f32_e32 v9, v9, v11
	v_mul_f32_e32 v11, v199, v203
	v_fma_f32 v11, v198, v202, -v11
	s_delay_alu instid0(VALU_DEP_1) | instskip(SKIP_1) | instid1(VALU_DEP_1)
	v_add_f32_e32 v9, v9, v11
	v_mul_f32_e32 v11, v205, v209
	v_fma_f32 v11, v204, v208, -v11
	s_delay_alu instid0(VALU_DEP_1) | instskip(SKIP_1) | instid1(VALU_DEP_1)
	v_add_f32_e32 v9, v9, v11
	v_mul_f32_e32 v11, v207, v211
	v_fma_f32 v11, v206, v210, -v11
	s_delay_alu instid0(VALU_DEP_1) | instskip(SKIP_1) | instid1(VALU_DEP_1)
	v_add_f32_e32 v9, v9, v11
	v_mul_f32_e32 v11, v213, v217
	v_fma_f32 v11, v212, v216, -v11
	s_delay_alu instid0(VALU_DEP_1) | instskip(SKIP_1) | instid1(VALU_DEP_1)
	v_add_f32_e32 v9, v9, v11
	v_mul_f32_e32 v11, v215, v219
	v_fma_f32 v11, v214, v218, -v11
	s_delay_alu instid0(VALU_DEP_1) | instskip(SKIP_1) | instid1(VALU_DEP_1)
	v_add_f32_e32 v9, v9, v11
	v_mul_f32_e32 v11, v221, v225
	v_fma_f32 v11, v220, v224, -v11
	s_delay_alu instid0(VALU_DEP_1) | instskip(SKIP_1) | instid1(VALU_DEP_1)
	v_add_f32_e32 v9, v9, v11
	v_mul_f32_e32 v11, v223, v227
	v_fma_f32 v11, v222, v226, -v11
	s_delay_alu instid0(VALU_DEP_1) | instskip(SKIP_1) | instid1(VALU_DEP_1)
	v_add_f32_e32 v9, v9, v11
	v_mul_f32_e32 v11, v229, v233
	v_fma_f32 v11, v228, v232, -v11
	s_delay_alu instid0(VALU_DEP_1) | instskip(SKIP_1) | instid1(VALU_DEP_1)
	v_add_f32_e32 v9, v9, v11
	v_mul_f32_e32 v11, v231, v235
	v_fma_f32 v11, v230, v234, -v11
	s_delay_alu instid0(VALU_DEP_1) | instskip(SKIP_1) | instid1(VALU_DEP_1)
	v_add_f32_e32 v9, v9, v11
	v_mul_f32_e32 v11, v237, v241
	v_fma_f32 v11, v236, v240, -v11
	s_delay_alu instid0(VALU_DEP_1) | instskip(SKIP_1) | instid1(VALU_DEP_1)
	v_add_f32_e32 v9, v9, v11
	v_mul_f32_e32 v11, v239, v243
	v_fma_f32 v11, v238, v242, -v11
	s_delay_alu instid0(VALU_DEP_1) | instskip(SKIP_1) | instid1(VALU_DEP_1)
	v_add_f32_e32 v9, v9, v11
	v_mul_f32_e32 v11, v245, v249
	v_fma_f32 v11, v244, v248, -v11
	s_set_vgpr_msb 64                       ;  msbs: dst=1 src0=0 src1=0 src2=0
	s_delay_alu instid0(VALU_DEP_1) | instskip(SKIP_3) | instid1(VALU_DEP_1)
	v_add_f32_e32 v16 /*v272*/, v9, v11
	s_set_vgpr_msb 0                        ;  msbs: dst=0 src0=0 src1=0 src2=0
	v_mul_f32_e32 v9, v247, v251
	s_set_vgpr_msb 64                       ;  msbs: dst=1 src0=0 src1=0 src2=0
	v_fma_f32 v18 /*v274*/, v246, v250, -v9
	v_fmac_f32_e32 v19 /*v275*/, v247, v250
	s_set_vgpr_msb 4                        ;  msbs: dst=0 src0=0 src1=1 src2=0
	v_mul_f32_e32 v9, v253, v1 /*v257*/
	s_set_vgpr_msb 0x44                     ;  msbs: dst=1 src0=0 src1=1 src2=0
	v_mul_f32_e32 v21 /*v277*/, v252, v1 /*v257*/
	s_set_vgpr_msb 5                        ;  msbs: dst=0 src0=1 src1=1 src2=0
	v_pk_add_f32 v[138:139], v[16:17] /*v[272:273]*/, v[18:19] /*v[274:275]*/
	s_set_vgpr_msb 0x44                     ;  msbs: dst=1 src0=0 src1=1 src2=0
	v_fma_f32 v20 /*v276*/, v252, v0 /*v256*/, -v9
	v_fmac_f32_e32 v21 /*v277*/, v253, v0 /*v256*/
	s_set_vgpr_msb 4                        ;  msbs: dst=0 src0=0 src1=1 src2=0
	s_delay_alu instid0(VALU_DEP_1) | instskip(SKIP_1) | instid1(VALU_DEP_1)
	v_pk_add_f32 v[138:139], v[138:139], v[20:21] /*v[276:277]*/
	s_set_vgpr_msb 0                        ;  msbs: dst=0 src0=0 src1=0 src2=0
	v_pk_add_f32 v[138:139], v[138:139], v[142:143]
	s_set_vgpr_msb 4                        ;  msbs: dst=0 src0=0 src1=1 src2=0
	v_pk_fma_f32 v[142:143], v[124:125], v[4:5] /*v[260:261]*/, v[140:141] neg_lo:[0,0,1] neg_hi:[0,0,1]
	v_pk_fma_f32 v[124:125], v[124:125], v[4:5] /*v[260:261]*/, v[140:141] op_sel_hi:[1,0,1]
	s_set_vgpr_msb 1                        ;  msbs: dst=0 src0=1 src1=0 src2=0
	v_mov_b32_e32 v140, v7 /*v263*/
	s_set_vgpr_msb 0                        ;  msbs: dst=0 src0=0 src1=0 src2=0
	s_delay_alu instid0(VALU_DEP_2) | instskip(NEXT) | instid1(VALU_DEP_1)
	v_mov_b32_e32 v143, v125
	v_pk_add_f32 v[124:125], v[138:139], v[142:143]
	v_dual_mov_b32 v138, v127 :: v_dual_mov_b32 v139, v126
	s_delay_alu instid0(VALU_DEP_1) | instskip(SKIP_1) | instid1(VALU_DEP_1)
	v_pk_mul_f32 v[138:139], v[138:139], v[140:141] op_sel_hi:[1,0]
	s_set_vgpr_msb 4                        ;  msbs: dst=0 src0=0 src1=1 src2=0
	v_pk_fma_f32 v[140:141], v[126:127], v[6:7] /*v[262:263]*/, v[138:139] neg_lo:[0,0,1] neg_hi:[0,0,1]
	v_pk_fma_f32 v[126:127], v[126:127], v[6:7] /*v[262:263]*/, v[138:139] op_sel_hi:[1,0,1]
	s_delay_alu instid0(VALU_DEP_1) | instskip(SKIP_3) | instid1(VALU_DEP_2)
	v_mov_b32_e32 v141, v127
	s_wait_loadcnt_dscnt 0x202
	v_pk_mul_f32 v[126:127], v[128:129], v[8:9] /*v[264:265]*/ op_sel:[1,1] op_sel_hi:[0,1]
	s_set_vgpr_msb 0                        ;  msbs: dst=0 src0=0 src1=0 src2=0
	v_pk_add_f32 v[124:125], v[124:125], v[140:141]
	s_set_vgpr_msb 4                        ;  msbs: dst=0 src0=0 src1=1 src2=0
	s_delay_alu instid0(VALU_DEP_2)
	v_pk_fma_f32 v[138:139], v[128:129], v[8:9] /*v[264:265]*/, v[126:127] neg_lo:[0,0,1] neg_hi:[0,0,1]
	v_pk_fma_f32 v[126:127], v[128:129], v[8:9] /*v[264:265]*/, v[126:127] op_sel_hi:[1,0,1]
	v_mov_b32_e32 v126, v131
	s_set_vgpr_msb 1                        ;  msbs: dst=0 src0=1 src1=0 src2=0
	v_mov_b32_e32 v128, v11 /*v267*/
	s_set_vgpr_msb 0                        ;  msbs: dst=0 src0=0 src1=0 src2=0
	v_dual_mov_b32 v139, v127 :: v_dual_mov_b32 v127, v130
	s_delay_alu instid0(VALU_DEP_1) | instskip(NEXT) | instid1(VALU_DEP_2)
	v_pk_add_f32 v[124:125], v[124:125], v[138:139]
	v_pk_mul_f32 v[126:127], v[126:127], v[128:129] op_sel_hi:[1,0]
	s_set_vgpr_msb 4                        ;  msbs: dst=0 src0=0 src1=1 src2=0
	s_delay_alu instid0(VALU_DEP_1) | instskip(SKIP_1) | instid1(VALU_DEP_1)
	v_pk_fma_f32 v[128:129], v[130:131], v[10:11] /*v[266:267]*/, v[126:127] neg_lo:[0,0,1] neg_hi:[0,0,1]
	v_pk_fma_f32 v[126:127], v[130:131], v[10:11] /*v[266:267]*/, v[126:127] op_sel_hi:[1,0,1]
	v_mov_b32_e32 v129, v127
	s_wait_loadcnt_dscnt 0x101
	v_pk_mul_f32 v[126:127], v[132:133], v[12:13] /*v[268:269]*/ op_sel:[1,1] op_sel_hi:[0,1]
	s_set_vgpr_msb 0                        ;  msbs: dst=0 src0=0 src1=0 src2=0
	s_delay_alu instid0(VALU_DEP_2) | instskip(SKIP_1) | instid1(VALU_DEP_2)
	v_pk_add_f32 v[124:125], v[124:125], v[128:129]
	s_set_vgpr_msb 4                        ;  msbs: dst=0 src0=0 src1=1 src2=0
	v_pk_fma_f32 v[128:129], v[132:133], v[12:13] /*v[268:269]*/, v[126:127] neg_lo:[0,0,1] neg_hi:[0,0,1]
	v_pk_fma_f32 v[126:127], v[132:133], v[12:13] /*v[268:269]*/, v[126:127] op_sel_hi:[1,0,1]
	s_delay_alu instid0(VALU_DEP_1) | instskip(SKIP_2) | instid1(VALU_DEP_2)
	v_dual_mov_b32 v126, v135 :: v_dual_mov_b32 v129, v127
	v_mov_b32_e32 v127, v134
	s_set_vgpr_msb 0                        ;  msbs: dst=0 src0=0 src1=0 src2=0
	v_pk_add_f32 v[124:125], v[124:125], v[128:129]
	s_set_vgpr_msb 1                        ;  msbs: dst=0 src0=1 src1=0 src2=0
	v_mov_b32_e32 v128, v15 /*v271*/
	s_set_vgpr_msb 0                        ;  msbs: dst=0 src0=0 src1=0 src2=0
	s_delay_alu instid0(VALU_DEP_1) | instskip(SKIP_1) | instid1(VALU_DEP_1)
	v_pk_mul_f32 v[126:127], v[126:127], v[128:129] op_sel_hi:[1,0]
	s_set_vgpr_msb 4                        ;  msbs: dst=0 src0=0 src1=1 src2=0
	v_pk_fma_f32 v[128:129], v[134:135], v[14:15] /*v[270:271]*/, v[126:127] neg_lo:[0,0,1] neg_hi:[0,0,1]
	v_pk_fma_f32 v[126:127], v[134:135], v[14:15] /*v[270:271]*/, v[126:127] op_sel_hi:[1,0,1]
	s_delay_alu instid0(VALU_DEP_1) | instskip(SKIP_3) | instid1(VALU_DEP_2)
	v_mov_b32_e32 v129, v127
	s_wait_loadcnt_dscnt 0x0
	v_pk_mul_f32 v[126:127], v[136:137], v[22:23] /*v[278:279]*/ op_sel:[1,1] op_sel_hi:[0,1]
	s_set_vgpr_msb 0                        ;  msbs: dst=0 src0=0 src1=0 src2=0
	v_pk_add_f32 v[124:125], v[124:125], v[128:129]
	s_set_vgpr_msb 4                        ;  msbs: dst=0 src0=0 src1=1 src2=0
	s_delay_alu instid0(VALU_DEP_2) | instskip(SKIP_1) | instid1(VALU_DEP_1)
	v_pk_fma_f32 v[128:129], v[136:137], v[22:23] /*v[278:279]*/, v[126:127] neg_lo:[0,0,1] neg_hi:[0,0,1]
	v_pk_fma_f32 v[126:127], v[136:137], v[22:23] /*v[278:279]*/, v[126:127] op_sel_hi:[1,0,1]
	v_mov_b32_e32 v129, v127
	scratch_load_b64 v[126:127], off, off offset:152
	s_set_vgpr_msb 0                        ;  msbs: dst=0 src0=0 src1=0 src2=0
	v_pk_add_f32 v[124:125], v[124:125], v[128:129]
	s_wait_loadcnt 0x0
	s_delay_alu instid0(VALU_DEP_1)
	v_pk_add_f32 v[124:125], v[126:127], v[124:125] neg_lo:[0,1] neg_hi:[0,1]
	scratch_store_b64 off, v[124:125], off offset:152
	s_wait_xcnt 0x0
	v_cmpx_lt_u32_e32 18, v0
	s_cbranch_execz .LBB124_343
; %bb.342:
	scratch_load_b64 v[124:125], off, off offset:144
	v_mov_b64_e32 v[126:127], 0
	scratch_store_b64 off, v[126:127], off offset:144
	s_wait_loadcnt 0x0
	ds_store_b64 v1, v[124:125]
.LBB124_343:
	s_wait_xcnt 0x0
	s_or_b32 exec_lo, exec_lo, s0
	s_wait_storecnt_dscnt 0x0
	s_barrier_signal -1
	s_barrier_wait -1
	s_clause 0xf
	scratch_load_b128 v[128:131], off, off offset:152
	scratch_load_b128 v[136:139], off, off offset:168
	;; [unrolled: 1-line block ×16, first 2 shown]
	ds_load_2addr_b64 v[124:127], v7 offset0:81 offset1:82
	ds_load_2addr_b64 v[132:135], v7 offset0:83 offset1:84
	;; [unrolled: 1-line block ×16, first 2 shown]
	s_set_vgpr_msb 64                       ;  msbs: dst=1 src0=0 src1=0 src2=0
	scratch_load_b128 v[0:3] /*v[256:259]*/, off, off offset:408
	s_set_vgpr_msb 0                        ;  msbs: dst=0 src0=0 src1=0 src2=0
	ds_load_2addr_b64 v[252:255], v7 offset0:113 offset1:114
	s_set_vgpr_msb 64                       ;  msbs: dst=1 src0=0 src1=0 src2=0
	s_clause 0x3
	scratch_load_b128 v[4:7] /*v[260:263]*/, off, off offset:424
	scratch_load_b128 v[8:11] /*v[264:267]*/, off, off offset:440
	;; [unrolled: 1-line block ×4, first 2 shown]
	s_mov_b32 s0, exec_lo
	s_wait_loadcnt_dscnt 0x1410
	s_set_vgpr_msb 0                        ;  msbs: dst=0 src0=0 src1=0 src2=0
	v_dual_mul_f32 v9, v124, v129 :: v_dual_mul_f32 v11, v126, v131
	s_delay_alu instid0(VALU_DEP_1) | instskip(NEXT) | instid1(VALU_DEP_1)
	v_dual_fmac_f32 v9, v125, v128 :: v_dual_fmac_f32 v11, v127, v130
	v_add_f32_e32 v9, 0, v9
	s_wait_loadcnt_dscnt 0x130f
	s_delay_alu instid0(VALU_DEP_1) | instskip(NEXT) | instid1(VALU_DEP_1)
	v_dual_add_f32 v9, v9, v11 :: v_dual_mul_f32 v11, v132, v137
	v_fmac_f32_e32 v11, v133, v136
	s_delay_alu instid0(VALU_DEP_1) | instskip(SKIP_1) | instid1(VALU_DEP_1)
	v_add_f32_e32 v9, v9, v11
	v_mul_f32_e32 v11, v134, v139
	v_fmac_f32_e32 v11, v135, v138
	s_wait_loadcnt_dscnt 0x400
	s_set_vgpr_msb 0x44                     ;  msbs: dst=1 src0=0 src1=1 src2=0
	v_dual_mul_f32 v23 /*v279*/, v252, v1 /*v257*/ :: v_dual_mul_f32 v25 /*v281*/, v254, v3 /*v259*/
	s_set_vgpr_msb 0                        ;  msbs: dst=0 src0=0 src1=0 src2=0
	v_dual_add_f32 v9, v9, v11 :: v_dual_mul_f32 v11, v140, v145
	s_set_vgpr_msb 0x44                     ;  msbs: dst=1 src0=0 src1=1 src2=0
	s_delay_alu instid0(VALU_DEP_2) | instskip(SKIP_1) | instid1(VALU_DEP_2)
	v_dual_fmac_f32 v23 /*v279*/, v253, v0 /*v256*/ :: v_dual_fmac_f32 v25 /*v281*/, v255, v2 /*v258*/
	s_set_vgpr_msb 0                        ;  msbs: dst=0 src0=0 src1=0 src2=0
	v_fmac_f32_e32 v11, v141, v144
	s_delay_alu instid0(VALU_DEP_1) | instskip(SKIP_1) | instid1(VALU_DEP_1)
	v_add_f32_e32 v9, v9, v11
	v_mul_f32_e32 v11, v142, v147
	v_fmac_f32_e32 v11, v143, v146
	s_delay_alu instid0(VALU_DEP_1) | instskip(NEXT) | instid1(VALU_DEP_1)
	v_dual_add_f32 v9, v9, v11 :: v_dual_mul_f32 v11, v148, v153
	v_fmac_f32_e32 v11, v149, v152
	s_delay_alu instid0(VALU_DEP_1) | instskip(SKIP_1) | instid1(VALU_DEP_1)
	v_add_f32_e32 v9, v9, v11
	v_mul_f32_e32 v11, v150, v155
	v_fmac_f32_e32 v11, v151, v154
	s_delay_alu instid0(VALU_DEP_1) | instskip(NEXT) | instid1(VALU_DEP_1)
	v_dual_add_f32 v9, v9, v11 :: v_dual_mul_f32 v11, v156, v161
	;; [unrolled: 7-line block ×13, first 2 shown]
	v_fmac_f32_e32 v11, v245, v248
	s_delay_alu instid0(VALU_DEP_1) | instskip(SKIP_1) | instid1(VALU_DEP_1)
	v_add_f32_e32 v9, v9, v11
	v_mul_f32_e32 v11, v246, v251
	v_fmac_f32_e32 v11, v247, v250
	s_set_vgpr_msb 64                       ;  msbs: dst=1 src0=0 src1=0 src2=0
	s_delay_alu instid0(VALU_DEP_1) | instskip(SKIP_2) | instid1(VALU_DEP_1)
	v_add_f32_e32 v21 /*v277*/, v9, v11
	s_set_vgpr_msb 0                        ;  msbs: dst=0 src0=0 src1=0 src2=0
	v_dual_mul_f32 v9, v125, v129 :: v_dual_mul_f32 v11, v127, v131
	v_dual_fma_f32 v9, v124, v128, -v9 :: v_dual_fma_f32 v11, v126, v130, -v11
	s_delay_alu instid0(VALU_DEP_1) | instskip(NEXT) | instid1(VALU_DEP_1)
	v_add_f32_e32 v9, 0, v9
	v_add_f32_e32 v9, v9, v11
	v_mul_f32_e32 v11, v133, v137
	s_delay_alu instid0(VALU_DEP_1) | instskip(NEXT) | instid1(VALU_DEP_1)
	v_fma_f32 v11, v132, v136, -v11
	v_add_f32_e32 v9, v9, v11
	v_mul_f32_e32 v11, v135, v139
	s_delay_alu instid0(VALU_DEP_1)
	v_fma_f32 v11, v134, v138, -v11
	ds_load_2addr_b64 v[124:127], v7 offset0:115 offset1:116
	ds_load_2addr_b64 v[128:131], v7 offset0:117 offset1:118
	;; [unrolled: 1-line block ×4, first 2 shown]
	v_add_f32_e32 v9, v9, v11
	v_mul_f32_e32 v11, v141, v145
	s_delay_alu instid0(VALU_DEP_1) | instskip(NEXT) | instid1(VALU_DEP_1)
	v_fma_f32 v11, v140, v144, -v11
	v_add_f32_e32 v9, v9, v11
	v_mul_f32_e32 v11, v143, v147
	s_delay_alu instid0(VALU_DEP_1)
	v_fma_f32 v11, v142, v146, -v11
	s_wait_loadcnt_dscnt 0x303
	s_set_vgpr_msb 4                        ;  msbs: dst=0 src0=0 src1=1 src2=0
	v_pk_mul_f32 v[142:143], v[124:125], v[4:5] /*v[260:261]*/ op_sel:[1,1] op_sel_hi:[0,1]
	s_set_vgpr_msb 0                        ;  msbs: dst=0 src0=0 src1=0 src2=0
	v_add_f32_e32 v9, v9, v11
	v_mul_f32_e32 v11, v149, v153
	s_set_vgpr_msb 4                        ;  msbs: dst=0 src0=0 src1=1 src2=0
	v_pk_fma_f32 v[144:145], v[124:125], v[4:5] /*v[260:261]*/, v[142:143] neg_lo:[0,0,1] neg_hi:[0,0,1]
	v_pk_fma_f32 v[124:125], v[124:125], v[4:5] /*v[260:261]*/, v[142:143] op_sel_hi:[1,0,1]
	s_set_vgpr_msb 1                        ;  msbs: dst=0 src0=1 src1=0 src2=0
	v_mov_b32_e32 v142, v7 /*v263*/
	s_set_vgpr_msb 0                        ;  msbs: dst=0 src0=0 src1=0 src2=0
	s_delay_alu instid0(VALU_DEP_2) | instskip(NEXT) | instid1(VALU_DEP_1)
	v_dual_fma_f32 v11, v148, v152, -v11 :: v_dual_mov_b32 v145, v125
	v_add_f32_e32 v9, v9, v11
	v_mul_f32_e32 v11, v151, v155
	s_delay_alu instid0(VALU_DEP_1) | instskip(NEXT) | instid1(VALU_DEP_1)
	v_fma_f32 v11, v150, v154, -v11
	v_add_f32_e32 v9, v9, v11
	v_mul_f32_e32 v11, v157, v161
	s_delay_alu instid0(VALU_DEP_1) | instskip(NEXT) | instid1(VALU_DEP_1)
	v_fma_f32 v11, v156, v160, -v11
	;; [unrolled: 4-line block ×24, first 2 shown]
	v_add_f32_e32 v9, v9, v11
	v_mul_f32_e32 v11, v247, v251
	s_delay_alu instid0(VALU_DEP_1) | instskip(SKIP_1) | instid1(VALU_DEP_1)
	v_fma_f32 v11, v246, v250, -v11
	s_set_vgpr_msb 64                       ;  msbs: dst=1 src0=0 src1=0 src2=0
	v_add_f32_e32 v20 /*v276*/, v9, v11
	s_set_vgpr_msb 4                        ;  msbs: dst=0 src0=0 src1=1 src2=0
	v_mul_f32_e32 v9, v253, v1 /*v257*/
	s_set_vgpr_msb 0x44                     ;  msbs: dst=1 src0=0 src1=1 src2=0
	s_delay_alu instid0(VALU_DEP_1) | instskip(SKIP_3) | instid1(VALU_DEP_1)
	v_fma_f32 v22 /*v278*/, v252, v0 /*v256*/, -v9
	s_set_vgpr_msb 4                        ;  msbs: dst=0 src0=0 src1=1 src2=0
	v_mul_f32_e32 v9, v255, v3 /*v259*/
	s_set_vgpr_msb 0x44                     ;  msbs: dst=1 src0=0 src1=1 src2=0
	v_fma_f32 v24 /*v280*/, v254, v2 /*v258*/, -v9
	s_set_vgpr_msb 5                        ;  msbs: dst=0 src0=1 src1=1 src2=0
	v_pk_add_f32 v[140:141], v[20:21] /*v[276:277]*/, v[22:23] /*v[278:279]*/
	s_set_vgpr_msb 4                        ;  msbs: dst=0 src0=0 src1=1 src2=0
	s_delay_alu instid0(VALU_DEP_1) | instskip(SKIP_1) | instid1(VALU_DEP_1)
	v_pk_add_f32 v[140:141], v[140:141], v[24:25] /*v[280:281]*/
	s_set_vgpr_msb 0                        ;  msbs: dst=0 src0=0 src1=0 src2=0
	v_pk_add_f32 v[124:125], v[140:141], v[144:145]
	v_dual_mov_b32 v140, v127 :: v_dual_mov_b32 v141, v126
	s_delay_alu instid0(VALU_DEP_1) | instskip(SKIP_1) | instid1(VALU_DEP_1)
	v_pk_mul_f32 v[140:141], v[140:141], v[142:143] op_sel_hi:[1,0]
	s_set_vgpr_msb 4                        ;  msbs: dst=0 src0=0 src1=1 src2=0
	v_pk_fma_f32 v[142:143], v[126:127], v[6:7] /*v[262:263]*/, v[140:141] neg_lo:[0,0,1] neg_hi:[0,0,1]
	v_pk_fma_f32 v[126:127], v[126:127], v[6:7] /*v[262:263]*/, v[140:141] op_sel_hi:[1,0,1]
	s_delay_alu instid0(VALU_DEP_1) | instskip(SKIP_3) | instid1(VALU_DEP_2)
	v_mov_b32_e32 v143, v127
	s_wait_loadcnt_dscnt 0x202
	v_pk_mul_f32 v[126:127], v[128:129], v[8:9] /*v[264:265]*/ op_sel:[1,1] op_sel_hi:[0,1]
	s_set_vgpr_msb 0                        ;  msbs: dst=0 src0=0 src1=0 src2=0
	v_pk_add_f32 v[124:125], v[124:125], v[142:143]
	s_set_vgpr_msb 4                        ;  msbs: dst=0 src0=0 src1=1 src2=0
	s_delay_alu instid0(VALU_DEP_2)
	v_pk_fma_f32 v[140:141], v[128:129], v[8:9] /*v[264:265]*/, v[126:127] neg_lo:[0,0,1] neg_hi:[0,0,1]
	v_pk_fma_f32 v[126:127], v[128:129], v[8:9] /*v[264:265]*/, v[126:127] op_sel_hi:[1,0,1]
	v_mov_b32_e32 v126, v131
	s_set_vgpr_msb 1                        ;  msbs: dst=0 src0=1 src1=0 src2=0
	v_mov_b32_e32 v128, v11 /*v267*/
	s_set_vgpr_msb 0                        ;  msbs: dst=0 src0=0 src1=0 src2=0
	v_dual_mov_b32 v141, v127 :: v_dual_mov_b32 v127, v130
	s_delay_alu instid0(VALU_DEP_1) | instskip(NEXT) | instid1(VALU_DEP_2)
	v_pk_add_f32 v[124:125], v[124:125], v[140:141]
	v_pk_mul_f32 v[126:127], v[126:127], v[128:129] op_sel_hi:[1,0]
	s_set_vgpr_msb 4                        ;  msbs: dst=0 src0=0 src1=1 src2=0
	s_delay_alu instid0(VALU_DEP_1) | instskip(SKIP_1) | instid1(VALU_DEP_1)
	v_pk_fma_f32 v[128:129], v[130:131], v[10:11] /*v[266:267]*/, v[126:127] neg_lo:[0,0,1] neg_hi:[0,0,1]
	v_pk_fma_f32 v[126:127], v[130:131], v[10:11] /*v[266:267]*/, v[126:127] op_sel_hi:[1,0,1]
	v_mov_b32_e32 v129, v127
	s_wait_loadcnt_dscnt 0x101
	v_pk_mul_f32 v[126:127], v[132:133], v[12:13] /*v[268:269]*/ op_sel:[1,1] op_sel_hi:[0,1]
	s_set_vgpr_msb 0                        ;  msbs: dst=0 src0=0 src1=0 src2=0
	s_delay_alu instid0(VALU_DEP_2) | instskip(SKIP_1) | instid1(VALU_DEP_2)
	v_pk_add_f32 v[124:125], v[124:125], v[128:129]
	s_set_vgpr_msb 4                        ;  msbs: dst=0 src0=0 src1=1 src2=0
	v_pk_fma_f32 v[128:129], v[132:133], v[12:13] /*v[268:269]*/, v[126:127] neg_lo:[0,0,1] neg_hi:[0,0,1]
	v_pk_fma_f32 v[126:127], v[132:133], v[12:13] /*v[268:269]*/, v[126:127] op_sel_hi:[1,0,1]
	s_delay_alu instid0(VALU_DEP_1) | instskip(SKIP_2) | instid1(VALU_DEP_2)
	v_dual_mov_b32 v126, v135 :: v_dual_mov_b32 v129, v127
	v_mov_b32_e32 v127, v134
	s_set_vgpr_msb 0                        ;  msbs: dst=0 src0=0 src1=0 src2=0
	v_pk_add_f32 v[124:125], v[124:125], v[128:129]
	s_set_vgpr_msb 1                        ;  msbs: dst=0 src0=1 src1=0 src2=0
	v_mov_b32_e32 v128, v15 /*v271*/
	s_set_vgpr_msb 0                        ;  msbs: dst=0 src0=0 src1=0 src2=0
	s_delay_alu instid0(VALU_DEP_1) | instskip(SKIP_1) | instid1(VALU_DEP_1)
	v_pk_mul_f32 v[126:127], v[126:127], v[128:129] op_sel_hi:[1,0]
	s_set_vgpr_msb 4                        ;  msbs: dst=0 src0=0 src1=1 src2=0
	v_pk_fma_f32 v[128:129], v[134:135], v[14:15] /*v[270:271]*/, v[126:127] neg_lo:[0,0,1] neg_hi:[0,0,1]
	v_pk_fma_f32 v[126:127], v[134:135], v[14:15] /*v[270:271]*/, v[126:127] op_sel_hi:[1,0,1]
	s_delay_alu instid0(VALU_DEP_1) | instskip(SKIP_3) | instid1(VALU_DEP_2)
	v_mov_b32_e32 v129, v127
	s_wait_loadcnt_dscnt 0x0
	v_pk_mul_f32 v[126:127], v[136:137], v[16:17] /*v[272:273]*/ op_sel:[1,1] op_sel_hi:[0,1]
	s_set_vgpr_msb 0                        ;  msbs: dst=0 src0=0 src1=0 src2=0
	v_pk_add_f32 v[124:125], v[124:125], v[128:129]
	s_set_vgpr_msb 4                        ;  msbs: dst=0 src0=0 src1=1 src2=0
	s_delay_alu instid0(VALU_DEP_2) | instskip(SKIP_1) | instid1(VALU_DEP_1)
	v_pk_fma_f32 v[128:129], v[136:137], v[16:17] /*v[272:273]*/, v[126:127] neg_lo:[0,0,1] neg_hi:[0,0,1]
	v_pk_fma_f32 v[126:127], v[136:137], v[16:17] /*v[272:273]*/, v[126:127] op_sel_hi:[1,0,1]
	v_dual_mov_b32 v126, v139 :: v_dual_mov_b32 v129, v127
	v_mov_b32_e32 v127, v138
	s_set_vgpr_msb 0                        ;  msbs: dst=0 src0=0 src1=0 src2=0
	s_delay_alu instid0(VALU_DEP_2) | instskip(SKIP_3) | instid1(VALU_DEP_1)
	v_pk_add_f32 v[124:125], v[124:125], v[128:129]
	s_set_vgpr_msb 1                        ;  msbs: dst=0 src0=1 src1=0 src2=0
	v_mov_b32_e32 v128, v19 /*v275*/
	s_set_vgpr_msb 0                        ;  msbs: dst=0 src0=0 src1=0 src2=0
	v_pk_mul_f32 v[126:127], v[126:127], v[128:129] op_sel_hi:[1,0]
	s_set_vgpr_msb 4                        ;  msbs: dst=0 src0=0 src1=1 src2=0
	s_delay_alu instid0(VALU_DEP_1) | instskip(SKIP_1) | instid1(VALU_DEP_1)
	v_pk_fma_f32 v[128:129], v[138:139], v[18:19] /*v[274:275]*/, v[126:127] neg_lo:[0,0,1] neg_hi:[0,0,1]
	v_pk_fma_f32 v[126:127], v[138:139], v[18:19] /*v[274:275]*/, v[126:127] op_sel_hi:[1,0,1]
	v_mov_b32_e32 v129, v127
	scratch_load_b64 v[126:127], off, off offset:144
	s_set_vgpr_msb 0                        ;  msbs: dst=0 src0=0 src1=0 src2=0
	v_pk_add_f32 v[124:125], v[124:125], v[128:129]
	s_wait_loadcnt 0x0
	s_delay_alu instid0(VALU_DEP_1)
	v_pk_add_f32 v[124:125], v[126:127], v[124:125] neg_lo:[0,1] neg_hi:[0,1]
	scratch_store_b64 off, v[124:125], off offset:144
	s_wait_xcnt 0x0
	v_cmpx_lt_u32_e32 17, v0
	s_cbranch_execz .LBB124_345
; %bb.344:
	scratch_load_b64 v[124:125], off, off offset:136
	v_mov_b64_e32 v[126:127], 0
	scratch_store_b64 off, v[126:127], off offset:136
	s_wait_loadcnt 0x0
	ds_store_b64 v1, v[124:125]
.LBB124_345:
	s_wait_xcnt 0x0
	s_or_b32 exec_lo, exec_lo, s0
	v_mov_b32_e32 v7, 0
	s_wait_storecnt_dscnt 0x0
	s_barrier_signal -1
	s_barrier_wait -1
	ds_load_b128 v[124:127], v7 offset:640
	ds_load_b128 v[128:131], v7 offset:656
	;; [unrolled: 1-line block ×4, first 2 shown]
	s_clause 0x12
	scratch_load_b128 v[140:143], off, off offset:144
	scratch_load_b128 v[144:147], off, off offset:160
	;; [unrolled: 1-line block ×16, first 2 shown]
	s_set_vgpr_msb 64                       ;  msbs: dst=1 src0=0 src1=0 src2=0
	scratch_load_b128 v[0:3] /*v[256:259]*/, off, off offset:400
	scratch_load_b128 v[8:11] /*v[264:267]*/, off, off offset:416
	s_mov_b32 s0, exec_lo
	s_wait_loadcnt_dscnt 0x1103
	s_set_vgpr_msb 0                        ;  msbs: dst=0 src0=0 src1=0 src2=0
	v_mul_f32_e32 v9, v124, v141
	ds_load_b128 v[156:159], v7 offset:704
	ds_load_b128 v[164:167], v7 offset:720
	;; [unrolled: 1-line block ×4, first 2 shown]
	v_dual_fmac_f32 v9, v125, v140 :: v_dual_mul_f32 v11, v126, v143
	ds_load_b128 v[188:191], v7 offset:768
	ds_load_b128 v[196:199], v7 offset:784
	;; [unrolled: 1-line block ×4, first 2 shown]
	v_dual_add_f32 v9, 0, v9 :: v_dual_fmac_f32 v11, v127, v142
	ds_load_b128 v[220:223], v7 offset:832
	ds_load_b128 v[228:231], v7 offset:848
	;; [unrolled: 1-line block ×4, first 2 shown]
	s_wait_loadcnt_dscnt 0x100e
	v_dual_add_f32 v9, v9, v11 :: v_dual_mul_f32 v11, v128, v145
	ds_load_b128 v[252:255], v7 offset:896
	s_set_vgpr_msb 64                       ;  msbs: dst=1 src0=0 src1=0 src2=0
	ds_load_b128 v[4:7] /*v[260:263]*/, v7 offset:912
	s_clause 0x3
	scratch_load_b128 v[12:15] /*v[268:271]*/, off, off offset:432
	scratch_load_b128 v[16:19] /*v[272:275]*/, off, off offset:448
	;; [unrolled: 1-line block ×3, first 2 shown]
	scratch_load_b64 v[30:31] /*v[286:287]*/, off, off offset:480
	s_set_vgpr_msb 0                        ;  msbs: dst=0 src0=0 src1=0 src2=0
	v_fmac_f32_e32 v11, v129, v144
	s_delay_alu instid0(VALU_DEP_1) | instskip(SKIP_1) | instid1(VALU_DEP_1)
	v_add_f32_e32 v9, v9, v11
	v_mul_f32_e32 v11, v130, v147
	v_fmac_f32_e32 v11, v131, v146
	s_wait_loadcnt_dscnt 0x130f
	s_delay_alu instid0(VALU_DEP_1) | instskip(NEXT) | instid1(VALU_DEP_1)
	v_dual_add_f32 v9, v9, v11 :: v_dual_mul_f32 v11, v132, v149
	v_fmac_f32_e32 v11, v133, v148
	s_delay_alu instid0(VALU_DEP_1) | instskip(SKIP_1) | instid1(VALU_DEP_1)
	v_add_f32_e32 v9, v9, v11
	v_mul_f32_e32 v11, v134, v151
	v_fmac_f32_e32 v11, v135, v150
	s_wait_loadcnt_dscnt 0x120e
	s_delay_alu instid0(VALU_DEP_1) | instskip(NEXT) | instid1(VALU_DEP_1)
	v_dual_add_f32 v9, v9, v11 :: v_dual_mul_f32 v11, v136, v153
	v_fmac_f32_e32 v11, v137, v152
	s_delay_alu instid0(VALU_DEP_1) | instskip(SKIP_1) | instid1(VALU_DEP_1)
	v_add_f32_e32 v9, v9, v11
	v_mul_f32_e32 v11, v138, v155
	v_fmac_f32_e32 v11, v139, v154
	s_wait_loadcnt_dscnt 0x110d
	s_delay_alu instid0(VALU_DEP_1) | instskip(NEXT) | instid1(VALU_DEP_1)
	v_dual_add_f32 v9, v9, v11 :: v_dual_mul_f32 v11, v156, v161
	v_fmac_f32_e32 v11, v157, v160
	s_delay_alu instid0(VALU_DEP_1) | instskip(SKIP_1) | instid1(VALU_DEP_1)
	v_add_f32_e32 v9, v9, v11
	v_mul_f32_e32 v11, v158, v163
	v_fmac_f32_e32 v11, v159, v162
	s_wait_loadcnt_dscnt 0x100c
	s_delay_alu instid0(VALU_DEP_1) | instskip(NEXT) | instid1(VALU_DEP_1)
	v_dual_add_f32 v9, v9, v11 :: v_dual_mul_f32 v11, v164, v169
	v_fmac_f32_e32 v11, v165, v168
	s_delay_alu instid0(VALU_DEP_1) | instskip(SKIP_1) | instid1(VALU_DEP_1)
	v_add_f32_e32 v9, v9, v11
	v_mul_f32_e32 v11, v166, v171
	v_fmac_f32_e32 v11, v167, v170
	s_wait_loadcnt_dscnt 0xf0b
	s_delay_alu instid0(VALU_DEP_1) | instskip(NEXT) | instid1(VALU_DEP_1)
	v_dual_add_f32 v9, v9, v11 :: v_dual_mul_f32 v11, v172, v177
	v_fmac_f32_e32 v11, v173, v176
	s_delay_alu instid0(VALU_DEP_1) | instskip(SKIP_1) | instid1(VALU_DEP_1)
	v_add_f32_e32 v9, v9, v11
	v_mul_f32_e32 v11, v174, v179
	v_fmac_f32_e32 v11, v175, v178
	s_wait_loadcnt_dscnt 0xe0a
	s_delay_alu instid0(VALU_DEP_1) | instskip(NEXT) | instid1(VALU_DEP_1)
	v_dual_add_f32 v9, v9, v11 :: v_dual_mul_f32 v11, v180, v185
	v_fmac_f32_e32 v11, v181, v184
	s_delay_alu instid0(VALU_DEP_1) | instskip(SKIP_1) | instid1(VALU_DEP_1)
	v_add_f32_e32 v9, v9, v11
	v_mul_f32_e32 v11, v182, v187
	v_fmac_f32_e32 v11, v183, v186
	s_wait_loadcnt_dscnt 0xd09
	s_delay_alu instid0(VALU_DEP_1) | instskip(NEXT) | instid1(VALU_DEP_1)
	v_dual_add_f32 v9, v9, v11 :: v_dual_mul_f32 v11, v188, v193
	v_fmac_f32_e32 v11, v189, v192
	s_delay_alu instid0(VALU_DEP_1) | instskip(SKIP_1) | instid1(VALU_DEP_1)
	v_add_f32_e32 v9, v9, v11
	v_mul_f32_e32 v11, v190, v195
	v_fmac_f32_e32 v11, v191, v194
	s_wait_loadcnt_dscnt 0xc08
	s_delay_alu instid0(VALU_DEP_1) | instskip(NEXT) | instid1(VALU_DEP_1)
	v_dual_add_f32 v9, v9, v11 :: v_dual_mul_f32 v11, v196, v201
	v_fmac_f32_e32 v11, v197, v200
	s_delay_alu instid0(VALU_DEP_1) | instskip(SKIP_1) | instid1(VALU_DEP_1)
	v_add_f32_e32 v9, v9, v11
	v_mul_f32_e32 v11, v198, v203
	v_fmac_f32_e32 v11, v199, v202
	s_wait_loadcnt_dscnt 0xb07
	s_delay_alu instid0(VALU_DEP_1) | instskip(NEXT) | instid1(VALU_DEP_1)
	v_dual_add_f32 v9, v9, v11 :: v_dual_mul_f32 v11, v204, v209
	v_fmac_f32_e32 v11, v205, v208
	s_delay_alu instid0(VALU_DEP_1) | instskip(SKIP_1) | instid1(VALU_DEP_1)
	v_add_f32_e32 v9, v9, v11
	v_mul_f32_e32 v11, v206, v211
	v_fmac_f32_e32 v11, v207, v210
	s_wait_loadcnt_dscnt 0xa06
	s_delay_alu instid0(VALU_DEP_1) | instskip(NEXT) | instid1(VALU_DEP_1)
	v_dual_add_f32 v9, v9, v11 :: v_dual_mul_f32 v11, v212, v217
	v_fmac_f32_e32 v11, v213, v216
	s_delay_alu instid0(VALU_DEP_1) | instskip(SKIP_1) | instid1(VALU_DEP_1)
	v_add_f32_e32 v9, v9, v11
	v_mul_f32_e32 v11, v214, v219
	v_fmac_f32_e32 v11, v215, v218
	s_wait_loadcnt_dscnt 0x905
	s_delay_alu instid0(VALU_DEP_1) | instskip(NEXT) | instid1(VALU_DEP_1)
	v_dual_add_f32 v9, v9, v11 :: v_dual_mul_f32 v11, v220, v225
	v_fmac_f32_e32 v11, v221, v224
	s_delay_alu instid0(VALU_DEP_1) | instskip(SKIP_1) | instid1(VALU_DEP_1)
	v_add_f32_e32 v9, v9, v11
	v_mul_f32_e32 v11, v222, v227
	v_fmac_f32_e32 v11, v223, v226
	s_wait_loadcnt_dscnt 0x804
	s_delay_alu instid0(VALU_DEP_1) | instskip(NEXT) | instid1(VALU_DEP_1)
	v_dual_add_f32 v9, v9, v11 :: v_dual_mul_f32 v11, v228, v233
	v_fmac_f32_e32 v11, v229, v232
	s_delay_alu instid0(VALU_DEP_1) | instskip(SKIP_1) | instid1(VALU_DEP_1)
	v_add_f32_e32 v9, v9, v11
	v_mul_f32_e32 v11, v230, v235
	v_fmac_f32_e32 v11, v231, v234
	s_wait_loadcnt_dscnt 0x703
	s_delay_alu instid0(VALU_DEP_1) | instskip(NEXT) | instid1(VALU_DEP_1)
	v_dual_add_f32 v9, v9, v11 :: v_dual_mul_f32 v11, v236, v241
	v_fmac_f32_e32 v11, v237, v240
	s_delay_alu instid0(VALU_DEP_1) | instskip(SKIP_1) | instid1(VALU_DEP_1)
	v_add_f32_e32 v9, v9, v11
	v_mul_f32_e32 v11, v238, v243
	v_fmac_f32_e32 v11, v239, v242
	s_wait_loadcnt_dscnt 0x602
	s_delay_alu instid0(VALU_DEP_1) | instskip(NEXT) | instid1(VALU_DEP_1)
	v_dual_add_f32 v9, v9, v11 :: v_dual_mul_f32 v11, v244, v249
	v_fmac_f32_e32 v11, v245, v248
	s_delay_alu instid0(VALU_DEP_1) | instskip(SKIP_1) | instid1(VALU_DEP_1)
	v_add_f32_e32 v9, v9, v11
	v_mul_f32_e32 v11, v246, v251
	v_fmac_f32_e32 v11, v247, v250
	s_delay_alu instid0(VALU_DEP_1) | instskip(SKIP_3) | instid1(VALU_DEP_1)
	v_add_f32_e32 v9, v9, v11
	s_wait_loadcnt_dscnt 0x501
	s_set_vgpr_msb 4                        ;  msbs: dst=0 src0=0 src1=1 src2=0
	v_mul_f32_e32 v11, v252, v1 /*v257*/
	v_fmac_f32_e32 v11, v253, v0 /*v256*/
	s_set_vgpr_msb 64                       ;  msbs: dst=1 src0=0 src1=0 src2=0
	s_delay_alu instid0(VALU_DEP_1)
	v_add_f32_e32 v25 /*v281*/, v9, v11
	s_set_vgpr_msb 0                        ;  msbs: dst=0 src0=0 src1=0 src2=0
	v_dual_mul_f32 v9, v125, v141 :: v_dual_mul_f32 v11, v127, v143
	s_wait_dscnt 0x0
	s_set_vgpr_msb 1                        ;  msbs: dst=0 src0=1 src1=0 src2=0
	v_mov_b32_e32 v141, v6 /*v262*/
	s_set_vgpr_msb 0                        ;  msbs: dst=0 src0=0 src1=0 src2=0
	v_dual_fma_f32 v9, v124, v140, -v9 :: v_dual_fma_f32 v11, v126, v142, -v11
	s_wait_loadcnt 0x4
	s_set_vgpr_msb 1                        ;  msbs: dst=0 src0=1 src1=0 src2=0
	v_dual_mov_b32 v142, v11 /*v267*/ :: v_dual_mov_b32 v140, v7 /*v263*/
	s_delay_alu instid0(VALU_DEP_2) | instskip(SKIP_1) | instid1(VALU_DEP_2)
	v_add_f32_e32 v9, 0, v9
	s_set_vgpr_msb 0                        ;  msbs: dst=0 src0=0 src1=0 src2=0
	v_pk_mul_f32 v[140:141], v[140:141], v[142:143] op_sel_hi:[1,0]
	s_delay_alu instid0(VALU_DEP_2) | instskip(SKIP_2) | instid1(VALU_DEP_3)
	v_add_f32_e32 v9, v9, v11
	v_mul_f32_e32 v11, v129, v145
	s_set_vgpr_msb 5                        ;  msbs: dst=0 src0=1 src1=1 src2=0
	v_pk_fma_f32 v[142:143], v[6:7] /*v[262:263]*/, v[10:11] /*v[266:267]*/, v[140:141] neg_lo:[0,0,1] neg_hi:[0,0,1]
	v_pk_fma_f32 v[140:141], v[6:7] /*v[262:263]*/, v[10:11] /*v[266:267]*/, v[140:141] op_sel_hi:[1,0,1]
	s_set_vgpr_msb 0                        ;  msbs: dst=0 src0=0 src1=0 src2=0
	s_delay_alu instid0(VALU_DEP_1) | instskip(NEXT) | instid1(VALU_DEP_1)
	v_dual_fma_f32 v11, v128, v144, -v11 :: v_dual_mov_b32 v143, v141
	v_add_f32_e32 v9, v9, v11
	v_mul_f32_e32 v11, v131, v147
	s_delay_alu instid0(VALU_DEP_1) | instskip(NEXT) | instid1(VALU_DEP_1)
	v_fma_f32 v11, v130, v146, -v11
	v_add_f32_e32 v9, v9, v11
	v_mul_f32_e32 v11, v133, v149
	s_delay_alu instid0(VALU_DEP_1) | instskip(NEXT) | instid1(VALU_DEP_1)
	v_fma_f32 v11, v132, v148, -v11
	;; [unrolled: 4-line block ×3, first 2 shown]
	v_add_f32_e32 v9, v9, v11
	v_mul_f32_e32 v11, v137, v153
	s_delay_alu instid0(VALU_DEP_1)
	v_fma_f32 v11, v136, v152, -v11
	ds_load_b128 v[124:127], v7 offset:928
	ds_load_b128 v[128:131], v7 offset:944
	;; [unrolled: 1-line block ×3, first 2 shown]
	ds_load_b64 v[136:137], v7 offset:976
	v_add_f32_e32 v9, v9, v11
	v_mul_f32_e32 v11, v139, v155
	s_delay_alu instid0(VALU_DEP_1) | instskip(NEXT) | instid1(VALU_DEP_1)
	v_fma_f32 v11, v138, v154, -v11
	v_add_f32_e32 v9, v9, v11
	v_mul_f32_e32 v11, v157, v161
	s_wait_loadcnt_dscnt 0x303
	s_set_vgpr_msb 4                        ;  msbs: dst=0 src0=0 src1=1 src2=0
	v_pk_mul_f32 v[140:141], v[124:125], v[12:13] /*v[268:269]*/ op_sel:[1,1] op_sel_hi:[0,1]
	s_set_vgpr_msb 0                        ;  msbs: dst=0 src0=0 src1=0 src2=0
	v_fma_f32 v11, v156, v160, -v11
	s_delay_alu instid0(VALU_DEP_1) | instskip(SKIP_1) | instid1(VALU_DEP_1)
	v_add_f32_e32 v9, v9, v11
	v_mul_f32_e32 v11, v159, v163
	v_fma_f32 v11, v158, v162, -v11
	s_delay_alu instid0(VALU_DEP_1) | instskip(SKIP_1) | instid1(VALU_DEP_1)
	v_add_f32_e32 v9, v9, v11
	v_mul_f32_e32 v11, v165, v169
	v_fma_f32 v11, v164, v168, -v11
	s_delay_alu instid0(VALU_DEP_1) | instskip(SKIP_1) | instid1(VALU_DEP_1)
	v_add_f32_e32 v9, v9, v11
	v_mul_f32_e32 v11, v167, v171
	v_fma_f32 v11, v166, v170, -v11
	s_delay_alu instid0(VALU_DEP_1) | instskip(SKIP_1) | instid1(VALU_DEP_1)
	v_add_f32_e32 v9, v9, v11
	v_mul_f32_e32 v11, v173, v177
	v_fma_f32 v11, v172, v176, -v11
	s_delay_alu instid0(VALU_DEP_1) | instskip(SKIP_1) | instid1(VALU_DEP_1)
	v_add_f32_e32 v9, v9, v11
	v_mul_f32_e32 v11, v175, v179
	v_fma_f32 v11, v174, v178, -v11
	s_delay_alu instid0(VALU_DEP_1) | instskip(SKIP_1) | instid1(VALU_DEP_1)
	v_add_f32_e32 v9, v9, v11
	v_mul_f32_e32 v11, v181, v185
	v_fma_f32 v11, v180, v184, -v11
	s_delay_alu instid0(VALU_DEP_1) | instskip(SKIP_1) | instid1(VALU_DEP_1)
	v_add_f32_e32 v9, v9, v11
	v_mul_f32_e32 v11, v183, v187
	v_fma_f32 v11, v182, v186, -v11
	s_delay_alu instid0(VALU_DEP_1) | instskip(SKIP_1) | instid1(VALU_DEP_1)
	v_add_f32_e32 v9, v9, v11
	v_mul_f32_e32 v11, v189, v193
	v_fma_f32 v11, v188, v192, -v11
	s_delay_alu instid0(VALU_DEP_1) | instskip(SKIP_1) | instid1(VALU_DEP_1)
	v_add_f32_e32 v9, v9, v11
	v_mul_f32_e32 v11, v191, v195
	v_fma_f32 v11, v190, v194, -v11
	s_delay_alu instid0(VALU_DEP_1) | instskip(SKIP_1) | instid1(VALU_DEP_1)
	v_add_f32_e32 v9, v9, v11
	v_mul_f32_e32 v11, v197, v201
	v_fma_f32 v11, v196, v200, -v11
	s_delay_alu instid0(VALU_DEP_1) | instskip(SKIP_1) | instid1(VALU_DEP_1)
	v_add_f32_e32 v9, v9, v11
	v_mul_f32_e32 v11, v199, v203
	v_fma_f32 v11, v198, v202, -v11
	s_delay_alu instid0(VALU_DEP_1) | instskip(SKIP_1) | instid1(VALU_DEP_1)
	v_add_f32_e32 v9, v9, v11
	v_mul_f32_e32 v11, v205, v209
	v_fma_f32 v11, v204, v208, -v11
	s_delay_alu instid0(VALU_DEP_1) | instskip(SKIP_1) | instid1(VALU_DEP_1)
	v_add_f32_e32 v9, v9, v11
	v_mul_f32_e32 v11, v207, v211
	v_fma_f32 v11, v206, v210, -v11
	s_delay_alu instid0(VALU_DEP_1) | instskip(SKIP_1) | instid1(VALU_DEP_1)
	v_add_f32_e32 v9, v9, v11
	v_mul_f32_e32 v11, v213, v217
	v_fma_f32 v11, v212, v216, -v11
	s_delay_alu instid0(VALU_DEP_1) | instskip(SKIP_1) | instid1(VALU_DEP_1)
	v_add_f32_e32 v9, v9, v11
	v_mul_f32_e32 v11, v215, v219
	v_fma_f32 v11, v214, v218, -v11
	s_delay_alu instid0(VALU_DEP_1) | instskip(SKIP_1) | instid1(VALU_DEP_1)
	v_add_f32_e32 v9, v9, v11
	v_mul_f32_e32 v11, v221, v225
	v_fma_f32 v11, v220, v224, -v11
	s_delay_alu instid0(VALU_DEP_1) | instskip(SKIP_1) | instid1(VALU_DEP_1)
	v_add_f32_e32 v9, v9, v11
	v_mul_f32_e32 v11, v223, v227
	v_fma_f32 v11, v222, v226, -v11
	s_delay_alu instid0(VALU_DEP_1) | instskip(SKIP_1) | instid1(VALU_DEP_1)
	v_add_f32_e32 v9, v9, v11
	v_mul_f32_e32 v11, v229, v233
	v_fma_f32 v11, v228, v232, -v11
	s_delay_alu instid0(VALU_DEP_1) | instskip(SKIP_1) | instid1(VALU_DEP_1)
	v_add_f32_e32 v9, v9, v11
	v_mul_f32_e32 v11, v231, v235
	v_fma_f32 v11, v230, v234, -v11
	s_delay_alu instid0(VALU_DEP_1) | instskip(SKIP_1) | instid1(VALU_DEP_1)
	v_add_f32_e32 v9, v9, v11
	v_mul_f32_e32 v11, v237, v241
	v_fma_f32 v11, v236, v240, -v11
	s_delay_alu instid0(VALU_DEP_1) | instskip(SKIP_1) | instid1(VALU_DEP_1)
	v_add_f32_e32 v9, v9, v11
	v_mul_f32_e32 v11, v239, v243
	v_fma_f32 v11, v238, v242, -v11
	s_delay_alu instid0(VALU_DEP_1) | instskip(SKIP_1) | instid1(VALU_DEP_1)
	v_add_f32_e32 v9, v9, v11
	v_mul_f32_e32 v11, v245, v249
	v_fma_f32 v11, v244, v248, -v11
	s_delay_alu instid0(VALU_DEP_1) | instskip(SKIP_1) | instid1(VALU_DEP_1)
	v_add_f32_e32 v9, v9, v11
	v_mul_f32_e32 v11, v247, v251
	v_fma_f32 v11, v246, v250, -v11
	s_delay_alu instid0(VALU_DEP_1) | instskip(SKIP_2) | instid1(VALU_DEP_1)
	v_add_f32_e32 v9, v9, v11
	s_set_vgpr_msb 4                        ;  msbs: dst=0 src0=0 src1=1 src2=0
	v_mul_f32_e32 v11, v253, v1 /*v257*/
	v_fma_f32 v11, v252, v0 /*v256*/, -v11
	s_set_vgpr_msb 64                       ;  msbs: dst=1 src0=0 src1=0 src2=0
	s_delay_alu instid0(VALU_DEP_1) | instskip(SKIP_3) | instid1(VALU_DEP_1)
	v_add_f32_e32 v24 /*v280*/, v9, v11
	s_set_vgpr_msb 4                        ;  msbs: dst=0 src0=0 src1=1 src2=0
	v_mul_f32_e32 v9, v255, v3 /*v259*/
	s_set_vgpr_msb 0x44                     ;  msbs: dst=1 src0=0 src1=1 src2=0
	v_dual_mul_f32 v27 /*v283*/, v254, v3 /*v259*/ :: v_dual_fma_f32 v26 /*v282*/, v254, v2 /*v258*/, -v9
	s_set_vgpr_msb 5                        ;  msbs: dst=0 src0=1 src1=1 src2=0
	v_mul_f32_e32 v9, v5 /*v261*/, v9 /*v265*/
	s_set_vgpr_msb 0x44                     ;  msbs: dst=1 src0=0 src1=1 src2=0
	s_delay_alu instid0(VALU_DEP_2) | instskip(SKIP_1) | instid1(VALU_DEP_2)
	v_fmac_f32_e32 v27 /*v283*/, v255, v2 /*v258*/
	s_set_vgpr_msb 0x45                     ;  msbs: dst=1 src0=1 src1=1 src2=0
	v_dual_mul_f32 v29 /*v285*/, v4 /*v260*/, v9 /*v265*/ :: v_dual_fma_f32 v28 /*v284*/, v4 /*v260*/, v8 /*v264*/, -v9
	s_set_vgpr_msb 5                        ;  msbs: dst=0 src0=1 src1=1 src2=0
	s_delay_alu instid0(VALU_DEP_2) | instskip(SKIP_1) | instid1(VALU_DEP_2)
	v_pk_add_f32 v[138:139], v[24:25] /*v[280:281]*/, v[26:27] /*v[282:283]*/
	s_set_vgpr_msb 0x45                     ;  msbs: dst=1 src0=1 src1=1 src2=0
	v_fmac_f32_e32 v29 /*v285*/, v5 /*v261*/, v8 /*v264*/
	s_set_vgpr_msb 4                        ;  msbs: dst=0 src0=0 src1=1 src2=0
	s_delay_alu instid0(VALU_DEP_1) | instskip(SKIP_1) | instid1(VALU_DEP_1)
	v_pk_add_f32 v[138:139], v[138:139], v[28:29] /*v[284:285]*/
	s_set_vgpr_msb 0                        ;  msbs: dst=0 src0=0 src1=0 src2=0
	v_pk_add_f32 v[138:139], v[138:139], v[142:143]
	s_set_vgpr_msb 4                        ;  msbs: dst=0 src0=0 src1=1 src2=0
	v_pk_fma_f32 v[142:143], v[124:125], v[12:13] /*v[268:269]*/, v[140:141] neg_lo:[0,0,1] neg_hi:[0,0,1]
	v_pk_fma_f32 v[124:125], v[124:125], v[12:13] /*v[268:269]*/, v[140:141] op_sel_hi:[1,0,1]
	s_set_vgpr_msb 1                        ;  msbs: dst=0 src0=1 src1=0 src2=0
	v_mov_b32_e32 v140, v15 /*v271*/
	s_set_vgpr_msb 0                        ;  msbs: dst=0 src0=0 src1=0 src2=0
	s_delay_alu instid0(VALU_DEP_2) | instskip(NEXT) | instid1(VALU_DEP_1)
	v_mov_b32_e32 v143, v125
	v_pk_add_f32 v[124:125], v[138:139], v[142:143]
	v_dual_mov_b32 v138, v127 :: v_dual_mov_b32 v139, v126
	s_delay_alu instid0(VALU_DEP_1) | instskip(SKIP_1) | instid1(VALU_DEP_1)
	v_pk_mul_f32 v[138:139], v[138:139], v[140:141] op_sel_hi:[1,0]
	s_set_vgpr_msb 4                        ;  msbs: dst=0 src0=0 src1=1 src2=0
	v_pk_fma_f32 v[140:141], v[126:127], v[14:15] /*v[270:271]*/, v[138:139] neg_lo:[0,0,1] neg_hi:[0,0,1]
	v_pk_fma_f32 v[126:127], v[126:127], v[14:15] /*v[270:271]*/, v[138:139] op_sel_hi:[1,0,1]
	s_delay_alu instid0(VALU_DEP_1) | instskip(SKIP_3) | instid1(VALU_DEP_2)
	v_mov_b32_e32 v141, v127
	s_wait_loadcnt_dscnt 0x202
	v_pk_mul_f32 v[126:127], v[128:129], v[16:17] /*v[272:273]*/ op_sel:[1,1] op_sel_hi:[0,1]
	s_set_vgpr_msb 0                        ;  msbs: dst=0 src0=0 src1=0 src2=0
	v_pk_add_f32 v[124:125], v[124:125], v[140:141]
	s_set_vgpr_msb 4                        ;  msbs: dst=0 src0=0 src1=1 src2=0
	s_delay_alu instid0(VALU_DEP_2)
	v_pk_fma_f32 v[138:139], v[128:129], v[16:17] /*v[272:273]*/, v[126:127] neg_lo:[0,0,1] neg_hi:[0,0,1]
	v_pk_fma_f32 v[126:127], v[128:129], v[16:17] /*v[272:273]*/, v[126:127] op_sel_hi:[1,0,1]
	v_mov_b32_e32 v126, v131
	s_set_vgpr_msb 1                        ;  msbs: dst=0 src0=1 src1=0 src2=0
	v_mov_b32_e32 v128, v19 /*v275*/
	s_set_vgpr_msb 0                        ;  msbs: dst=0 src0=0 src1=0 src2=0
	v_dual_mov_b32 v139, v127 :: v_dual_mov_b32 v127, v130
	s_delay_alu instid0(VALU_DEP_1) | instskip(NEXT) | instid1(VALU_DEP_2)
	v_pk_add_f32 v[124:125], v[124:125], v[138:139]
	v_pk_mul_f32 v[126:127], v[126:127], v[128:129] op_sel_hi:[1,0]
	s_set_vgpr_msb 4                        ;  msbs: dst=0 src0=0 src1=1 src2=0
	s_delay_alu instid0(VALU_DEP_1) | instskip(SKIP_1) | instid1(VALU_DEP_1)
	v_pk_fma_f32 v[128:129], v[130:131], v[18:19] /*v[274:275]*/, v[126:127] neg_lo:[0,0,1] neg_hi:[0,0,1]
	v_pk_fma_f32 v[126:127], v[130:131], v[18:19] /*v[274:275]*/, v[126:127] op_sel_hi:[1,0,1]
	v_mov_b32_e32 v129, v127
	s_wait_loadcnt_dscnt 0x101
	v_pk_mul_f32 v[126:127], v[132:133], v[20:21] /*v[276:277]*/ op_sel:[1,1] op_sel_hi:[0,1]
	s_set_vgpr_msb 0                        ;  msbs: dst=0 src0=0 src1=0 src2=0
	s_delay_alu instid0(VALU_DEP_2) | instskip(SKIP_1) | instid1(VALU_DEP_2)
	v_pk_add_f32 v[124:125], v[124:125], v[128:129]
	s_set_vgpr_msb 4                        ;  msbs: dst=0 src0=0 src1=1 src2=0
	v_pk_fma_f32 v[128:129], v[132:133], v[20:21] /*v[276:277]*/, v[126:127] neg_lo:[0,0,1] neg_hi:[0,0,1]
	v_pk_fma_f32 v[126:127], v[132:133], v[20:21] /*v[276:277]*/, v[126:127] op_sel_hi:[1,0,1]
	s_delay_alu instid0(VALU_DEP_1) | instskip(SKIP_2) | instid1(VALU_DEP_2)
	v_dual_mov_b32 v126, v135 :: v_dual_mov_b32 v129, v127
	v_mov_b32_e32 v127, v134
	s_set_vgpr_msb 0                        ;  msbs: dst=0 src0=0 src1=0 src2=0
	v_pk_add_f32 v[124:125], v[124:125], v[128:129]
	s_set_vgpr_msb 1                        ;  msbs: dst=0 src0=1 src1=0 src2=0
	v_mov_b32_e32 v128, v23 /*v279*/
	s_set_vgpr_msb 0                        ;  msbs: dst=0 src0=0 src1=0 src2=0
	s_delay_alu instid0(VALU_DEP_1) | instskip(SKIP_1) | instid1(VALU_DEP_1)
	v_pk_mul_f32 v[126:127], v[126:127], v[128:129] op_sel_hi:[1,0]
	s_set_vgpr_msb 4                        ;  msbs: dst=0 src0=0 src1=1 src2=0
	v_pk_fma_f32 v[128:129], v[134:135], v[22:23] /*v[278:279]*/, v[126:127] neg_lo:[0,0,1] neg_hi:[0,0,1]
	v_pk_fma_f32 v[126:127], v[134:135], v[22:23] /*v[278:279]*/, v[126:127] op_sel_hi:[1,0,1]
	s_delay_alu instid0(VALU_DEP_1) | instskip(SKIP_3) | instid1(VALU_DEP_2)
	v_mov_b32_e32 v129, v127
	s_wait_loadcnt_dscnt 0x0
	v_pk_mul_f32 v[126:127], v[136:137], v[30:31] /*v[286:287]*/ op_sel:[1,1] op_sel_hi:[0,1]
	s_set_vgpr_msb 0                        ;  msbs: dst=0 src0=0 src1=0 src2=0
	v_pk_add_f32 v[124:125], v[124:125], v[128:129]
	s_set_vgpr_msb 4                        ;  msbs: dst=0 src0=0 src1=1 src2=0
	s_delay_alu instid0(VALU_DEP_2) | instskip(SKIP_1) | instid1(VALU_DEP_1)
	v_pk_fma_f32 v[128:129], v[136:137], v[30:31] /*v[286:287]*/, v[126:127] neg_lo:[0,0,1] neg_hi:[0,0,1]
	v_pk_fma_f32 v[126:127], v[136:137], v[30:31] /*v[286:287]*/, v[126:127] op_sel_hi:[1,0,1]
	v_mov_b32_e32 v129, v127
	scratch_load_b64 v[126:127], off, off offset:136
	s_set_vgpr_msb 0                        ;  msbs: dst=0 src0=0 src1=0 src2=0
	v_pk_add_f32 v[124:125], v[124:125], v[128:129]
	s_wait_loadcnt 0x0
	s_delay_alu instid0(VALU_DEP_1)
	v_pk_add_f32 v[124:125], v[126:127], v[124:125] neg_lo:[0,1] neg_hi:[0,1]
	scratch_store_b64 off, v[124:125], off offset:136
	s_wait_xcnt 0x0
	v_cmpx_lt_u32_e32 16, v0
	s_cbranch_execz .LBB124_347
; %bb.346:
	scratch_load_b64 v[124:125], off, off offset:128
	v_mov_b64_e32 v[126:127], 0
	scratch_store_b64 off, v[126:127], off offset:128
	s_wait_loadcnt 0x0
	ds_store_b64 v1, v[124:125]
.LBB124_347:
	s_wait_xcnt 0x0
	s_or_b32 exec_lo, exec_lo, s0
	s_wait_storecnt_dscnt 0x0
	s_barrier_signal -1
	s_barrier_wait -1
	s_clause 0xf
	scratch_load_b128 v[128:131], off, off offset:136
	scratch_load_b128 v[136:139], off, off offset:152
	;; [unrolled: 1-line block ×16, first 2 shown]
	ds_load_2addr_b64 v[124:127], v7 offset0:79 offset1:80
	ds_load_2addr_b64 v[132:135], v7 offset0:81 offset1:82
	s_set_vgpr_msb 64                       ;  msbs: dst=1 src0=0 src1=0 src2=0
	s_clause 0x1
	scratch_load_b128 v[0:3] /*v[256:259]*/, off, off offset:392
	scratch_load_b128 v[8:11] /*v[264:267]*/, off, off offset:408
	s_set_vgpr_msb 0                        ;  msbs: dst=0 src0=0 src1=0 src2=0
	ds_load_2addr_b64 v[140:143], v7 offset0:83 offset1:84
	ds_load_2addr_b64 v[148:151], v7 offset0:85 offset1:86
	;; [unrolled: 1-line block ×15, first 2 shown]
	s_set_vgpr_msb 64                       ;  msbs: dst=1 src0=0 src1=0 src2=0
	ds_load_2addr_b64 v[4:7] /*v[260:263]*/, v7 offset0:113 offset1:114
	s_clause 0x3
	scratch_load_b128 v[12:15] /*v[268:271]*/, off, off offset:424
	scratch_load_b128 v[16:19] /*v[272:275]*/, off, off offset:440
	;; [unrolled: 1-line block ×4, first 2 shown]
	s_mov_b32 s0, exec_lo
	s_wait_loadcnt_dscnt 0x1511
	s_set_vgpr_msb 0                        ;  msbs: dst=0 src0=0 src1=0 src2=0
	v_dual_mul_f32 v9, v124, v129 :: v_dual_mul_f32 v11, v126, v131
	s_delay_alu instid0(VALU_DEP_1) | instskip(NEXT) | instid1(VALU_DEP_1)
	v_dual_fmac_f32 v9, v125, v128 :: v_dual_fmac_f32 v11, v127, v130
	v_add_f32_e32 v9, 0, v9
	s_wait_loadcnt_dscnt 0x1410
	s_delay_alu instid0(VALU_DEP_1)
	v_dual_add_f32 v9, v9, v11 :: v_dual_mul_f32 v11, v132, v137
	s_wait_loadcnt_dscnt 0x400
	s_set_vgpr_msb 0x45                     ;  msbs: dst=1 src0=1 src1=1 src2=0
	v_dual_mul_f32 v31 /*v287*/, v4 /*v260*/, v9 /*v265*/ :: v_dual_mul_f32 v33 /*v289*/, v6 /*v262*/, v11 /*v267*/
	s_set_vgpr_msb 0                        ;  msbs: dst=0 src0=0 src1=0 src2=0
	v_fmac_f32_e32 v11, v133, v136
	s_set_vgpr_msb 0x45                     ;  msbs: dst=1 src0=1 src1=1 src2=0
	s_delay_alu instid0(VALU_DEP_2) | instskip(SKIP_1) | instid1(VALU_DEP_2)
	v_dual_fmac_f32 v31 /*v287*/, v5 /*v261*/, v8 /*v264*/ :: v_dual_fmac_f32 v33 /*v289*/, v7 /*v263*/, v10 /*v266*/
	s_set_vgpr_msb 0                        ;  msbs: dst=0 src0=0 src1=0 src2=0
	v_add_f32_e32 v9, v9, v11
	v_mul_f32_e32 v11, v134, v139
	s_delay_alu instid0(VALU_DEP_1) | instskip(NEXT) | instid1(VALU_DEP_1)
	v_fmac_f32_e32 v11, v135, v138
	v_dual_add_f32 v9, v9, v11 :: v_dual_mul_f32 v11, v140, v145
	s_delay_alu instid0(VALU_DEP_1) | instskip(NEXT) | instid1(VALU_DEP_1)
	v_fmac_f32_e32 v11, v141, v144
	v_add_f32_e32 v9, v9, v11
	v_mul_f32_e32 v11, v142, v147
	s_delay_alu instid0(VALU_DEP_1) | instskip(NEXT) | instid1(VALU_DEP_1)
	v_fmac_f32_e32 v11, v143, v146
	v_dual_add_f32 v9, v9, v11 :: v_dual_mul_f32 v11, v148, v153
	s_delay_alu instid0(VALU_DEP_1) | instskip(NEXT) | instid1(VALU_DEP_1)
	v_fmac_f32_e32 v11, v149, v152
	;; [unrolled: 7-line block ×14, first 2 shown]
	v_add_f32_e32 v9, v9, v11
	v_mul_f32_e32 v11, v246, v251
	s_delay_alu instid0(VALU_DEP_1) | instskip(NEXT) | instid1(VALU_DEP_1)
	v_fmac_f32_e32 v11, v247, v250
	v_add_f32_e32 v9, v9, v11
	s_set_vgpr_msb 4                        ;  msbs: dst=0 src0=0 src1=1 src2=0
	v_mul_f32_e32 v11, v252, v1 /*v257*/
	s_delay_alu instid0(VALU_DEP_1) | instskip(SKIP_1) | instid1(VALU_DEP_1)
	v_fmac_f32_e32 v11, v253, v0 /*v256*/
	s_set_vgpr_msb 0                        ;  msbs: dst=0 src0=0 src1=0 src2=0
	v_add_f32_e32 v9, v9, v11
	s_set_vgpr_msb 4                        ;  msbs: dst=0 src0=0 src1=1 src2=0
	v_mul_f32_e32 v11, v254, v3 /*v259*/
	s_delay_alu instid0(VALU_DEP_1) | instskip(SKIP_1) | instid1(VALU_DEP_1)
	v_fmac_f32_e32 v11, v255, v2 /*v258*/
	s_set_vgpr_msb 64                       ;  msbs: dst=1 src0=0 src1=0 src2=0
	v_add_f32_e32 v29 /*v285*/, v9, v11
	s_set_vgpr_msb 0                        ;  msbs: dst=0 src0=0 src1=0 src2=0
	v_dual_mul_f32 v9, v125, v129 :: v_dual_mul_f32 v11, v127, v131
	s_delay_alu instid0(VALU_DEP_1) | instskip(NEXT) | instid1(VALU_DEP_1)
	v_dual_fma_f32 v9, v124, v128, -v9 :: v_dual_fma_f32 v11, v126, v130, -v11
	v_add_f32_e32 v9, 0, v9
	s_delay_alu instid0(VALU_DEP_1) | instskip(SKIP_1) | instid1(VALU_DEP_1)
	v_add_f32_e32 v9, v9, v11
	v_mul_f32_e32 v11, v133, v137
	v_fma_f32 v11, v132, v136, -v11
	s_delay_alu instid0(VALU_DEP_1) | instskip(SKIP_1) | instid1(VALU_DEP_1)
	v_add_f32_e32 v9, v9, v11
	v_mul_f32_e32 v11, v135, v139
	v_fma_f32 v11, v134, v138, -v11
	ds_load_2addr_b64 v[124:127], v7 offset0:115 offset1:116
	ds_load_2addr_b64 v[128:131], v7 offset0:117 offset1:118
	;; [unrolled: 1-line block ×4, first 2 shown]
	v_add_f32_e32 v9, v9, v11
	v_mul_f32_e32 v11, v141, v145
	s_delay_alu instid0(VALU_DEP_1) | instskip(NEXT) | instid1(VALU_DEP_1)
	v_fma_f32 v11, v140, v144, -v11
	v_add_f32_e32 v9, v9, v11
	v_mul_f32_e32 v11, v143, v147
	s_delay_alu instid0(VALU_DEP_1)
	v_fma_f32 v11, v142, v146, -v11
	s_wait_loadcnt_dscnt 0x303
	s_set_vgpr_msb 4                        ;  msbs: dst=0 src0=0 src1=1 src2=0
	v_pk_mul_f32 v[142:143], v[124:125], v[12:13] /*v[268:269]*/ op_sel:[1,1] op_sel_hi:[0,1]
	s_set_vgpr_msb 0                        ;  msbs: dst=0 src0=0 src1=0 src2=0
	v_add_f32_e32 v9, v9, v11
	v_mul_f32_e32 v11, v149, v153
	s_set_vgpr_msb 4                        ;  msbs: dst=0 src0=0 src1=1 src2=0
	v_pk_fma_f32 v[144:145], v[124:125], v[12:13] /*v[268:269]*/, v[142:143] neg_lo:[0,0,1] neg_hi:[0,0,1]
	v_pk_fma_f32 v[124:125], v[124:125], v[12:13] /*v[268:269]*/, v[142:143] op_sel_hi:[1,0,1]
	s_set_vgpr_msb 1                        ;  msbs: dst=0 src0=1 src1=0 src2=0
	v_mov_b32_e32 v142, v15 /*v271*/
	s_set_vgpr_msb 0                        ;  msbs: dst=0 src0=0 src1=0 src2=0
	s_delay_alu instid0(VALU_DEP_2) | instskip(NEXT) | instid1(VALU_DEP_1)
	v_dual_fma_f32 v11, v148, v152, -v11 :: v_dual_mov_b32 v145, v125
	v_add_f32_e32 v9, v9, v11
	v_mul_f32_e32 v11, v151, v155
	s_delay_alu instid0(VALU_DEP_1) | instskip(NEXT) | instid1(VALU_DEP_1)
	v_fma_f32 v11, v150, v154, -v11
	v_add_f32_e32 v9, v9, v11
	v_mul_f32_e32 v11, v157, v161
	s_delay_alu instid0(VALU_DEP_1) | instskip(NEXT) | instid1(VALU_DEP_1)
	v_fma_f32 v11, v156, v160, -v11
	v_add_f32_e32 v9, v9, v11
	v_mul_f32_e32 v11, v159, v163
	s_delay_alu instid0(VALU_DEP_1) | instskip(NEXT) | instid1(VALU_DEP_1)
	v_fma_f32 v11, v158, v162, -v11
	v_add_f32_e32 v9, v9, v11
	v_mul_f32_e32 v11, v165, v169
	s_delay_alu instid0(VALU_DEP_1) | instskip(NEXT) | instid1(VALU_DEP_1)
	v_fma_f32 v11, v164, v168, -v11
	v_add_f32_e32 v9, v9, v11
	v_mul_f32_e32 v11, v167, v171
	s_delay_alu instid0(VALU_DEP_1) | instskip(NEXT) | instid1(VALU_DEP_1)
	v_fma_f32 v11, v166, v170, -v11
	v_add_f32_e32 v9, v9, v11
	v_mul_f32_e32 v11, v173, v177
	s_delay_alu instid0(VALU_DEP_1) | instskip(NEXT) | instid1(VALU_DEP_1)
	v_fma_f32 v11, v172, v176, -v11
	v_add_f32_e32 v9, v9, v11
	v_mul_f32_e32 v11, v175, v179
	s_delay_alu instid0(VALU_DEP_1) | instskip(NEXT) | instid1(VALU_DEP_1)
	v_fma_f32 v11, v174, v178, -v11
	v_add_f32_e32 v9, v9, v11
	v_mul_f32_e32 v11, v181, v185
	s_delay_alu instid0(VALU_DEP_1) | instskip(NEXT) | instid1(VALU_DEP_1)
	v_fma_f32 v11, v180, v184, -v11
	v_add_f32_e32 v9, v9, v11
	v_mul_f32_e32 v11, v183, v187
	s_delay_alu instid0(VALU_DEP_1) | instskip(NEXT) | instid1(VALU_DEP_1)
	v_fma_f32 v11, v182, v186, -v11
	v_add_f32_e32 v9, v9, v11
	v_mul_f32_e32 v11, v189, v193
	s_delay_alu instid0(VALU_DEP_1) | instskip(NEXT) | instid1(VALU_DEP_1)
	v_fma_f32 v11, v188, v192, -v11
	v_add_f32_e32 v9, v9, v11
	v_mul_f32_e32 v11, v191, v195
	s_delay_alu instid0(VALU_DEP_1) | instskip(NEXT) | instid1(VALU_DEP_1)
	v_fma_f32 v11, v190, v194, -v11
	v_add_f32_e32 v9, v9, v11
	v_mul_f32_e32 v11, v197, v201
	s_delay_alu instid0(VALU_DEP_1) | instskip(NEXT) | instid1(VALU_DEP_1)
	v_fma_f32 v11, v196, v200, -v11
	v_add_f32_e32 v9, v9, v11
	v_mul_f32_e32 v11, v199, v203
	s_delay_alu instid0(VALU_DEP_1) | instskip(NEXT) | instid1(VALU_DEP_1)
	v_fma_f32 v11, v198, v202, -v11
	v_add_f32_e32 v9, v9, v11
	v_mul_f32_e32 v11, v205, v209
	s_delay_alu instid0(VALU_DEP_1) | instskip(NEXT) | instid1(VALU_DEP_1)
	v_fma_f32 v11, v204, v208, -v11
	v_add_f32_e32 v9, v9, v11
	v_mul_f32_e32 v11, v207, v211
	s_delay_alu instid0(VALU_DEP_1) | instskip(NEXT) | instid1(VALU_DEP_1)
	v_fma_f32 v11, v206, v210, -v11
	v_add_f32_e32 v9, v9, v11
	v_mul_f32_e32 v11, v213, v217
	s_delay_alu instid0(VALU_DEP_1) | instskip(NEXT) | instid1(VALU_DEP_1)
	v_fma_f32 v11, v212, v216, -v11
	v_add_f32_e32 v9, v9, v11
	v_mul_f32_e32 v11, v215, v219
	s_delay_alu instid0(VALU_DEP_1) | instskip(NEXT) | instid1(VALU_DEP_1)
	v_fma_f32 v11, v214, v218, -v11
	v_add_f32_e32 v9, v9, v11
	v_mul_f32_e32 v11, v221, v225
	s_delay_alu instid0(VALU_DEP_1) | instskip(NEXT) | instid1(VALU_DEP_1)
	v_fma_f32 v11, v220, v224, -v11
	v_add_f32_e32 v9, v9, v11
	v_mul_f32_e32 v11, v223, v227
	s_delay_alu instid0(VALU_DEP_1) | instskip(NEXT) | instid1(VALU_DEP_1)
	v_fma_f32 v11, v222, v226, -v11
	v_add_f32_e32 v9, v9, v11
	v_mul_f32_e32 v11, v229, v233
	s_delay_alu instid0(VALU_DEP_1) | instskip(NEXT) | instid1(VALU_DEP_1)
	v_fma_f32 v11, v228, v232, -v11
	v_add_f32_e32 v9, v9, v11
	v_mul_f32_e32 v11, v231, v235
	s_delay_alu instid0(VALU_DEP_1) | instskip(NEXT) | instid1(VALU_DEP_1)
	v_fma_f32 v11, v230, v234, -v11
	v_add_f32_e32 v9, v9, v11
	v_mul_f32_e32 v11, v237, v241
	s_delay_alu instid0(VALU_DEP_1) | instskip(NEXT) | instid1(VALU_DEP_1)
	v_fma_f32 v11, v236, v240, -v11
	v_add_f32_e32 v9, v9, v11
	v_mul_f32_e32 v11, v239, v243
	s_delay_alu instid0(VALU_DEP_1) | instskip(NEXT) | instid1(VALU_DEP_1)
	v_fma_f32 v11, v238, v242, -v11
	v_add_f32_e32 v9, v9, v11
	v_mul_f32_e32 v11, v245, v249
	s_delay_alu instid0(VALU_DEP_1) | instskip(NEXT) | instid1(VALU_DEP_1)
	v_fma_f32 v11, v244, v248, -v11
	v_add_f32_e32 v9, v9, v11
	v_mul_f32_e32 v11, v247, v251
	s_delay_alu instid0(VALU_DEP_1) | instskip(NEXT) | instid1(VALU_DEP_1)
	v_fma_f32 v11, v246, v250, -v11
	v_add_f32_e32 v9, v9, v11
	s_set_vgpr_msb 4                        ;  msbs: dst=0 src0=0 src1=1 src2=0
	v_mul_f32_e32 v11, v253, v1 /*v257*/
	s_delay_alu instid0(VALU_DEP_1) | instskip(SKIP_1) | instid1(VALU_DEP_1)
	v_fma_f32 v11, v252, v0 /*v256*/, -v11
	s_set_vgpr_msb 0                        ;  msbs: dst=0 src0=0 src1=0 src2=0
	v_add_f32_e32 v9, v9, v11
	s_set_vgpr_msb 4                        ;  msbs: dst=0 src0=0 src1=1 src2=0
	v_mul_f32_e32 v11, v255, v3 /*v259*/
	s_delay_alu instid0(VALU_DEP_1) | instskip(SKIP_1) | instid1(VALU_DEP_1)
	v_fma_f32 v11, v254, v2 /*v258*/, -v11
	s_set_vgpr_msb 64                       ;  msbs: dst=1 src0=0 src1=0 src2=0
	v_add_f32_e32 v28 /*v284*/, v9, v11
	s_set_vgpr_msb 5                        ;  msbs: dst=0 src0=1 src1=1 src2=0
	v_mul_f32_e32 v9, v5 /*v261*/, v9 /*v265*/
	s_set_vgpr_msb 0x45                     ;  msbs: dst=1 src0=1 src1=1 src2=0
	s_delay_alu instid0(VALU_DEP_1) | instskip(SKIP_3) | instid1(VALU_DEP_1)
	v_fma_f32 v30 /*v286*/, v4 /*v260*/, v8 /*v264*/, -v9
	s_set_vgpr_msb 5                        ;  msbs: dst=0 src0=1 src1=1 src2=0
	v_mul_f32_e32 v9, v7 /*v263*/, v11 /*v267*/
	s_set_vgpr_msb 0x45                     ;  msbs: dst=1 src0=1 src1=1 src2=0
	v_fma_f32 v32 /*v288*/, v6 /*v262*/, v10 /*v266*/, -v9
	s_set_vgpr_msb 5                        ;  msbs: dst=0 src0=1 src1=1 src2=0
	v_pk_add_f32 v[140:141], v[28:29] /*v[284:285]*/, v[30:31] /*v[286:287]*/
	s_set_vgpr_msb 4                        ;  msbs: dst=0 src0=0 src1=1 src2=0
	s_delay_alu instid0(VALU_DEP_1) | instskip(SKIP_1) | instid1(VALU_DEP_1)
	v_pk_add_f32 v[140:141], v[140:141], v[32:33] /*v[288:289]*/
	s_set_vgpr_msb 0                        ;  msbs: dst=0 src0=0 src1=0 src2=0
	v_pk_add_f32 v[124:125], v[140:141], v[144:145]
	v_dual_mov_b32 v140, v127 :: v_dual_mov_b32 v141, v126
	s_delay_alu instid0(VALU_DEP_1) | instskip(SKIP_1) | instid1(VALU_DEP_1)
	v_pk_mul_f32 v[140:141], v[140:141], v[142:143] op_sel_hi:[1,0]
	s_set_vgpr_msb 4                        ;  msbs: dst=0 src0=0 src1=1 src2=0
	v_pk_fma_f32 v[142:143], v[126:127], v[14:15] /*v[270:271]*/, v[140:141] neg_lo:[0,0,1] neg_hi:[0,0,1]
	v_pk_fma_f32 v[126:127], v[126:127], v[14:15] /*v[270:271]*/, v[140:141] op_sel_hi:[1,0,1]
	s_delay_alu instid0(VALU_DEP_1) | instskip(SKIP_3) | instid1(VALU_DEP_2)
	v_mov_b32_e32 v143, v127
	s_wait_loadcnt_dscnt 0x202
	v_pk_mul_f32 v[126:127], v[128:129], v[16:17] /*v[272:273]*/ op_sel:[1,1] op_sel_hi:[0,1]
	s_set_vgpr_msb 0                        ;  msbs: dst=0 src0=0 src1=0 src2=0
	v_pk_add_f32 v[124:125], v[124:125], v[142:143]
	s_set_vgpr_msb 4                        ;  msbs: dst=0 src0=0 src1=1 src2=0
	s_delay_alu instid0(VALU_DEP_2)
	v_pk_fma_f32 v[140:141], v[128:129], v[16:17] /*v[272:273]*/, v[126:127] neg_lo:[0,0,1] neg_hi:[0,0,1]
	v_pk_fma_f32 v[126:127], v[128:129], v[16:17] /*v[272:273]*/, v[126:127] op_sel_hi:[1,0,1]
	v_mov_b32_e32 v126, v131
	s_set_vgpr_msb 1                        ;  msbs: dst=0 src0=1 src1=0 src2=0
	v_mov_b32_e32 v128, v19 /*v275*/
	s_set_vgpr_msb 0                        ;  msbs: dst=0 src0=0 src1=0 src2=0
	v_dual_mov_b32 v141, v127 :: v_dual_mov_b32 v127, v130
	s_delay_alu instid0(VALU_DEP_1) | instskip(NEXT) | instid1(VALU_DEP_2)
	v_pk_add_f32 v[124:125], v[124:125], v[140:141]
	v_pk_mul_f32 v[126:127], v[126:127], v[128:129] op_sel_hi:[1,0]
	s_set_vgpr_msb 4                        ;  msbs: dst=0 src0=0 src1=1 src2=0
	s_delay_alu instid0(VALU_DEP_1) | instskip(SKIP_1) | instid1(VALU_DEP_1)
	v_pk_fma_f32 v[128:129], v[130:131], v[18:19] /*v[274:275]*/, v[126:127] neg_lo:[0,0,1] neg_hi:[0,0,1]
	v_pk_fma_f32 v[126:127], v[130:131], v[18:19] /*v[274:275]*/, v[126:127] op_sel_hi:[1,0,1]
	v_mov_b32_e32 v129, v127
	s_wait_loadcnt_dscnt 0x101
	v_pk_mul_f32 v[126:127], v[132:133], v[20:21] /*v[276:277]*/ op_sel:[1,1] op_sel_hi:[0,1]
	s_set_vgpr_msb 0                        ;  msbs: dst=0 src0=0 src1=0 src2=0
	s_delay_alu instid0(VALU_DEP_2) | instskip(SKIP_1) | instid1(VALU_DEP_2)
	v_pk_add_f32 v[124:125], v[124:125], v[128:129]
	s_set_vgpr_msb 4                        ;  msbs: dst=0 src0=0 src1=1 src2=0
	v_pk_fma_f32 v[128:129], v[132:133], v[20:21] /*v[276:277]*/, v[126:127] neg_lo:[0,0,1] neg_hi:[0,0,1]
	v_pk_fma_f32 v[126:127], v[132:133], v[20:21] /*v[276:277]*/, v[126:127] op_sel_hi:[1,0,1]
	s_delay_alu instid0(VALU_DEP_1) | instskip(SKIP_2) | instid1(VALU_DEP_2)
	v_dual_mov_b32 v126, v135 :: v_dual_mov_b32 v129, v127
	v_mov_b32_e32 v127, v134
	s_set_vgpr_msb 0                        ;  msbs: dst=0 src0=0 src1=0 src2=0
	v_pk_add_f32 v[124:125], v[124:125], v[128:129]
	s_set_vgpr_msb 1                        ;  msbs: dst=0 src0=1 src1=0 src2=0
	v_mov_b32_e32 v128, v23 /*v279*/
	s_set_vgpr_msb 0                        ;  msbs: dst=0 src0=0 src1=0 src2=0
	s_delay_alu instid0(VALU_DEP_1) | instskip(SKIP_1) | instid1(VALU_DEP_1)
	v_pk_mul_f32 v[126:127], v[126:127], v[128:129] op_sel_hi:[1,0]
	s_set_vgpr_msb 4                        ;  msbs: dst=0 src0=0 src1=1 src2=0
	v_pk_fma_f32 v[128:129], v[134:135], v[22:23] /*v[278:279]*/, v[126:127] neg_lo:[0,0,1] neg_hi:[0,0,1]
	v_pk_fma_f32 v[126:127], v[134:135], v[22:23] /*v[278:279]*/, v[126:127] op_sel_hi:[1,0,1]
	s_delay_alu instid0(VALU_DEP_1) | instskip(SKIP_3) | instid1(VALU_DEP_2)
	v_mov_b32_e32 v129, v127
	s_wait_loadcnt_dscnt 0x0
	v_pk_mul_f32 v[126:127], v[136:137], v[24:25] /*v[280:281]*/ op_sel:[1,1] op_sel_hi:[0,1]
	s_set_vgpr_msb 0                        ;  msbs: dst=0 src0=0 src1=0 src2=0
	v_pk_add_f32 v[124:125], v[124:125], v[128:129]
	s_set_vgpr_msb 4                        ;  msbs: dst=0 src0=0 src1=1 src2=0
	s_delay_alu instid0(VALU_DEP_2) | instskip(SKIP_1) | instid1(VALU_DEP_1)
	v_pk_fma_f32 v[128:129], v[136:137], v[24:25] /*v[280:281]*/, v[126:127] neg_lo:[0,0,1] neg_hi:[0,0,1]
	v_pk_fma_f32 v[126:127], v[136:137], v[24:25] /*v[280:281]*/, v[126:127] op_sel_hi:[1,0,1]
	v_dual_mov_b32 v126, v139 :: v_dual_mov_b32 v129, v127
	v_mov_b32_e32 v127, v138
	s_set_vgpr_msb 0                        ;  msbs: dst=0 src0=0 src1=0 src2=0
	s_delay_alu instid0(VALU_DEP_2) | instskip(SKIP_3) | instid1(VALU_DEP_1)
	v_pk_add_f32 v[124:125], v[124:125], v[128:129]
	s_set_vgpr_msb 1                        ;  msbs: dst=0 src0=1 src1=0 src2=0
	v_mov_b32_e32 v128, v27 /*v283*/
	s_set_vgpr_msb 0                        ;  msbs: dst=0 src0=0 src1=0 src2=0
	v_pk_mul_f32 v[126:127], v[126:127], v[128:129] op_sel_hi:[1,0]
	s_set_vgpr_msb 4                        ;  msbs: dst=0 src0=0 src1=1 src2=0
	s_delay_alu instid0(VALU_DEP_1) | instskip(SKIP_1) | instid1(VALU_DEP_1)
	v_pk_fma_f32 v[128:129], v[138:139], v[26:27] /*v[282:283]*/, v[126:127] neg_lo:[0,0,1] neg_hi:[0,0,1]
	v_pk_fma_f32 v[126:127], v[138:139], v[26:27] /*v[282:283]*/, v[126:127] op_sel_hi:[1,0,1]
	v_mov_b32_e32 v129, v127
	scratch_load_b64 v[126:127], off, off offset:128
	s_set_vgpr_msb 0                        ;  msbs: dst=0 src0=0 src1=0 src2=0
	v_pk_add_f32 v[124:125], v[124:125], v[128:129]
	s_wait_loadcnt 0x0
	s_delay_alu instid0(VALU_DEP_1)
	v_pk_add_f32 v[124:125], v[126:127], v[124:125] neg_lo:[0,1] neg_hi:[0,1]
	scratch_store_b64 off, v[124:125], off offset:128
	s_wait_xcnt 0x0
	v_cmpx_lt_u32_e32 15, v0
	s_cbranch_execz .LBB124_349
; %bb.348:
	scratch_load_b64 v[124:125], off, off offset:120
	v_mov_b64_e32 v[126:127], 0
	scratch_store_b64 off, v[126:127], off offset:120
	s_wait_loadcnt 0x0
	ds_store_b64 v1, v[124:125]
.LBB124_349:
	s_wait_xcnt 0x0
	s_or_b32 exec_lo, exec_lo, s0
	v_mov_b32_e32 v7, 0
	s_wait_storecnt_dscnt 0x0
	s_barrier_signal -1
	s_barrier_wait -1
	ds_load_b128 v[124:127], v7 offset:624
	ds_load_b128 v[128:131], v7 offset:640
	;; [unrolled: 1-line block ×4, first 2 shown]
	s_clause 0x13
	scratch_load_b128 v[140:143], off, off offset:128
	scratch_load_b128 v[144:147], off, off offset:144
	;; [unrolled: 1-line block ×16, first 2 shown]
	s_set_vgpr_msb 64                       ;  msbs: dst=1 src0=0 src1=0 src2=0
	scratch_load_b128 v[0:3] /*v[256:259]*/, off, off offset:384
	scratch_load_b128 v[8:11] /*v[264:267]*/, off, off offset:400
	;; [unrolled: 1-line block ×3, first 2 shown]
	s_mov_b32 s0, exec_lo
	s_wait_loadcnt_dscnt 0x1203
	s_set_vgpr_msb 0                        ;  msbs: dst=0 src0=0 src1=0 src2=0
	v_mul_f32_e32 v9, v124, v141
	ds_load_b128 v[156:159], v7 offset:688
	ds_load_b128 v[164:167], v7 offset:704
	;; [unrolled: 1-line block ×4, first 2 shown]
	v_dual_fmac_f32 v9, v125, v140 :: v_dual_mul_f32 v11, v126, v143
	ds_load_b128 v[188:191], v7 offset:752
	ds_load_b128 v[196:199], v7 offset:768
	;; [unrolled: 1-line block ×4, first 2 shown]
	v_dual_add_f32 v9, 0, v9 :: v_dual_fmac_f32 v11, v127, v142
	ds_load_b128 v[220:223], v7 offset:816
	ds_load_b128 v[228:231], v7 offset:832
	;; [unrolled: 1-line block ×4, first 2 shown]
	s_wait_loadcnt_dscnt 0x110e
	v_dual_add_f32 v9, v9, v11 :: v_dual_mul_f32 v11, v128, v145
	ds_load_b128 v[252:255], v7 offset:880
	s_set_vgpr_msb 64                       ;  msbs: dst=1 src0=0 src1=0 src2=0
	ds_load_b128 v[4:7] /*v[260:263]*/, v7 offset:896
	ds_load_b128 v[12:15] /*v[268:271]*/, v7 offset:912
	s_clause 0x3
	scratch_load_b128 v[20:23] /*v[276:279]*/, off, off offset:432
	scratch_load_b128 v[24:27] /*v[280:283]*/, off, off offset:448
	;; [unrolled: 1-line block ×3, first 2 shown]
	scratch_load_b64 v[38:39] /*v[294:295]*/, off, off offset:480
	s_set_vgpr_msb 0                        ;  msbs: dst=0 src0=0 src1=0 src2=0
	v_fmac_f32_e32 v11, v129, v144
	s_delay_alu instid0(VALU_DEP_1) | instskip(SKIP_1) | instid1(VALU_DEP_1)
	v_add_f32_e32 v9, v9, v11
	v_mul_f32_e32 v11, v130, v147
	v_fmac_f32_e32 v11, v131, v146
	s_wait_loadcnt_dscnt 0x1410
	s_delay_alu instid0(VALU_DEP_1)
	v_dual_add_f32 v9, v9, v11 :: v_dual_mul_f32 v11, v132, v149
	s_wait_loadcnt_dscnt 0x400
	s_set_vgpr_msb 0x45                     ;  msbs: dst=1 src0=1 src1=1 src2=0
	v_dual_mul_f32 v35 /*v291*/, v6 /*v262*/, v11 /*v267*/ :: v_dual_mul_f32 v37 /*v293*/, v12 /*v268*/, v17 /*v273*/
	s_set_vgpr_msb 0                        ;  msbs: dst=0 src0=0 src1=0 src2=0
	v_fmac_f32_e32 v11, v133, v148
	s_set_vgpr_msb 0x45                     ;  msbs: dst=1 src0=1 src1=1 src2=0
	s_delay_alu instid0(VALU_DEP_2) | instskip(SKIP_1) | instid1(VALU_DEP_2)
	v_dual_fmac_f32 v35 /*v291*/, v7 /*v263*/, v10 /*v266*/ :: v_dual_fmac_f32 v37 /*v293*/, v13 /*v269*/, v16 /*v272*/
	s_set_vgpr_msb 0                        ;  msbs: dst=0 src0=0 src1=0 src2=0
	v_add_f32_e32 v9, v9, v11
	v_mul_f32_e32 v11, v134, v151
	s_delay_alu instid0(VALU_DEP_1) | instskip(NEXT) | instid1(VALU_DEP_1)
	v_fmac_f32_e32 v11, v135, v150
	v_dual_add_f32 v9, v9, v11 :: v_dual_mul_f32 v11, v136, v153
	s_delay_alu instid0(VALU_DEP_1) | instskip(NEXT) | instid1(VALU_DEP_1)
	v_fmac_f32_e32 v11, v137, v152
	v_add_f32_e32 v9, v9, v11
	v_mul_f32_e32 v11, v138, v155
	s_delay_alu instid0(VALU_DEP_1) | instskip(NEXT) | instid1(VALU_DEP_1)
	v_fmac_f32_e32 v11, v139, v154
	v_dual_add_f32 v9, v9, v11 :: v_dual_mul_f32 v11, v156, v161
	s_delay_alu instid0(VALU_DEP_1) | instskip(NEXT) | instid1(VALU_DEP_1)
	v_fmac_f32_e32 v11, v157, v160
	;; [unrolled: 7-line block ×13, first 2 shown]
	v_add_f32_e32 v9, v9, v11
	v_mul_f32_e32 v11, v246, v251
	s_delay_alu instid0(VALU_DEP_1) | instskip(NEXT) | instid1(VALU_DEP_1)
	v_fmac_f32_e32 v11, v247, v250
	v_add_f32_e32 v9, v9, v11
	s_set_vgpr_msb 4                        ;  msbs: dst=0 src0=0 src1=1 src2=0
	v_mul_f32_e32 v11, v252, v1 /*v257*/
	s_delay_alu instid0(VALU_DEP_1) | instskip(SKIP_1) | instid1(VALU_DEP_1)
	v_fmac_f32_e32 v11, v253, v0 /*v256*/
	s_set_vgpr_msb 0                        ;  msbs: dst=0 src0=0 src1=0 src2=0
	v_add_f32_e32 v9, v9, v11
	s_set_vgpr_msb 4                        ;  msbs: dst=0 src0=0 src1=1 src2=0
	v_mul_f32_e32 v11, v254, v3 /*v259*/
	s_delay_alu instid0(VALU_DEP_1) | instskip(SKIP_1) | instid1(VALU_DEP_1)
	v_fmac_f32_e32 v11, v255, v2 /*v258*/
	s_set_vgpr_msb 0                        ;  msbs: dst=0 src0=0 src1=0 src2=0
	v_add_f32_e32 v9, v9, v11
	s_set_vgpr_msb 5                        ;  msbs: dst=0 src0=1 src1=1 src2=0
	v_mul_f32_e32 v11, v4 /*v260*/, v9 /*v265*/
	s_delay_alu instid0(VALU_DEP_1) | instskip(SKIP_1) | instid1(VALU_DEP_1)
	v_fmac_f32_e32 v11, v5 /*v261*/, v8 /*v264*/
	s_set_vgpr_msb 64                       ;  msbs: dst=1 src0=0 src1=0 src2=0
	v_add_f32_e32 v33 /*v289*/, v9, v11
	s_set_vgpr_msb 0                        ;  msbs: dst=0 src0=0 src1=0 src2=0
	v_dual_mul_f32 v9, v125, v141 :: v_dual_mul_f32 v11, v127, v143
	s_set_vgpr_msb 1                        ;  msbs: dst=0 src0=1 src1=0 src2=0
	v_mov_b32_e32 v141, v14 /*v270*/
	s_set_vgpr_msb 0                        ;  msbs: dst=0 src0=0 src1=0 src2=0
	s_delay_alu instid0(VALU_DEP_2) | instskip(SKIP_2) | instid1(VALU_DEP_2)
	v_dual_fma_f32 v9, v124, v140, -v9 :: v_dual_fma_f32 v11, v126, v142, -v11
	s_set_vgpr_msb 1                        ;  msbs: dst=0 src0=1 src1=0 src2=0
	v_dual_mov_b32 v140, v15 /*v271*/ :: v_dual_mov_b32 v142, v19 /*v275*/
	v_add_f32_e32 v9, 0, v9
	s_set_vgpr_msb 0                        ;  msbs: dst=0 src0=0 src1=0 src2=0
	s_delay_alu instid0(VALU_DEP_2) | instskip(NEXT) | instid1(VALU_DEP_2)
	v_pk_mul_f32 v[140:141], v[140:141], v[142:143] op_sel_hi:[1,0]
	v_add_f32_e32 v9, v9, v11
	v_mul_f32_e32 v11, v129, v145
	s_set_vgpr_msb 5                        ;  msbs: dst=0 src0=1 src1=1 src2=0
	s_delay_alu instid0(VALU_DEP_3) | instskip(SKIP_2) | instid1(VALU_DEP_1)
	v_pk_fma_f32 v[142:143], v[14:15] /*v[270:271]*/, v[18:19] /*v[274:275]*/, v[140:141] neg_lo:[0,0,1] neg_hi:[0,0,1]
	v_pk_fma_f32 v[140:141], v[14:15] /*v[270:271]*/, v[18:19] /*v[274:275]*/, v[140:141] op_sel_hi:[1,0,1]
	s_set_vgpr_msb 0                        ;  msbs: dst=0 src0=0 src1=0 src2=0
	v_dual_fma_f32 v11, v128, v144, -v11 :: v_dual_mov_b32 v143, v141
	s_delay_alu instid0(VALU_DEP_1) | instskip(SKIP_1) | instid1(VALU_DEP_1)
	v_add_f32_e32 v9, v9, v11
	v_mul_f32_e32 v11, v131, v147
	v_fma_f32 v11, v130, v146, -v11
	s_delay_alu instid0(VALU_DEP_1) | instskip(SKIP_1) | instid1(VALU_DEP_1)
	v_add_f32_e32 v9, v9, v11
	v_mul_f32_e32 v11, v133, v149
	v_fma_f32 v11, v132, v148, -v11
	;; [unrolled: 4-line block ×4, first 2 shown]
	ds_load_b128 v[124:127], v7 offset:928
	ds_load_b128 v[128:131], v7 offset:944
	;; [unrolled: 1-line block ×3, first 2 shown]
	ds_load_b64 v[136:137], v7 offset:976
	v_add_f32_e32 v9, v9, v11
	v_mul_f32_e32 v11, v139, v155
	s_delay_alu instid0(VALU_DEP_1) | instskip(NEXT) | instid1(VALU_DEP_1)
	v_fma_f32 v11, v138, v154, -v11
	v_add_f32_e32 v9, v9, v11
	v_mul_f32_e32 v11, v157, v161
	s_wait_loadcnt_dscnt 0x303
	s_set_vgpr_msb 4                        ;  msbs: dst=0 src0=0 src1=1 src2=0
	v_pk_mul_f32 v[140:141], v[124:125], v[20:21] /*v[276:277]*/ op_sel:[1,1] op_sel_hi:[0,1]
	s_set_vgpr_msb 0                        ;  msbs: dst=0 src0=0 src1=0 src2=0
	v_fma_f32 v11, v156, v160, -v11
	s_delay_alu instid0(VALU_DEP_1) | instskip(SKIP_1) | instid1(VALU_DEP_1)
	v_add_f32_e32 v9, v9, v11
	v_mul_f32_e32 v11, v159, v163
	v_fma_f32 v11, v158, v162, -v11
	s_delay_alu instid0(VALU_DEP_1) | instskip(SKIP_1) | instid1(VALU_DEP_1)
	v_add_f32_e32 v9, v9, v11
	v_mul_f32_e32 v11, v165, v169
	;; [unrolled: 4-line block ×23, first 2 shown]
	v_fma_f32 v11, v246, v250, -v11
	s_delay_alu instid0(VALU_DEP_1) | instskip(SKIP_2) | instid1(VALU_DEP_1)
	v_add_f32_e32 v9, v9, v11
	s_set_vgpr_msb 4                        ;  msbs: dst=0 src0=0 src1=1 src2=0
	v_mul_f32_e32 v11, v253, v1 /*v257*/
	v_fma_f32 v11, v252, v0 /*v256*/, -v11
	s_set_vgpr_msb 0                        ;  msbs: dst=0 src0=0 src1=0 src2=0
	s_delay_alu instid0(VALU_DEP_1) | instskip(SKIP_2) | instid1(VALU_DEP_1)
	v_add_f32_e32 v9, v9, v11
	s_set_vgpr_msb 4                        ;  msbs: dst=0 src0=0 src1=1 src2=0
	v_mul_f32_e32 v11, v255, v3 /*v259*/
	v_fma_f32 v11, v254, v2 /*v258*/, -v11
	s_set_vgpr_msb 0                        ;  msbs: dst=0 src0=0 src1=0 src2=0
	s_delay_alu instid0(VALU_DEP_1) | instskip(SKIP_2) | instid1(VALU_DEP_1)
	v_add_f32_e32 v9, v9, v11
	s_set_vgpr_msb 5                        ;  msbs: dst=0 src0=1 src1=1 src2=0
	v_mul_f32_e32 v11, v5 /*v261*/, v9 /*v265*/
	v_fma_f32 v11, v4 /*v260*/, v8 /*v264*/, -v11
	s_set_vgpr_msb 64                       ;  msbs: dst=1 src0=0 src1=0 src2=0
	s_delay_alu instid0(VALU_DEP_1) | instskip(SKIP_3) | instid1(VALU_DEP_1)
	v_add_f32_e32 v32 /*v288*/, v9, v11
	s_set_vgpr_msb 5                        ;  msbs: dst=0 src0=1 src1=1 src2=0
	v_mul_f32_e32 v9, v7 /*v263*/, v11 /*v267*/
	s_set_vgpr_msb 0x45                     ;  msbs: dst=1 src0=1 src1=1 src2=0
	v_fma_f32 v34 /*v290*/, v6 /*v262*/, v10 /*v266*/, -v9
	s_set_vgpr_msb 5                        ;  msbs: dst=0 src0=1 src1=1 src2=0
	v_mul_f32_e32 v9, v13 /*v269*/, v17 /*v273*/
	s_set_vgpr_msb 0x45                     ;  msbs: dst=1 src0=1 src1=1 src2=0
	s_delay_alu instid0(VALU_DEP_1) | instskip(SKIP_3) | instid1(VALU_DEP_1)
	v_fma_f32 v36 /*v292*/, v12 /*v268*/, v16 /*v272*/, -v9
	s_set_vgpr_msb 5                        ;  msbs: dst=0 src0=1 src1=1 src2=0
	v_pk_add_f32 v[138:139], v[32:33] /*v[288:289]*/, v[34:35] /*v[290:291]*/
	s_set_vgpr_msb 4                        ;  msbs: dst=0 src0=0 src1=1 src2=0
	v_pk_add_f32 v[138:139], v[138:139], v[36:37] /*v[292:293]*/
	s_set_vgpr_msb 0                        ;  msbs: dst=0 src0=0 src1=0 src2=0
	s_delay_alu instid0(VALU_DEP_1)
	v_pk_add_f32 v[138:139], v[138:139], v[142:143]
	s_set_vgpr_msb 4                        ;  msbs: dst=0 src0=0 src1=1 src2=0
	v_pk_fma_f32 v[142:143], v[124:125], v[20:21] /*v[276:277]*/, v[140:141] neg_lo:[0,0,1] neg_hi:[0,0,1]
	v_pk_fma_f32 v[124:125], v[124:125], v[20:21] /*v[276:277]*/, v[140:141] op_sel_hi:[1,0,1]
	s_set_vgpr_msb 1                        ;  msbs: dst=0 src0=1 src1=0 src2=0
	v_mov_b32_e32 v140, v23 /*v279*/
	s_set_vgpr_msb 0                        ;  msbs: dst=0 src0=0 src1=0 src2=0
	s_delay_alu instid0(VALU_DEP_2) | instskip(NEXT) | instid1(VALU_DEP_1)
	v_mov_b32_e32 v143, v125
	v_pk_add_f32 v[124:125], v[138:139], v[142:143]
	v_dual_mov_b32 v138, v127 :: v_dual_mov_b32 v139, v126
	s_delay_alu instid0(VALU_DEP_1) | instskip(SKIP_1) | instid1(VALU_DEP_1)
	v_pk_mul_f32 v[138:139], v[138:139], v[140:141] op_sel_hi:[1,0]
	s_set_vgpr_msb 4                        ;  msbs: dst=0 src0=0 src1=1 src2=0
	v_pk_fma_f32 v[140:141], v[126:127], v[22:23] /*v[278:279]*/, v[138:139] neg_lo:[0,0,1] neg_hi:[0,0,1]
	v_pk_fma_f32 v[126:127], v[126:127], v[22:23] /*v[278:279]*/, v[138:139] op_sel_hi:[1,0,1]
	s_delay_alu instid0(VALU_DEP_1) | instskip(SKIP_3) | instid1(VALU_DEP_2)
	v_mov_b32_e32 v141, v127
	s_wait_loadcnt_dscnt 0x202
	v_pk_mul_f32 v[126:127], v[128:129], v[24:25] /*v[280:281]*/ op_sel:[1,1] op_sel_hi:[0,1]
	s_set_vgpr_msb 0                        ;  msbs: dst=0 src0=0 src1=0 src2=0
	v_pk_add_f32 v[124:125], v[124:125], v[140:141]
	s_set_vgpr_msb 4                        ;  msbs: dst=0 src0=0 src1=1 src2=0
	s_delay_alu instid0(VALU_DEP_2)
	v_pk_fma_f32 v[138:139], v[128:129], v[24:25] /*v[280:281]*/, v[126:127] neg_lo:[0,0,1] neg_hi:[0,0,1]
	v_pk_fma_f32 v[126:127], v[128:129], v[24:25] /*v[280:281]*/, v[126:127] op_sel_hi:[1,0,1]
	v_mov_b32_e32 v126, v131
	s_set_vgpr_msb 1                        ;  msbs: dst=0 src0=1 src1=0 src2=0
	v_mov_b32_e32 v128, v27 /*v283*/
	s_set_vgpr_msb 0                        ;  msbs: dst=0 src0=0 src1=0 src2=0
	v_dual_mov_b32 v139, v127 :: v_dual_mov_b32 v127, v130
	s_delay_alu instid0(VALU_DEP_1) | instskip(NEXT) | instid1(VALU_DEP_2)
	v_pk_add_f32 v[124:125], v[124:125], v[138:139]
	v_pk_mul_f32 v[126:127], v[126:127], v[128:129] op_sel_hi:[1,0]
	s_set_vgpr_msb 4                        ;  msbs: dst=0 src0=0 src1=1 src2=0
	s_delay_alu instid0(VALU_DEP_1) | instskip(SKIP_1) | instid1(VALU_DEP_1)
	v_pk_fma_f32 v[128:129], v[130:131], v[26:27] /*v[282:283]*/, v[126:127] neg_lo:[0,0,1] neg_hi:[0,0,1]
	v_pk_fma_f32 v[126:127], v[130:131], v[26:27] /*v[282:283]*/, v[126:127] op_sel_hi:[1,0,1]
	v_mov_b32_e32 v129, v127
	s_wait_loadcnt_dscnt 0x101
	v_pk_mul_f32 v[126:127], v[132:133], v[28:29] /*v[284:285]*/ op_sel:[1,1] op_sel_hi:[0,1]
	s_set_vgpr_msb 0                        ;  msbs: dst=0 src0=0 src1=0 src2=0
	s_delay_alu instid0(VALU_DEP_2) | instskip(SKIP_1) | instid1(VALU_DEP_2)
	v_pk_add_f32 v[124:125], v[124:125], v[128:129]
	s_set_vgpr_msb 4                        ;  msbs: dst=0 src0=0 src1=1 src2=0
	v_pk_fma_f32 v[128:129], v[132:133], v[28:29] /*v[284:285]*/, v[126:127] neg_lo:[0,0,1] neg_hi:[0,0,1]
	v_pk_fma_f32 v[126:127], v[132:133], v[28:29] /*v[284:285]*/, v[126:127] op_sel_hi:[1,0,1]
	s_delay_alu instid0(VALU_DEP_1) | instskip(SKIP_2) | instid1(VALU_DEP_2)
	v_dual_mov_b32 v126, v135 :: v_dual_mov_b32 v129, v127
	v_mov_b32_e32 v127, v134
	s_set_vgpr_msb 0                        ;  msbs: dst=0 src0=0 src1=0 src2=0
	v_pk_add_f32 v[124:125], v[124:125], v[128:129]
	s_set_vgpr_msb 1                        ;  msbs: dst=0 src0=1 src1=0 src2=0
	v_mov_b32_e32 v128, v31 /*v287*/
	s_set_vgpr_msb 0                        ;  msbs: dst=0 src0=0 src1=0 src2=0
	s_delay_alu instid0(VALU_DEP_1) | instskip(SKIP_1) | instid1(VALU_DEP_1)
	v_pk_mul_f32 v[126:127], v[126:127], v[128:129] op_sel_hi:[1,0]
	s_set_vgpr_msb 4                        ;  msbs: dst=0 src0=0 src1=1 src2=0
	v_pk_fma_f32 v[128:129], v[134:135], v[30:31] /*v[286:287]*/, v[126:127] neg_lo:[0,0,1] neg_hi:[0,0,1]
	v_pk_fma_f32 v[126:127], v[134:135], v[30:31] /*v[286:287]*/, v[126:127] op_sel_hi:[1,0,1]
	s_delay_alu instid0(VALU_DEP_1) | instskip(SKIP_3) | instid1(VALU_DEP_2)
	v_mov_b32_e32 v129, v127
	s_wait_loadcnt_dscnt 0x0
	v_pk_mul_f32 v[126:127], v[136:137], v[38:39] /*v[294:295]*/ op_sel:[1,1] op_sel_hi:[0,1]
	s_set_vgpr_msb 0                        ;  msbs: dst=0 src0=0 src1=0 src2=0
	v_pk_add_f32 v[124:125], v[124:125], v[128:129]
	s_set_vgpr_msb 4                        ;  msbs: dst=0 src0=0 src1=1 src2=0
	s_delay_alu instid0(VALU_DEP_2) | instskip(SKIP_1) | instid1(VALU_DEP_1)
	v_pk_fma_f32 v[128:129], v[136:137], v[38:39] /*v[294:295]*/, v[126:127] neg_lo:[0,0,1] neg_hi:[0,0,1]
	v_pk_fma_f32 v[126:127], v[136:137], v[38:39] /*v[294:295]*/, v[126:127] op_sel_hi:[1,0,1]
	v_mov_b32_e32 v129, v127
	scratch_load_b64 v[126:127], off, off offset:120
	s_set_vgpr_msb 0                        ;  msbs: dst=0 src0=0 src1=0 src2=0
	v_pk_add_f32 v[124:125], v[124:125], v[128:129]
	s_wait_loadcnt 0x0
	s_delay_alu instid0(VALU_DEP_1)
	v_pk_add_f32 v[124:125], v[126:127], v[124:125] neg_lo:[0,1] neg_hi:[0,1]
	scratch_store_b64 off, v[124:125], off offset:120
	s_wait_xcnt 0x0
	v_cmpx_lt_u32_e32 14, v0
	s_cbranch_execz .LBB124_351
; %bb.350:
	scratch_load_b64 v[124:125], off, off offset:112
	v_mov_b64_e32 v[126:127], 0
	scratch_store_b64 off, v[126:127], off offset:112
	s_wait_loadcnt 0x0
	ds_store_b64 v1, v[124:125]
.LBB124_351:
	s_wait_xcnt 0x0
	s_or_b32 exec_lo, exec_lo, s0
	s_wait_storecnt_dscnt 0x0
	s_barrier_signal -1
	s_barrier_wait -1
	s_clause 0xf
	scratch_load_b128 v[128:131], off, off offset:120
	scratch_load_b128 v[136:139], off, off offset:136
	;; [unrolled: 1-line block ×16, first 2 shown]
	ds_load_2addr_b64 v[124:127], v7 offset0:77 offset1:78
	ds_load_2addr_b64 v[132:135], v7 offset0:79 offset1:80
	s_set_vgpr_msb 64                       ;  msbs: dst=1 src0=0 src1=0 src2=0
	s_clause 0x1
	scratch_load_b128 v[0:3] /*v[256:259]*/, off, off offset:376
	scratch_load_b128 v[8:11] /*v[264:267]*/, off, off offset:392
	s_set_vgpr_msb 0                        ;  msbs: dst=0 src0=0 src1=0 src2=0
	ds_load_2addr_b64 v[140:143], v7 offset0:81 offset1:82
	ds_load_2addr_b64 v[148:151], v7 offset0:83 offset1:84
	;; [unrolled: 1-line block ×15, first 2 shown]
	s_set_vgpr_msb 64                       ;  msbs: dst=1 src0=0 src1=0 src2=0
	ds_load_2addr_b64 v[4:7] /*v[260:263]*/, v7 offset0:111 offset1:112
	ds_load_2addr_b64 v[12:15] /*v[268:271]*/, v7 offset0:113 offset1:114
	s_clause 0x4
	scratch_load_b128 v[16:19] /*v[272:275]*/, off, off offset:408
	scratch_load_b128 v[20:23] /*v[276:279]*/, off, off offset:424
	;; [unrolled: 1-line block ×5, first 2 shown]
	s_mov_b32 s0, exec_lo
	s_wait_loadcnt_dscnt 0x1612
	s_set_vgpr_msb 0                        ;  msbs: dst=0 src0=0 src1=0 src2=0
	v_dual_mul_f32 v9, v124, v129 :: v_dual_mul_f32 v11, v126, v131
	s_delay_alu instid0(VALU_DEP_1) | instskip(NEXT) | instid1(VALU_DEP_1)
	v_dual_fmac_f32 v9, v125, v128 :: v_dual_fmac_f32 v11, v127, v130
	v_add_f32_e32 v9, 0, v9
	s_wait_loadcnt_dscnt 0x1511
	s_delay_alu instid0(VALU_DEP_1) | instskip(NEXT) | instid1(VALU_DEP_1)
	v_dual_add_f32 v9, v9, v11 :: v_dual_mul_f32 v11, v132, v137
	v_fmac_f32_e32 v11, v133, v136
	s_delay_alu instid0(VALU_DEP_1) | instskip(SKIP_1) | instid1(VALU_DEP_1)
	v_add_f32_e32 v9, v9, v11
	v_mul_f32_e32 v11, v134, v139
	v_fmac_f32_e32 v11, v135, v138
	s_wait_loadcnt_dscnt 0x1410
	s_delay_alu instid0(VALU_DEP_1)
	v_dual_add_f32 v9, v9, v11 :: v_dual_mul_f32 v11, v140, v145
	s_wait_loadcnt_dscnt 0x400
	s_set_vgpr_msb 0x45                     ;  msbs: dst=1 src0=1 src1=1 src2=0
	v_dual_mul_f32 v39 /*v295*/, v12 /*v268*/, v17 /*v273*/ :: v_dual_mul_f32 v41 /*v297*/, v14 /*v270*/, v19 /*v275*/
	s_set_vgpr_msb 0                        ;  msbs: dst=0 src0=0 src1=0 src2=0
	v_fmac_f32_e32 v11, v141, v144
	s_set_vgpr_msb 0x45                     ;  msbs: dst=1 src0=1 src1=1 src2=0
	s_delay_alu instid0(VALU_DEP_2) | instskip(SKIP_1) | instid1(VALU_DEP_2)
	v_dual_fmac_f32 v39 /*v295*/, v13 /*v269*/, v16 /*v272*/ :: v_dual_fmac_f32 v41 /*v297*/, v15 /*v271*/, v18 /*v274*/
	s_set_vgpr_msb 0                        ;  msbs: dst=0 src0=0 src1=0 src2=0
	v_add_f32_e32 v9, v9, v11
	v_mul_f32_e32 v11, v142, v147
	s_delay_alu instid0(VALU_DEP_1) | instskip(NEXT) | instid1(VALU_DEP_1)
	v_fmac_f32_e32 v11, v143, v146
	v_dual_add_f32 v9, v9, v11 :: v_dual_mul_f32 v11, v148, v153
	s_delay_alu instid0(VALU_DEP_1) | instskip(NEXT) | instid1(VALU_DEP_1)
	v_fmac_f32_e32 v11, v149, v152
	v_add_f32_e32 v9, v9, v11
	v_mul_f32_e32 v11, v150, v155
	s_delay_alu instid0(VALU_DEP_1) | instskip(NEXT) | instid1(VALU_DEP_1)
	v_fmac_f32_e32 v11, v151, v154
	v_dual_add_f32 v9, v9, v11 :: v_dual_mul_f32 v11, v156, v161
	s_delay_alu instid0(VALU_DEP_1) | instskip(NEXT) | instid1(VALU_DEP_1)
	v_fmac_f32_e32 v11, v157, v160
	;; [unrolled: 7-line block ×13, first 2 shown]
	v_add_f32_e32 v9, v9, v11
	v_mul_f32_e32 v11, v246, v251
	s_delay_alu instid0(VALU_DEP_1) | instskip(NEXT) | instid1(VALU_DEP_1)
	v_fmac_f32_e32 v11, v247, v250
	v_add_f32_e32 v9, v9, v11
	s_set_vgpr_msb 4                        ;  msbs: dst=0 src0=0 src1=1 src2=0
	v_mul_f32_e32 v11, v252, v1 /*v257*/
	s_delay_alu instid0(VALU_DEP_1) | instskip(SKIP_1) | instid1(VALU_DEP_1)
	v_fmac_f32_e32 v11, v253, v0 /*v256*/
	s_set_vgpr_msb 0                        ;  msbs: dst=0 src0=0 src1=0 src2=0
	v_add_f32_e32 v9, v9, v11
	s_set_vgpr_msb 4                        ;  msbs: dst=0 src0=0 src1=1 src2=0
	v_mul_f32_e32 v11, v254, v3 /*v259*/
	s_delay_alu instid0(VALU_DEP_1) | instskip(SKIP_1) | instid1(VALU_DEP_1)
	v_fmac_f32_e32 v11, v255, v2 /*v258*/
	s_set_vgpr_msb 0                        ;  msbs: dst=0 src0=0 src1=0 src2=0
	v_add_f32_e32 v9, v9, v11
	s_set_vgpr_msb 5                        ;  msbs: dst=0 src0=1 src1=1 src2=0
	v_mul_f32_e32 v11, v4 /*v260*/, v9 /*v265*/
	s_delay_alu instid0(VALU_DEP_1) | instskip(SKIP_1) | instid1(VALU_DEP_1)
	v_fmac_f32_e32 v11, v5 /*v261*/, v8 /*v264*/
	s_set_vgpr_msb 0                        ;  msbs: dst=0 src0=0 src1=0 src2=0
	v_add_f32_e32 v9, v9, v11
	s_set_vgpr_msb 5                        ;  msbs: dst=0 src0=1 src1=1 src2=0
	v_mul_f32_e32 v11, v6 /*v262*/, v11 /*v267*/
	s_delay_alu instid0(VALU_DEP_1) | instskip(SKIP_1) | instid1(VALU_DEP_1)
	v_fmac_f32_e32 v11, v7 /*v263*/, v10 /*v266*/
	s_set_vgpr_msb 64                       ;  msbs: dst=1 src0=0 src1=0 src2=0
	v_add_f32_e32 v37 /*v293*/, v9, v11
	s_set_vgpr_msb 0                        ;  msbs: dst=0 src0=0 src1=0 src2=0
	v_dual_mul_f32 v9, v125, v129 :: v_dual_mul_f32 v11, v127, v131
	s_delay_alu instid0(VALU_DEP_1) | instskip(NEXT) | instid1(VALU_DEP_1)
	v_dual_fma_f32 v9, v124, v128, -v9 :: v_dual_fma_f32 v11, v126, v130, -v11
	v_add_f32_e32 v9, 0, v9
	s_delay_alu instid0(VALU_DEP_1) | instskip(SKIP_1) | instid1(VALU_DEP_1)
	v_add_f32_e32 v9, v9, v11
	v_mul_f32_e32 v11, v133, v137
	v_fma_f32 v11, v132, v136, -v11
	s_delay_alu instid0(VALU_DEP_1) | instskip(SKIP_1) | instid1(VALU_DEP_1)
	v_add_f32_e32 v9, v9, v11
	v_mul_f32_e32 v11, v135, v139
	v_fma_f32 v11, v134, v138, -v11
	ds_load_2addr_b64 v[124:127], v7 offset0:115 offset1:116
	ds_load_2addr_b64 v[128:131], v7 offset0:117 offset1:118
	;; [unrolled: 1-line block ×4, first 2 shown]
	v_add_f32_e32 v9, v9, v11
	v_mul_f32_e32 v11, v141, v145
	s_delay_alu instid0(VALU_DEP_1) | instskip(NEXT) | instid1(VALU_DEP_1)
	v_fma_f32 v11, v140, v144, -v11
	v_add_f32_e32 v9, v9, v11
	v_mul_f32_e32 v11, v143, v147
	s_delay_alu instid0(VALU_DEP_1)
	v_fma_f32 v11, v142, v146, -v11
	s_wait_loadcnt_dscnt 0x303
	s_set_vgpr_msb 4                        ;  msbs: dst=0 src0=0 src1=1 src2=0
	v_pk_mul_f32 v[142:143], v[124:125], v[20:21] /*v[276:277]*/ op_sel:[1,1] op_sel_hi:[0,1]
	s_set_vgpr_msb 0                        ;  msbs: dst=0 src0=0 src1=0 src2=0
	v_add_f32_e32 v9, v9, v11
	v_mul_f32_e32 v11, v149, v153
	s_set_vgpr_msb 4                        ;  msbs: dst=0 src0=0 src1=1 src2=0
	v_pk_fma_f32 v[144:145], v[124:125], v[20:21] /*v[276:277]*/, v[142:143] neg_lo:[0,0,1] neg_hi:[0,0,1]
	v_pk_fma_f32 v[124:125], v[124:125], v[20:21] /*v[276:277]*/, v[142:143] op_sel_hi:[1,0,1]
	s_set_vgpr_msb 1                        ;  msbs: dst=0 src0=1 src1=0 src2=0
	v_mov_b32_e32 v142, v23 /*v279*/
	s_set_vgpr_msb 0                        ;  msbs: dst=0 src0=0 src1=0 src2=0
	s_delay_alu instid0(VALU_DEP_2) | instskip(NEXT) | instid1(VALU_DEP_1)
	v_dual_fma_f32 v11, v148, v152, -v11 :: v_dual_mov_b32 v145, v125
	v_add_f32_e32 v9, v9, v11
	v_mul_f32_e32 v11, v151, v155
	s_delay_alu instid0(VALU_DEP_1) | instskip(NEXT) | instid1(VALU_DEP_1)
	v_fma_f32 v11, v150, v154, -v11
	v_add_f32_e32 v9, v9, v11
	v_mul_f32_e32 v11, v157, v161
	s_delay_alu instid0(VALU_DEP_1) | instskip(NEXT) | instid1(VALU_DEP_1)
	v_fma_f32 v11, v156, v160, -v11
	;; [unrolled: 4-line block ×25, first 2 shown]
	v_add_f32_e32 v9, v9, v11
	s_set_vgpr_msb 4                        ;  msbs: dst=0 src0=0 src1=1 src2=0
	v_mul_f32_e32 v11, v253, v1 /*v257*/
	s_delay_alu instid0(VALU_DEP_1) | instskip(SKIP_1) | instid1(VALU_DEP_1)
	v_fma_f32 v11, v252, v0 /*v256*/, -v11
	s_set_vgpr_msb 0                        ;  msbs: dst=0 src0=0 src1=0 src2=0
	v_add_f32_e32 v9, v9, v11
	s_set_vgpr_msb 4                        ;  msbs: dst=0 src0=0 src1=1 src2=0
	v_mul_f32_e32 v11, v255, v3 /*v259*/
	s_delay_alu instid0(VALU_DEP_1) | instskip(SKIP_1) | instid1(VALU_DEP_1)
	v_fma_f32 v11, v254, v2 /*v258*/, -v11
	s_set_vgpr_msb 0                        ;  msbs: dst=0 src0=0 src1=0 src2=0
	v_add_f32_e32 v9, v9, v11
	s_set_vgpr_msb 5                        ;  msbs: dst=0 src0=1 src1=1 src2=0
	v_mul_f32_e32 v11, v5 /*v261*/, v9 /*v265*/
	s_delay_alu instid0(VALU_DEP_1) | instskip(SKIP_1) | instid1(VALU_DEP_1)
	v_fma_f32 v11, v4 /*v260*/, v8 /*v264*/, -v11
	s_set_vgpr_msb 0                        ;  msbs: dst=0 src0=0 src1=0 src2=0
	v_add_f32_e32 v9, v9, v11
	s_set_vgpr_msb 5                        ;  msbs: dst=0 src0=1 src1=1 src2=0
	v_mul_f32_e32 v11, v7 /*v263*/, v11 /*v267*/
	s_delay_alu instid0(VALU_DEP_1) | instskip(SKIP_1) | instid1(VALU_DEP_1)
	v_fma_f32 v11, v6 /*v262*/, v10 /*v266*/, -v11
	s_set_vgpr_msb 64                       ;  msbs: dst=1 src0=0 src1=0 src2=0
	v_add_f32_e32 v36 /*v292*/, v9, v11
	s_set_vgpr_msb 5                        ;  msbs: dst=0 src0=1 src1=1 src2=0
	v_mul_f32_e32 v9, v13 /*v269*/, v17 /*v273*/
	s_set_vgpr_msb 0x45                     ;  msbs: dst=1 src0=1 src1=1 src2=0
	s_delay_alu instid0(VALU_DEP_1) | instskip(SKIP_3) | instid1(VALU_DEP_1)
	v_fma_f32 v38 /*v294*/, v12 /*v268*/, v16 /*v272*/, -v9
	s_set_vgpr_msb 5                        ;  msbs: dst=0 src0=1 src1=1 src2=0
	v_mul_f32_e32 v9, v15 /*v271*/, v19 /*v275*/
	s_set_vgpr_msb 0x45                     ;  msbs: dst=1 src0=1 src1=1 src2=0
	v_fma_f32 v40 /*v296*/, v14 /*v270*/, v18 /*v274*/, -v9
	s_set_vgpr_msb 5                        ;  msbs: dst=0 src0=1 src1=1 src2=0
	v_pk_add_f32 v[140:141], v[36:37] /*v[292:293]*/, v[38:39] /*v[294:295]*/
	s_set_vgpr_msb 4                        ;  msbs: dst=0 src0=0 src1=1 src2=0
	s_delay_alu instid0(VALU_DEP_1) | instskip(SKIP_1) | instid1(VALU_DEP_1)
	v_pk_add_f32 v[140:141], v[140:141], v[40:41] /*v[296:297]*/
	s_set_vgpr_msb 0                        ;  msbs: dst=0 src0=0 src1=0 src2=0
	v_pk_add_f32 v[124:125], v[140:141], v[144:145]
	v_dual_mov_b32 v140, v127 :: v_dual_mov_b32 v141, v126
	s_delay_alu instid0(VALU_DEP_1) | instskip(SKIP_1) | instid1(VALU_DEP_1)
	v_pk_mul_f32 v[140:141], v[140:141], v[142:143] op_sel_hi:[1,0]
	s_set_vgpr_msb 4                        ;  msbs: dst=0 src0=0 src1=1 src2=0
	v_pk_fma_f32 v[142:143], v[126:127], v[22:23] /*v[278:279]*/, v[140:141] neg_lo:[0,0,1] neg_hi:[0,0,1]
	v_pk_fma_f32 v[126:127], v[126:127], v[22:23] /*v[278:279]*/, v[140:141] op_sel_hi:[1,0,1]
	s_delay_alu instid0(VALU_DEP_1) | instskip(SKIP_3) | instid1(VALU_DEP_2)
	v_mov_b32_e32 v143, v127
	s_wait_loadcnt_dscnt 0x202
	v_pk_mul_f32 v[126:127], v[128:129], v[24:25] /*v[280:281]*/ op_sel:[1,1] op_sel_hi:[0,1]
	s_set_vgpr_msb 0                        ;  msbs: dst=0 src0=0 src1=0 src2=0
	v_pk_add_f32 v[124:125], v[124:125], v[142:143]
	s_set_vgpr_msb 4                        ;  msbs: dst=0 src0=0 src1=1 src2=0
	s_delay_alu instid0(VALU_DEP_2)
	v_pk_fma_f32 v[140:141], v[128:129], v[24:25] /*v[280:281]*/, v[126:127] neg_lo:[0,0,1] neg_hi:[0,0,1]
	v_pk_fma_f32 v[126:127], v[128:129], v[24:25] /*v[280:281]*/, v[126:127] op_sel_hi:[1,0,1]
	v_mov_b32_e32 v126, v131
	s_set_vgpr_msb 1                        ;  msbs: dst=0 src0=1 src1=0 src2=0
	v_mov_b32_e32 v128, v27 /*v283*/
	s_set_vgpr_msb 0                        ;  msbs: dst=0 src0=0 src1=0 src2=0
	v_dual_mov_b32 v141, v127 :: v_dual_mov_b32 v127, v130
	s_delay_alu instid0(VALU_DEP_1) | instskip(NEXT) | instid1(VALU_DEP_2)
	v_pk_add_f32 v[124:125], v[124:125], v[140:141]
	v_pk_mul_f32 v[126:127], v[126:127], v[128:129] op_sel_hi:[1,0]
	s_set_vgpr_msb 4                        ;  msbs: dst=0 src0=0 src1=1 src2=0
	s_delay_alu instid0(VALU_DEP_1) | instskip(SKIP_1) | instid1(VALU_DEP_1)
	v_pk_fma_f32 v[128:129], v[130:131], v[26:27] /*v[282:283]*/, v[126:127] neg_lo:[0,0,1] neg_hi:[0,0,1]
	v_pk_fma_f32 v[126:127], v[130:131], v[26:27] /*v[282:283]*/, v[126:127] op_sel_hi:[1,0,1]
	v_mov_b32_e32 v129, v127
	s_wait_loadcnt_dscnt 0x101
	v_pk_mul_f32 v[126:127], v[132:133], v[28:29] /*v[284:285]*/ op_sel:[1,1] op_sel_hi:[0,1]
	s_set_vgpr_msb 0                        ;  msbs: dst=0 src0=0 src1=0 src2=0
	s_delay_alu instid0(VALU_DEP_2) | instskip(SKIP_1) | instid1(VALU_DEP_2)
	v_pk_add_f32 v[124:125], v[124:125], v[128:129]
	s_set_vgpr_msb 4                        ;  msbs: dst=0 src0=0 src1=1 src2=0
	v_pk_fma_f32 v[128:129], v[132:133], v[28:29] /*v[284:285]*/, v[126:127] neg_lo:[0,0,1] neg_hi:[0,0,1]
	v_pk_fma_f32 v[126:127], v[132:133], v[28:29] /*v[284:285]*/, v[126:127] op_sel_hi:[1,0,1]
	s_delay_alu instid0(VALU_DEP_1) | instskip(SKIP_2) | instid1(VALU_DEP_2)
	v_dual_mov_b32 v126, v135 :: v_dual_mov_b32 v129, v127
	v_mov_b32_e32 v127, v134
	s_set_vgpr_msb 0                        ;  msbs: dst=0 src0=0 src1=0 src2=0
	v_pk_add_f32 v[124:125], v[124:125], v[128:129]
	s_set_vgpr_msb 1                        ;  msbs: dst=0 src0=1 src1=0 src2=0
	v_mov_b32_e32 v128, v31 /*v287*/
	s_set_vgpr_msb 0                        ;  msbs: dst=0 src0=0 src1=0 src2=0
	s_delay_alu instid0(VALU_DEP_1) | instskip(SKIP_1) | instid1(VALU_DEP_1)
	v_pk_mul_f32 v[126:127], v[126:127], v[128:129] op_sel_hi:[1,0]
	s_set_vgpr_msb 4                        ;  msbs: dst=0 src0=0 src1=1 src2=0
	v_pk_fma_f32 v[128:129], v[134:135], v[30:31] /*v[286:287]*/, v[126:127] neg_lo:[0,0,1] neg_hi:[0,0,1]
	v_pk_fma_f32 v[126:127], v[134:135], v[30:31] /*v[286:287]*/, v[126:127] op_sel_hi:[1,0,1]
	s_delay_alu instid0(VALU_DEP_1) | instskip(SKIP_3) | instid1(VALU_DEP_2)
	v_mov_b32_e32 v129, v127
	s_wait_loadcnt_dscnt 0x0
	v_pk_mul_f32 v[126:127], v[136:137], v[32:33] /*v[288:289]*/ op_sel:[1,1] op_sel_hi:[0,1]
	s_set_vgpr_msb 0                        ;  msbs: dst=0 src0=0 src1=0 src2=0
	v_pk_add_f32 v[124:125], v[124:125], v[128:129]
	s_set_vgpr_msb 4                        ;  msbs: dst=0 src0=0 src1=1 src2=0
	s_delay_alu instid0(VALU_DEP_2) | instskip(SKIP_1) | instid1(VALU_DEP_1)
	v_pk_fma_f32 v[128:129], v[136:137], v[32:33] /*v[288:289]*/, v[126:127] neg_lo:[0,0,1] neg_hi:[0,0,1]
	v_pk_fma_f32 v[126:127], v[136:137], v[32:33] /*v[288:289]*/, v[126:127] op_sel_hi:[1,0,1]
	v_dual_mov_b32 v126, v139 :: v_dual_mov_b32 v129, v127
	v_mov_b32_e32 v127, v138
	s_set_vgpr_msb 0                        ;  msbs: dst=0 src0=0 src1=0 src2=0
	s_delay_alu instid0(VALU_DEP_2) | instskip(SKIP_3) | instid1(VALU_DEP_1)
	v_pk_add_f32 v[124:125], v[124:125], v[128:129]
	s_set_vgpr_msb 1                        ;  msbs: dst=0 src0=1 src1=0 src2=0
	v_mov_b32_e32 v128, v35 /*v291*/
	s_set_vgpr_msb 0                        ;  msbs: dst=0 src0=0 src1=0 src2=0
	v_pk_mul_f32 v[126:127], v[126:127], v[128:129] op_sel_hi:[1,0]
	s_set_vgpr_msb 4                        ;  msbs: dst=0 src0=0 src1=1 src2=0
	s_delay_alu instid0(VALU_DEP_1) | instskip(SKIP_1) | instid1(VALU_DEP_1)
	v_pk_fma_f32 v[128:129], v[138:139], v[34:35] /*v[290:291]*/, v[126:127] neg_lo:[0,0,1] neg_hi:[0,0,1]
	v_pk_fma_f32 v[126:127], v[138:139], v[34:35] /*v[290:291]*/, v[126:127] op_sel_hi:[1,0,1]
	v_mov_b32_e32 v129, v127
	scratch_load_b64 v[126:127], off, off offset:112
	s_set_vgpr_msb 0                        ;  msbs: dst=0 src0=0 src1=0 src2=0
	v_pk_add_f32 v[124:125], v[124:125], v[128:129]
	s_wait_loadcnt 0x0
	s_delay_alu instid0(VALU_DEP_1)
	v_pk_add_f32 v[124:125], v[126:127], v[124:125] neg_lo:[0,1] neg_hi:[0,1]
	scratch_store_b64 off, v[124:125], off offset:112
	s_wait_xcnt 0x0
	v_cmpx_lt_u32_e32 13, v0
	s_cbranch_execz .LBB124_353
; %bb.352:
	scratch_load_b64 v[124:125], off, off offset:104
	v_mov_b64_e32 v[126:127], 0
	scratch_store_b64 off, v[126:127], off offset:104
	s_wait_loadcnt 0x0
	ds_store_b64 v1, v[124:125]
.LBB124_353:
	s_wait_xcnt 0x0
	s_or_b32 exec_lo, exec_lo, s0
	v_mov_b32_e32 v7, 0
	s_wait_storecnt_dscnt 0x0
	s_barrier_signal -1
	s_barrier_wait -1
	ds_load_b128 v[124:127], v7 offset:608
	ds_load_b128 v[128:131], v7 offset:624
	;; [unrolled: 1-line block ×4, first 2 shown]
	s_clause 0x14
	scratch_load_b128 v[140:143], off, off offset:112
	scratch_load_b128 v[144:147], off, off offset:128
	;; [unrolled: 1-line block ×16, first 2 shown]
	s_set_vgpr_msb 64                       ;  msbs: dst=1 src0=0 src1=0 src2=0
	scratch_load_b128 v[0:3] /*v[256:259]*/, off, off offset:368
	scratch_load_b128 v[8:11] /*v[264:267]*/, off, off offset:384
	;; [unrolled: 1-line block ×4, first 2 shown]
	s_mov_b32 s0, exec_lo
	s_wait_loadcnt_dscnt 0x1303
	s_set_vgpr_msb 0                        ;  msbs: dst=0 src0=0 src1=0 src2=0
	v_mul_f32_e32 v9, v124, v141
	ds_load_b128 v[156:159], v7 offset:672
	ds_load_b128 v[164:167], v7 offset:688
	;; [unrolled: 1-line block ×4, first 2 shown]
	v_dual_fmac_f32 v9, v125, v140 :: v_dual_mul_f32 v11, v126, v143
	ds_load_b128 v[188:191], v7 offset:736
	ds_load_b128 v[196:199], v7 offset:752
	;; [unrolled: 1-line block ×4, first 2 shown]
	v_dual_add_f32 v9, 0, v9 :: v_dual_fmac_f32 v11, v127, v142
	ds_load_b128 v[220:223], v7 offset:800
	ds_load_b128 v[228:231], v7 offset:816
	;; [unrolled: 1-line block ×4, first 2 shown]
	s_wait_loadcnt_dscnt 0x120e
	v_dual_add_f32 v9, v9, v11 :: v_dual_mul_f32 v11, v128, v145
	ds_load_b128 v[252:255], v7 offset:864
	s_set_vgpr_msb 64                       ;  msbs: dst=1 src0=0 src1=0 src2=0
	ds_load_b128 v[4:7] /*v[260:263]*/, v7 offset:880
	ds_load_b128 v[12:15] /*v[268:271]*/, v7 offset:896
	;; [unrolled: 1-line block ×3, first 2 shown]
	s_set_vgpr_msb 0                        ;  msbs: dst=0 src0=0 src1=0 src2=0
	v_fmac_f32_e32 v11, v129, v144
	s_set_vgpr_msb 64                       ;  msbs: dst=1 src0=0 src1=0 src2=0
	s_clause 0x3
	scratch_load_b128 v[28:31] /*v[284:287]*/, off, off offset:432
	scratch_load_b128 v[32:35] /*v[288:291]*/, off, off offset:448
	;; [unrolled: 1-line block ×3, first 2 shown]
	scratch_load_b64 v[46:47] /*v[302:303]*/, off, off offset:480
	s_set_vgpr_msb 0                        ;  msbs: dst=0 src0=0 src1=0 src2=0
	v_add_f32_e32 v9, v9, v11
	v_mul_f32_e32 v11, v130, v147
	s_delay_alu instid0(VALU_DEP_1) | instskip(SKIP_1) | instid1(VALU_DEP_1)
	v_fmac_f32_e32 v11, v131, v146
	s_wait_loadcnt_dscnt 0x1511
	v_dual_add_f32 v9, v9, v11 :: v_dual_mul_f32 v11, v132, v149
	s_wait_loadcnt_dscnt 0x400
	s_set_vgpr_msb 0x45                     ;  msbs: dst=1 src0=1 src1=1 src2=0
	v_dual_mul_f32 v43 /*v299*/, v14 /*v270*/, v19 /*v275*/ :: v_dual_mul_f32 v45 /*v301*/, v20 /*v276*/, v25 /*v281*/
	s_set_vgpr_msb 0                        ;  msbs: dst=0 src0=0 src1=0 src2=0
	v_fmac_f32_e32 v11, v133, v148
	s_set_vgpr_msb 0x45                     ;  msbs: dst=1 src0=1 src1=1 src2=0
	s_delay_alu instid0(VALU_DEP_2) | instskip(SKIP_1) | instid1(VALU_DEP_2)
	v_dual_fmac_f32 v43 /*v299*/, v15 /*v271*/, v18 /*v274*/ :: v_dual_fmac_f32 v45 /*v301*/, v21 /*v277*/, v24 /*v280*/
	s_set_vgpr_msb 0                        ;  msbs: dst=0 src0=0 src1=0 src2=0
	v_add_f32_e32 v9, v9, v11
	v_mul_f32_e32 v11, v134, v151
	s_delay_alu instid0(VALU_DEP_1) | instskip(NEXT) | instid1(VALU_DEP_1)
	v_fmac_f32_e32 v11, v135, v150
	v_dual_add_f32 v9, v9, v11 :: v_dual_mul_f32 v11, v136, v153
	s_delay_alu instid0(VALU_DEP_1) | instskip(NEXT) | instid1(VALU_DEP_1)
	v_fmac_f32_e32 v11, v137, v152
	v_add_f32_e32 v9, v9, v11
	v_mul_f32_e32 v11, v138, v155
	s_delay_alu instid0(VALU_DEP_1) | instskip(NEXT) | instid1(VALU_DEP_1)
	v_fmac_f32_e32 v11, v139, v154
	v_dual_add_f32 v9, v9, v11 :: v_dual_mul_f32 v11, v156, v161
	s_delay_alu instid0(VALU_DEP_1) | instskip(NEXT) | instid1(VALU_DEP_1)
	v_fmac_f32_e32 v11, v157, v160
	;; [unrolled: 7-line block ×13, first 2 shown]
	v_add_f32_e32 v9, v9, v11
	v_mul_f32_e32 v11, v246, v251
	s_delay_alu instid0(VALU_DEP_1) | instskip(NEXT) | instid1(VALU_DEP_1)
	v_fmac_f32_e32 v11, v247, v250
	v_add_f32_e32 v9, v9, v11
	s_set_vgpr_msb 4                        ;  msbs: dst=0 src0=0 src1=1 src2=0
	v_mul_f32_e32 v11, v252, v1 /*v257*/
	s_delay_alu instid0(VALU_DEP_1) | instskip(SKIP_1) | instid1(VALU_DEP_1)
	v_fmac_f32_e32 v11, v253, v0 /*v256*/
	s_set_vgpr_msb 0                        ;  msbs: dst=0 src0=0 src1=0 src2=0
	v_add_f32_e32 v9, v9, v11
	s_set_vgpr_msb 4                        ;  msbs: dst=0 src0=0 src1=1 src2=0
	v_mul_f32_e32 v11, v254, v3 /*v259*/
	s_delay_alu instid0(VALU_DEP_1) | instskip(SKIP_1) | instid1(VALU_DEP_1)
	v_fmac_f32_e32 v11, v255, v2 /*v258*/
	s_set_vgpr_msb 0                        ;  msbs: dst=0 src0=0 src1=0 src2=0
	v_add_f32_e32 v9, v9, v11
	s_set_vgpr_msb 5                        ;  msbs: dst=0 src0=1 src1=1 src2=0
	v_mul_f32_e32 v11, v4 /*v260*/, v9 /*v265*/
	s_delay_alu instid0(VALU_DEP_1) | instskip(SKIP_1) | instid1(VALU_DEP_1)
	v_fmac_f32_e32 v11, v5 /*v261*/, v8 /*v264*/
	s_set_vgpr_msb 0                        ;  msbs: dst=0 src0=0 src1=0 src2=0
	v_add_f32_e32 v9, v9, v11
	s_set_vgpr_msb 5                        ;  msbs: dst=0 src0=1 src1=1 src2=0
	v_mul_f32_e32 v11, v6 /*v262*/, v11 /*v267*/
	s_delay_alu instid0(VALU_DEP_1) | instskip(SKIP_1) | instid1(VALU_DEP_1)
	v_fmac_f32_e32 v11, v7 /*v263*/, v10 /*v266*/
	;; [unrolled: 6-line block ×3, first 2 shown]
	s_set_vgpr_msb 64                       ;  msbs: dst=1 src0=0 src1=0 src2=0
	v_add_f32_e32 v41 /*v297*/, v9, v11
	s_set_vgpr_msb 0                        ;  msbs: dst=0 src0=0 src1=0 src2=0
	v_dual_mul_f32 v9, v125, v141 :: v_dual_mul_f32 v11, v127, v143
	s_set_vgpr_msb 1                        ;  msbs: dst=0 src0=1 src1=0 src2=0
	v_mov_b32_e32 v141, v22 /*v278*/
	s_set_vgpr_msb 0                        ;  msbs: dst=0 src0=0 src1=0 src2=0
	s_delay_alu instid0(VALU_DEP_2) | instskip(SKIP_2) | instid1(VALU_DEP_2)
	v_dual_fma_f32 v9, v124, v140, -v9 :: v_dual_fma_f32 v11, v126, v142, -v11
	s_set_vgpr_msb 1                        ;  msbs: dst=0 src0=1 src1=0 src2=0
	v_dual_mov_b32 v140, v23 /*v279*/ :: v_dual_mov_b32 v142, v27 /*v283*/
	v_add_f32_e32 v9, 0, v9
	s_set_vgpr_msb 0                        ;  msbs: dst=0 src0=0 src1=0 src2=0
	s_delay_alu instid0(VALU_DEP_2) | instskip(NEXT) | instid1(VALU_DEP_2)
	v_pk_mul_f32 v[140:141], v[140:141], v[142:143] op_sel_hi:[1,0]
	v_add_f32_e32 v9, v9, v11
	v_mul_f32_e32 v11, v129, v145
	s_set_vgpr_msb 5                        ;  msbs: dst=0 src0=1 src1=1 src2=0
	s_delay_alu instid0(VALU_DEP_3) | instskip(SKIP_2) | instid1(VALU_DEP_1)
	v_pk_fma_f32 v[142:143], v[22:23] /*v[278:279]*/, v[26:27] /*v[282:283]*/, v[140:141] neg_lo:[0,0,1] neg_hi:[0,0,1]
	v_pk_fma_f32 v[140:141], v[22:23] /*v[278:279]*/, v[26:27] /*v[282:283]*/, v[140:141] op_sel_hi:[1,0,1]
	s_set_vgpr_msb 0                        ;  msbs: dst=0 src0=0 src1=0 src2=0
	v_dual_fma_f32 v11, v128, v144, -v11 :: v_dual_mov_b32 v143, v141
	s_delay_alu instid0(VALU_DEP_1) | instskip(SKIP_1) | instid1(VALU_DEP_1)
	v_add_f32_e32 v9, v9, v11
	v_mul_f32_e32 v11, v131, v147
	v_fma_f32 v11, v130, v146, -v11
	s_delay_alu instid0(VALU_DEP_1) | instskip(SKIP_1) | instid1(VALU_DEP_1)
	v_add_f32_e32 v9, v9, v11
	v_mul_f32_e32 v11, v133, v149
	v_fma_f32 v11, v132, v148, -v11
	s_delay_alu instid0(VALU_DEP_1) | instskip(SKIP_1) | instid1(VALU_DEP_1)
	v_add_f32_e32 v9, v9, v11
	v_mul_f32_e32 v11, v135, v151
	v_fma_f32 v11, v134, v150, -v11
	s_delay_alu instid0(VALU_DEP_1) | instskip(SKIP_1) | instid1(VALU_DEP_1)
	v_add_f32_e32 v9, v9, v11
	v_mul_f32_e32 v11, v137, v153
	v_fma_f32 v11, v136, v152, -v11
	ds_load_b128 v[124:127], v7 offset:928
	ds_load_b128 v[128:131], v7 offset:944
	ds_load_b128 v[132:135], v7 offset:960
	ds_load_b64 v[136:137], v7 offset:976
	v_add_f32_e32 v9, v9, v11
	v_mul_f32_e32 v11, v139, v155
	s_delay_alu instid0(VALU_DEP_1) | instskip(NEXT) | instid1(VALU_DEP_1)
	v_fma_f32 v11, v138, v154, -v11
	v_add_f32_e32 v9, v9, v11
	v_mul_f32_e32 v11, v157, v161
	s_wait_loadcnt_dscnt 0x303
	s_set_vgpr_msb 4                        ;  msbs: dst=0 src0=0 src1=1 src2=0
	v_pk_mul_f32 v[140:141], v[124:125], v[28:29] /*v[284:285]*/ op_sel:[1,1] op_sel_hi:[0,1]
	s_set_vgpr_msb 0                        ;  msbs: dst=0 src0=0 src1=0 src2=0
	v_fma_f32 v11, v156, v160, -v11
	s_delay_alu instid0(VALU_DEP_1) | instskip(SKIP_1) | instid1(VALU_DEP_1)
	v_add_f32_e32 v9, v9, v11
	v_mul_f32_e32 v11, v159, v163
	v_fma_f32 v11, v158, v162, -v11
	s_delay_alu instid0(VALU_DEP_1) | instskip(SKIP_1) | instid1(VALU_DEP_1)
	v_add_f32_e32 v9, v9, v11
	v_mul_f32_e32 v11, v165, v169
	;; [unrolled: 4-line block ×23, first 2 shown]
	v_fma_f32 v11, v246, v250, -v11
	s_delay_alu instid0(VALU_DEP_1) | instskip(SKIP_2) | instid1(VALU_DEP_1)
	v_add_f32_e32 v9, v9, v11
	s_set_vgpr_msb 4                        ;  msbs: dst=0 src0=0 src1=1 src2=0
	v_mul_f32_e32 v11, v253, v1 /*v257*/
	v_fma_f32 v11, v252, v0 /*v256*/, -v11
	s_set_vgpr_msb 0                        ;  msbs: dst=0 src0=0 src1=0 src2=0
	s_delay_alu instid0(VALU_DEP_1) | instskip(SKIP_2) | instid1(VALU_DEP_1)
	v_add_f32_e32 v9, v9, v11
	s_set_vgpr_msb 4                        ;  msbs: dst=0 src0=0 src1=1 src2=0
	v_mul_f32_e32 v11, v255, v3 /*v259*/
	v_fma_f32 v11, v254, v2 /*v258*/, -v11
	s_set_vgpr_msb 0                        ;  msbs: dst=0 src0=0 src1=0 src2=0
	s_delay_alu instid0(VALU_DEP_1) | instskip(SKIP_2) | instid1(VALU_DEP_1)
	v_add_f32_e32 v9, v9, v11
	s_set_vgpr_msb 5                        ;  msbs: dst=0 src0=1 src1=1 src2=0
	v_mul_f32_e32 v11, v5 /*v261*/, v9 /*v265*/
	v_fma_f32 v11, v4 /*v260*/, v8 /*v264*/, -v11
	s_set_vgpr_msb 0                        ;  msbs: dst=0 src0=0 src1=0 src2=0
	s_delay_alu instid0(VALU_DEP_1) | instskip(SKIP_2) | instid1(VALU_DEP_1)
	v_add_f32_e32 v9, v9, v11
	s_set_vgpr_msb 5                        ;  msbs: dst=0 src0=1 src1=1 src2=0
	v_mul_f32_e32 v11, v7 /*v263*/, v11 /*v267*/
	v_fma_f32 v11, v6 /*v262*/, v10 /*v266*/, -v11
	;; [unrolled: 6-line block ×3, first 2 shown]
	s_set_vgpr_msb 64                       ;  msbs: dst=1 src0=0 src1=0 src2=0
	s_delay_alu instid0(VALU_DEP_1) | instskip(SKIP_3) | instid1(VALU_DEP_1)
	v_add_f32_e32 v40 /*v296*/, v9, v11
	s_set_vgpr_msb 5                        ;  msbs: dst=0 src0=1 src1=1 src2=0
	v_mul_f32_e32 v9, v15 /*v271*/, v19 /*v275*/
	s_set_vgpr_msb 0x45                     ;  msbs: dst=1 src0=1 src1=1 src2=0
	v_fma_f32 v42 /*v298*/, v14 /*v270*/, v18 /*v274*/, -v9
	s_set_vgpr_msb 5                        ;  msbs: dst=0 src0=1 src1=1 src2=0
	v_mul_f32_e32 v9, v21 /*v277*/, v25 /*v281*/
	s_set_vgpr_msb 0x45                     ;  msbs: dst=1 src0=1 src1=1 src2=0
	s_delay_alu instid0(VALU_DEP_1) | instskip(SKIP_3) | instid1(VALU_DEP_1)
	v_fma_f32 v44 /*v300*/, v20 /*v276*/, v24 /*v280*/, -v9
	s_set_vgpr_msb 5                        ;  msbs: dst=0 src0=1 src1=1 src2=0
	v_pk_add_f32 v[138:139], v[40:41] /*v[296:297]*/, v[42:43] /*v[298:299]*/
	s_set_vgpr_msb 4                        ;  msbs: dst=0 src0=0 src1=1 src2=0
	v_pk_add_f32 v[138:139], v[138:139], v[44:45] /*v[300:301]*/
	s_set_vgpr_msb 0                        ;  msbs: dst=0 src0=0 src1=0 src2=0
	s_delay_alu instid0(VALU_DEP_1)
	v_pk_add_f32 v[138:139], v[138:139], v[142:143]
	s_set_vgpr_msb 4                        ;  msbs: dst=0 src0=0 src1=1 src2=0
	v_pk_fma_f32 v[142:143], v[124:125], v[28:29] /*v[284:285]*/, v[140:141] neg_lo:[0,0,1] neg_hi:[0,0,1]
	v_pk_fma_f32 v[124:125], v[124:125], v[28:29] /*v[284:285]*/, v[140:141] op_sel_hi:[1,0,1]
	s_set_vgpr_msb 1                        ;  msbs: dst=0 src0=1 src1=0 src2=0
	v_mov_b32_e32 v140, v31 /*v287*/
	s_set_vgpr_msb 0                        ;  msbs: dst=0 src0=0 src1=0 src2=0
	s_delay_alu instid0(VALU_DEP_2) | instskip(NEXT) | instid1(VALU_DEP_1)
	v_mov_b32_e32 v143, v125
	v_pk_add_f32 v[124:125], v[138:139], v[142:143]
	v_dual_mov_b32 v138, v127 :: v_dual_mov_b32 v139, v126
	s_delay_alu instid0(VALU_DEP_1) | instskip(SKIP_1) | instid1(VALU_DEP_1)
	v_pk_mul_f32 v[138:139], v[138:139], v[140:141] op_sel_hi:[1,0]
	s_set_vgpr_msb 4                        ;  msbs: dst=0 src0=0 src1=1 src2=0
	v_pk_fma_f32 v[140:141], v[126:127], v[30:31] /*v[286:287]*/, v[138:139] neg_lo:[0,0,1] neg_hi:[0,0,1]
	v_pk_fma_f32 v[126:127], v[126:127], v[30:31] /*v[286:287]*/, v[138:139] op_sel_hi:[1,0,1]
	s_delay_alu instid0(VALU_DEP_1) | instskip(SKIP_3) | instid1(VALU_DEP_2)
	v_mov_b32_e32 v141, v127
	s_wait_loadcnt_dscnt 0x202
	v_pk_mul_f32 v[126:127], v[128:129], v[32:33] /*v[288:289]*/ op_sel:[1,1] op_sel_hi:[0,1]
	s_set_vgpr_msb 0                        ;  msbs: dst=0 src0=0 src1=0 src2=0
	v_pk_add_f32 v[124:125], v[124:125], v[140:141]
	s_set_vgpr_msb 4                        ;  msbs: dst=0 src0=0 src1=1 src2=0
	s_delay_alu instid0(VALU_DEP_2)
	v_pk_fma_f32 v[138:139], v[128:129], v[32:33] /*v[288:289]*/, v[126:127] neg_lo:[0,0,1] neg_hi:[0,0,1]
	v_pk_fma_f32 v[126:127], v[128:129], v[32:33] /*v[288:289]*/, v[126:127] op_sel_hi:[1,0,1]
	v_mov_b32_e32 v126, v131
	s_set_vgpr_msb 1                        ;  msbs: dst=0 src0=1 src1=0 src2=0
	v_mov_b32_e32 v128, v35 /*v291*/
	s_set_vgpr_msb 0                        ;  msbs: dst=0 src0=0 src1=0 src2=0
	v_dual_mov_b32 v139, v127 :: v_dual_mov_b32 v127, v130
	s_delay_alu instid0(VALU_DEP_1) | instskip(NEXT) | instid1(VALU_DEP_2)
	v_pk_add_f32 v[124:125], v[124:125], v[138:139]
	v_pk_mul_f32 v[126:127], v[126:127], v[128:129] op_sel_hi:[1,0]
	s_set_vgpr_msb 4                        ;  msbs: dst=0 src0=0 src1=1 src2=0
	s_delay_alu instid0(VALU_DEP_1) | instskip(SKIP_1) | instid1(VALU_DEP_1)
	v_pk_fma_f32 v[128:129], v[130:131], v[34:35] /*v[290:291]*/, v[126:127] neg_lo:[0,0,1] neg_hi:[0,0,1]
	v_pk_fma_f32 v[126:127], v[130:131], v[34:35] /*v[290:291]*/, v[126:127] op_sel_hi:[1,0,1]
	v_mov_b32_e32 v129, v127
	s_wait_loadcnt_dscnt 0x101
	v_pk_mul_f32 v[126:127], v[132:133], v[36:37] /*v[292:293]*/ op_sel:[1,1] op_sel_hi:[0,1]
	s_set_vgpr_msb 0                        ;  msbs: dst=0 src0=0 src1=0 src2=0
	s_delay_alu instid0(VALU_DEP_2) | instskip(SKIP_1) | instid1(VALU_DEP_2)
	v_pk_add_f32 v[124:125], v[124:125], v[128:129]
	s_set_vgpr_msb 4                        ;  msbs: dst=0 src0=0 src1=1 src2=0
	v_pk_fma_f32 v[128:129], v[132:133], v[36:37] /*v[292:293]*/, v[126:127] neg_lo:[0,0,1] neg_hi:[0,0,1]
	v_pk_fma_f32 v[126:127], v[132:133], v[36:37] /*v[292:293]*/, v[126:127] op_sel_hi:[1,0,1]
	s_delay_alu instid0(VALU_DEP_1) | instskip(SKIP_2) | instid1(VALU_DEP_2)
	v_dual_mov_b32 v126, v135 :: v_dual_mov_b32 v129, v127
	v_mov_b32_e32 v127, v134
	s_set_vgpr_msb 0                        ;  msbs: dst=0 src0=0 src1=0 src2=0
	v_pk_add_f32 v[124:125], v[124:125], v[128:129]
	s_set_vgpr_msb 1                        ;  msbs: dst=0 src0=1 src1=0 src2=0
	v_mov_b32_e32 v128, v39 /*v295*/
	s_set_vgpr_msb 0                        ;  msbs: dst=0 src0=0 src1=0 src2=0
	s_delay_alu instid0(VALU_DEP_1) | instskip(SKIP_1) | instid1(VALU_DEP_1)
	v_pk_mul_f32 v[126:127], v[126:127], v[128:129] op_sel_hi:[1,0]
	s_set_vgpr_msb 4                        ;  msbs: dst=0 src0=0 src1=1 src2=0
	v_pk_fma_f32 v[128:129], v[134:135], v[38:39] /*v[294:295]*/, v[126:127] neg_lo:[0,0,1] neg_hi:[0,0,1]
	v_pk_fma_f32 v[126:127], v[134:135], v[38:39] /*v[294:295]*/, v[126:127] op_sel_hi:[1,0,1]
	s_delay_alu instid0(VALU_DEP_1) | instskip(SKIP_3) | instid1(VALU_DEP_2)
	v_mov_b32_e32 v129, v127
	s_wait_loadcnt_dscnt 0x0
	v_pk_mul_f32 v[126:127], v[136:137], v[46:47] /*v[302:303]*/ op_sel:[1,1] op_sel_hi:[0,1]
	s_set_vgpr_msb 0                        ;  msbs: dst=0 src0=0 src1=0 src2=0
	v_pk_add_f32 v[124:125], v[124:125], v[128:129]
	s_set_vgpr_msb 4                        ;  msbs: dst=0 src0=0 src1=1 src2=0
	s_delay_alu instid0(VALU_DEP_2) | instskip(SKIP_1) | instid1(VALU_DEP_1)
	v_pk_fma_f32 v[128:129], v[136:137], v[46:47] /*v[302:303]*/, v[126:127] neg_lo:[0,0,1] neg_hi:[0,0,1]
	v_pk_fma_f32 v[126:127], v[136:137], v[46:47] /*v[302:303]*/, v[126:127] op_sel_hi:[1,0,1]
	v_mov_b32_e32 v129, v127
	scratch_load_b64 v[126:127], off, off offset:104
	s_set_vgpr_msb 0                        ;  msbs: dst=0 src0=0 src1=0 src2=0
	v_pk_add_f32 v[124:125], v[124:125], v[128:129]
	s_wait_loadcnt 0x0
	s_delay_alu instid0(VALU_DEP_1)
	v_pk_add_f32 v[124:125], v[126:127], v[124:125] neg_lo:[0,1] neg_hi:[0,1]
	scratch_store_b64 off, v[124:125], off offset:104
	s_wait_xcnt 0x0
	v_cmpx_lt_u32_e32 12, v0
	s_cbranch_execz .LBB124_355
; %bb.354:
	scratch_load_b64 v[124:125], off, off offset:96
	v_mov_b64_e32 v[126:127], 0
	scratch_store_b64 off, v[126:127], off offset:96
	s_wait_loadcnt 0x0
	ds_store_b64 v1, v[124:125]
.LBB124_355:
	s_wait_xcnt 0x0
	s_or_b32 exec_lo, exec_lo, s0
	s_wait_storecnt_dscnt 0x0
	s_barrier_signal -1
	s_barrier_wait -1
	s_clause 0x17
	scratch_load_b128 v[124:127], off, off offset:104
	scratch_load_b128 v[128:131], off, off offset:120
	;; [unrolled: 1-line block ×24, first 2 shown]
	ds_load_2addr_b64 v[220:223], v7 offset0:75 offset1:76
	ds_load_2addr_b64 v[224:227], v7 offset0:77 offset1:78
	;; [unrolled: 1-line block ×6, first 2 shown]
	s_set_vgpr_msb 64                       ;  msbs: dst=1 src0=0 src1=0 src2=0
	scratch_load_b64 v[60:61] /*v[316:317]*/, off, off offset:96
	s_set_vgpr_msb 0                        ;  msbs: dst=0 src0=0 src1=0 src2=0
	ds_load_2addr_b64 v[244:247], v7 offset0:83 offset1:84
	ds_load_2addr_b64 v[248:251], v7 offset0:85 offset1:86
	ds_load_2addr_b64 v[252:255], v7 offset0:119 offset1:120
	s_set_vgpr_msb 64                       ;  msbs: dst=1 src0=0 src1=0 src2=0
	ds_load_2addr_b64 v[0:3] /*v[256:259]*/, v7 offset0:121 offset1:122
	ds_load_2addr_b64 v[4:7] /*v[260:263]*/, v7 offset0:87 offset1:88
	ds_load_2addr_b64 v[8:11] /*v[264:267]*/, v7 offset0:89 offset1:90
	ds_load_2addr_b64 v[12:15] /*v[268:271]*/, v7 offset0:91 offset1:92
	ds_load_2addr_b64 v[16:19] /*v[272:275]*/, v7 offset0:93 offset1:94
	ds_load_2addr_b64 v[20:23] /*v[276:279]*/, v7 offset0:95 offset1:96
	ds_load_2addr_b64 v[24:27] /*v[280:283]*/, v7 offset0:97 offset1:98
	ds_load_2addr_b64 v[28:31] /*v[284:287]*/, v7 offset0:99 offset1:100
	ds_load_2addr_b64 v[32:35] /*v[288:291]*/, v7 offset0:101 offset1:102
	ds_load_2addr_b64 v[36:39] /*v[292:295]*/, v7 offset0:103 offset1:104
	ds_load_2addr_b64 v[40:43] /*v[296:299]*/, v7 offset0:105 offset1:106
	ds_load_2addr_b64 v[44:47] /*v[300:303]*/, v7 offset0:107 offset1:108
	ds_load_2addr_b64 v[48:51] /*v[304:307]*/, v7 offset0:109 offset1:110
	ds_load_2addr_b64 v[52:55] /*v[308:311]*/, v7 offset0:111 offset1:112
	ds_load_2addr_b64 v[56:59] /*v[312:315]*/, v7 offset0:113 offset1:114
	s_mov_b32 s0, exec_lo
	s_wait_dscnt 0xf
	v_dual_mov_b32 v66 /*v322*/, v255 :: v_dual_mov_b32 v67 /*v323*/, v254
	s_wait_dscnt 0xe
	s_set_vgpr_msb 0x41                     ;  msbs: dst=1 src0=1 src1=0 src2=0
	v_dual_mov_b32 v68 /*v324*/, v3 /*v259*/ :: v_dual_mov_b32 v69 /*v325*/, v2 /*v258*/
	s_set_vgpr_msb 64                       ;  msbs: dst=1 src0=0 src1=0 src2=0
	v_dual_mov_b32 v62 /*v318*/, v239 :: v_dual_mov_b32 v63 /*v319*/, v238
	v_dual_mov_b32 v64 /*v320*/, v243 :: v_dual_mov_b32 v65 /*v321*/, v242
	s_wait_loadcnt 0x18
	s_set_vgpr_msb 0                        ;  msbs: dst=0 src0=0 src1=0 src2=0
	v_dual_mul_f32 v7, v220, v125 :: v_dual_mul_f32 v9, v222, v127
	v_dual_mul_f32 v83, v221, v125 :: v_dual_mul_f32 v85, v223, v127
	s_wait_loadcnt 0x17
	v_dual_mul_f32 v11, v224, v129 :: v_dual_mul_f32 v13, v226, v131
	s_delay_alu instid0(VALU_DEP_3) | instskip(SKIP_3) | instid1(VALU_DEP_3)
	v_dual_fmac_f32 v7, v221, v124 :: v_dual_fmac_f32 v9, v223, v126
	s_wait_loadcnt 0x15
	v_dual_fma_f32 v83, v220, v124, -v83 :: v_dual_mul_f32 v95, v233, v137
	v_dual_mul_f32 v87, v225, v129 :: v_dual_mul_f32 v89, v227, v131
	v_dual_fma_f32 v85, v222, v126, -v85 :: v_dual_add_f32 v7, 0, v7
	s_delay_alu instid0(VALU_DEP_3) | instskip(SKIP_1) | instid1(VALU_DEP_4)
	v_dual_add_f32 v83, 0, v83 :: v_dual_fmac_f32 v11, v225, v128
	v_dual_mul_f32 v15, v228, v133 :: v_dual_mul_f32 v17, v230, v135
	v_dual_mul_f32 v97, v235, v139 :: v_dual_fma_f32 v87, v224, v128, -v87
	s_delay_alu instid0(VALU_DEP_4) | instskip(NEXT) | instid1(VALU_DEP_3)
	v_add_f32_e32 v7, v7, v9
	v_dual_add_f32 v9, v83, v85 :: v_dual_fmac_f32 v15, v229, v132
	v_dual_mul_f32 v91, v229, v133 :: v_dual_mul_f32 v93, v231, v135
	s_wait_loadcnt 0x14
	v_dual_mul_f32 v83, v245, v141 :: v_dual_fmac_f32 v13, v227, v130
	v_dual_fma_f32 v85, v226, v130, -v89 :: v_dual_add_f32 v7, v7, v11
	s_delay_alu instid0(VALU_DEP_3) | instskip(SKIP_1) | instid1(VALU_DEP_3)
	v_dual_add_f32 v9, v9, v87 :: v_dual_fma_f32 v87, v228, v132, -v91
	v_dual_mul_f32 v19, v232, v137 :: v_dual_mul_f32 v21, v234, v139
	v_add_f32_e32 v7, v7, v13
	s_delay_alu instid0(VALU_DEP_3) | instskip(SKIP_2) | instid1(VALU_DEP_3)
	v_dual_mul_f32 v11, v247, v143 :: v_dual_add_f32 v9, v9, v85
	s_wait_loadcnt 0x13
	v_dual_mul_f32 v13, v249, v145 :: v_dual_fmac_f32 v17, v231, v134
	v_dual_fma_f32 v85, v230, v134, -v93 :: v_dual_add_f32 v7, v7, v15
	s_delay_alu instid0(VALU_DEP_3) | instskip(SKIP_1) | instid1(VALU_DEP_3)
	v_dual_add_f32 v9, v9, v87 :: v_dual_fma_f32 v87, v232, v136, -v95
	v_dual_mul_f32 v15, v251, v147 :: v_dual_fmac_f32 v19, v233, v136
	v_add_f32_e32 v7, v7, v17
	s_delay_alu instid0(VALU_DEP_3) | instskip(SKIP_1) | instid1(VALU_DEP_3)
	v_dual_add_f32 v9, v9, v85 :: v_dual_fmac_f32 v21, v235, v138
	v_dual_mul_f32 v23, v244, v141 :: v_dual_mul_f32 v25, v246, v143
	v_dual_fma_f32 v85, v234, v138, -v97 :: v_dual_add_f32 v7, v7, v19
	s_delay_alu instid0(VALU_DEP_3) | instskip(NEXT) | instid1(VALU_DEP_3)
	v_dual_add_f32 v9, v9, v87 :: v_dual_fma_f32 v83, v244, v140, -v83
	v_dual_fmac_f32 v23, v245, v140 :: v_dual_mul_f32 v27, v248, v145
	s_delay_alu instid0(VALU_DEP_3) | instskip(NEXT) | instid1(VALU_DEP_3)
	v_dual_mul_f32 v29, v250, v147 :: v_dual_add_f32 v7, v7, v21
	v_dual_fma_f32 v11, v246, v142, -v11 :: v_dual_add_f32 v9, v9, v85
	s_delay_alu instid0(VALU_DEP_3) | instskip(NEXT) | instid1(VALU_DEP_3)
	v_dual_fmac_f32 v25, v247, v142 :: v_dual_fmac_f32 v27, v249, v144
	v_dual_add_f32 v7, v7, v23 :: v_dual_fma_f32 v13, v248, v144, -v13
	s_delay_alu instid0(VALU_DEP_3)
	v_add_f32_e32 v9, v9, v83
	s_wait_loadcnt_dscnt 0x120d
	s_set_vgpr_msb 1                        ;  msbs: dst=0 src0=1 src1=0 src2=0
	v_dual_mul_f32 v31, v4 /*v260*/, v149 :: v_dual_mul_f32 v33, v6 /*v262*/, v151
	s_set_vgpr_msb 0                        ;  msbs: dst=0 src0=0 src1=0 src2=0
	v_add_f32_e32 v7, v7, v25
	s_set_vgpr_msb 1                        ;  msbs: dst=0 src0=1 src1=0 src2=0
	v_dual_mul_f32 v17, v5 /*v261*/, v149 :: v_dual_mul_f32 v19, v7 /*v263*/, v151
	s_set_vgpr_msb 0                        ;  msbs: dst=0 src0=0 src1=0 src2=0
	v_dual_add_f32 v9, v9, v11 :: v_dual_fmac_f32 v29, v251, v146
	v_dual_fma_f32 v15, v250, v146, -v15 :: v_dual_add_f32 v7, v7, v27
	s_set_vgpr_msb 1                        ;  msbs: dst=0 src0=1 src1=0 src2=0
	v_dual_fmac_f32 v31, v5 /*v261*/, v148 :: v_dual_fma_f32 v17, v4 /*v260*/, v148, -v17
	s_set_vgpr_msb 0                        ;  msbs: dst=0 src0=0 src1=0 src2=0
	v_add_f32_e32 v9, v9, v13
	s_wait_loadcnt_dscnt 0x110c
	s_set_vgpr_msb 1                        ;  msbs: dst=0 src0=1 src1=0 src2=0
	v_dual_mul_f32 v35, v8 /*v264*/, v153 :: v_dual_mul_f32 v37, v10 /*v266*/, v155
	s_set_vgpr_msb 0                        ;  msbs: dst=0 src0=0 src1=0 src2=0
	v_add_f32_e32 v7, v7, v29
	s_set_vgpr_msb 1                        ;  msbs: dst=0 src0=1 src1=0 src2=0
	v_dual_mul_f32 v21, v9 /*v265*/, v153 :: v_dual_mul_f32 v23, v11 /*v267*/, v155
	s_set_vgpr_msb 0                        ;  msbs: dst=0 src0=0 src1=0 src2=0
	v_add_f32_e32 v9, v9, v15
	s_wait_loadcnt_dscnt 0xf0a
	s_set_vgpr_msb 1                        ;  msbs: dst=0 src0=1 src1=0 src2=0
	v_dual_mul_f32 v15, v17 /*v273*/, v161 :: v_dual_fmac_f32 v33, v7 /*v263*/, v150
	v_fma_f32 v19, v6 /*v262*/, v150, -v19
	s_set_vgpr_msb 0                        ;  msbs: dst=0 src0=0 src1=0 src2=0
	v_dual_add_f32 v7, v7, v31 :: v_dual_add_f32 v9, v9, v17
	s_set_vgpr_msb 1                        ;  msbs: dst=0 src0=1 src1=0 src2=0
	v_dual_mul_f32 v17, v19 /*v275*/, v163 :: v_dual_fmac_f32 v35, v9 /*v265*/, v152
	v_fma_f32 v21, v8 /*v264*/, v152, -v21
	s_set_vgpr_msb 0                        ;  msbs: dst=0 src0=0 src1=0 src2=0
	v_dual_add_f32 v7, v7, v33 :: v_dual_add_f32 v9, v9, v19
	s_set_vgpr_msb 1                        ;  msbs: dst=0 src0=1 src1=0 src2=0
	v_dual_mul_f32 v11, v13 /*v269*/, v157 :: v_dual_mul_f32 v13, v15 /*v271*/, v159
	s_wait_loadcnt_dscnt 0xe09
	v_dual_mul_f32 v19, v21 /*v277*/, v165 :: v_dual_fmac_f32 v37, v11 /*v267*/, v154
	v_fma_f32 v23, v10 /*v266*/, v154, -v23
	s_set_vgpr_msb 0                        ;  msbs: dst=0 src0=0 src1=0 src2=0
	v_dual_add_f32 v7, v7, v35 :: v_dual_add_f32 v9, v9, v21
	s_set_vgpr_msb 1                        ;  msbs: dst=0 src0=1 src1=0 src2=0
	v_dual_mul_f32 v39, v12 /*v268*/, v157 :: v_dual_mul_f32 v41, v14 /*v270*/, v159
	v_dual_mul_f32 v21, v23 /*v279*/, v167 :: v_dual_fma_f32 v11, v12 /*v268*/, v156, -v11
	s_set_vgpr_msb 0                        ;  msbs: dst=0 src0=0 src1=0 src2=0
	v_dual_add_f32 v7, v7, v37 :: v_dual_add_f32 v9, v9, v23
	s_set_vgpr_msb 1                        ;  msbs: dst=0 src0=1 src1=0 src2=0
	v_dual_fmac_f32 v39, v13 /*v269*/, v156 :: v_dual_fmac_f32 v41, v15 /*v271*/, v158
	s_wait_loadcnt_dscnt 0xd08
	v_dual_mul_f32 v23, v25 /*v281*/, v169 :: v_dual_fma_f32 v13, v14 /*v270*/, v158, -v13
	s_set_vgpr_msb 0                        ;  msbs: dst=0 src0=0 src1=0 src2=0
	v_add_f32_e32 v9, v9, v11
	s_set_vgpr_msb 1                        ;  msbs: dst=0 src0=1 src1=0 src2=0
	v_dual_mul_f32 v43, v16 /*v272*/, v161 :: v_dual_mul_f32 v45, v18 /*v274*/, v163
	v_mul_f32_e32 v11, v27 /*v283*/, v171
	s_set_vgpr_msb 0                        ;  msbs: dst=0 src0=0 src1=0 src2=0
	v_dual_add_f32 v7, v7, v39 :: v_dual_add_f32 v9, v9, v13
	s_wait_loadcnt_dscnt 0xc07
	s_set_vgpr_msb 1                        ;  msbs: dst=0 src0=1 src1=0 src2=0
	v_dual_fma_f32 v15, v16 /*v272*/, v160, -v15 :: v_dual_mul_f32 v13, v29 /*v285*/, v173
	v_dual_fmac_f32 v43, v17 /*v273*/, v160 :: v_dual_fmac_f32 v45, v19 /*v275*/, v162
	s_set_vgpr_msb 0                        ;  msbs: dst=0 src0=0 src1=0 src2=0
	v_add_f32_e32 v7, v7, v41
	s_set_vgpr_msb 1                        ;  msbs: dst=0 src0=1 src1=0 src2=0
	v_fma_f32 v17, v18 /*v274*/, v162, -v17
	s_set_vgpr_msb 0                        ;  msbs: dst=0 src0=0 src1=0 src2=0
	v_add_f32_e32 v9, v9, v15
	s_set_vgpr_msb 1                        ;  msbs: dst=0 src0=1 src1=0 src2=0
	v_dual_mul_f32 v47, v20 /*v276*/, v165 :: v_dual_mul_f32 v49, v22 /*v278*/, v167
	v_mul_f32_e32 v15, v31 /*v287*/, v175
	s_set_vgpr_msb 0                        ;  msbs: dst=0 src0=0 src1=0 src2=0
	v_dual_add_f32 v7, v7, v43 :: v_dual_add_f32 v9, v9, v17
	s_wait_loadcnt_dscnt 0xb06
	s_set_vgpr_msb 1                        ;  msbs: dst=0 src0=1 src1=0 src2=0
	v_dual_fma_f32 v19, v20 /*v276*/, v164, -v19 :: v_dual_mul_f32 v17, v33 /*v289*/, v177
	v_dual_fmac_f32 v47, v21 /*v277*/, v164 :: v_dual_fmac_f32 v49, v23 /*v279*/, v166
	s_set_vgpr_msb 0                        ;  msbs: dst=0 src0=0 src1=0 src2=0
	v_add_f32_e32 v7, v7, v45
	s_set_vgpr_msb 1                        ;  msbs: dst=0 src0=1 src1=0 src2=0
	v_fma_f32 v21, v22 /*v278*/, v166, -v21
	s_set_vgpr_msb 0                        ;  msbs: dst=0 src0=0 src1=0 src2=0
	v_add_f32_e32 v9, v9, v19
	s_set_vgpr_msb 1                        ;  msbs: dst=0 src0=1 src1=0 src2=0
	v_dual_mul_f32 v51, v24 /*v280*/, v169 :: v_dual_mul_f32 v53, v26 /*v282*/, v171
	v_mul_f32_e32 v19, v35 /*v291*/, v179
	s_set_vgpr_msb 0                        ;  msbs: dst=0 src0=0 src1=0 src2=0
	v_dual_add_f32 v7, v7, v47 :: v_dual_add_f32 v9, v9, v21
	s_wait_loadcnt_dscnt 0xa05
	s_set_vgpr_msb 1                        ;  msbs: dst=0 src0=1 src1=0 src2=0
	v_dual_fma_f32 v23, v24 /*v280*/, v168, -v23 :: v_dual_mul_f32 v21, v37 /*v293*/, v181
	v_dual_mul_f32 v55, v28 /*v284*/, v173 :: v_dual_mul_f32 v57, v30 /*v286*/, v175
	v_dual_mul_f32 v59, v32 /*v288*/, v177 :: v_dual_mul_f32 v61, v34 /*v290*/, v179
	v_dual_fmac_f32 v51, v25 /*v281*/, v168 :: v_dual_fmac_f32 v53, v27 /*v283*/, v170
	v_fma_f32 v11, v26 /*v282*/, v170, -v11
	s_set_vgpr_msb 0                        ;  msbs: dst=0 src0=0 src1=0 src2=0
	v_dual_add_f32 v9, v9, v23 :: v_dual_add_f32 v7, v7, v49
	s_set_vgpr_msb 1                        ;  msbs: dst=0 src0=1 src1=0 src2=0
	v_dual_mul_f32 v23, v39 /*v295*/, v183 :: v_dual_fmac_f32 v55, v29 /*v285*/, v172
	v_fma_f32 v13, v28 /*v284*/, v172, -v13
	v_dual_fmac_f32 v57, v31 /*v287*/, v174 :: v_dual_fmac_f32 v59, v33 /*v289*/, v176
	s_set_vgpr_msb 0                        ;  msbs: dst=0 src0=0 src1=0 src2=0
	v_add_f32_e32 v9, v9, v11
	s_set_vgpr_msb 1                        ;  msbs: dst=0 src0=1 src1=0 src2=0
	v_dual_mul_f32 v63, v36 /*v292*/, v181 :: v_dual_mul_f32 v65, v38 /*v294*/, v183
	s_set_vgpr_msb 0                        ;  msbs: dst=0 src0=0 src1=0 src2=0
	v_add_f32_e32 v7, v7, v51
	s_wait_loadcnt_dscnt 0x904
	s_set_vgpr_msb 1                        ;  msbs: dst=0 src0=1 src1=0 src2=0
	v_dual_mul_f32 v11, v41 /*v297*/, v185 :: v_dual_fma_f32 v15, v30 /*v286*/, v174, -v15
	s_set_vgpr_msb 0                        ;  msbs: dst=0 src0=0 src1=0 src2=0
	v_add_f32_e32 v9, v9, v13
	s_set_vgpr_msb 1                        ;  msbs: dst=0 src0=1 src1=0 src2=0
	v_dual_mul_f32 v13, v43 /*v299*/, v187 :: v_dual_fma_f32 v17, v32 /*v288*/, v176, -v17
	s_set_vgpr_msb 0                        ;  msbs: dst=0 src0=0 src1=0 src2=0
	v_add_f32_e32 v7, v7, v53
	s_set_vgpr_msb 1                        ;  msbs: dst=0 src0=1 src1=0 src2=0
	v_dual_fmac_f32 v61, v35 /*v291*/, v178 :: v_dual_fmac_f32 v63, v37 /*v293*/, v180
	s_set_vgpr_msb 0                        ;  msbs: dst=0 src0=0 src1=0 src2=0
	v_add_f32_e32 v9, v9, v15
	s_set_vgpr_msb 1                        ;  msbs: dst=0 src0=1 src1=0 src2=0
	v_dual_mul_f32 v67, v40 /*v296*/, v185 :: v_dual_mul_f32 v69, v42 /*v298*/, v187
	s_set_vgpr_msb 0                        ;  msbs: dst=0 src0=0 src1=0 src2=0
	v_add_f32_e32 v7, v7, v55
	s_wait_loadcnt_dscnt 0x803
	s_set_vgpr_msb 1                        ;  msbs: dst=0 src0=1 src1=0 src2=0
	v_dual_mul_f32 v15, v45 /*v301*/, v189 :: v_dual_fma_f32 v19, v34 /*v290*/, v178, -v19
	s_set_vgpr_msb 0                        ;  msbs: dst=0 src0=0 src1=0 src2=0
	v_add_f32_e32 v9, v9, v17
	s_set_vgpr_msb 1                        ;  msbs: dst=0 src0=1 src1=0 src2=0
	v_dual_mul_f32 v17, v47 /*v303*/, v191 :: v_dual_fma_f32 v21, v36 /*v292*/, v180, -v21
	s_set_vgpr_msb 0                        ;  msbs: dst=0 src0=0 src1=0 src2=0
	v_add_f32_e32 v7, v7, v57
	s_set_vgpr_msb 1                        ;  msbs: dst=0 src0=1 src1=0 src2=0
	v_dual_fmac_f32 v65, v39 /*v295*/, v182 :: v_dual_fmac_f32 v67, v41 /*v297*/, v184
	s_set_vgpr_msb 0                        ;  msbs: dst=0 src0=0 src1=0 src2=0
	v_add_f32_e32 v9, v9, v19
	s_set_vgpr_msb 1                        ;  msbs: dst=0 src0=1 src1=0 src2=0
	v_dual_mul_f32 v71, v44 /*v300*/, v189 :: v_dual_mul_f32 v73, v46 /*v302*/, v191
	s_set_vgpr_msb 0                        ;  msbs: dst=0 src0=0 src1=0 src2=0
	v_add_f32_e32 v7, v7, v59
	s_wait_loadcnt_dscnt 0x702
	s_set_vgpr_msb 1                        ;  msbs: dst=0 src0=1 src1=0 src2=0
	v_dual_mul_f32 v19, v49 /*v305*/, v193 :: v_dual_fma_f32 v23, v38 /*v294*/, v182, -v23
	s_set_vgpr_msb 0                        ;  msbs: dst=0 src0=0 src1=0 src2=0
	v_add_f32_e32 v9, v9, v21
	s_set_vgpr_msb 1                        ;  msbs: dst=0 src0=1 src1=0 src2=0
	v_dual_mul_f32 v75, v48 /*v304*/, v193 :: v_dual_mul_f32 v77, v50 /*v306*/, v195
	s_set_vgpr_msb 0                        ;  msbs: dst=0 src0=0 src1=0 src2=0
	v_add_f32_e32 v7, v7, v61
	s_set_vgpr_msb 1                        ;  msbs: dst=0 src0=1 src1=0 src2=0
	v_dual_mul_f32 v21, v51 /*v307*/, v195 :: v_dual_fma_f32 v11, v40 /*v296*/, v184, -v11
	v_dual_fmac_f32 v69, v43 /*v299*/, v186 :: v_dual_fmac_f32 v71, v45 /*v301*/, v188
	s_set_vgpr_msb 0                        ;  msbs: dst=0 src0=0 src1=0 src2=0
	v_add_f32_e32 v9, v9, v23
	s_wait_loadcnt_dscnt 0x601
	s_set_vgpr_msb 1                        ;  msbs: dst=0 src0=1 src1=0 src2=0
	v_dual_mul_f32 v23, v53 /*v309*/, v197 :: v_dual_fma_f32 v13, v42 /*v298*/, v186, -v13
	v_dual_fmac_f32 v73, v47 /*v303*/, v190 :: v_dual_fmac_f32 v75, v49 /*v305*/, v192
	s_set_vgpr_msb 0                        ;  msbs: dst=0 src0=0 src1=0 src2=0
	v_add_f32_e32 v9, v9, v11
	v_add_f32_e32 v7, v7, v63
	s_set_vgpr_msb 1                        ;  msbs: dst=0 src0=1 src1=0 src2=0
	v_dual_mul_f32 v11, v55 /*v311*/, v199 :: v_dual_fma_f32 v15, v44 /*v300*/, v188, -v15
	v_fma_f32 v17, v46 /*v302*/, v190, -v17
	s_set_vgpr_msb 0                        ;  msbs: dst=0 src0=0 src1=0 src2=0
	v_add_f32_e32 v9, v9, v13
	v_add_f32_e32 v7, v7, v65
	s_wait_loadcnt_dscnt 0x500
	s_set_vgpr_msb 1                        ;  msbs: dst=0 src0=1 src1=0 src2=0
	v_mul_f32_e32 v13, v57 /*v313*/, v201
	s_wait_loadcnt 0x4
	s_set_vgpr_msb 0                        ;  msbs: dst=0 src0=0 src1=0 src2=0
	v_mov_b32_e32 v126, v207
	s_set_vgpr_msb 1                        ;  msbs: dst=0 src0=1 src1=0 src2=0
	v_dual_mul_f32 v79, v52 /*v308*/, v197 :: v_dual_mul_f32 v81, v54 /*v310*/, v199
	s_set_vgpr_msb 0                        ;  msbs: dst=0 src0=0 src1=0 src2=0
	v_add_f32_e32 v9, v9, v15
	v_add_f32_e32 v7, v7, v67
	s_set_vgpr_msb 1                        ;  msbs: dst=0 src0=1 src1=0 src2=0
	v_dual_mul_f32 v15, v59 /*v315*/, v203 :: v_dual_fma_f32 v19, v48 /*v304*/, v192, -v19
	v_dual_fmac_f32 v77, v51 /*v307*/, v194 :: v_dual_fmac_f32 v79, v53 /*v309*/, v196
	s_set_vgpr_msb 0                        ;  msbs: dst=0 src0=0 src1=0 src2=0
	v_add_f32_e32 v9, v9, v17
	v_add_f32_e32 v7, v7, v69
	s_set_vgpr_msb 1                        ;  msbs: dst=0 src0=1 src1=0 src2=0
	v_fma_f32 v17, v50 /*v306*/, v194, -v21
	s_set_vgpr_msb 0x41                     ;  msbs: dst=1 src0=1 src1=0 src2=0
	v_dual_mul_f32 v71 /*v327*/, v56 /*v312*/, v201 :: v_dual_mul_f32 v73 /*v329*/, v58 /*v314*/, v203
	s_set_vgpr_msb 0                        ;  msbs: dst=0 src0=0 src1=0 src2=0
	v_add_f32_e32 v9, v9, v19
	s_set_vgpr_msb 1                        ;  msbs: dst=0 src0=1 src1=0 src2=0
	v_fma_f32 v19, v52 /*v308*/, v196, -v23
	s_set_vgpr_msb 0                        ;  msbs: dst=0 src0=0 src1=0 src2=0
	v_add_f32_e32 v7, v7, v71
	s_set_vgpr_msb 1                        ;  msbs: dst=0 src0=1 src1=0 src2=0
	v_dual_fmac_f32 v81, v55 /*v311*/, v198 :: v_dual_fma_f32 v11, v54 /*v310*/, v198, -v11
	s_set_vgpr_msb 0                        ;  msbs: dst=0 src0=0 src1=0 src2=0
	v_add_f32_e32 v9, v9, v17
	v_pk_mul_f32 v[124:125], v[236:237], v[204:205] op_sel:[1,1] op_sel_hi:[0,1]
	v_add_f32_e32 v7, v7, v73
	s_wait_loadcnt 0x3
	v_mov_b32_e32 v130, v211
	s_set_vgpr_msb 0x41                     ;  msbs: dst=1 src0=1 src1=0 src2=0
	v_dual_fmac_f32 v71 /*v327*/, v57 /*v313*/, v200 :: v_dual_fmac_f32 v73 /*v329*/, v59 /*v315*/, v202
	s_set_vgpr_msb 0                        ;  msbs: dst=0 src0=0 src1=0 src2=0
	v_add_f32_e32 v9, v9, v19
	v_add_f32_e32 v7, v7, v75
	s_set_vgpr_msb 0x41                     ;  msbs: dst=1 src0=1 src1=0 src2=0
	v_dual_fma_f32 v70 /*v326*/, v56 /*v312*/, v200, -v13 :: v_dual_fma_f32 v72 /*v328*/, v58 /*v314*/, v202, -v15
	s_set_vgpr_msb 0                        ;  msbs: dst=0 src0=0 src1=0 src2=0
	v_pk_fma_f32 v[134:135], v[236:237], v[204:205], v[124:125] op_sel_hi:[1,0,1]
	v_dual_add_f32 v132, v9, v11 :: v_dual_add_f32 v7, v7, v77
	s_set_vgpr_msb 1                        ;  msbs: dst=0 src0=1 src1=0 src2=0
	v_pk_mul_f32 v[126:127], v[62:63] /*v[318:319]*/, v[126:127] op_sel_hi:[1,0]
	s_set_vgpr_msb 0                        ;  msbs: dst=0 src0=0 src1=0 src2=0
	v_pk_fma_f32 v[124:125], v[236:237], v[204:205], v[124:125] neg_lo:[0,0,1] neg_hi:[0,0,1]
	v_pk_mul_f32 v[128:129], v[240:241], v[208:209] op_sel:[1,1] op_sel_hi:[0,1]
	v_mov_b32_e32 v125, v135
	v_add_f32_e32 v7, v7, v79
	v_pk_fma_f32 v[134:135], v[238:239], v[206:207], v[126:127] op_sel_hi:[1,0,1]
	v_pk_fma_f32 v[126:127], v[238:239], v[206:207], v[126:127] neg_lo:[0,0,1] neg_hi:[0,0,1]
	v_pk_fma_f32 v[138:139], v[240:241], v[208:209], v[128:129] op_sel_hi:[1,0,1]
	s_set_vgpr_msb 1                        ;  msbs: dst=0 src0=1 src1=0 src2=0
	v_pk_mul_f32 v[130:131], v[64:65] /*v[320:321]*/, v[130:131] op_sel_hi:[1,0]
	s_set_vgpr_msb 0                        ;  msbs: dst=0 src0=0 src1=0 src2=0
	v_add_f32_e32 v133, v7, v81
	v_mov_b32_e32 v127, v135
	s_wait_loadcnt 0x2
	v_pk_mul_f32 v[136:137], v[252:253], v[212:213] op_sel:[1,1] op_sel_hi:[0,1]
	v_pk_fma_f32 v[128:129], v[240:241], v[208:209], v[128:129] neg_lo:[0,0,1] neg_hi:[0,0,1]
	v_mov_b32_e32 v129, v139
	s_set_vgpr_msb 4                        ;  msbs: dst=0 src0=0 src1=1 src2=0
	v_pk_add_f32 v[132:133], v[132:133], v[70:71] /*v[326:327]*/
	s_set_vgpr_msb 0                        ;  msbs: dst=0 src0=0 src1=0 src2=0
	v_pk_fma_f32 v[134:135], v[242:243], v[210:211], v[130:131] op_sel_hi:[1,0,1]
	v_pk_fma_f32 v[130:131], v[242:243], v[210:211], v[130:131] neg_lo:[0,0,1] neg_hi:[0,0,1]
	s_set_vgpr_msb 4                        ;  msbs: dst=0 src0=0 src1=1 src2=0
	v_pk_add_f32 v[132:133], v[132:133], v[72:73] /*v[328:329]*/
	s_set_vgpr_msb 0                        ;  msbs: dst=0 src0=0 src1=0 src2=0
	s_delay_alu instid0(VALU_DEP_1) | instskip(SKIP_1) | instid1(VALU_DEP_2)
	v_pk_add_f32 v[124:125], v[132:133], v[124:125]
	v_mov_b32_e32 v132, v215
	v_pk_add_f32 v[124:125], v[124:125], v[126:127]
	v_pk_fma_f32 v[126:127], v[252:253], v[212:213], v[136:137] op_sel_hi:[1,0,1]
	s_set_vgpr_msb 1                        ;  msbs: dst=0 src0=1 src1=0 src2=0
	s_delay_alu instid0(VALU_DEP_3)
	v_pk_mul_f32 v[132:133], v[66:67] /*v[322:323]*/, v[132:133] op_sel_hi:[1,0]
	s_set_vgpr_msb 0                        ;  msbs: dst=0 src0=0 src1=0 src2=0
	v_mov_b32_e32 v131, v135
	v_pk_fma_f32 v[134:135], v[252:253], v[212:213], v[136:137] neg_lo:[0,0,1] neg_hi:[0,0,1]
	v_pk_add_f32 v[124:125], v[124:125], v[128:129]
	v_mov_b32_e32 v135, v127
	v_pk_fma_f32 v[126:127], v[254:255], v[214:215], v[132:133] op_sel_hi:[1,0,1]
	s_wait_loadcnt 0x1
	s_set_vgpr_msb 1                        ;  msbs: dst=0 src0=1 src1=0 src2=0
	v_pk_mul_f32 v[128:129], v[0:1] /*v[256:257]*/, v[216:217] op_sel:[1,1] op_sel_hi:[0,1]
	s_set_vgpr_msb 0                        ;  msbs: dst=0 src0=0 src1=0 src2=0
	v_mov_b32_e32 v126, v219
	v_pk_add_f32 v[124:125], v[124:125], v[130:131]
	v_pk_fma_f32 v[132:133], v[254:255], v[214:215], v[132:133] neg_lo:[0,0,1] neg_hi:[0,0,1]
	v_mov_b32_e32 v133, v127
	s_set_vgpr_msb 1                        ;  msbs: dst=0 src0=1 src1=0 src2=0
	v_pk_fma_f32 v[130:131], v[0:1] /*v[256:257]*/, v[216:217], v[128:129] op_sel_hi:[1,0,1]
	v_pk_mul_f32 v[126:127], v[68:69] /*v[324:325]*/, v[126:127] op_sel_hi:[1,0]
	s_set_vgpr_msb 0                        ;  msbs: dst=0 src0=0 src1=0 src2=0
	v_pk_add_f32 v[124:125], v[124:125], v[134:135]
	s_set_vgpr_msb 1                        ;  msbs: dst=0 src0=1 src1=0 src2=0
	v_pk_fma_f32 v[128:129], v[0:1] /*v[256:257]*/, v[216:217], v[128:129] neg_lo:[0,0,1] neg_hi:[0,0,1]
	s_set_vgpr_msb 0                        ;  msbs: dst=0 src0=0 src1=0 src2=0
	v_mov_b32_e32 v129, v131
	s_set_vgpr_msb 1                        ;  msbs: dst=0 src0=1 src1=0 src2=0
	v_pk_fma_f32 v[130:131], v[2:3] /*v[258:259]*/, v[218:219], v[126:127] op_sel_hi:[1,0,1]
	s_set_vgpr_msb 0                        ;  msbs: dst=0 src0=0 src1=0 src2=0
	v_pk_add_f32 v[124:125], v[124:125], v[132:133]
	s_set_vgpr_msb 1                        ;  msbs: dst=0 src0=1 src1=0 src2=0
	v_pk_fma_f32 v[126:127], v[2:3] /*v[258:259]*/, v[218:219], v[126:127] neg_lo:[0,0,1] neg_hi:[0,0,1]
	s_set_vgpr_msb 0                        ;  msbs: dst=0 src0=0 src1=0 src2=0
	v_mov_b32_e32 v127, v131
	v_pk_add_f32 v[124:125], v[124:125], v[128:129]
	s_delay_alu instid0(VALU_DEP_1) | instskip(SKIP_2) | instid1(VALU_DEP_1)
	v_pk_add_f32 v[124:125], v[124:125], v[126:127]
	s_wait_loadcnt 0x0
	s_set_vgpr_msb 1                        ;  msbs: dst=0 src0=1 src1=0 src2=0
	v_pk_add_f32 v[124:125], v[60:61] /*v[316:317]*/, v[124:125] neg_lo:[0,1] neg_hi:[0,1]
	scratch_store_b64 off, v[124:125], off offset:96
	s_wait_xcnt 0x0
	v_cmpx_lt_u32_e32 11, v0
	s_set_vgpr_msb 0                        ;  msbs: dst=0 src0=0 src1=0 src2=0
	s_cbranch_execz .LBB124_357
; %bb.356:
	scratch_load_b64 v[124:125], off, off offset:88
	v_mov_b64_e32 v[126:127], 0
	scratch_store_b64 off, v[126:127], off offset:88
	s_wait_loadcnt 0x0
	ds_store_b64 v1, v[124:125]
.LBB124_357:
	s_wait_xcnt 0x0
	s_or_b32 exec_lo, exec_lo, s0
	s_wait_storecnt_dscnt 0x0
	s_barrier_signal -1
	s_barrier_wait -1
	s_clause 0x1a
	scratch_load_b128 v[124:127], off, off offset:96
	scratch_load_b128 v[128:131], off, off offset:112
	;; [unrolled: 1-line block ×24, first 2 shown]
	s_set_vgpr_msb 64                       ;  msbs: dst=1 src0=0 src1=0 src2=0
	scratch_load_b64 v[60:61] /*v[316:317]*/, off, off offset:480
	scratch_load_b64 v[62:63] /*v[318:319]*/, off, off offset:88
	s_set_vgpr_msb 0                        ;  msbs: dst=0 src0=0 src1=0 src2=0
	v_mov_b32_e32 v7, 0
	ds_load_b128 v[220:223], v7 offset:592
	ds_load_b128 v[224:227], v7 offset:608
	ds_load_b128 v[228:231], v7 offset:624
	ds_load_b128 v[232:235], v7 offset:640
	ds_load_b128 v[236:239], v7 offset:912
	ds_load_b128 v[240:243], v7 offset:656
	ds_load_b128 v[244:247], v7 offset:672
	ds_load_b128 v[248:251], v7 offset:928
	ds_load_b128 v[252:255], v7 offset:944
	s_set_vgpr_msb 64                       ;  msbs: dst=1 src0=0 src1=0 src2=0
	ds_load_b128 v[0:3] /*v[256:259]*/, v7 offset:688
	ds_load_b128 v[4:7] /*v[260:263]*/, v7 offset:704
	ds_load_b128 v[8:11] /*v[264:267]*/, v7 offset:960
	ds_load_b128 v[12:15] /*v[268:271]*/, v7 offset:720
	ds_load_b128 v[16:19] /*v[272:275]*/, v7 offset:736
	ds_load_b128 v[20:23] /*v[276:279]*/, v7 offset:752
	ds_load_b128 v[24:27] /*v[280:283]*/, v7 offset:768
	ds_load_b128 v[28:31] /*v[284:287]*/, v7 offset:784
	ds_load_b128 v[32:35] /*v[288:291]*/, v7 offset:800
	ds_load_b128 v[36:39] /*v[292:295]*/, v7 offset:816
	ds_load_b128 v[40:43] /*v[296:299]*/, v7 offset:832
	ds_load_b128 v[44:47] /*v[300:303]*/, v7 offset:848
	ds_load_b128 v[48:51] /*v[304:307]*/, v7 offset:864
	ds_load_b128 v[52:55] /*v[308:311]*/, v7 offset:880
	ds_load_b128 v[56:59] /*v[312:315]*/, v7 offset:896
	ds_load_b64 v[64:65] /*v[320:321]*/, v7 offset:976
	s_wait_dscnt 0x14
	v_dual_mov_b32 v66 /*v322*/, v239 :: v_dual_mov_b32 v67 /*v323*/, v238
	s_wait_dscnt 0x11
	v_dual_mov_b32 v68 /*v324*/, v251 :: v_dual_mov_b32 v69 /*v325*/, v250
	;; [unrolled: 2-line block ×3, first 2 shown]
	s_wait_dscnt 0xd
	s_set_vgpr_msb 0x41                     ;  msbs: dst=1 src0=1 src1=0 src2=0
	v_dual_mov_b32 v72 /*v328*/, v11 /*v267*/ :: v_dual_mov_b32 v73 /*v329*/, v10 /*v266*/
	s_mov_b32 s0, exec_lo
	s_wait_loadcnt 0x19
	s_set_vgpr_msb 0                        ;  msbs: dst=0 src0=0 src1=0 src2=0
	v_dual_mul_f32 v9, v220, v125 :: v_dual_mul_f32 v87, v221, v125
	s_wait_loadcnt 0x18
	v_dual_mul_f32 v11, v222, v127 :: v_dual_mul_f32 v13, v224, v129
	v_dual_mul_f32 v89, v223, v127 :: v_dual_mul_f32 v91, v225, v129
	s_wait_loadcnt 0x14
	v_dual_mul_f32 v31, v246, v147 :: v_dual_fmac_f32 v9, v221, v124
	v_dual_fma_f32 v87, v220, v124, -v87 :: v_dual_mul_f32 v101, v235, v139
	s_delay_alu instid0(VALU_DEP_3) | instskip(NEXT) | instid1(VALU_DEP_3)
	v_dual_fma_f32 v89, v222, v126, -v89 :: v_dual_fmac_f32 v11, v223, v126
	v_dual_add_f32 v9, 0, v9 :: v_dual_mul_f32 v15, v226, v131
	s_delay_alu instid0(VALU_DEP_3)
	v_dual_mul_f32 v17, v228, v133 :: v_dual_add_f32 v87, 0, v87
	v_dual_mul_f32 v93, v227, v131 :: v_dual_mul_f32 v95, v229, v133
	v_dual_mul_f32 v103, v241, v141 :: v_dual_fma_f32 v91, v224, v128, -v91
	s_wait_loadcnt_dscnt 0x601
	s_set_vgpr_msb 1                        ;  msbs: dst=0 src0=1 src1=0 src2=0
	v_mul_f32_e32 v85, v56 /*v312*/, v201
	s_set_vgpr_msb 0                        ;  msbs: dst=0 src0=0 src1=0 src2=0
	v_fmac_f32_e32 v13, v225, v128
	v_dual_add_f32 v9, v9, v11 :: v_dual_fmac_f32 v15, v227, v130
	v_add_f32_e32 v11, v87, v89
	v_dual_mul_f32 v87, v243, v143 :: v_dual_fma_f32 v89, v226, v130, -v93
	s_delay_alu instid0(VALU_DEP_3) | instskip(NEXT) | instid1(VALU_DEP_3)
	v_dual_add_f32 v9, v9, v13 :: v_dual_mul_f32 v19, v230, v135
	v_dual_mul_f32 v21, v232, v137 :: v_dual_add_f32 v11, v11, v91
	v_dual_mul_f32 v97, v231, v135 :: v_dual_mul_f32 v99, v233, v137
	v_dual_mul_f32 v13, v245, v145 :: v_dual_fma_f32 v91, v228, v132, -v95
	s_delay_alu instid0(VALU_DEP_3) | instskip(SKIP_1) | instid1(VALU_DEP_4)
	v_dual_fmac_f32 v17, v229, v132 :: v_dual_add_f32 v11, v11, v89
	v_dual_add_f32 v9, v9, v15 :: v_dual_fmac_f32 v19, v231, v134
	v_dual_mul_f32 v15, v247, v147 :: v_dual_fma_f32 v89, v230, v134, -v97
	s_delay_alu instid0(VALU_DEP_2) | instskip(SKIP_2) | instid1(VALU_DEP_3)
	v_dual_add_f32 v11, v11, v91 :: v_dual_add_f32 v9, v9, v17
	v_dual_mul_f32 v23, v234, v139 :: v_dual_mul_f32 v25, v240, v141
	v_dual_fmac_f32 v21, v233, v136 :: v_dual_fma_f32 v91, v232, v136, -v99
	v_dual_add_f32 v9, v9, v19 :: v_dual_add_f32 v11, v11, v89
	s_delay_alu instid0(VALU_DEP_3) | instskip(SKIP_1) | instid1(VALU_DEP_3)
	v_dual_fmac_f32 v23, v235, v138 :: v_dual_fma_f32 v89, v234, v138, -v101
	v_dual_mul_f32 v27, v242, v143 :: v_dual_mul_f32 v29, v244, v145
	v_dual_add_f32 v9, v9, v21 :: v_dual_add_f32 v11, v11, v91
	v_dual_fmac_f32 v25, v241, v140 :: v_dual_fma_f32 v91, v240, v140, -v103
	s_set_vgpr_msb 1                        ;  msbs: dst=0 src0=1 src1=0 src2=0
	v_dual_mul_f32 v33, v0 /*v256*/, v149 :: v_dual_mul_f32 v35, v2 /*v258*/, v151
	s_set_vgpr_msb 0                        ;  msbs: dst=0 src0=0 src1=0 src2=0
	v_dual_add_f32 v9, v9, v23 :: v_dual_add_f32 v11, v11, v89
	v_fmac_f32_e32 v27, v243, v142
	v_fma_f32 v87, v242, v142, -v87
	s_set_vgpr_msb 1                        ;  msbs: dst=0 src0=1 src1=0 src2=0
	v_dual_mul_f32 v17, v1 /*v257*/, v149 :: v_dual_mul_f32 v19, v3 /*v259*/, v151
	s_set_vgpr_msb 0                        ;  msbs: dst=0 src0=0 src1=0 src2=0
	v_dual_add_f32 v9, v9, v25 :: v_dual_add_f32 v11, v11, v91
	v_fmac_f32_e32 v29, v245, v144
	v_fma_f32 v13, v244, v144, -v13
	s_set_vgpr_msb 1                        ;  msbs: dst=0 src0=1 src1=0 src2=0
	v_fmac_f32_e32 v33, v1 /*v257*/, v148
	s_set_vgpr_msb 0                        ;  msbs: dst=0 src0=0 src1=0 src2=0
	v_add_f32_e32 v9, v9, v27
	v_add_f32_e32 v11, v11, v87
	v_fmac_f32_e32 v31, v247, v146
	v_fma_f32 v15, v246, v146, -v15
	s_set_vgpr_msb 1                        ;  msbs: dst=0 src0=1 src1=0 src2=0
	v_fma_f32 v17, v0 /*v256*/, v148, -v17
	s_set_vgpr_msb 0                        ;  msbs: dst=0 src0=0 src1=0 src2=0
	v_add_f32_e32 v9, v9, v29
	v_add_f32_e32 v11, v11, v13
	s_set_vgpr_msb 1                        ;  msbs: dst=0 src0=1 src1=0 src2=0
	v_mul_f32_e32 v13, v17 /*v273*/, v161
	v_dual_mul_f32 v37, v4 /*v260*/, v153 :: v_dual_mul_f32 v39, v6 /*v262*/, v155
	v_dual_mul_f32 v21, v5 /*v261*/, v153 :: v_dual_mul_f32 v23, v7 /*v263*/, v155
	s_set_vgpr_msb 0                        ;  msbs: dst=0 src0=0 src1=0 src2=0
	v_add_f32_e32 v11, v11, v15
	v_add_f32_e32 v9, v9, v31
	s_set_vgpr_msb 1                        ;  msbs: dst=0 src0=1 src1=0 src2=0
	v_mul_f32_e32 v15, v19 /*v275*/, v163
	v_fmac_f32_e32 v35, v3 /*v259*/, v150
	v_dual_fma_f32 v19, v2 /*v258*/, v150, -v19 :: v_dual_fmac_f32 v37, v5 /*v261*/, v152
	s_set_vgpr_msb 0                        ;  msbs: dst=0 src0=0 src1=0 src2=0
	v_add_f32_e32 v11, v11, v17
	v_add_f32_e32 v9, v9, v33
	s_set_vgpr_msb 1                        ;  msbs: dst=0 src0=1 src1=0 src2=0
	v_dual_mul_f32 v17, v21 /*v277*/, v165 :: v_dual_fma_f32 v21, v4 /*v260*/, v152, -v21
	v_dual_mul_f32 v41, v12 /*v268*/, v157 :: v_dual_mul_f32 v43, v14 /*v270*/, v159
	s_set_vgpr_msb 0                        ;  msbs: dst=0 src0=0 src1=0 src2=0
	v_add_f32_e32 v11, v11, v19
	s_set_vgpr_msb 1                        ;  msbs: dst=0 src0=1 src1=0 src2=0
	v_mul_f32_e32 v19, v23 /*v279*/, v167
	s_set_vgpr_msb 0                        ;  msbs: dst=0 src0=0 src1=0 src2=0
	v_add_f32_e32 v9, v9, v35
	s_set_vgpr_msb 1                        ;  msbs: dst=0 src0=1 src1=0 src2=0
	v_dual_mul_f32 v25, v13 /*v269*/, v157 :: v_dual_mul_f32 v27, v15 /*v271*/, v159
	v_fmac_f32_e32 v39, v7 /*v263*/, v154
	v_dual_fma_f32 v23, v6 /*v262*/, v154, -v23 :: v_dual_fmac_f32 v41, v13 /*v269*/, v156
	s_set_vgpr_msb 0                        ;  msbs: dst=0 src0=0 src1=0 src2=0
	v_add_f32_e32 v11, v11, v21
	v_add_f32_e32 v9, v9, v37
	s_set_vgpr_msb 1                        ;  msbs: dst=0 src0=1 src1=0 src2=0
	v_dual_mul_f32 v21, v25 /*v281*/, v169 :: v_dual_fma_f32 v25, v12 /*v268*/, v156, -v25
	v_dual_mul_f32 v45, v16 /*v272*/, v161 :: v_dual_mul_f32 v47, v18 /*v274*/, v163
	s_set_vgpr_msb 0                        ;  msbs: dst=0 src0=0 src1=0 src2=0
	v_add_f32_e32 v11, v11, v23
	s_set_vgpr_msb 1                        ;  msbs: dst=0 src0=1 src1=0 src2=0
	v_mul_f32_e32 v23, v27 /*v283*/, v171
	s_set_vgpr_msb 0                        ;  msbs: dst=0 src0=0 src1=0 src2=0
	v_add_f32_e32 v9, v9, v39
	s_set_vgpr_msb 1                        ;  msbs: dst=0 src0=1 src1=0 src2=0
	v_fmac_f32_e32 v43, v15 /*v271*/, v158
	v_dual_fma_f32 v27, v14 /*v270*/, v158, -v27 :: v_dual_fmac_f32 v45, v17 /*v273*/, v160
	s_set_vgpr_msb 0                        ;  msbs: dst=0 src0=0 src1=0 src2=0
	v_add_f32_e32 v11, v11, v25
	v_add_f32_e32 v9, v9, v41
	s_set_vgpr_msb 1                        ;  msbs: dst=0 src0=1 src1=0 src2=0
	v_dual_mul_f32 v25, v29 /*v285*/, v173 :: v_dual_fma_f32 v13, v16 /*v272*/, v160, -v13
	v_dual_mul_f32 v49, v20 /*v276*/, v165 :: v_dual_mul_f32 v51, v22 /*v278*/, v167
	s_set_vgpr_msb 0                        ;  msbs: dst=0 src0=0 src1=0 src2=0
	v_add_f32_e32 v11, v11, v27
	s_set_vgpr_msb 1                        ;  msbs: dst=0 src0=1 src1=0 src2=0
	v_mul_f32_e32 v27, v31 /*v287*/, v175
	s_set_vgpr_msb 0                        ;  msbs: dst=0 src0=0 src1=0 src2=0
	v_add_f32_e32 v9, v9, v43
	s_set_vgpr_msb 1                        ;  msbs: dst=0 src0=1 src1=0 src2=0
	;; [unrolled: 15-line block ×9, first 2 shown]
	v_dual_fmac_f32 v75, v47 /*v303*/, v190 :: v_dual_fmac_f32 v77, v49 /*v305*/, v192
	v_dual_fma_f32 v27, v46 /*v302*/, v190, -v27 :: v_dual_fma_f32 v13, v48 /*v304*/, v192, -v13
	s_set_vgpr_msb 0                        ;  msbs: dst=0 src0=0 src1=0 src2=0
	v_add_f32_e32 v11, v11, v25
	v_add_f32_e32 v9, v9, v73
	s_set_vgpr_msb 1                        ;  msbs: dst=0 src0=1 src1=0 src2=0
	v_dual_mul_f32 v81, v52 /*v308*/, v197 :: v_dual_mul_f32 v83, v54 /*v310*/, v199
	s_wait_loadcnt 0x5
	s_set_vgpr_msb 0                        ;  msbs: dst=0 src0=0 src1=0 src2=0
	v_dual_mul_f32 v25, v237, v205 :: v_dual_add_f32 v11, v11, v27
	v_dual_add_f32 v9, v9, v75 :: v_dual_mov_b32 v124, v207
	s_set_vgpr_msb 1                        ;  msbs: dst=0 src0=1 src1=0 src2=0
	v_dual_fmac_f32 v79, v51 /*v307*/, v194 :: v_dual_fmac_f32 v81, v53 /*v309*/, v196
	v_fma_f32 v15, v50 /*v306*/, v194, -v15
	s_set_vgpr_msb 0                        ;  msbs: dst=0 src0=0 src1=0 src2=0
	v_add_f32_e32 v11, v11, v13
	s_set_vgpr_msb 1                        ;  msbs: dst=0 src0=1 src1=0 src2=0
	v_fma_f32 v13, v52 /*v308*/, v196, -v17
	s_set_vgpr_msb 0                        ;  msbs: dst=0 src0=0 src1=0 src2=0
	v_add_f32_e32 v9, v9, v77
	s_set_vgpr_msb 1                        ;  msbs: dst=0 src0=1 src1=0 src2=0
	v_dual_fmac_f32 v83, v55 /*v311*/, v198 :: v_dual_fmac_f32 v85, v57 /*v313*/, v200
	s_set_vgpr_msb 0                        ;  msbs: dst=0 src0=0 src1=0 src2=0
	v_add_f32_e32 v11, v11, v15
	s_set_vgpr_msb 1                        ;  msbs: dst=0 src0=1 src1=0 src2=0
	v_fma_f32 v15, v54 /*v310*/, v198, -v19
	s_wait_loadcnt 0x4
	s_set_vgpr_msb 0                        ;  msbs: dst=0 src0=0 src1=0 src2=0
	v_dual_add_f32 v9, v9, v79 :: v_dual_mov_b32 v128, v211
	s_set_vgpr_msb 0x41                     ;  msbs: dst=1 src0=1 src1=0 src2=0
	v_dual_mul_f32 v75 /*v331*/, v58 /*v314*/, v203 :: v_dual_fma_f32 v74 /*v330*/, v58 /*v314*/, v202, -v23
	s_set_vgpr_msb 1                        ;  msbs: dst=0 src0=1 src1=0 src2=0
	v_pk_mul_f32 v[124:125], v[66:67] /*v[322:323]*/, v[124:125] op_sel_hi:[1,0]
	s_set_vgpr_msb 0                        ;  msbs: dst=0 src0=0 src1=0 src2=0
	v_add_f32_e32 v9, v9, v81
	v_add_f32_e32 v11, v11, v13
	s_set_vgpr_msb 1                        ;  msbs: dst=0 src0=1 src1=0 src2=0
	v_fma_f32 v13, v56 /*v312*/, v200, -v21
	s_set_vgpr_msb 64                       ;  msbs: dst=1 src0=0 src1=0 src2=0
	v_dual_mul_f32 v77 /*v333*/, v236, v205 :: v_dual_fma_f32 v76 /*v332*/, v236, v204, -v25
	s_set_vgpr_msb 0                        ;  msbs: dst=0 src0=0 src1=0 src2=0
	v_add_f32_e32 v9, v9, v83
	v_add_f32_e32 v11, v11, v15
	s_set_vgpr_msb 0x41                     ;  msbs: dst=1 src0=1 src1=0 src2=0
	v_fmac_f32_e32 v75 /*v331*/, v59 /*v315*/, v202
	s_set_vgpr_msb 0                        ;  msbs: dst=0 src0=0 src1=0 src2=0
	v_pk_fma_f32 v[136:137], v[238:239], v[206:207], v[124:125] op_sel_hi:[1,0,1]
	v_pk_fma_f32 v[124:125], v[238:239], v[206:207], v[124:125] neg_lo:[0,0,1] neg_hi:[0,0,1]
	v_add_f32_e32 v133, v9, v85
	v_add_f32_e32 v132, v11, v13
	v_pk_mul_f32 v[126:127], v[248:249], v[208:209] op_sel:[1,1] op_sel_hi:[0,1]
	s_set_vgpr_msb 64                       ;  msbs: dst=1 src0=0 src1=0 src2=0
	v_fmac_f32_e32 v77 /*v333*/, v237, v204
	s_set_vgpr_msb 0                        ;  msbs: dst=0 src0=0 src1=0 src2=0
	v_mov_b32_e32 v125, v137
	s_set_vgpr_msb 1                        ;  msbs: dst=0 src0=1 src1=0 src2=0
	v_pk_mul_f32 v[128:129], v[68:69] /*v[324:325]*/, v[128:129] op_sel_hi:[1,0]
	s_set_vgpr_msb 4                        ;  msbs: dst=0 src0=0 src1=1 src2=0
	v_pk_add_f32 v[132:133], v[132:133], v[74:75] /*v[330:331]*/
	s_set_vgpr_msb 0                        ;  msbs: dst=0 src0=0 src1=0 src2=0
	v_pk_fma_f32 v[138:139], v[248:249], v[208:209], v[126:127] op_sel_hi:[1,0,1]
	v_pk_fma_f32 v[126:127], v[248:249], v[208:209], v[126:127] neg_lo:[0,0,1] neg_hi:[0,0,1]
	s_wait_loadcnt 0x3
	v_pk_mul_f32 v[130:131], v[252:253], v[212:213] op_sel:[1,1] op_sel_hi:[0,1]
	v_mov_b32_e32 v134, v215
	s_set_vgpr_msb 4                        ;  msbs: dst=0 src0=0 src1=1 src2=0
	v_pk_add_f32 v[132:133], v[132:133], v[76:77] /*v[332:333]*/
	v_mov_b32_e32 v127, v139
	s_set_vgpr_msb 0                        ;  msbs: dst=0 src0=0 src1=0 src2=0
	v_pk_fma_f32 v[138:139], v[250:251], v[210:211], v[128:129] op_sel_hi:[1,0,1]
	v_pk_fma_f32 v[128:129], v[250:251], v[210:211], v[128:129] neg_lo:[0,0,1] neg_hi:[0,0,1]
	s_set_vgpr_msb 1                        ;  msbs: dst=0 src0=1 src1=0 src2=0
	v_pk_mul_f32 v[134:135], v[70:71] /*v[326:327]*/, v[134:135] op_sel_hi:[1,0]
	s_set_vgpr_msb 0                        ;  msbs: dst=0 src0=0 src1=0 src2=0
	v_pk_add_f32 v[124:125], v[132:133], v[124:125]
	v_pk_fma_f32 v[132:133], v[252:253], v[212:213], v[130:131] op_sel_hi:[1,0,1]
	v_mov_b32_e32 v129, v139
	v_pk_fma_f32 v[130:131], v[252:253], v[212:213], v[130:131] neg_lo:[0,0,1] neg_hi:[0,0,1]
	s_wait_loadcnt 0x2
	s_set_vgpr_msb 1                        ;  msbs: dst=0 src0=1 src1=0 src2=0
	v_pk_mul_f32 v[136:137], v[8:9] /*v[264:265]*/, v[216:217] op_sel:[1,1] op_sel_hi:[0,1]
	s_set_vgpr_msb 0                        ;  msbs: dst=0 src0=0 src1=0 src2=0
	v_pk_add_f32 v[124:125], v[124:125], v[126:127]
	v_dual_mov_b32 v126, v219 :: v_dual_mov_b32 v131, v133
	v_pk_fma_f32 v[132:133], v[254:255], v[214:215], v[134:135] op_sel_hi:[1,0,1]
	v_pk_fma_f32 v[134:135], v[254:255], v[214:215], v[134:135] neg_lo:[0,0,1] neg_hi:[0,0,1]
	s_delay_alu instid0(VALU_DEP_4)
	v_pk_add_f32 v[124:125], v[124:125], v[128:129]
	s_set_vgpr_msb 1                        ;  msbs: dst=0 src0=1 src1=0 src2=0
	v_pk_fma_f32 v[128:129], v[8:9] /*v[264:265]*/, v[216:217], v[136:137] op_sel_hi:[1,0,1]
	v_pk_mul_f32 v[126:127], v[72:73] /*v[328:329]*/, v[126:127] op_sel_hi:[1,0]
	s_set_vgpr_msb 0                        ;  msbs: dst=0 src0=0 src1=0 src2=0
	v_mov_b32_e32 v135, v133
	s_wait_loadcnt_dscnt 0x100
	s_set_vgpr_msb 5                        ;  msbs: dst=0 src0=1 src1=1 src2=0
	v_pk_mul_f32 v[132:133], v[64:65] /*v[320:321]*/, v[60:61] /*v[316:317]*/ op_sel:[1,1] op_sel_hi:[0,1]
	s_set_vgpr_msb 0                        ;  msbs: dst=0 src0=0 src1=0 src2=0
	v_pk_add_f32 v[124:125], v[124:125], v[130:131]
	s_set_vgpr_msb 1                        ;  msbs: dst=0 src0=1 src1=0 src2=0
	v_pk_fma_f32 v[130:131], v[8:9] /*v[264:265]*/, v[216:217], v[136:137] neg_lo:[0,0,1] neg_hi:[0,0,1]
	s_set_vgpr_msb 0                        ;  msbs: dst=0 src0=0 src1=0 src2=0
	v_mov_b32_e32 v131, v129
	s_set_vgpr_msb 1                        ;  msbs: dst=0 src0=1 src1=0 src2=0
	v_pk_fma_f32 v[128:129], v[10:11] /*v[266:267]*/, v[218:219], v[126:127] op_sel_hi:[1,0,1]
	v_pk_fma_f32 v[126:127], v[10:11] /*v[266:267]*/, v[218:219], v[126:127] neg_lo:[0,0,1] neg_hi:[0,0,1]
	s_set_vgpr_msb 0                        ;  msbs: dst=0 src0=0 src1=0 src2=0
	v_pk_add_f32 v[124:125], v[124:125], v[134:135]
	s_delay_alu instid0(VALU_DEP_3)
	v_mov_b32_e32 v127, v129
	s_set_vgpr_msb 5                        ;  msbs: dst=0 src0=1 src1=1 src2=0
	v_pk_fma_f32 v[128:129], v[64:65] /*v[320:321]*/, v[60:61] /*v[316:317]*/, v[132:133] op_sel_hi:[1,0,1]
	s_set_vgpr_msb 0                        ;  msbs: dst=0 src0=0 src1=0 src2=0
	v_pk_add_f32 v[124:125], v[124:125], v[130:131]
	s_set_vgpr_msb 5                        ;  msbs: dst=0 src0=1 src1=1 src2=0
	v_pk_fma_f32 v[130:131], v[64:65] /*v[320:321]*/, v[60:61] /*v[316:317]*/, v[132:133] neg_lo:[0,0,1] neg_hi:[0,0,1]
	s_set_vgpr_msb 0                        ;  msbs: dst=0 src0=0 src1=0 src2=0
	v_mov_b32_e32 v131, v129
	v_pk_add_f32 v[124:125], v[124:125], v[126:127]
	s_delay_alu instid0(VALU_DEP_1) | instskip(SKIP_2) | instid1(VALU_DEP_1)
	v_pk_add_f32 v[124:125], v[124:125], v[130:131]
	s_wait_loadcnt 0x0
	s_set_vgpr_msb 1                        ;  msbs: dst=0 src0=1 src1=0 src2=0
	v_pk_add_f32 v[124:125], v[62:63] /*v[318:319]*/, v[124:125] neg_lo:[0,1] neg_hi:[0,1]
	scratch_store_b64 off, v[124:125], off offset:88
	s_wait_xcnt 0x0
	v_cmpx_lt_u32_e32 10, v0
	s_set_vgpr_msb 0                        ;  msbs: dst=0 src0=0 src1=0 src2=0
	s_cbranch_execz .LBB124_359
; %bb.358:
	scratch_load_b64 v[124:125], off, off offset:80
	v_mov_b64_e32 v[126:127], 0
	scratch_store_b64 off, v[126:127], off offset:80
	s_wait_loadcnt 0x0
	ds_store_b64 v1, v[124:125]
.LBB124_359:
	s_wait_xcnt 0x0
	s_or_b32 exec_lo, exec_lo, s0
	s_wait_storecnt_dscnt 0x0
	s_barrier_signal -1
	s_barrier_wait -1
	s_clause 0x18
	scratch_load_b128 v[124:127], off, off offset:88
	scratch_load_b128 v[128:131], off, off offset:104
	;; [unrolled: 1-line block ×25, first 2 shown]
	ds_load_2addr_b64 v[224:227], v7 offset0:73 offset1:74
	ds_load_2addr_b64 v[228:231], v7 offset0:75 offset1:76
	;; [unrolled: 1-line block ×8, first 2 shown]
	s_set_vgpr_msb 64                       ;  msbs: dst=1 src0=0 src1=0 src2=0
	ds_load_2addr_b64 v[0:3] /*v[256:259]*/, v7 offset0:117 offset1:118
	ds_load_2addr_b64 v[4:7] /*v[260:263]*/, v7 offset0:119 offset1:120
	;; [unrolled: 1-line block ×11, first 2 shown]
	scratch_load_b64 v[68:69] /*v[324:325]*/, off, off offset:80
	ds_load_2addr_b64 v[44:47] /*v[300:303]*/, v7 offset0:101 offset1:102
	ds_load_2addr_b64 v[48:51] /*v[304:307]*/, v7 offset0:103 offset1:104
	;; [unrolled: 1-line block ×6, first 2 shown]
	s_mov_b32 s0, exec_lo
	s_wait_dscnt 0x13
	v_dual_mov_b32 v70 /*v326*/, v247 :: v_dual_mov_b32 v71 /*v327*/, v246
	s_wait_dscnt 0x10
	s_set_vgpr_msb 0x41                     ;  msbs: dst=1 src0=1 src1=0 src2=0
	v_dual_mov_b32 v72 /*v328*/, v3 /*v259*/ :: v_dual_mov_b32 v73 /*v329*/, v2 /*v258*/
	s_wait_dscnt 0xf
	v_dual_mov_b32 v74 /*v330*/, v7 /*v263*/ :: v_dual_mov_b32 v75 /*v331*/, v6 /*v262*/
	s_wait_dscnt 0xc
	v_dual_mov_b32 v76 /*v332*/, v19 /*v275*/ :: v_dual_mov_b32 v77 /*v333*/, v18 /*v274*/
	s_wait_loadcnt 0x19
	s_set_vgpr_msb 0                        ;  msbs: dst=0 src0=0 src1=0 src2=0
	v_dual_mul_f32 v7, v224, v125 :: v_dual_mul_f32 v9, v226, v127
	v_dual_mul_f32 v87, v225, v125 :: v_dual_mul_f32 v89, v227, v127
	s_wait_loadcnt 0x18
	v_dual_mul_f32 v11, v228, v129 :: v_dual_mul_f32 v13, v230, v131
	s_delay_alu instid0(VALU_DEP_3) | instskip(SKIP_3) | instid1(VALU_DEP_3)
	v_dual_fmac_f32 v7, v225, v124 :: v_dual_fmac_f32 v9, v227, v126
	s_wait_loadcnt 0x16
	v_dual_fma_f32 v87, v224, v124, -v87 :: v_dual_mul_f32 v99, v237, v137
	v_dual_mul_f32 v91, v229, v129 :: v_dual_mul_f32 v93, v231, v131
	v_dual_fma_f32 v89, v226, v126, -v89 :: v_dual_add_f32 v7, 0, v7
	s_delay_alu instid0(VALU_DEP_3) | instskip(SKIP_1) | instid1(VALU_DEP_4)
	v_dual_add_f32 v87, 0, v87 :: v_dual_fmac_f32 v11, v229, v128
	v_dual_mul_f32 v15, v232, v133 :: v_dual_mul_f32 v17, v234, v135
	v_dual_mul_f32 v101, v239, v139 :: v_dual_fma_f32 v91, v228, v128, -v91
	s_delay_alu instid0(VALU_DEP_4) | instskip(NEXT) | instid1(VALU_DEP_3)
	v_add_f32_e32 v7, v7, v9
	v_dual_add_f32 v9, v87, v89 :: v_dual_fmac_f32 v15, v233, v132
	v_dual_mul_f32 v95, v233, v133 :: v_dual_mul_f32 v97, v235, v135
	s_wait_loadcnt 0x15
	v_dual_mul_f32 v87, v249, v141 :: v_dual_fmac_f32 v13, v231, v130
	v_dual_fma_f32 v89, v230, v130, -v93 :: v_dual_add_f32 v7, v7, v11
	s_delay_alu instid0(VALU_DEP_3) | instskip(SKIP_1) | instid1(VALU_DEP_3)
	v_dual_add_f32 v9, v9, v91 :: v_dual_fma_f32 v91, v232, v132, -v95
	v_dual_mul_f32 v19, v236, v137 :: v_dual_mul_f32 v21, v238, v139
	v_add_f32_e32 v7, v7, v13
	s_delay_alu instid0(VALU_DEP_3) | instskip(SKIP_2) | instid1(VALU_DEP_3)
	v_dual_mul_f32 v11, v251, v143 :: v_dual_add_f32 v9, v9, v89
	s_wait_loadcnt 0x14
	v_dual_mul_f32 v13, v253, v145 :: v_dual_fmac_f32 v17, v235, v134
	v_dual_fma_f32 v89, v234, v134, -v97 :: v_dual_add_f32 v7, v7, v15
	s_delay_alu instid0(VALU_DEP_3) | instskip(SKIP_1) | instid1(VALU_DEP_3)
	v_dual_add_f32 v9, v9, v91 :: v_dual_fma_f32 v91, v236, v136, -v99
	v_dual_mul_f32 v15, v255, v147 :: v_dual_fmac_f32 v19, v237, v136
	v_add_f32_e32 v7, v7, v17
	s_delay_alu instid0(VALU_DEP_3) | instskip(SKIP_1) | instid1(VALU_DEP_3)
	v_dual_add_f32 v9, v9, v89 :: v_dual_fmac_f32 v21, v239, v138
	v_dual_mul_f32 v23, v248, v141 :: v_dual_mul_f32 v25, v250, v143
	v_dual_fma_f32 v89, v238, v138, -v101 :: v_dual_add_f32 v7, v7, v19
	s_delay_alu instid0(VALU_DEP_3) | instskip(NEXT) | instid1(VALU_DEP_3)
	v_dual_add_f32 v9, v9, v91 :: v_dual_fma_f32 v87, v248, v140, -v87
	v_dual_fmac_f32 v23, v249, v140 :: v_dual_mul_f32 v27, v252, v145
	s_delay_alu instid0(VALU_DEP_3) | instskip(NEXT) | instid1(VALU_DEP_3)
	v_dual_mul_f32 v29, v254, v147 :: v_dual_add_f32 v7, v7, v21
	v_dual_fma_f32 v11, v250, v142, -v11 :: v_dual_add_f32 v9, v9, v89
	s_delay_alu instid0(VALU_DEP_3) | instskip(NEXT) | instid1(VALU_DEP_3)
	v_dual_fmac_f32 v25, v251, v142 :: v_dual_fmac_f32 v27, v253, v144
	v_dual_add_f32 v7, v7, v23 :: v_dual_fma_f32 v13, v252, v144, -v13
	s_delay_alu instid0(VALU_DEP_3)
	v_add_f32_e32 v9, v9, v87
	s_wait_loadcnt 0x13
	s_set_vgpr_msb 1                        ;  msbs: dst=0 src0=1 src1=0 src2=0
	v_dual_mul_f32 v31, v8 /*v264*/, v149 :: v_dual_mul_f32 v33, v10 /*v266*/, v151
	s_set_vgpr_msb 0                        ;  msbs: dst=0 src0=0 src1=0 src2=0
	v_add_f32_e32 v7, v7, v25
	s_set_vgpr_msb 1                        ;  msbs: dst=0 src0=1 src1=0 src2=0
	v_dual_mul_f32 v17, v9 /*v265*/, v149 :: v_dual_mul_f32 v19, v11 /*v267*/, v151
	s_set_vgpr_msb 0                        ;  msbs: dst=0 src0=0 src1=0 src2=0
	v_dual_add_f32 v9, v9, v11 :: v_dual_fmac_f32 v29, v255, v146
	v_dual_fma_f32 v15, v254, v146, -v15 :: v_dual_add_f32 v7, v7, v27
	s_set_vgpr_msb 1                        ;  msbs: dst=0 src0=1 src1=0 src2=0
	v_dual_fmac_f32 v31, v9 /*v265*/, v148 :: v_dual_fma_f32 v17, v8 /*v264*/, v148, -v17
	s_set_vgpr_msb 0                        ;  msbs: dst=0 src0=0 src1=0 src2=0
	v_add_f32_e32 v9, v9, v13
	s_wait_loadcnt 0x12
	s_set_vgpr_msb 1                        ;  msbs: dst=0 src0=1 src1=0 src2=0
	v_dual_mul_f32 v35, v12 /*v268*/, v153 :: v_dual_mul_f32 v37, v14 /*v270*/, v155
	s_set_vgpr_msb 0                        ;  msbs: dst=0 src0=0 src1=0 src2=0
	v_add_f32_e32 v7, v7, v29
	s_set_vgpr_msb 1                        ;  msbs: dst=0 src0=1 src1=0 src2=0
	v_dual_mul_f32 v21, v13 /*v269*/, v153 :: v_dual_mul_f32 v23, v15 /*v271*/, v155
	s_set_vgpr_msb 0                        ;  msbs: dst=0 src0=0 src1=0 src2=0
	v_add_f32_e32 v9, v9, v15
	s_wait_loadcnt_dscnt 0x100a
	s_set_vgpr_msb 1                        ;  msbs: dst=0 src0=1 src1=0 src2=0
	v_dual_mul_f32 v15, v25 /*v281*/, v161 :: v_dual_fmac_f32 v33, v11 /*v267*/, v150
	v_fma_f32 v19, v10 /*v266*/, v150, -v19
	s_set_vgpr_msb 0                        ;  msbs: dst=0 src0=0 src1=0 src2=0
	v_dual_add_f32 v7, v7, v31 :: v_dual_add_f32 v9, v9, v17
	s_set_vgpr_msb 1                        ;  msbs: dst=0 src0=1 src1=0 src2=0
	v_dual_mul_f32 v17, v27 /*v283*/, v163 :: v_dual_fmac_f32 v35, v13 /*v269*/, v152
	v_fma_f32 v21, v12 /*v268*/, v152, -v21
	s_set_vgpr_msb 0                        ;  msbs: dst=0 src0=0 src1=0 src2=0
	v_dual_add_f32 v7, v7, v33 :: v_dual_add_f32 v9, v9, v19
	s_set_vgpr_msb 1                        ;  msbs: dst=0 src0=1 src1=0 src2=0
	v_dual_mul_f32 v11, v21 /*v277*/, v157 :: v_dual_mul_f32 v13, v23 /*v279*/, v159
	s_wait_loadcnt_dscnt 0xf09
	v_dual_mul_f32 v19, v29 /*v285*/, v165 :: v_dual_fmac_f32 v37, v15 /*v271*/, v154
	v_fma_f32 v23, v14 /*v270*/, v154, -v23
	s_set_vgpr_msb 0                        ;  msbs: dst=0 src0=0 src1=0 src2=0
	v_dual_add_f32 v7, v7, v35 :: v_dual_add_f32 v9, v9, v21
	s_set_vgpr_msb 1                        ;  msbs: dst=0 src0=1 src1=0 src2=0
	v_dual_mul_f32 v39, v20 /*v276*/, v157 :: v_dual_mul_f32 v41, v22 /*v278*/, v159
	v_dual_mul_f32 v21, v31 /*v287*/, v167 :: v_dual_fma_f32 v11, v20 /*v276*/, v156, -v11
	s_set_vgpr_msb 0                        ;  msbs: dst=0 src0=0 src1=0 src2=0
	v_dual_add_f32 v7, v7, v37 :: v_dual_add_f32 v9, v9, v23
	s_set_vgpr_msb 1                        ;  msbs: dst=0 src0=1 src1=0 src2=0
	v_dual_fmac_f32 v39, v21 /*v277*/, v156 :: v_dual_fmac_f32 v41, v23 /*v279*/, v158
	s_wait_loadcnt_dscnt 0xe08
	v_dual_mul_f32 v23, v33 /*v289*/, v169 :: v_dual_fma_f32 v13, v22 /*v278*/, v158, -v13
	s_set_vgpr_msb 0                        ;  msbs: dst=0 src0=0 src1=0 src2=0
	v_add_f32_e32 v9, v9, v11
	s_set_vgpr_msb 1                        ;  msbs: dst=0 src0=1 src1=0 src2=0
	v_dual_mul_f32 v43, v24 /*v280*/, v161 :: v_dual_mul_f32 v45, v26 /*v282*/, v163
	v_mul_f32_e32 v11, v35 /*v291*/, v171
	s_set_vgpr_msb 0                        ;  msbs: dst=0 src0=0 src1=0 src2=0
	v_dual_add_f32 v7, v7, v39 :: v_dual_add_f32 v9, v9, v13
	s_wait_loadcnt_dscnt 0xd07
	s_set_vgpr_msb 1                        ;  msbs: dst=0 src0=1 src1=0 src2=0
	v_dual_fma_f32 v15, v24 /*v280*/, v160, -v15 :: v_dual_mul_f32 v13, v37 /*v293*/, v173
	v_dual_fmac_f32 v43, v25 /*v281*/, v160 :: v_dual_fmac_f32 v45, v27 /*v283*/, v162
	s_set_vgpr_msb 0                        ;  msbs: dst=0 src0=0 src1=0 src2=0
	v_add_f32_e32 v7, v7, v41
	s_set_vgpr_msb 1                        ;  msbs: dst=0 src0=1 src1=0 src2=0
	v_fma_f32 v17, v26 /*v282*/, v162, -v17
	s_set_vgpr_msb 0                        ;  msbs: dst=0 src0=0 src1=0 src2=0
	v_add_f32_e32 v9, v9, v15
	s_set_vgpr_msb 1                        ;  msbs: dst=0 src0=1 src1=0 src2=0
	v_dual_mul_f32 v47, v28 /*v284*/, v165 :: v_dual_mul_f32 v49, v30 /*v286*/, v167
	v_mul_f32_e32 v15, v39 /*v295*/, v175
	s_set_vgpr_msb 0                        ;  msbs: dst=0 src0=0 src1=0 src2=0
	v_dual_add_f32 v7, v7, v43 :: v_dual_add_f32 v9, v9, v17
	s_wait_loadcnt_dscnt 0xc06
	s_set_vgpr_msb 1                        ;  msbs: dst=0 src0=1 src1=0 src2=0
	v_dual_fma_f32 v19, v28 /*v284*/, v164, -v19 :: v_dual_mul_f32 v17, v41 /*v297*/, v177
	v_dual_fmac_f32 v47, v29 /*v285*/, v164 :: v_dual_fmac_f32 v49, v31 /*v287*/, v166
	s_set_vgpr_msb 0                        ;  msbs: dst=0 src0=0 src1=0 src2=0
	v_add_f32_e32 v7, v7, v45
	s_set_vgpr_msb 1                        ;  msbs: dst=0 src0=1 src1=0 src2=0
	v_fma_f32 v21, v30 /*v286*/, v166, -v21
	s_set_vgpr_msb 0                        ;  msbs: dst=0 src0=0 src1=0 src2=0
	v_add_f32_e32 v9, v9, v19
	s_set_vgpr_msb 1                        ;  msbs: dst=0 src0=1 src1=0 src2=0
	v_dual_mul_f32 v51, v32 /*v288*/, v169 :: v_dual_mul_f32 v53, v34 /*v290*/, v171
	v_mul_f32_e32 v19, v43 /*v299*/, v179
	s_set_vgpr_msb 0                        ;  msbs: dst=0 src0=0 src1=0 src2=0
	v_dual_add_f32 v7, v7, v47 :: v_dual_add_f32 v9, v9, v21
	s_wait_loadcnt_dscnt 0xb05
	s_set_vgpr_msb 1                        ;  msbs: dst=0 src0=1 src1=0 src2=0
	v_dual_fma_f32 v23, v32 /*v288*/, v168, -v23 :: v_dual_mul_f32 v21, v45 /*v301*/, v181
	v_dual_mul_f32 v55, v36 /*v292*/, v173 :: v_dual_mul_f32 v57, v38 /*v294*/, v175
	v_dual_mul_f32 v59, v40 /*v296*/, v177 :: v_dual_mul_f32 v61, v42 /*v298*/, v179
	v_dual_fmac_f32 v51, v33 /*v289*/, v168 :: v_dual_fmac_f32 v53, v35 /*v291*/, v170
	v_fma_f32 v11, v34 /*v290*/, v170, -v11
	s_set_vgpr_msb 0                        ;  msbs: dst=0 src0=0 src1=0 src2=0
	v_dual_add_f32 v9, v9, v23 :: v_dual_add_f32 v7, v7, v49
	s_set_vgpr_msb 1                        ;  msbs: dst=0 src0=1 src1=0 src2=0
	v_dual_mul_f32 v23, v47 /*v303*/, v183 :: v_dual_fmac_f32 v55, v37 /*v293*/, v172
	v_fma_f32 v13, v36 /*v292*/, v172, -v13
	v_dual_fmac_f32 v57, v39 /*v295*/, v174 :: v_dual_fmac_f32 v59, v41 /*v297*/, v176
	s_set_vgpr_msb 0                        ;  msbs: dst=0 src0=0 src1=0 src2=0
	v_add_f32_e32 v9, v9, v11
	s_set_vgpr_msb 1                        ;  msbs: dst=0 src0=1 src1=0 src2=0
	v_dual_mul_f32 v63, v44 /*v300*/, v181 :: v_dual_mul_f32 v65, v46 /*v302*/, v183
	s_set_vgpr_msb 0                        ;  msbs: dst=0 src0=0 src1=0 src2=0
	v_add_f32_e32 v7, v7, v51
	s_wait_loadcnt_dscnt 0xa04
	s_set_vgpr_msb 1                        ;  msbs: dst=0 src0=1 src1=0 src2=0
	v_dual_mul_f32 v11, v49 /*v305*/, v185 :: v_dual_fma_f32 v15, v38 /*v294*/, v174, -v15
	s_set_vgpr_msb 0                        ;  msbs: dst=0 src0=0 src1=0 src2=0
	v_add_f32_e32 v9, v9, v13
	s_set_vgpr_msb 1                        ;  msbs: dst=0 src0=1 src1=0 src2=0
	v_dual_mul_f32 v13, v51 /*v307*/, v187 :: v_dual_fma_f32 v17, v40 /*v296*/, v176, -v17
	s_set_vgpr_msb 0                        ;  msbs: dst=0 src0=0 src1=0 src2=0
	v_add_f32_e32 v7, v7, v53
	s_set_vgpr_msb 1                        ;  msbs: dst=0 src0=1 src1=0 src2=0
	v_dual_fmac_f32 v61, v43 /*v299*/, v178 :: v_dual_fmac_f32 v63, v45 /*v301*/, v180
	s_set_vgpr_msb 0                        ;  msbs: dst=0 src0=0 src1=0 src2=0
	v_add_f32_e32 v9, v9, v15
	s_set_vgpr_msb 1                        ;  msbs: dst=0 src0=1 src1=0 src2=0
	v_dual_mul_f32 v67, v48 /*v304*/, v185 :: v_dual_mul_f32 v69, v50 /*v306*/, v187
	s_set_vgpr_msb 0                        ;  msbs: dst=0 src0=0 src1=0 src2=0
	v_add_f32_e32 v7, v7, v55
	s_wait_loadcnt_dscnt 0x903
	s_set_vgpr_msb 1                        ;  msbs: dst=0 src0=1 src1=0 src2=0
	v_dual_mul_f32 v15, v53 /*v309*/, v189 :: v_dual_fma_f32 v19, v42 /*v298*/, v178, -v19
	s_set_vgpr_msb 0                        ;  msbs: dst=0 src0=0 src1=0 src2=0
	v_add_f32_e32 v9, v9, v17
	s_set_vgpr_msb 1                        ;  msbs: dst=0 src0=1 src1=0 src2=0
	v_dual_mul_f32 v17, v55 /*v311*/, v191 :: v_dual_fma_f32 v21, v44 /*v300*/, v180, -v21
	s_set_vgpr_msb 0                        ;  msbs: dst=0 src0=0 src1=0 src2=0
	v_add_f32_e32 v7, v7, v57
	s_set_vgpr_msb 1                        ;  msbs: dst=0 src0=1 src1=0 src2=0
	v_dual_fmac_f32 v65, v47 /*v303*/, v182 :: v_dual_fmac_f32 v67, v49 /*v305*/, v184
	s_set_vgpr_msb 0                        ;  msbs: dst=0 src0=0 src1=0 src2=0
	v_add_f32_e32 v9, v9, v19
	s_set_vgpr_msb 1                        ;  msbs: dst=0 src0=1 src1=0 src2=0
	v_dual_mul_f32 v71, v52 /*v308*/, v189 :: v_dual_mul_f32 v73, v54 /*v310*/, v191
	s_set_vgpr_msb 0                        ;  msbs: dst=0 src0=0 src1=0 src2=0
	v_add_f32_e32 v7, v7, v59
	s_wait_loadcnt_dscnt 0x802
	s_set_vgpr_msb 1                        ;  msbs: dst=0 src0=1 src1=0 src2=0
	v_dual_mul_f32 v19, v57 /*v313*/, v193 :: v_dual_fma_f32 v23, v46 /*v302*/, v182, -v23
	s_set_vgpr_msb 0                        ;  msbs: dst=0 src0=0 src1=0 src2=0
	v_add_f32_e32 v9, v9, v21
	s_set_vgpr_msb 1                        ;  msbs: dst=0 src0=1 src1=0 src2=0
	v_dual_mul_f32 v75, v56 /*v312*/, v193 :: v_dual_mul_f32 v77, v58 /*v314*/, v195
	s_set_vgpr_msb 0                        ;  msbs: dst=0 src0=0 src1=0 src2=0
	v_add_f32_e32 v7, v7, v61
	s_set_vgpr_msb 1                        ;  msbs: dst=0 src0=1 src1=0 src2=0
	v_dual_mul_f32 v21, v59 /*v315*/, v195 :: v_dual_fma_f32 v11, v48 /*v304*/, v184, -v11
	v_dual_fmac_f32 v69, v51 /*v307*/, v186 :: v_dual_fmac_f32 v71, v53 /*v309*/, v188
	s_set_vgpr_msb 0                        ;  msbs: dst=0 src0=0 src1=0 src2=0
	v_add_f32_e32 v9, v9, v23
	s_wait_loadcnt_dscnt 0x701
	s_set_vgpr_msb 1                        ;  msbs: dst=0 src0=1 src1=0 src2=0
	v_dual_mul_f32 v23, v61 /*v317*/, v197 :: v_dual_fma_f32 v13, v50 /*v306*/, v186, -v13
	v_dual_fmac_f32 v73, v55 /*v311*/, v190 :: v_dual_fmac_f32 v75, v57 /*v313*/, v192
	s_set_vgpr_msb 0                        ;  msbs: dst=0 src0=0 src1=0 src2=0
	v_add_f32_e32 v9, v9, v11
	v_add_f32_e32 v7, v7, v63
	s_set_vgpr_msb 1                        ;  msbs: dst=0 src0=1 src1=0 src2=0
	v_dual_mul_f32 v79, v60 /*v316*/, v197 :: v_dual_mul_f32 v81, v62 /*v318*/, v199
	v_dual_mul_f32 v11, v63 /*v319*/, v199 :: v_dual_fma_f32 v15, v52 /*v308*/, v188, -v15
	s_set_vgpr_msb 0                        ;  msbs: dst=0 src0=0 src1=0 src2=0
	v_add_f32_e32 v9, v9, v13
	v_add_f32_e32 v7, v7, v65
	s_wait_loadcnt_dscnt 0x600
	s_set_vgpr_msb 1                        ;  msbs: dst=0 src0=1 src1=0 src2=0
	v_dual_mul_f32 v13, v65 /*v321*/, v201 :: v_dual_fma_f32 v17, v54 /*v310*/, v190, -v17
	v_dual_fmac_f32 v77, v59 /*v315*/, v194 :: v_dual_fmac_f32 v79, v61 /*v317*/, v196
	s_set_vgpr_msb 0                        ;  msbs: dst=0 src0=0 src1=0 src2=0
	v_add_f32_e32 v9, v9, v15
	v_add_f32_e32 v7, v7, v67
	s_set_vgpr_msb 1                        ;  msbs: dst=0 src0=1 src1=0 src2=0
	v_dual_mul_f32 v15, v67 /*v323*/, v203 :: v_dual_fma_f32 v19, v56 /*v312*/, v192, -v19
	v_dual_fma_f32 v21, v58 /*v314*/, v194, -v21 :: v_dual_fma_f32 v23, v60 /*v316*/, v196, -v23
	s_set_vgpr_msb 0                        ;  msbs: dst=0 src0=0 src1=0 src2=0
	v_add_f32_e32 v9, v9, v17
	v_add_f32_e32 v7, v7, v69
	s_wait_loadcnt 0x4
	v_dual_mul_f32 v17, v241, v205 :: v_dual_mov_b32 v126, v211
	s_set_vgpr_msb 1                        ;  msbs: dst=0 src0=1 src1=0 src2=0
	v_dual_mul_f32 v83, v64 /*v320*/, v201 :: v_dual_mul_f32 v85, v66 /*v322*/, v203
	s_set_vgpr_msb 0                        ;  msbs: dst=0 src0=0 src1=0 src2=0
	v_add_f32_e32 v7, v7, v71
	v_add_f32_e32 v9, v9, v19
	s_set_vgpr_msb 1                        ;  msbs: dst=0 src0=1 src1=0 src2=0
	v_dual_fmac_f32 v81, v63 /*v319*/, v198 :: v_dual_fma_f32 v11, v62 /*v318*/, v198, -v11
	v_dual_fmac_f32 v83, v65 /*v321*/, v200 :: v_dual_fma_f32 v13, v64 /*v320*/, v200, -v13
	s_set_vgpr_msb 0                        ;  msbs: dst=0 src0=0 src1=0 src2=0
	v_add_f32_e32 v7, v7, v73
	v_add_f32_e32 v9, v9, v21
	s_set_vgpr_msb 64                       ;  msbs: dst=1 src0=0 src1=0 src2=0
	v_dual_mul_f32 v79 /*v335*/, v240, v205 :: v_dual_mul_f32 v81 /*v337*/, v242, v207
	s_set_vgpr_msb 1                        ;  msbs: dst=0 src0=1 src1=0 src2=0
	v_fmac_f32_e32 v85, v67 /*v323*/, v202
	s_set_vgpr_msb 0                        ;  msbs: dst=0 src0=0 src1=0 src2=0
	v_add_f32_e32 v7, v7, v75
	s_wait_loadcnt 0x3
	v_mov_b32_e32 v130, v215
	v_pk_mul_f32 v[124:125], v[244:245], v[208:209] op_sel:[1,1] op_sel_hi:[0,1]
	s_set_vgpr_msb 64                       ;  msbs: dst=1 src0=0 src1=0 src2=0
	v_dual_fmac_f32 v79 /*v335*/, v241, v204 :: v_dual_fmac_f32 v81 /*v337*/, v243, v206
	s_set_vgpr_msb 0                        ;  msbs: dst=0 src0=0 src1=0 src2=0
	v_add_f32_e32 v7, v7, v77
	s_set_vgpr_msb 1                        ;  msbs: dst=0 src0=1 src1=0 src2=0
	v_pk_mul_f32 v[126:127], v[70:71] /*v[326:327]*/, v[126:127] op_sel_hi:[1,0]
	s_set_vgpr_msb 0                        ;  msbs: dst=0 src0=0 src1=0 src2=0
	v_pk_fma_f32 v[134:135], v[244:245], v[208:209], v[124:125] op_sel_hi:[1,0,1]
	v_pk_fma_f32 v[124:125], v[244:245], v[208:209], v[124:125] neg_lo:[0,0,1] neg_hi:[0,0,1]
	s_set_vgpr_msb 1                        ;  msbs: dst=0 src0=1 src1=0 src2=0
	v_pk_mul_f32 v[128:129], v[0:1] /*v[256:257]*/, v[212:213] op_sel:[1,1] op_sel_hi:[0,1]
	s_set_vgpr_msb 0                        ;  msbs: dst=0 src0=0 src1=0 src2=0
	v_add_f32_e32 v7, v7, v79
	v_dual_add_f32 v9, v9, v23 :: v_dual_mov_b32 v125, v135
	v_pk_fma_f32 v[134:135], v[246:247], v[210:211], v[126:127] op_sel_hi:[1,0,1]
	v_pk_fma_f32 v[126:127], v[246:247], v[210:211], v[126:127] neg_lo:[0,0,1] neg_hi:[0,0,1]
	s_delay_alu instid0(VALU_DEP_3)
	v_dual_add_f32 v7, v7, v81 :: v_dual_add_f32 v9, v9, v11
	v_mul_f32_e32 v19, v243, v207
	s_set_vgpr_msb 1                        ;  msbs: dst=0 src0=1 src1=0 src2=0
	v_fma_f32 v11, v66 /*v322*/, v202, -v15
	v_pk_fma_f32 v[138:139], v[0:1] /*v[256:257]*/, v[212:213], v[128:129] op_sel_hi:[1,0,1]
	s_set_vgpr_msb 0                        ;  msbs: dst=0 src0=0 src1=0 src2=0
	v_dual_add_f32 v7, v7, v83 :: v_dual_add_f32 v9, v9, v13
	s_set_vgpr_msb 64                       ;  msbs: dst=1 src0=0 src1=0 src2=0
	v_dual_fma_f32 v78 /*v334*/, v240, v204, -v17 :: v_dual_fma_f32 v80 /*v336*/, v242, v206, -v19
	s_set_vgpr_msb 1                        ;  msbs: dst=0 src0=1 src1=0 src2=0
	v_pk_mul_f32 v[130:131], v[72:73] /*v[328:329]*/, v[130:131] op_sel_hi:[1,0]
	s_set_vgpr_msb 0                        ;  msbs: dst=0 src0=0 src1=0 src2=0
	v_dual_add_f32 v133, v7, v85 :: v_dual_add_f32 v132, v9, v11
	v_mov_b32_e32 v127, v135
	s_wait_loadcnt 0x2
	s_set_vgpr_msb 1                        ;  msbs: dst=0 src0=1 src1=0 src2=0
	v_pk_mul_f32 v[136:137], v[4:5] /*v[260:261]*/, v[216:217] op_sel:[1,1] op_sel_hi:[0,1]
	v_pk_fma_f32 v[128:129], v[0:1] /*v[256:257]*/, v[212:213], v[128:129] neg_lo:[0,0,1] neg_hi:[0,0,1]
	s_set_vgpr_msb 4                        ;  msbs: dst=0 src0=0 src1=1 src2=0
	v_mov_b32_e32 v129, v139
	v_pk_add_f32 v[132:133], v[132:133], v[78:79] /*v[334:335]*/
	s_set_vgpr_msb 1                        ;  msbs: dst=0 src0=1 src1=0 src2=0
	v_pk_fma_f32 v[134:135], v[2:3] /*v[258:259]*/, v[214:215], v[130:131] op_sel_hi:[1,0,1]
	v_pk_fma_f32 v[130:131], v[2:3] /*v[258:259]*/, v[214:215], v[130:131] neg_lo:[0,0,1] neg_hi:[0,0,1]
	s_set_vgpr_msb 4                        ;  msbs: dst=0 src0=0 src1=1 src2=0
	v_pk_add_f32 v[132:133], v[132:133], v[80:81] /*v[336:337]*/
	s_set_vgpr_msb 0                        ;  msbs: dst=0 src0=0 src1=0 src2=0
	s_delay_alu instid0(VALU_DEP_1) | instskip(SKIP_1) | instid1(VALU_DEP_2)
	v_pk_add_f32 v[124:125], v[132:133], v[124:125]
	v_mov_b32_e32 v132, v219
	v_pk_add_f32 v[124:125], v[124:125], v[126:127]
	s_set_vgpr_msb 1                        ;  msbs: dst=0 src0=1 src1=0 src2=0
	v_pk_fma_f32 v[126:127], v[4:5] /*v[260:261]*/, v[216:217], v[136:137] op_sel_hi:[1,0,1]
	s_delay_alu instid0(VALU_DEP_3)
	v_pk_mul_f32 v[132:133], v[74:75] /*v[330:331]*/, v[132:133] op_sel_hi:[1,0]
	s_set_vgpr_msb 0                        ;  msbs: dst=0 src0=0 src1=0 src2=0
	v_mov_b32_e32 v131, v135
	s_set_vgpr_msb 1                        ;  msbs: dst=0 src0=1 src1=0 src2=0
	v_pk_fma_f32 v[134:135], v[4:5] /*v[260:261]*/, v[216:217], v[136:137] neg_lo:[0,0,1] neg_hi:[0,0,1]
	s_set_vgpr_msb 0                        ;  msbs: dst=0 src0=0 src1=0 src2=0
	v_pk_add_f32 v[124:125], v[124:125], v[128:129]
	v_mov_b32_e32 v135, v127
	s_set_vgpr_msb 1                        ;  msbs: dst=0 src0=1 src1=0 src2=0
	v_pk_fma_f32 v[126:127], v[6:7] /*v[262:263]*/, v[218:219], v[132:133] op_sel_hi:[1,0,1]
	s_wait_loadcnt 0x1
	v_pk_mul_f32 v[128:129], v[16:17] /*v[272:273]*/, v[220:221] op_sel:[1,1] op_sel_hi:[0,1]
	s_set_vgpr_msb 0                        ;  msbs: dst=0 src0=0 src1=0 src2=0
	v_mov_b32_e32 v126, v223
	v_pk_add_f32 v[124:125], v[124:125], v[130:131]
	s_set_vgpr_msb 1                        ;  msbs: dst=0 src0=1 src1=0 src2=0
	v_pk_fma_f32 v[132:133], v[6:7] /*v[262:263]*/, v[218:219], v[132:133] neg_lo:[0,0,1] neg_hi:[0,0,1]
	s_set_vgpr_msb 0                        ;  msbs: dst=0 src0=0 src1=0 src2=0
	v_mov_b32_e32 v133, v127
	s_set_vgpr_msb 1                        ;  msbs: dst=0 src0=1 src1=0 src2=0
	v_pk_fma_f32 v[130:131], v[16:17] /*v[272:273]*/, v[220:221], v[128:129] op_sel_hi:[1,0,1]
	v_pk_mul_f32 v[126:127], v[76:77] /*v[332:333]*/, v[126:127] op_sel_hi:[1,0]
	s_set_vgpr_msb 0                        ;  msbs: dst=0 src0=0 src1=0 src2=0
	v_pk_add_f32 v[124:125], v[124:125], v[134:135]
	s_set_vgpr_msb 1                        ;  msbs: dst=0 src0=1 src1=0 src2=0
	v_pk_fma_f32 v[128:129], v[16:17] /*v[272:273]*/, v[220:221], v[128:129] neg_lo:[0,0,1] neg_hi:[0,0,1]
	s_set_vgpr_msb 0                        ;  msbs: dst=0 src0=0 src1=0 src2=0
	v_mov_b32_e32 v129, v131
	s_set_vgpr_msb 1                        ;  msbs: dst=0 src0=1 src1=0 src2=0
	v_pk_fma_f32 v[130:131], v[18:19] /*v[274:275]*/, v[222:223], v[126:127] op_sel_hi:[1,0,1]
	s_set_vgpr_msb 0                        ;  msbs: dst=0 src0=0 src1=0 src2=0
	v_pk_add_f32 v[124:125], v[124:125], v[132:133]
	s_set_vgpr_msb 1                        ;  msbs: dst=0 src0=1 src1=0 src2=0
	v_pk_fma_f32 v[126:127], v[18:19] /*v[274:275]*/, v[222:223], v[126:127] neg_lo:[0,0,1] neg_hi:[0,0,1]
	s_set_vgpr_msb 0                        ;  msbs: dst=0 src0=0 src1=0 src2=0
	v_mov_b32_e32 v127, v131
	v_pk_add_f32 v[124:125], v[124:125], v[128:129]
	s_delay_alu instid0(VALU_DEP_1) | instskip(SKIP_2) | instid1(VALU_DEP_1)
	v_pk_add_f32 v[124:125], v[124:125], v[126:127]
	s_wait_loadcnt 0x0
	s_set_vgpr_msb 1                        ;  msbs: dst=0 src0=1 src1=0 src2=0
	v_pk_add_f32 v[124:125], v[68:69] /*v[324:325]*/, v[124:125] neg_lo:[0,1] neg_hi:[0,1]
	scratch_store_b64 off, v[124:125], off offset:80
	s_wait_xcnt 0x0
	v_cmpx_lt_u32_e32 9, v0
	s_set_vgpr_msb 0                        ;  msbs: dst=0 src0=0 src1=0 src2=0
	s_cbranch_execz .LBB124_361
; %bb.360:
	scratch_load_b64 v[124:125], off, off offset:72
	v_mov_b64_e32 v[126:127], 0
	scratch_store_b64 off, v[126:127], off offset:72
	s_wait_loadcnt 0x0
	ds_store_b64 v1, v[124:125]
.LBB124_361:
	s_wait_xcnt 0x0
	s_or_b32 exec_lo, exec_lo, s0
	s_wait_storecnt_dscnt 0x0
	s_barrier_signal -1
	s_barrier_wait -1
	s_clause 0x1b
	scratch_load_b128 v[124:127], off, off offset:80
	scratch_load_b128 v[128:131], off, off offset:96
	;; [unrolled: 1-line block ×25, first 2 shown]
	s_set_vgpr_msb 64                       ;  msbs: dst=1 src0=0 src1=0 src2=0
	scratch_load_b64 v[68:69] /*v[324:325]*/, off, off offset:480
	scratch_load_b64 v[70:71] /*v[326:327]*/, off, off offset:72
	s_set_vgpr_msb 0                        ;  msbs: dst=0 src0=0 src1=0 src2=0
	v_mov_b32_e32 v7, 0
	ds_load_b128 v[224:227], v7 offset:576
	ds_load_b128 v[228:231], v7 offset:592
	;; [unrolled: 1-line block ×8, first 2 shown]
	s_set_vgpr_msb 64                       ;  msbs: dst=1 src0=0 src1=0 src2=0
	ds_load_b128 v[0:3] /*v[256:259]*/, v7 offset:928
	ds_load_b128 v[4:7] /*v[260:263]*/, v7 offset:944
	;; [unrolled: 1-line block ×17, first 2 shown]
	ds_load_b64 v[72:73] /*v[328:329]*/, v7 offset:976
	s_wait_dscnt 0x14
	v_dual_mov_b32 v74 /*v330*/, v247 :: v_dual_mov_b32 v75 /*v331*/, v246
	s_wait_dscnt 0x11
	s_set_vgpr_msb 0x41                     ;  msbs: dst=1 src0=1 src1=0 src2=0
	v_dual_mov_b32 v76 /*v332*/, v3 /*v259*/ :: v_dual_mov_b32 v77 /*v333*/, v2 /*v258*/
	s_wait_dscnt 0x10
	v_dual_mov_b32 v78 /*v334*/, v7 /*v263*/ :: v_dual_mov_b32 v79 /*v335*/, v6 /*v262*/
	s_wait_dscnt 0xd
	v_dual_mov_b32 v80 /*v336*/, v19 /*v275*/ :: v_dual_mov_b32 v81 /*v337*/, v18 /*v274*/
	s_mov_b32 s0, exec_lo
	s_wait_loadcnt 0x1a
	s_set_vgpr_msb 0                        ;  msbs: dst=0 src0=0 src1=0 src2=0
	v_dual_mul_f32 v9, v224, v125 :: v_dual_mul_f32 v75, v225, v125
	s_wait_loadcnt 0x19
	v_dual_mul_f32 v11, v226, v127 :: v_dual_mul_f32 v13, v228, v129
	v_dual_mul_f32 v77, v227, v127 :: v_dual_mul_f32 v91, v229, v129
	s_wait_loadcnt 0x15
	v_dual_mul_f32 v31, v254, v147 :: v_dual_mul_f32 v103, v237, v137
	v_dual_fma_f32 v75, v224, v124, -v75 :: v_dual_fmac_f32 v9, v225, v124
	v_mul_f32_e32 v105, v239, v139
	v_dual_fmac_f32 v11, v227, v126 :: v_dual_fma_f32 v77, v226, v126, -v77
	s_delay_alu instid0(VALU_DEP_3) | instskip(SKIP_3) | instid1(VALU_DEP_3)
	v_dual_add_f32 v75, 0, v75 :: v_dual_add_f32 v9, 0, v9
	v_dual_mul_f32 v15, v230, v131 :: v_dual_mul_f32 v17, v232, v133
	v_dual_mul_f32 v93, v231, v131 :: v_dual_mul_f32 v107, v249, v141
	v_dual_fma_f32 v91, v228, v128, -v91 :: v_dual_fmac_f32 v13, v229, v128
	v_dual_add_f32 v9, v9, v11 :: v_dual_fmac_f32 v15, v231, v130
	v_add_f32_e32 v11, v75, v77
	s_wait_loadcnt 0x6
	v_mul_f32_e32 v97, v240, v205
	v_dual_mul_f32 v99, v233, v133 :: v_dual_mul_f32 v101, v235, v135
	v_dual_mul_f32 v75, v251, v143 :: v_dual_fma_f32 v77, v230, v130, -v93
	v_dual_add_f32 v9, v9, v13 :: v_dual_add_f32 v11, v11, v91
	v_dual_mul_f32 v19, v234, v135 :: v_dual_mul_f32 v21, v236, v137
	s_delay_alu instid0(VALU_DEP_4) | instskip(NEXT) | instid1(VALU_DEP_3)
	v_dual_mul_f32 v13, v253, v145 :: v_dual_fma_f32 v91, v232, v132, -v99
	v_dual_fmac_f32 v17, v233, v132 :: v_dual_add_f32 v11, v11, v77
	s_delay_alu instid0(VALU_DEP_3) | instskip(SKIP_1) | instid1(VALU_DEP_2)
	v_dual_add_f32 v9, v9, v15 :: v_dual_fmac_f32 v19, v235, v134
	v_dual_mul_f32 v15, v255, v147 :: v_dual_fma_f32 v77, v234, v134, -v101
	v_dual_add_f32 v11, v11, v91 :: v_dual_add_f32 v9, v9, v17
	v_dual_mul_f32 v23, v238, v139 :: v_dual_mul_f32 v25, v248, v141
	v_dual_fmac_f32 v21, v237, v136 :: v_dual_fma_f32 v91, v236, v136, -v103
	s_delay_alu instid0(VALU_DEP_3) | instskip(NEXT) | instid1(VALU_DEP_3)
	v_dual_add_f32 v9, v9, v19 :: v_dual_add_f32 v11, v11, v77
	v_dual_fmac_f32 v23, v239, v138 :: v_dual_fma_f32 v77, v238, v138, -v105
	v_dual_mul_f32 v27, v250, v143 :: v_dual_mul_f32 v29, v252, v145
	s_delay_alu instid0(VALU_DEP_3)
	v_dual_add_f32 v9, v9, v21 :: v_dual_add_f32 v11, v11, v91
	v_dual_fmac_f32 v25, v249, v140 :: v_dual_fma_f32 v91, v248, v140, -v107
	s_set_vgpr_msb 1                        ;  msbs: dst=0 src0=1 src1=0 src2=0
	v_dual_mul_f32 v33, v8 /*v264*/, v149 :: v_dual_mul_f32 v35, v10 /*v266*/, v151
	s_set_vgpr_msb 0                        ;  msbs: dst=0 src0=0 src1=0 src2=0
	v_dual_add_f32 v9, v9, v23 :: v_dual_add_f32 v11, v11, v77
	v_fmac_f32_e32 v27, v251, v142
	v_fma_f32 v75, v250, v142, -v75
	s_set_vgpr_msb 1                        ;  msbs: dst=0 src0=1 src1=0 src2=0
	v_dual_mul_f32 v17, v9 /*v265*/, v149 :: v_dual_mul_f32 v19, v11 /*v267*/, v151
	s_set_vgpr_msb 0                        ;  msbs: dst=0 src0=0 src1=0 src2=0
	v_dual_add_f32 v9, v9, v25 :: v_dual_add_f32 v11, v11, v91
	v_fmac_f32_e32 v29, v253, v144
	v_fma_f32 v13, v252, v144, -v13
	s_set_vgpr_msb 1                        ;  msbs: dst=0 src0=1 src1=0 src2=0
	v_fmac_f32_e32 v33, v9 /*v265*/, v148
	s_set_vgpr_msb 0                        ;  msbs: dst=0 src0=0 src1=0 src2=0
	v_add_f32_e32 v9, v9, v27
	v_add_f32_e32 v11, v11, v75
	v_fmac_f32_e32 v31, v255, v146
	v_fma_f32 v15, v254, v146, -v15
	s_set_vgpr_msb 1                        ;  msbs: dst=0 src0=1 src1=0 src2=0
	v_fma_f32 v17, v8 /*v264*/, v148, -v17
	s_set_vgpr_msb 0                        ;  msbs: dst=0 src0=0 src1=0 src2=0
	v_add_f32_e32 v9, v9, v29
	v_add_f32_e32 v11, v11, v13
	s_wait_dscnt 0xb
	s_set_vgpr_msb 1                        ;  msbs: dst=0 src0=1 src1=0 src2=0
	v_mul_f32_e32 v13, v25 /*v281*/, v161
	v_dual_mul_f32 v37, v12 /*v268*/, v153 :: v_dual_mul_f32 v39, v14 /*v270*/, v155
	v_dual_mul_f32 v21, v13 /*v269*/, v153 :: v_dual_mul_f32 v23, v15 /*v271*/, v155
	s_set_vgpr_msb 0                        ;  msbs: dst=0 src0=0 src1=0 src2=0
	v_add_f32_e32 v11, v11, v15
	v_add_f32_e32 v9, v9, v31
	s_set_vgpr_msb 1                        ;  msbs: dst=0 src0=1 src1=0 src2=0
	v_mul_f32_e32 v15, v27 /*v283*/, v163
	v_fmac_f32_e32 v35, v11 /*v267*/, v150
	v_dual_fma_f32 v19, v10 /*v266*/, v150, -v19 :: v_dual_fmac_f32 v37, v13 /*v269*/, v152
	s_set_vgpr_msb 0                        ;  msbs: dst=0 src0=0 src1=0 src2=0
	v_add_f32_e32 v11, v11, v17
	v_add_f32_e32 v9, v9, v33
	s_wait_dscnt 0xa
	s_set_vgpr_msb 1                        ;  msbs: dst=0 src0=1 src1=0 src2=0
	v_dual_mul_f32 v17, v29 /*v285*/, v165 :: v_dual_fma_f32 v21, v12 /*v268*/, v152, -v21
	v_dual_mul_f32 v41, v20 /*v276*/, v157 :: v_dual_mul_f32 v43, v22 /*v278*/, v159
	s_set_vgpr_msb 0                        ;  msbs: dst=0 src0=0 src1=0 src2=0
	v_add_f32_e32 v11, v11, v19
	s_set_vgpr_msb 1                        ;  msbs: dst=0 src0=1 src1=0 src2=0
	v_mul_f32_e32 v19, v31 /*v287*/, v167
	s_set_vgpr_msb 0                        ;  msbs: dst=0 src0=0 src1=0 src2=0
	v_add_f32_e32 v9, v9, v35
	s_set_vgpr_msb 1                        ;  msbs: dst=0 src0=1 src1=0 src2=0
	v_dual_mul_f32 v25, v21 /*v277*/, v157 :: v_dual_mul_f32 v27, v23 /*v279*/, v159
	v_fmac_f32_e32 v39, v15 /*v271*/, v154
	v_dual_fma_f32 v23, v14 /*v270*/, v154, -v23 :: v_dual_fmac_f32 v41, v21 /*v277*/, v156
	s_set_vgpr_msb 0                        ;  msbs: dst=0 src0=0 src1=0 src2=0
	v_add_f32_e32 v11, v11, v21
	v_add_f32_e32 v9, v9, v37
	s_wait_dscnt 0x9
	s_set_vgpr_msb 1                        ;  msbs: dst=0 src0=1 src1=0 src2=0
	v_dual_mul_f32 v21, v33 /*v289*/, v169 :: v_dual_fma_f32 v25, v20 /*v276*/, v156, -v25
	v_dual_mul_f32 v45, v24 /*v280*/, v161 :: v_dual_mul_f32 v47, v26 /*v282*/, v163
	s_set_vgpr_msb 0                        ;  msbs: dst=0 src0=0 src1=0 src2=0
	v_add_f32_e32 v11, v11, v23
	s_set_vgpr_msb 1                        ;  msbs: dst=0 src0=1 src1=0 src2=0
	v_mul_f32_e32 v23, v35 /*v291*/, v171
	s_set_vgpr_msb 0                        ;  msbs: dst=0 src0=0 src1=0 src2=0
	v_add_f32_e32 v9, v9, v39
	s_set_vgpr_msb 1                        ;  msbs: dst=0 src0=1 src1=0 src2=0
	v_fmac_f32_e32 v43, v23 /*v279*/, v158
	v_dual_fma_f32 v27, v22 /*v278*/, v158, -v27 :: v_dual_fmac_f32 v45, v25 /*v281*/, v160
	s_set_vgpr_msb 0                        ;  msbs: dst=0 src0=0 src1=0 src2=0
	v_add_f32_e32 v11, v11, v25
	v_add_f32_e32 v9, v9, v41
	s_wait_dscnt 0x8
	s_set_vgpr_msb 1                        ;  msbs: dst=0 src0=1 src1=0 src2=0
	v_dual_mul_f32 v25, v37 /*v293*/, v173 :: v_dual_fma_f32 v13, v24 /*v280*/, v160, -v13
	v_dual_mul_f32 v49, v28 /*v284*/, v165 :: v_dual_mul_f32 v51, v30 /*v286*/, v167
	s_set_vgpr_msb 0                        ;  msbs: dst=0 src0=0 src1=0 src2=0
	v_add_f32_e32 v11, v11, v27
	s_set_vgpr_msb 1                        ;  msbs: dst=0 src0=1 src1=0 src2=0
	v_mul_f32_e32 v27, v39 /*v295*/, v175
	s_set_vgpr_msb 0                        ;  msbs: dst=0 src0=0 src1=0 src2=0
	v_add_f32_e32 v9, v9, v43
	s_set_vgpr_msb 1                        ;  msbs: dst=0 src0=1 src1=0 src2=0
	;; [unrolled: 16-line block ×9, first 2 shown]
	v_dual_fmac_f32 v79, v55 /*v311*/, v190 :: v_dual_fmac_f32 v81, v57 /*v313*/, v192
	v_dual_fma_f32 v27, v54 /*v310*/, v190, -v27 :: v_dual_fma_f32 v13, v56 /*v312*/, v192, -v13
	s_set_vgpr_msb 0                        ;  msbs: dst=0 src0=0 src1=0 src2=0
	v_add_f32_e32 v11, v11, v25
	v_add_f32_e32 v9, v9, v73
	v_mul_f32_e32 v25, v241, v205
	s_set_vgpr_msb 1                        ;  msbs: dst=0 src0=1 src1=0 src2=0
	v_dual_mul_f32 v85, v60 /*v316*/, v197 :: v_dual_mul_f32 v87, v62 /*v318*/, v199
	s_set_vgpr_msb 0                        ;  msbs: dst=0 src0=0 src1=0 src2=0
	v_add_f32_e32 v11, v11, v27
	v_add_f32_e32 v9, v9, v79
	s_set_vgpr_msb 1                        ;  msbs: dst=0 src0=1 src1=0 src2=0
	v_dual_fmac_f32 v83, v59 /*v315*/, v194 :: v_dual_fmac_f32 v85, v61 /*v317*/, v196
	v_dual_fma_f32 v15, v58 /*v314*/, v194, -v15 :: v_dual_fma_f32 v17, v60 /*v316*/, v196, -v17
	s_set_vgpr_msb 0                        ;  msbs: dst=0 src0=0 src1=0 src2=0
	v_add_f32_e32 v11, v11, v13
	v_dual_mul_f32 v27, v243, v207 :: v_dual_add_f32 v9, v9, v81
	s_set_vgpr_msb 1                        ;  msbs: dst=0 src0=1 src1=0 src2=0
	v_dual_mul_f32 v89, v64 /*v320*/, v201 :: v_dual_mul_f32 v95, v66 /*v322*/, v203
	s_wait_loadcnt 0x5
	s_set_vgpr_msb 0                        ;  msbs: dst=0 src0=0 src1=0 src2=0
	v_dual_mul_f32 v13, v245, v209 :: v_dual_add_f32 v11, v11, v15
	v_dual_add_f32 v9, v9, v83 :: v_dual_mov_b32 v126, v211
	s_set_vgpr_msb 1                        ;  msbs: dst=0 src0=1 src1=0 src2=0
	v_dual_fmac_f32 v87, v63 /*v319*/, v198 :: v_dual_fmac_f32 v89, v65 /*v321*/, v200
	v_fma_f32 v15, v62 /*v318*/, v198, -v19
	s_set_vgpr_msb 0                        ;  msbs: dst=0 src0=0 src1=0 src2=0
	v_add_f32_e32 v11, v11, v17
	s_set_vgpr_msb 1                        ;  msbs: dst=0 src0=1 src1=0 src2=0
	v_fma_f32 v17, v64 /*v320*/, v200, -v21
	s_set_vgpr_msb 0                        ;  msbs: dst=0 src0=0 src1=0 src2=0
	v_add_f32_e32 v9, v9, v85
	s_set_vgpr_msb 1                        ;  msbs: dst=0 src0=1 src1=0 src2=0
	v_fmac_f32_e32 v95, v67 /*v323*/, v202
	s_set_vgpr_msb 0                        ;  msbs: dst=0 src0=0 src1=0 src2=0
	v_dual_mul_f32 v125, v242, v207 :: v_dual_mul_f32 v127, v244, v209
	v_add_f32_e32 v11, v11, v15
	s_wait_loadcnt 0x4
	v_dual_add_f32 v9, v9, v87 :: v_dual_mov_b32 v130, v215
	s_set_vgpr_msb 1                        ;  msbs: dst=0 src0=1 src1=0 src2=0
	v_fma_f32 v15, v66 /*v322*/, v202, -v23
	s_set_vgpr_msb 0                        ;  msbs: dst=0 src0=0 src1=0 src2=0
	v_dual_fmac_f32 v97, v241, v204 :: v_dual_add_f32 v11, v11, v17
	v_dual_add_f32 v9, v9, v89 :: v_dual_fma_f32 v17, v240, v204, -v25
	v_fma_f32 v124, v242, v206, -v27
	s_set_vgpr_msb 1                        ;  msbs: dst=0 src0=1 src1=0 src2=0
	v_pk_mul_f32 v[134:135], v[74:75] /*v[330:331]*/, v[126:127] op_sel_hi:[1,0]
	s_set_vgpr_msb 0                        ;  msbs: dst=0 src0=0 src1=0 src2=0
	v_add_f32_e32 v11, v11, v15
	v_dual_add_f32 v9, v9, v95 :: v_dual_fmac_f32 v125, v243, v206
	s_set_vgpr_msb 1                        ;  msbs: dst=0 src0=1 src1=0 src2=0
	v_pk_mul_f32 v[128:129], v[0:1] /*v[256:257]*/, v[212:213] op_sel:[1,1] op_sel_hi:[0,1]
	s_wait_loadcnt 0x3
	s_set_vgpr_msb 0                        ;  msbs: dst=0 src0=0 src1=0 src2=0
	v_dual_mov_b32 v138, v219 :: v_dual_fma_f32 v126, v244, v208, -v13
	v_add_f32_e32 v137, v9, v97
	v_dual_add_f32 v136, v11, v17 :: v_dual_fmac_f32 v127, v245, v208
	v_pk_fma_f32 v[140:141], v[246:247], v[210:211], v[134:135] op_sel_hi:[1,0,1]
	v_pk_fma_f32 v[134:135], v[246:247], v[210:211], v[134:135] neg_lo:[0,0,1] neg_hi:[0,0,1]
	s_set_vgpr_msb 1                        ;  msbs: dst=0 src0=1 src1=0 src2=0
	v_pk_mul_f32 v[130:131], v[76:77] /*v[332:333]*/, v[130:131] op_sel_hi:[1,0]
	s_set_vgpr_msb 0                        ;  msbs: dst=0 src0=0 src1=0 src2=0
	v_pk_add_f32 v[124:125], v[136:137], v[124:125]
	s_set_vgpr_msb 1                        ;  msbs: dst=0 src0=1 src1=0 src2=0
	v_pk_fma_f32 v[136:137], v[0:1] /*v[256:257]*/, v[212:213], v[128:129] op_sel_hi:[1,0,1]
	s_set_vgpr_msb 0                        ;  msbs: dst=0 src0=0 src1=0 src2=0
	v_mov_b32_e32 v135, v141
	s_set_vgpr_msb 1                        ;  msbs: dst=0 src0=1 src1=0 src2=0
	v_pk_fma_f32 v[128:129], v[0:1] /*v[256:257]*/, v[212:213], v[128:129] neg_lo:[0,0,1] neg_hi:[0,0,1]
	v_pk_mul_f32 v[132:133], v[4:5] /*v[260:261]*/, v[216:217] op_sel:[1,1] op_sel_hi:[0,1]
	s_set_vgpr_msb 0                        ;  msbs: dst=0 src0=0 src1=0 src2=0
	v_pk_add_f32 v[124:125], v[124:125], v[126:127]
	v_mov_b32_e32 v129, v137
	s_set_vgpr_msb 1                        ;  msbs: dst=0 src0=1 src1=0 src2=0
	v_pk_fma_f32 v[136:137], v[2:3] /*v[258:259]*/, v[214:215], v[130:131] op_sel_hi:[1,0,1]
	v_pk_fma_f32 v[130:131], v[2:3] /*v[258:259]*/, v[214:215], v[130:131] neg_lo:[0,0,1] neg_hi:[0,0,1]
	v_pk_mul_f32 v[138:139], v[78:79] /*v[334:335]*/, v[138:139] op_sel_hi:[1,0]
	s_set_vgpr_msb 0                        ;  msbs: dst=0 src0=0 src1=0 src2=0
	v_pk_add_f32 v[124:125], v[124:125], v[134:135]
	s_set_vgpr_msb 1                        ;  msbs: dst=0 src0=1 src1=0 src2=0
	v_pk_fma_f32 v[134:135], v[4:5] /*v[260:261]*/, v[216:217], v[132:133] op_sel_hi:[1,0,1]
	s_set_vgpr_msb 0                        ;  msbs: dst=0 src0=0 src1=0 src2=0
	v_mov_b32_e32 v131, v137
	s_set_vgpr_msb 1                        ;  msbs: dst=0 src0=1 src1=0 src2=0
	v_pk_fma_f32 v[132:133], v[4:5] /*v[260:261]*/, v[216:217], v[132:133] neg_lo:[0,0,1] neg_hi:[0,0,1]
	s_wait_loadcnt 0x2
	v_pk_mul_f32 v[126:127], v[16:17] /*v[272:273]*/, v[220:221] op_sel:[1,1] op_sel_hi:[0,1]
	s_set_vgpr_msb 0                        ;  msbs: dst=0 src0=0 src1=0 src2=0
	v_pk_add_f32 v[124:125], v[124:125], v[128:129]
	v_dual_mov_b32 v128, v223 :: v_dual_mov_b32 v133, v135
	s_set_vgpr_msb 1                        ;  msbs: dst=0 src0=1 src1=0 src2=0
	v_pk_fma_f32 v[134:135], v[6:7] /*v[262:263]*/, v[218:219], v[138:139] op_sel_hi:[1,0,1]
	v_pk_fma_f32 v[136:137], v[6:7] /*v[262:263]*/, v[218:219], v[138:139] neg_lo:[0,0,1] neg_hi:[0,0,1]
	s_set_vgpr_msb 0                        ;  msbs: dst=0 src0=0 src1=0 src2=0
	v_pk_add_f32 v[124:125], v[124:125], v[130:131]
	s_set_vgpr_msb 1                        ;  msbs: dst=0 src0=1 src1=0 src2=0
	v_pk_fma_f32 v[130:131], v[16:17] /*v[272:273]*/, v[220:221], v[126:127] op_sel_hi:[1,0,1]
	v_pk_mul_f32 v[128:129], v[80:81] /*v[336:337]*/, v[128:129] op_sel_hi:[1,0]
	s_set_vgpr_msb 0                        ;  msbs: dst=0 src0=0 src1=0 src2=0
	v_mov_b32_e32 v137, v135
	s_set_vgpr_msb 1                        ;  msbs: dst=0 src0=1 src1=0 src2=0
	v_pk_fma_f32 v[126:127], v[16:17] /*v[272:273]*/, v[220:221], v[126:127] neg_lo:[0,0,1] neg_hi:[0,0,1]
	s_set_vgpr_msb 0                        ;  msbs: dst=0 src0=0 src1=0 src2=0
	v_pk_add_f32 v[124:125], v[124:125], v[132:133]
	v_mov_b32_e32 v127, v131
	s_set_vgpr_msb 1                        ;  msbs: dst=0 src0=1 src1=0 src2=0
	v_pk_fma_f32 v[130:131], v[18:19] /*v[274:275]*/, v[222:223], v[128:129] op_sel_hi:[1,0,1]
	s_wait_loadcnt_dscnt 0x100
	s_set_vgpr_msb 5                        ;  msbs: dst=0 src0=1 src1=1 src2=0
	v_pk_mul_f32 v[132:133], v[72:73] /*v[328:329]*/, v[68:69] /*v[324:325]*/ op_sel:[1,1] op_sel_hi:[0,1]
	s_set_vgpr_msb 1                        ;  msbs: dst=0 src0=1 src1=0 src2=0
	v_pk_fma_f32 v[128:129], v[18:19] /*v[274:275]*/, v[222:223], v[128:129] neg_lo:[0,0,1] neg_hi:[0,0,1]
	s_set_vgpr_msb 0                        ;  msbs: dst=0 src0=0 src1=0 src2=0
	v_pk_add_f32 v[124:125], v[124:125], v[136:137]
	v_mov_b32_e32 v129, v131
	s_set_vgpr_msb 5                        ;  msbs: dst=0 src0=1 src1=1 src2=0
	v_pk_fma_f32 v[130:131], v[72:73] /*v[328:329]*/, v[68:69] /*v[324:325]*/, v[132:133] neg_lo:[0,0,1] neg_hi:[0,0,1]
	s_set_vgpr_msb 0                        ;  msbs: dst=0 src0=0 src1=0 src2=0
	v_pk_add_f32 v[124:125], v[124:125], v[126:127]
	s_set_vgpr_msb 5                        ;  msbs: dst=0 src0=1 src1=1 src2=0
	v_pk_fma_f32 v[126:127], v[72:73] /*v[328:329]*/, v[68:69] /*v[324:325]*/, v[132:133] op_sel_hi:[1,0,1]
	s_set_vgpr_msb 0                        ;  msbs: dst=0 src0=0 src1=0 src2=0
	s_delay_alu instid0(VALU_DEP_2) | instskip(NEXT) | instid1(VALU_DEP_2)
	v_pk_add_f32 v[124:125], v[124:125], v[128:129]
	v_mov_b32_e32 v131, v127
	s_delay_alu instid0(VALU_DEP_1) | instskip(SKIP_2) | instid1(VALU_DEP_1)
	v_pk_add_f32 v[124:125], v[124:125], v[130:131]
	s_wait_loadcnt 0x0
	s_set_vgpr_msb 1                        ;  msbs: dst=0 src0=1 src1=0 src2=0
	v_pk_add_f32 v[124:125], v[70:71] /*v[326:327]*/, v[124:125] neg_lo:[0,1] neg_hi:[0,1]
	scratch_store_b64 off, v[124:125], off offset:72
	s_wait_xcnt 0x0
	v_cmpx_lt_u32_e32 8, v0
	s_set_vgpr_msb 0                        ;  msbs: dst=0 src0=0 src1=0 src2=0
	s_cbranch_execz .LBB124_363
; %bb.362:
	scratch_load_b64 v[124:125], off, off offset:64
	v_mov_b64_e32 v[126:127], 0
	scratch_store_b64 off, v[126:127], off offset:64
	s_wait_loadcnt 0x0
	ds_store_b64 v1, v[124:125]
.LBB124_363:
	s_wait_xcnt 0x0
	s_or_b32 exec_lo, exec_lo, s0
	s_wait_storecnt_dscnt 0x0
	s_barrier_signal -1
	s_barrier_wait -1
	s_clause 0x18
	scratch_load_b128 v[124:127], off, off offset:72
	scratch_load_b128 v[128:131], off, off offset:88
	;; [unrolled: 1-line block ×25, first 2 shown]
	ds_load_2addr_b64 v[224:227], v7 offset0:71 offset1:72
	ds_load_2addr_b64 v[228:231], v7 offset0:73 offset1:74
	scratch_load_b128 v[232:235], off, off offset:472
	ds_load_2addr_b64 v[236:239], v7 offset0:75 offset1:76
	ds_load_2addr_b64 v[240:243], v7 offset0:77 offset1:78
	;; [unrolled: 1-line block ×5, first 2 shown]
	s_set_vgpr_msb 64                       ;  msbs: dst=1 src0=0 src1=0 src2=0
	ds_load_2addr_b64 v[0:3] /*v[256:259]*/, v7 offset0:83 offset1:84
	ds_load_2addr_b64 v[4:7] /*v[260:263]*/, v7 offset0:85 offset1:86
	;; [unrolled: 1-line block ×19, first 2 shown]
	scratch_load_b64 v[76:77] /*v[332:333]*/, off, off offset:64
	s_wait_dscnt 0x13
	v_dual_mov_b32 v78 /*v334*/, v255 :: v_dual_mov_b32 v79 /*v335*/, v254
	s_wait_dscnt 0x10
	s_set_vgpr_msb 0x41                     ;  msbs: dst=1 src0=1 src1=0 src2=0
	v_dual_mov_b32 v80 /*v336*/, v11 /*v267*/ :: v_dual_mov_b32 v81 /*v337*/, v10 /*v266*/
	s_wait_dscnt 0xf
	v_dual_mov_b32 v82 /*v338*/, v15 /*v271*/ :: v_dual_mov_b32 v83 /*v339*/, v14 /*v270*/
	s_wait_dscnt 0xc
	v_dual_mov_b32 v84 /*v340*/, v27 /*v283*/ :: v_dual_mov_b32 v85 /*v341*/, v26 /*v282*/
	s_mov_b32 s0, exec_lo
	s_wait_loadcnt 0x1a
	s_set_vgpr_msb 0                        ;  msbs: dst=0 src0=0 src1=0 src2=0
	v_dual_mul_f32 v7, v224, v125 :: v_dual_mul_f32 v9, v226, v127
	v_dual_mul_f32 v91, v225, v125 :: v_dual_mul_f32 v93, v227, v127
	s_wait_loadcnt 0x19
	v_dual_mul_f32 v11, v228, v129 :: v_dual_mul_f32 v13, v230, v131
	s_delay_alu instid0(VALU_DEP_3) | instskip(SKIP_3) | instid1(VALU_DEP_3)
	v_dual_fmac_f32 v7, v225, v124 :: v_dual_fmac_f32 v9, v227, v126
	s_wait_loadcnt 0x17
	v_dual_fma_f32 v91, v224, v124, -v91 :: v_dual_mul_f32 v103, v241, v137
	v_dual_mul_f32 v95, v229, v129 :: v_dual_mul_f32 v97, v231, v131
	v_dual_fma_f32 v93, v226, v126, -v93 :: v_dual_add_f32 v7, 0, v7
	s_delay_alu instid0(VALU_DEP_3) | instskip(SKIP_1) | instid1(VALU_DEP_4)
	v_dual_add_f32 v91, 0, v91 :: v_dual_fmac_f32 v11, v229, v128
	v_dual_mul_f32 v15, v236, v133 :: v_dual_mul_f32 v17, v238, v135
	v_dual_mul_f32 v105, v243, v139 :: v_dual_fma_f32 v95, v228, v128, -v95
	s_delay_alu instid0(VALU_DEP_4) | instskip(NEXT) | instid1(VALU_DEP_3)
	v_add_f32_e32 v7, v7, v9
	v_dual_add_f32 v9, v91, v93 :: v_dual_fmac_f32 v15, v237, v132
	v_dual_mul_f32 v99, v237, v133 :: v_dual_mul_f32 v101, v239, v135
	s_wait_loadcnt 0x16
	v_dual_mul_f32 v91, v245, v141 :: v_dual_fmac_f32 v13, v231, v130
	v_dual_fma_f32 v93, v230, v130, -v97 :: v_dual_add_f32 v7, v7, v11
	s_delay_alu instid0(VALU_DEP_3) | instskip(SKIP_1) | instid1(VALU_DEP_3)
	v_dual_add_f32 v9, v9, v95 :: v_dual_fma_f32 v95, v236, v132, -v99
	v_dual_mul_f32 v19, v240, v137 :: v_dual_mul_f32 v21, v242, v139
	v_add_f32_e32 v7, v7, v13
	s_delay_alu instid0(VALU_DEP_3) | instskip(SKIP_2) | instid1(VALU_DEP_3)
	v_dual_mul_f32 v11, v247, v143 :: v_dual_add_f32 v9, v9, v93
	s_wait_loadcnt 0x15
	v_dual_mul_f32 v13, v249, v145 :: v_dual_fmac_f32 v17, v239, v134
	v_dual_fma_f32 v93, v238, v134, -v101 :: v_dual_add_f32 v7, v7, v15
	s_delay_alu instid0(VALU_DEP_3) | instskip(SKIP_1) | instid1(VALU_DEP_3)
	v_dual_add_f32 v9, v9, v95 :: v_dual_fma_f32 v95, v240, v136, -v103
	v_dual_mul_f32 v15, v251, v147 :: v_dual_fmac_f32 v19, v241, v136
	v_add_f32_e32 v7, v7, v17
	s_delay_alu instid0(VALU_DEP_3) | instskip(SKIP_1) | instid1(VALU_DEP_3)
	v_dual_add_f32 v9, v9, v93 :: v_dual_fmac_f32 v21, v243, v138
	v_dual_mul_f32 v23, v244, v141 :: v_dual_mul_f32 v25, v246, v143
	v_dual_fma_f32 v93, v242, v138, -v105 :: v_dual_add_f32 v7, v7, v19
	s_delay_alu instid0(VALU_DEP_3) | instskip(NEXT) | instid1(VALU_DEP_3)
	v_dual_add_f32 v9, v9, v95 :: v_dual_fma_f32 v91, v244, v140, -v91
	v_dual_fmac_f32 v23, v245, v140 :: v_dual_mul_f32 v27, v248, v145
	s_delay_alu instid0(VALU_DEP_3) | instskip(NEXT) | instid1(VALU_DEP_3)
	v_dual_mul_f32 v29, v250, v147 :: v_dual_add_f32 v7, v7, v21
	v_dual_fma_f32 v11, v246, v142, -v11 :: v_dual_add_f32 v9, v9, v93
	s_delay_alu instid0(VALU_DEP_3) | instskip(NEXT) | instid1(VALU_DEP_3)
	v_dual_fmac_f32 v25, v247, v142 :: v_dual_fmac_f32 v27, v249, v144
	v_dual_add_f32 v7, v7, v23 :: v_dual_fma_f32 v13, v248, v144, -v13
	s_delay_alu instid0(VALU_DEP_3)
	v_add_f32_e32 v9, v9, v91
	s_wait_loadcnt 0x14
	s_set_vgpr_msb 1                        ;  msbs: dst=0 src0=1 src1=0 src2=0
	v_dual_mul_f32 v31, v0 /*v256*/, v149 :: v_dual_mul_f32 v33, v2 /*v258*/, v151
	s_set_vgpr_msb 0                        ;  msbs: dst=0 src0=0 src1=0 src2=0
	v_add_f32_e32 v7, v7, v25
	s_set_vgpr_msb 1                        ;  msbs: dst=0 src0=1 src1=0 src2=0
	v_dual_mul_f32 v17, v1 /*v257*/, v149 :: v_dual_mul_f32 v19, v3 /*v259*/, v151
	s_set_vgpr_msb 0                        ;  msbs: dst=0 src0=0 src1=0 src2=0
	v_dual_add_f32 v9, v9, v11 :: v_dual_fmac_f32 v29, v251, v146
	v_dual_fma_f32 v15, v250, v146, -v15 :: v_dual_add_f32 v7, v7, v27
	s_set_vgpr_msb 1                        ;  msbs: dst=0 src0=1 src1=0 src2=0
	v_dual_fmac_f32 v31, v1 /*v257*/, v148 :: v_dual_fma_f32 v17, v0 /*v256*/, v148, -v17
	s_set_vgpr_msb 0                        ;  msbs: dst=0 src0=0 src1=0 src2=0
	v_add_f32_e32 v9, v9, v13
	s_wait_loadcnt 0x13
	s_set_vgpr_msb 1                        ;  msbs: dst=0 src0=1 src1=0 src2=0
	v_dual_mul_f32 v35, v4 /*v260*/, v153 :: v_dual_mul_f32 v37, v6 /*v262*/, v155
	s_set_vgpr_msb 0                        ;  msbs: dst=0 src0=0 src1=0 src2=0
	v_add_f32_e32 v7, v7, v29
	s_set_vgpr_msb 1                        ;  msbs: dst=0 src0=1 src1=0 src2=0
	v_dual_mul_f32 v21, v5 /*v261*/, v153 :: v_dual_mul_f32 v23, v7 /*v263*/, v155
	s_set_vgpr_msb 0                        ;  msbs: dst=0 src0=0 src1=0 src2=0
	v_add_f32_e32 v9, v9, v15
	s_wait_loadcnt 0x11
	s_set_vgpr_msb 1                        ;  msbs: dst=0 src0=1 src1=0 src2=0
	v_dual_mul_f32 v15, v21 /*v277*/, v161 :: v_dual_fmac_f32 v33, v3 /*v259*/, v150
	v_fma_f32 v19, v2 /*v258*/, v150, -v19
	s_set_vgpr_msb 0                        ;  msbs: dst=0 src0=0 src1=0 src2=0
	v_dual_add_f32 v7, v7, v31 :: v_dual_add_f32 v9, v9, v17
	s_set_vgpr_msb 1                        ;  msbs: dst=0 src0=1 src1=0 src2=0
	v_dual_mul_f32 v17, v23 /*v279*/, v163 :: v_dual_fmac_f32 v35, v5 /*v261*/, v152
	v_fma_f32 v21, v4 /*v260*/, v152, -v21
	s_set_vgpr_msb 0                        ;  msbs: dst=0 src0=0 src1=0 src2=0
	v_dual_add_f32 v7, v7, v33 :: v_dual_add_f32 v9, v9, v19
	s_set_vgpr_msb 1                        ;  msbs: dst=0 src0=1 src1=0 src2=0
	v_dual_mul_f32 v11, v17 /*v273*/, v157 :: v_dual_mul_f32 v13, v19 /*v275*/, v159
	s_wait_loadcnt_dscnt 0x100b
	v_dual_mul_f32 v19, v29 /*v285*/, v165 :: v_dual_fmac_f32 v37, v7 /*v263*/, v154
	v_fma_f32 v23, v6 /*v262*/, v154, -v23
	s_set_vgpr_msb 0                        ;  msbs: dst=0 src0=0 src1=0 src2=0
	v_dual_add_f32 v7, v7, v35 :: v_dual_add_f32 v9, v9, v21
	s_set_vgpr_msb 1                        ;  msbs: dst=0 src0=1 src1=0 src2=0
	v_dual_mul_f32 v39, v16 /*v272*/, v157 :: v_dual_mul_f32 v41, v18 /*v274*/, v159
	v_dual_mul_f32 v21, v31 /*v287*/, v167 :: v_dual_fma_f32 v11, v16 /*v272*/, v156, -v11
	s_set_vgpr_msb 0                        ;  msbs: dst=0 src0=0 src1=0 src2=0
	v_dual_add_f32 v7, v7, v37 :: v_dual_add_f32 v9, v9, v23
	s_set_vgpr_msb 1                        ;  msbs: dst=0 src0=1 src1=0 src2=0
	v_dual_fmac_f32 v39, v17 /*v273*/, v156 :: v_dual_fmac_f32 v41, v19 /*v275*/, v158
	s_wait_loadcnt_dscnt 0xf0a
	v_dual_mul_f32 v23, v33 /*v289*/, v169 :: v_dual_fma_f32 v13, v18 /*v274*/, v158, -v13
	s_set_vgpr_msb 0                        ;  msbs: dst=0 src0=0 src1=0 src2=0
	v_add_f32_e32 v9, v9, v11
	s_set_vgpr_msb 1                        ;  msbs: dst=0 src0=1 src1=0 src2=0
	v_dual_mul_f32 v43, v20 /*v276*/, v161 :: v_dual_mul_f32 v45, v22 /*v278*/, v163
	v_mul_f32_e32 v11, v35 /*v291*/, v171
	s_set_vgpr_msb 0                        ;  msbs: dst=0 src0=0 src1=0 src2=0
	v_dual_add_f32 v7, v7, v39 :: v_dual_add_f32 v9, v9, v13
	s_wait_loadcnt_dscnt 0xe09
	s_set_vgpr_msb 1                        ;  msbs: dst=0 src0=1 src1=0 src2=0
	v_dual_fma_f32 v15, v20 /*v276*/, v160, -v15 :: v_dual_mul_f32 v13, v37 /*v293*/, v173
	v_dual_fmac_f32 v43, v21 /*v277*/, v160 :: v_dual_fmac_f32 v45, v23 /*v279*/, v162
	s_set_vgpr_msb 0                        ;  msbs: dst=0 src0=0 src1=0 src2=0
	v_add_f32_e32 v7, v7, v41
	s_set_vgpr_msb 1                        ;  msbs: dst=0 src0=1 src1=0 src2=0
	v_fma_f32 v17, v22 /*v278*/, v162, -v17
	s_set_vgpr_msb 0                        ;  msbs: dst=0 src0=0 src1=0 src2=0
	v_add_f32_e32 v9, v9, v15
	s_set_vgpr_msb 1                        ;  msbs: dst=0 src0=1 src1=0 src2=0
	v_dual_mul_f32 v47, v28 /*v284*/, v165 :: v_dual_mul_f32 v49, v30 /*v286*/, v167
	v_mul_f32_e32 v15, v39 /*v295*/, v175
	s_set_vgpr_msb 0                        ;  msbs: dst=0 src0=0 src1=0 src2=0
	v_dual_add_f32 v7, v7, v43 :: v_dual_add_f32 v9, v9, v17
	s_wait_loadcnt_dscnt 0xd08
	s_set_vgpr_msb 1                        ;  msbs: dst=0 src0=1 src1=0 src2=0
	v_dual_fma_f32 v19, v28 /*v284*/, v164, -v19 :: v_dual_mul_f32 v17, v41 /*v297*/, v177
	v_dual_fmac_f32 v47, v29 /*v285*/, v164 :: v_dual_fmac_f32 v49, v31 /*v287*/, v166
	s_set_vgpr_msb 0                        ;  msbs: dst=0 src0=0 src1=0 src2=0
	v_add_f32_e32 v7, v7, v45
	s_set_vgpr_msb 1                        ;  msbs: dst=0 src0=1 src1=0 src2=0
	v_fma_f32 v21, v30 /*v286*/, v166, -v21
	s_set_vgpr_msb 0                        ;  msbs: dst=0 src0=0 src1=0 src2=0
	v_add_f32_e32 v9, v9, v19
	s_set_vgpr_msb 1                        ;  msbs: dst=0 src0=1 src1=0 src2=0
	v_dual_mul_f32 v51, v32 /*v288*/, v169 :: v_dual_mul_f32 v53, v34 /*v290*/, v171
	v_mul_f32_e32 v19, v43 /*v299*/, v179
	s_set_vgpr_msb 0                        ;  msbs: dst=0 src0=0 src1=0 src2=0
	v_dual_add_f32 v7, v7, v47 :: v_dual_add_f32 v9, v9, v21
	s_wait_loadcnt_dscnt 0xc07
	s_set_vgpr_msb 1                        ;  msbs: dst=0 src0=1 src1=0 src2=0
	v_dual_fma_f32 v23, v32 /*v288*/, v168, -v23 :: v_dual_mul_f32 v21, v45 /*v301*/, v181
	v_dual_mul_f32 v55, v36 /*v292*/, v173 :: v_dual_mul_f32 v57, v38 /*v294*/, v175
	v_dual_mul_f32 v59, v40 /*v296*/, v177 :: v_dual_mul_f32 v61, v42 /*v298*/, v179
	v_dual_fmac_f32 v51, v33 /*v289*/, v168 :: v_dual_fmac_f32 v53, v35 /*v291*/, v170
	v_fma_f32 v11, v34 /*v290*/, v170, -v11
	s_set_vgpr_msb 0                        ;  msbs: dst=0 src0=0 src1=0 src2=0
	v_dual_add_f32 v9, v9, v23 :: v_dual_add_f32 v7, v7, v49
	s_set_vgpr_msb 1                        ;  msbs: dst=0 src0=1 src1=0 src2=0
	v_dual_mul_f32 v23, v47 /*v303*/, v183 :: v_dual_fmac_f32 v55, v37 /*v293*/, v172
	v_fma_f32 v13, v36 /*v292*/, v172, -v13
	v_dual_fmac_f32 v57, v39 /*v295*/, v174 :: v_dual_fmac_f32 v59, v41 /*v297*/, v176
	s_set_vgpr_msb 0                        ;  msbs: dst=0 src0=0 src1=0 src2=0
	v_add_f32_e32 v9, v9, v11
	s_set_vgpr_msb 1                        ;  msbs: dst=0 src0=1 src1=0 src2=0
	v_dual_mul_f32 v63, v44 /*v300*/, v181 :: v_dual_mul_f32 v65, v46 /*v302*/, v183
	s_set_vgpr_msb 0                        ;  msbs: dst=0 src0=0 src1=0 src2=0
	v_add_f32_e32 v7, v7, v51
	s_wait_loadcnt_dscnt 0xb06
	s_set_vgpr_msb 1                        ;  msbs: dst=0 src0=1 src1=0 src2=0
	v_dual_mul_f32 v11, v49 /*v305*/, v185 :: v_dual_fma_f32 v15, v38 /*v294*/, v174, -v15
	s_set_vgpr_msb 0                        ;  msbs: dst=0 src0=0 src1=0 src2=0
	v_add_f32_e32 v9, v9, v13
	s_set_vgpr_msb 1                        ;  msbs: dst=0 src0=1 src1=0 src2=0
	v_dual_mul_f32 v13, v51 /*v307*/, v187 :: v_dual_fma_f32 v17, v40 /*v296*/, v176, -v17
	s_set_vgpr_msb 0                        ;  msbs: dst=0 src0=0 src1=0 src2=0
	v_add_f32_e32 v7, v7, v53
	s_set_vgpr_msb 1                        ;  msbs: dst=0 src0=1 src1=0 src2=0
	v_dual_fmac_f32 v61, v43 /*v299*/, v178 :: v_dual_fmac_f32 v63, v45 /*v301*/, v180
	s_set_vgpr_msb 0                        ;  msbs: dst=0 src0=0 src1=0 src2=0
	v_add_f32_e32 v9, v9, v15
	s_set_vgpr_msb 1                        ;  msbs: dst=0 src0=1 src1=0 src2=0
	v_dual_mul_f32 v67, v48 /*v304*/, v185 :: v_dual_mul_f32 v69, v50 /*v306*/, v187
	s_set_vgpr_msb 0                        ;  msbs: dst=0 src0=0 src1=0 src2=0
	v_add_f32_e32 v7, v7, v55
	s_wait_loadcnt_dscnt 0xa05
	s_set_vgpr_msb 1                        ;  msbs: dst=0 src0=1 src1=0 src2=0
	v_dual_mul_f32 v15, v53 /*v309*/, v189 :: v_dual_fma_f32 v19, v42 /*v298*/, v178, -v19
	s_set_vgpr_msb 0                        ;  msbs: dst=0 src0=0 src1=0 src2=0
	v_add_f32_e32 v9, v9, v17
	s_set_vgpr_msb 1                        ;  msbs: dst=0 src0=1 src1=0 src2=0
	v_dual_mul_f32 v17, v55 /*v311*/, v191 :: v_dual_fma_f32 v21, v44 /*v300*/, v180, -v21
	s_set_vgpr_msb 0                        ;  msbs: dst=0 src0=0 src1=0 src2=0
	v_add_f32_e32 v7, v7, v57
	s_set_vgpr_msb 1                        ;  msbs: dst=0 src0=1 src1=0 src2=0
	v_dual_fmac_f32 v65, v47 /*v303*/, v182 :: v_dual_fmac_f32 v67, v49 /*v305*/, v184
	s_set_vgpr_msb 0                        ;  msbs: dst=0 src0=0 src1=0 src2=0
	v_add_f32_e32 v9, v9, v19
	s_set_vgpr_msb 1                        ;  msbs: dst=0 src0=1 src1=0 src2=0
	v_dual_mul_f32 v71, v52 /*v308*/, v189 :: v_dual_mul_f32 v73, v54 /*v310*/, v191
	s_set_vgpr_msb 0                        ;  msbs: dst=0 src0=0 src1=0 src2=0
	v_add_f32_e32 v7, v7, v59
	s_wait_loadcnt_dscnt 0x904
	s_set_vgpr_msb 1                        ;  msbs: dst=0 src0=1 src1=0 src2=0
	v_dual_mul_f32 v19, v57 /*v313*/, v193 :: v_dual_fma_f32 v23, v46 /*v302*/, v182, -v23
	s_set_vgpr_msb 0                        ;  msbs: dst=0 src0=0 src1=0 src2=0
	v_add_f32_e32 v9, v9, v21
	s_set_vgpr_msb 1                        ;  msbs: dst=0 src0=1 src1=0 src2=0
	v_dual_mul_f32 v75, v56 /*v312*/, v193 :: v_dual_mul_f32 v77, v58 /*v314*/, v195
	v_dual_mul_f32 v21, v59 /*v315*/, v195 :: v_dual_fma_f32 v11, v48 /*v304*/, v184, -v11
	v_dual_fmac_f32 v69, v51 /*v307*/, v186 :: v_dual_fmac_f32 v71, v53 /*v309*/, v188
	s_set_vgpr_msb 0                        ;  msbs: dst=0 src0=0 src1=0 src2=0
	v_dual_add_f32 v9, v9, v23 :: v_dual_add_f32 v7, v7, v61
	s_wait_loadcnt_dscnt 0x803
	s_set_vgpr_msb 1                        ;  msbs: dst=0 src0=1 src1=0 src2=0
	v_dual_mul_f32 v23, v61 /*v317*/, v197 :: v_dual_fma_f32 v13, v50 /*v306*/, v186, -v13
	v_dual_fmac_f32 v73, v55 /*v311*/, v190 :: v_dual_fmac_f32 v75, v57 /*v313*/, v192
	s_set_vgpr_msb 0                        ;  msbs: dst=0 src0=0 src1=0 src2=0
	v_add_f32_e32 v9, v9, v11
	s_set_vgpr_msb 1                        ;  msbs: dst=0 src0=1 src1=0 src2=0
	v_dual_mul_f32 v79, v60 /*v316*/, v197 :: v_dual_mul_f32 v81, v62 /*v318*/, v199
	s_set_vgpr_msb 0                        ;  msbs: dst=0 src0=0 src1=0 src2=0
	v_add_f32_e32 v7, v7, v63
	s_set_vgpr_msb 1                        ;  msbs: dst=0 src0=1 src1=0 src2=0
	v_dual_mul_f32 v11, v63 /*v319*/, v199 :: v_dual_fma_f32 v15, v52 /*v308*/, v188, -v15
	s_set_vgpr_msb 0                        ;  msbs: dst=0 src0=0 src1=0 src2=0
	v_add_f32_e32 v9, v9, v13
	s_wait_loadcnt_dscnt 0x702
	s_set_vgpr_msb 1                        ;  msbs: dst=0 src0=1 src1=0 src2=0
	v_dual_mul_f32 v13, v65 /*v321*/, v201 :: v_dual_fma_f32 v17, v54 /*v310*/, v190, -v17
	s_set_vgpr_msb 0                        ;  msbs: dst=0 src0=0 src1=0 src2=0
	v_add_f32_e32 v7, v7, v65
	s_set_vgpr_msb 1                        ;  msbs: dst=0 src0=1 src1=0 src2=0
	v_dual_fmac_f32 v77, v59 /*v315*/, v194 :: v_dual_fmac_f32 v79, v61 /*v317*/, v196
	s_set_vgpr_msb 0                        ;  msbs: dst=0 src0=0 src1=0 src2=0
	v_add_f32_e32 v9, v9, v15
	s_set_vgpr_msb 1                        ;  msbs: dst=0 src0=1 src1=0 src2=0
	v_dual_mul_f32 v83, v64 /*v320*/, v201 :: v_dual_mul_f32 v85, v66 /*v322*/, v203
	s_set_vgpr_msb 0                        ;  msbs: dst=0 src0=0 src1=0 src2=0
	v_add_f32_e32 v7, v7, v67
	s_set_vgpr_msb 1                        ;  msbs: dst=0 src0=1 src1=0 src2=0
	v_dual_mul_f32 v15, v67 /*v323*/, v203 :: v_dual_fma_f32 v19, v56 /*v312*/, v192, -v19
	s_set_vgpr_msb 0                        ;  msbs: dst=0 src0=0 src1=0 src2=0
	v_add_f32_e32 v9, v9, v17
	s_wait_loadcnt_dscnt 0x601
	s_set_vgpr_msb 1                        ;  msbs: dst=0 src0=1 src1=0 src2=0
	v_dual_mul_f32 v17, v69 /*v325*/, v205 :: v_dual_fma_f32 v21, v58 /*v314*/, v194, -v21
	s_set_vgpr_msb 0                        ;  msbs: dst=0 src0=0 src1=0 src2=0
	v_add_f32_e32 v7, v7, v69
	s_set_vgpr_msb 1                        ;  msbs: dst=0 src0=1 src1=0 src2=0
	v_dual_fmac_f32 v81, v63 /*v319*/, v198 :: v_dual_fmac_f32 v83, v65 /*v321*/, v200
	s_set_vgpr_msb 0                        ;  msbs: dst=0 src0=0 src1=0 src2=0
	v_add_f32_e32 v9, v9, v19
	s_set_vgpr_msb 1                        ;  msbs: dst=0 src0=1 src1=0 src2=0
	v_dual_mul_f32 v19, v71 /*v327*/, v207 :: v_dual_fma_f32 v23, v60 /*v316*/, v196, -v23
	s_set_vgpr_msb 0                        ;  msbs: dst=0 src0=0 src1=0 src2=0
	v_add_f32_e32 v7, v7, v71
	s_set_vgpr_msb 1                        ;  msbs: dst=0 src0=1 src1=0 src2=0
	v_fma_f32 v11, v62 /*v318*/, v198, -v11
	s_set_vgpr_msb 0                        ;  msbs: dst=0 src0=0 src1=0 src2=0
	v_add_f32_e32 v9, v9, v21
	s_wait_loadcnt_dscnt 0x500
	s_set_vgpr_msb 1                        ;  msbs: dst=0 src0=1 src1=0 src2=0
	v_dual_mul_f32 v21, v73 /*v329*/, v209 :: v_dual_fma_f32 v13, v64 /*v320*/, v200, -v13
	s_set_vgpr_msb 0                        ;  msbs: dst=0 src0=0 src1=0 src2=0
	v_add_f32_e32 v7, v7, v73
	s_set_vgpr_msb 1                        ;  msbs: dst=0 src0=1 src1=0 src2=0
	v_fmac_f32_e32 v85, v67 /*v323*/, v202
	s_wait_loadcnt 0x4
	s_set_vgpr_msb 0                        ;  msbs: dst=0 src0=0 src1=0 src2=0
	v_dual_add_f32 v9, v9, v23 :: v_dual_mov_b32 v126, v215
	s_set_vgpr_msb 1                        ;  msbs: dst=0 src0=1 src1=0 src2=0
	v_dual_mul_f32 v23, v75 /*v331*/, v211 :: v_dual_mul_f32 v87, v68 /*v324*/, v205
	v_mul_f32_e32 v89, v70 /*v326*/, v207
	s_set_vgpr_msb 0                        ;  msbs: dst=0 src0=0 src1=0 src2=0
	v_add_f32_e32 v9, v9, v11
	v_add_f32_e32 v7, v7, v75
	s_set_vgpr_msb 1                        ;  msbs: dst=0 src0=1 src1=0 src2=0
	v_fma_f32 v11, v66 /*v322*/, v202, -v15
	v_fmac_f32_e32 v87, v69 /*v325*/, v204
	s_wait_loadcnt 0x3
	s_set_vgpr_msb 0                        ;  msbs: dst=0 src0=0 src1=0 src2=0
	v_dual_mov_b32 v130, v219 :: v_dual_add_f32 v9, v9, v13
	v_add_f32_e32 v7, v7, v77
	s_set_vgpr_msb 1                        ;  msbs: dst=0 src0=1 src1=0 src2=0
	v_fma_f32 v13, v68 /*v324*/, v204, -v17
	s_set_vgpr_msb 0x41                     ;  msbs: dst=1 src0=1 src1=0 src2=0
	v_dual_mul_f32 v87 /*v343*/, v72 /*v328*/, v209 :: v_dual_mul_f32 v89 /*v345*/, v74 /*v330*/, v211
	s_set_vgpr_msb 0                        ;  msbs: dst=0 src0=0 src1=0 src2=0
	v_add_f32_e32 v9, v9, v11
	v_add_f32_e32 v7, v7, v79
	s_set_vgpr_msb 1                        ;  msbs: dst=0 src0=1 src1=0 src2=0
	v_dual_fmac_f32 v89, v71 /*v327*/, v206 :: v_dual_fma_f32 v11, v70 /*v326*/, v206, -v19
	s_set_vgpr_msb 0                        ;  msbs: dst=0 src0=0 src1=0 src2=0
	v_pk_mul_f32 v[124:125], v[252:253], v[212:213] op_sel:[1,1] op_sel_hi:[0,1]
	v_add_f32_e32 v9, v9, v13
	v_add_f32_e32 v7, v7, v81
	s_set_vgpr_msb 0x41                     ;  msbs: dst=1 src0=1 src1=0 src2=0
	v_dual_fmac_f32 v87 /*v343*/, v73 /*v329*/, v208 :: v_dual_fmac_f32 v89 /*v345*/, v75 /*v331*/, v210
	v_dual_fma_f32 v86 /*v342*/, v72 /*v328*/, v208, -v21 :: v_dual_fma_f32 v88 /*v344*/, v74 /*v330*/, v210, -v23
	s_set_vgpr_msb 0                        ;  msbs: dst=0 src0=0 src1=0 src2=0
	v_add_f32_e32 v7, v7, v83
	v_add_f32_e32 v132, v9, v11
	v_pk_fma_f32 v[134:135], v[252:253], v[212:213], v[124:125] op_sel_hi:[1,0,1]
	s_set_vgpr_msb 1                        ;  msbs: dst=0 src0=1 src1=0 src2=0
	v_pk_mul_f32 v[126:127], v[78:79] /*v[334:335]*/, v[126:127] op_sel_hi:[1,0]
	s_set_vgpr_msb 0                        ;  msbs: dst=0 src0=0 src1=0 src2=0
	v_pk_fma_f32 v[124:125], v[252:253], v[212:213], v[124:125] neg_lo:[0,0,1] neg_hi:[0,0,1]
	v_add_f32_e32 v7, v7, v85
	s_set_vgpr_msb 1                        ;  msbs: dst=0 src0=1 src1=0 src2=0
	v_pk_mul_f32 v[128:129], v[8:9] /*v[264:265]*/, v[216:217] op_sel:[1,1] op_sel_hi:[0,1]
	s_set_vgpr_msb 0                        ;  msbs: dst=0 src0=0 src1=0 src2=0
	v_mov_b32_e32 v125, v135
	v_pk_fma_f32 v[134:135], v[254:255], v[214:215], v[126:127] op_sel_hi:[1,0,1]
	v_pk_fma_f32 v[126:127], v[254:255], v[214:215], v[126:127] neg_lo:[0,0,1] neg_hi:[0,0,1]
	v_add_f32_e32 v7, v7, v87
	s_set_vgpr_msb 1                        ;  msbs: dst=0 src0=1 src1=0 src2=0
	v_pk_fma_f32 v[138:139], v[8:9] /*v[264:265]*/, v[216:217], v[128:129] op_sel_hi:[1,0,1]
	v_pk_mul_f32 v[130:131], v[80:81] /*v[336:337]*/, v[130:131] op_sel_hi:[1,0]
	s_set_vgpr_msb 0                        ;  msbs: dst=0 src0=0 src1=0 src2=0
	v_mov_b32_e32 v127, v135
	s_wait_loadcnt 0x2
	s_set_vgpr_msb 1                        ;  msbs: dst=0 src0=1 src1=0 src2=0
	v_pk_mul_f32 v[136:137], v[12:13] /*v[268:269]*/, v[220:221] op_sel:[1,1] op_sel_hi:[0,1]
	s_set_vgpr_msb 0                        ;  msbs: dst=0 src0=0 src1=0 src2=0
	v_add_f32_e32 v133, v7, v89
	s_set_vgpr_msb 1                        ;  msbs: dst=0 src0=1 src1=0 src2=0
	v_pk_fma_f32 v[128:129], v[8:9] /*v[264:265]*/, v[216:217], v[128:129] neg_lo:[0,0,1] neg_hi:[0,0,1]
	s_set_vgpr_msb 0                        ;  msbs: dst=0 src0=0 src1=0 src2=0
	v_mov_b32_e32 v129, v139
	s_set_vgpr_msb 1                        ;  msbs: dst=0 src0=1 src1=0 src2=0
	v_pk_fma_f32 v[134:135], v[10:11] /*v[266:267]*/, v[218:219], v[130:131] op_sel_hi:[1,0,1]
	v_pk_fma_f32 v[130:131], v[10:11] /*v[266:267]*/, v[218:219], v[130:131] neg_lo:[0,0,1] neg_hi:[0,0,1]
	s_set_vgpr_msb 4                        ;  msbs: dst=0 src0=0 src1=1 src2=0
	v_pk_add_f32 v[132:133], v[132:133], v[86:87] /*v[342:343]*/
	s_delay_alu instid0(VALU_DEP_1) | instskip(SKIP_1) | instid1(VALU_DEP_1)
	v_pk_add_f32 v[132:133], v[132:133], v[88:89] /*v[344:345]*/
	s_set_vgpr_msb 0                        ;  msbs: dst=0 src0=0 src1=0 src2=0
	v_pk_add_f32 v[124:125], v[132:133], v[124:125]
	v_mov_b32_e32 v132, v223
	s_delay_alu instid0(VALU_DEP_2) | instskip(SKIP_2) | instid1(VALU_DEP_3)
	v_pk_add_f32 v[124:125], v[124:125], v[126:127]
	s_set_vgpr_msb 1                        ;  msbs: dst=0 src0=1 src1=0 src2=0
	v_pk_fma_f32 v[126:127], v[12:13] /*v[268:269]*/, v[220:221], v[136:137] op_sel_hi:[1,0,1]
	v_pk_mul_f32 v[132:133], v[82:83] /*v[338:339]*/, v[132:133] op_sel_hi:[1,0]
	s_set_vgpr_msb 0                        ;  msbs: dst=0 src0=0 src1=0 src2=0
	v_mov_b32_e32 v131, v135
	s_set_vgpr_msb 1                        ;  msbs: dst=0 src0=1 src1=0 src2=0
	v_pk_fma_f32 v[134:135], v[12:13] /*v[268:269]*/, v[220:221], v[136:137] neg_lo:[0,0,1] neg_hi:[0,0,1]
	s_set_vgpr_msb 0                        ;  msbs: dst=0 src0=0 src1=0 src2=0
	v_pk_add_f32 v[124:125], v[124:125], v[128:129]
	v_mov_b32_e32 v135, v127
	s_set_vgpr_msb 1                        ;  msbs: dst=0 src0=1 src1=0 src2=0
	v_pk_fma_f32 v[126:127], v[14:15] /*v[270:271]*/, v[222:223], v[132:133] op_sel_hi:[1,0,1]
	s_wait_loadcnt 0x1
	v_pk_mul_f32 v[128:129], v[24:25] /*v[280:281]*/, v[232:233] op_sel:[1,1] op_sel_hi:[0,1]
	s_set_vgpr_msb 0                        ;  msbs: dst=0 src0=0 src1=0 src2=0
	v_mov_b32_e32 v126, v235
	v_pk_add_f32 v[124:125], v[124:125], v[130:131]
	s_set_vgpr_msb 1                        ;  msbs: dst=0 src0=1 src1=0 src2=0
	v_pk_fma_f32 v[132:133], v[14:15] /*v[270:271]*/, v[222:223], v[132:133] neg_lo:[0,0,1] neg_hi:[0,0,1]
	s_set_vgpr_msb 0                        ;  msbs: dst=0 src0=0 src1=0 src2=0
	v_mov_b32_e32 v133, v127
	s_set_vgpr_msb 1                        ;  msbs: dst=0 src0=1 src1=0 src2=0
	v_pk_fma_f32 v[130:131], v[24:25] /*v[280:281]*/, v[232:233], v[128:129] op_sel_hi:[1,0,1]
	v_pk_mul_f32 v[126:127], v[84:85] /*v[340:341]*/, v[126:127] op_sel_hi:[1,0]
	s_set_vgpr_msb 0                        ;  msbs: dst=0 src0=0 src1=0 src2=0
	v_pk_add_f32 v[124:125], v[124:125], v[134:135]
	s_set_vgpr_msb 1                        ;  msbs: dst=0 src0=1 src1=0 src2=0
	v_pk_fma_f32 v[128:129], v[24:25] /*v[280:281]*/, v[232:233], v[128:129] neg_lo:[0,0,1] neg_hi:[0,0,1]
	s_set_vgpr_msb 0                        ;  msbs: dst=0 src0=0 src1=0 src2=0
	v_mov_b32_e32 v129, v131
	s_set_vgpr_msb 1                        ;  msbs: dst=0 src0=1 src1=0 src2=0
	v_pk_fma_f32 v[130:131], v[26:27] /*v[282:283]*/, v[234:235], v[126:127] op_sel_hi:[1,0,1]
	s_set_vgpr_msb 0                        ;  msbs: dst=0 src0=0 src1=0 src2=0
	v_pk_add_f32 v[124:125], v[124:125], v[132:133]
	s_set_vgpr_msb 1                        ;  msbs: dst=0 src0=1 src1=0 src2=0
	v_pk_fma_f32 v[126:127], v[26:27] /*v[282:283]*/, v[234:235], v[126:127] neg_lo:[0,0,1] neg_hi:[0,0,1]
	s_set_vgpr_msb 0                        ;  msbs: dst=0 src0=0 src1=0 src2=0
	v_mov_b32_e32 v127, v131
	v_pk_add_f32 v[124:125], v[124:125], v[128:129]
	s_delay_alu instid0(VALU_DEP_1) | instskip(SKIP_2) | instid1(VALU_DEP_1)
	v_pk_add_f32 v[124:125], v[124:125], v[126:127]
	s_wait_loadcnt 0x0
	s_set_vgpr_msb 1                        ;  msbs: dst=0 src0=1 src1=0 src2=0
	v_pk_add_f32 v[124:125], v[76:77] /*v[332:333]*/, v[124:125] neg_lo:[0,1] neg_hi:[0,1]
	scratch_store_b64 off, v[124:125], off offset:64
	s_wait_xcnt 0x0
	v_cmpx_lt_u32_e32 7, v0
	s_set_vgpr_msb 0                        ;  msbs: dst=0 src0=0 src1=0 src2=0
	s_cbranch_execz .LBB124_365
; %bb.364:
	scratch_load_b64 v[124:125], off, off offset:56
	v_mov_b64_e32 v[126:127], 0
	scratch_store_b64 off, v[126:127], off offset:56
	s_wait_loadcnt 0x0
	ds_store_b64 v1, v[124:125]
.LBB124_365:
	s_wait_xcnt 0x0
	s_or_b32 exec_lo, exec_lo, s0
	s_wait_storecnt_dscnt 0x0
	s_barrier_signal -1
	s_barrier_wait -1
	s_clause 0x1c
	scratch_load_b128 v[124:127], off, off offset:64
	scratch_load_b128 v[128:131], off, off offset:80
	scratch_load_b128 v[132:135], off, off offset:96
	scratch_load_b128 v[136:139], off, off offset:112
	scratch_load_b128 v[140:143], off, off offset:128
	scratch_load_b128 v[144:147], off, off offset:144
	scratch_load_b128 v[148:151], off, off offset:160
	scratch_load_b128 v[152:155], off, off offset:176
	scratch_load_b128 v[156:159], off, off offset:192
	scratch_load_b128 v[160:163], off, off offset:208
	scratch_load_b128 v[164:167], off, off offset:224
	scratch_load_b128 v[168:171], off, off offset:240
	scratch_load_b128 v[172:175], off, off offset:256
	scratch_load_b128 v[176:179], off, off offset:272
	scratch_load_b128 v[180:183], off, off offset:288
	scratch_load_b128 v[184:187], off, off offset:304
	scratch_load_b128 v[188:191], off, off offset:320
	scratch_load_b128 v[192:195], off, off offset:336
	scratch_load_b128 v[196:199], off, off offset:352
	scratch_load_b128 v[200:203], off, off offset:368
	scratch_load_b128 v[204:207], off, off offset:384
	scratch_load_b128 v[208:211], off, off offset:400
	scratch_load_b128 v[212:215], off, off offset:416
	scratch_load_b128 v[216:219], off, off offset:432
	scratch_load_b128 v[220:223], off, off offset:448
	scratch_load_b128 v[224:227], off, off offset:464
	s_set_vgpr_msb 64                       ;  msbs: dst=1 src0=0 src1=0 src2=0
	scratch_load_b64 v[76:77] /*v[332:333]*/, off, off offset:480
	scratch_load_b64 v[78:79] /*v[334:335]*/, off, off offset:56
	s_set_vgpr_msb 0                        ;  msbs: dst=0 src0=0 src1=0 src2=0
	v_mov_b32_e32 v7, 0
	ds_load_b128 v[228:231], v7 offset:560
	ds_load_b128 v[232:235], v7 offset:576
	;; [unrolled: 1-line block ×7, first 2 shown]
	s_set_vgpr_msb 64                       ;  msbs: dst=1 src0=0 src1=0 src2=0
	ds_load_b128 v[0:3] /*v[256:259]*/, v7 offset:656
	ds_load_b128 v[4:7] /*v[260:263]*/, v7 offset:672
	;; [unrolled: 1-line block ×19, first 2 shown]
	ds_load_b64 v[80:81] /*v[336:337]*/, v7 offset:976
	s_wait_dscnt 0x14
	v_dual_mov_b32 v82 /*v338*/, v255 :: v_dual_mov_b32 v83 /*v339*/, v254
	s_wait_dscnt 0x11
	s_set_vgpr_msb 0x41                     ;  msbs: dst=1 src0=1 src1=0 src2=0
	v_dual_mov_b32 v84 /*v340*/, v11 /*v267*/ :: v_dual_mov_b32 v85 /*v341*/, v10 /*v266*/
	s_wait_dscnt 0x10
	v_dual_mov_b32 v86 /*v342*/, v15 /*v271*/ :: v_dual_mov_b32 v87 /*v343*/, v14 /*v270*/
	s_wait_dscnt 0xd
	v_dual_mov_b32 v88 /*v344*/, v27 /*v283*/ :: v_dual_mov_b32 v89 /*v345*/, v26 /*v282*/
	s_mov_b32 s0, exec_lo
	s_wait_loadcnt 0x1b
	s_set_vgpr_msb 0                        ;  msbs: dst=0 src0=0 src1=0 src2=0
	v_dual_mul_f32 v9, v228, v125 :: v_dual_mul_f32 v95, v229, v125
	s_wait_loadcnt 0x1a
	v_dual_mul_f32 v11, v230, v127 :: v_dual_mul_f32 v13, v232, v129
	v_dual_mul_f32 v97, v231, v127 :: v_dual_mul_f32 v99, v233, v129
	s_wait_loadcnt 0x16
	v_dual_mul_f32 v31, v250, v147 :: v_dual_fmac_f32 v9, v229, v124
	v_dual_fma_f32 v95, v228, v124, -v95 :: v_dual_mul_f32 v109, v243, v139
	s_delay_alu instid0(VALU_DEP_3) | instskip(NEXT) | instid1(VALU_DEP_3)
	v_dual_fma_f32 v97, v230, v126, -v97 :: v_dual_fmac_f32 v11, v231, v126
	v_dual_add_f32 v9, 0, v9 :: v_dual_mul_f32 v15, v234, v131
	v_dual_mul_f32 v17, v236, v133 :: v_dual_mul_f32 v101, v235, v131
	s_delay_alu instid0(VALU_DEP_4)
	v_dual_mul_f32 v103, v237, v133 :: v_dual_add_f32 v95, 0, v95
	v_dual_mul_f32 v111, v245, v141 :: v_dual_fma_f32 v99, v232, v128, -v99
	v_fmac_f32_e32 v13, v233, v128
	s_wait_loadcnt_dscnt 0x601
	s_set_vgpr_msb 1                        ;  msbs: dst=0 src0=1 src1=0 src2=0
	v_mul_f32_e32 v93, v72 /*v328*/, v209
	s_set_vgpr_msb 0                        ;  msbs: dst=0 src0=0 src1=0 src2=0
	v_dual_add_f32 v9, v9, v11 :: v_dual_fmac_f32 v15, v235, v130
	v_add_f32_e32 v11, v95, v97
	v_dual_mul_f32 v95, v247, v143 :: v_dual_fma_f32 v97, v234, v130, -v101
	s_delay_alu instid0(VALU_DEP_3) | instskip(NEXT) | instid1(VALU_DEP_3)
	v_dual_add_f32 v9, v9, v13 :: v_dual_mul_f32 v19, v238, v135
	v_dual_mul_f32 v21, v240, v137 :: v_dual_add_f32 v11, v11, v99
	v_dual_mul_f32 v105, v239, v135 :: v_dual_mul_f32 v107, v241, v137
	v_dual_mul_f32 v13, v249, v145 :: v_dual_fma_f32 v99, v236, v132, -v103
	s_delay_alu instid0(VALU_DEP_3) | instskip(SKIP_1) | instid1(VALU_DEP_4)
	v_dual_fmac_f32 v17, v237, v132 :: v_dual_add_f32 v11, v11, v97
	v_dual_add_f32 v9, v9, v15 :: v_dual_fmac_f32 v19, v239, v134
	v_dual_mul_f32 v15, v251, v147 :: v_dual_fma_f32 v97, v238, v134, -v105
	s_delay_alu instid0(VALU_DEP_2) | instskip(SKIP_2) | instid1(VALU_DEP_3)
	v_dual_add_f32 v11, v11, v99 :: v_dual_add_f32 v9, v9, v17
	v_dual_mul_f32 v23, v242, v139 :: v_dual_mul_f32 v25, v244, v141
	v_dual_fmac_f32 v21, v241, v136 :: v_dual_fma_f32 v99, v240, v136, -v107
	v_dual_add_f32 v9, v9, v19 :: v_dual_add_f32 v11, v11, v97
	s_delay_alu instid0(VALU_DEP_3) | instskip(SKIP_1) | instid1(VALU_DEP_3)
	v_dual_fmac_f32 v23, v243, v138 :: v_dual_fma_f32 v97, v242, v138, -v109
	v_dual_mul_f32 v27, v246, v143 :: v_dual_mul_f32 v29, v248, v145
	v_dual_add_f32 v9, v9, v21 :: v_dual_add_f32 v11, v11, v99
	v_dual_fmac_f32 v25, v245, v140 :: v_dual_fma_f32 v99, v244, v140, -v111
	s_set_vgpr_msb 1                        ;  msbs: dst=0 src0=1 src1=0 src2=0
	v_dual_mul_f32 v33, v0 /*v256*/, v149 :: v_dual_mul_f32 v35, v2 /*v258*/, v151
	s_set_vgpr_msb 0                        ;  msbs: dst=0 src0=0 src1=0 src2=0
	v_dual_add_f32 v9, v9, v23 :: v_dual_add_f32 v11, v11, v97
	v_fmac_f32_e32 v27, v247, v142
	v_fma_f32 v95, v246, v142, -v95
	s_set_vgpr_msb 1                        ;  msbs: dst=0 src0=1 src1=0 src2=0
	v_dual_mul_f32 v17, v1 /*v257*/, v149 :: v_dual_mul_f32 v19, v3 /*v259*/, v151
	s_set_vgpr_msb 0                        ;  msbs: dst=0 src0=0 src1=0 src2=0
	v_dual_add_f32 v9, v9, v25 :: v_dual_add_f32 v11, v11, v99
	v_fmac_f32_e32 v29, v249, v144
	v_fma_f32 v13, v248, v144, -v13
	s_set_vgpr_msb 1                        ;  msbs: dst=0 src0=1 src1=0 src2=0
	v_fmac_f32_e32 v33, v1 /*v257*/, v148
	s_set_vgpr_msb 0                        ;  msbs: dst=0 src0=0 src1=0 src2=0
	v_add_f32_e32 v9, v9, v27
	v_add_f32_e32 v11, v11, v95
	v_fmac_f32_e32 v31, v251, v146
	v_fma_f32 v15, v250, v146, -v15
	s_set_vgpr_msb 1                        ;  msbs: dst=0 src0=1 src1=0 src2=0
	v_fma_f32 v17, v0 /*v256*/, v148, -v17
	s_set_vgpr_msb 0                        ;  msbs: dst=0 src0=0 src1=0 src2=0
	v_add_f32_e32 v9, v9, v29
	v_add_f32_e32 v11, v11, v13
	s_set_vgpr_msb 1                        ;  msbs: dst=0 src0=1 src1=0 src2=0
	v_mul_f32_e32 v13, v21 /*v277*/, v161
	v_dual_mul_f32 v37, v4 /*v260*/, v153 :: v_dual_mul_f32 v39, v6 /*v262*/, v155
	v_dual_mul_f32 v21, v5 /*v261*/, v153 :: v_dual_mul_f32 v23, v7 /*v263*/, v155
	s_set_vgpr_msb 0                        ;  msbs: dst=0 src0=0 src1=0 src2=0
	v_add_f32_e32 v11, v11, v15
	v_add_f32_e32 v9, v9, v31
	s_set_vgpr_msb 1                        ;  msbs: dst=0 src0=1 src1=0 src2=0
	v_mul_f32_e32 v15, v23 /*v279*/, v163
	v_fmac_f32_e32 v35, v3 /*v259*/, v150
	v_dual_fma_f32 v19, v2 /*v258*/, v150, -v19 :: v_dual_fmac_f32 v37, v5 /*v261*/, v152
	s_set_vgpr_msb 0                        ;  msbs: dst=0 src0=0 src1=0 src2=0
	v_add_f32_e32 v11, v11, v17
	v_add_f32_e32 v9, v9, v33
	s_set_vgpr_msb 1                        ;  msbs: dst=0 src0=1 src1=0 src2=0
	v_dual_mul_f32 v17, v29 /*v285*/, v165 :: v_dual_fma_f32 v21, v4 /*v260*/, v152, -v21
	v_dual_mul_f32 v41, v16 /*v272*/, v157 :: v_dual_mul_f32 v43, v18 /*v274*/, v159
	s_set_vgpr_msb 0                        ;  msbs: dst=0 src0=0 src1=0 src2=0
	v_add_f32_e32 v11, v11, v19
	s_set_vgpr_msb 1                        ;  msbs: dst=0 src0=1 src1=0 src2=0
	v_mul_f32_e32 v19, v31 /*v287*/, v167
	s_set_vgpr_msb 0                        ;  msbs: dst=0 src0=0 src1=0 src2=0
	v_add_f32_e32 v9, v9, v35
	s_set_vgpr_msb 1                        ;  msbs: dst=0 src0=1 src1=0 src2=0
	v_dual_mul_f32 v25, v17 /*v273*/, v157 :: v_dual_mul_f32 v27, v19 /*v275*/, v159
	v_fmac_f32_e32 v39, v7 /*v263*/, v154
	v_dual_fma_f32 v23, v6 /*v262*/, v154, -v23 :: v_dual_fmac_f32 v41, v17 /*v273*/, v156
	s_set_vgpr_msb 0                        ;  msbs: dst=0 src0=0 src1=0 src2=0
	v_add_f32_e32 v11, v11, v21
	v_add_f32_e32 v9, v9, v37
	s_set_vgpr_msb 1                        ;  msbs: dst=0 src0=1 src1=0 src2=0
	v_dual_mul_f32 v21, v33 /*v289*/, v169 :: v_dual_fma_f32 v25, v16 /*v272*/, v156, -v25
	v_dual_mul_f32 v45, v20 /*v276*/, v161 :: v_dual_mul_f32 v47, v22 /*v278*/, v163
	s_set_vgpr_msb 0                        ;  msbs: dst=0 src0=0 src1=0 src2=0
	v_add_f32_e32 v11, v11, v23
	s_set_vgpr_msb 1                        ;  msbs: dst=0 src0=1 src1=0 src2=0
	v_mul_f32_e32 v23, v35 /*v291*/, v171
	s_set_vgpr_msb 0                        ;  msbs: dst=0 src0=0 src1=0 src2=0
	v_add_f32_e32 v9, v9, v39
	s_set_vgpr_msb 1                        ;  msbs: dst=0 src0=1 src1=0 src2=0
	v_fmac_f32_e32 v43, v19 /*v275*/, v158
	v_dual_fma_f32 v27, v18 /*v274*/, v158, -v27 :: v_dual_fmac_f32 v45, v21 /*v277*/, v160
	s_set_vgpr_msb 0                        ;  msbs: dst=0 src0=0 src1=0 src2=0
	v_add_f32_e32 v11, v11, v25
	v_add_f32_e32 v9, v9, v41
	s_set_vgpr_msb 1                        ;  msbs: dst=0 src0=1 src1=0 src2=0
	v_dual_mul_f32 v25, v37 /*v293*/, v173 :: v_dual_fma_f32 v13, v20 /*v276*/, v160, -v13
	v_dual_mul_f32 v49, v28 /*v284*/, v165 :: v_dual_mul_f32 v51, v30 /*v286*/, v167
	s_set_vgpr_msb 0                        ;  msbs: dst=0 src0=0 src1=0 src2=0
	v_add_f32_e32 v11, v11, v27
	s_set_vgpr_msb 1                        ;  msbs: dst=0 src0=1 src1=0 src2=0
	v_mul_f32_e32 v27, v39 /*v295*/, v175
	s_set_vgpr_msb 0                        ;  msbs: dst=0 src0=0 src1=0 src2=0
	v_add_f32_e32 v9, v9, v43
	s_set_vgpr_msb 1                        ;  msbs: dst=0 src0=1 src1=0 src2=0
	;; [unrolled: 15-line block ×11, first 2 shown]
	v_dual_fmac_f32 v83, v63 /*v319*/, v198 :: v_dual_fmac_f32 v85, v65 /*v321*/, v200
	v_dual_fma_f32 v19, v62 /*v318*/, v198, -v19 :: v_dual_fma_f32 v21, v64 /*v320*/, v200, -v21
	s_set_vgpr_msb 0                        ;  msbs: dst=0 src0=0 src1=0 src2=0
	v_add_f32_e32 v11, v11, v17
	v_add_f32_e32 v9, v9, v81
	s_set_vgpr_msb 1                        ;  msbs: dst=0 src0=1 src1=0 src2=0
	v_dual_mul_f32 v89, v68 /*v324*/, v205 :: v_dual_mul_f32 v91, v70 /*v326*/, v207
	s_wait_loadcnt 0x5
	s_set_vgpr_msb 0                        ;  msbs: dst=0 src0=0 src1=0 src2=0
	v_dual_mul_f32 v17, v253, v213 :: v_dual_add_f32 v11, v11, v19
	v_dual_add_f32 v9, v9, v83 :: v_dual_mov_b32 v124, v215
	s_set_vgpr_msb 1                        ;  msbs: dst=0 src0=1 src1=0 src2=0
	v_dual_fmac_f32 v87, v67 /*v323*/, v202 :: v_dual_fmac_f32 v89, v69 /*v325*/, v204
	v_fma_f32 v19, v66 /*v322*/, v202, -v23
	s_set_vgpr_msb 0                        ;  msbs: dst=0 src0=0 src1=0 src2=0
	v_add_f32_e32 v11, v11, v21
	s_set_vgpr_msb 1                        ;  msbs: dst=0 src0=1 src1=0 src2=0
	v_fma_f32 v21, v68 /*v324*/, v204, -v25
	s_set_vgpr_msb 0                        ;  msbs: dst=0 src0=0 src1=0 src2=0
	v_add_f32_e32 v9, v9, v85
	s_set_vgpr_msb 1                        ;  msbs: dst=0 src0=1 src1=0 src2=0
	v_dual_fmac_f32 v91, v71 /*v327*/, v206 :: v_dual_fmac_f32 v93, v73 /*v329*/, v208
	s_set_vgpr_msb 0                        ;  msbs: dst=0 src0=0 src1=0 src2=0
	v_add_f32_e32 v11, v11, v19
	s_set_vgpr_msb 1                        ;  msbs: dst=0 src0=1 src1=0 src2=0
	v_dual_fma_f32 v19, v70 /*v326*/, v206, -v27 :: v_dual_fma_f32 v13, v72 /*v328*/, v208, -v13
	s_wait_loadcnt 0x4
	s_set_vgpr_msb 0                        ;  msbs: dst=0 src0=0 src1=0 src2=0
	v_dual_add_f32 v9, v9, v87 :: v_dual_mov_b32 v128, v219
	s_set_vgpr_msb 0x41                     ;  msbs: dst=1 src0=1 src1=0 src2=0
	v_dual_mul_f32 v91 /*v347*/, v74 /*v330*/, v211 :: v_dual_fma_f32 v90 /*v346*/, v74 /*v330*/, v210, -v15
	s_set_vgpr_msb 1                        ;  msbs: dst=0 src0=1 src1=0 src2=0
	v_pk_mul_f32 v[124:125], v[82:83] /*v[338:339]*/, v[124:125] op_sel_hi:[1,0]
	s_set_vgpr_msb 0                        ;  msbs: dst=0 src0=0 src1=0 src2=0
	v_add_f32_e32 v9, v9, v89
	v_add_f32_e32 v11, v11, v21
	s_set_vgpr_msb 64                       ;  msbs: dst=1 src0=0 src1=0 src2=0
	v_dual_mul_f32 v93 /*v349*/, v252, v213 :: v_dual_fma_f32 v92 /*v348*/, v252, v212, -v17
	s_set_vgpr_msb 0x41                     ;  msbs: dst=1 src0=1 src1=0 src2=0
	v_fmac_f32_e32 v91 /*v347*/, v75 /*v331*/, v210
	s_set_vgpr_msb 0                        ;  msbs: dst=0 src0=0 src1=0 src2=0
	v_add_f32_e32 v9, v9, v91
	v_add_f32_e32 v11, v11, v19
	v_pk_fma_f32 v[136:137], v[254:255], v[214:215], v[124:125] op_sel_hi:[1,0,1]
	v_pk_fma_f32 v[124:125], v[254:255], v[214:215], v[124:125] neg_lo:[0,0,1] neg_hi:[0,0,1]
	s_set_vgpr_msb 1                        ;  msbs: dst=0 src0=1 src1=0 src2=0
	v_pk_mul_f32 v[126:127], v[8:9] /*v[264:265]*/, v[216:217] op_sel:[1,1] op_sel_hi:[0,1]
	s_set_vgpr_msb 0                        ;  msbs: dst=0 src0=0 src1=0 src2=0
	v_add_f32_e32 v133, v9, v93
	v_dual_add_f32 v132, v11, v13 :: v_dual_mov_b32 v125, v137
	s_set_vgpr_msb 64                       ;  msbs: dst=1 src0=0 src1=0 src2=0
	v_fmac_f32_e32 v93 /*v349*/, v253, v212
	s_set_vgpr_msb 1                        ;  msbs: dst=0 src0=1 src1=0 src2=0
	v_pk_fma_f32 v[138:139], v[8:9] /*v[264:265]*/, v[216:217], v[126:127] op_sel_hi:[1,0,1]
	v_pk_mul_f32 v[128:129], v[84:85] /*v[340:341]*/, v[128:129] op_sel_hi:[1,0]
	s_set_vgpr_msb 4                        ;  msbs: dst=0 src0=0 src1=1 src2=0
	v_pk_add_f32 v[132:133], v[132:133], v[90:91] /*v[346:347]*/
	s_set_vgpr_msb 1                        ;  msbs: dst=0 src0=1 src1=0 src2=0
	v_pk_fma_f32 v[126:127], v[8:9] /*v[264:265]*/, v[216:217], v[126:127] neg_lo:[0,0,1] neg_hi:[0,0,1]
	s_wait_loadcnt 0x3
	v_pk_mul_f32 v[130:131], v[12:13] /*v[268:269]*/, v[220:221] op_sel:[1,1] op_sel_hi:[0,1]
	s_set_vgpr_msb 4                        ;  msbs: dst=0 src0=0 src1=1 src2=0
	v_dual_mov_b32 v134, v223 :: v_dual_mov_b32 v127, v139
	v_pk_add_f32 v[132:133], v[132:133], v[92:93] /*v[348:349]*/
	s_set_vgpr_msb 1                        ;  msbs: dst=0 src0=1 src1=0 src2=0
	v_pk_fma_f32 v[138:139], v[10:11] /*v[266:267]*/, v[218:219], v[128:129] op_sel_hi:[1,0,1]
	v_pk_fma_f32 v[128:129], v[10:11] /*v[266:267]*/, v[218:219], v[128:129] neg_lo:[0,0,1] neg_hi:[0,0,1]
	v_pk_mul_f32 v[134:135], v[86:87] /*v[342:343]*/, v[134:135] op_sel_hi:[1,0]
	s_wait_loadcnt 0x2
	v_pk_mul_f32 v[136:137], v[24:25] /*v[280:281]*/, v[224:225] op_sel:[1,1] op_sel_hi:[0,1]
	s_set_vgpr_msb 0                        ;  msbs: dst=0 src0=0 src1=0 src2=0
	v_pk_add_f32 v[124:125], v[132:133], v[124:125]
	s_set_vgpr_msb 1                        ;  msbs: dst=0 src0=1 src1=0 src2=0
	v_pk_fma_f32 v[132:133], v[12:13] /*v[268:269]*/, v[220:221], v[130:131] op_sel_hi:[1,0,1]
	s_set_vgpr_msb 0                        ;  msbs: dst=0 src0=0 src1=0 src2=0
	v_mov_b32_e32 v129, v139
	s_set_vgpr_msb 1                        ;  msbs: dst=0 src0=1 src1=0 src2=0
	v_pk_fma_f32 v[130:131], v[12:13] /*v[268:269]*/, v[220:221], v[130:131] neg_lo:[0,0,1] neg_hi:[0,0,1]
	s_set_vgpr_msb 0                        ;  msbs: dst=0 src0=0 src1=0 src2=0
	v_pk_add_f32 v[124:125], v[124:125], v[126:127]
	v_dual_mov_b32 v126, v227 :: v_dual_mov_b32 v131, v133
	s_set_vgpr_msb 1                        ;  msbs: dst=0 src0=1 src1=0 src2=0
	v_pk_fma_f32 v[132:133], v[14:15] /*v[270:271]*/, v[222:223], v[134:135] op_sel_hi:[1,0,1]
	v_pk_fma_f32 v[134:135], v[14:15] /*v[270:271]*/, v[222:223], v[134:135] neg_lo:[0,0,1] neg_hi:[0,0,1]
	s_set_vgpr_msb 0                        ;  msbs: dst=0 src0=0 src1=0 src2=0
	v_pk_add_f32 v[124:125], v[124:125], v[128:129]
	s_set_vgpr_msb 1                        ;  msbs: dst=0 src0=1 src1=0 src2=0
	v_pk_fma_f32 v[128:129], v[24:25] /*v[280:281]*/, v[224:225], v[136:137] op_sel_hi:[1,0,1]
	v_pk_mul_f32 v[126:127], v[88:89] /*v[344:345]*/, v[126:127] op_sel_hi:[1,0]
	s_set_vgpr_msb 0                        ;  msbs: dst=0 src0=0 src1=0 src2=0
	v_mov_b32_e32 v135, v133
	s_wait_loadcnt_dscnt 0x100
	s_set_vgpr_msb 5                        ;  msbs: dst=0 src0=1 src1=1 src2=0
	v_pk_mul_f32 v[132:133], v[80:81] /*v[336:337]*/, v[76:77] /*v[332:333]*/ op_sel:[1,1] op_sel_hi:[0,1]
	s_set_vgpr_msb 0                        ;  msbs: dst=0 src0=0 src1=0 src2=0
	v_pk_add_f32 v[124:125], v[124:125], v[130:131]
	s_set_vgpr_msb 1                        ;  msbs: dst=0 src0=1 src1=0 src2=0
	v_pk_fma_f32 v[130:131], v[24:25] /*v[280:281]*/, v[224:225], v[136:137] neg_lo:[0,0,1] neg_hi:[0,0,1]
	s_set_vgpr_msb 0                        ;  msbs: dst=0 src0=0 src1=0 src2=0
	v_mov_b32_e32 v131, v129
	s_set_vgpr_msb 1                        ;  msbs: dst=0 src0=1 src1=0 src2=0
	v_pk_fma_f32 v[128:129], v[26:27] /*v[282:283]*/, v[226:227], v[126:127] op_sel_hi:[1,0,1]
	v_pk_fma_f32 v[126:127], v[26:27] /*v[282:283]*/, v[226:227], v[126:127] neg_lo:[0,0,1] neg_hi:[0,0,1]
	s_set_vgpr_msb 0                        ;  msbs: dst=0 src0=0 src1=0 src2=0
	v_pk_add_f32 v[124:125], v[124:125], v[134:135]
	s_delay_alu instid0(VALU_DEP_3)
	v_mov_b32_e32 v127, v129
	s_set_vgpr_msb 5                        ;  msbs: dst=0 src0=1 src1=1 src2=0
	v_pk_fma_f32 v[128:129], v[80:81] /*v[336:337]*/, v[76:77] /*v[332:333]*/, v[132:133] op_sel_hi:[1,0,1]
	s_set_vgpr_msb 0                        ;  msbs: dst=0 src0=0 src1=0 src2=0
	v_pk_add_f32 v[124:125], v[124:125], v[130:131]
	s_set_vgpr_msb 5                        ;  msbs: dst=0 src0=1 src1=1 src2=0
	v_pk_fma_f32 v[130:131], v[80:81] /*v[336:337]*/, v[76:77] /*v[332:333]*/, v[132:133] neg_lo:[0,0,1] neg_hi:[0,0,1]
	s_set_vgpr_msb 0                        ;  msbs: dst=0 src0=0 src1=0 src2=0
	v_mov_b32_e32 v131, v129
	v_pk_add_f32 v[124:125], v[124:125], v[126:127]
	s_delay_alu instid0(VALU_DEP_1) | instskip(SKIP_2) | instid1(VALU_DEP_1)
	v_pk_add_f32 v[124:125], v[124:125], v[130:131]
	s_wait_loadcnt 0x0
	s_set_vgpr_msb 1                        ;  msbs: dst=0 src0=1 src1=0 src2=0
	v_pk_add_f32 v[124:125], v[78:79] /*v[334:335]*/, v[124:125] neg_lo:[0,1] neg_hi:[0,1]
	scratch_store_b64 off, v[124:125], off offset:56
	s_wait_xcnt 0x0
	v_cmpx_lt_u32_e32 6, v0
	s_set_vgpr_msb 0                        ;  msbs: dst=0 src0=0 src1=0 src2=0
	s_cbranch_execz .LBB124_367
; %bb.366:
	scratch_load_b64 v[124:125], off, off offset:48
	v_mov_b64_e32 v[126:127], 0
	scratch_store_b64 off, v[126:127], off offset:48
	s_wait_loadcnt 0x0
	ds_store_b64 v1, v[124:125]
.LBB124_367:
	s_wait_xcnt 0x0
	s_or_b32 exec_lo, exec_lo, s0
	s_wait_storecnt_dscnt 0x0
	s_barrier_signal -1
	s_barrier_wait -1
	s_clause 0xf
	scratch_load_b128 v[128:131], off, off offset:56
	scratch_load_b128 v[136:139], off, off offset:72
	;; [unrolled: 1-line block ×16, first 2 shown]
	ds_load_2addr_b64 v[124:127], v7 offset0:69 offset1:70
	ds_load_2addr_b64 v[132:135], v7 offset0:71 offset1:72
	s_set_vgpr_msb 64                       ;  msbs: dst=1 src0=0 src1=0 src2=0
	s_clause 0x1
	scratch_load_b128 v[0:3] /*v[256:259]*/, off, off offset:312
	scratch_load_b128 v[8:11] /*v[264:267]*/, off, off offset:328
	s_set_vgpr_msb 0                        ;  msbs: dst=0 src0=0 src1=0 src2=0
	ds_load_2addr_b64 v[140:143], v7 offset0:73 offset1:74
	ds_load_2addr_b64 v[148:151], v7 offset0:75 offset1:76
	s_set_vgpr_msb 64                       ;  msbs: dst=1 src0=0 src1=0 src2=0
	s_clause 0x1
	scratch_load_b128 v[16:19] /*v[272:275]*/, off, off offset:344
	scratch_load_b128 v[24:27] /*v[280:283]*/, off, off offset:360
	s_set_vgpr_msb 0                        ;  msbs: dst=0 src0=0 src1=0 src2=0
	ds_load_2addr_b64 v[156:159], v7 offset0:77 offset1:78
	ds_load_2addr_b64 v[164:167], v7 offset0:79 offset1:80
	s_set_vgpr_msb 64                       ;  msbs: dst=1 src0=0 src1=0 src2=0
	s_clause 0x1
	scratch_load_b128 v[32:35] /*v[288:291]*/, off, off offset:376
	scratch_load_b128 v[40:43] /*v[296:299]*/, off, off offset:392
	s_set_vgpr_msb 0                        ;  msbs: dst=0 src0=0 src1=0 src2=0
	ds_load_2addr_b64 v[172:175], v7 offset0:81 offset1:82
	ds_load_2addr_b64 v[180:183], v7 offset0:83 offset1:84
	;; [unrolled: 1-line block ×11, first 2 shown]
	s_set_vgpr_msb 64                       ;  msbs: dst=1 src0=0 src1=0 src2=0
	ds_load_2addr_b64 v[4:7] /*v[260:263]*/, v7 offset0:103 offset1:104
	ds_load_2addr_b64 v[12:15] /*v[268:271]*/, v7 offset0:105 offset1:106
	;; [unrolled: 1-line block ×4, first 2 shown]
	scratch_load_b128 v[48:51] /*v[304:307]*/, off, off offset:408
	ds_load_2addr_b64 v[28:31] /*v[284:287]*/, v7 offset0:109 offset1:110
	ds_load_2addr_b64 v[36:39] /*v[292:295]*/, v7 offset0:111 offset1:112
	s_clause 0x3
	scratch_load_b128 v[52:55] /*v[308:311]*/, off, off offset:424
	scratch_load_b128 v[56:59] /*v[312:315]*/, off, off offset:440
	scratch_load_b128 v[60:63] /*v[316:319]*/, off, off offset:456
	scratch_load_b128 v[64:67] /*v[320:323]*/, off, off offset:472
	s_mov_b32 s0, exec_lo
	s_wait_loadcnt_dscnt 0x1a16
	s_set_vgpr_msb 0                        ;  msbs: dst=0 src0=0 src1=0 src2=0
	v_dual_mul_f32 v9, v124, v129 :: v_dual_mul_f32 v11, v126, v131
	s_delay_alu instid0(VALU_DEP_1) | instskip(NEXT) | instid1(VALU_DEP_1)
	v_dual_fmac_f32 v9, v125, v128 :: v_dual_fmac_f32 v11, v127, v130
	v_add_f32_e32 v9, 0, v9
	s_wait_loadcnt_dscnt 0x1915
	s_delay_alu instid0(VALU_DEP_1) | instskip(NEXT) | instid1(VALU_DEP_1)
	v_dual_add_f32 v9, v9, v11 :: v_dual_mul_f32 v11, v132, v137
	v_fmac_f32_e32 v11, v133, v136
	s_delay_alu instid0(VALU_DEP_1) | instskip(SKIP_1) | instid1(VALU_DEP_1)
	v_add_f32_e32 v9, v9, v11
	v_mul_f32_e32 v11, v134, v139
	v_fmac_f32_e32 v11, v135, v138
	s_wait_loadcnt_dscnt 0x1814
	s_delay_alu instid0(VALU_DEP_1) | instskip(NEXT) | instid1(VALU_DEP_1)
	v_dual_add_f32 v9, v9, v11 :: v_dual_mul_f32 v11, v140, v145
	v_fmac_f32_e32 v11, v141, v144
	s_wait_loadcnt_dscnt 0x402
	s_set_vgpr_msb 0x45                     ;  msbs: dst=1 src0=1 src1=1 src2=0
	v_dual_mul_f32 v71 /*v327*/, v44 /*v300*/, v49 /*v305*/ :: v_dual_mul_f32 v73 /*v329*/, v46 /*v302*/, v51 /*v307*/
	s_set_vgpr_msb 0                        ;  msbs: dst=0 src0=0 src1=0 src2=0
	v_add_f32_e32 v9, v9, v11
	v_mul_f32_e32 v11, v142, v147
	s_set_vgpr_msb 0x45                     ;  msbs: dst=1 src0=1 src1=1 src2=0
	v_dual_fmac_f32 v71 /*v327*/, v45 /*v301*/, v48 /*v304*/ :: v_dual_fmac_f32 v73 /*v329*/, v47 /*v303*/, v50 /*v306*/
	s_set_vgpr_msb 0                        ;  msbs: dst=0 src0=0 src1=0 src2=0
	s_delay_alu instid0(VALU_DEP_2) | instskip(NEXT) | instid1(VALU_DEP_1)
	v_fmac_f32_e32 v11, v143, v146
	v_dual_add_f32 v9, v9, v11 :: v_dual_mul_f32 v11, v148, v153
	s_delay_alu instid0(VALU_DEP_1) | instskip(NEXT) | instid1(VALU_DEP_1)
	v_fmac_f32_e32 v11, v149, v152
	v_add_f32_e32 v9, v9, v11
	v_mul_f32_e32 v11, v150, v155
	s_delay_alu instid0(VALU_DEP_1) | instskip(NEXT) | instid1(VALU_DEP_1)
	v_fmac_f32_e32 v11, v151, v154
	v_dual_add_f32 v9, v9, v11 :: v_dual_mul_f32 v11, v156, v161
	s_delay_alu instid0(VALU_DEP_1) | instskip(NEXT) | instid1(VALU_DEP_1)
	v_fmac_f32_e32 v11, v157, v160
	v_add_f32_e32 v9, v9, v11
	v_mul_f32_e32 v11, v158, v163
	s_delay_alu instid0(VALU_DEP_1) | instskip(NEXT) | instid1(VALU_DEP_1)
	;; [unrolled: 7-line block ×13, first 2 shown]
	v_fmac_f32_e32 v11, v247, v250
	v_add_f32_e32 v9, v9, v11
	s_set_vgpr_msb 4                        ;  msbs: dst=0 src0=0 src1=1 src2=0
	v_mul_f32_e32 v11, v252, v1 /*v257*/
	s_delay_alu instid0(VALU_DEP_1) | instskip(SKIP_1) | instid1(VALU_DEP_1)
	v_fmac_f32_e32 v11, v253, v0 /*v256*/
	s_set_vgpr_msb 0                        ;  msbs: dst=0 src0=0 src1=0 src2=0
	v_add_f32_e32 v9, v9, v11
	s_set_vgpr_msb 4                        ;  msbs: dst=0 src0=0 src1=1 src2=0
	v_mul_f32_e32 v11, v254, v3 /*v259*/
	s_delay_alu instid0(VALU_DEP_1) | instskip(SKIP_1) | instid1(VALU_DEP_1)
	v_fmac_f32_e32 v11, v255, v2 /*v258*/
	s_set_vgpr_msb 0                        ;  msbs: dst=0 src0=0 src1=0 src2=0
	v_add_f32_e32 v9, v9, v11
	s_set_vgpr_msb 5                        ;  msbs: dst=0 src0=1 src1=1 src2=0
	v_mul_f32_e32 v11, v4 /*v260*/, v9 /*v265*/
	s_delay_alu instid0(VALU_DEP_1) | instskip(SKIP_1) | instid1(VALU_DEP_1)
	v_fmac_f32_e32 v11, v5 /*v261*/, v8 /*v264*/
	s_set_vgpr_msb 0                        ;  msbs: dst=0 src0=0 src1=0 src2=0
	v_add_f32_e32 v9, v9, v11
	s_set_vgpr_msb 5                        ;  msbs: dst=0 src0=1 src1=1 src2=0
	v_mul_f32_e32 v11, v6 /*v262*/, v11 /*v267*/
	s_delay_alu instid0(VALU_DEP_1) | instskip(SKIP_1) | instid1(VALU_DEP_1)
	v_fmac_f32_e32 v11, v7 /*v263*/, v10 /*v266*/
	s_set_vgpr_msb 0                        ;  msbs: dst=0 src0=0 src1=0 src2=0
	v_add_f32_e32 v9, v9, v11
	s_set_vgpr_msb 5                        ;  msbs: dst=0 src0=1 src1=1 src2=0
	v_mul_f32_e32 v11, v12 /*v268*/, v17 /*v273*/
	s_delay_alu instid0(VALU_DEP_1) | instskip(SKIP_1) | instid1(VALU_DEP_1)
	v_fmac_f32_e32 v11, v13 /*v269*/, v16 /*v272*/
	s_set_vgpr_msb 0                        ;  msbs: dst=0 src0=0 src1=0 src2=0
	v_add_f32_e32 v9, v9, v11
	s_set_vgpr_msb 5                        ;  msbs: dst=0 src0=1 src1=1 src2=0
	v_mul_f32_e32 v11, v14 /*v270*/, v19 /*v275*/
	s_delay_alu instid0(VALU_DEP_1) | instskip(SKIP_1) | instid1(VALU_DEP_1)
	v_fmac_f32_e32 v11, v15 /*v271*/, v18 /*v274*/
	s_set_vgpr_msb 0                        ;  msbs: dst=0 src0=0 src1=0 src2=0
	v_add_f32_e32 v9, v9, v11
	s_set_vgpr_msb 5                        ;  msbs: dst=0 src0=1 src1=1 src2=0
	v_mul_f32_e32 v11, v20 /*v276*/, v25 /*v281*/
	s_delay_alu instid0(VALU_DEP_1) | instskip(SKIP_1) | instid1(VALU_DEP_1)
	v_fmac_f32_e32 v11, v21 /*v277*/, v24 /*v280*/
	s_set_vgpr_msb 0                        ;  msbs: dst=0 src0=0 src1=0 src2=0
	v_add_f32_e32 v9, v9, v11
	s_set_vgpr_msb 5                        ;  msbs: dst=0 src0=1 src1=1 src2=0
	v_mul_f32_e32 v11, v22 /*v278*/, v27 /*v283*/
	s_delay_alu instid0(VALU_DEP_1) | instskip(SKIP_1) | instid1(VALU_DEP_1)
	v_fmac_f32_e32 v11, v23 /*v279*/, v26 /*v282*/
	s_set_vgpr_msb 0                        ;  msbs: dst=0 src0=0 src1=0 src2=0
	v_add_f32_e32 v9, v9, v11
	s_wait_dscnt 0x1
	s_set_vgpr_msb 5                        ;  msbs: dst=0 src0=1 src1=1 src2=0
	v_mul_f32_e32 v11, v28 /*v284*/, v33 /*v289*/
	s_delay_alu instid0(VALU_DEP_1) | instskip(SKIP_1) | instid1(VALU_DEP_1)
	v_fmac_f32_e32 v11, v29 /*v285*/, v32 /*v288*/
	s_set_vgpr_msb 0                        ;  msbs: dst=0 src0=0 src1=0 src2=0
	v_add_f32_e32 v9, v9, v11
	s_set_vgpr_msb 5                        ;  msbs: dst=0 src0=1 src1=1 src2=0
	v_mul_f32_e32 v11, v30 /*v286*/, v35 /*v291*/
	s_delay_alu instid0(VALU_DEP_1) | instskip(SKIP_1) | instid1(VALU_DEP_1)
	v_fmac_f32_e32 v11, v31 /*v287*/, v34 /*v290*/
	s_set_vgpr_msb 0                        ;  msbs: dst=0 src0=0 src1=0 src2=0
	v_add_f32_e32 v9, v9, v11
	s_wait_dscnt 0x0
	s_set_vgpr_msb 5                        ;  msbs: dst=0 src0=1 src1=1 src2=0
	v_mul_f32_e32 v11, v36 /*v292*/, v41 /*v297*/
	s_delay_alu instid0(VALU_DEP_1) | instskip(SKIP_1) | instid1(VALU_DEP_1)
	v_fmac_f32_e32 v11, v37 /*v293*/, v40 /*v296*/
	s_set_vgpr_msb 0                        ;  msbs: dst=0 src0=0 src1=0 src2=0
	v_add_f32_e32 v9, v9, v11
	s_set_vgpr_msb 5                        ;  msbs: dst=0 src0=1 src1=1 src2=0
	v_mul_f32_e32 v11, v38 /*v294*/, v43 /*v299*/
	s_delay_alu instid0(VALU_DEP_1) | instskip(SKIP_1) | instid1(VALU_DEP_1)
	v_fmac_f32_e32 v11, v39 /*v295*/, v42 /*v298*/
	s_set_vgpr_msb 64                       ;  msbs: dst=1 src0=0 src1=0 src2=0
	v_add_f32_e32 v69 /*v325*/, v9, v11
	s_set_vgpr_msb 0                        ;  msbs: dst=0 src0=0 src1=0 src2=0
	v_dual_mul_f32 v9, v125, v129 :: v_dual_mul_f32 v11, v127, v131
	s_delay_alu instid0(VALU_DEP_1) | instskip(NEXT) | instid1(VALU_DEP_1)
	v_dual_fma_f32 v9, v124, v128, -v9 :: v_dual_fma_f32 v11, v126, v130, -v11
	v_add_f32_e32 v9, 0, v9
	s_delay_alu instid0(VALU_DEP_1) | instskip(SKIP_1) | instid1(VALU_DEP_1)
	v_add_f32_e32 v9, v9, v11
	v_mul_f32_e32 v11, v133, v137
	v_fma_f32 v11, v132, v136, -v11
	s_delay_alu instid0(VALU_DEP_1) | instskip(SKIP_1) | instid1(VALU_DEP_1)
	v_add_f32_e32 v9, v9, v11
	v_mul_f32_e32 v11, v135, v139
	v_fma_f32 v11, v134, v138, -v11
	ds_load_2addr_b64 v[124:127], v7 offset0:115 offset1:116
	ds_load_2addr_b64 v[128:131], v7 offset0:117 offset1:118
	;; [unrolled: 1-line block ×4, first 2 shown]
	v_add_f32_e32 v9, v9, v11
	v_mul_f32_e32 v11, v141, v145
	s_delay_alu instid0(VALU_DEP_1) | instskip(NEXT) | instid1(VALU_DEP_1)
	v_fma_f32 v11, v140, v144, -v11
	v_add_f32_e32 v9, v9, v11
	v_mul_f32_e32 v11, v143, v147
	s_delay_alu instid0(VALU_DEP_1)
	v_fma_f32 v11, v142, v146, -v11
	s_wait_loadcnt_dscnt 0x303
	s_set_vgpr_msb 4                        ;  msbs: dst=0 src0=0 src1=1 src2=0
	v_pk_mul_f32 v[142:143], v[124:125], v[52:53] /*v[308:309]*/ op_sel:[1,1] op_sel_hi:[0,1]
	s_set_vgpr_msb 0                        ;  msbs: dst=0 src0=0 src1=0 src2=0
	v_add_f32_e32 v9, v9, v11
	v_mul_f32_e32 v11, v149, v153
	s_set_vgpr_msb 4                        ;  msbs: dst=0 src0=0 src1=1 src2=0
	v_pk_fma_f32 v[144:145], v[124:125], v[52:53] /*v[308:309]*/, v[142:143] neg_lo:[0,0,1] neg_hi:[0,0,1]
	v_pk_fma_f32 v[124:125], v[124:125], v[52:53] /*v[308:309]*/, v[142:143] op_sel_hi:[1,0,1]
	s_set_vgpr_msb 1                        ;  msbs: dst=0 src0=1 src1=0 src2=0
	v_mov_b32_e32 v142, v55 /*v311*/
	s_set_vgpr_msb 0                        ;  msbs: dst=0 src0=0 src1=0 src2=0
	s_delay_alu instid0(VALU_DEP_2) | instskip(NEXT) | instid1(VALU_DEP_1)
	v_dual_fma_f32 v11, v148, v152, -v11 :: v_dual_mov_b32 v145, v125
	v_add_f32_e32 v9, v9, v11
	v_mul_f32_e32 v11, v151, v155
	s_delay_alu instid0(VALU_DEP_1) | instskip(NEXT) | instid1(VALU_DEP_1)
	v_fma_f32 v11, v150, v154, -v11
	v_add_f32_e32 v9, v9, v11
	v_mul_f32_e32 v11, v157, v161
	s_delay_alu instid0(VALU_DEP_1) | instskip(NEXT) | instid1(VALU_DEP_1)
	v_fma_f32 v11, v156, v160, -v11
	;; [unrolled: 4-line block ×25, first 2 shown]
	v_add_f32_e32 v9, v9, v11
	s_set_vgpr_msb 4                        ;  msbs: dst=0 src0=0 src1=1 src2=0
	v_mul_f32_e32 v11, v253, v1 /*v257*/
	s_delay_alu instid0(VALU_DEP_1) | instskip(SKIP_1) | instid1(VALU_DEP_1)
	v_fma_f32 v11, v252, v0 /*v256*/, -v11
	s_set_vgpr_msb 0                        ;  msbs: dst=0 src0=0 src1=0 src2=0
	v_add_f32_e32 v9, v9, v11
	s_set_vgpr_msb 4                        ;  msbs: dst=0 src0=0 src1=1 src2=0
	v_mul_f32_e32 v11, v255, v3 /*v259*/
	s_delay_alu instid0(VALU_DEP_1) | instskip(SKIP_1) | instid1(VALU_DEP_1)
	v_fma_f32 v11, v254, v2 /*v258*/, -v11
	s_set_vgpr_msb 0                        ;  msbs: dst=0 src0=0 src1=0 src2=0
	v_add_f32_e32 v9, v9, v11
	s_set_vgpr_msb 5                        ;  msbs: dst=0 src0=1 src1=1 src2=0
	v_mul_f32_e32 v11, v5 /*v261*/, v9 /*v265*/
	s_delay_alu instid0(VALU_DEP_1) | instskip(SKIP_1) | instid1(VALU_DEP_1)
	v_fma_f32 v11, v4 /*v260*/, v8 /*v264*/, -v11
	s_set_vgpr_msb 0                        ;  msbs: dst=0 src0=0 src1=0 src2=0
	v_add_f32_e32 v9, v9, v11
	s_set_vgpr_msb 5                        ;  msbs: dst=0 src0=1 src1=1 src2=0
	v_mul_f32_e32 v11, v7 /*v263*/, v11 /*v267*/
	s_delay_alu instid0(VALU_DEP_1) | instskip(SKIP_1) | instid1(VALU_DEP_1)
	v_fma_f32 v11, v6 /*v262*/, v10 /*v266*/, -v11
	;; [unrolled: 6-line block ×10, first 2 shown]
	s_set_vgpr_msb 64                       ;  msbs: dst=1 src0=0 src1=0 src2=0
	v_add_f32_e32 v68 /*v324*/, v9, v11
	s_set_vgpr_msb 5                        ;  msbs: dst=0 src0=1 src1=1 src2=0
	v_mul_f32_e32 v9, v45 /*v301*/, v49 /*v305*/
	s_set_vgpr_msb 0x45                     ;  msbs: dst=1 src0=1 src1=1 src2=0
	s_delay_alu instid0(VALU_DEP_1) | instskip(SKIP_3) | instid1(VALU_DEP_1)
	v_fma_f32 v70 /*v326*/, v44 /*v300*/, v48 /*v304*/, -v9
	s_set_vgpr_msb 5                        ;  msbs: dst=0 src0=1 src1=1 src2=0
	v_mul_f32_e32 v9, v47 /*v303*/, v51 /*v307*/
	s_set_vgpr_msb 0x45                     ;  msbs: dst=1 src0=1 src1=1 src2=0
	v_fma_f32 v72 /*v328*/, v46 /*v302*/, v50 /*v306*/, -v9
	s_set_vgpr_msb 5                        ;  msbs: dst=0 src0=1 src1=1 src2=0
	v_pk_add_f32 v[140:141], v[68:69] /*v[324:325]*/, v[70:71] /*v[326:327]*/
	s_set_vgpr_msb 4                        ;  msbs: dst=0 src0=0 src1=1 src2=0
	s_delay_alu instid0(VALU_DEP_1) | instskip(SKIP_1) | instid1(VALU_DEP_1)
	v_pk_add_f32 v[140:141], v[140:141], v[72:73] /*v[328:329]*/
	s_set_vgpr_msb 0                        ;  msbs: dst=0 src0=0 src1=0 src2=0
	v_pk_add_f32 v[124:125], v[140:141], v[144:145]
	v_dual_mov_b32 v140, v127 :: v_dual_mov_b32 v141, v126
	s_delay_alu instid0(VALU_DEP_1) | instskip(SKIP_1) | instid1(VALU_DEP_1)
	v_pk_mul_f32 v[140:141], v[140:141], v[142:143] op_sel_hi:[1,0]
	s_set_vgpr_msb 4                        ;  msbs: dst=0 src0=0 src1=1 src2=0
	v_pk_fma_f32 v[142:143], v[126:127], v[54:55] /*v[310:311]*/, v[140:141] neg_lo:[0,0,1] neg_hi:[0,0,1]
	v_pk_fma_f32 v[126:127], v[126:127], v[54:55] /*v[310:311]*/, v[140:141] op_sel_hi:[1,0,1]
	s_delay_alu instid0(VALU_DEP_1) | instskip(SKIP_3) | instid1(VALU_DEP_2)
	v_mov_b32_e32 v143, v127
	s_wait_loadcnt_dscnt 0x202
	v_pk_mul_f32 v[126:127], v[128:129], v[56:57] /*v[312:313]*/ op_sel:[1,1] op_sel_hi:[0,1]
	s_set_vgpr_msb 0                        ;  msbs: dst=0 src0=0 src1=0 src2=0
	v_pk_add_f32 v[124:125], v[124:125], v[142:143]
	s_set_vgpr_msb 4                        ;  msbs: dst=0 src0=0 src1=1 src2=0
	s_delay_alu instid0(VALU_DEP_2)
	v_pk_fma_f32 v[140:141], v[128:129], v[56:57] /*v[312:313]*/, v[126:127] neg_lo:[0,0,1] neg_hi:[0,0,1]
	v_pk_fma_f32 v[126:127], v[128:129], v[56:57] /*v[312:313]*/, v[126:127] op_sel_hi:[1,0,1]
	v_mov_b32_e32 v126, v131
	s_set_vgpr_msb 1                        ;  msbs: dst=0 src0=1 src1=0 src2=0
	v_mov_b32_e32 v128, v59 /*v315*/
	s_set_vgpr_msb 0                        ;  msbs: dst=0 src0=0 src1=0 src2=0
	v_dual_mov_b32 v141, v127 :: v_dual_mov_b32 v127, v130
	s_delay_alu instid0(VALU_DEP_1) | instskip(NEXT) | instid1(VALU_DEP_2)
	v_pk_add_f32 v[124:125], v[124:125], v[140:141]
	v_pk_mul_f32 v[126:127], v[126:127], v[128:129] op_sel_hi:[1,0]
	s_set_vgpr_msb 4                        ;  msbs: dst=0 src0=0 src1=1 src2=0
	s_delay_alu instid0(VALU_DEP_1) | instskip(SKIP_1) | instid1(VALU_DEP_1)
	v_pk_fma_f32 v[128:129], v[130:131], v[58:59] /*v[314:315]*/, v[126:127] neg_lo:[0,0,1] neg_hi:[0,0,1]
	v_pk_fma_f32 v[126:127], v[130:131], v[58:59] /*v[314:315]*/, v[126:127] op_sel_hi:[1,0,1]
	v_mov_b32_e32 v129, v127
	s_wait_loadcnt_dscnt 0x101
	v_pk_mul_f32 v[126:127], v[132:133], v[60:61] /*v[316:317]*/ op_sel:[1,1] op_sel_hi:[0,1]
	s_set_vgpr_msb 0                        ;  msbs: dst=0 src0=0 src1=0 src2=0
	s_delay_alu instid0(VALU_DEP_2) | instskip(SKIP_1) | instid1(VALU_DEP_2)
	v_pk_add_f32 v[124:125], v[124:125], v[128:129]
	s_set_vgpr_msb 4                        ;  msbs: dst=0 src0=0 src1=1 src2=0
	v_pk_fma_f32 v[128:129], v[132:133], v[60:61] /*v[316:317]*/, v[126:127] neg_lo:[0,0,1] neg_hi:[0,0,1]
	v_pk_fma_f32 v[126:127], v[132:133], v[60:61] /*v[316:317]*/, v[126:127] op_sel_hi:[1,0,1]
	s_delay_alu instid0(VALU_DEP_1) | instskip(SKIP_2) | instid1(VALU_DEP_2)
	v_dual_mov_b32 v126, v135 :: v_dual_mov_b32 v129, v127
	v_mov_b32_e32 v127, v134
	s_set_vgpr_msb 0                        ;  msbs: dst=0 src0=0 src1=0 src2=0
	v_pk_add_f32 v[124:125], v[124:125], v[128:129]
	s_set_vgpr_msb 1                        ;  msbs: dst=0 src0=1 src1=0 src2=0
	v_mov_b32_e32 v128, v63 /*v319*/
	s_set_vgpr_msb 0                        ;  msbs: dst=0 src0=0 src1=0 src2=0
	s_delay_alu instid0(VALU_DEP_1) | instskip(SKIP_1) | instid1(VALU_DEP_1)
	v_pk_mul_f32 v[126:127], v[126:127], v[128:129] op_sel_hi:[1,0]
	s_set_vgpr_msb 4                        ;  msbs: dst=0 src0=0 src1=1 src2=0
	v_pk_fma_f32 v[128:129], v[134:135], v[62:63] /*v[318:319]*/, v[126:127] neg_lo:[0,0,1] neg_hi:[0,0,1]
	v_pk_fma_f32 v[126:127], v[134:135], v[62:63] /*v[318:319]*/, v[126:127] op_sel_hi:[1,0,1]
	s_delay_alu instid0(VALU_DEP_1) | instskip(SKIP_3) | instid1(VALU_DEP_2)
	v_mov_b32_e32 v129, v127
	s_wait_loadcnt_dscnt 0x0
	v_pk_mul_f32 v[126:127], v[136:137], v[64:65] /*v[320:321]*/ op_sel:[1,1] op_sel_hi:[0,1]
	s_set_vgpr_msb 0                        ;  msbs: dst=0 src0=0 src1=0 src2=0
	v_pk_add_f32 v[124:125], v[124:125], v[128:129]
	s_set_vgpr_msb 4                        ;  msbs: dst=0 src0=0 src1=1 src2=0
	s_delay_alu instid0(VALU_DEP_2) | instskip(SKIP_1) | instid1(VALU_DEP_1)
	v_pk_fma_f32 v[128:129], v[136:137], v[64:65] /*v[320:321]*/, v[126:127] neg_lo:[0,0,1] neg_hi:[0,0,1]
	v_pk_fma_f32 v[126:127], v[136:137], v[64:65] /*v[320:321]*/, v[126:127] op_sel_hi:[1,0,1]
	v_dual_mov_b32 v126, v139 :: v_dual_mov_b32 v129, v127
	v_mov_b32_e32 v127, v138
	s_set_vgpr_msb 0                        ;  msbs: dst=0 src0=0 src1=0 src2=0
	s_delay_alu instid0(VALU_DEP_2) | instskip(SKIP_3) | instid1(VALU_DEP_1)
	v_pk_add_f32 v[124:125], v[124:125], v[128:129]
	s_set_vgpr_msb 1                        ;  msbs: dst=0 src0=1 src1=0 src2=0
	v_mov_b32_e32 v128, v67 /*v323*/
	s_set_vgpr_msb 0                        ;  msbs: dst=0 src0=0 src1=0 src2=0
	v_pk_mul_f32 v[126:127], v[126:127], v[128:129] op_sel_hi:[1,0]
	s_set_vgpr_msb 4                        ;  msbs: dst=0 src0=0 src1=1 src2=0
	s_delay_alu instid0(VALU_DEP_1) | instskip(SKIP_1) | instid1(VALU_DEP_1)
	v_pk_fma_f32 v[128:129], v[138:139], v[66:67] /*v[322:323]*/, v[126:127] neg_lo:[0,0,1] neg_hi:[0,0,1]
	v_pk_fma_f32 v[126:127], v[138:139], v[66:67] /*v[322:323]*/, v[126:127] op_sel_hi:[1,0,1]
	v_mov_b32_e32 v129, v127
	scratch_load_b64 v[126:127], off, off offset:48
	s_set_vgpr_msb 0                        ;  msbs: dst=0 src0=0 src1=0 src2=0
	v_pk_add_f32 v[124:125], v[124:125], v[128:129]
	s_wait_loadcnt 0x0
	s_delay_alu instid0(VALU_DEP_1)
	v_pk_add_f32 v[124:125], v[126:127], v[124:125] neg_lo:[0,1] neg_hi:[0,1]
	scratch_store_b64 off, v[124:125], off offset:48
	s_wait_xcnt 0x0
	v_cmpx_lt_u32_e32 5, v0
	s_cbranch_execz .LBB124_369
; %bb.368:
	scratch_load_b64 v[124:125], off, off offset:40
	v_mov_b64_e32 v[126:127], 0
	scratch_store_b64 off, v[126:127], off offset:40
	s_wait_loadcnt 0x0
	ds_store_b64 v1, v[124:125]
.LBB124_369:
	s_wait_xcnt 0x0
	s_or_b32 exec_lo, exec_lo, s0
	v_mov_b32_e32 v7, 0
	s_wait_storecnt_dscnt 0x0
	s_barrier_signal -1
	s_barrier_wait -1
	ds_load_b128 v[124:127], v7 offset:544
	ds_load_b128 v[128:131], v7 offset:560
	;; [unrolled: 1-line block ×4, first 2 shown]
	s_clause 0x18
	scratch_load_b128 v[140:143], off, off offset:48
	scratch_load_b128 v[144:147], off, off offset:64
	;; [unrolled: 1-line block ×16, first 2 shown]
	s_set_vgpr_msb 64                       ;  msbs: dst=1 src0=0 src1=0 src2=0
	scratch_load_b128 v[0:3] /*v[256:259]*/, off, off offset:304
	scratch_load_b128 v[8:11] /*v[264:267]*/, off, off offset:320
	scratch_load_b128 v[16:19] /*v[272:275]*/, off, off offset:336
	scratch_load_b128 v[24:27] /*v[280:283]*/, off, off offset:352
	scratch_load_b128 v[32:35] /*v[288:291]*/, off, off offset:368
	scratch_load_b128 v[40:43] /*v[296:299]*/, off, off offset:384
	scratch_load_b128 v[48:51] /*v[304:307]*/, off, off offset:400
	scratch_load_b128 v[56:59] /*v[312:315]*/, off, off offset:416
	s_mov_b32 s0, exec_lo
	s_wait_loadcnt_dscnt 0x1703
	s_set_vgpr_msb 0                        ;  msbs: dst=0 src0=0 src1=0 src2=0
	v_mul_f32_e32 v9, v124, v141
	ds_load_b128 v[156:159], v7 offset:608
	ds_load_b128 v[164:167], v7 offset:624
	;; [unrolled: 1-line block ×4, first 2 shown]
	v_dual_fmac_f32 v9, v125, v140 :: v_dual_mul_f32 v11, v126, v143
	ds_load_b128 v[188:191], v7 offset:672
	ds_load_b128 v[196:199], v7 offset:688
	;; [unrolled: 1-line block ×4, first 2 shown]
	v_dual_add_f32 v9, 0, v9 :: v_dual_fmac_f32 v11, v127, v142
	ds_load_b128 v[220:223], v7 offset:736
	ds_load_b128 v[228:231], v7 offset:752
	;; [unrolled: 1-line block ×4, first 2 shown]
	s_wait_loadcnt_dscnt 0x160e
	v_dual_add_f32 v9, v9, v11 :: v_dual_mul_f32 v11, v128, v145
	ds_load_b128 v[252:255], v7 offset:800
	s_set_vgpr_msb 64                       ;  msbs: dst=1 src0=0 src1=0 src2=0
	ds_load_b128 v[4:7] /*v[260:263]*/, v7 offset:816
	ds_load_b128 v[12:15] /*v[268:271]*/, v7 offset:832
	;; [unrolled: 1-line block ×3, first 2 shown]
	s_set_vgpr_msb 0                        ;  msbs: dst=0 src0=0 src1=0 src2=0
	v_fmac_f32_e32 v11, v129, v144
	s_set_vgpr_msb 64                       ;  msbs: dst=1 src0=0 src1=0 src2=0
	ds_load_b128 v[44:47] /*v[300:303]*/, v7 offset:896
	ds_load_b128 v[52:55] /*v[308:311]*/, v7 offset:912
	;; [unrolled: 1-line block ×4, first 2 shown]
	s_set_vgpr_msb 0                        ;  msbs: dst=0 src0=0 src1=0 src2=0
	v_add_f32_e32 v9, v9, v11
	v_mul_f32_e32 v11, v130, v147
	s_set_vgpr_msb 64                       ;  msbs: dst=1 src0=0 src1=0 src2=0
	s_clause 0x3
	scratch_load_b128 v[60:63] /*v[316:319]*/, off, off offset:432
	scratch_load_b128 v[64:67] /*v[320:323]*/, off, off offset:448
	;; [unrolled: 1-line block ×3, first 2 shown]
	scratch_load_b64 v[78:79] /*v[334:335]*/, off, off offset:480
	s_set_vgpr_msb 0                        ;  msbs: dst=0 src0=0 src1=0 src2=0
	v_fmac_f32_e32 v11, v131, v146
	s_wait_loadcnt_dscnt 0x1915
	s_delay_alu instid0(VALU_DEP_1)
	v_dual_add_f32 v9, v9, v11 :: v_dual_mul_f32 v11, v132, v149
	s_wait_loadcnt_dscnt 0x402
	s_set_vgpr_msb 0x45                     ;  msbs: dst=1 src0=1 src1=1 src2=0
	v_dual_mul_f32 v75 /*v331*/, v46 /*v302*/, v51 /*v307*/ :: v_dual_mul_f32 v77 /*v333*/, v52 /*v308*/, v57 /*v313*/
	s_set_vgpr_msb 0                        ;  msbs: dst=0 src0=0 src1=0 src2=0
	v_fmac_f32_e32 v11, v133, v148
	s_set_vgpr_msb 0x45                     ;  msbs: dst=1 src0=1 src1=1 src2=0
	s_delay_alu instid0(VALU_DEP_2) | instskip(SKIP_1) | instid1(VALU_DEP_2)
	v_dual_fmac_f32 v75 /*v331*/, v47 /*v303*/, v50 /*v306*/ :: v_dual_fmac_f32 v77 /*v333*/, v53 /*v309*/, v56 /*v312*/
	s_set_vgpr_msb 0                        ;  msbs: dst=0 src0=0 src1=0 src2=0
	v_add_f32_e32 v9, v9, v11
	v_mul_f32_e32 v11, v134, v151
	s_delay_alu instid0(VALU_DEP_1) | instskip(NEXT) | instid1(VALU_DEP_1)
	v_fmac_f32_e32 v11, v135, v150
	v_dual_add_f32 v9, v9, v11 :: v_dual_mul_f32 v11, v136, v153
	s_delay_alu instid0(VALU_DEP_1) | instskip(NEXT) | instid1(VALU_DEP_1)
	v_fmac_f32_e32 v11, v137, v152
	v_add_f32_e32 v9, v9, v11
	v_mul_f32_e32 v11, v138, v155
	s_delay_alu instid0(VALU_DEP_1) | instskip(NEXT) | instid1(VALU_DEP_1)
	v_fmac_f32_e32 v11, v139, v154
	v_dual_add_f32 v9, v9, v11 :: v_dual_mul_f32 v11, v156, v161
	s_delay_alu instid0(VALU_DEP_1) | instskip(NEXT) | instid1(VALU_DEP_1)
	v_fmac_f32_e32 v11, v157, v160
	;; [unrolled: 7-line block ×13, first 2 shown]
	v_add_f32_e32 v9, v9, v11
	v_mul_f32_e32 v11, v246, v251
	s_delay_alu instid0(VALU_DEP_1) | instskip(NEXT) | instid1(VALU_DEP_1)
	v_fmac_f32_e32 v11, v247, v250
	v_add_f32_e32 v9, v9, v11
	s_set_vgpr_msb 4                        ;  msbs: dst=0 src0=0 src1=1 src2=0
	v_mul_f32_e32 v11, v252, v1 /*v257*/
	s_delay_alu instid0(VALU_DEP_1) | instskip(SKIP_1) | instid1(VALU_DEP_1)
	v_fmac_f32_e32 v11, v253, v0 /*v256*/
	s_set_vgpr_msb 0                        ;  msbs: dst=0 src0=0 src1=0 src2=0
	v_add_f32_e32 v9, v9, v11
	s_set_vgpr_msb 4                        ;  msbs: dst=0 src0=0 src1=1 src2=0
	v_mul_f32_e32 v11, v254, v3 /*v259*/
	s_delay_alu instid0(VALU_DEP_1) | instskip(SKIP_1) | instid1(VALU_DEP_1)
	v_fmac_f32_e32 v11, v255, v2 /*v258*/
	s_set_vgpr_msb 0                        ;  msbs: dst=0 src0=0 src1=0 src2=0
	v_add_f32_e32 v9, v9, v11
	s_set_vgpr_msb 5                        ;  msbs: dst=0 src0=1 src1=1 src2=0
	v_mul_f32_e32 v11, v4 /*v260*/, v9 /*v265*/
	s_delay_alu instid0(VALU_DEP_1) | instskip(SKIP_1) | instid1(VALU_DEP_1)
	v_fmac_f32_e32 v11, v5 /*v261*/, v8 /*v264*/
	s_set_vgpr_msb 0                        ;  msbs: dst=0 src0=0 src1=0 src2=0
	v_add_f32_e32 v9, v9, v11
	s_set_vgpr_msb 5                        ;  msbs: dst=0 src0=1 src1=1 src2=0
	v_mul_f32_e32 v11, v6 /*v262*/, v11 /*v267*/
	s_delay_alu instid0(VALU_DEP_1) | instskip(SKIP_1) | instid1(VALU_DEP_1)
	v_fmac_f32_e32 v11, v7 /*v263*/, v10 /*v266*/
	;; [unrolled: 6-line block ×6, first 2 shown]
	s_set_vgpr_msb 0                        ;  msbs: dst=0 src0=0 src1=0 src2=0
	v_add_f32_e32 v9, v9, v11
	s_wait_dscnt 0x1
	s_set_vgpr_msb 5                        ;  msbs: dst=0 src0=1 src1=1 src2=0
	v_mul_f32_e32 v11, v28 /*v284*/, v33 /*v289*/
	s_delay_alu instid0(VALU_DEP_1) | instskip(SKIP_1) | instid1(VALU_DEP_1)
	v_fmac_f32_e32 v11, v29 /*v285*/, v32 /*v288*/
	s_set_vgpr_msb 0                        ;  msbs: dst=0 src0=0 src1=0 src2=0
	v_add_f32_e32 v9, v9, v11
	s_set_vgpr_msb 5                        ;  msbs: dst=0 src0=1 src1=1 src2=0
	v_mul_f32_e32 v11, v30 /*v286*/, v35 /*v291*/
	s_delay_alu instid0(VALU_DEP_1) | instskip(SKIP_1) | instid1(VALU_DEP_1)
	v_fmac_f32_e32 v11, v31 /*v287*/, v34 /*v290*/
	s_set_vgpr_msb 0                        ;  msbs: dst=0 src0=0 src1=0 src2=0
	v_add_f32_e32 v9, v9, v11
	s_wait_dscnt 0x0
	s_set_vgpr_msb 5                        ;  msbs: dst=0 src0=1 src1=1 src2=0
	v_mul_f32_e32 v11, v36 /*v292*/, v41 /*v297*/
	s_delay_alu instid0(VALU_DEP_1) | instskip(SKIP_1) | instid1(VALU_DEP_1)
	v_fmac_f32_e32 v11, v37 /*v293*/, v40 /*v296*/
	s_set_vgpr_msb 0                        ;  msbs: dst=0 src0=0 src1=0 src2=0
	v_add_f32_e32 v9, v9, v11
	s_set_vgpr_msb 5                        ;  msbs: dst=0 src0=1 src1=1 src2=0
	v_mul_f32_e32 v11, v38 /*v294*/, v43 /*v299*/
	s_delay_alu instid0(VALU_DEP_1) | instskip(SKIP_1) | instid1(VALU_DEP_1)
	v_fmac_f32_e32 v11, v39 /*v295*/, v42 /*v298*/
	s_set_vgpr_msb 0                        ;  msbs: dst=0 src0=0 src1=0 src2=0
	v_add_f32_e32 v9, v9, v11
	s_set_vgpr_msb 5                        ;  msbs: dst=0 src0=1 src1=1 src2=0
	v_mul_f32_e32 v11, v44 /*v300*/, v49 /*v305*/
	s_delay_alu instid0(VALU_DEP_1) | instskip(SKIP_1) | instid1(VALU_DEP_1)
	v_fmac_f32_e32 v11, v45 /*v301*/, v48 /*v304*/
	s_set_vgpr_msb 64                       ;  msbs: dst=1 src0=0 src1=0 src2=0
	v_add_f32_e32 v73 /*v329*/, v9, v11
	s_set_vgpr_msb 0                        ;  msbs: dst=0 src0=0 src1=0 src2=0
	v_dual_mul_f32 v9, v125, v141 :: v_dual_mul_f32 v11, v127, v143
	s_set_vgpr_msb 1                        ;  msbs: dst=0 src0=1 src1=0 src2=0
	v_mov_b32_e32 v141, v54 /*v310*/
	s_set_vgpr_msb 0                        ;  msbs: dst=0 src0=0 src1=0 src2=0
	s_delay_alu instid0(VALU_DEP_2) | instskip(SKIP_2) | instid1(VALU_DEP_2)
	v_dual_fma_f32 v9, v124, v140, -v9 :: v_dual_fma_f32 v11, v126, v142, -v11
	s_set_vgpr_msb 1                        ;  msbs: dst=0 src0=1 src1=0 src2=0
	v_dual_mov_b32 v140, v55 /*v311*/ :: v_dual_mov_b32 v142, v59 /*v315*/
	v_add_f32_e32 v9, 0, v9
	s_set_vgpr_msb 0                        ;  msbs: dst=0 src0=0 src1=0 src2=0
	s_delay_alu instid0(VALU_DEP_2) | instskip(NEXT) | instid1(VALU_DEP_2)
	v_pk_mul_f32 v[140:141], v[140:141], v[142:143] op_sel_hi:[1,0]
	v_add_f32_e32 v9, v9, v11
	v_mul_f32_e32 v11, v129, v145
	s_set_vgpr_msb 5                        ;  msbs: dst=0 src0=1 src1=1 src2=0
	s_delay_alu instid0(VALU_DEP_3) | instskip(SKIP_2) | instid1(VALU_DEP_1)
	v_pk_fma_f32 v[142:143], v[54:55] /*v[310:311]*/, v[58:59] /*v[314:315]*/, v[140:141] neg_lo:[0,0,1] neg_hi:[0,0,1]
	v_pk_fma_f32 v[140:141], v[54:55] /*v[310:311]*/, v[58:59] /*v[314:315]*/, v[140:141] op_sel_hi:[1,0,1]
	s_set_vgpr_msb 0                        ;  msbs: dst=0 src0=0 src1=0 src2=0
	v_dual_fma_f32 v11, v128, v144, -v11 :: v_dual_mov_b32 v143, v141
	s_delay_alu instid0(VALU_DEP_1) | instskip(SKIP_1) | instid1(VALU_DEP_1)
	v_add_f32_e32 v9, v9, v11
	v_mul_f32_e32 v11, v131, v147
	v_fma_f32 v11, v130, v146, -v11
	s_delay_alu instid0(VALU_DEP_1) | instskip(SKIP_1) | instid1(VALU_DEP_1)
	v_add_f32_e32 v9, v9, v11
	v_mul_f32_e32 v11, v133, v149
	v_fma_f32 v11, v132, v148, -v11
	;; [unrolled: 4-line block ×4, first 2 shown]
	ds_load_b128 v[124:127], v7 offset:928
	ds_load_b128 v[128:131], v7 offset:944
	;; [unrolled: 1-line block ×3, first 2 shown]
	ds_load_b64 v[136:137], v7 offset:976
	v_add_f32_e32 v9, v9, v11
	v_mul_f32_e32 v11, v139, v155
	s_delay_alu instid0(VALU_DEP_1) | instskip(NEXT) | instid1(VALU_DEP_1)
	v_fma_f32 v11, v138, v154, -v11
	v_add_f32_e32 v9, v9, v11
	v_mul_f32_e32 v11, v157, v161
	s_wait_loadcnt_dscnt 0x303
	s_set_vgpr_msb 4                        ;  msbs: dst=0 src0=0 src1=1 src2=0
	v_pk_mul_f32 v[140:141], v[124:125], v[60:61] /*v[316:317]*/ op_sel:[1,1] op_sel_hi:[0,1]
	s_set_vgpr_msb 0                        ;  msbs: dst=0 src0=0 src1=0 src2=0
	v_fma_f32 v11, v156, v160, -v11
	s_delay_alu instid0(VALU_DEP_1) | instskip(SKIP_1) | instid1(VALU_DEP_1)
	v_add_f32_e32 v9, v9, v11
	v_mul_f32_e32 v11, v159, v163
	v_fma_f32 v11, v158, v162, -v11
	s_delay_alu instid0(VALU_DEP_1) | instskip(SKIP_1) | instid1(VALU_DEP_1)
	v_add_f32_e32 v9, v9, v11
	v_mul_f32_e32 v11, v165, v169
	;; [unrolled: 4-line block ×23, first 2 shown]
	v_fma_f32 v11, v246, v250, -v11
	s_delay_alu instid0(VALU_DEP_1) | instskip(SKIP_2) | instid1(VALU_DEP_1)
	v_add_f32_e32 v9, v9, v11
	s_set_vgpr_msb 4                        ;  msbs: dst=0 src0=0 src1=1 src2=0
	v_mul_f32_e32 v11, v253, v1 /*v257*/
	v_fma_f32 v11, v252, v0 /*v256*/, -v11
	s_set_vgpr_msb 0                        ;  msbs: dst=0 src0=0 src1=0 src2=0
	s_delay_alu instid0(VALU_DEP_1) | instskip(SKIP_2) | instid1(VALU_DEP_1)
	v_add_f32_e32 v9, v9, v11
	s_set_vgpr_msb 4                        ;  msbs: dst=0 src0=0 src1=1 src2=0
	v_mul_f32_e32 v11, v255, v3 /*v259*/
	v_fma_f32 v11, v254, v2 /*v258*/, -v11
	s_set_vgpr_msb 0                        ;  msbs: dst=0 src0=0 src1=0 src2=0
	s_delay_alu instid0(VALU_DEP_1) | instskip(SKIP_2) | instid1(VALU_DEP_1)
	v_add_f32_e32 v9, v9, v11
	s_set_vgpr_msb 5                        ;  msbs: dst=0 src0=1 src1=1 src2=0
	v_mul_f32_e32 v11, v5 /*v261*/, v9 /*v265*/
	v_fma_f32 v11, v4 /*v260*/, v8 /*v264*/, -v11
	s_set_vgpr_msb 0                        ;  msbs: dst=0 src0=0 src1=0 src2=0
	s_delay_alu instid0(VALU_DEP_1) | instskip(SKIP_2) | instid1(VALU_DEP_1)
	v_add_f32_e32 v9, v9, v11
	s_set_vgpr_msb 5                        ;  msbs: dst=0 src0=1 src1=1 src2=0
	v_mul_f32_e32 v11, v7 /*v263*/, v11 /*v267*/
	v_fma_f32 v11, v6 /*v262*/, v10 /*v266*/, -v11
	;; [unrolled: 6-line block ×11, first 2 shown]
	s_set_vgpr_msb 64                       ;  msbs: dst=1 src0=0 src1=0 src2=0
	s_delay_alu instid0(VALU_DEP_1) | instskip(SKIP_3) | instid1(VALU_DEP_1)
	v_add_f32_e32 v72 /*v328*/, v9, v11
	s_set_vgpr_msb 5                        ;  msbs: dst=0 src0=1 src1=1 src2=0
	v_mul_f32_e32 v9, v47 /*v303*/, v51 /*v307*/
	s_set_vgpr_msb 0x45                     ;  msbs: dst=1 src0=1 src1=1 src2=0
	v_fma_f32 v74 /*v330*/, v46 /*v302*/, v50 /*v306*/, -v9
	s_set_vgpr_msb 5                        ;  msbs: dst=0 src0=1 src1=1 src2=0
	v_mul_f32_e32 v9, v53 /*v309*/, v57 /*v313*/
	s_set_vgpr_msb 0x45                     ;  msbs: dst=1 src0=1 src1=1 src2=0
	s_delay_alu instid0(VALU_DEP_1) | instskip(SKIP_3) | instid1(VALU_DEP_1)
	v_fma_f32 v76 /*v332*/, v52 /*v308*/, v56 /*v312*/, -v9
	s_set_vgpr_msb 5                        ;  msbs: dst=0 src0=1 src1=1 src2=0
	v_pk_add_f32 v[138:139], v[72:73] /*v[328:329]*/, v[74:75] /*v[330:331]*/
	s_set_vgpr_msb 4                        ;  msbs: dst=0 src0=0 src1=1 src2=0
	v_pk_add_f32 v[138:139], v[138:139], v[76:77] /*v[332:333]*/
	s_set_vgpr_msb 0                        ;  msbs: dst=0 src0=0 src1=0 src2=0
	s_delay_alu instid0(VALU_DEP_1)
	v_pk_add_f32 v[138:139], v[138:139], v[142:143]
	s_set_vgpr_msb 4                        ;  msbs: dst=0 src0=0 src1=1 src2=0
	v_pk_fma_f32 v[142:143], v[124:125], v[60:61] /*v[316:317]*/, v[140:141] neg_lo:[0,0,1] neg_hi:[0,0,1]
	v_pk_fma_f32 v[124:125], v[124:125], v[60:61] /*v[316:317]*/, v[140:141] op_sel_hi:[1,0,1]
	s_set_vgpr_msb 1                        ;  msbs: dst=0 src0=1 src1=0 src2=0
	v_mov_b32_e32 v140, v63 /*v319*/
	s_set_vgpr_msb 0                        ;  msbs: dst=0 src0=0 src1=0 src2=0
	s_delay_alu instid0(VALU_DEP_2) | instskip(NEXT) | instid1(VALU_DEP_1)
	v_mov_b32_e32 v143, v125
	v_pk_add_f32 v[124:125], v[138:139], v[142:143]
	v_dual_mov_b32 v138, v127 :: v_dual_mov_b32 v139, v126
	s_delay_alu instid0(VALU_DEP_1) | instskip(SKIP_1) | instid1(VALU_DEP_1)
	v_pk_mul_f32 v[138:139], v[138:139], v[140:141] op_sel_hi:[1,0]
	s_set_vgpr_msb 4                        ;  msbs: dst=0 src0=0 src1=1 src2=0
	v_pk_fma_f32 v[140:141], v[126:127], v[62:63] /*v[318:319]*/, v[138:139] neg_lo:[0,0,1] neg_hi:[0,0,1]
	v_pk_fma_f32 v[126:127], v[126:127], v[62:63] /*v[318:319]*/, v[138:139] op_sel_hi:[1,0,1]
	s_delay_alu instid0(VALU_DEP_1) | instskip(SKIP_3) | instid1(VALU_DEP_2)
	v_mov_b32_e32 v141, v127
	s_wait_loadcnt_dscnt 0x202
	v_pk_mul_f32 v[126:127], v[128:129], v[64:65] /*v[320:321]*/ op_sel:[1,1] op_sel_hi:[0,1]
	s_set_vgpr_msb 0                        ;  msbs: dst=0 src0=0 src1=0 src2=0
	v_pk_add_f32 v[124:125], v[124:125], v[140:141]
	s_set_vgpr_msb 4                        ;  msbs: dst=0 src0=0 src1=1 src2=0
	s_delay_alu instid0(VALU_DEP_2)
	v_pk_fma_f32 v[138:139], v[128:129], v[64:65] /*v[320:321]*/, v[126:127] neg_lo:[0,0,1] neg_hi:[0,0,1]
	v_pk_fma_f32 v[126:127], v[128:129], v[64:65] /*v[320:321]*/, v[126:127] op_sel_hi:[1,0,1]
	v_mov_b32_e32 v126, v131
	s_set_vgpr_msb 1                        ;  msbs: dst=0 src0=1 src1=0 src2=0
	v_mov_b32_e32 v128, v67 /*v323*/
	s_set_vgpr_msb 0                        ;  msbs: dst=0 src0=0 src1=0 src2=0
	v_dual_mov_b32 v139, v127 :: v_dual_mov_b32 v127, v130
	s_delay_alu instid0(VALU_DEP_1) | instskip(NEXT) | instid1(VALU_DEP_2)
	v_pk_add_f32 v[124:125], v[124:125], v[138:139]
	v_pk_mul_f32 v[126:127], v[126:127], v[128:129] op_sel_hi:[1,0]
	s_set_vgpr_msb 4                        ;  msbs: dst=0 src0=0 src1=1 src2=0
	s_delay_alu instid0(VALU_DEP_1) | instskip(SKIP_1) | instid1(VALU_DEP_1)
	v_pk_fma_f32 v[128:129], v[130:131], v[66:67] /*v[322:323]*/, v[126:127] neg_lo:[0,0,1] neg_hi:[0,0,1]
	v_pk_fma_f32 v[126:127], v[130:131], v[66:67] /*v[322:323]*/, v[126:127] op_sel_hi:[1,0,1]
	v_mov_b32_e32 v129, v127
	s_wait_loadcnt_dscnt 0x101
	v_pk_mul_f32 v[126:127], v[132:133], v[68:69] /*v[324:325]*/ op_sel:[1,1] op_sel_hi:[0,1]
	s_set_vgpr_msb 0                        ;  msbs: dst=0 src0=0 src1=0 src2=0
	s_delay_alu instid0(VALU_DEP_2) | instskip(SKIP_1) | instid1(VALU_DEP_2)
	v_pk_add_f32 v[124:125], v[124:125], v[128:129]
	s_set_vgpr_msb 4                        ;  msbs: dst=0 src0=0 src1=1 src2=0
	v_pk_fma_f32 v[128:129], v[132:133], v[68:69] /*v[324:325]*/, v[126:127] neg_lo:[0,0,1] neg_hi:[0,0,1]
	v_pk_fma_f32 v[126:127], v[132:133], v[68:69] /*v[324:325]*/, v[126:127] op_sel_hi:[1,0,1]
	s_delay_alu instid0(VALU_DEP_1) | instskip(SKIP_2) | instid1(VALU_DEP_2)
	v_dual_mov_b32 v126, v135 :: v_dual_mov_b32 v129, v127
	v_mov_b32_e32 v127, v134
	s_set_vgpr_msb 0                        ;  msbs: dst=0 src0=0 src1=0 src2=0
	v_pk_add_f32 v[124:125], v[124:125], v[128:129]
	s_set_vgpr_msb 1                        ;  msbs: dst=0 src0=1 src1=0 src2=0
	v_mov_b32_e32 v128, v71 /*v327*/
	s_set_vgpr_msb 0                        ;  msbs: dst=0 src0=0 src1=0 src2=0
	s_delay_alu instid0(VALU_DEP_1) | instskip(SKIP_1) | instid1(VALU_DEP_1)
	v_pk_mul_f32 v[126:127], v[126:127], v[128:129] op_sel_hi:[1,0]
	s_set_vgpr_msb 4                        ;  msbs: dst=0 src0=0 src1=1 src2=0
	v_pk_fma_f32 v[128:129], v[134:135], v[70:71] /*v[326:327]*/, v[126:127] neg_lo:[0,0,1] neg_hi:[0,0,1]
	v_pk_fma_f32 v[126:127], v[134:135], v[70:71] /*v[326:327]*/, v[126:127] op_sel_hi:[1,0,1]
	s_delay_alu instid0(VALU_DEP_1) | instskip(SKIP_3) | instid1(VALU_DEP_2)
	v_mov_b32_e32 v129, v127
	s_wait_loadcnt_dscnt 0x0
	v_pk_mul_f32 v[126:127], v[136:137], v[78:79] /*v[334:335]*/ op_sel:[1,1] op_sel_hi:[0,1]
	s_set_vgpr_msb 0                        ;  msbs: dst=0 src0=0 src1=0 src2=0
	v_pk_add_f32 v[124:125], v[124:125], v[128:129]
	s_set_vgpr_msb 4                        ;  msbs: dst=0 src0=0 src1=1 src2=0
	s_delay_alu instid0(VALU_DEP_2) | instskip(SKIP_1) | instid1(VALU_DEP_1)
	v_pk_fma_f32 v[128:129], v[136:137], v[78:79] /*v[334:335]*/, v[126:127] neg_lo:[0,0,1] neg_hi:[0,0,1]
	v_pk_fma_f32 v[126:127], v[136:137], v[78:79] /*v[334:335]*/, v[126:127] op_sel_hi:[1,0,1]
	v_mov_b32_e32 v129, v127
	scratch_load_b64 v[126:127], off, off offset:40
	s_set_vgpr_msb 0                        ;  msbs: dst=0 src0=0 src1=0 src2=0
	v_pk_add_f32 v[124:125], v[124:125], v[128:129]
	s_wait_loadcnt 0x0
	s_delay_alu instid0(VALU_DEP_1)
	v_pk_add_f32 v[124:125], v[126:127], v[124:125] neg_lo:[0,1] neg_hi:[0,1]
	scratch_store_b64 off, v[124:125], off offset:40
	s_wait_xcnt 0x0
	v_cmpx_lt_u32_e32 4, v0
	s_cbranch_execz .LBB124_371
; %bb.370:
	scratch_load_b64 v[124:125], off, off offset:32
	v_mov_b64_e32 v[126:127], 0
	scratch_store_b64 off, v[126:127], off offset:32
	s_wait_loadcnt 0x0
	ds_store_b64 v1, v[124:125]
.LBB124_371:
	s_wait_xcnt 0x0
	s_or_b32 exec_lo, exec_lo, s0
	s_wait_storecnt_dscnt 0x0
	s_barrier_signal -1
	s_barrier_wait -1
	s_clause 0xf
	scratch_load_b128 v[128:131], off, off offset:40
	scratch_load_b128 v[136:139], off, off offset:56
	scratch_load_b128 v[144:147], off, off offset:72
	scratch_load_b128 v[152:155], off, off offset:88
	scratch_load_b128 v[160:163], off, off offset:104
	scratch_load_b128 v[168:171], off, off offset:120
	scratch_load_b128 v[176:179], off, off offset:136
	scratch_load_b128 v[184:187], off, off offset:152
	scratch_load_b128 v[192:195], off, off offset:168
	scratch_load_b128 v[200:203], off, off offset:184
	scratch_load_b128 v[208:211], off, off offset:200
	scratch_load_b128 v[216:219], off, off offset:216
	scratch_load_b128 v[224:227], off, off offset:232
	scratch_load_b128 v[232:235], off, off offset:248
	scratch_load_b128 v[240:243], off, off offset:264
	scratch_load_b128 v[248:251], off, off offset:280
	ds_load_2addr_b64 v[124:127], v7 offset0:67 offset1:68
	ds_load_2addr_b64 v[132:135], v7 offset0:69 offset1:70
	s_set_vgpr_msb 64                       ;  msbs: dst=1 src0=0 src1=0 src2=0
	s_clause 0x1
	scratch_load_b128 v[0:3] /*v[256:259]*/, off, off offset:296
	scratch_load_b128 v[8:11] /*v[264:267]*/, off, off offset:312
	s_set_vgpr_msb 0                        ;  msbs: dst=0 src0=0 src1=0 src2=0
	ds_load_2addr_b64 v[140:143], v7 offset0:71 offset1:72
	ds_load_2addr_b64 v[148:151], v7 offset0:73 offset1:74
	s_set_vgpr_msb 64                       ;  msbs: dst=1 src0=0 src1=0 src2=0
	s_clause 0x1
	scratch_load_b128 v[16:19] /*v[272:275]*/, off, off offset:328
	scratch_load_b128 v[24:27] /*v[280:283]*/, off, off offset:344
	s_set_vgpr_msb 0                        ;  msbs: dst=0 src0=0 src1=0 src2=0
	;; [unrolled: 7-line block ×4, first 2 shown]
	ds_load_2addr_b64 v[188:191], v7 offset0:83 offset1:84
	ds_load_2addr_b64 v[196:199], v7 offset0:85 offset1:86
	;; [unrolled: 1-line block ×9, first 2 shown]
	s_set_vgpr_msb 64                       ;  msbs: dst=1 src0=0 src1=0 src2=0
	ds_load_2addr_b64 v[4:7] /*v[260:263]*/, v7 offset0:101 offset1:102
	ds_load_2addr_b64 v[12:15] /*v[268:271]*/, v7 offset0:103 offset1:104
	;; [unrolled: 1-line block ×7, first 2 shown]
	s_clause 0x3
	scratch_load_b128 v[60:63] /*v[316:319]*/, off, off offset:424
	scratch_load_b128 v[64:67] /*v[320:323]*/, off, off offset:440
	;; [unrolled: 1-line block ×4, first 2 shown]
	s_mov_b32 s0, exec_lo
	s_wait_loadcnt_dscnt 0x1b17
	s_set_vgpr_msb 0                        ;  msbs: dst=0 src0=0 src1=0 src2=0
	v_dual_mul_f32 v9, v124, v129 :: v_dual_mul_f32 v11, v126, v131
	s_delay_alu instid0(VALU_DEP_1) | instskip(NEXT) | instid1(VALU_DEP_1)
	v_dual_fmac_f32 v9, v125, v128 :: v_dual_fmac_f32 v11, v127, v130
	v_add_f32_e32 v9, 0, v9
	s_wait_loadcnt_dscnt 0x1a16
	s_delay_alu instid0(VALU_DEP_1) | instskip(NEXT) | instid1(VALU_DEP_1)
	v_dual_add_f32 v9, v9, v11 :: v_dual_mul_f32 v11, v132, v137
	v_fmac_f32_e32 v11, v133, v136
	s_delay_alu instid0(VALU_DEP_1)
	v_add_f32_e32 v9, v9, v11
	v_mul_f32_e32 v11, v134, v139
	s_wait_loadcnt_dscnt 0x402
	s_set_vgpr_msb 0x45                     ;  msbs: dst=1 src0=1 src1=1 src2=0
	v_dual_mul_f32 v79 /*v335*/, v52 /*v308*/, v57 /*v313*/ :: v_dual_mul_f32 v81 /*v337*/, v54 /*v310*/, v59 /*v315*/
	s_set_vgpr_msb 0                        ;  msbs: dst=0 src0=0 src1=0 src2=0
	v_fmac_f32_e32 v11, v135, v138
	s_set_vgpr_msb 0x45                     ;  msbs: dst=1 src0=1 src1=1 src2=0
	s_delay_alu instid0(VALU_DEP_2) | instskip(SKIP_1) | instid1(VALU_DEP_2)
	v_dual_fmac_f32 v79 /*v335*/, v53 /*v309*/, v56 /*v312*/ :: v_dual_fmac_f32 v81 /*v337*/, v55 /*v311*/, v58 /*v314*/
	s_set_vgpr_msb 0                        ;  msbs: dst=0 src0=0 src1=0 src2=0
	v_dual_add_f32 v9, v9, v11 :: v_dual_mul_f32 v11, v140, v145
	s_delay_alu instid0(VALU_DEP_1) | instskip(NEXT) | instid1(VALU_DEP_1)
	v_fmac_f32_e32 v11, v141, v144
	v_add_f32_e32 v9, v9, v11
	v_mul_f32_e32 v11, v142, v147
	s_delay_alu instid0(VALU_DEP_1) | instskip(NEXT) | instid1(VALU_DEP_1)
	v_fmac_f32_e32 v11, v143, v146
	v_dual_add_f32 v9, v9, v11 :: v_dual_mul_f32 v11, v148, v153
	s_delay_alu instid0(VALU_DEP_1) | instskip(NEXT) | instid1(VALU_DEP_1)
	v_fmac_f32_e32 v11, v149, v152
	v_add_f32_e32 v9, v9, v11
	v_mul_f32_e32 v11, v150, v155
	s_delay_alu instid0(VALU_DEP_1) | instskip(NEXT) | instid1(VALU_DEP_1)
	v_fmac_f32_e32 v11, v151, v154
	;; [unrolled: 7-line block ×14, first 2 shown]
	v_add_f32_e32 v9, v9, v11
	s_set_vgpr_msb 4                        ;  msbs: dst=0 src0=0 src1=1 src2=0
	v_mul_f32_e32 v11, v252, v1 /*v257*/
	s_delay_alu instid0(VALU_DEP_1) | instskip(SKIP_1) | instid1(VALU_DEP_1)
	v_fmac_f32_e32 v11, v253, v0 /*v256*/
	s_set_vgpr_msb 0                        ;  msbs: dst=0 src0=0 src1=0 src2=0
	v_add_f32_e32 v9, v9, v11
	s_set_vgpr_msb 4                        ;  msbs: dst=0 src0=0 src1=1 src2=0
	v_mul_f32_e32 v11, v254, v3 /*v259*/
	s_delay_alu instid0(VALU_DEP_1) | instskip(SKIP_1) | instid1(VALU_DEP_1)
	v_fmac_f32_e32 v11, v255, v2 /*v258*/
	s_set_vgpr_msb 0                        ;  msbs: dst=0 src0=0 src1=0 src2=0
	v_add_f32_e32 v9, v9, v11
	s_set_vgpr_msb 5                        ;  msbs: dst=0 src0=1 src1=1 src2=0
	v_mul_f32_e32 v11, v4 /*v260*/, v9 /*v265*/
	s_delay_alu instid0(VALU_DEP_1) | instskip(SKIP_1) | instid1(VALU_DEP_1)
	v_fmac_f32_e32 v11, v5 /*v261*/, v8 /*v264*/
	s_set_vgpr_msb 0                        ;  msbs: dst=0 src0=0 src1=0 src2=0
	v_add_f32_e32 v9, v9, v11
	s_set_vgpr_msb 5                        ;  msbs: dst=0 src0=1 src1=1 src2=0
	v_mul_f32_e32 v11, v6 /*v262*/, v11 /*v267*/
	s_delay_alu instid0(VALU_DEP_1) | instskip(SKIP_1) | instid1(VALU_DEP_1)
	v_fmac_f32_e32 v11, v7 /*v263*/, v10 /*v266*/
	;; [unrolled: 6-line block ×6, first 2 shown]
	s_set_vgpr_msb 0                        ;  msbs: dst=0 src0=0 src1=0 src2=0
	v_add_f32_e32 v9, v9, v11
	s_wait_dscnt 0x1
	s_set_vgpr_msb 5                        ;  msbs: dst=0 src0=1 src1=1 src2=0
	v_mul_f32_e32 v11, v28 /*v284*/, v33 /*v289*/
	s_delay_alu instid0(VALU_DEP_1) | instskip(SKIP_1) | instid1(VALU_DEP_1)
	v_fmac_f32_e32 v11, v29 /*v285*/, v32 /*v288*/
	s_set_vgpr_msb 0                        ;  msbs: dst=0 src0=0 src1=0 src2=0
	v_add_f32_e32 v9, v9, v11
	s_set_vgpr_msb 5                        ;  msbs: dst=0 src0=1 src1=1 src2=0
	v_mul_f32_e32 v11, v30 /*v286*/, v35 /*v291*/
	s_delay_alu instid0(VALU_DEP_1) | instskip(SKIP_1) | instid1(VALU_DEP_1)
	v_fmac_f32_e32 v11, v31 /*v287*/, v34 /*v290*/
	s_set_vgpr_msb 0                        ;  msbs: dst=0 src0=0 src1=0 src2=0
	v_add_f32_e32 v9, v9, v11
	s_wait_dscnt 0x0
	s_set_vgpr_msb 5                        ;  msbs: dst=0 src0=1 src1=1 src2=0
	v_mul_f32_e32 v11, v36 /*v292*/, v41 /*v297*/
	s_delay_alu instid0(VALU_DEP_1) | instskip(SKIP_1) | instid1(VALU_DEP_1)
	v_fmac_f32_e32 v11, v37 /*v293*/, v40 /*v296*/
	s_set_vgpr_msb 0                        ;  msbs: dst=0 src0=0 src1=0 src2=0
	v_add_f32_e32 v9, v9, v11
	s_set_vgpr_msb 5                        ;  msbs: dst=0 src0=1 src1=1 src2=0
	v_mul_f32_e32 v11, v38 /*v294*/, v43 /*v299*/
	s_delay_alu instid0(VALU_DEP_1) | instskip(SKIP_1) | instid1(VALU_DEP_1)
	v_fmac_f32_e32 v11, v39 /*v295*/, v42 /*v298*/
	s_set_vgpr_msb 0                        ;  msbs: dst=0 src0=0 src1=0 src2=0
	v_add_f32_e32 v9, v9, v11
	;; [unrolled: 6-line block ×3, first 2 shown]
	s_set_vgpr_msb 5                        ;  msbs: dst=0 src0=1 src1=1 src2=0
	v_mul_f32_e32 v11, v46 /*v302*/, v51 /*v307*/
	s_delay_alu instid0(VALU_DEP_1) | instskip(SKIP_1) | instid1(VALU_DEP_1)
	v_fmac_f32_e32 v11, v47 /*v303*/, v50 /*v306*/
	s_set_vgpr_msb 64                       ;  msbs: dst=1 src0=0 src1=0 src2=0
	v_add_f32_e32 v77 /*v333*/, v9, v11
	s_set_vgpr_msb 0                        ;  msbs: dst=0 src0=0 src1=0 src2=0
	v_dual_mul_f32 v9, v125, v129 :: v_dual_mul_f32 v11, v127, v131
	s_delay_alu instid0(VALU_DEP_1) | instskip(NEXT) | instid1(VALU_DEP_1)
	v_dual_fma_f32 v9, v124, v128, -v9 :: v_dual_fma_f32 v11, v126, v130, -v11
	v_add_f32_e32 v9, 0, v9
	s_delay_alu instid0(VALU_DEP_1) | instskip(SKIP_1) | instid1(VALU_DEP_1)
	v_add_f32_e32 v9, v9, v11
	v_mul_f32_e32 v11, v133, v137
	v_fma_f32 v11, v132, v136, -v11
	s_delay_alu instid0(VALU_DEP_1) | instskip(SKIP_1) | instid1(VALU_DEP_1)
	v_add_f32_e32 v9, v9, v11
	v_mul_f32_e32 v11, v135, v139
	v_fma_f32 v11, v134, v138, -v11
	ds_load_2addr_b64 v[124:127], v7 offset0:115 offset1:116
	ds_load_2addr_b64 v[128:131], v7 offset0:117 offset1:118
	;; [unrolled: 1-line block ×4, first 2 shown]
	v_add_f32_e32 v9, v9, v11
	v_mul_f32_e32 v11, v141, v145
	s_delay_alu instid0(VALU_DEP_1) | instskip(NEXT) | instid1(VALU_DEP_1)
	v_fma_f32 v11, v140, v144, -v11
	v_add_f32_e32 v9, v9, v11
	v_mul_f32_e32 v11, v143, v147
	s_delay_alu instid0(VALU_DEP_1)
	v_fma_f32 v11, v142, v146, -v11
	s_wait_loadcnt_dscnt 0x303
	s_set_vgpr_msb 4                        ;  msbs: dst=0 src0=0 src1=1 src2=0
	v_pk_mul_f32 v[142:143], v[124:125], v[60:61] /*v[316:317]*/ op_sel:[1,1] op_sel_hi:[0,1]
	s_set_vgpr_msb 0                        ;  msbs: dst=0 src0=0 src1=0 src2=0
	v_add_f32_e32 v9, v9, v11
	v_mul_f32_e32 v11, v149, v153
	s_set_vgpr_msb 4                        ;  msbs: dst=0 src0=0 src1=1 src2=0
	v_pk_fma_f32 v[144:145], v[124:125], v[60:61] /*v[316:317]*/, v[142:143] neg_lo:[0,0,1] neg_hi:[0,0,1]
	v_pk_fma_f32 v[124:125], v[124:125], v[60:61] /*v[316:317]*/, v[142:143] op_sel_hi:[1,0,1]
	s_set_vgpr_msb 1                        ;  msbs: dst=0 src0=1 src1=0 src2=0
	v_mov_b32_e32 v142, v63 /*v319*/
	s_set_vgpr_msb 0                        ;  msbs: dst=0 src0=0 src1=0 src2=0
	s_delay_alu instid0(VALU_DEP_2) | instskip(NEXT) | instid1(VALU_DEP_1)
	v_dual_fma_f32 v11, v148, v152, -v11 :: v_dual_mov_b32 v145, v125
	v_add_f32_e32 v9, v9, v11
	v_mul_f32_e32 v11, v151, v155
	s_delay_alu instid0(VALU_DEP_1) | instskip(NEXT) | instid1(VALU_DEP_1)
	v_fma_f32 v11, v150, v154, -v11
	v_add_f32_e32 v9, v9, v11
	v_mul_f32_e32 v11, v157, v161
	s_delay_alu instid0(VALU_DEP_1) | instskip(NEXT) | instid1(VALU_DEP_1)
	v_fma_f32 v11, v156, v160, -v11
	;; [unrolled: 4-line block ×25, first 2 shown]
	v_add_f32_e32 v9, v9, v11
	s_set_vgpr_msb 4                        ;  msbs: dst=0 src0=0 src1=1 src2=0
	v_mul_f32_e32 v11, v253, v1 /*v257*/
	s_delay_alu instid0(VALU_DEP_1) | instskip(SKIP_1) | instid1(VALU_DEP_1)
	v_fma_f32 v11, v252, v0 /*v256*/, -v11
	s_set_vgpr_msb 0                        ;  msbs: dst=0 src0=0 src1=0 src2=0
	v_add_f32_e32 v9, v9, v11
	s_set_vgpr_msb 4                        ;  msbs: dst=0 src0=0 src1=1 src2=0
	v_mul_f32_e32 v11, v255, v3 /*v259*/
	s_delay_alu instid0(VALU_DEP_1) | instskip(SKIP_1) | instid1(VALU_DEP_1)
	v_fma_f32 v11, v254, v2 /*v258*/, -v11
	s_set_vgpr_msb 0                        ;  msbs: dst=0 src0=0 src1=0 src2=0
	v_add_f32_e32 v9, v9, v11
	s_set_vgpr_msb 5                        ;  msbs: dst=0 src0=1 src1=1 src2=0
	v_mul_f32_e32 v11, v5 /*v261*/, v9 /*v265*/
	s_delay_alu instid0(VALU_DEP_1) | instskip(SKIP_1) | instid1(VALU_DEP_1)
	v_fma_f32 v11, v4 /*v260*/, v8 /*v264*/, -v11
	s_set_vgpr_msb 0                        ;  msbs: dst=0 src0=0 src1=0 src2=0
	v_add_f32_e32 v9, v9, v11
	s_set_vgpr_msb 5                        ;  msbs: dst=0 src0=1 src1=1 src2=0
	v_mul_f32_e32 v11, v7 /*v263*/, v11 /*v267*/
	s_delay_alu instid0(VALU_DEP_1) | instskip(SKIP_1) | instid1(VALU_DEP_1)
	v_fma_f32 v11, v6 /*v262*/, v10 /*v266*/, -v11
	;; [unrolled: 6-line block ×12, first 2 shown]
	s_set_vgpr_msb 64                       ;  msbs: dst=1 src0=0 src1=0 src2=0
	v_add_f32_e32 v76 /*v332*/, v9, v11
	s_set_vgpr_msb 5                        ;  msbs: dst=0 src0=1 src1=1 src2=0
	v_mul_f32_e32 v9, v53 /*v309*/, v57 /*v313*/
	s_set_vgpr_msb 0x45                     ;  msbs: dst=1 src0=1 src1=1 src2=0
	s_delay_alu instid0(VALU_DEP_1) | instskip(SKIP_3) | instid1(VALU_DEP_1)
	v_fma_f32 v78 /*v334*/, v52 /*v308*/, v56 /*v312*/, -v9
	s_set_vgpr_msb 5                        ;  msbs: dst=0 src0=1 src1=1 src2=0
	v_mul_f32_e32 v9, v55 /*v311*/, v59 /*v315*/
	s_set_vgpr_msb 0x45                     ;  msbs: dst=1 src0=1 src1=1 src2=0
	v_fma_f32 v80 /*v336*/, v54 /*v310*/, v58 /*v314*/, -v9
	s_set_vgpr_msb 5                        ;  msbs: dst=0 src0=1 src1=1 src2=0
	v_pk_add_f32 v[140:141], v[76:77] /*v[332:333]*/, v[78:79] /*v[334:335]*/
	s_set_vgpr_msb 4                        ;  msbs: dst=0 src0=0 src1=1 src2=0
	s_delay_alu instid0(VALU_DEP_1) | instskip(SKIP_1) | instid1(VALU_DEP_1)
	v_pk_add_f32 v[140:141], v[140:141], v[80:81] /*v[336:337]*/
	s_set_vgpr_msb 0                        ;  msbs: dst=0 src0=0 src1=0 src2=0
	v_pk_add_f32 v[124:125], v[140:141], v[144:145]
	v_dual_mov_b32 v140, v127 :: v_dual_mov_b32 v141, v126
	s_delay_alu instid0(VALU_DEP_1) | instskip(SKIP_1) | instid1(VALU_DEP_1)
	v_pk_mul_f32 v[140:141], v[140:141], v[142:143] op_sel_hi:[1,0]
	s_set_vgpr_msb 4                        ;  msbs: dst=0 src0=0 src1=1 src2=0
	v_pk_fma_f32 v[142:143], v[126:127], v[62:63] /*v[318:319]*/, v[140:141] neg_lo:[0,0,1] neg_hi:[0,0,1]
	v_pk_fma_f32 v[126:127], v[126:127], v[62:63] /*v[318:319]*/, v[140:141] op_sel_hi:[1,0,1]
	s_delay_alu instid0(VALU_DEP_1) | instskip(SKIP_3) | instid1(VALU_DEP_2)
	v_mov_b32_e32 v143, v127
	s_wait_loadcnt_dscnt 0x202
	v_pk_mul_f32 v[126:127], v[128:129], v[64:65] /*v[320:321]*/ op_sel:[1,1] op_sel_hi:[0,1]
	s_set_vgpr_msb 0                        ;  msbs: dst=0 src0=0 src1=0 src2=0
	v_pk_add_f32 v[124:125], v[124:125], v[142:143]
	s_set_vgpr_msb 4                        ;  msbs: dst=0 src0=0 src1=1 src2=0
	s_delay_alu instid0(VALU_DEP_2)
	v_pk_fma_f32 v[140:141], v[128:129], v[64:65] /*v[320:321]*/, v[126:127] neg_lo:[0,0,1] neg_hi:[0,0,1]
	v_pk_fma_f32 v[126:127], v[128:129], v[64:65] /*v[320:321]*/, v[126:127] op_sel_hi:[1,0,1]
	v_mov_b32_e32 v126, v131
	s_set_vgpr_msb 1                        ;  msbs: dst=0 src0=1 src1=0 src2=0
	v_mov_b32_e32 v128, v67 /*v323*/
	s_set_vgpr_msb 0                        ;  msbs: dst=0 src0=0 src1=0 src2=0
	v_dual_mov_b32 v141, v127 :: v_dual_mov_b32 v127, v130
	s_delay_alu instid0(VALU_DEP_1) | instskip(NEXT) | instid1(VALU_DEP_2)
	v_pk_add_f32 v[124:125], v[124:125], v[140:141]
	v_pk_mul_f32 v[126:127], v[126:127], v[128:129] op_sel_hi:[1,0]
	s_set_vgpr_msb 4                        ;  msbs: dst=0 src0=0 src1=1 src2=0
	s_delay_alu instid0(VALU_DEP_1) | instskip(SKIP_1) | instid1(VALU_DEP_1)
	v_pk_fma_f32 v[128:129], v[130:131], v[66:67] /*v[322:323]*/, v[126:127] neg_lo:[0,0,1] neg_hi:[0,0,1]
	v_pk_fma_f32 v[126:127], v[130:131], v[66:67] /*v[322:323]*/, v[126:127] op_sel_hi:[1,0,1]
	v_mov_b32_e32 v129, v127
	s_wait_loadcnt_dscnt 0x101
	v_pk_mul_f32 v[126:127], v[132:133], v[68:69] /*v[324:325]*/ op_sel:[1,1] op_sel_hi:[0,1]
	s_set_vgpr_msb 0                        ;  msbs: dst=0 src0=0 src1=0 src2=0
	s_delay_alu instid0(VALU_DEP_2) | instskip(SKIP_1) | instid1(VALU_DEP_2)
	v_pk_add_f32 v[124:125], v[124:125], v[128:129]
	s_set_vgpr_msb 4                        ;  msbs: dst=0 src0=0 src1=1 src2=0
	v_pk_fma_f32 v[128:129], v[132:133], v[68:69] /*v[324:325]*/, v[126:127] neg_lo:[0,0,1] neg_hi:[0,0,1]
	v_pk_fma_f32 v[126:127], v[132:133], v[68:69] /*v[324:325]*/, v[126:127] op_sel_hi:[1,0,1]
	s_delay_alu instid0(VALU_DEP_1) | instskip(SKIP_2) | instid1(VALU_DEP_2)
	v_dual_mov_b32 v126, v135 :: v_dual_mov_b32 v129, v127
	v_mov_b32_e32 v127, v134
	s_set_vgpr_msb 0                        ;  msbs: dst=0 src0=0 src1=0 src2=0
	v_pk_add_f32 v[124:125], v[124:125], v[128:129]
	s_set_vgpr_msb 1                        ;  msbs: dst=0 src0=1 src1=0 src2=0
	v_mov_b32_e32 v128, v71 /*v327*/
	s_set_vgpr_msb 0                        ;  msbs: dst=0 src0=0 src1=0 src2=0
	s_delay_alu instid0(VALU_DEP_1) | instskip(SKIP_1) | instid1(VALU_DEP_1)
	v_pk_mul_f32 v[126:127], v[126:127], v[128:129] op_sel_hi:[1,0]
	s_set_vgpr_msb 4                        ;  msbs: dst=0 src0=0 src1=1 src2=0
	v_pk_fma_f32 v[128:129], v[134:135], v[70:71] /*v[326:327]*/, v[126:127] neg_lo:[0,0,1] neg_hi:[0,0,1]
	v_pk_fma_f32 v[126:127], v[134:135], v[70:71] /*v[326:327]*/, v[126:127] op_sel_hi:[1,0,1]
	s_delay_alu instid0(VALU_DEP_1) | instskip(SKIP_3) | instid1(VALU_DEP_2)
	v_mov_b32_e32 v129, v127
	s_wait_loadcnt_dscnt 0x0
	v_pk_mul_f32 v[126:127], v[136:137], v[72:73] /*v[328:329]*/ op_sel:[1,1] op_sel_hi:[0,1]
	s_set_vgpr_msb 0                        ;  msbs: dst=0 src0=0 src1=0 src2=0
	v_pk_add_f32 v[124:125], v[124:125], v[128:129]
	s_set_vgpr_msb 4                        ;  msbs: dst=0 src0=0 src1=1 src2=0
	s_delay_alu instid0(VALU_DEP_2) | instskip(SKIP_1) | instid1(VALU_DEP_1)
	v_pk_fma_f32 v[128:129], v[136:137], v[72:73] /*v[328:329]*/, v[126:127] neg_lo:[0,0,1] neg_hi:[0,0,1]
	v_pk_fma_f32 v[126:127], v[136:137], v[72:73] /*v[328:329]*/, v[126:127] op_sel_hi:[1,0,1]
	v_dual_mov_b32 v126, v139 :: v_dual_mov_b32 v129, v127
	v_mov_b32_e32 v127, v138
	s_set_vgpr_msb 0                        ;  msbs: dst=0 src0=0 src1=0 src2=0
	s_delay_alu instid0(VALU_DEP_2) | instskip(SKIP_3) | instid1(VALU_DEP_1)
	v_pk_add_f32 v[124:125], v[124:125], v[128:129]
	s_set_vgpr_msb 1                        ;  msbs: dst=0 src0=1 src1=0 src2=0
	v_mov_b32_e32 v128, v75 /*v331*/
	s_set_vgpr_msb 0                        ;  msbs: dst=0 src0=0 src1=0 src2=0
	v_pk_mul_f32 v[126:127], v[126:127], v[128:129] op_sel_hi:[1,0]
	s_set_vgpr_msb 4                        ;  msbs: dst=0 src0=0 src1=1 src2=0
	s_delay_alu instid0(VALU_DEP_1) | instskip(SKIP_1) | instid1(VALU_DEP_1)
	v_pk_fma_f32 v[128:129], v[138:139], v[74:75] /*v[330:331]*/, v[126:127] neg_lo:[0,0,1] neg_hi:[0,0,1]
	v_pk_fma_f32 v[126:127], v[138:139], v[74:75] /*v[330:331]*/, v[126:127] op_sel_hi:[1,0,1]
	v_mov_b32_e32 v129, v127
	scratch_load_b64 v[126:127], off, off offset:32
	s_set_vgpr_msb 0                        ;  msbs: dst=0 src0=0 src1=0 src2=0
	v_pk_add_f32 v[124:125], v[124:125], v[128:129]
	s_wait_loadcnt 0x0
	s_delay_alu instid0(VALU_DEP_1)
	v_pk_add_f32 v[124:125], v[126:127], v[124:125] neg_lo:[0,1] neg_hi:[0,1]
	scratch_store_b64 off, v[124:125], off offset:32
	s_wait_xcnt 0x0
	v_cmpx_lt_u32_e32 3, v0
	s_cbranch_execz .LBB124_373
; %bb.372:
	scratch_load_b64 v[124:125], off, off offset:24
	v_mov_b64_e32 v[126:127], 0
	scratch_store_b64 off, v[126:127], off offset:24
	s_wait_loadcnt 0x0
	ds_store_b64 v1, v[124:125]
.LBB124_373:
	s_wait_xcnt 0x0
	s_or_b32 exec_lo, exec_lo, s0
	v_mov_b32_e32 v7, 0
	s_wait_storecnt_dscnt 0x0
	s_barrier_signal -1
	s_barrier_wait -1
	ds_load_b128 v[124:127], v7 offset:528
	ds_load_b128 v[128:131], v7 offset:544
	ds_load_b128 v[132:135], v7 offset:560
	ds_load_b128 v[136:139], v7 offset:576
	s_clause 0x19
	scratch_load_b128 v[140:143], off, off offset:32
	scratch_load_b128 v[144:147], off, off offset:48
	;; [unrolled: 1-line block ×16, first 2 shown]
	s_set_vgpr_msb 64                       ;  msbs: dst=1 src0=0 src1=0 src2=0
	scratch_load_b128 v[0:3] /*v[256:259]*/, off, off offset:288
	scratch_load_b128 v[8:11] /*v[264:267]*/, off, off offset:304
	;; [unrolled: 1-line block ×9, first 2 shown]
	s_mov_b32 s0, exec_lo
	s_wait_loadcnt_dscnt 0x1803
	s_set_vgpr_msb 0                        ;  msbs: dst=0 src0=0 src1=0 src2=0
	v_mul_f32_e32 v9, v124, v141
	ds_load_b128 v[156:159], v7 offset:592
	ds_load_b128 v[164:167], v7 offset:608
	;; [unrolled: 1-line block ×4, first 2 shown]
	v_dual_fmac_f32 v9, v125, v140 :: v_dual_mul_f32 v11, v126, v143
	ds_load_b128 v[188:191], v7 offset:656
	ds_load_b128 v[196:199], v7 offset:672
	;; [unrolled: 1-line block ×4, first 2 shown]
	v_dual_add_f32 v9, 0, v9 :: v_dual_fmac_f32 v11, v127, v142
	ds_load_b128 v[220:223], v7 offset:720
	ds_load_b128 v[228:231], v7 offset:736
	;; [unrolled: 1-line block ×4, first 2 shown]
	s_wait_loadcnt_dscnt 0x170e
	v_dual_add_f32 v9, v9, v11 :: v_dual_mul_f32 v11, v128, v145
	ds_load_b128 v[252:255], v7 offset:784
	s_set_vgpr_msb 64                       ;  msbs: dst=1 src0=0 src1=0 src2=0
	ds_load_b128 v[4:7] /*v[260:263]*/, v7 offset:800
	ds_load_b128 v[12:15] /*v[268:271]*/, v7 offset:816
	;; [unrolled: 1-line block ×3, first 2 shown]
	s_set_vgpr_msb 0                        ;  msbs: dst=0 src0=0 src1=0 src2=0
	v_fmac_f32_e32 v11, v129, v144
	s_set_vgpr_msb 64                       ;  msbs: dst=1 src0=0 src1=0 src2=0
	ds_load_b128 v[44:47] /*v[300:303]*/, v7 offset:880
	ds_load_b128 v[52:55] /*v[308:311]*/, v7 offset:896
	;; [unrolled: 1-line block ×5, first 2 shown]
	s_set_vgpr_msb 0                        ;  msbs: dst=0 src0=0 src1=0 src2=0
	v_add_f32_e32 v9, v9, v11
	v_mul_f32_e32 v11, v130, v147
	s_set_vgpr_msb 64                       ;  msbs: dst=1 src0=0 src1=0 src2=0
	s_clause 0x3
	scratch_load_b128 v[68:71] /*v[324:327]*/, off, off offset:432
	scratch_load_b128 v[72:75] /*v[328:331]*/, off, off offset:448
	;; [unrolled: 1-line block ×3, first 2 shown]
	scratch_load_b64 v[86:87] /*v[342:343]*/, off, off offset:480
	s_set_vgpr_msb 0                        ;  msbs: dst=0 src0=0 src1=0 src2=0
	v_fmac_f32_e32 v11, v131, v146
	s_wait_loadcnt_dscnt 0x1a16
	s_delay_alu instid0(VALU_DEP_1)
	v_dual_add_f32 v9, v9, v11 :: v_dual_mul_f32 v11, v132, v149
	s_wait_loadcnt_dscnt 0x402
	s_set_vgpr_msb 0x45                     ;  msbs: dst=1 src0=1 src1=1 src2=0
	v_dual_mul_f32 v83 /*v339*/, v54 /*v310*/, v59 /*v315*/ :: v_dual_mul_f32 v85 /*v341*/, v60 /*v316*/, v65 /*v321*/
	s_set_vgpr_msb 0                        ;  msbs: dst=0 src0=0 src1=0 src2=0
	v_fmac_f32_e32 v11, v133, v148
	s_set_vgpr_msb 0x45                     ;  msbs: dst=1 src0=1 src1=1 src2=0
	s_delay_alu instid0(VALU_DEP_2) | instskip(SKIP_1) | instid1(VALU_DEP_2)
	v_dual_fmac_f32 v83 /*v339*/, v55 /*v311*/, v58 /*v314*/ :: v_dual_fmac_f32 v85 /*v341*/, v61 /*v317*/, v64 /*v320*/
	s_set_vgpr_msb 0                        ;  msbs: dst=0 src0=0 src1=0 src2=0
	v_add_f32_e32 v9, v9, v11
	v_mul_f32_e32 v11, v134, v151
	s_delay_alu instid0(VALU_DEP_1) | instskip(NEXT) | instid1(VALU_DEP_1)
	v_fmac_f32_e32 v11, v135, v150
	v_dual_add_f32 v9, v9, v11 :: v_dual_mul_f32 v11, v136, v153
	s_delay_alu instid0(VALU_DEP_1) | instskip(NEXT) | instid1(VALU_DEP_1)
	v_fmac_f32_e32 v11, v137, v152
	v_add_f32_e32 v9, v9, v11
	v_mul_f32_e32 v11, v138, v155
	s_delay_alu instid0(VALU_DEP_1) | instskip(NEXT) | instid1(VALU_DEP_1)
	v_fmac_f32_e32 v11, v139, v154
	v_dual_add_f32 v9, v9, v11 :: v_dual_mul_f32 v11, v156, v161
	s_delay_alu instid0(VALU_DEP_1) | instskip(NEXT) | instid1(VALU_DEP_1)
	v_fmac_f32_e32 v11, v157, v160
	;; [unrolled: 7-line block ×13, first 2 shown]
	v_add_f32_e32 v9, v9, v11
	v_mul_f32_e32 v11, v246, v251
	s_delay_alu instid0(VALU_DEP_1) | instskip(NEXT) | instid1(VALU_DEP_1)
	v_fmac_f32_e32 v11, v247, v250
	v_add_f32_e32 v9, v9, v11
	s_set_vgpr_msb 4                        ;  msbs: dst=0 src0=0 src1=1 src2=0
	v_mul_f32_e32 v11, v252, v1 /*v257*/
	s_delay_alu instid0(VALU_DEP_1) | instskip(SKIP_1) | instid1(VALU_DEP_1)
	v_fmac_f32_e32 v11, v253, v0 /*v256*/
	s_set_vgpr_msb 0                        ;  msbs: dst=0 src0=0 src1=0 src2=0
	v_add_f32_e32 v9, v9, v11
	s_set_vgpr_msb 4                        ;  msbs: dst=0 src0=0 src1=1 src2=0
	v_mul_f32_e32 v11, v254, v3 /*v259*/
	s_delay_alu instid0(VALU_DEP_1) | instskip(SKIP_1) | instid1(VALU_DEP_1)
	v_fmac_f32_e32 v11, v255, v2 /*v258*/
	s_set_vgpr_msb 0                        ;  msbs: dst=0 src0=0 src1=0 src2=0
	v_add_f32_e32 v9, v9, v11
	s_set_vgpr_msb 5                        ;  msbs: dst=0 src0=1 src1=1 src2=0
	v_mul_f32_e32 v11, v4 /*v260*/, v9 /*v265*/
	s_delay_alu instid0(VALU_DEP_1) | instskip(SKIP_1) | instid1(VALU_DEP_1)
	v_fmac_f32_e32 v11, v5 /*v261*/, v8 /*v264*/
	s_set_vgpr_msb 0                        ;  msbs: dst=0 src0=0 src1=0 src2=0
	v_add_f32_e32 v9, v9, v11
	s_set_vgpr_msb 5                        ;  msbs: dst=0 src0=1 src1=1 src2=0
	v_mul_f32_e32 v11, v6 /*v262*/, v11 /*v267*/
	s_delay_alu instid0(VALU_DEP_1) | instskip(SKIP_1) | instid1(VALU_DEP_1)
	v_fmac_f32_e32 v11, v7 /*v263*/, v10 /*v266*/
	;; [unrolled: 6-line block ×6, first 2 shown]
	s_set_vgpr_msb 0                        ;  msbs: dst=0 src0=0 src1=0 src2=0
	v_add_f32_e32 v9, v9, v11
	s_wait_dscnt 0x1
	s_set_vgpr_msb 5                        ;  msbs: dst=0 src0=1 src1=1 src2=0
	v_mul_f32_e32 v11, v28 /*v284*/, v33 /*v289*/
	s_delay_alu instid0(VALU_DEP_1) | instskip(SKIP_1) | instid1(VALU_DEP_1)
	v_fmac_f32_e32 v11, v29 /*v285*/, v32 /*v288*/
	s_set_vgpr_msb 0                        ;  msbs: dst=0 src0=0 src1=0 src2=0
	v_add_f32_e32 v9, v9, v11
	s_set_vgpr_msb 5                        ;  msbs: dst=0 src0=1 src1=1 src2=0
	v_mul_f32_e32 v11, v30 /*v286*/, v35 /*v291*/
	s_delay_alu instid0(VALU_DEP_1) | instskip(SKIP_1) | instid1(VALU_DEP_1)
	v_fmac_f32_e32 v11, v31 /*v287*/, v34 /*v290*/
	s_set_vgpr_msb 0                        ;  msbs: dst=0 src0=0 src1=0 src2=0
	v_add_f32_e32 v9, v9, v11
	s_wait_dscnt 0x0
	s_set_vgpr_msb 5                        ;  msbs: dst=0 src0=1 src1=1 src2=0
	v_mul_f32_e32 v11, v36 /*v292*/, v41 /*v297*/
	s_delay_alu instid0(VALU_DEP_1) | instskip(SKIP_1) | instid1(VALU_DEP_1)
	v_fmac_f32_e32 v11, v37 /*v293*/, v40 /*v296*/
	s_set_vgpr_msb 0                        ;  msbs: dst=0 src0=0 src1=0 src2=0
	v_add_f32_e32 v9, v9, v11
	s_set_vgpr_msb 5                        ;  msbs: dst=0 src0=1 src1=1 src2=0
	v_mul_f32_e32 v11, v38 /*v294*/, v43 /*v299*/
	s_delay_alu instid0(VALU_DEP_1) | instskip(SKIP_1) | instid1(VALU_DEP_1)
	v_fmac_f32_e32 v11, v39 /*v295*/, v42 /*v298*/
	s_set_vgpr_msb 0                        ;  msbs: dst=0 src0=0 src1=0 src2=0
	v_add_f32_e32 v9, v9, v11
	;; [unrolled: 6-line block ×4, first 2 shown]
	s_set_vgpr_msb 5                        ;  msbs: dst=0 src0=1 src1=1 src2=0
	v_mul_f32_e32 v11, v52 /*v308*/, v57 /*v313*/
	s_delay_alu instid0(VALU_DEP_1) | instskip(SKIP_1) | instid1(VALU_DEP_1)
	v_fmac_f32_e32 v11, v53 /*v309*/, v56 /*v312*/
	s_set_vgpr_msb 64                       ;  msbs: dst=1 src0=0 src1=0 src2=0
	v_add_f32_e32 v81 /*v337*/, v9, v11
	s_set_vgpr_msb 0                        ;  msbs: dst=0 src0=0 src1=0 src2=0
	v_dual_mul_f32 v9, v125, v141 :: v_dual_mul_f32 v11, v127, v143
	s_set_vgpr_msb 1                        ;  msbs: dst=0 src0=1 src1=0 src2=0
	v_mov_b32_e32 v141, v62 /*v318*/
	s_set_vgpr_msb 0                        ;  msbs: dst=0 src0=0 src1=0 src2=0
	s_delay_alu instid0(VALU_DEP_2) | instskip(SKIP_2) | instid1(VALU_DEP_2)
	v_dual_fma_f32 v9, v124, v140, -v9 :: v_dual_fma_f32 v11, v126, v142, -v11
	s_set_vgpr_msb 1                        ;  msbs: dst=0 src0=1 src1=0 src2=0
	v_dual_mov_b32 v140, v63 /*v319*/ :: v_dual_mov_b32 v142, v67 /*v323*/
	v_add_f32_e32 v9, 0, v9
	s_set_vgpr_msb 0                        ;  msbs: dst=0 src0=0 src1=0 src2=0
	s_delay_alu instid0(VALU_DEP_2) | instskip(NEXT) | instid1(VALU_DEP_2)
	v_pk_mul_f32 v[140:141], v[140:141], v[142:143] op_sel_hi:[1,0]
	v_add_f32_e32 v9, v9, v11
	v_mul_f32_e32 v11, v129, v145
	s_set_vgpr_msb 5                        ;  msbs: dst=0 src0=1 src1=1 src2=0
	s_delay_alu instid0(VALU_DEP_3) | instskip(SKIP_2) | instid1(VALU_DEP_1)
	v_pk_fma_f32 v[142:143], v[62:63] /*v[318:319]*/, v[66:67] /*v[322:323]*/, v[140:141] neg_lo:[0,0,1] neg_hi:[0,0,1]
	v_pk_fma_f32 v[140:141], v[62:63] /*v[318:319]*/, v[66:67] /*v[322:323]*/, v[140:141] op_sel_hi:[1,0,1]
	s_set_vgpr_msb 0                        ;  msbs: dst=0 src0=0 src1=0 src2=0
	v_dual_fma_f32 v11, v128, v144, -v11 :: v_dual_mov_b32 v143, v141
	s_delay_alu instid0(VALU_DEP_1) | instskip(SKIP_1) | instid1(VALU_DEP_1)
	v_add_f32_e32 v9, v9, v11
	v_mul_f32_e32 v11, v131, v147
	v_fma_f32 v11, v130, v146, -v11
	s_delay_alu instid0(VALU_DEP_1) | instskip(SKIP_1) | instid1(VALU_DEP_1)
	v_add_f32_e32 v9, v9, v11
	v_mul_f32_e32 v11, v133, v149
	v_fma_f32 v11, v132, v148, -v11
	;; [unrolled: 4-line block ×4, first 2 shown]
	ds_load_b128 v[124:127], v7 offset:928
	ds_load_b128 v[128:131], v7 offset:944
	;; [unrolled: 1-line block ×3, first 2 shown]
	ds_load_b64 v[136:137], v7 offset:976
	v_add_f32_e32 v9, v9, v11
	v_mul_f32_e32 v11, v139, v155
	s_delay_alu instid0(VALU_DEP_1) | instskip(NEXT) | instid1(VALU_DEP_1)
	v_fma_f32 v11, v138, v154, -v11
	v_add_f32_e32 v9, v9, v11
	v_mul_f32_e32 v11, v157, v161
	s_wait_loadcnt_dscnt 0x303
	s_set_vgpr_msb 4                        ;  msbs: dst=0 src0=0 src1=1 src2=0
	v_pk_mul_f32 v[140:141], v[124:125], v[68:69] /*v[324:325]*/ op_sel:[1,1] op_sel_hi:[0,1]
	s_set_vgpr_msb 0                        ;  msbs: dst=0 src0=0 src1=0 src2=0
	v_fma_f32 v11, v156, v160, -v11
	s_delay_alu instid0(VALU_DEP_1) | instskip(SKIP_1) | instid1(VALU_DEP_1)
	v_add_f32_e32 v9, v9, v11
	v_mul_f32_e32 v11, v159, v163
	v_fma_f32 v11, v158, v162, -v11
	s_delay_alu instid0(VALU_DEP_1) | instskip(SKIP_1) | instid1(VALU_DEP_1)
	v_add_f32_e32 v9, v9, v11
	v_mul_f32_e32 v11, v165, v169
	;; [unrolled: 4-line block ×23, first 2 shown]
	v_fma_f32 v11, v246, v250, -v11
	s_delay_alu instid0(VALU_DEP_1) | instskip(SKIP_2) | instid1(VALU_DEP_1)
	v_add_f32_e32 v9, v9, v11
	s_set_vgpr_msb 4                        ;  msbs: dst=0 src0=0 src1=1 src2=0
	v_mul_f32_e32 v11, v253, v1 /*v257*/
	v_fma_f32 v11, v252, v0 /*v256*/, -v11
	s_set_vgpr_msb 0                        ;  msbs: dst=0 src0=0 src1=0 src2=0
	s_delay_alu instid0(VALU_DEP_1) | instskip(SKIP_2) | instid1(VALU_DEP_1)
	v_add_f32_e32 v9, v9, v11
	s_set_vgpr_msb 4                        ;  msbs: dst=0 src0=0 src1=1 src2=0
	v_mul_f32_e32 v11, v255, v3 /*v259*/
	v_fma_f32 v11, v254, v2 /*v258*/, -v11
	s_set_vgpr_msb 0                        ;  msbs: dst=0 src0=0 src1=0 src2=0
	s_delay_alu instid0(VALU_DEP_1) | instskip(SKIP_2) | instid1(VALU_DEP_1)
	v_add_f32_e32 v9, v9, v11
	s_set_vgpr_msb 5                        ;  msbs: dst=0 src0=1 src1=1 src2=0
	v_mul_f32_e32 v11, v5 /*v261*/, v9 /*v265*/
	v_fma_f32 v11, v4 /*v260*/, v8 /*v264*/, -v11
	s_set_vgpr_msb 0                        ;  msbs: dst=0 src0=0 src1=0 src2=0
	s_delay_alu instid0(VALU_DEP_1) | instskip(SKIP_2) | instid1(VALU_DEP_1)
	v_add_f32_e32 v9, v9, v11
	s_set_vgpr_msb 5                        ;  msbs: dst=0 src0=1 src1=1 src2=0
	v_mul_f32_e32 v11, v7 /*v263*/, v11 /*v267*/
	v_fma_f32 v11, v6 /*v262*/, v10 /*v266*/, -v11
	;; [unrolled: 6-line block ×13, first 2 shown]
	s_set_vgpr_msb 64                       ;  msbs: dst=1 src0=0 src1=0 src2=0
	s_delay_alu instid0(VALU_DEP_1) | instskip(SKIP_3) | instid1(VALU_DEP_1)
	v_add_f32_e32 v80 /*v336*/, v9, v11
	s_set_vgpr_msb 5                        ;  msbs: dst=0 src0=1 src1=1 src2=0
	v_mul_f32_e32 v9, v55 /*v311*/, v59 /*v315*/
	s_set_vgpr_msb 0x45                     ;  msbs: dst=1 src0=1 src1=1 src2=0
	v_fma_f32 v82 /*v338*/, v54 /*v310*/, v58 /*v314*/, -v9
	s_set_vgpr_msb 5                        ;  msbs: dst=0 src0=1 src1=1 src2=0
	v_mul_f32_e32 v9, v61 /*v317*/, v65 /*v321*/
	s_set_vgpr_msb 0x45                     ;  msbs: dst=1 src0=1 src1=1 src2=0
	s_delay_alu instid0(VALU_DEP_1) | instskip(SKIP_3) | instid1(VALU_DEP_1)
	v_fma_f32 v84 /*v340*/, v60 /*v316*/, v64 /*v320*/, -v9
	s_set_vgpr_msb 5                        ;  msbs: dst=0 src0=1 src1=1 src2=0
	v_pk_add_f32 v[138:139], v[80:81] /*v[336:337]*/, v[82:83] /*v[338:339]*/
	s_set_vgpr_msb 4                        ;  msbs: dst=0 src0=0 src1=1 src2=0
	v_pk_add_f32 v[138:139], v[138:139], v[84:85] /*v[340:341]*/
	s_set_vgpr_msb 0                        ;  msbs: dst=0 src0=0 src1=0 src2=0
	s_delay_alu instid0(VALU_DEP_1)
	v_pk_add_f32 v[138:139], v[138:139], v[142:143]
	s_set_vgpr_msb 4                        ;  msbs: dst=0 src0=0 src1=1 src2=0
	v_pk_fma_f32 v[142:143], v[124:125], v[68:69] /*v[324:325]*/, v[140:141] neg_lo:[0,0,1] neg_hi:[0,0,1]
	v_pk_fma_f32 v[124:125], v[124:125], v[68:69] /*v[324:325]*/, v[140:141] op_sel_hi:[1,0,1]
	s_set_vgpr_msb 1                        ;  msbs: dst=0 src0=1 src1=0 src2=0
	v_mov_b32_e32 v140, v71 /*v327*/
	s_set_vgpr_msb 0                        ;  msbs: dst=0 src0=0 src1=0 src2=0
	s_delay_alu instid0(VALU_DEP_2) | instskip(NEXT) | instid1(VALU_DEP_1)
	v_mov_b32_e32 v143, v125
	v_pk_add_f32 v[124:125], v[138:139], v[142:143]
	v_dual_mov_b32 v138, v127 :: v_dual_mov_b32 v139, v126
	s_delay_alu instid0(VALU_DEP_1) | instskip(SKIP_1) | instid1(VALU_DEP_1)
	v_pk_mul_f32 v[138:139], v[138:139], v[140:141] op_sel_hi:[1,0]
	s_set_vgpr_msb 4                        ;  msbs: dst=0 src0=0 src1=1 src2=0
	v_pk_fma_f32 v[140:141], v[126:127], v[70:71] /*v[326:327]*/, v[138:139] neg_lo:[0,0,1] neg_hi:[0,0,1]
	v_pk_fma_f32 v[126:127], v[126:127], v[70:71] /*v[326:327]*/, v[138:139] op_sel_hi:[1,0,1]
	s_delay_alu instid0(VALU_DEP_1) | instskip(SKIP_3) | instid1(VALU_DEP_2)
	v_mov_b32_e32 v141, v127
	s_wait_loadcnt_dscnt 0x202
	v_pk_mul_f32 v[126:127], v[128:129], v[72:73] /*v[328:329]*/ op_sel:[1,1] op_sel_hi:[0,1]
	s_set_vgpr_msb 0                        ;  msbs: dst=0 src0=0 src1=0 src2=0
	v_pk_add_f32 v[124:125], v[124:125], v[140:141]
	s_set_vgpr_msb 4                        ;  msbs: dst=0 src0=0 src1=1 src2=0
	s_delay_alu instid0(VALU_DEP_2)
	v_pk_fma_f32 v[138:139], v[128:129], v[72:73] /*v[328:329]*/, v[126:127] neg_lo:[0,0,1] neg_hi:[0,0,1]
	v_pk_fma_f32 v[126:127], v[128:129], v[72:73] /*v[328:329]*/, v[126:127] op_sel_hi:[1,0,1]
	v_mov_b32_e32 v126, v131
	s_set_vgpr_msb 1                        ;  msbs: dst=0 src0=1 src1=0 src2=0
	v_mov_b32_e32 v128, v75 /*v331*/
	s_set_vgpr_msb 0                        ;  msbs: dst=0 src0=0 src1=0 src2=0
	v_dual_mov_b32 v139, v127 :: v_dual_mov_b32 v127, v130
	s_delay_alu instid0(VALU_DEP_1) | instskip(NEXT) | instid1(VALU_DEP_2)
	v_pk_add_f32 v[124:125], v[124:125], v[138:139]
	v_pk_mul_f32 v[126:127], v[126:127], v[128:129] op_sel_hi:[1,0]
	s_set_vgpr_msb 4                        ;  msbs: dst=0 src0=0 src1=1 src2=0
	s_delay_alu instid0(VALU_DEP_1) | instskip(SKIP_1) | instid1(VALU_DEP_1)
	v_pk_fma_f32 v[128:129], v[130:131], v[74:75] /*v[330:331]*/, v[126:127] neg_lo:[0,0,1] neg_hi:[0,0,1]
	v_pk_fma_f32 v[126:127], v[130:131], v[74:75] /*v[330:331]*/, v[126:127] op_sel_hi:[1,0,1]
	v_mov_b32_e32 v129, v127
	s_wait_loadcnt_dscnt 0x101
	v_pk_mul_f32 v[126:127], v[132:133], v[76:77] /*v[332:333]*/ op_sel:[1,1] op_sel_hi:[0,1]
	s_set_vgpr_msb 0                        ;  msbs: dst=0 src0=0 src1=0 src2=0
	s_delay_alu instid0(VALU_DEP_2) | instskip(SKIP_1) | instid1(VALU_DEP_2)
	v_pk_add_f32 v[124:125], v[124:125], v[128:129]
	s_set_vgpr_msb 4                        ;  msbs: dst=0 src0=0 src1=1 src2=0
	v_pk_fma_f32 v[128:129], v[132:133], v[76:77] /*v[332:333]*/, v[126:127] neg_lo:[0,0,1] neg_hi:[0,0,1]
	v_pk_fma_f32 v[126:127], v[132:133], v[76:77] /*v[332:333]*/, v[126:127] op_sel_hi:[1,0,1]
	s_delay_alu instid0(VALU_DEP_1) | instskip(SKIP_2) | instid1(VALU_DEP_2)
	v_dual_mov_b32 v126, v135 :: v_dual_mov_b32 v129, v127
	v_mov_b32_e32 v127, v134
	s_set_vgpr_msb 0                        ;  msbs: dst=0 src0=0 src1=0 src2=0
	v_pk_add_f32 v[124:125], v[124:125], v[128:129]
	s_set_vgpr_msb 1                        ;  msbs: dst=0 src0=1 src1=0 src2=0
	v_mov_b32_e32 v128, v79 /*v335*/
	s_set_vgpr_msb 0                        ;  msbs: dst=0 src0=0 src1=0 src2=0
	s_delay_alu instid0(VALU_DEP_1) | instskip(SKIP_1) | instid1(VALU_DEP_1)
	v_pk_mul_f32 v[126:127], v[126:127], v[128:129] op_sel_hi:[1,0]
	s_set_vgpr_msb 4                        ;  msbs: dst=0 src0=0 src1=1 src2=0
	v_pk_fma_f32 v[128:129], v[134:135], v[78:79] /*v[334:335]*/, v[126:127] neg_lo:[0,0,1] neg_hi:[0,0,1]
	v_pk_fma_f32 v[126:127], v[134:135], v[78:79] /*v[334:335]*/, v[126:127] op_sel_hi:[1,0,1]
	s_delay_alu instid0(VALU_DEP_1) | instskip(SKIP_3) | instid1(VALU_DEP_2)
	v_mov_b32_e32 v129, v127
	s_wait_loadcnt_dscnt 0x0
	v_pk_mul_f32 v[126:127], v[136:137], v[86:87] /*v[342:343]*/ op_sel:[1,1] op_sel_hi:[0,1]
	s_set_vgpr_msb 0                        ;  msbs: dst=0 src0=0 src1=0 src2=0
	v_pk_add_f32 v[124:125], v[124:125], v[128:129]
	s_set_vgpr_msb 4                        ;  msbs: dst=0 src0=0 src1=1 src2=0
	s_delay_alu instid0(VALU_DEP_2) | instskip(SKIP_1) | instid1(VALU_DEP_1)
	v_pk_fma_f32 v[128:129], v[136:137], v[86:87] /*v[342:343]*/, v[126:127] neg_lo:[0,0,1] neg_hi:[0,0,1]
	v_pk_fma_f32 v[126:127], v[136:137], v[86:87] /*v[342:343]*/, v[126:127] op_sel_hi:[1,0,1]
	v_mov_b32_e32 v129, v127
	scratch_load_b64 v[126:127], off, off offset:24
	s_set_vgpr_msb 0                        ;  msbs: dst=0 src0=0 src1=0 src2=0
	v_pk_add_f32 v[124:125], v[124:125], v[128:129]
	s_wait_loadcnt 0x0
	s_delay_alu instid0(VALU_DEP_1)
	v_pk_add_f32 v[124:125], v[126:127], v[124:125] neg_lo:[0,1] neg_hi:[0,1]
	scratch_store_b64 off, v[124:125], off offset:24
	s_wait_xcnt 0x0
	v_cmpx_lt_u32_e32 2, v0
	s_cbranch_execz .LBB124_375
; %bb.374:
	scratch_load_b64 v[124:125], off, off offset:16
	v_mov_b64_e32 v[126:127], 0
	scratch_store_b64 off, v[126:127], off offset:16
	s_wait_loadcnt 0x0
	ds_store_b64 v1, v[124:125]
.LBB124_375:
	s_wait_xcnt 0x0
	s_or_b32 exec_lo, exec_lo, s0
	s_wait_storecnt_dscnt 0x0
	s_barrier_signal -1
	s_barrier_wait -1
	s_clause 0xf
	scratch_load_b128 v[128:131], off, off offset:24
	scratch_load_b128 v[136:139], off, off offset:40
	;; [unrolled: 1-line block ×16, first 2 shown]
	ds_load_2addr_b64 v[124:127], v7 offset0:65 offset1:66
	ds_load_2addr_b64 v[132:135], v7 offset0:67 offset1:68
	s_set_vgpr_msb 64                       ;  msbs: dst=1 src0=0 src1=0 src2=0
	s_clause 0x1
	scratch_load_b128 v[0:3] /*v[256:259]*/, off, off offset:280
	scratch_load_b128 v[8:11] /*v[264:267]*/, off, off offset:296
	s_set_vgpr_msb 0                        ;  msbs: dst=0 src0=0 src1=0 src2=0
	ds_load_2addr_b64 v[140:143], v7 offset0:69 offset1:70
	ds_load_2addr_b64 v[148:151], v7 offset0:71 offset1:72
	s_set_vgpr_msb 64                       ;  msbs: dst=1 src0=0 src1=0 src2=0
	s_clause 0x1
	scratch_load_b128 v[16:19] /*v[272:275]*/, off, off offset:312
	scratch_load_b128 v[24:27] /*v[280:283]*/, off, off offset:328
	s_set_vgpr_msb 0                        ;  msbs: dst=0 src0=0 src1=0 src2=0
	;; [unrolled: 7-line block ×4, first 2 shown]
	ds_load_2addr_b64 v[188:191], v7 offset0:81 offset1:82
	ds_load_2addr_b64 v[196:199], v7 offset0:83 offset1:84
	;; [unrolled: 1-line block ×9, first 2 shown]
	s_set_vgpr_msb 64                       ;  msbs: dst=1 src0=0 src1=0 src2=0
	ds_load_2addr_b64 v[4:7] /*v[260:263]*/, v7 offset0:99 offset1:100
	ds_load_2addr_b64 v[12:15] /*v[268:271]*/, v7 offset0:101 offset1:102
	;; [unrolled: 1-line block ×4, first 2 shown]
	scratch_load_b128 v[64:67] /*v[320:323]*/, off, off offset:408
	ds_load_2addr_b64 v[28:31] /*v[284:287]*/, v7 offset0:105 offset1:106
	ds_load_2addr_b64 v[36:39] /*v[292:295]*/, v7 offset0:107 offset1:108
	;; [unrolled: 1-line block ×4, first 2 shown]
	s_clause 0x3
	scratch_load_b128 v[68:71] /*v[324:327]*/, off, off offset:424
	scratch_load_b128 v[72:75] /*v[328:331]*/, off, off offset:440
	;; [unrolled: 1-line block ×4, first 2 shown]
	s_mov_b32 s0, exec_lo
	s_wait_loadcnt_dscnt 0x1c18
	s_set_vgpr_msb 0                        ;  msbs: dst=0 src0=0 src1=0 src2=0
	v_dual_mul_f32 v9, v124, v129 :: v_dual_mul_f32 v11, v126, v131
	s_delay_alu instid0(VALU_DEP_1) | instskip(NEXT) | instid1(VALU_DEP_1)
	v_dual_fmac_f32 v9, v125, v128 :: v_dual_fmac_f32 v11, v127, v130
	v_add_f32_e32 v9, 0, v9
	s_wait_loadcnt_dscnt 0x1b17
	s_delay_alu instid0(VALU_DEP_1) | instskip(NEXT) | instid1(VALU_DEP_1)
	v_dual_add_f32 v9, v9, v11 :: v_dual_mul_f32 v11, v132, v137
	v_fmac_f32_e32 v11, v133, v136
	s_delay_alu instid0(VALU_DEP_1) | instskip(SKIP_1) | instid1(VALU_DEP_1)
	v_add_f32_e32 v9, v9, v11
	v_mul_f32_e32 v11, v134, v139
	v_fmac_f32_e32 v11, v135, v138
	s_wait_loadcnt_dscnt 0x1a16
	s_delay_alu instid0(VALU_DEP_1) | instskip(NEXT) | instid1(VALU_DEP_1)
	v_dual_add_f32 v9, v9, v11 :: v_dual_mul_f32 v11, v140, v145
	v_fmac_f32_e32 v11, v141, v144
	s_wait_loadcnt_dscnt 0x404
	s_set_vgpr_msb 0x45                     ;  msbs: dst=1 src0=1 src1=1 src2=0
	v_dual_mul_f32 v87 /*v343*/, v60 /*v316*/, v65 /*v321*/ :: v_dual_mul_f32 v89 /*v345*/, v62 /*v318*/, v67 /*v323*/
	s_set_vgpr_msb 0                        ;  msbs: dst=0 src0=0 src1=0 src2=0
	v_add_f32_e32 v9, v9, v11
	v_mul_f32_e32 v11, v142, v147
	s_set_vgpr_msb 0x45                     ;  msbs: dst=1 src0=1 src1=1 src2=0
	v_dual_fmac_f32 v87 /*v343*/, v61 /*v317*/, v64 /*v320*/ :: v_dual_fmac_f32 v89 /*v345*/, v63 /*v319*/, v66 /*v322*/
	s_set_vgpr_msb 0                        ;  msbs: dst=0 src0=0 src1=0 src2=0
	s_delay_alu instid0(VALU_DEP_2) | instskip(NEXT) | instid1(VALU_DEP_1)
	v_fmac_f32_e32 v11, v143, v146
	v_dual_add_f32 v9, v9, v11 :: v_dual_mul_f32 v11, v148, v153
	s_delay_alu instid0(VALU_DEP_1) | instskip(NEXT) | instid1(VALU_DEP_1)
	v_fmac_f32_e32 v11, v149, v152
	v_add_f32_e32 v9, v9, v11
	v_mul_f32_e32 v11, v150, v155
	s_delay_alu instid0(VALU_DEP_1) | instskip(NEXT) | instid1(VALU_DEP_1)
	v_fmac_f32_e32 v11, v151, v154
	v_dual_add_f32 v9, v9, v11 :: v_dual_mul_f32 v11, v156, v161
	s_delay_alu instid0(VALU_DEP_1) | instskip(NEXT) | instid1(VALU_DEP_1)
	v_fmac_f32_e32 v11, v157, v160
	v_add_f32_e32 v9, v9, v11
	v_mul_f32_e32 v11, v158, v163
	s_delay_alu instid0(VALU_DEP_1) | instskip(NEXT) | instid1(VALU_DEP_1)
	;; [unrolled: 7-line block ×13, first 2 shown]
	v_fmac_f32_e32 v11, v247, v250
	v_add_f32_e32 v9, v9, v11
	s_set_vgpr_msb 4                        ;  msbs: dst=0 src0=0 src1=1 src2=0
	v_mul_f32_e32 v11, v252, v1 /*v257*/
	s_delay_alu instid0(VALU_DEP_1) | instskip(SKIP_1) | instid1(VALU_DEP_1)
	v_fmac_f32_e32 v11, v253, v0 /*v256*/
	s_set_vgpr_msb 0                        ;  msbs: dst=0 src0=0 src1=0 src2=0
	v_add_f32_e32 v9, v9, v11
	s_set_vgpr_msb 4                        ;  msbs: dst=0 src0=0 src1=1 src2=0
	v_mul_f32_e32 v11, v254, v3 /*v259*/
	s_delay_alu instid0(VALU_DEP_1) | instskip(SKIP_1) | instid1(VALU_DEP_1)
	v_fmac_f32_e32 v11, v255, v2 /*v258*/
	s_set_vgpr_msb 0                        ;  msbs: dst=0 src0=0 src1=0 src2=0
	v_add_f32_e32 v9, v9, v11
	s_set_vgpr_msb 5                        ;  msbs: dst=0 src0=1 src1=1 src2=0
	v_mul_f32_e32 v11, v4 /*v260*/, v9 /*v265*/
	s_delay_alu instid0(VALU_DEP_1) | instskip(SKIP_1) | instid1(VALU_DEP_1)
	v_fmac_f32_e32 v11, v5 /*v261*/, v8 /*v264*/
	s_set_vgpr_msb 0                        ;  msbs: dst=0 src0=0 src1=0 src2=0
	v_add_f32_e32 v9, v9, v11
	s_set_vgpr_msb 5                        ;  msbs: dst=0 src0=1 src1=1 src2=0
	v_mul_f32_e32 v11, v6 /*v262*/, v11 /*v267*/
	s_delay_alu instid0(VALU_DEP_1) | instskip(SKIP_1) | instid1(VALU_DEP_1)
	v_fmac_f32_e32 v11, v7 /*v263*/, v10 /*v266*/
	;; [unrolled: 6-line block ×6, first 2 shown]
	s_set_vgpr_msb 0                        ;  msbs: dst=0 src0=0 src1=0 src2=0
	v_add_f32_e32 v9, v9, v11
	s_wait_dscnt 0x3
	s_set_vgpr_msb 5                        ;  msbs: dst=0 src0=1 src1=1 src2=0
	v_mul_f32_e32 v11, v28 /*v284*/, v33 /*v289*/
	s_delay_alu instid0(VALU_DEP_1) | instskip(SKIP_1) | instid1(VALU_DEP_1)
	v_fmac_f32_e32 v11, v29 /*v285*/, v32 /*v288*/
	s_set_vgpr_msb 0                        ;  msbs: dst=0 src0=0 src1=0 src2=0
	v_add_f32_e32 v9, v9, v11
	s_set_vgpr_msb 5                        ;  msbs: dst=0 src0=1 src1=1 src2=0
	v_mul_f32_e32 v11, v30 /*v286*/, v35 /*v291*/
	s_delay_alu instid0(VALU_DEP_1) | instskip(SKIP_1) | instid1(VALU_DEP_1)
	v_fmac_f32_e32 v11, v31 /*v287*/, v34 /*v290*/
	s_set_vgpr_msb 0                        ;  msbs: dst=0 src0=0 src1=0 src2=0
	v_add_f32_e32 v9, v9, v11
	s_wait_dscnt 0x2
	s_set_vgpr_msb 5                        ;  msbs: dst=0 src0=1 src1=1 src2=0
	v_mul_f32_e32 v11, v36 /*v292*/, v41 /*v297*/
	s_delay_alu instid0(VALU_DEP_1) | instskip(SKIP_1) | instid1(VALU_DEP_1)
	v_fmac_f32_e32 v11, v37 /*v293*/, v40 /*v296*/
	s_set_vgpr_msb 0                        ;  msbs: dst=0 src0=0 src1=0 src2=0
	v_add_f32_e32 v9, v9, v11
	s_set_vgpr_msb 5                        ;  msbs: dst=0 src0=1 src1=1 src2=0
	v_mul_f32_e32 v11, v38 /*v294*/, v43 /*v299*/
	s_delay_alu instid0(VALU_DEP_1) | instskip(SKIP_1) | instid1(VALU_DEP_1)
	v_fmac_f32_e32 v11, v39 /*v295*/, v42 /*v298*/
	;; [unrolled: 13-line block ×4, first 2 shown]
	s_set_vgpr_msb 64                       ;  msbs: dst=1 src0=0 src1=0 src2=0
	v_add_f32_e32 v85 /*v341*/, v9, v11
	s_set_vgpr_msb 0                        ;  msbs: dst=0 src0=0 src1=0 src2=0
	v_dual_mul_f32 v9, v125, v129 :: v_dual_mul_f32 v11, v127, v131
	s_delay_alu instid0(VALU_DEP_1) | instskip(NEXT) | instid1(VALU_DEP_1)
	v_dual_fma_f32 v9, v124, v128, -v9 :: v_dual_fma_f32 v11, v126, v130, -v11
	v_add_f32_e32 v9, 0, v9
	s_delay_alu instid0(VALU_DEP_1) | instskip(SKIP_1) | instid1(VALU_DEP_1)
	v_add_f32_e32 v9, v9, v11
	v_mul_f32_e32 v11, v133, v137
	v_fma_f32 v11, v132, v136, -v11
	s_delay_alu instid0(VALU_DEP_1) | instskip(SKIP_1) | instid1(VALU_DEP_1)
	v_add_f32_e32 v9, v9, v11
	v_mul_f32_e32 v11, v135, v139
	v_fma_f32 v11, v134, v138, -v11
	ds_load_2addr_b64 v[124:127], v7 offset0:115 offset1:116
	ds_load_2addr_b64 v[128:131], v7 offset0:117 offset1:118
	;; [unrolled: 1-line block ×4, first 2 shown]
	v_add_f32_e32 v9, v9, v11
	v_mul_f32_e32 v11, v141, v145
	s_delay_alu instid0(VALU_DEP_1) | instskip(NEXT) | instid1(VALU_DEP_1)
	v_fma_f32 v11, v140, v144, -v11
	v_add_f32_e32 v9, v9, v11
	v_mul_f32_e32 v11, v143, v147
	s_delay_alu instid0(VALU_DEP_1)
	v_fma_f32 v11, v142, v146, -v11
	s_wait_loadcnt_dscnt 0x303
	s_set_vgpr_msb 4                        ;  msbs: dst=0 src0=0 src1=1 src2=0
	v_pk_mul_f32 v[142:143], v[124:125], v[68:69] /*v[324:325]*/ op_sel:[1,1] op_sel_hi:[0,1]
	s_set_vgpr_msb 0                        ;  msbs: dst=0 src0=0 src1=0 src2=0
	v_add_f32_e32 v9, v9, v11
	v_mul_f32_e32 v11, v149, v153
	s_set_vgpr_msb 4                        ;  msbs: dst=0 src0=0 src1=1 src2=0
	v_pk_fma_f32 v[144:145], v[124:125], v[68:69] /*v[324:325]*/, v[142:143] neg_lo:[0,0,1] neg_hi:[0,0,1]
	v_pk_fma_f32 v[124:125], v[124:125], v[68:69] /*v[324:325]*/, v[142:143] op_sel_hi:[1,0,1]
	s_set_vgpr_msb 1                        ;  msbs: dst=0 src0=1 src1=0 src2=0
	v_mov_b32_e32 v142, v71 /*v327*/
	s_set_vgpr_msb 0                        ;  msbs: dst=0 src0=0 src1=0 src2=0
	s_delay_alu instid0(VALU_DEP_2) | instskip(NEXT) | instid1(VALU_DEP_1)
	v_dual_fma_f32 v11, v148, v152, -v11 :: v_dual_mov_b32 v145, v125
	v_add_f32_e32 v9, v9, v11
	v_mul_f32_e32 v11, v151, v155
	s_delay_alu instid0(VALU_DEP_1) | instskip(NEXT) | instid1(VALU_DEP_1)
	v_fma_f32 v11, v150, v154, -v11
	v_add_f32_e32 v9, v9, v11
	v_mul_f32_e32 v11, v157, v161
	s_delay_alu instid0(VALU_DEP_1) | instskip(NEXT) | instid1(VALU_DEP_1)
	v_fma_f32 v11, v156, v160, -v11
	;; [unrolled: 4-line block ×25, first 2 shown]
	v_add_f32_e32 v9, v9, v11
	s_set_vgpr_msb 4                        ;  msbs: dst=0 src0=0 src1=1 src2=0
	v_mul_f32_e32 v11, v253, v1 /*v257*/
	s_delay_alu instid0(VALU_DEP_1) | instskip(SKIP_1) | instid1(VALU_DEP_1)
	v_fma_f32 v11, v252, v0 /*v256*/, -v11
	s_set_vgpr_msb 0                        ;  msbs: dst=0 src0=0 src1=0 src2=0
	v_add_f32_e32 v9, v9, v11
	s_set_vgpr_msb 4                        ;  msbs: dst=0 src0=0 src1=1 src2=0
	v_mul_f32_e32 v11, v255, v3 /*v259*/
	s_delay_alu instid0(VALU_DEP_1) | instskip(SKIP_1) | instid1(VALU_DEP_1)
	v_fma_f32 v11, v254, v2 /*v258*/, -v11
	s_set_vgpr_msb 0                        ;  msbs: dst=0 src0=0 src1=0 src2=0
	v_add_f32_e32 v9, v9, v11
	s_set_vgpr_msb 5                        ;  msbs: dst=0 src0=1 src1=1 src2=0
	v_mul_f32_e32 v11, v5 /*v261*/, v9 /*v265*/
	s_delay_alu instid0(VALU_DEP_1) | instskip(SKIP_1) | instid1(VALU_DEP_1)
	v_fma_f32 v11, v4 /*v260*/, v8 /*v264*/, -v11
	s_set_vgpr_msb 0                        ;  msbs: dst=0 src0=0 src1=0 src2=0
	v_add_f32_e32 v9, v9, v11
	s_set_vgpr_msb 5                        ;  msbs: dst=0 src0=1 src1=1 src2=0
	v_mul_f32_e32 v11, v7 /*v263*/, v11 /*v267*/
	s_delay_alu instid0(VALU_DEP_1) | instskip(SKIP_1) | instid1(VALU_DEP_1)
	v_fma_f32 v11, v6 /*v262*/, v10 /*v266*/, -v11
	;; [unrolled: 6-line block ×14, first 2 shown]
	s_set_vgpr_msb 64                       ;  msbs: dst=1 src0=0 src1=0 src2=0
	v_add_f32_e32 v84 /*v340*/, v9, v11
	s_set_vgpr_msb 5                        ;  msbs: dst=0 src0=1 src1=1 src2=0
	v_mul_f32_e32 v9, v61 /*v317*/, v65 /*v321*/
	s_set_vgpr_msb 0x45                     ;  msbs: dst=1 src0=1 src1=1 src2=0
	s_delay_alu instid0(VALU_DEP_1) | instskip(SKIP_3) | instid1(VALU_DEP_1)
	v_fma_f32 v86 /*v342*/, v60 /*v316*/, v64 /*v320*/, -v9
	s_set_vgpr_msb 5                        ;  msbs: dst=0 src0=1 src1=1 src2=0
	v_mul_f32_e32 v9, v63 /*v319*/, v67 /*v323*/
	s_set_vgpr_msb 0x45                     ;  msbs: dst=1 src0=1 src1=1 src2=0
	v_fma_f32 v88 /*v344*/, v62 /*v318*/, v66 /*v322*/, -v9
	s_set_vgpr_msb 5                        ;  msbs: dst=0 src0=1 src1=1 src2=0
	v_pk_add_f32 v[140:141], v[84:85] /*v[340:341]*/, v[86:87] /*v[342:343]*/
	s_set_vgpr_msb 4                        ;  msbs: dst=0 src0=0 src1=1 src2=0
	s_delay_alu instid0(VALU_DEP_1) | instskip(SKIP_1) | instid1(VALU_DEP_1)
	v_pk_add_f32 v[140:141], v[140:141], v[88:89] /*v[344:345]*/
	s_set_vgpr_msb 0                        ;  msbs: dst=0 src0=0 src1=0 src2=0
	v_pk_add_f32 v[124:125], v[140:141], v[144:145]
	v_dual_mov_b32 v140, v127 :: v_dual_mov_b32 v141, v126
	s_delay_alu instid0(VALU_DEP_1) | instskip(SKIP_1) | instid1(VALU_DEP_1)
	v_pk_mul_f32 v[140:141], v[140:141], v[142:143] op_sel_hi:[1,0]
	s_set_vgpr_msb 4                        ;  msbs: dst=0 src0=0 src1=1 src2=0
	v_pk_fma_f32 v[142:143], v[126:127], v[70:71] /*v[326:327]*/, v[140:141] neg_lo:[0,0,1] neg_hi:[0,0,1]
	v_pk_fma_f32 v[126:127], v[126:127], v[70:71] /*v[326:327]*/, v[140:141] op_sel_hi:[1,0,1]
	s_delay_alu instid0(VALU_DEP_1) | instskip(SKIP_3) | instid1(VALU_DEP_2)
	v_mov_b32_e32 v143, v127
	s_wait_loadcnt_dscnt 0x202
	v_pk_mul_f32 v[126:127], v[128:129], v[72:73] /*v[328:329]*/ op_sel:[1,1] op_sel_hi:[0,1]
	s_set_vgpr_msb 0                        ;  msbs: dst=0 src0=0 src1=0 src2=0
	v_pk_add_f32 v[124:125], v[124:125], v[142:143]
	s_set_vgpr_msb 4                        ;  msbs: dst=0 src0=0 src1=1 src2=0
	s_delay_alu instid0(VALU_DEP_2)
	v_pk_fma_f32 v[140:141], v[128:129], v[72:73] /*v[328:329]*/, v[126:127] neg_lo:[0,0,1] neg_hi:[0,0,1]
	v_pk_fma_f32 v[126:127], v[128:129], v[72:73] /*v[328:329]*/, v[126:127] op_sel_hi:[1,0,1]
	v_mov_b32_e32 v126, v131
	s_set_vgpr_msb 1                        ;  msbs: dst=0 src0=1 src1=0 src2=0
	v_mov_b32_e32 v128, v75 /*v331*/
	s_set_vgpr_msb 0                        ;  msbs: dst=0 src0=0 src1=0 src2=0
	v_dual_mov_b32 v141, v127 :: v_dual_mov_b32 v127, v130
	s_delay_alu instid0(VALU_DEP_1) | instskip(NEXT) | instid1(VALU_DEP_2)
	v_pk_add_f32 v[124:125], v[124:125], v[140:141]
	v_pk_mul_f32 v[126:127], v[126:127], v[128:129] op_sel_hi:[1,0]
	s_set_vgpr_msb 4                        ;  msbs: dst=0 src0=0 src1=1 src2=0
	s_delay_alu instid0(VALU_DEP_1) | instskip(SKIP_1) | instid1(VALU_DEP_1)
	v_pk_fma_f32 v[128:129], v[130:131], v[74:75] /*v[330:331]*/, v[126:127] neg_lo:[0,0,1] neg_hi:[0,0,1]
	v_pk_fma_f32 v[126:127], v[130:131], v[74:75] /*v[330:331]*/, v[126:127] op_sel_hi:[1,0,1]
	v_mov_b32_e32 v129, v127
	s_wait_loadcnt_dscnt 0x101
	v_pk_mul_f32 v[126:127], v[132:133], v[76:77] /*v[332:333]*/ op_sel:[1,1] op_sel_hi:[0,1]
	s_set_vgpr_msb 0                        ;  msbs: dst=0 src0=0 src1=0 src2=0
	s_delay_alu instid0(VALU_DEP_2) | instskip(SKIP_1) | instid1(VALU_DEP_2)
	v_pk_add_f32 v[124:125], v[124:125], v[128:129]
	s_set_vgpr_msb 4                        ;  msbs: dst=0 src0=0 src1=1 src2=0
	v_pk_fma_f32 v[128:129], v[132:133], v[76:77] /*v[332:333]*/, v[126:127] neg_lo:[0,0,1] neg_hi:[0,0,1]
	v_pk_fma_f32 v[126:127], v[132:133], v[76:77] /*v[332:333]*/, v[126:127] op_sel_hi:[1,0,1]
	s_delay_alu instid0(VALU_DEP_1) | instskip(SKIP_2) | instid1(VALU_DEP_2)
	v_dual_mov_b32 v126, v135 :: v_dual_mov_b32 v129, v127
	v_mov_b32_e32 v127, v134
	s_set_vgpr_msb 0                        ;  msbs: dst=0 src0=0 src1=0 src2=0
	v_pk_add_f32 v[124:125], v[124:125], v[128:129]
	s_set_vgpr_msb 1                        ;  msbs: dst=0 src0=1 src1=0 src2=0
	v_mov_b32_e32 v128, v79 /*v335*/
	s_set_vgpr_msb 0                        ;  msbs: dst=0 src0=0 src1=0 src2=0
	s_delay_alu instid0(VALU_DEP_1) | instskip(SKIP_1) | instid1(VALU_DEP_1)
	v_pk_mul_f32 v[126:127], v[126:127], v[128:129] op_sel_hi:[1,0]
	s_set_vgpr_msb 4                        ;  msbs: dst=0 src0=0 src1=1 src2=0
	v_pk_fma_f32 v[128:129], v[134:135], v[78:79] /*v[334:335]*/, v[126:127] neg_lo:[0,0,1] neg_hi:[0,0,1]
	v_pk_fma_f32 v[126:127], v[134:135], v[78:79] /*v[334:335]*/, v[126:127] op_sel_hi:[1,0,1]
	s_delay_alu instid0(VALU_DEP_1) | instskip(SKIP_3) | instid1(VALU_DEP_2)
	v_mov_b32_e32 v129, v127
	s_wait_loadcnt_dscnt 0x0
	v_pk_mul_f32 v[126:127], v[136:137], v[80:81] /*v[336:337]*/ op_sel:[1,1] op_sel_hi:[0,1]
	s_set_vgpr_msb 0                        ;  msbs: dst=0 src0=0 src1=0 src2=0
	v_pk_add_f32 v[124:125], v[124:125], v[128:129]
	s_set_vgpr_msb 4                        ;  msbs: dst=0 src0=0 src1=1 src2=0
	s_delay_alu instid0(VALU_DEP_2) | instskip(SKIP_1) | instid1(VALU_DEP_1)
	v_pk_fma_f32 v[128:129], v[136:137], v[80:81] /*v[336:337]*/, v[126:127] neg_lo:[0,0,1] neg_hi:[0,0,1]
	v_pk_fma_f32 v[126:127], v[136:137], v[80:81] /*v[336:337]*/, v[126:127] op_sel_hi:[1,0,1]
	v_dual_mov_b32 v126, v139 :: v_dual_mov_b32 v129, v127
	v_mov_b32_e32 v127, v138
	s_set_vgpr_msb 0                        ;  msbs: dst=0 src0=0 src1=0 src2=0
	s_delay_alu instid0(VALU_DEP_2) | instskip(SKIP_3) | instid1(VALU_DEP_1)
	v_pk_add_f32 v[124:125], v[124:125], v[128:129]
	s_set_vgpr_msb 1                        ;  msbs: dst=0 src0=1 src1=0 src2=0
	v_mov_b32_e32 v128, v83 /*v339*/
	s_set_vgpr_msb 0                        ;  msbs: dst=0 src0=0 src1=0 src2=0
	v_pk_mul_f32 v[126:127], v[126:127], v[128:129] op_sel_hi:[1,0]
	s_set_vgpr_msb 4                        ;  msbs: dst=0 src0=0 src1=1 src2=0
	s_delay_alu instid0(VALU_DEP_1) | instskip(SKIP_1) | instid1(VALU_DEP_1)
	v_pk_fma_f32 v[128:129], v[138:139], v[82:83] /*v[338:339]*/, v[126:127] neg_lo:[0,0,1] neg_hi:[0,0,1]
	v_pk_fma_f32 v[126:127], v[138:139], v[82:83] /*v[338:339]*/, v[126:127] op_sel_hi:[1,0,1]
	v_mov_b32_e32 v129, v127
	scratch_load_b64 v[126:127], off, off offset:16
	s_set_vgpr_msb 0                        ;  msbs: dst=0 src0=0 src1=0 src2=0
	v_pk_add_f32 v[124:125], v[124:125], v[128:129]
	s_wait_loadcnt 0x0
	s_delay_alu instid0(VALU_DEP_1)
	v_pk_add_f32 v[124:125], v[126:127], v[124:125] neg_lo:[0,1] neg_hi:[0,1]
	scratch_store_b64 off, v[124:125], off offset:16
	s_wait_xcnt 0x0
	v_cmpx_lt_u32_e32 1, v0
	s_cbranch_execz .LBB124_377
; %bb.376:
	scratch_load_b64 v[124:125], off, off offset:8
	v_mov_b64_e32 v[126:127], 0
	scratch_store_b64 off, v[126:127], off offset:8
	s_wait_loadcnt 0x0
	ds_store_b64 v1, v[124:125]
.LBB124_377:
	s_wait_xcnt 0x0
	s_or_b32 exec_lo, exec_lo, s0
	s_wait_storecnt_dscnt 0x0
	s_barrier_signal -1
	s_barrier_wait -1
	s_clause 0x1f
	scratch_load_b128 v[126:129], off, off offset:16
	scratch_load_b128 v[130:133], off, off offset:32
	;; [unrolled: 1-line block ×29, first 2 shown]
	s_set_vgpr_msb 64                       ;  msbs: dst=1 src0=0 src1=0 src2=0
	scratch_load_b64 v[102:103] /*v[358:359]*/, off, off offset:480
	scratch_load_b64 v[104:105] /*v[360:361]*/, off, off offset:8
	s_set_vgpr_msb 0                        ;  msbs: dst=0 src0=0 src1=0 src2=0
	v_dual_mov_b32 v124, 0 :: v_dual_ashrrev_i32 v99, 31, v98
	ds_load_b128 v[242:245], v124 offset:512
	ds_load_b128 v[246:249], v124 offset:528
	;; [unrolled: 1-line block ×4, first 2 shown]
	s_set_vgpr_msb 64                       ;  msbs: dst=1 src0=0 src1=0 src2=0
	ds_load_b128 v[2:5] /*v[258:261]*/, v124 offset:576
	ds_load_b128 v[6:9] /*v[262:265]*/, v124 offset:592
	;; [unrolled: 1-line block ×25, first 2 shown]
	ds_load_b64 v[106:107] /*v[362:363]*/, v124 offset:976
	s_wait_dscnt 0x14
	s_set_vgpr_msb 0x41                     ;  msbs: dst=1 src0=1 src1=0 src2=0
	v_dual_mov_b32 v108 /*v364*/, v25 /*v281*/ :: v_dual_mov_b32 v109 /*v365*/, v24 /*v280*/
	s_wait_dscnt 0x11
	v_dual_mov_b32 v110 /*v366*/, v37 /*v293*/ :: v_dual_mov_b32 v111 /*v367*/, v36 /*v292*/
	s_wait_dscnt 0x10
	;; [unrolled: 2-line block ×3, first 2 shown]
	v_dual_mov_b32 v114 /*v370*/, v53 /*v309*/ :: v_dual_mov_b32 v115 /*v371*/, v52 /*v308*/
	s_set_vgpr_msb 0                        ;  msbs: dst=0 src0=0 src1=0 src2=0
	v_dual_ashrrev_i32 v7, 31, v6 :: v_dual_ashrrev_i32 v9, 31, v8
	v_dual_ashrrev_i32 v11, 31, v10 :: v_dual_ashrrev_i32 v13, 31, v12
	;; [unrolled: 1-line block ×23, first 2 shown]
	s_mov_b32 s0, exec_lo
	s_wait_loadcnt 0x1e
	v_dual_mul_f32 v101, v242, v127 :: v_dual_mul_f32 v103, v244, v129
	v_dual_mul_f32 v105, v243, v127 :: v_dual_mul_f32 v107, v245, v129
	s_wait_loadcnt 0x1d
	v_dual_mul_f32 v109, v246, v131 :: v_dual_mul_f32 v111, v248, v133
	s_delay_alu instid0(VALU_DEP_3) | instskip(NEXT) | instid1(VALU_DEP_3)
	v_dual_fmac_f32 v101, v243, v126 :: v_dual_fmac_f32 v103, v245, v128
	v_dual_fma_f32 v105, v242, v126, -v105 :: v_dual_fma_f32 v107, v244, v128, -v107
	v_dual_mul_f32 v117, v247, v131 :: v_dual_mul_f32 v119, v249, v133
	s_delay_alu instid0(VALU_DEP_3) | instskip(NEXT) | instid1(VALU_DEP_2)
	v_dual_add_f32 v101, 0, v101 :: v_dual_fmac_f32 v109, v247, v130
	v_dual_add_f32 v105, 0, v105 :: v_dual_fma_f32 v117, v246, v130, -v117
	s_wait_loadcnt 0x1c
	v_dual_mul_f32 v113, v250, v135 :: v_dual_mul_f32 v115, v252, v137
	s_delay_alu instid0(VALU_DEP_3) | instskip(NEXT) | instid1(VALU_DEP_3)
	v_add_f32_e32 v101, v101, v103
	v_add_f32_e32 v103, v105, v107
	v_dual_mul_f32 v121, v251, v135 :: v_dual_mul_f32 v123, v253, v137
	s_delay_alu instid0(VALU_DEP_4) | instskip(NEXT) | instid1(VALU_DEP_3)
	v_dual_fma_f32 v107, v248, v132, -v119 :: v_dual_fmac_f32 v113, v251, v134
	v_dual_fmac_f32 v111, v249, v132 :: v_dual_add_f32 v103, v103, v117
	s_delay_alu instid0(VALU_DEP_3) | instskip(SKIP_2) | instid1(VALU_DEP_3)
	v_dual_add_f32 v101, v101, v109 :: v_dual_fma_f32 v117, v250, v134, -v121
	s_wait_loadcnt 0x1b
	v_dual_mul_f32 v125, v254, v139 :: v_dual_mul_f32 v133, v255, v139
	v_dual_add_f32 v103, v103, v107 :: v_dual_fmac_f32 v115, v253, v136
	s_delay_alu instid0(VALU_DEP_3)
	v_dual_add_f32 v101, v101, v111 :: v_dual_fma_f32 v111, v252, v136, -v123
	s_set_vgpr_msb 1                        ;  msbs: dst=0 src0=1 src1=0 src2=0
	v_mul_f32_e32 v135, v1 /*v257*/, v141
	s_set_vgpr_msb 0                        ;  msbs: dst=0 src0=0 src1=0 src2=0
	v_dual_add_f32 v103, v103, v117 :: v_dual_fma_f32 v117, v254, v138, -v133
	v_dual_add_f32 v101, v101, v113 :: v_dual_fmac_f32 v125, v255, v138
	s_wait_loadcnt 0x1a
	s_set_vgpr_msb 1                        ;  msbs: dst=0 src0=1 src1=0 src2=0
	v_dual_mul_f32 v127, v0 /*v256*/, v141 :: v_dual_mul_f32 v129, v2 /*v258*/, v143
	s_set_vgpr_msb 0                        ;  msbs: dst=0 src0=0 src1=0 src2=0
	v_add_f32_e32 v103, v103, v111
	s_set_vgpr_msb 1                        ;  msbs: dst=0 src0=1 src1=0 src2=0
	v_dual_mul_f32 v131, v4 /*v260*/, v145 :: v_dual_mul_f32 v137, v3 /*v259*/, v143
	s_wait_loadcnt 0x19
	v_mul_f32_e32 v141, v6 /*v262*/, v147
	s_set_vgpr_msb 0                        ;  msbs: dst=0 src0=0 src1=0 src2=0
	v_dual_add_f32 v101, v101, v115 :: v_dual_add_f32 v103, v103, v117
	s_set_vgpr_msb 1                        ;  msbs: dst=0 src0=1 src1=0 src2=0
	v_dual_fma_f32 v115, v0 /*v256*/, v140, -v135 :: v_dual_fmac_f32 v129, v3 /*v259*/, v142
	v_dual_mul_f32 v139, v5 /*v261*/, v145 :: v_dual_mul_f32 v145, v7 /*v263*/, v147
	s_wait_loadcnt_dscnt 0x802
	v_dual_fmac_f32 v127, v1 /*v257*/, v140 :: v_dual_mul_f32 v117, v96 /*v352*/, v217
	s_set_vgpr_msb 0                        ;  msbs: dst=0 src0=0 src1=0 src2=0
	v_add_f32_e32 v101, v101, v125
	s_set_vgpr_msb 1                        ;  msbs: dst=0 src0=1 src1=0 src2=0
	v_dual_fma_f32 v119, v2 /*v258*/, v142, -v137 :: v_dual_fmac_f32 v131, v5 /*v261*/, v144
	s_set_vgpr_msb 0                        ;  msbs: dst=0 src0=0 src1=0 src2=0
	v_add_f32_e32 v103, v103, v115
	s_wait_loadcnt_dscnt 0x701
	s_set_vgpr_msb 1                        ;  msbs: dst=0 src0=1 src1=0 src2=0
	v_dual_mul_f32 v115, v98 /*v354*/, v219 :: v_dual_fma_f32 v121, v4 /*v260*/, v144, -v139
	v_dual_fmac_f32 v141, v7 /*v263*/, v146 :: v_dual_mul_f32 v143, v8 /*v264*/, v149
	v_mul_f32_e32 v147, v9 /*v265*/, v149
	s_set_vgpr_msb 0                        ;  msbs: dst=0 src0=0 src1=0 src2=0
	v_add_f32_e32 v103, v103, v119
	v_add_f32_e32 v101, v101, v127
	s_set_vgpr_msb 1                        ;  msbs: dst=0 src0=1 src1=0 src2=0
	v_dual_mul_f32 v149, v10 /*v266*/, v151 :: v_dual_mul_f32 v151, v11 /*v267*/, v151
	v_dual_mul_f32 v119, v100 /*v356*/, v221 :: v_dual_fma_f32 v123, v6 /*v262*/, v146, -v145
	s_set_vgpr_msb 0                        ;  msbs: dst=0 src0=0 src1=0 src2=0
	v_add_f32_e32 v103, v103, v121
	v_add_f32_e32 v101, v101, v129
	s_set_vgpr_msb 1                        ;  msbs: dst=0 src0=1 src1=0 src2=0
	v_dual_fma_f32 v125, v8 /*v264*/, v148, -v147 :: v_dual_fmac_f32 v149, v11 /*v267*/, v150
	s_set_vgpr_msb 0x41                     ;  msbs: dst=1 src0=1 src1=0 src2=0
	v_dual_mul_f32 v116 /*v372*/, v12 /*v268*/, v153 :: v_dual_mul_f32 v117 /*v373*/, v14 /*v270*/, v155
	s_set_vgpr_msb 0                        ;  msbs: dst=0 src0=0 src1=0 src2=0
	v_add_f32_e32 v103, v103, v123
	v_add_f32_e32 v101, v101, v131
	s_set_vgpr_msb 1                        ;  msbs: dst=0 src0=1 src1=0 src2=0
	v_dual_mul_f32 v153, v13 /*v269*/, v153 :: v_dual_mul_f32 v155, v15 /*v271*/, v155
	s_set_vgpr_msb 0x41                     ;  msbs: dst=1 src0=1 src1=0 src2=0
	v_dual_mul_f32 v120 /*v376*/, v28 /*v284*/, v161 :: v_dual_mul_f32 v121 /*v377*/, v30 /*v286*/, v163
	s_set_vgpr_msb 1                        ;  msbs: dst=0 src0=1 src1=0 src2=0
	v_dual_mul_f32 v161, v29 /*v285*/, v161 :: v_dual_mul_f32 v126, v86 /*v342*/, v207
	s_wait_loadcnt 0x6
	v_dual_mul_f32 v121, v18 /*v274*/, v223 :: v_dual_fmac_f32 v143, v9 /*v265*/, v148
	v_dual_mul_f32 v127, v20 /*v276*/, v225 :: v_dual_fma_f32 v123, v10 /*v266*/, v150, -v151
	s_set_vgpr_msb 0                        ;  msbs: dst=0 src0=0 src1=0 src2=0
	v_add_f32_e32 v103, v103, v125
	v_add_f32_e32 v101, v101, v141
	s_set_vgpr_msb 1                        ;  msbs: dst=0 src0=1 src1=0 src2=0
	v_dual_fma_f32 v125, v12 /*v268*/, v152, -v153 :: v_dual_fmac_f32 v126, v87 /*v343*/, v206
	s_set_vgpr_msb 0x41                     ;  msbs: dst=1 src0=1 src1=0 src2=0
	v_dual_mul_f32 v142 /*v398*/, v84 /*v340*/, v205 :: v_dual_fmac_f32 v116 /*v372*/, v13 /*v269*/, v152
	s_set_vgpr_msb 0                        ;  msbs: dst=0 src0=0 src1=0 src2=0
	v_add_f32_e32 v103, v103, v123
	v_add_f32_e32 v101, v101, v143
	s_set_vgpr_msb 0x41                     ;  msbs: dst=1 src0=1 src1=0 src2=0
	v_dual_mul_f32 v118 /*v374*/, v16 /*v272*/, v157 :: v_dual_mul_f32 v119 /*v375*/, v26 /*v282*/, v159
	v_fmac_f32_e32 v117 /*v373*/, v15 /*v271*/, v154
	s_set_vgpr_msb 0                        ;  msbs: dst=0 src0=0 src1=0 src2=0
	v_add_f32_e32 v103, v103, v125
	v_add_f32_e32 v101, v101, v149
	s_set_vgpr_msb 0x41                     ;  msbs: dst=1 src0=1 src1=0 src2=0
	v_dual_fmac_f32 v118 /*v374*/, v17 /*v273*/, v156 :: v_dual_fmac_f32 v119 /*v375*/, v27 /*v283*/, v158
	v_dual_fmac_f32 v120 /*v376*/, v29 /*v285*/, v160 :: v_dual_mul_f32 v122 /*v378*/, v32 /*v288*/, v165
	v_mul_f32_e32 v123 /*v379*/, v42 /*v298*/, v167
	s_set_vgpr_msb 4                        ;  msbs: dst=0 src0=0 src1=1 src2=0
	v_add_f32_e32 v101, v101, v116 /*v372*/
	s_set_vgpr_msb 0x41                     ;  msbs: dst=1 src0=1 src1=0 src2=0
	v_dual_fmac_f32 v121 /*v377*/, v31 /*v287*/, v162 :: v_dual_mul_f32 v124 /*v380*/, v44 /*v300*/, v169
	v_dual_mul_f32 v125 /*v381*/, v46 /*v302*/, v171 :: v_dual_fmac_f32 v122 /*v378*/, v33 /*v289*/, v164
	s_set_vgpr_msb 4                        ;  msbs: dst=0 src0=0 src1=1 src2=0
	v_add_f32_e32 v101, v101, v117 /*v373*/
	s_set_vgpr_msb 0x41                     ;  msbs: dst=1 src0=1 src1=0 src2=0
	v_dual_fmac_f32 v123 /*v379*/, v43 /*v299*/, v166 :: v_dual_fmac_f32 v124 /*v380*/, v45 /*v301*/, v168
	v_dual_mul_f32 v126 /*v382*/, v48 /*v304*/, v173 :: v_dual_mul_f32 v127 /*v383*/, v54 /*v310*/, v175
	s_set_vgpr_msb 4                        ;  msbs: dst=0 src0=0 src1=1 src2=0
	v_add_f32_e32 v101, v101, v118 /*v374*/
	s_set_vgpr_msb 0x41                     ;  msbs: dst=1 src0=1 src1=0 src2=0
	v_dual_fmac_f32 v125 /*v381*/, v47 /*v303*/, v170 :: v_dual_mul_f32 v128 /*v384*/, v56 /*v312*/, v177
	v_dual_mul_f32 v129 /*v385*/, v58 /*v314*/, v179 :: v_dual_fmac_f32 v126 /*v382*/, v49 /*v305*/, v172
	s_set_vgpr_msb 4                        ;  msbs: dst=0 src0=0 src1=1 src2=0
	v_add_f32_e32 v101, v101, v119 /*v375*/
	s_set_vgpr_msb 0x41                     ;  msbs: dst=1 src0=1 src1=0 src2=0
	v_dual_fmac_f32 v127 /*v383*/, v55 /*v311*/, v174 :: v_dual_fmac_f32 v128 /*v384*/, v57 /*v313*/, v176
	v_dual_mul_f32 v130 /*v386*/, v60 /*v316*/, v181 :: v_dual_mul_f32 v131 /*v387*/, v62 /*v318*/, v183
	s_set_vgpr_msb 4                        ;  msbs: dst=0 src0=0 src1=1 src2=0
	v_add_f32_e32 v101, v101, v120 /*v376*/
	s_set_vgpr_msb 0x41                     ;  msbs: dst=1 src0=1 src1=0 src2=0
	v_dual_fmac_f32 v129 /*v385*/, v59 /*v315*/, v178 :: v_dual_mul_f32 v132 /*v388*/, v64 /*v320*/, v185
	v_dual_mul_f32 v133 /*v389*/, v66 /*v322*/, v187 :: v_dual_fmac_f32 v130 /*v386*/, v61 /*v317*/, v180
	s_set_vgpr_msb 4                        ;  msbs: dst=0 src0=0 src1=1 src2=0
	v_add_f32_e32 v101, v101, v121 /*v377*/
	s_set_vgpr_msb 0x41                     ;  msbs: dst=1 src0=1 src1=0 src2=0
	v_dual_fmac_f32 v131 /*v387*/, v63 /*v319*/, v182 :: v_dual_fmac_f32 v132 /*v388*/, v65 /*v321*/, v184
	v_dual_mul_f32 v134 /*v390*/, v68 /*v324*/, v189 :: v_dual_mul_f32 v135 /*v391*/, v70 /*v326*/, v191
	s_set_vgpr_msb 4                        ;  msbs: dst=0 src0=0 src1=1 src2=0
	v_add_f32_e32 v101, v101, v122 /*v378*/
	s_set_vgpr_msb 0x41                     ;  msbs: dst=1 src0=1 src1=0 src2=0
	v_dual_fmac_f32 v133 /*v389*/, v67 /*v323*/, v186 :: v_dual_mul_f32 v136 /*v392*/, v72 /*v328*/, v193
	v_dual_mul_f32 v137 /*v393*/, v74 /*v330*/, v195 :: v_dual_fmac_f32 v134 /*v390*/, v69 /*v325*/, v188
	s_set_vgpr_msb 4                        ;  msbs: dst=0 src0=0 src1=1 src2=0
	v_add_f32_e32 v101, v101, v123 /*v379*/
	s_set_vgpr_msb 0x41                     ;  msbs: dst=1 src0=1 src1=0 src2=0
	v_dual_fmac_f32 v135 /*v391*/, v71 /*v327*/, v190 :: v_dual_fmac_f32 v136 /*v392*/, v73 /*v329*/, v192
	v_dual_mul_f32 v138 /*v394*/, v76 /*v332*/, v197 :: v_dual_mul_f32 v139 /*v395*/, v78 /*v334*/, v199
	s_set_vgpr_msb 4                        ;  msbs: dst=0 src0=0 src1=1 src2=0
	v_add_f32_e32 v101, v101, v124 /*v380*/
	s_set_vgpr_msb 0x41                     ;  msbs: dst=1 src0=1 src1=0 src2=0
	v_dual_fmac_f32 v137 /*v393*/, v75 /*v331*/, v194 :: v_dual_mul_f32 v140 /*v396*/, v80 /*v336*/, v201
	v_dual_mul_f32 v141 /*v397*/, v82 /*v338*/, v203 :: v_dual_fmac_f32 v138 /*v394*/, v77 /*v333*/, v196
	s_set_vgpr_msb 4                        ;  msbs: dst=0 src0=0 src1=1 src2=0
	v_add_f32_e32 v101, v101, v125 /*v381*/
	s_set_vgpr_msb 0x41                     ;  msbs: dst=1 src0=1 src1=0 src2=0
	v_dual_fmac_f32 v139 /*v395*/, v79 /*v335*/, v198 :: v_dual_fmac_f32 v140 /*v396*/, v81 /*v337*/, v200
	v_dual_fmac_f32 v141 /*v397*/, v83 /*v339*/, v202 :: v_dual_fmac_f32 v142 /*v398*/, v85 /*v341*/, v204
	s_set_vgpr_msb 4                        ;  msbs: dst=0 src0=0 src1=1 src2=0
	v_add_f32_e32 v101, v101, v126 /*v382*/
	s_set_vgpr_msb 1                        ;  msbs: dst=0 src0=1 src1=0 src2=0
	v_dual_mul_f32 v157, v17 /*v273*/, v157 :: v_dual_mul_f32 v159, v27 /*v283*/, v159
	v_dual_mul_f32 v128, v88 /*v344*/, v209 :: v_dual_mul_f32 v105, v90 /*v346*/, v211
	s_set_vgpr_msb 4                        ;  msbs: dst=0 src0=0 src1=1 src2=0
	v_add_f32_e32 v101, v101, v127 /*v383*/
	s_set_vgpr_msb 1                        ;  msbs: dst=0 src0=1 src1=0 src2=0
	v_dual_mul_f32 v123, v43 /*v299*/, v167 :: v_dual_fma_f32 v130, v14 /*v270*/, v154, -v155
	v_fma_f32 v131, v16 /*v272*/, v156, -v157
	v_fmac_f32_e32 v128, v89 /*v345*/, v208
	s_set_vgpr_msb 4                        ;  msbs: dst=0 src0=0 src1=1 src2=0
	v_add_f32_e32 v101, v101, v128 /*v384*/
	s_set_vgpr_msb 1                        ;  msbs: dst=0 src0=1 src1=0 src2=0
	v_dual_mul_f32 v109, v92 /*v348*/, v213 :: v_dual_mul_f32 v107, v94 /*v350*/, v215
	v_fma_f32 v132, v26 /*v282*/, v158, -v159
	v_fmac_f32_e32 v105, v91 /*v347*/, v210
	s_set_vgpr_msb 4                        ;  msbs: dst=0 src0=0 src1=1 src2=0
	v_add_f32_e32 v101, v101, v129 /*v385*/
	s_set_vgpr_msb 1                        ;  msbs: dst=0 src0=1 src1=0 src2=0
	v_dual_mul_f32 v113, v31 /*v287*/, v163 :: v_dual_mul_f32 v111, v33 /*v289*/, v165
	v_fma_f32 v133, v28 /*v284*/, v160, -v161
	v_fmac_f32_e32 v109, v93 /*v349*/, v212
	s_set_vgpr_msb 4                        ;  msbs: dst=0 src0=0 src1=1 src2=0
	v_add_f32_e32 v101, v101, v130 /*v386*/
	s_set_vgpr_msb 1                        ;  msbs: dst=0 src0=1 src1=0 src2=0
	v_dual_fma_f32 v113, v30 /*v286*/, v162, -v113 :: v_dual_fma_f32 v111, v32 /*v288*/, v164, -v111
	v_dual_fmac_f32 v107, v95 /*v351*/, v214 :: v_dual_fmac_f32 v117, v97 /*v353*/, v216
	s_set_vgpr_msb 4                        ;  msbs: dst=0 src0=0 src1=1 src2=0
	v_add_f32_e32 v101, v101, v131 /*v387*/
	s_wait_loadcnt 0x5
	s_set_vgpr_msb 1                        ;  msbs: dst=0 src0=1 src1=0 src2=0
	v_dual_mul_f32 v129, v22 /*v278*/, v227 :: v_dual_mul_f32 v125, v45 /*v301*/, v169
	v_fma_f32 v123, v42 /*v298*/, v166, -v123
	v_fmac_f32_e32 v115, v99 /*v355*/, v218
	s_set_vgpr_msb 4                        ;  msbs: dst=0 src0=0 src1=1 src2=0
	v_add_f32_e32 v101, v101, v132 /*v388*/
	s_set_vgpr_msb 1                        ;  msbs: dst=0 src0=1 src1=0 src2=0
	v_dual_fmac_f32 v119, v101 /*v357*/, v220 :: v_dual_fmac_f32 v121, v19 /*v275*/, v222
	v_fma_f32 v125, v44 /*v300*/, v168, -v125
	s_wait_loadcnt 0x3
	s_set_vgpr_msb 4                        ;  msbs: dst=0 src0=0 src1=1 src2=0
	v_mov_b32_e32 v140, v237
	v_add_f32_e32 v101, v101, v133 /*v389*/
	s_set_vgpr_msb 1                        ;  msbs: dst=0 src0=1 src1=0 src2=0
	v_mul_f32_e32 v134, v99 /*v355*/, v219
	s_delay_alu instid0(VALU_DEP_3) | instskip(SKIP_2) | instid1(VALU_DEP_1)
	v_pk_mul_f32 v[140:141], v[112:113] /*v[368:369]*/, v[140:141] op_sel_hi:[1,0]
	s_set_vgpr_msb 4                        ;  msbs: dst=0 src0=0 src1=1 src2=0
	v_add_f32_e32 v101, v101, v134 /*v390*/
	v_add_f32_e32 v101, v101, v135 /*v391*/
	s_delay_alu instid0(VALU_DEP_1) | instskip(NEXT) | instid1(VALU_DEP_1)
	v_add_f32_e32 v101, v101, v136 /*v392*/
	v_add_f32_e32 v101, v101, v137 /*v393*/
	s_delay_alu instid0(VALU_DEP_1) | instskip(NEXT) | instid1(VALU_DEP_1)
	;; [unrolled: 3-line block ×3, first 2 shown]
	v_add_f32_e32 v101, v101, v140 /*v396*/
	v_add_f32_e32 v101, v101, v141 /*v397*/
	s_delay_alu instid0(VALU_DEP_1) | instskip(SKIP_1) | instid1(VALU_DEP_1)
	v_add_f32_e32 v101, v101, v142 /*v398*/
	s_set_vgpr_msb 0                        ;  msbs: dst=0 src0=0 src1=0 src2=0
	v_add_f32_e32 v101, v101, v126
	s_set_vgpr_msb 1                        ;  msbs: dst=0 src0=1 src1=0 src2=0
	v_mul_f32_e32 v126, v19 /*v275*/, v223
	s_set_vgpr_msb 0                        ;  msbs: dst=0 src0=0 src1=0 src2=0
	v_add_f32_e32 v103, v103, v130
	s_set_vgpr_msb 1                        ;  msbs: dst=0 src0=1 src1=0 src2=0
	v_mul_f32_e32 v130, v47 /*v303*/, v171
	s_set_vgpr_msb 0                        ;  msbs: dst=0 src0=0 src1=0 src2=0
	v_add_f32_e32 v101, v101, v128
	v_dual_mov_b32 v128, v229 :: v_dual_add_f32 v103, v103, v131
	s_set_vgpr_msb 1                        ;  msbs: dst=0 src0=1 src1=0 src2=0
	v_dual_mul_f32 v131, v49 /*v305*/, v173 :: v_dual_fma_f32 v130, v46 /*v302*/, v170, -v130
	s_set_vgpr_msb 0                        ;  msbs: dst=0 src0=0 src1=0 src2=0
	v_add_f32_e32 v101, v101, v105
	s_set_vgpr_msb 1                        ;  msbs: dst=0 src0=1 src1=0 src2=0
	v_mul_f32_e32 v105, v23 /*v279*/, v227
	s_set_vgpr_msb 0                        ;  msbs: dst=0 src0=0 src1=0 src2=0
	v_add_f32_e32 v103, v103, v132
	s_set_vgpr_msb 1                        ;  msbs: dst=0 src0=1 src1=0 src2=0
	v_dual_mul_f32 v132, v55 /*v311*/, v175 :: v_dual_fma_f32 v131, v48 /*v304*/, v172, -v131
	s_set_vgpr_msb 0                        ;  msbs: dst=0 src0=0 src1=0 src2=0
	v_add_f32_e32 v101, v101, v109
	s_set_vgpr_msb 1                        ;  msbs: dst=0 src0=1 src1=0 src2=0
	v_pk_mul_f32 v[136:137], v[108:109] /*v[364:365]*/, v[128:129] op_sel_hi:[1,0]
	s_set_vgpr_msb 0                        ;  msbs: dst=0 src0=0 src1=0 src2=0
	v_add_f32_e32 v103, v103, v133
	s_set_vgpr_msb 1                        ;  msbs: dst=0 src0=1 src1=0 src2=0
	v_dual_mul_f32 v133, v57 /*v313*/, v177 :: v_dual_fma_f32 v132, v54 /*v310*/, v174, -v132
	s_set_vgpr_msb 0                        ;  msbs: dst=0 src0=0 src1=0 src2=0
	v_add_f32_e32 v101, v101, v107
	s_set_vgpr_msb 1                        ;  msbs: dst=0 src0=1 src1=0 src2=0
	v_fma_f32 v128, v22 /*v278*/, v226, -v105
	s_set_vgpr_msb 0                        ;  msbs: dst=0 src0=0 src1=0 src2=0
	v_add_f32_e32 v103, v103, v113
	s_set_vgpr_msb 1                        ;  msbs: dst=0 src0=1 src1=0 src2=0
	v_dual_mul_f32 v113, v59 /*v315*/, v179 :: v_dual_fma_f32 v133, v56 /*v312*/, v176, -v133
	s_set_vgpr_msb 0                        ;  msbs: dst=0 src0=0 src1=0 src2=0
	v_dual_add_f32 v101, v101, v117 :: v_dual_ashrrev_i32 v105, 31, v104
	v_add_f32_e32 v103, v103, v111
	s_set_vgpr_msb 1                        ;  msbs: dst=0 src0=1 src1=0 src2=0
	v_dual_mul_f32 v111, v61 /*v317*/, v181 :: v_dual_fma_f32 v113, v58 /*v314*/, v178, -v113
	s_set_vgpr_msb 0                        ;  msbs: dst=0 src0=0 src1=0 src2=0
	v_add_f32_e32 v101, v101, v115
	s_set_vgpr_msb 1                        ;  msbs: dst=0 src0=1 src1=0 src2=0
	v_fmac_f32_e32 v129, v23 /*v279*/, v226
	s_set_vgpr_msb 0                        ;  msbs: dst=0 src0=0 src1=0 src2=0
	v_add_f32_e32 v103, v103, v123
	s_set_vgpr_msb 1                        ;  msbs: dst=0 src0=1 src1=0 src2=0
	v_dual_mul_f32 v123, v63 /*v319*/, v183 :: v_dual_fma_f32 v111, v60 /*v316*/, v180, -v111
	s_set_vgpr_msb 0                        ;  msbs: dst=0 src0=0 src1=0 src2=0
	v_add_f32_e32 v101, v101, v119
	s_set_vgpr_msb 1                        ;  msbs: dst=0 src0=1 src1=0 src2=0
	v_pk_fma_f32 v[142:143], v[24:25] /*v[280:281]*/, v[228:229], v[136:137] op_sel_hi:[1,0,1]
	s_set_vgpr_msb 0                        ;  msbs: dst=0 src0=0 src1=0 src2=0
	v_add_f32_e32 v103, v103, v125
	s_set_vgpr_msb 1                        ;  msbs: dst=0 src0=1 src1=0 src2=0
	v_dual_mul_f32 v125, v65 /*v321*/, v185 :: v_dual_fma_f32 v123, v62 /*v318*/, v182, -v123
	s_set_vgpr_msb 0                        ;  msbs: dst=0 src0=0 src1=0 src2=0
	v_dual_add_f32 v139, v101, v121 :: v_dual_ashrrev_i32 v101, 31, v100
	v_add_f32_e32 v103, v103, v130
	s_set_vgpr_msb 1                        ;  msbs: dst=0 src0=1 src1=0 src2=0
	v_dual_mul_f32 v130, v67 /*v323*/, v187 :: v_dual_fma_f32 v125, v64 /*v320*/, v184, -v125
	v_pk_fma_f32 v[136:137], v[24:25] /*v[280:281]*/, v[228:229], v[136:137] neg_lo:[0,0,1] neg_hi:[0,0,1]
	s_set_vgpr_msb 0                        ;  msbs: dst=0 src0=0 src1=0 src2=0
	v_mov_b32_e32 v137, v143
	v_add_f32_e32 v103, v103, v131
	s_set_vgpr_msb 1                        ;  msbs: dst=0 src0=1 src1=0 src2=0
	v_dual_mul_f32 v131, v69 /*v325*/, v189 :: v_dual_fma_f32 v130, v66 /*v322*/, v186, -v130
	v_fma_f32 v107, v98 /*v354*/, v218, -v134
	s_set_vgpr_msb 0                        ;  msbs: dst=0 src0=0 src1=0 src2=0
	v_dual_ashrrev_i32 v115, 31, v114 :: v_dual_add_f32 v103, v103, v132
	s_set_vgpr_msb 1                        ;  msbs: dst=0 src0=1 src1=0 src2=0
	v_dual_mul_f32 v132, v71 /*v327*/, v191 :: v_dual_fma_f32 v131, v68 /*v324*/, v188, -v131
	v_dual_ashrrev_i32 v117, 31, v116 :: v_dual_ashrrev_i32 v119, 31, v118
	s_set_vgpr_msb 0                        ;  msbs: dst=0 src0=0 src1=0 src2=0
	v_add_f32_e32 v103, v103, v133
	s_set_vgpr_msb 1                        ;  msbs: dst=0 src0=1 src1=0 src2=0
	v_dual_mul_f32 v133, v73 /*v329*/, v193 :: v_dual_fma_f32 v132, v70 /*v326*/, v190, -v132
	s_set_vgpr_msb 0                        ;  msbs: dst=0 src0=0 src1=0 src2=0
	s_delay_alu instid0(VALU_DEP_2) | instskip(SKIP_1) | instid1(VALU_DEP_2)
	v_dual_ashrrev_i32 v121, 31, v120 :: v_dual_add_f32 v103, v103, v113
	s_set_vgpr_msb 1                        ;  msbs: dst=0 src0=1 src1=0 src2=0
	v_dual_mul_f32 v113, v75 /*v331*/, v195 :: v_dual_fma_f32 v133, v72 /*v328*/, v192, -v133
	s_set_vgpr_msb 0                        ;  msbs: dst=0 src0=0 src1=0 src2=0
	s_delay_alu instid0(VALU_DEP_2) | instskip(SKIP_1) | instid1(VALU_DEP_2)
	v_add_f32_e32 v103, v103, v111
	s_set_vgpr_msb 1                        ;  msbs: dst=0 src0=1 src1=0 src2=0
	v_dual_mul_f32 v111, v77 /*v333*/, v197 :: v_dual_fma_f32 v113, v74 /*v330*/, v194, -v113
	s_set_vgpr_msb 0                        ;  msbs: dst=0 src0=0 src1=0 src2=0
	s_delay_alu instid0(VALU_DEP_2) | instskip(SKIP_1) | instid1(VALU_DEP_2)
	v_add_f32_e32 v103, v103, v123
	;; [unrolled: 5-line block ×6, first 2 shown]
	s_set_vgpr_msb 1                        ;  msbs: dst=0 src0=1 src1=0 src2=0
	v_dual_mul_f32 v132, v87 /*v343*/, v207 :: v_dual_fma_f32 v131, v84 /*v340*/, v204, -v131
	s_set_vgpr_msb 0                        ;  msbs: dst=0 src0=0 src1=0 src2=0
	s_delay_alu instid0(VALU_DEP_2)
	v_add_f32_e32 v103, v103, v133
	s_set_vgpr_msb 1                        ;  msbs: dst=0 src0=1 src1=0 src2=0
	v_mul_f32_e32 v133, v89 /*v345*/, v209
	v_mul_f32_e32 v135, v101 /*v357*/, v221
	s_set_vgpr_msb 0                        ;  msbs: dst=0 src0=0 src1=0 src2=0
	v_add_f32_e32 v103, v103, v113
	s_set_vgpr_msb 1                        ;  msbs: dst=0 src0=1 src1=0 src2=0
	v_mul_f32_e32 v113, v91 /*v347*/, v211
	s_set_vgpr_msb 0                        ;  msbs: dst=0 src0=0 src1=0 src2=0
	s_delay_alu instid0(VALU_DEP_2) | instskip(SKIP_1) | instid1(VALU_DEP_2)
	v_add_f32_e32 v103, v103, v111
	s_set_vgpr_msb 1                        ;  msbs: dst=0 src0=1 src1=0 src2=0
	v_dual_mul_f32 v111, v93 /*v349*/, v213 :: v_dual_fma_f32 v113, v90 /*v346*/, v210, -v113
	s_set_vgpr_msb 0                        ;  msbs: dst=0 src0=0 src1=0 src2=0
	s_delay_alu instid0(VALU_DEP_2) | instskip(SKIP_1) | instid1(VALU_DEP_2)
	v_add_f32_e32 v103, v103, v123
	s_set_vgpr_msb 1                        ;  msbs: dst=0 src0=1 src1=0 src2=0
	v_dual_mul_f32 v123, v95 /*v351*/, v215 :: v_dual_fma_f32 v111, v92 /*v348*/, v212, -v111
	s_set_vgpr_msb 0                        ;  msbs: dst=0 src0=0 src1=0 src2=0
	s_delay_alu instid0(VALU_DEP_2) | instskip(SKIP_3) | instid1(VALU_DEP_2)
	v_add_f32_e32 v103, v103, v125
	s_set_vgpr_msb 1                        ;  msbs: dst=0 src0=1 src1=0 src2=0
	v_mul_f32_e32 v125, v97 /*v353*/, v217
	s_set_vgpr_msb 0                        ;  msbs: dst=0 src0=0 src1=0 src2=0
	v_add_f32_e32 v103, v103, v130
	s_set_vgpr_msb 1                        ;  msbs: dst=0 src0=1 src1=0 src2=0
	s_delay_alu instid0(VALU_DEP_2) | instskip(SKIP_1) | instid1(VALU_DEP_2)
	v_dual_fma_f32 v130, v86 /*v342*/, v206, -v132 :: v_dual_fma_f32 v109, v96 /*v352*/, v216, -v125
	s_set_vgpr_msb 0                        ;  msbs: dst=0 src0=0 src1=0 src2=0
	v_dual_mov_b32 v132, v233 :: v_dual_add_f32 v103, v103, v131
	s_set_vgpr_msb 1                        ;  msbs: dst=0 src0=1 src1=0 src2=0
	v_dual_fma_f32 v131, v88 /*v344*/, v208, -v133 :: v_dual_mul_f32 v133, v21 /*v277*/, v225
	v_fmac_f32_e32 v127, v21 /*v277*/, v224
	s_set_vgpr_msb 0                        ;  msbs: dst=0 src0=0 src1=0 src2=0
	v_add_f32_e32 v103, v103, v130
	s_delay_alu instid0(VALU_DEP_1) | instskip(SKIP_3) | instid1(VALU_DEP_2)
	v_add_f32_e32 v103, v103, v131
	s_set_vgpr_msb 1                        ;  msbs: dst=0 src0=1 src1=0 src2=0
	v_pk_mul_f32 v[130:131], v[34:35] /*v[290:291]*/, v[230:231] op_sel:[1,1] op_sel_hi:[0,1]
	s_set_vgpr_msb 0                        ;  msbs: dst=0 src0=0 src1=0 src2=0
	v_add_f32_e32 v103, v103, v113
	s_set_vgpr_msb 1                        ;  msbs: dst=0 src0=1 src1=0 src2=0
	v_fma_f32 v113, v94 /*v350*/, v214, -v123
	s_set_vgpr_msb 0                        ;  msbs: dst=0 src0=0 src1=0 src2=0
	s_delay_alu instid0(VALU_DEP_2) | instskip(NEXT) | instid1(VALU_DEP_1)
	v_dual_ashrrev_i32 v123, 31, v122 :: v_dual_add_f32 v103, v103, v111
	v_dual_ashrrev_i32 v111, 31, v110 :: v_dual_add_f32 v103, v103, v113
	s_delay_alu instid0(VALU_DEP_1)
	v_dual_ashrrev_i32 v113, 31, v112 :: v_dual_add_f32 v103, v103, v109
	s_set_vgpr_msb 1                        ;  msbs: dst=0 src0=1 src1=0 src2=0
	v_fma_f32 v109, v100 /*v356*/, v220, -v135
	v_pk_mul_f32 v[134:135], v[38:39] /*v[294:295]*/, v[234:235] op_sel:[1,1] op_sel_hi:[0,1]
	s_set_vgpr_msb 0                        ;  msbs: dst=0 src0=0 src1=0 src2=0
	v_add_f32_e32 v103, v103, v107
	s_set_vgpr_msb 1                        ;  msbs: dst=0 src0=1 src1=0 src2=0
	v_dual_fma_f32 v107, v18 /*v274*/, v222, -v126 :: v_dual_fma_f32 v126, v20 /*v276*/, v224, -v133
	v_pk_mul_f32 v[132:133], v[110:111] /*v[366:367]*/, v[132:133] op_sel_hi:[1,0]
	s_set_vgpr_msb 0                        ;  msbs: dst=0 src0=0 src1=0 src2=0
	v_dual_add_f32 v103, v103, v109 :: v_dual_ashrrev_i32 v109, 31, v108
	s_delay_alu instid0(VALU_DEP_1) | instskip(SKIP_1) | instid1(VALU_DEP_2)
	v_dual_add_f32 v138, v103, v107 :: v_dual_ashrrev_i32 v103, 31, v102
	v_ashrrev_i32_e32 v107, 31, v106
	v_pk_add_f32 v[126:127], v[138:139], v[126:127]
	s_set_vgpr_msb 1                        ;  msbs: dst=0 src0=1 src1=0 src2=0
	v_pk_fma_f32 v[138:139], v[34:35] /*v[290:291]*/, v[230:231], v[130:131] op_sel_hi:[1,0,1]
	v_pk_fma_f32 v[130:131], v[34:35] /*v[290:291]*/, v[230:231], v[130:131] neg_lo:[0,0,1] neg_hi:[0,0,1]
	s_set_vgpr_msb 0                        ;  msbs: dst=0 src0=0 src1=0 src2=0
	v_pk_add_f32 v[126:127], v[126:127], v[128:129]
	s_delay_alu instid0(VALU_DEP_3)
	v_mov_b32_e32 v131, v139
	s_set_vgpr_msb 1                        ;  msbs: dst=0 src0=1 src1=0 src2=0
	v_pk_fma_f32 v[138:139], v[36:37] /*v[292:293]*/, v[232:233], v[132:133] op_sel_hi:[1,0,1]
	v_pk_fma_f32 v[132:133], v[36:37] /*v[292:293]*/, v[232:233], v[132:133] neg_lo:[0,0,1] neg_hi:[0,0,1]
	s_wait_loadcnt 0x2
	v_pk_mul_f32 v[128:129], v[50:51] /*v[306:307]*/, v[238:239] op_sel:[1,1] op_sel_hi:[0,1]
	s_set_vgpr_msb 0                        ;  msbs: dst=0 src0=0 src1=0 src2=0
	v_pk_add_f32 v[126:127], v[126:127], v[136:137]
	s_set_vgpr_msb 1                        ;  msbs: dst=0 src0=1 src1=0 src2=0
	v_pk_fma_f32 v[136:137], v[38:39] /*v[294:295]*/, v[234:235], v[134:135] op_sel_hi:[1,0,1]
	s_set_vgpr_msb 0                        ;  msbs: dst=0 src0=0 src1=0 src2=0
	v_mov_b32_e32 v133, v139
	s_set_vgpr_msb 1                        ;  msbs: dst=0 src0=1 src1=0 src2=0
	v_pk_fma_f32 v[134:135], v[38:39] /*v[294:295]*/, v[234:235], v[134:135] neg_lo:[0,0,1] neg_hi:[0,0,1]
	v_pk_fma_f32 v[138:139], v[40:41] /*v[296:297]*/, v[236:237], v[140:141] neg_lo:[0,0,1] neg_hi:[0,0,1]
	s_set_vgpr_msb 0                        ;  msbs: dst=0 src0=0 src1=0 src2=0
	v_pk_add_f32 v[126:127], v[126:127], v[130:131]
	v_dual_mov_b32 v130, v241 :: v_dual_mov_b32 v135, v137
	s_set_vgpr_msb 1                        ;  msbs: dst=0 src0=1 src1=0 src2=0
	v_pk_fma_f32 v[136:137], v[40:41] /*v[296:297]*/, v[236:237], v[140:141] op_sel_hi:[1,0,1]
	s_set_vgpr_msb 0                        ;  msbs: dst=0 src0=0 src1=0 src2=0
	v_pk_add_f32 v[126:127], v[126:127], v[132:133]
	s_set_vgpr_msb 1                        ;  msbs: dst=0 src0=1 src1=0 src2=0
	v_pk_fma_f32 v[132:133], v[50:51] /*v[306:307]*/, v[238:239], v[128:129] op_sel_hi:[1,0,1]
	v_pk_mul_f32 v[130:131], v[114:115] /*v[370:371]*/, v[130:131] op_sel_hi:[1,0]
	s_set_vgpr_msb 0                        ;  msbs: dst=0 src0=0 src1=0 src2=0
	v_mov_b32_e32 v139, v137
	s_set_vgpr_msb 1                        ;  msbs: dst=0 src0=1 src1=0 src2=0
	v_pk_fma_f32 v[128:129], v[50:51] /*v[306:307]*/, v[238:239], v[128:129] neg_lo:[0,0,1] neg_hi:[0,0,1]
	s_set_vgpr_msb 0                        ;  msbs: dst=0 src0=0 src1=0 src2=0
	v_pk_add_f32 v[126:127], v[126:127], v[134:135]
	v_mov_b32_e32 v129, v133
	s_set_vgpr_msb 1                        ;  msbs: dst=0 src0=1 src1=0 src2=0
	v_pk_fma_f32 v[132:133], v[52:53] /*v[308:309]*/, v[240:241], v[130:131] op_sel_hi:[1,0,1]
	s_wait_loadcnt_dscnt 0x100
	s_set_vgpr_msb 5                        ;  msbs: dst=0 src0=1 src1=1 src2=0
	v_pk_mul_f32 v[134:135], v[106:107] /*v[362:363]*/, v[102:103] /*v[358:359]*/ op_sel:[1,1] op_sel_hi:[0,1]
	s_set_vgpr_msb 1                        ;  msbs: dst=0 src0=1 src1=0 src2=0
	v_pk_fma_f32 v[130:131], v[52:53] /*v[308:309]*/, v[240:241], v[130:131] neg_lo:[0,0,1] neg_hi:[0,0,1]
	s_set_vgpr_msb 0                        ;  msbs: dst=0 src0=0 src1=0 src2=0
	v_pk_add_f32 v[126:127], v[126:127], v[138:139]
	v_mov_b32_e32 v131, v133
	s_set_vgpr_msb 5                        ;  msbs: dst=0 src0=1 src1=1 src2=0
	v_pk_fma_f32 v[132:133], v[106:107] /*v[362:363]*/, v[102:103] /*v[358:359]*/, v[134:135] neg_lo:[0,0,1] neg_hi:[0,0,1]
	s_set_vgpr_msb 0                        ;  msbs: dst=0 src0=0 src1=0 src2=0
	v_pk_add_f32 v[126:127], v[126:127], v[128:129]
	s_set_vgpr_msb 5                        ;  msbs: dst=0 src0=1 src1=1 src2=0
	v_pk_fma_f32 v[128:129], v[106:107] /*v[362:363]*/, v[102:103] /*v[358:359]*/, v[134:135] op_sel_hi:[1,0,1]
	s_set_vgpr_msb 0                        ;  msbs: dst=0 src0=0 src1=0 src2=0
	s_delay_alu instid0(VALU_DEP_2) | instskip(NEXT) | instid1(VALU_DEP_2)
	v_pk_add_f32 v[126:127], v[126:127], v[130:131]
	v_mov_b32_e32 v133, v129
	s_delay_alu instid0(VALU_DEP_1) | instskip(SKIP_2) | instid1(VALU_DEP_1)
	v_pk_add_f32 v[126:127], v[126:127], v[132:133]
	s_wait_loadcnt 0x0
	s_set_vgpr_msb 1                        ;  msbs: dst=0 src0=1 src1=0 src2=0
	v_pk_add_f32 v[126:127], v[104:105] /*v[360:361]*/, v[126:127] neg_lo:[0,1] neg_hi:[0,1]
	scratch_store_b64 off, v[126:127], off offset:8
	s_wait_xcnt 0x0
	v_cmpx_ne_u32_e32 0, v0
	s_set_vgpr_msb 0                        ;  msbs: dst=0 src0=0 src1=0 src2=0
	s_cbranch_execz .LBB124_379
; %bb.378:
	scratch_load_b64 v[126:127], off, off
	v_mov_b64_e32 v[128:129], 0
	scratch_store_b64 off, v[128:129], off
	s_wait_loadcnt 0x0
	ds_store_b64 v1, v[126:127]
.LBB124_379:
	s_wait_xcnt 0x0
	s_or_b32 exec_lo, exec_lo, s0
	s_wait_storecnt_dscnt 0x0
	s_barrier_signal -1
	s_barrier_wait -1
	s_clause 0x19
	scratch_load_b128 v[126:129], off, off offset:8
	scratch_load_b128 v[130:133], off, off offset:24
	;; [unrolled: 1-line block ×26, first 2 shown]
	ds_load_2addr_b64 v[230:233], v124 offset0:63 offset1:64
	ds_load_2addr_b64 v[234:237], v124 offset0:65 offset1:66
	;; [unrolled: 1-line block ×7, first 2 shown]
	s_set_vgpr_msb 64                       ;  msbs: dst=1 src0=0 src1=0 src2=0
	ds_load_2addr_b64 v[2:5] /*v[258:261]*/, v124 offset0:77 offset1:78
	scratch_load_b128 v[6:9] /*v[262:265]*/, off, off offset:424
	ds_load_2addr_b64 v[10:13] /*v[266:269]*/, v124 offset0:79 offset1:80
	ds_load_2addr_b64 v[14:17] /*v[270:273]*/, v124 offset0:81 offset1:82
	;; [unrolled: 1-line block ×7, first 2 shown]
	scratch_load_b128 v[38:41] /*v[294:297]*/, off, off offset:440
	ds_load_2addr_b64 v[42:45] /*v[298:301]*/, v124 offset0:117 offset1:118
	ds_load_2addr_b64 v[46:49] /*v[302:305]*/, v124 offset0:119 offset1:120
	;; [unrolled: 1-line block ×11, first 2 shown]
	scratch_load_b128 v[86:89] /*v[342:345]*/, off, off offset:456
	ds_load_2addr_b64 v[90:93] /*v[346:349]*/, v124 offset0:107 offset1:108
	ds_load_2addr_b64 v[94:97] /*v[350:353]*/, v124 offset0:109 offset1:110
	;; [unrolled: 1-line block ×4, first 2 shown]
	s_clause 0x2
	scratch_load_b128 v[106:109] /*v[362:365]*/, off, off offset:472
	s_set_vgpr_msb 0                        ;  msbs: dst=0 src0=0 src1=0 src2=0
	scratch_load_b64 v[0:1], off, off
	s_and_b32 vcc_lo, exec_lo, s12
	s_wait_dscnt 0xe
	s_set_vgpr_msb 0x41                     ;  msbs: dst=1 src0=1 src1=0 src2=0
	v_dual_mov_b32 v110 /*v366*/, v45 /*v301*/ :: v_dual_mov_b32 v111 /*v367*/, v44 /*v300*/
	s_wait_dscnt 0xd
	v_dual_mov_b32 v112 /*v368*/, v49 /*v305*/ :: v_dual_mov_b32 v113 /*v369*/, v48 /*v304*/
	s_wait_dscnt 0xa
	v_dual_mov_b32 v114 /*v370*/, v61 /*v317*/ :: v_dual_mov_b32 v115 /*v371*/, v60 /*v316*/
	s_set_vgpr_msb 1                        ;  msbs: dst=0 src0=1 src1=0 src2=0
	v_dual_mov_b32 v124, v37 /*v293*/ :: v_dual_mov_b32 v125, v36 /*v292*/
	s_wait_loadcnt 0x1e
	s_set_vgpr_msb 64                       ;  msbs: dst=1 src0=0 src1=0 src2=0
	v_dual_mul_f32 v116 /*v372*/, v230, v127 :: v_dual_mul_f32 v118 /*v374*/, v232, v129
	s_set_vgpr_msb 0                        ;  msbs: dst=0 src0=0 src1=0 src2=0
	v_dual_mul_f32 v127, v231, v127 :: v_dual_mul_f32 v129, v233, v129
	s_wait_loadcnt 0x1b
	s_set_vgpr_msb 64                       ;  msbs: dst=1 src0=0 src1=0 src2=0
	v_dual_mul_f32 v124 /*v380*/, v242, v139 :: v_dual_mul_f32 v125 /*v381*/, v244, v141
	s_wait_loadcnt 0x18
	v_dual_mul_f32 v130 /*v386*/, v254, v151 :: v_dual_fmac_f32 v116 /*v372*/, v231, v126
	s_set_vgpr_msb 0                        ;  msbs: dst=0 src0=0 src1=0 src2=0
	v_dual_mul_f32 v139, v243, v139 :: v_dual_fma_f32 v126, v230, v126, -v127
	s_set_vgpr_msb 64                       ;  msbs: dst=1 src0=0 src1=0 src2=0
	v_dual_mul_f32 v120 /*v376*/, v234, v131 :: v_dual_mul_f32 v121 /*v377*/, v236, v133
	s_set_vgpr_msb 0                        ;  msbs: dst=0 src0=0 src1=0 src2=0
	v_dual_mul_f32 v131, v235, v131 :: v_dual_mul_f32 v133, v237, v133
	v_mul_f32_e32 v127, v245, v141
	s_set_vgpr_msb 64                       ;  msbs: dst=1 src0=0 src1=0 src2=0
	v_dual_fmac_f32 v118 /*v374*/, v233, v128 :: v_dual_fmac_f32 v120 /*v376*/, v235, v130
	s_set_vgpr_msb 0                        ;  msbs: dst=0 src0=0 src1=0 src2=0
	v_dual_fma_f32 v128, v232, v128, -v129 :: v_dual_add_f32 v126, 0, v126
	v_dual_mul_f32 v141, v247, v143 :: v_dual_fma_f32 v130, v234, v130, -v131
	s_set_vgpr_msb 64                       ;  msbs: dst=1 src0=0 src1=0 src2=0
	v_dual_mul_f32 v122 /*v378*/, v238, v135 :: v_dual_mul_f32 v123 /*v379*/, v240, v137
	s_set_vgpr_msb 0                        ;  msbs: dst=0 src0=0 src1=0 src2=0
	v_dual_add_f32 v126, v126, v128 :: v_dual_mul_f32 v135, v239, v135
	v_mul_f32_e32 v137, v241, v137
	v_dual_mul_f32 v128, v249, v145 :: v_dual_fma_f32 v131, v236, v132, -v133
	s_delay_alu instid0(VALU_DEP_3)
	v_add_f32_e32 v126, v126, v130
	s_set_vgpr_msb 64                       ;  msbs: dst=1 src0=0 src1=0 src2=0
	v_dual_fmac_f32 v121 /*v377*/, v237, v132 :: v_dual_fmac_f32 v122 /*v378*/, v239, v134
	s_set_vgpr_msb 0                        ;  msbs: dst=0 src0=0 src1=0 src2=0
	v_dual_fma_f32 v132, v238, v134, -v135 :: v_dual_fma_f32 v133, v240, v136, -v137
	v_dual_add_f32 v126, v126, v131 :: v_dual_mul_f32 v131, v253, v149
	v_dual_fma_f32 v134, v242, v138, -v139 :: v_dual_fma_f32 v128, v248, v144, -v128
	v_fma_f32 v127, v244, v140, -v127
	s_delay_alu instid0(VALU_DEP_3) | instskip(NEXT) | instid1(VALU_DEP_4)
	v_dual_add_f32 v126, v126, v132 :: v_dual_mul_f32 v132, v255, v151
	v_dual_fma_f32 v135, v246, v142, -v141 :: v_dual_fma_f32 v131, v252, v148, -v131
	s_delay_alu instid0(VALU_DEP_2)
	v_dual_mul_f32 v130, v251, v147 :: v_dual_add_f32 v126, v126, v133
	s_set_vgpr_msb 1                        ;  msbs: dst=0 src0=1 src1=0 src2=0
	v_mul_f32_e32 v133, v1 /*v257*/, v153
	s_set_vgpr_msb 0                        ;  msbs: dst=0 src0=0 src1=0 src2=0
	v_fma_f32 v132, v254, v150, -v132
	s_wait_loadcnt_dscnt 0xa05
	s_set_vgpr_msb 0x41                     ;  msbs: dst=1 src0=1 src1=0 src2=0
	v_dual_mul_f32 v157 /*v413*/, v76 /*v332*/, v205 :: v_dual_mul_f32 v158 /*v414*/, v78 /*v334*/, v207
	s_set_vgpr_msb 0                        ;  msbs: dst=0 src0=0 src1=0 src2=0
	v_add_f32_e32 v126, v126, v134
	v_fma_f32 v130, v250, v146, -v130
	s_set_vgpr_msb 1                        ;  msbs: dst=0 src0=1 src1=0 src2=0
	v_mul_f32_e32 v134, v3 /*v259*/, v155
	s_wait_loadcnt_dscnt 0x904
	s_set_vgpr_msb 0x41                     ;  msbs: dst=1 src0=1 src1=0 src2=0
	v_dual_mul_f32 v159 /*v415*/, v80 /*v336*/, v209 :: v_dual_mul_f32 v160 /*v416*/, v82 /*v338*/, v211
	s_set_vgpr_msb 0                        ;  msbs: dst=0 src0=0 src1=0 src2=0
	v_add_f32_e32 v126, v126, v127
	s_set_vgpr_msb 1                        ;  msbs: dst=0 src0=1 src1=0 src2=0
	v_mul_f32_e32 v127, v5 /*v261*/, v157
	s_wait_loadcnt_dscnt 0x803
	s_set_vgpr_msb 0x41                     ;  msbs: dst=1 src0=1 src1=0 src2=0
	v_dual_mul_f32 v161 /*v417*/, v84 /*v340*/, v213 :: v_dual_mul_f32 v162 /*v418*/, v90 /*v346*/, v215
	s_set_vgpr_msb 64                       ;  msbs: dst=1 src0=0 src1=0 src2=0
	v_dual_fmac_f32 v123 /*v379*/, v241, v136 :: v_dual_fmac_f32 v124 /*v380*/, v243, v138
	s_set_vgpr_msb 0                        ;  msbs: dst=0 src0=0 src1=0 src2=0
	v_add_f32_e32 v126, v126, v135
	s_set_vgpr_msb 1                        ;  msbs: dst=0 src0=1 src1=0 src2=0
	v_mul_f32_e32 v135, v11 /*v267*/, v159
	s_set_vgpr_msb 0x41                     ;  msbs: dst=1 src0=1 src1=0 src2=0
	v_dual_fmac_f32 v158 /*v414*/, v79 /*v335*/, v206 :: v_dual_fmac_f32 v159 /*v415*/, v81 /*v337*/, v208
	s_set_vgpr_msb 1                        ;  msbs: dst=0 src0=1 src1=0 src2=0
	v_fma_f32 v133, v0 /*v256*/, v152, -v133
	s_set_vgpr_msb 0                        ;  msbs: dst=0 src0=0 src1=0 src2=0
	v_add_f32_e32 v126, v126, v128
	s_set_vgpr_msb 1                        ;  msbs: dst=0 src0=1 src1=0 src2=0
	v_mul_f32_e32 v128, v13 /*v269*/, v161
	s_set_vgpr_msb 4                        ;  msbs: dst=0 src0=0 src1=1 src2=0
	v_add_f32_e32 v129, 0, v116 /*v372*/
	s_set_vgpr_msb 1                        ;  msbs: dst=0 src0=1 src1=0 src2=0
	v_fma_f32 v134, v2 /*v258*/, v154, -v134
	s_set_vgpr_msb 0x41                     ;  msbs: dst=1 src0=1 src1=0 src2=0
	v_dual_fmac_f32 v160 /*v416*/, v83 /*v339*/, v210 :: v_dual_fmac_f32 v161 /*v417*/, v85 /*v341*/, v212
	s_set_vgpr_msb 0                        ;  msbs: dst=0 src0=0 src1=0 src2=0
	v_add_f32_e32 v126, v126, v130
	s_set_vgpr_msb 1                        ;  msbs: dst=0 src0=1 src1=0 src2=0
	v_dual_mul_f32 v130, v15 /*v271*/, v163 :: v_dual_fma_f32 v127, v4 /*v260*/, v156, -v127
	s_set_vgpr_msb 4                        ;  msbs: dst=0 src0=0 src1=1 src2=0
	v_add_f32_e32 v129, v129, v118 /*v374*/
	s_wait_loadcnt_dscnt 0x702
	s_set_vgpr_msb 0x41                     ;  msbs: dst=1 src0=1 src1=0 src2=0
	v_dual_mul_f32 v163 /*v419*/, v92 /*v348*/, v217 :: v_dual_mul_f32 v164 /*v420*/, v94 /*v350*/, v219
	s_set_vgpr_msb 0                        ;  msbs: dst=0 src0=0 src1=0 src2=0
	v_add_f32_e32 v126, v126, v131
	s_set_vgpr_msb 1                        ;  msbs: dst=0 src0=1 src1=0 src2=0
	v_dual_mul_f32 v131, v17 /*v273*/, v165 :: v_dual_fma_f32 v135, v10 /*v266*/, v158, -v135
	s_set_vgpr_msb 4                        ;  msbs: dst=0 src0=0 src1=1 src2=0
	v_add_f32_e32 v129, v129, v120 /*v376*/
	s_set_vgpr_msb 0x41                     ;  msbs: dst=1 src0=1 src1=0 src2=0
	v_dual_fmac_f32 v162 /*v418*/, v91 /*v347*/, v214 :: v_dual_fmac_f32 v163 /*v419*/, v93 /*v349*/, v216
	s_set_vgpr_msb 0                        ;  msbs: dst=0 src0=0 src1=0 src2=0
	v_add_f32_e32 v126, v126, v132
	s_set_vgpr_msb 1                        ;  msbs: dst=0 src0=1 src1=0 src2=0
	v_dual_mul_f32 v132, v19 /*v275*/, v167 :: v_dual_fma_f32 v128, v12 /*v268*/, v160, -v128
	s_set_vgpr_msb 4                        ;  msbs: dst=0 src0=0 src1=1 src2=0
	v_add_f32_e32 v129, v129, v121 /*v377*/
	s_set_vgpr_msb 64                       ;  msbs: dst=1 src0=0 src1=0 src2=0
	v_dual_mul_f32 v126 /*v382*/, v246, v143 :: v_dual_mul_f32 v127 /*v383*/, v248, v145
	s_set_vgpr_msb 0                        ;  msbs: dst=0 src0=0 src1=0 src2=0
	v_add_f32_e32 v126, v126, v133
	s_set_vgpr_msb 1                        ;  msbs: dst=0 src0=1 src1=0 src2=0
	v_dual_mul_f32 v133, v21 /*v277*/, v169 :: v_dual_fma_f32 v130, v14 /*v270*/, v162, -v130
	s_set_vgpr_msb 4                        ;  msbs: dst=0 src0=0 src1=1 src2=0
	v_add_f32_e32 v129, v129, v122 /*v378*/
	s_set_vgpr_msb 1                        ;  msbs: dst=0 src0=1 src1=0 src2=0
	v_fma_f32 v131, v16 /*v272*/, v164, -v131
	s_set_vgpr_msb 0                        ;  msbs: dst=0 src0=0 src1=0 src2=0
	v_add_f32_e32 v126, v126, v134
	s_set_vgpr_msb 1                        ;  msbs: dst=0 src0=1 src1=0 src2=0
	v_mul_f32_e32 v134, v23 /*v279*/, v171
	s_set_vgpr_msb 64                       ;  msbs: dst=1 src0=0 src1=0 src2=0
	v_dual_fmac_f32 v125 /*v381*/, v245, v140 :: v_dual_fmac_f32 v126 /*v382*/, v247, v142
	s_set_vgpr_msb 1                        ;  msbs: dst=0 src0=1 src1=0 src2=0
	v_fma_f32 v132, v18 /*v274*/, v166, -v132
	s_set_vgpr_msb 0                        ;  msbs: dst=0 src0=0 src1=0 src2=0
	v_add_f32_e32 v126, v126, v127
	s_set_vgpr_msb 1                        ;  msbs: dst=0 src0=1 src1=0 src2=0
	v_mul_f32_e32 v127, v25 /*v281*/, v173
	s_set_vgpr_msb 64                       ;  msbs: dst=1 src0=0 src1=0 src2=0
	v_dual_mul_f32 v128 /*v384*/, v250, v147 :: v_dual_mul_f32 v129 /*v385*/, v252, v149
	s_set_vgpr_msb 1                        ;  msbs: dst=0 src0=1 src1=0 src2=0
	v_fma_f32 v133, v20 /*v276*/, v168, -v133
	s_set_vgpr_msb 0                        ;  msbs: dst=0 src0=0 src1=0 src2=0
	v_add_f32_e32 v126, v126, v135
	s_set_vgpr_msb 1                        ;  msbs: dst=0 src0=1 src1=0 src2=0
	v_mul_f32_e32 v135, v27 /*v283*/, v175
	s_set_vgpr_msb 64                       ;  msbs: dst=1 src0=0 src1=0 src2=0
	v_dual_fmac_f32 v127 /*v383*/, v249, v144 :: v_dual_fmac_f32 v128 /*v384*/, v251, v146
	s_set_vgpr_msb 1                        ;  msbs: dst=0 src0=1 src1=0 src2=0
	v_fma_f32 v134, v22 /*v278*/, v170, -v134
	s_set_vgpr_msb 0                        ;  msbs: dst=0 src0=0 src1=0 src2=0
	v_add_f32_e32 v126, v126, v128
	s_set_vgpr_msb 1                        ;  msbs: dst=0 src0=1 src1=0 src2=0
	v_mul_f32_e32 v128, v29 /*v285*/, v177
	s_set_vgpr_msb 64                       ;  msbs: dst=1 src0=0 src1=0 src2=0
	v_dual_fmac_f32 v129 /*v385*/, v253, v148 :: v_dual_fmac_f32 v130 /*v386*/, v255, v150
	s_set_vgpr_msb 1                        ;  msbs: dst=0 src0=1 src1=0 src2=0
	v_fma_f32 v127, v24 /*v280*/, v172, -v127
	s_set_vgpr_msb 0                        ;  msbs: dst=0 src0=0 src1=0 src2=0
	v_add_f32_e32 v126, v126, v130
	s_set_vgpr_msb 1                        ;  msbs: dst=0 src0=1 src1=0 src2=0
	v_mul_f32_e32 v130, v31 /*v287*/, v179
	s_set_vgpr_msb 0x41                     ;  msbs: dst=1 src0=1 src1=0 src2=0
	v_dual_mul_f32 v131 /*v387*/, v0 /*v256*/, v153 :: v_dual_mul_f32 v132 /*v388*/, v2 /*v258*/, v155
	s_set_vgpr_msb 1                        ;  msbs: dst=0 src0=1 src1=0 src2=0
	v_fma_f32 v135, v26 /*v282*/, v174, -v135
	s_set_vgpr_msb 0                        ;  msbs: dst=0 src0=0 src1=0 src2=0
	v_add_f32_e32 v126, v126, v131
	s_set_vgpr_msb 1                        ;  msbs: dst=0 src0=1 src1=0 src2=0
	v_mul_f32_e32 v131, v33 /*v289*/, v181
	s_wait_loadcnt_dscnt 0x500
	s_set_vgpr_msb 0x41                     ;  msbs: dst=1 src0=1 src1=0 src2=0
	v_dual_mul_f32 v119 /*v375*/, v104 /*v360*/, v229 :: v_dual_fmac_f32 v131 /*v387*/, v1 /*v257*/, v152
	s_set_vgpr_msb 1                        ;  msbs: dst=0 src0=1 src1=0 src2=0
	v_fma_f32 v128, v28 /*v284*/, v176, -v128
	s_set_vgpr_msb 0                        ;  msbs: dst=0 src0=0 src1=0 src2=0
	v_add_f32_e32 v126, v126, v132
	s_set_vgpr_msb 1                        ;  msbs: dst=0 src0=1 src1=0 src2=0
	v_mul_f32_e32 v132, v51 /*v307*/, v183
	s_set_vgpr_msb 0x41                     ;  msbs: dst=1 src0=1 src1=0 src2=0
	v_dual_mul_f32 v133 /*v389*/, v4 /*v260*/, v157 :: v_dual_mul_f32 v134 /*v390*/, v10 /*v266*/, v159
	s_set_vgpr_msb 1                        ;  msbs: dst=0 src0=1 src1=0 src2=0
	v_fma_f32 v130, v30 /*v286*/, v178, -v130
	s_set_vgpr_msb 0                        ;  msbs: dst=0 src0=0 src1=0 src2=0
	v_add_f32_e32 v126, v126, v133
	s_set_vgpr_msb 1                        ;  msbs: dst=0 src0=1 src1=0 src2=0
	v_mul_f32_e32 v133, v53 /*v309*/, v185
	s_set_vgpr_msb 0x41                     ;  msbs: dst=1 src0=1 src1=0 src2=0
	v_dual_fmac_f32 v132 /*v388*/, v3 /*v259*/, v154 :: v_dual_fmac_f32 v133 /*v389*/, v5 /*v261*/, v156
	s_set_vgpr_msb 1                        ;  msbs: dst=0 src0=1 src1=0 src2=0
	v_fma_f32 v131, v32 /*v288*/, v180, -v131
	s_set_vgpr_msb 0                        ;  msbs: dst=0 src0=0 src1=0 src2=0
	v_add_f32_e32 v126, v126, v134
	s_set_vgpr_msb 1                        ;  msbs: dst=0 src0=1 src1=0 src2=0
	v_mul_f32_e32 v134, v55 /*v311*/, v187
	s_set_vgpr_msb 0x41                     ;  msbs: dst=1 src0=1 src1=0 src2=0
	v_dual_mul_f32 v135 /*v391*/, v12 /*v268*/, v161 :: v_dual_mul_f32 v136 /*v392*/, v14 /*v270*/, v163
	s_set_vgpr_msb 1                        ;  msbs: dst=0 src0=1 src1=0 src2=0
	v_fma_f32 v132, v50 /*v306*/, v182, -v132
	s_set_vgpr_msb 0                        ;  msbs: dst=0 src0=0 src1=0 src2=0
	v_add_f32_e32 v126, v126, v127
	s_set_vgpr_msb 1                        ;  msbs: dst=0 src0=1 src1=0 src2=0
	v_mul_f32_e32 v127, v57 /*v313*/, v189
	s_set_vgpr_msb 0x41                     ;  msbs: dst=1 src0=1 src1=0 src2=0
	v_dual_fmac_f32 v134 /*v390*/, v11 /*v267*/, v158 :: v_dual_fmac_f32 v135 /*v391*/, v13 /*v269*/, v160
	s_set_vgpr_msb 1                        ;  msbs: dst=0 src0=1 src1=0 src2=0
	v_fma_f32 v133, v52 /*v308*/, v184, -v133
	s_set_vgpr_msb 0                        ;  msbs: dst=0 src0=0 src1=0 src2=0
	v_add_f32_e32 v126, v126, v135
	s_set_vgpr_msb 1                        ;  msbs: dst=0 src0=1 src1=0 src2=0
	v_mul_f32_e32 v135, v63 /*v319*/, v191
	s_set_vgpr_msb 0x41                     ;  msbs: dst=1 src0=1 src1=0 src2=0
	v_dual_mul_f32 v137 /*v393*/, v16 /*v272*/, v165 :: v_dual_mul_f32 v138 /*v394*/, v18 /*v274*/, v167
	s_set_vgpr_msb 1                        ;  msbs: dst=0 src0=1 src1=0 src2=0
	v_fma_f32 v134, v54 /*v310*/, v186, -v134
	s_set_vgpr_msb 0                        ;  msbs: dst=0 src0=0 src1=0 src2=0
	v_add_f32_e32 v126, v126, v128
	s_set_vgpr_msb 1                        ;  msbs: dst=0 src0=1 src1=0 src2=0
	v_mul_f32_e32 v128, v65 /*v321*/, v193
	s_set_vgpr_msb 0x41                     ;  msbs: dst=1 src0=1 src1=0 src2=0
	v_dual_fmac_f32 v136 /*v392*/, v15 /*v271*/, v162 :: v_dual_fmac_f32 v137 /*v393*/, v17 /*v273*/, v164
	s_set_vgpr_msb 1                        ;  msbs: dst=0 src0=1 src1=0 src2=0
	v_fma_f32 v127, v56 /*v312*/, v188, -v127
	s_set_vgpr_msb 0                        ;  msbs: dst=0 src0=0 src1=0 src2=0
	v_add_f32_e32 v126, v126, v130
	s_set_vgpr_msb 1                        ;  msbs: dst=0 src0=1 src1=0 src2=0
	v_mul_f32_e32 v130, v67 /*v323*/, v195
	s_set_vgpr_msb 0x41                     ;  msbs: dst=1 src0=1 src1=0 src2=0
	v_dual_mul_f32 v139 /*v395*/, v20 /*v276*/, v169 :: v_dual_mul_f32 v140 /*v396*/, v22 /*v278*/, v171
	s_set_vgpr_msb 1                        ;  msbs: dst=0 src0=1 src1=0 src2=0
	v_fma_f32 v135, v62 /*v318*/, v190, -v135
	s_set_vgpr_msb 0                        ;  msbs: dst=0 src0=0 src1=0 src2=0
	v_add_f32_e32 v126, v126, v131
	s_set_vgpr_msb 1                        ;  msbs: dst=0 src0=1 src1=0 src2=0
	v_mul_f32_e32 v131, v69 /*v325*/, v197
	s_set_vgpr_msb 0x41                     ;  msbs: dst=1 src0=1 src1=0 src2=0
	v_dual_fmac_f32 v138 /*v394*/, v19 /*v275*/, v166 :: v_dual_fmac_f32 v139 /*v395*/, v21 /*v277*/, v168
	s_set_vgpr_msb 1                        ;  msbs: dst=0 src0=1 src1=0 src2=0
	v_fma_f32 v128, v64 /*v320*/, v192, -v128
	s_set_vgpr_msb 0                        ;  msbs: dst=0 src0=0 src1=0 src2=0
	v_add_f32_e32 v126, v126, v132
	s_set_vgpr_msb 1                        ;  msbs: dst=0 src0=1 src1=0 src2=0
	v_mul_f32_e32 v132, v71 /*v327*/, v199
	s_set_vgpr_msb 0x41                     ;  msbs: dst=1 src0=1 src1=0 src2=0
	v_dual_mul_f32 v141 /*v397*/, v24 /*v280*/, v173 :: v_dual_mul_f32 v142 /*v398*/, v26 /*v282*/, v175
	s_set_vgpr_msb 1                        ;  msbs: dst=0 src0=1 src1=0 src2=0
	v_fma_f32 v130, v66 /*v322*/, v194, -v130
	s_set_vgpr_msb 0                        ;  msbs: dst=0 src0=0 src1=0 src2=0
	v_add_f32_e32 v126, v126, v133
	s_set_vgpr_msb 1                        ;  msbs: dst=0 src0=1 src1=0 src2=0
	v_mul_f32_e32 v133, v73 /*v329*/, v201
	s_set_vgpr_msb 0x41                     ;  msbs: dst=1 src0=1 src1=0 src2=0
	v_dual_fmac_f32 v140 /*v396*/, v23 /*v279*/, v170 :: v_dual_fmac_f32 v141 /*v397*/, v25 /*v281*/, v172
	s_set_vgpr_msb 1                        ;  msbs: dst=0 src0=1 src1=0 src2=0
	v_fma_f32 v131, v68 /*v324*/, v196, -v131
	s_set_vgpr_msb 0                        ;  msbs: dst=0 src0=0 src1=0 src2=0
	v_add_f32_e32 v126, v126, v134
	s_set_vgpr_msb 1                        ;  msbs: dst=0 src0=1 src1=0 src2=0
	v_mul_f32_e32 v134, v75 /*v331*/, v203
	s_set_vgpr_msb 0x41                     ;  msbs: dst=1 src0=1 src1=0 src2=0
	v_dual_mul_f32 v143 /*v399*/, v28 /*v284*/, v177 :: v_dual_mul_f32 v144 /*v400*/, v30 /*v286*/, v179
	s_set_vgpr_msb 1                        ;  msbs: dst=0 src0=1 src1=0 src2=0
	v_fma_f32 v132, v70 /*v326*/, v198, -v132
	s_set_vgpr_msb 0                        ;  msbs: dst=0 src0=0 src1=0 src2=0
	v_add_f32_e32 v126, v126, v127
	s_set_vgpr_msb 1                        ;  msbs: dst=0 src0=1 src1=0 src2=0
	v_mul_f32_e32 v127, v77 /*v333*/, v205
	s_set_vgpr_msb 0x41                     ;  msbs: dst=1 src0=1 src1=0 src2=0
	v_dual_fmac_f32 v142 /*v398*/, v27 /*v283*/, v174 :: v_dual_fmac_f32 v143 /*v399*/, v29 /*v285*/, v176
	s_set_vgpr_msb 1                        ;  msbs: dst=0 src0=1 src1=0 src2=0
	v_fma_f32 v133, v72 /*v328*/, v200, -v133
	s_set_vgpr_msb 0                        ;  msbs: dst=0 src0=0 src1=0 src2=0
	v_add_f32_e32 v126, v126, v135
	s_set_vgpr_msb 1                        ;  msbs: dst=0 src0=1 src1=0 src2=0
	v_mul_f32_e32 v135, v79 /*v335*/, v207
	s_set_vgpr_msb 0x41                     ;  msbs: dst=1 src0=1 src1=0 src2=0
	v_dual_mul_f32 v145 /*v401*/, v32 /*v288*/, v181 :: v_dual_mul_f32 v146 /*v402*/, v50 /*v306*/, v183
	s_set_vgpr_msb 1                        ;  msbs: dst=0 src0=1 src1=0 src2=0
	v_fma_f32 v134, v74 /*v330*/, v202, -v134
	s_set_vgpr_msb 0                        ;  msbs: dst=0 src0=0 src1=0 src2=0
	v_add_f32_e32 v126, v126, v128
	s_set_vgpr_msb 1                        ;  msbs: dst=0 src0=1 src1=0 src2=0
	v_mul_f32_e32 v128, v81 /*v337*/, v209
	v_mul_f32_e32 v136, v97 /*v353*/, v221
	s_set_vgpr_msb 0x41                     ;  msbs: dst=1 src0=1 src1=0 src2=0
	v_dual_fmac_f32 v144 /*v400*/, v31 /*v287*/, v178 :: v_dual_fmac_f32 v145 /*v401*/, v33 /*v289*/, v180
	s_set_vgpr_msb 0                        ;  msbs: dst=0 src0=0 src1=0 src2=0
	v_add_f32_e32 v126, v126, v130
	s_set_vgpr_msb 1                        ;  msbs: dst=0 src0=1 src1=0 src2=0
	v_dual_mul_f32 v130, v83 /*v339*/, v211 :: v_dual_fma_f32 v127, v76 /*v332*/, v204, -v127
	s_set_vgpr_msb 0x41                     ;  msbs: dst=1 src0=1 src1=0 src2=0
	v_dual_mul_f32 v147 /*v403*/, v52 /*v308*/, v185 :: v_dual_mul_f32 v148 /*v404*/, v54 /*v310*/, v187
	s_set_vgpr_msb 0                        ;  msbs: dst=0 src0=0 src1=0 src2=0
	v_add_f32_e32 v126, v126, v131
	s_set_vgpr_msb 1                        ;  msbs: dst=0 src0=1 src1=0 src2=0
	v_dual_mul_f32 v131, v85 /*v341*/, v213 :: v_dual_fma_f32 v135, v78 /*v334*/, v206, -v135
	v_fma_f32 v130, v82 /*v338*/, v210, -v130
	s_set_vgpr_msb 0x41                     ;  msbs: dst=1 src0=1 src1=0 src2=0
	v_dual_fmac_f32 v146 /*v402*/, v51 /*v307*/, v182 :: v_dual_fmac_f32 v147 /*v403*/, v53 /*v309*/, v184
	s_set_vgpr_msb 0                        ;  msbs: dst=0 src0=0 src1=0 src2=0
	v_add_f32_e32 v126, v126, v132
	s_set_vgpr_msb 1                        ;  msbs: dst=0 src0=1 src1=0 src2=0
	v_mul_f32_e32 v132, v91 /*v347*/, v215
	v_mul_f32_e32 v137, v103 /*v359*/, v227
	s_set_vgpr_msb 0x41                     ;  msbs: dst=1 src0=1 src1=0 src2=0
	v_dual_mul_f32 v149 /*v405*/, v56 /*v312*/, v189 :: v_dual_mul_f32 v150 /*v406*/, v62 /*v318*/, v191
	s_set_vgpr_msb 0                        ;  msbs: dst=0 src0=0 src1=0 src2=0
	v_add_f32_e32 v126, v126, v133
	s_set_vgpr_msb 1                        ;  msbs: dst=0 src0=1 src1=0 src2=0
	v_mul_f32_e32 v133, v93 /*v349*/, v217
	v_mul_f32_e32 v138, v105 /*v361*/, v229
	s_set_vgpr_msb 0x41                     ;  msbs: dst=1 src0=1 src1=0 src2=0
	v_dual_fmac_f32 v148 /*v404*/, v55 /*v311*/, v186 :: v_dual_fmac_f32 v149 /*v405*/, v57 /*v313*/, v188
	s_set_vgpr_msb 0                        ;  msbs: dst=0 src0=0 src1=0 src2=0
	v_add_f32_e32 v126, v126, v134
	s_set_vgpr_msb 1                        ;  msbs: dst=0 src0=1 src1=0 src2=0
	v_mul_f32_e32 v134, v95 /*v351*/, v219
	s_set_vgpr_msb 0x41                     ;  msbs: dst=1 src0=1 src1=0 src2=0
	v_dual_mul_f32 v151 /*v407*/, v64 /*v320*/, v193 :: v_dual_mul_f32 v152 /*v408*/, v66 /*v322*/, v195
	v_fmac_f32_e32 v150 /*v406*/, v63 /*v319*/, v190
	s_set_vgpr_msb 0                        ;  msbs: dst=0 src0=0 src1=0 src2=0
	v_add_f32_e32 v126, v126, v127
	s_set_vgpr_msb 1                        ;  msbs: dst=0 src0=1 src1=0 src2=0
	v_fma_f32 v127, v80 /*v336*/, v208, -v128
	s_set_vgpr_msb 0x41                     ;  msbs: dst=1 src0=1 src1=0 src2=0
	v_dual_fmac_f32 v151 /*v407*/, v65 /*v321*/, v192 :: v_dual_mul_f32 v153 /*v409*/, v68 /*v324*/, v197
	v_mul_f32_e32 v154 /*v410*/, v70 /*v326*/, v199
	s_set_vgpr_msb 0                        ;  msbs: dst=0 src0=0 src1=0 src2=0
	v_add_f32_e32 v126, v126, v135
	s_set_vgpr_msb 0x41                     ;  msbs: dst=1 src0=1 src1=0 src2=0
	v_dual_fmac_f32 v152 /*v408*/, v67 /*v323*/, v194 :: v_dual_mul_f32 v155 /*v411*/, v72 /*v328*/, v201
	v_dual_mul_f32 v156 /*v412*/, v74 /*v330*/, v203 :: v_dual_fmac_f32 v153 /*v409*/, v69 /*v325*/, v196
	s_set_vgpr_msb 0                        ;  msbs: dst=0 src0=0 src1=0 src2=0
	v_add_f32_e32 v126, v126, v127
	s_set_vgpr_msb 1                        ;  msbs: dst=0 src0=1 src1=0 src2=0
	v_fma_f32 v127, v84 /*v340*/, v212, -v131
	v_fma_f32 v131, v92 /*v348*/, v216, -v133
	s_set_vgpr_msb 0x41                     ;  msbs: dst=1 src0=1 src1=0 src2=0
	v_fma_f32 v118 /*v374*/, v104 /*v360*/, v228, -v138
	v_dual_fmac_f32 v154 /*v410*/, v71 /*v327*/, v198 :: v_dual_fmac_f32 v155 /*v411*/, v73 /*v329*/, v200
	s_set_vgpr_msb 0                        ;  msbs: dst=0 src0=0 src1=0 src2=0
	v_add_f32_e32 v126, v126, v130
	s_set_vgpr_msb 1                        ;  msbs: dst=0 src0=1 src1=0 src2=0
	v_fma_f32 v130, v90 /*v346*/, v214, -v132
	s_set_vgpr_msb 0x41                     ;  msbs: dst=1 src0=1 src1=0 src2=0
	v_fma_f32 v116 /*v372*/, v102 /*v358*/, v226, -v137
	v_dual_fmac_f32 v156 /*v412*/, v75 /*v331*/, v202 :: v_dual_fmac_f32 v157 /*v413*/, v77 /*v333*/, v204
	s_set_vgpr_msb 0                        ;  msbs: dst=0 src0=0 src1=0 src2=0
	v_add_f32_e32 v126, v126, v127
	s_set_vgpr_msb 0x41                     ;  msbs: dst=1 src0=1 src1=0 src2=0
	v_dual_mul_f32 v165 /*v421*/, v96 /*v352*/, v221 :: v_dual_mul_f32 v166 /*v422*/, v98 /*v354*/, v223
	v_fmac_f32_e32 v164 /*v420*/, v95 /*v351*/, v218
	s_set_vgpr_msb 1                        ;  msbs: dst=0 src0=1 src1=0 src2=0
	v_fma_f32 v132, v94 /*v350*/, v218, -v134
	s_set_vgpr_msb 0                        ;  msbs: dst=0 src0=0 src1=0 src2=0
	v_add_f32_e32 v130, v126, v130
	s_wait_loadcnt 0x4
	s_set_vgpr_msb 5                        ;  msbs: dst=0 src0=1 src1=1 src2=0
	v_pk_mul_f32 v[126:127], v[34:35] /*v[290:291]*/, v[6:7] /*v[262:263]*/ op_sel:[1,1] op_sel_hi:[0,1]
	s_set_vgpr_msb 0x41                     ;  msbs: dst=1 src0=1 src1=0 src2=0
	v_dual_fmac_f32 v165 /*v421*/, v97 /*v353*/, v220 :: v_dual_mul_f32 v167 /*v423*/, v100 /*v356*/, v225
	v_mul_f32_e32 v117 /*v373*/, v102 /*v358*/, v227
	s_set_vgpr_msb 0                        ;  msbs: dst=0 src0=0 src1=0 src2=0
	v_add_f32_e32 v130, v130, v131
	s_set_vgpr_msb 5                        ;  msbs: dst=0 src0=1 src1=1 src2=0
	v_pk_fma_f32 v[138:139], v[34:35] /*v[290:291]*/, v[6:7] /*v[262:263]*/, v[126:127] op_sel_hi:[1,0,1]
	s_set_vgpr_msb 4                        ;  msbs: dst=0 src0=0 src1=1 src2=0
	v_add_f32_e32 v129, v129, v123 /*v379*/
	s_set_vgpr_msb 5                        ;  msbs: dst=0 src0=1 src1=1 src2=0
	v_pk_fma_f32 v[126:127], v[34:35] /*v[290:291]*/, v[6:7] /*v[262:263]*/, v[126:127] neg_lo:[0,0,1] neg_hi:[0,0,1]
	s_set_vgpr_msb 0x41                     ;  msbs: dst=1 src0=1 src1=0 src2=0
	v_dual_fmac_f32 v166 /*v422*/, v99 /*v355*/, v222 :: v_dual_fmac_f32 v167 /*v423*/, v101 /*v357*/, v224
	s_set_vgpr_msb 4                        ;  msbs: dst=0 src0=0 src1=1 src2=0
	v_dual_mov_b32 v127, v139 :: v_dual_add_f32 v129, v129, v124 /*v380*/
	s_set_vgpr_msb 0x41                     ;  msbs: dst=1 src0=1 src1=0 src2=0
	v_dual_fmac_f32 v117 /*v373*/, v103 /*v359*/, v226 :: v_dual_fmac_f32 v119 /*v375*/, v105 /*v361*/, v228
	s_set_vgpr_msb 1                        ;  msbs: dst=0 src0=1 src1=0 src2=0
	v_mul_f32_e32 v135, v101 /*v357*/, v225
	s_set_vgpr_msb 4                        ;  msbs: dst=0 src0=0 src1=1 src2=0
	v_add_f32_e32 v129, v129, v125 /*v381*/
	s_delay_alu instid0(VALU_DEP_1) | instskip(NEXT) | instid1(VALU_DEP_1)
	v_add_f32_e32 v129, v129, v126 /*v382*/
	v_add_f32_e32 v129, v129, v127 /*v383*/
	s_delay_alu instid0(VALU_DEP_1) | instskip(NEXT) | instid1(VALU_DEP_1)
	v_add_f32_e32 v129, v129, v128 /*v384*/
	;; [unrolled: 3-line block ×16, first 2 shown]
	v_add_f32_e32 v129, v129, v157 /*v413*/
	s_delay_alu instid0(VALU_DEP_1)
	v_add_f32_e32 v128, v129, v158 /*v414*/
	s_set_vgpr_msb 1                        ;  msbs: dst=0 src0=1 src1=0 src2=0
	v_dual_mul_f32 v129, v99 /*v355*/, v223 :: v_dual_fma_f32 v134, v96 /*v352*/, v220, -v136
	v_fma_f32 v136, v100 /*v356*/, v224, -v135
	s_set_vgpr_msb 4                        ;  msbs: dst=0 src0=0 src1=1 src2=0
	v_add_f32_e32 v128, v128, v159 /*v415*/
	s_set_vgpr_msb 1                        ;  msbs: dst=0 src0=1 src1=0 src2=0
	v_fma_f32 v129, v98 /*v354*/, v222, -v129
	s_set_vgpr_msb 4                        ;  msbs: dst=0 src0=0 src1=1 src2=0
	s_delay_alu instid0(VALU_DEP_2) | instskip(NEXT) | instid1(VALU_DEP_1)
	v_add_f32_e32 v128, v128, v160 /*v416*/
	v_add_f32_e32 v128, v128, v161 /*v417*/
	s_delay_alu instid0(VALU_DEP_1) | instskip(NEXT) | instid1(VALU_DEP_1)
	v_add_f32_e32 v128, v128, v162 /*v418*/
	v_add_f32_e32 v133, v128, v163 /*v419*/
	s_set_vgpr_msb 1                        ;  msbs: dst=0 src0=1 src1=0 src2=0
	v_mov_b32_e32 v128, v9 /*v265*/
	s_set_vgpr_msb 0                        ;  msbs: dst=0 src0=0 src1=0 src2=0
	v_add_f32_e32 v132, v130, v132
	s_wait_loadcnt 0x3
	s_set_vgpr_msb 5                        ;  msbs: dst=0 src0=1 src1=1 src2=0
	v_pk_mul_f32 v[130:131], v[42:43] /*v[298:299]*/, v[38:39] /*v[294:295]*/ op_sel:[1,1] op_sel_hi:[0,1]
	s_set_vgpr_msb 4                        ;  msbs: dst=0 src0=0 src1=1 src2=0
	v_add_f32_e32 v133, v133, v164 /*v420*/
	s_set_vgpr_msb 0                        ;  msbs: dst=0 src0=0 src1=0 src2=0
	v_add_f32_e32 v134, v132, v134
	s_set_vgpr_msb 5                        ;  msbs: dst=0 src0=1 src1=1 src2=0
	v_mov_b32_e32 v132, v41 /*v297*/
	v_pk_fma_f32 v[140:141], v[42:43] /*v[298:299]*/, v[38:39] /*v[294:295]*/, v[130:131] op_sel_hi:[1,0,1]
	s_set_vgpr_msb 4                        ;  msbs: dst=0 src0=0 src1=1 src2=0
	v_add_f32_e32 v133, v133, v165 /*v421*/
	s_set_vgpr_msb 5                        ;  msbs: dst=0 src0=1 src1=1 src2=0
	v_pk_fma_f32 v[130:131], v[42:43] /*v[298:299]*/, v[38:39] /*v[294:295]*/, v[130:131] neg_lo:[0,0,1] neg_hi:[0,0,1]
	s_set_vgpr_msb 0                        ;  msbs: dst=0 src0=0 src1=0 src2=0
	v_add_f32_e32 v129, v134, v129
	s_wait_loadcnt 0x2
	s_set_vgpr_msb 5                        ;  msbs: dst=0 src0=1 src1=1 src2=0
	v_pk_mul_f32 v[134:135], v[46:47] /*v[302:303]*/, v[86:87] /*v[342:343]*/ op_sel:[1,1] op_sel_hi:[0,1]
	s_set_vgpr_msb 4                        ;  msbs: dst=0 src0=0 src1=1 src2=0
	v_mov_b32_e32 v131, v141
	v_add_f32_e32 v133, v133, v166 /*v422*/
	s_set_vgpr_msb 0                        ;  msbs: dst=0 src0=0 src1=0 src2=0
	v_add_f32_e32 v136, v129, v136
	v_pk_mul_f32 v[124:125], v[124:125], v[128:129] op_sel_hi:[1,0]
	s_set_vgpr_msb 4                        ;  msbs: dst=0 src0=0 src1=1 src2=0
	v_add_f32_e32 v137, v133, v167 /*v423*/
	s_set_vgpr_msb 1                        ;  msbs: dst=0 src0=1 src1=0 src2=0
	v_pk_mul_f32 v[132:133], v[110:111] /*v[366:367]*/, v[132:133] op_sel_hi:[1,0]
	s_set_vgpr_msb 5                        ;  msbs: dst=0 src0=1 src1=1 src2=0
	v_pk_fma_f32 v[138:139], v[36:37] /*v[292:293]*/, v[8:9] /*v[264:265]*/, v[124:125] op_sel_hi:[1,0,1]
	v_pk_fma_f32 v[124:125], v[36:37] /*v[292:293]*/, v[8:9] /*v[264:265]*/, v[124:125] neg_lo:[0,0,1] neg_hi:[0,0,1]
	s_set_vgpr_msb 4                        ;  msbs: dst=0 src0=0 src1=1 src2=0
	v_pk_add_f32 v[128:129], v[136:137], v[116:117] /*v[372:373]*/
	s_set_vgpr_msb 1                        ;  msbs: dst=0 src0=1 src1=0 src2=0
	v_mov_b32_e32 v136, v89 /*v345*/
	s_set_vgpr_msb 0                        ;  msbs: dst=0 src0=0 src1=0 src2=0
	v_mov_b32_e32 v125, v139
	s_set_vgpr_msb 5                        ;  msbs: dst=0 src0=1 src1=1 src2=0
	v_pk_fma_f32 v[138:139], v[44:45] /*v[300:301]*/, v[40:41] /*v[296:297]*/, v[132:133] op_sel_hi:[1,0,1]
	s_set_vgpr_msb 4                        ;  msbs: dst=0 src0=0 src1=1 src2=0
	v_pk_add_f32 v[128:129], v[128:129], v[118:119] /*v[374:375]*/
	s_set_vgpr_msb 5                        ;  msbs: dst=0 src0=1 src1=1 src2=0
	v_pk_fma_f32 v[132:133], v[44:45] /*v[300:301]*/, v[40:41] /*v[296:297]*/, v[132:133] neg_lo:[0,0,1] neg_hi:[0,0,1]
	s_set_vgpr_msb 0                        ;  msbs: dst=0 src0=0 src1=0 src2=0
	v_mov_b32_e32 v133, v139
	v_pk_add_f32 v[126:127], v[128:129], v[126:127]
	s_wait_loadcnt 0x1
	s_set_vgpr_msb 5                        ;  msbs: dst=0 src0=1 src1=1 src2=0
	v_pk_mul_f32 v[128:129], v[58:59] /*v[314:315]*/, v[106:107] /*v[362:363]*/ op_sel:[1,1] op_sel_hi:[0,1]
	s_set_vgpr_msb 0                        ;  msbs: dst=0 src0=0 src1=0 src2=0
	v_pk_add_f32 v[124:125], v[126:127], v[124:125]
	s_set_vgpr_msb 5                        ;  msbs: dst=0 src0=1 src1=1 src2=0
	v_pk_fma_f32 v[126:127], v[46:47] /*v[302:303]*/, v[86:87] /*v[342:343]*/, v[134:135] op_sel_hi:[1,0,1]
	v_mov_b32_e32 v126, v109 /*v365*/
	s_set_vgpr_msb 1                        ;  msbs: dst=0 src0=1 src1=0 src2=0
	v_pk_mul_f32 v[136:137], v[112:113] /*v[368:369]*/, v[136:137] op_sel_hi:[1,0]
	s_set_vgpr_msb 0                        ;  msbs: dst=0 src0=0 src1=0 src2=0
	v_pk_add_f32 v[124:125], v[124:125], v[130:131]
	s_set_vgpr_msb 5                        ;  msbs: dst=0 src0=1 src1=1 src2=0
	v_pk_fma_f32 v[130:131], v[46:47] /*v[302:303]*/, v[86:87] /*v[342:343]*/, v[134:135] neg_lo:[0,0,1] neg_hi:[0,0,1]
	s_set_vgpr_msb 0                        ;  msbs: dst=0 src0=0 src1=0 src2=0
	v_mov_b32_e32 v131, v127
	s_set_vgpr_msb 5                        ;  msbs: dst=0 src0=1 src1=1 src2=0
	v_pk_fma_f32 v[134:135], v[48:49] /*v[304:305]*/, v[88:89] /*v[344:345]*/, v[136:137] op_sel_hi:[1,0,1]
	v_pk_fma_f32 v[136:137], v[48:49] /*v[304:305]*/, v[88:89] /*v[344:345]*/, v[136:137] neg_lo:[0,0,1] neg_hi:[0,0,1]
	s_set_vgpr_msb 0                        ;  msbs: dst=0 src0=0 src1=0 src2=0
	v_pk_add_f32 v[124:125], v[124:125], v[132:133]
	s_set_vgpr_msb 5                        ;  msbs: dst=0 src0=1 src1=1 src2=0
	v_pk_fma_f32 v[132:133], v[58:59] /*v[314:315]*/, v[106:107] /*v[362:363]*/, v[128:129] op_sel_hi:[1,0,1]
	s_set_vgpr_msb 1                        ;  msbs: dst=0 src0=1 src1=0 src2=0
	v_pk_mul_f32 v[126:127], v[114:115] /*v[370:371]*/, v[126:127] op_sel_hi:[1,0]
	s_set_vgpr_msb 0                        ;  msbs: dst=0 src0=0 src1=0 src2=0
	v_mov_b32_e32 v137, v135
	s_set_vgpr_msb 5                        ;  msbs: dst=0 src0=1 src1=1 src2=0
	v_pk_fma_f32 v[128:129], v[58:59] /*v[314:315]*/, v[106:107] /*v[362:363]*/, v[128:129] neg_lo:[0,0,1] neg_hi:[0,0,1]
	s_set_vgpr_msb 0                        ;  msbs: dst=0 src0=0 src1=0 src2=0
	v_pk_add_f32 v[124:125], v[124:125], v[130:131]
	v_mov_b32_e32 v129, v133
	s_set_vgpr_msb 5                        ;  msbs: dst=0 src0=1 src1=1 src2=0
	v_pk_fma_f32 v[130:131], v[60:61] /*v[316:317]*/, v[108:109] /*v[364:365]*/, v[126:127] op_sel_hi:[1,0,1]
	v_pk_fma_f32 v[126:127], v[60:61] /*v[316:317]*/, v[108:109] /*v[364:365]*/, v[126:127] neg_lo:[0,0,1] neg_hi:[0,0,1]
	s_set_vgpr_msb 0                        ;  msbs: dst=0 src0=0 src1=0 src2=0
	v_pk_add_f32 v[124:125], v[124:125], v[136:137]
	s_delay_alu instid0(VALU_DEP_3) | instskip(NEXT) | instid1(VALU_DEP_2)
	v_mov_b32_e32 v127, v131
	v_pk_add_f32 v[124:125], v[124:125], v[128:129]
	s_delay_alu instid0(VALU_DEP_1) | instskip(SKIP_1) | instid1(VALU_DEP_1)
	v_pk_add_f32 v[124:125], v[124:125], v[126:127]
	s_wait_loadcnt 0x0
	v_pk_add_f32 v[134:135], v[0:1], v[124:125] neg_lo:[0,1] neg_hi:[0,1]
	scratch_store_b64 off, v[134:135], off
	s_cbranch_vccz .LBB124_500
; %bb.380:
	v_mov_b32_e32 v0, 0
	global_load_b32 v1, v0, s[8:9] offset:236
	s_wait_loadcnt 0x0
	v_cmp_ne_u32_e32 vcc_lo, 60, v1
	s_cbranch_vccz .LBB124_382
; %bb.381:
	v_lshlrev_b32_e32 v1, 3, v1
	scratch_load_b64 v[124:125], v1, off offset:-8
	scratch_load_b64 v[126:127], off, off offset:472
	s_wait_loadcnt 0x1
	scratch_store_b64 off, v[124:125], off offset:472
	s_wait_loadcnt 0x0
	scratch_store_b64 v1, v[126:127], off offset:-8
.LBB124_382:
	global_load_b32 v0, v0, s[8:9] offset:232
	s_wait_loadcnt 0x0
	v_cmp_eq_u32_e32 vcc_lo, 59, v0
	s_cbranch_vccnz .LBB124_384
; %bb.383:
	s_wait_xcnt 0x0
	v_lshlrev_b32_e32 v0, 3, v0
	s_delay_alu instid0(VALU_DEP_1)
	v_mov_b32_e32 v126, v0
	scratch_load_b64 v[0:1], v126, off offset:-8
	scratch_load_b64 v[124:125], off, off offset:464
	s_wait_loadcnt 0x1
	scratch_store_b64 off, v[0:1], off offset:464
	s_wait_loadcnt 0x0
	scratch_store_b64 v126, v[124:125], off offset:-8
.LBB124_384:
	s_wait_xcnt 0x0
	v_mov_b32_e32 v0, 0
	global_load_b32 v1, v0, s[8:9] offset:228
	s_wait_loadcnt 0x0
	v_cmp_eq_u32_e32 vcc_lo, 58, v1
	s_cbranch_vccnz .LBB124_386
; %bb.385:
	v_lshlrev_b32_e32 v1, 3, v1
	scratch_load_b64 v[124:125], v1, off offset:-8
	scratch_load_b64 v[126:127], off, off offset:456
	s_wait_loadcnt 0x1
	scratch_store_b64 off, v[124:125], off offset:456
	s_wait_loadcnt 0x0
	scratch_store_b64 v1, v[126:127], off offset:-8
.LBB124_386:
	global_load_b32 v0, v0, s[8:9] offset:224
	s_wait_loadcnt 0x0
	v_cmp_eq_u32_e32 vcc_lo, 57, v0
	s_cbranch_vccnz .LBB124_388
; %bb.387:
	s_wait_xcnt 0x0
	v_lshlrev_b32_e32 v0, 3, v0
	s_delay_alu instid0(VALU_DEP_1)
	v_mov_b32_e32 v126, v0
	scratch_load_b64 v[0:1], v126, off offset:-8
	scratch_load_b64 v[124:125], off, off offset:448
	s_wait_loadcnt 0x1
	scratch_store_b64 off, v[0:1], off offset:448
	s_wait_loadcnt 0x0
	scratch_store_b64 v126, v[124:125], off offset:-8
.LBB124_388:
	s_wait_xcnt 0x0
	v_mov_b32_e32 v0, 0
	global_load_b32 v1, v0, s[8:9] offset:220
	s_wait_loadcnt 0x0
	v_cmp_eq_u32_e32 vcc_lo, 56, v1
	s_cbranch_vccnz .LBB124_390
; %bb.389:
	v_lshlrev_b32_e32 v1, 3, v1
	scratch_load_b64 v[124:125], v1, off offset:-8
	scratch_load_b64 v[126:127], off, off offset:440
	s_wait_loadcnt 0x1
	scratch_store_b64 off, v[124:125], off offset:440
	s_wait_loadcnt 0x0
	scratch_store_b64 v1, v[126:127], off offset:-8
.LBB124_390:
	;; [unrolled: 31-line block ×29, first 2 shown]
	global_load_b32 v0, v0, s[8:9]
	scratch_load_b64 v[134:135], off, off
	s_wait_loadcnt 0x1
	v_cmp_eq_u32_e32 vcc_lo, 1, v0
	s_cbranch_vccnz .LBB124_500
; %bb.499:
	s_wait_xcnt 0x1
	v_lshlrev_b32_e32 v0, 3, v0
	s_delay_alu instid0(VALU_DEP_1)
	v_mov_b32_e32 v124, v0
	scratch_load_b64 v[0:1], v124, off offset:-8
	s_wait_loadcnt 0x0
	scratch_store_b64 off, v[0:1], off
	scratch_store_b64 v124, v[134:135], off offset:-8
	scratch_load_b64 v[134:135], off, off
.LBB124_500:
	s_wait_loadcnt 0x0
	flat_store_b64 v[2:3], v[134:135]
	scratch_load_b64 v[2:3], off, off offset:8
	v_lshl_add_u64 v[182:183], v[6:7], 3, s[2:3]
	v_lshl_add_u64 v[180:181], v[8:9], 3, s[2:3]
	;; [unrolled: 1-line block ×59, first 2 shown]
	s_wait_loadcnt 0x0
	flat_store_b64 v[4:5], v[2:3]
	scratch_load_b64 v[2:3], off, off offset:16
	s_wait_loadcnt 0x0
	flat_store_b64 v[182:183], v[2:3]
	scratch_load_b64 v[2:3], off, off offset:24
	;; [unrolled: 3-line block ×59, first 2 shown]
	s_wait_loadcnt 0x0
	flat_store_b64 v[0:1], v[2:3]
	s_sendmsg sendmsg(MSG_DEALLOC_VGPRS)
	s_endpgm
	.section	.rodata,"a",@progbits
	.p2align	6, 0x0
	.amdhsa_kernel _ZN9rocsolver6v33100L18getri_kernel_smallILi61E19rocblas_complex_numIfEPKPS3_EEvT1_iilPiilS8_bb
		.amdhsa_group_segment_fixed_size 984
		.amdhsa_private_segment_fixed_size 496
		.amdhsa_kernarg_size 60
		.amdhsa_user_sgpr_count 2
		.amdhsa_user_sgpr_dispatch_ptr 0
		.amdhsa_user_sgpr_queue_ptr 0
		.amdhsa_user_sgpr_kernarg_segment_ptr 1
		.amdhsa_user_sgpr_dispatch_id 0
		.amdhsa_user_sgpr_kernarg_preload_length 0
		.amdhsa_user_sgpr_kernarg_preload_offset 0
		.amdhsa_user_sgpr_private_segment_size 0
		.amdhsa_wavefront_size32 1
		.amdhsa_uses_dynamic_stack 0
		.amdhsa_enable_private_segment 1
		.amdhsa_system_sgpr_workgroup_id_x 1
		.amdhsa_system_sgpr_workgroup_id_y 0
		.amdhsa_system_sgpr_workgroup_id_z 0
		.amdhsa_system_sgpr_workgroup_info 0
		.amdhsa_system_vgpr_workitem_id 0
		.amdhsa_next_free_vgpr 424
		.amdhsa_next_free_sgpr 19
		.amdhsa_named_barrier_count 0
		.amdhsa_reserve_vcc 1
		.amdhsa_float_round_mode_32 0
		.amdhsa_float_round_mode_16_64 0
		.amdhsa_float_denorm_mode_32 3
		.amdhsa_float_denorm_mode_16_64 3
		.amdhsa_fp16_overflow 0
		.amdhsa_memory_ordered 1
		.amdhsa_forward_progress 1
		.amdhsa_inst_pref_size 255
		.amdhsa_round_robin_scheduling 0
		.amdhsa_exception_fp_ieee_invalid_op 0
		.amdhsa_exception_fp_denorm_src 0
		.amdhsa_exception_fp_ieee_div_zero 0
		.amdhsa_exception_fp_ieee_overflow 0
		.amdhsa_exception_fp_ieee_underflow 0
		.amdhsa_exception_fp_ieee_inexact 0
		.amdhsa_exception_int_div_zero 0
	.end_amdhsa_kernel
	.section	.text._ZN9rocsolver6v33100L18getri_kernel_smallILi61E19rocblas_complex_numIfEPKPS3_EEvT1_iilPiilS8_bb,"axG",@progbits,_ZN9rocsolver6v33100L18getri_kernel_smallILi61E19rocblas_complex_numIfEPKPS3_EEvT1_iilPiilS8_bb,comdat
.Lfunc_end124:
	.size	_ZN9rocsolver6v33100L18getri_kernel_smallILi61E19rocblas_complex_numIfEPKPS3_EEvT1_iilPiilS8_bb, .Lfunc_end124-_ZN9rocsolver6v33100L18getri_kernel_smallILi61E19rocblas_complex_numIfEPKPS3_EEvT1_iilPiilS8_bb
                                        ; -- End function
	.set _ZN9rocsolver6v33100L18getri_kernel_smallILi61E19rocblas_complex_numIfEPKPS3_EEvT1_iilPiilS8_bb.num_vgpr, 424
	.set _ZN9rocsolver6v33100L18getri_kernel_smallILi61E19rocblas_complex_numIfEPKPS3_EEvT1_iilPiilS8_bb.num_agpr, 0
	.set _ZN9rocsolver6v33100L18getri_kernel_smallILi61E19rocblas_complex_numIfEPKPS3_EEvT1_iilPiilS8_bb.numbered_sgpr, 19
	.set _ZN9rocsolver6v33100L18getri_kernel_smallILi61E19rocblas_complex_numIfEPKPS3_EEvT1_iilPiilS8_bb.num_named_barrier, 0
	.set _ZN9rocsolver6v33100L18getri_kernel_smallILi61E19rocblas_complex_numIfEPKPS3_EEvT1_iilPiilS8_bb.private_seg_size, 496
	.set _ZN9rocsolver6v33100L18getri_kernel_smallILi61E19rocblas_complex_numIfEPKPS3_EEvT1_iilPiilS8_bb.uses_vcc, 1
	.set _ZN9rocsolver6v33100L18getri_kernel_smallILi61E19rocblas_complex_numIfEPKPS3_EEvT1_iilPiilS8_bb.uses_flat_scratch, 1
	.set _ZN9rocsolver6v33100L18getri_kernel_smallILi61E19rocblas_complex_numIfEPKPS3_EEvT1_iilPiilS8_bb.has_dyn_sized_stack, 0
	.set _ZN9rocsolver6v33100L18getri_kernel_smallILi61E19rocblas_complex_numIfEPKPS3_EEvT1_iilPiilS8_bb.has_recursion, 0
	.set _ZN9rocsolver6v33100L18getri_kernel_smallILi61E19rocblas_complex_numIfEPKPS3_EEvT1_iilPiilS8_bb.has_indirect_call, 0
	.section	.AMDGPU.csdata,"",@progbits
; Kernel info:
; codeLenInByte = 136156
; TotalNumSgprs: 21
; NumVgprs: 424
; ScratchSize: 496
; MemoryBound: 0
; FloatMode: 240
; IeeeMode: 1
; LDSByteSize: 984 bytes/workgroup (compile time only)
; SGPRBlocks: 0
; VGPRBlocks: 26
; NumSGPRsForWavesPerEU: 21
; NumVGPRsForWavesPerEU: 424
; NamedBarCnt: 0
; Occupancy: 2
; WaveLimiterHint : 1
; COMPUTE_PGM_RSRC2:SCRATCH_EN: 1
; COMPUTE_PGM_RSRC2:USER_SGPR: 2
; COMPUTE_PGM_RSRC2:TRAP_HANDLER: 0
; COMPUTE_PGM_RSRC2:TGID_X_EN: 1
; COMPUTE_PGM_RSRC2:TGID_Y_EN: 0
; COMPUTE_PGM_RSRC2:TGID_Z_EN: 0
; COMPUTE_PGM_RSRC2:TIDIG_COMP_CNT: 0
	.section	.text._ZN9rocsolver6v33100L18getri_kernel_smallILi62E19rocblas_complex_numIfEPKPS3_EEvT1_iilPiilS8_bb,"axG",@progbits,_ZN9rocsolver6v33100L18getri_kernel_smallILi62E19rocblas_complex_numIfEPKPS3_EEvT1_iilPiilS8_bb,comdat
	.globl	_ZN9rocsolver6v33100L18getri_kernel_smallILi62E19rocblas_complex_numIfEPKPS3_EEvT1_iilPiilS8_bb ; -- Begin function _ZN9rocsolver6v33100L18getri_kernel_smallILi62E19rocblas_complex_numIfEPKPS3_EEvT1_iilPiilS8_bb
	.p2align	8
	.type	_ZN9rocsolver6v33100L18getri_kernel_smallILi62E19rocblas_complex_numIfEPKPS3_EEvT1_iilPiilS8_bb,@function
_ZN9rocsolver6v33100L18getri_kernel_smallILi62E19rocblas_complex_numIfEPKPS3_EEvT1_iilPiilS8_bb: ; @_ZN9rocsolver6v33100L18getri_kernel_smallILi62E19rocblas_complex_numIfEPKPS3_EEvT1_iilPiilS8_bb
; %bb.0:
	s_mov_b32 s2, exec_lo
	v_cmpx_gt_u32_e32 62, v0
	s_cbranch_execz .LBB125_262
; %bb.1:
	s_clause 0x1
	s_load_b32 s13, s[0:1], 0x38
	s_load_b64 s[2:3], s[0:1], 0x0
	s_getreg_b32 s6, hwreg(HW_REG_IB_STS2, 6, 4)
	s_wait_kmcnt 0x0
	s_bitcmp1_b32 s13, 8
	s_cselect_b32 s12, -1, 0
	s_bfe_u32 s4, ttmp6, 0x4000c
	s_and_b32 s5, ttmp6, 15
	s_add_co_i32 s4, s4, 1
	s_delay_alu instid0(SALU_CYCLE_1) | instskip(NEXT) | instid1(SALU_CYCLE_1)
	s_mul_i32 s4, ttmp9, s4
	s_add_co_i32 s5, s5, s4
	s_cmp_eq_u32 s6, 0
	s_cselect_b32 s10, ttmp9, s5
	s_load_b128 s[4:7], s[0:1], 0x28
	s_ashr_i32 s11, s10, 31
	s_delay_alu instid0(SALU_CYCLE_1) | instskip(NEXT) | instid1(SALU_CYCLE_1)
	s_lshl_b64 s[8:9], s[10:11], 3
	s_add_nc_u64 s[2:3], s[2:3], s[8:9]
	s_bfe_u32 s8, s13, 0x10008
	s_load_b64 s[2:3], s[2:3], 0x0
	s_cmp_eq_u32 s8, 0
                                        ; implicit-def: $sgpr8_sgpr9
	s_cbranch_scc1 .LBB125_3
; %bb.2:
	s_load_b96 s[16:18], s[0:1], 0x18
	s_wait_kmcnt 0x0
	s_mul_u64 s[4:5], s[4:5], s[10:11]
	s_delay_alu instid0(SALU_CYCLE_1) | instskip(SKIP_4) | instid1(SALU_CYCLE_1)
	s_lshl_b64 s[4:5], s[4:5], 2
	s_ashr_i32 s9, s18, 31
	s_mov_b32 s8, s18
	s_add_nc_u64 s[4:5], s[16:17], s[4:5]
	s_lshl_b64 s[8:9], s[8:9], 2
	s_add_nc_u64 s[8:9], s[4:5], s[8:9]
.LBB125_3:
	s_wait_kmcnt 0x0
	s_clause 0x1
	s_load_b64 s[4:5], s[0:1], 0x8
	s_load_b32 s13, s[0:1], 0x38
	v_dual_mov_b32 v127, 0 :: v_dual_lshlrev_b32 v126, 3, v0
	s_wait_kmcnt 0x0
	s_ashr_i32 s1, s4, 31
	s_mov_b32 s0, s4
	s_delay_alu instid0(SALU_CYCLE_1) | instskip(NEXT) | instid1(SALU_CYCLE_1)
	s_lshl_b64 s[0:1], s[0:1], 3
	s_add_nc_u64 s[2:3], s[2:3], s[0:1]
	s_ashr_i32 s1, s5, 31
	flat_load_b64 v[6:7], v0, s[2:3] scale_offset
	v_add_nc_u64_e32 v[2:3], s[2:3], v[126:127]
	s_mov_b32 s0, s5
	s_bitcmp0_b32 s13, 0
	s_delay_alu instid0(VALU_DEP_1)
	v_lshl_add_u64 v[4:5], s[0:1], 3, v[2:3]
	s_mov_b32 s1, -1
	s_wait_loadcnt_dscnt 0x0
	scratch_store_b64 off, v[6:7], off
	flat_load_b64 v[8:9], v[4:5]
	s_wait_xcnt 0x1
	v_add3_u32 v6, s5, s5, v0
	s_wait_loadcnt_dscnt 0x0
	scratch_store_b64 off, v[8:9], off offset:8
	flat_load_b64 v[10:11], v6, s[2:3] scale_offset
	s_wait_xcnt 0x1
	v_add_nc_u32_e32 v8, s5, v6
	s_wait_loadcnt_dscnt 0x0
	scratch_store_b64 off, v[10:11], off offset:16
	flat_load_b64 v[12:13], v8, s[2:3] scale_offset
	s_wait_xcnt 0x1
	v_add_nc_u32_e32 v10, s5, v8
	;; [unrolled: 5-line block ×59, first 2 shown]
	s_wait_loadcnt_dscnt 0x0
	scratch_store_b64 off, v[128:129], off offset:480
	flat_load_b64 v[128:129], v124, s[2:3] scale_offset
	s_wait_loadcnt_dscnt 0x0
	scratch_store_b64 off, v[128:129], off offset:488
	s_cbranch_scc1 .LBB125_260
; %bb.4:
	v_cmp_eq_u32_e64 s0, 0, v0
	s_wait_xcnt 0x0
	s_and_saveexec_b32 s1, s0
; %bb.5:
	v_mov_b32_e32 v1, 0
	ds_store_b32 v1, v1 offset:992
; %bb.6:
	s_or_b32 exec_lo, exec_lo, s1
	s_wait_storecnt_dscnt 0x0
	s_barrier_signal -1
	s_barrier_wait -1
	scratch_load_b64 v[128:129], v0, off scale_offset
	s_wait_loadcnt 0x0
	v_cmp_eq_f32_e32 vcc_lo, 0, v128
	v_cmp_eq_f32_e64 s1, 0, v129
	s_and_b32 s1, vcc_lo, s1
	s_delay_alu instid0(SALU_CYCLE_1)
	s_and_saveexec_b32 s4, s1
	s_cbranch_execz .LBB125_10
; %bb.7:
	v_mov_b32_e32 v1, 0
	s_mov_b32 s5, 0
	ds_load_b32 v7, v1 offset:992
	s_wait_dscnt 0x0
	v_readfirstlane_b32 s1, v7
	v_add_nc_u32_e32 v7, 1, v0
	s_cmp_eq_u32 s1, 0
	s_delay_alu instid0(VALU_DEP_1) | instskip(SKIP_1) | instid1(SALU_CYCLE_1)
	v_cmp_gt_i32_e32 vcc_lo, s1, v7
	s_cselect_b32 s13, -1, 0
	s_or_b32 s13, s13, vcc_lo
	s_delay_alu instid0(SALU_CYCLE_1)
	s_and_b32 exec_lo, exec_lo, s13
	s_cbranch_execz .LBB125_10
; %bb.8:
	v_mov_b32_e32 v9, s1
.LBB125_9:                              ; =>This Inner Loop Header: Depth=1
	ds_cmpstore_rtn_b32 v9, v1, v7, v9 offset:992
	s_wait_dscnt 0x0
	v_cmp_ne_u32_e32 vcc_lo, 0, v9
	v_cmp_le_i32_e64 s1, v9, v7
	s_and_b32 s1, vcc_lo, s1
	s_delay_alu instid0(SALU_CYCLE_1) | instskip(NEXT) | instid1(SALU_CYCLE_1)
	s_and_b32 s1, exec_lo, s1
	s_or_b32 s5, s1, s5
	s_delay_alu instid0(SALU_CYCLE_1)
	s_and_not1_b32 exec_lo, exec_lo, s5
	s_cbranch_execnz .LBB125_9
.LBB125_10:
	s_or_b32 exec_lo, exec_lo, s4
	v_mov_b32_e32 v1, 0
	s_barrier_signal -1
	s_barrier_wait -1
	ds_load_b32 v7, v1 offset:992
	s_and_saveexec_b32 s1, s0
	s_cbranch_execz .LBB125_12
; %bb.11:
	s_lshl_b64 s[4:5], s[10:11], 2
	s_delay_alu instid0(SALU_CYCLE_1)
	s_add_nc_u64 s[4:5], s[6:7], s[4:5]
	s_wait_dscnt 0x0
	global_store_b32 v1, v7, s[4:5]
.LBB125_12:
	s_wait_xcnt 0x0
	s_or_b32 exec_lo, exec_lo, s1
	s_wait_dscnt 0x0
	v_cmp_ne_u32_e32 vcc_lo, 0, v7
	s_mov_b32 s1, 0
	s_cbranch_vccnz .LBB125_260
; %bb.13:
	v_lshl_add_u32 v7, v0, 3, 0
                                        ; implicit-def: $vgpr131
                                        ; implicit-def: $vgpr132
	scratch_load_b64 v[128:129], v7, off
	s_wait_loadcnt 0x0
	v_cmp_ngt_f32_e64 s1, |v128|, |v129|
	s_wait_xcnt 0x0
	s_and_saveexec_b32 s4, s1
	s_delay_alu instid0(SALU_CYCLE_1)
	s_xor_b32 s1, exec_lo, s4
	s_cbranch_execz .LBB125_15
; %bb.14:
	v_div_scale_f32 v1, null, v129, v129, v128
	v_div_scale_f32 v13, vcc_lo, v128, v129, v128
	s_delay_alu instid0(VALU_DEP_2) | instskip(SKIP_1) | instid1(TRANS32_DEP_1)
	v_rcp_f32_e32 v9, v1
	v_nop
	v_fma_f32 v11, -v1, v9, 1.0
	s_delay_alu instid0(VALU_DEP_1) | instskip(NEXT) | instid1(VALU_DEP_1)
	v_fmac_f32_e32 v9, v11, v9
	v_mul_f32_e32 v11, v13, v9
	s_delay_alu instid0(VALU_DEP_1) | instskip(NEXT) | instid1(VALU_DEP_1)
	v_fma_f32 v15, -v1, v11, v13
	v_fmac_f32_e32 v11, v15, v9
	s_delay_alu instid0(VALU_DEP_1) | instskip(NEXT) | instid1(VALU_DEP_1)
	v_fma_f32 v1, -v1, v11, v13
	v_div_fmas_f32 v1, v1, v9, v11
	s_delay_alu instid0(VALU_DEP_1) | instskip(NEXT) | instid1(VALU_DEP_1)
	v_div_fixup_f32 v1, v1, v129, v128
	v_fmac_f32_e32 v129, v128, v1
	s_delay_alu instid0(VALU_DEP_1) | instskip(NEXT) | instid1(VALU_DEP_1)
	v_div_scale_f32 v9, null, v129, v129, -1.0
	v_rcp_f32_e32 v11, v9
	v_nop
	s_delay_alu instid0(TRANS32_DEP_1) | instskip(NEXT) | instid1(VALU_DEP_1)
	v_fma_f32 v13, -v9, v11, 1.0
	v_fmac_f32_e32 v11, v13, v11
	v_div_scale_f32 v13, vcc_lo, -1.0, v129, -1.0
	s_delay_alu instid0(VALU_DEP_1) | instskip(NEXT) | instid1(VALU_DEP_1)
	v_mul_f32_e32 v15, v13, v11
	v_fma_f32 v17, -v9, v15, v13
	s_delay_alu instid0(VALU_DEP_1) | instskip(NEXT) | instid1(VALU_DEP_1)
	v_fmac_f32_e32 v15, v17, v11
	v_fma_f32 v9, -v9, v15, v13
	s_delay_alu instid0(VALU_DEP_1) | instskip(NEXT) | instid1(VALU_DEP_1)
	v_div_fmas_f32 v9, v9, v11, v15
	v_div_fixup_f32 v131, v9, v129, -1.0
                                        ; implicit-def: $vgpr128_vgpr129
	s_delay_alu instid0(VALU_DEP_1) | instskip(NEXT) | instid1(VALU_DEP_1)
	v_mul_f32_e32 v132, v1, v131
	v_xor_b32_e32 v130, 0x80000000, v132
.LBB125_15:
	s_and_not1_saveexec_b32 s1, s1
	s_cbranch_execz .LBB125_17
; %bb.16:
	v_div_scale_f32 v1, null, v128, v128, v129
	v_div_scale_f32 v13, vcc_lo, v129, v128, v129
	s_delay_alu instid0(VALU_DEP_2) | instskip(SKIP_1) | instid1(TRANS32_DEP_1)
	v_rcp_f32_e32 v9, v1
	v_nop
	v_fma_f32 v11, -v1, v9, 1.0
	s_delay_alu instid0(VALU_DEP_1) | instskip(NEXT) | instid1(VALU_DEP_1)
	v_fmac_f32_e32 v9, v11, v9
	v_mul_f32_e32 v11, v13, v9
	s_delay_alu instid0(VALU_DEP_1) | instskip(NEXT) | instid1(VALU_DEP_1)
	v_fma_f32 v15, -v1, v11, v13
	v_fmac_f32_e32 v11, v15, v9
	s_delay_alu instid0(VALU_DEP_1) | instskip(NEXT) | instid1(VALU_DEP_1)
	v_fma_f32 v1, -v1, v11, v13
	v_div_fmas_f32 v1, v1, v9, v11
	s_delay_alu instid0(VALU_DEP_1) | instskip(NEXT) | instid1(VALU_DEP_1)
	v_div_fixup_f32 v1, v1, v128, v129
	v_fmac_f32_e32 v128, v129, v1
	s_delay_alu instid0(VALU_DEP_1) | instskip(SKIP_1) | instid1(VALU_DEP_2)
	v_div_scale_f32 v9, null, v128, v128, 1.0
	v_div_scale_f32 v15, vcc_lo, 1.0, v128, 1.0
	v_rcp_f32_e32 v11, v9
	v_nop
	s_delay_alu instid0(TRANS32_DEP_1) | instskip(NEXT) | instid1(VALU_DEP_1)
	v_fma_f32 v13, -v9, v11, 1.0
	v_fmac_f32_e32 v11, v13, v11
	s_delay_alu instid0(VALU_DEP_1) | instskip(NEXT) | instid1(VALU_DEP_1)
	v_mul_f32_e32 v13, v15, v11
	v_fma_f32 v17, -v9, v13, v15
	s_delay_alu instid0(VALU_DEP_1) | instskip(NEXT) | instid1(VALU_DEP_1)
	v_fmac_f32_e32 v13, v17, v11
	v_fma_f32 v9, -v9, v13, v15
	s_delay_alu instid0(VALU_DEP_1) | instskip(NEXT) | instid1(VALU_DEP_1)
	v_div_fmas_f32 v9, v9, v11, v13
	v_div_fixup_f32 v130, v9, v128, 1.0
	s_delay_alu instid0(VALU_DEP_1)
	v_xor_b32_e32 v132, 0x80000000, v130
	v_mul_f32_e64 v131, v1, -v130
.LBB125_17:
	s_or_b32 exec_lo, exec_lo, s1
	scratch_store_b64 v7, v[130:131], off
	scratch_load_b64 v[128:129], off, off offset:8
	v_xor_b32_e32 v133, 0x80000000, v131
	v_add_nc_u32_e32 v1, 0x1f0, v126
	s_wait_loadcnt 0x0
	ds_store_2addr_b64 v126, v[132:133], v[128:129] offset1:62
	s_wait_storecnt_dscnt 0x0
	s_barrier_signal -1
	s_barrier_wait -1
	s_wait_xcnt 0x0
	s_and_saveexec_b32 s1, s0
	s_cbranch_execz .LBB125_19
; %bb.18:
	scratch_load_b64 v[128:129], v7, off
	ds_load_b64 v[130:131], v1
	s_wait_loadcnt_dscnt 0x0
	v_pk_mul_f32 v[134:135], v[130:131], v[128:129] op_sel:[1,1] op_sel_hi:[0,1]
	s_delay_alu instid0(VALU_DEP_1) | instskip(SKIP_2) | instid1(VALU_DEP_3)
	v_pk_fma_f32 v[136:137], v[130:131], v[128:129], v[134:135] op_sel_hi:[1,0,1]
	v_mov_b32_e32 v9, 0
	v_pk_fma_f32 v[128:129], v[130:131], v[128:129], v[134:135] neg_lo:[0,0,1] neg_hi:[0,0,1]
	v_mov_b32_e32 v129, v137
	ds_load_b64 v[132:133], v9 offset:8
	v_pk_add_f32 v[128:129], v[128:129], 0 op_sel_hi:[1,0]
	s_wait_dscnt 0x0
	s_delay_alu instid0(VALU_DEP_1) | instskip(NEXT) | instid1(VALU_DEP_1)
	v_pk_mul_f32 v[130:131], v[128:129], v[132:133] op_sel:[1,1] op_sel_hi:[0,1]
	v_pk_fma_f32 v[134:135], v[128:129], v[132:133], v[130:131] op_sel_hi:[1,0,1]
	v_pk_fma_f32 v[128:129], v[128:129], v[132:133], v[130:131] neg_lo:[0,0,1] neg_hi:[0,0,1]
	s_delay_alu instid0(VALU_DEP_2)
	v_mov_b32_e32 v129, v135
	scratch_store_b64 off, v[128:129], off offset:8
.LBB125_19:
	s_wait_xcnt 0x0
	s_or_b32 exec_lo, exec_lo, s1
	s_wait_storecnt 0x0
	s_barrier_signal -1
	s_barrier_wait -1
	scratch_load_b64 v[128:129], off, off offset:16
	s_mov_b32 s1, exec_lo
	s_wait_loadcnt 0x0
	ds_store_b64 v1, v[128:129]
	s_wait_dscnt 0x0
	s_barrier_signal -1
	s_barrier_wait -1
	v_cmpx_gt_u32_e32 2, v0
	s_cbranch_execz .LBB125_23
; %bb.20:
	scratch_load_b64 v[128:129], v7, off
	ds_load_b64 v[130:131], v1
	s_wait_loadcnt_dscnt 0x0
	v_pk_mul_f32 v[132:133], v[130:131], v[128:129] op_sel:[1,1] op_sel_hi:[0,1]
	s_delay_alu instid0(VALU_DEP_1) | instskip(SKIP_1) | instid1(VALU_DEP_2)
	v_pk_fma_f32 v[134:135], v[130:131], v[128:129], v[132:133] op_sel_hi:[1,0,1]
	v_pk_fma_f32 v[128:129], v[130:131], v[128:129], v[132:133] neg_lo:[0,0,1] neg_hi:[0,0,1]
	v_mov_b32_e32 v129, v135
	s_delay_alu instid0(VALU_DEP_1)
	v_pk_add_f32 v[128:129], v[128:129], 0 op_sel_hi:[1,0]
	s_and_saveexec_b32 s4, s0
	s_cbranch_execz .LBB125_22
; %bb.21:
	scratch_load_b64 v[130:131], off, off offset:8
	v_mov_b32_e32 v7, 0
	ds_load_b64 v[132:133], v7 offset:504
	s_wait_loadcnt_dscnt 0x0
	v_pk_mul_f32 v[134:135], v[132:133], v[130:131] op_sel:[1,1] op_sel_hi:[0,1]
	s_delay_alu instid0(VALU_DEP_1) | instskip(SKIP_1) | instid1(VALU_DEP_2)
	v_pk_fma_f32 v[136:137], v[132:133], v[130:131], v[134:135] op_sel_hi:[1,0,1]
	v_pk_fma_f32 v[130:131], v[132:133], v[130:131], v[134:135] neg_lo:[0,0,1] neg_hi:[0,0,1]
	v_mov_b32_e32 v131, v137
	s_delay_alu instid0(VALU_DEP_1)
	v_pk_add_f32 v[128:129], v[128:129], v[130:131]
.LBB125_22:
	s_or_b32 exec_lo, exec_lo, s4
	v_mov_b32_e32 v7, 0
	ds_load_b64 v[130:131], v7 offset:16
	s_wait_dscnt 0x0
	v_pk_mul_f32 v[132:133], v[128:129], v[130:131] op_sel:[1,1] op_sel_hi:[0,1]
	s_delay_alu instid0(VALU_DEP_1) | instskip(SKIP_1) | instid1(VALU_DEP_2)
	v_pk_fma_f32 v[134:135], v[128:129], v[130:131], v[132:133] op_sel_hi:[1,0,1]
	v_pk_fma_f32 v[128:129], v[128:129], v[130:131], v[132:133] neg_lo:[0,0,1] neg_hi:[0,0,1]
	v_mov_b32_e32 v129, v135
	scratch_store_b64 off, v[128:129], off offset:16
.LBB125_23:
	s_wait_xcnt 0x0
	s_or_b32 exec_lo, exec_lo, s1
	s_wait_storecnt 0x0
	s_barrier_signal -1
	s_barrier_wait -1
	scratch_load_b64 v[128:129], off, off offset:24
	v_add_nc_u32_e32 v7, -1, v0
	s_mov_b32 s0, exec_lo
	s_wait_loadcnt 0x0
	ds_store_b64 v1, v[128:129]
	s_wait_dscnt 0x0
	s_barrier_signal -1
	s_barrier_wait -1
	v_cmpx_gt_u32_e32 3, v0
	s_cbranch_execz .LBB125_27
; %bb.24:
	v_dual_mov_b32 v128, 0 :: v_dual_add_nc_u32 v9, -1, v0
	v_add_nc_u32_e32 v11, 0x1f0, v126
	v_mov_b32_e32 v13, v126
	s_mov_b32 s1, 0
	s_delay_alu instid0(VALU_DEP_3)
	v_mov_b32_e32 v129, v128
.LBB125_25:                             ; =>This Inner Loop Header: Depth=1
	scratch_load_b64 v[130:131], v13, off
	ds_load_b64 v[132:133], v11
	s_wait_xcnt 0x0
	v_dual_add_nc_u32 v11, 8, v11 :: v_dual_add_nc_u32 v13, 8, v13
	s_wait_loadcnt_dscnt 0x0
	v_pk_mul_f32 v[134:135], v[132:133], v[130:131] op_sel:[1,1] op_sel_hi:[0,1]
	s_delay_alu instid0(VALU_DEP_1) | instskip(SKIP_2) | instid1(VALU_DEP_3)
	v_pk_fma_f32 v[136:137], v[132:133], v[130:131], v[134:135] op_sel_hi:[1,0,1]
	v_add_nc_u32_e32 v9, 1, v9
	v_pk_fma_f32 v[130:131], v[132:133], v[130:131], v[134:135] neg_lo:[0,0,1] neg_hi:[0,0,1]
	v_mov_b32_e32 v131, v137
	s_delay_alu instid0(VALU_DEP_3) | instskip(NEXT) | instid1(VALU_DEP_2)
	v_cmp_lt_u32_e32 vcc_lo, 1, v9
	v_pk_add_f32 v[128:129], v[128:129], v[130:131]
	s_or_b32 s1, vcc_lo, s1
	s_delay_alu instid0(SALU_CYCLE_1)
	s_and_not1_b32 exec_lo, exec_lo, s1
	s_cbranch_execnz .LBB125_25
; %bb.26:
	s_or_b32 exec_lo, exec_lo, s1
	v_mov_b32_e32 v9, 0
	ds_load_b64 v[130:131], v9 offset:24
	s_wait_dscnt 0x0
	v_pk_mul_f32 v[132:133], v[128:129], v[130:131] op_sel:[1,1] op_sel_hi:[0,1]
	s_delay_alu instid0(VALU_DEP_1) | instskip(SKIP_1) | instid1(VALU_DEP_2)
	v_pk_fma_f32 v[134:135], v[128:129], v[130:131], v[132:133] op_sel_hi:[1,0,1]
	v_pk_fma_f32 v[128:129], v[128:129], v[130:131], v[132:133] neg_lo:[0,0,1] neg_hi:[0,0,1]
	v_mov_b32_e32 v129, v135
	scratch_store_b64 off, v[128:129], off offset:24
.LBB125_27:
	s_wait_xcnt 0x0
	s_or_b32 exec_lo, exec_lo, s0
	s_wait_storecnt 0x0
	s_barrier_signal -1
	s_barrier_wait -1
	scratch_load_b64 v[128:129], off, off offset:32
	s_mov_b32 s0, exec_lo
	s_wait_loadcnt 0x0
	ds_store_b64 v1, v[128:129]
	s_wait_dscnt 0x0
	s_barrier_signal -1
	s_barrier_wait -1
	v_cmpx_gt_u32_e32 4, v0
	s_cbranch_execz .LBB125_31
; %bb.28:
	v_dual_mov_b32 v128, 0 :: v_dual_add_nc_u32 v9, -1, v0
	v_add_nc_u32_e32 v11, 0x1f0, v126
	v_mov_b32_e32 v13, v126
	s_mov_b32 s1, 0
	s_delay_alu instid0(VALU_DEP_3)
	v_mov_b32_e32 v129, v128
.LBB125_29:                             ; =>This Inner Loop Header: Depth=1
	scratch_load_b64 v[130:131], v13, off
	ds_load_b64 v[132:133], v11
	s_wait_xcnt 0x0
	v_dual_add_nc_u32 v11, 8, v11 :: v_dual_add_nc_u32 v13, 8, v13
	s_wait_loadcnt_dscnt 0x0
	v_pk_mul_f32 v[134:135], v[132:133], v[130:131] op_sel:[1,1] op_sel_hi:[0,1]
	s_delay_alu instid0(VALU_DEP_1) | instskip(SKIP_2) | instid1(VALU_DEP_3)
	v_pk_fma_f32 v[136:137], v[132:133], v[130:131], v[134:135] op_sel_hi:[1,0,1]
	v_add_nc_u32_e32 v9, 1, v9
	v_pk_fma_f32 v[130:131], v[132:133], v[130:131], v[134:135] neg_lo:[0,0,1] neg_hi:[0,0,1]
	v_mov_b32_e32 v131, v137
	s_delay_alu instid0(VALU_DEP_3) | instskip(NEXT) | instid1(VALU_DEP_2)
	v_cmp_lt_u32_e32 vcc_lo, 2, v9
	v_pk_add_f32 v[128:129], v[128:129], v[130:131]
	s_or_b32 s1, vcc_lo, s1
	s_delay_alu instid0(SALU_CYCLE_1)
	s_and_not1_b32 exec_lo, exec_lo, s1
	s_cbranch_execnz .LBB125_29
; %bb.30:
	s_or_b32 exec_lo, exec_lo, s1
	v_mov_b32_e32 v9, 0
	ds_load_b64 v[130:131], v9 offset:32
	s_wait_dscnt 0x0
	v_pk_mul_f32 v[132:133], v[128:129], v[130:131] op_sel:[1,1] op_sel_hi:[0,1]
	s_delay_alu instid0(VALU_DEP_1) | instskip(SKIP_1) | instid1(VALU_DEP_2)
	v_pk_fma_f32 v[134:135], v[128:129], v[130:131], v[132:133] op_sel_hi:[1,0,1]
	v_pk_fma_f32 v[128:129], v[128:129], v[130:131], v[132:133] neg_lo:[0,0,1] neg_hi:[0,0,1]
	v_mov_b32_e32 v129, v135
	scratch_store_b64 off, v[128:129], off offset:32
.LBB125_31:
	s_wait_xcnt 0x0
	s_or_b32 exec_lo, exec_lo, s0
	s_wait_storecnt 0x0
	s_barrier_signal -1
	s_barrier_wait -1
	scratch_load_b64 v[128:129], off, off offset:40
	;; [unrolled: 52-line block ×19, first 2 shown]
	s_mov_b32 s0, exec_lo
	s_wait_loadcnt 0x0
	ds_store_b64 v1, v[128:129]
	s_wait_dscnt 0x0
	s_barrier_signal -1
	s_barrier_wait -1
	v_cmpx_gt_u32_e32 22, v0
	s_cbranch_execz .LBB125_103
; %bb.100:
	v_dual_mov_b32 v128, 0 :: v_dual_add_nc_u32 v9, -1, v0
	v_add_nc_u32_e32 v11, 0x1f0, v126
	v_mov_b32_e32 v13, v126
	s_mov_b32 s1, 0
	s_delay_alu instid0(VALU_DEP_3)
	v_mov_b32_e32 v129, v128
.LBB125_101:                            ; =>This Inner Loop Header: Depth=1
	scratch_load_b64 v[130:131], v13, off
	ds_load_b64 v[132:133], v11
	s_wait_xcnt 0x0
	v_dual_add_nc_u32 v11, 8, v11 :: v_dual_add_nc_u32 v13, 8, v13
	s_wait_loadcnt_dscnt 0x0
	v_pk_mul_f32 v[134:135], v[132:133], v[130:131] op_sel:[1,1] op_sel_hi:[0,1]
	s_delay_alu instid0(VALU_DEP_1) | instskip(SKIP_2) | instid1(VALU_DEP_3)
	v_pk_fma_f32 v[136:137], v[132:133], v[130:131], v[134:135] op_sel_hi:[1,0,1]
	v_add_nc_u32_e32 v9, 1, v9
	v_pk_fma_f32 v[130:131], v[132:133], v[130:131], v[134:135] neg_lo:[0,0,1] neg_hi:[0,0,1]
	v_mov_b32_e32 v131, v137
	s_delay_alu instid0(VALU_DEP_3) | instskip(NEXT) | instid1(VALU_DEP_2)
	v_cmp_lt_u32_e32 vcc_lo, 20, v9
	v_pk_add_f32 v[128:129], v[128:129], v[130:131]
	s_or_b32 s1, vcc_lo, s1
	s_delay_alu instid0(SALU_CYCLE_1)
	s_and_not1_b32 exec_lo, exec_lo, s1
	s_cbranch_execnz .LBB125_101
; %bb.102:
	s_or_b32 exec_lo, exec_lo, s1
	v_mov_b32_e32 v9, 0
	ds_load_b64 v[130:131], v9 offset:176
	s_wait_dscnt 0x0
	v_pk_mul_f32 v[132:133], v[128:129], v[130:131] op_sel:[1,1] op_sel_hi:[0,1]
	s_delay_alu instid0(VALU_DEP_1) | instskip(SKIP_1) | instid1(VALU_DEP_2)
	v_pk_fma_f32 v[134:135], v[128:129], v[130:131], v[132:133] op_sel_hi:[1,0,1]
	v_pk_fma_f32 v[128:129], v[128:129], v[130:131], v[132:133] neg_lo:[0,0,1] neg_hi:[0,0,1]
	v_mov_b32_e32 v129, v135
	scratch_store_b64 off, v[128:129], off offset:176
.LBB125_103:
	s_wait_xcnt 0x0
	s_or_b32 exec_lo, exec_lo, s0
	s_wait_storecnt 0x0
	s_barrier_signal -1
	s_barrier_wait -1
	scratch_load_b64 v[128:129], off, off offset:184
	s_mov_b32 s0, exec_lo
	s_wait_loadcnt 0x0
	ds_store_b64 v1, v[128:129]
	s_wait_dscnt 0x0
	s_barrier_signal -1
	s_barrier_wait -1
	v_cmpx_gt_u32_e32 23, v0
	s_cbranch_execz .LBB125_107
; %bb.104:
	v_dual_mov_b32 v128, 0 :: v_dual_add_nc_u32 v9, -1, v0
	v_add_nc_u32_e32 v11, 0x1f0, v126
	v_mov_b32_e32 v13, v126
	s_mov_b32 s1, 0
	s_delay_alu instid0(VALU_DEP_3)
	v_mov_b32_e32 v129, v128
.LBB125_105:                            ; =>This Inner Loop Header: Depth=1
	scratch_load_b64 v[130:131], v13, off
	ds_load_b64 v[132:133], v11
	s_wait_xcnt 0x0
	v_dual_add_nc_u32 v11, 8, v11 :: v_dual_add_nc_u32 v13, 8, v13
	s_wait_loadcnt_dscnt 0x0
	v_pk_mul_f32 v[134:135], v[132:133], v[130:131] op_sel:[1,1] op_sel_hi:[0,1]
	s_delay_alu instid0(VALU_DEP_1) | instskip(SKIP_2) | instid1(VALU_DEP_3)
	v_pk_fma_f32 v[136:137], v[132:133], v[130:131], v[134:135] op_sel_hi:[1,0,1]
	v_add_nc_u32_e32 v9, 1, v9
	v_pk_fma_f32 v[130:131], v[132:133], v[130:131], v[134:135] neg_lo:[0,0,1] neg_hi:[0,0,1]
	v_mov_b32_e32 v131, v137
	s_delay_alu instid0(VALU_DEP_3) | instskip(NEXT) | instid1(VALU_DEP_2)
	v_cmp_lt_u32_e32 vcc_lo, 21, v9
	v_pk_add_f32 v[128:129], v[128:129], v[130:131]
	s_or_b32 s1, vcc_lo, s1
	s_delay_alu instid0(SALU_CYCLE_1)
	s_and_not1_b32 exec_lo, exec_lo, s1
	s_cbranch_execnz .LBB125_105
; %bb.106:
	s_or_b32 exec_lo, exec_lo, s1
	v_mov_b32_e32 v9, 0
	ds_load_b64 v[130:131], v9 offset:184
	s_wait_dscnt 0x0
	v_pk_mul_f32 v[132:133], v[128:129], v[130:131] op_sel:[1,1] op_sel_hi:[0,1]
	s_delay_alu instid0(VALU_DEP_1) | instskip(SKIP_1) | instid1(VALU_DEP_2)
	v_pk_fma_f32 v[134:135], v[128:129], v[130:131], v[132:133] op_sel_hi:[1,0,1]
	v_pk_fma_f32 v[128:129], v[128:129], v[130:131], v[132:133] neg_lo:[0,0,1] neg_hi:[0,0,1]
	v_mov_b32_e32 v129, v135
	scratch_store_b64 off, v[128:129], off offset:184
.LBB125_107:
	s_wait_xcnt 0x0
	s_or_b32 exec_lo, exec_lo, s0
	s_wait_storecnt 0x0
	s_barrier_signal -1
	s_barrier_wait -1
	scratch_load_b64 v[128:129], off, off offset:192
	;; [unrolled: 52-line block ×39, first 2 shown]
	s_mov_b32 s0, exec_lo
	s_wait_loadcnt 0x0
	ds_store_b64 v1, v[128:129]
	s_wait_dscnt 0x0
	s_barrier_signal -1
	s_barrier_wait -1
	v_cmpx_ne_u32_e32 61, v0
	s_cbranch_execz .LBB125_259
; %bb.256:
	v_dual_mov_b32 v128, 0 :: v_dual_mov_b32 v9, v126
	s_mov_b32 s1, 0
	s_delay_alu instid0(VALU_DEP_1)
	v_mov_b32_e32 v129, v128
.LBB125_257:                            ; =>This Inner Loop Header: Depth=1
	scratch_load_b64 v[126:127], v9, off
	ds_load_b64 v[130:131], v1
	v_add_nc_u32_e32 v1, 8, v1
	s_wait_xcnt 0x0
	v_add_nc_u32_e32 v9, 8, v9
	s_wait_loadcnt_dscnt 0x0
	v_pk_mul_f32 v[132:133], v[130:131], v[126:127] op_sel:[1,1] op_sel_hi:[0,1]
	s_delay_alu instid0(VALU_DEP_1) | instskip(SKIP_2) | instid1(VALU_DEP_3)
	v_pk_fma_f32 v[134:135], v[130:131], v[126:127], v[132:133] op_sel_hi:[1,0,1]
	v_add_nc_u32_e32 v7, 1, v7
	v_pk_fma_f32 v[126:127], v[130:131], v[126:127], v[132:133] neg_lo:[0,0,1] neg_hi:[0,0,1]
	v_mov_b32_e32 v127, v135
	s_delay_alu instid0(VALU_DEP_3) | instskip(NEXT) | instid1(VALU_DEP_2)
	v_cmp_lt_u32_e32 vcc_lo, 59, v7
	v_pk_add_f32 v[128:129], v[128:129], v[126:127]
	s_or_b32 s1, vcc_lo, s1
	s_delay_alu instid0(SALU_CYCLE_1)
	s_and_not1_b32 exec_lo, exec_lo, s1
	s_cbranch_execnz .LBB125_257
; %bb.258:
	s_or_b32 exec_lo, exec_lo, s1
	v_mov_b32_e32 v1, 0
	ds_load_b64 v[126:127], v1 offset:488
	s_wait_dscnt 0x0
	v_pk_mul_f32 v[130:131], v[128:129], v[126:127] op_sel:[1,1] op_sel_hi:[0,1]
	s_delay_alu instid0(VALU_DEP_1) | instskip(SKIP_1) | instid1(VALU_DEP_2)
	v_pk_fma_f32 v[132:133], v[128:129], v[126:127], v[130:131] op_sel_hi:[1,0,1]
	v_pk_fma_f32 v[126:127], v[128:129], v[126:127], v[130:131] neg_lo:[0,0,1] neg_hi:[0,0,1]
	v_mov_b32_e32 v127, v133
	scratch_store_b64 off, v[126:127], off offset:488
.LBB125_259:
	s_wait_xcnt 0x0
	s_or_b32 exec_lo, exec_lo, s0
	s_mov_b32 s1, -1
	s_wait_storecnt 0x0
	s_barrier_signal -1
	s_barrier_wait -1
.LBB125_260:
	s_and_b32 vcc_lo, exec_lo, s1
	s_cbranch_vccz .LBB125_262
; %bb.261:
	v_mov_b32_e32 v1, 0
	s_lshl_b64 s[0:1], s[10:11], 2
	s_delay_alu instid0(SALU_CYCLE_1)
	s_add_nc_u64 s[0:1], s[6:7], s[0:1]
	global_load_b32 v1, v1, s[0:1]
	s_wait_loadcnt 0x0
	v_cmp_ne_u32_e32 vcc_lo, 0, v1
	s_cbranch_vccz .LBB125_263
.LBB125_262:
	s_sendmsg sendmsg(MSG_DEALLOC_VGPRS)
	s_endpgm
.LBB125_263:
	s_wait_xcnt 0x0
	v_lshl_add_u32 v1, v0, 3, 0x1f0
	s_mov_b32 s0, exec_lo
	v_cmpx_eq_u32_e32 61, v0
	s_cbranch_execz .LBB125_265
; %bb.264:
	scratch_load_b64 v[126:127], off, off offset:480
	v_mov_b64_e32 v[128:129], 0
	scratch_store_b64 off, v[128:129], off offset:480
	s_wait_loadcnt 0x0
	ds_store_b64 v1, v[126:127]
.LBB125_265:
	s_wait_xcnt 0x0
	s_or_b32 exec_lo, exec_lo, s0
	s_wait_storecnt_dscnt 0x0
	s_barrier_signal -1
	s_barrier_wait -1
	s_clause 0x1
	scratch_load_b64 v[126:127], off, off offset:488
	scratch_load_b64 v[128:129], off, off offset:480
	v_mov_b32_e32 v7, 0
	s_mov_b32 s0, exec_lo
	ds_load_b64 v[130:131], v7 offset:984
	s_wait_loadcnt_dscnt 0x100
	v_pk_mul_f32 v[132:133], v[130:131], v[126:127] op_sel:[1,1] op_sel_hi:[0,1]
	s_delay_alu instid0(VALU_DEP_1) | instskip(SKIP_1) | instid1(VALU_DEP_2)
	v_pk_fma_f32 v[134:135], v[130:131], v[126:127], v[132:133] op_sel_hi:[1,0,1]
	v_pk_fma_f32 v[126:127], v[130:131], v[126:127], v[132:133] neg_lo:[0,0,1] neg_hi:[0,0,1]
	v_mov_b32_e32 v127, v135
	s_delay_alu instid0(VALU_DEP_1) | instskip(SKIP_1) | instid1(VALU_DEP_1)
	v_pk_add_f32 v[126:127], v[126:127], 0 op_sel_hi:[1,0]
	s_wait_loadcnt 0x0
	v_pk_add_f32 v[126:127], v[128:129], v[126:127] neg_lo:[0,1] neg_hi:[0,1]
	scratch_store_b64 off, v[126:127], off offset:480
	s_wait_xcnt 0x0
	v_cmpx_lt_u32_e32 59, v0
	s_cbranch_execz .LBB125_267
; %bb.266:
	scratch_load_b64 v[126:127], off, off offset:472
	v_mov_b64_e32 v[128:129], 0
	scratch_store_b64 off, v[128:129], off offset:472
	s_wait_loadcnt 0x0
	ds_store_b64 v1, v[126:127]
.LBB125_267:
	s_wait_xcnt 0x0
	s_or_b32 exec_lo, exec_lo, s0
	s_wait_storecnt_dscnt 0x0
	s_barrier_signal -1
	s_barrier_wait -1
	s_clause 0x1
	scratch_load_b128 v[126:129], off, off offset:480
	scratch_load_b64 v[134:135], off, off offset:472
	ds_load_b128 v[130:133], v7 offset:976
	s_mov_b32 s0, exec_lo
	s_wait_dscnt 0x0
	v_dual_mov_b32 v136, v133 :: v_dual_mov_b32 v137, v132
	s_wait_loadcnt 0x1
	v_pk_mul_f32 v[138:139], v[130:131], v[126:127] op_sel:[1,1] op_sel_hi:[0,1]
	s_delay_alu instid0(VALU_DEP_1) | instskip(SKIP_2) | instid1(VALU_DEP_3)
	v_pk_fma_f32 v[142:143], v[130:131], v[126:127], v[138:139] op_sel_hi:[1,0,1]
	v_mov_b32_e32 v140, v129
	v_pk_fma_f32 v[126:127], v[130:131], v[126:127], v[138:139] neg_lo:[0,0,1] neg_hi:[0,0,1]
	v_mov_b32_e32 v127, v143
	s_delay_alu instid0(VALU_DEP_3) | instskip(NEXT) | instid1(VALU_DEP_2)
	v_pk_mul_f32 v[136:137], v[136:137], v[140:141] op_sel_hi:[1,0]
	v_pk_add_f32 v[126:127], v[126:127], 0 op_sel_hi:[1,0]
	s_delay_alu instid0(VALU_DEP_2) | instskip(SKIP_1) | instid1(VALU_DEP_2)
	v_pk_fma_f32 v[130:131], v[132:133], v[128:129], v[136:137] op_sel_hi:[1,0,1]
	v_pk_fma_f32 v[128:129], v[132:133], v[128:129], v[136:137] neg_lo:[0,0,1] neg_hi:[0,0,1]
	v_mov_b32_e32 v129, v131
	s_delay_alu instid0(VALU_DEP_1) | instskip(SKIP_1) | instid1(VALU_DEP_1)
	v_pk_add_f32 v[126:127], v[126:127], v[128:129]
	s_wait_loadcnt 0x0
	v_pk_add_f32 v[126:127], v[134:135], v[126:127] neg_lo:[0,1] neg_hi:[0,1]
	scratch_store_b64 off, v[126:127], off offset:472
	s_wait_xcnt 0x0
	v_cmpx_lt_u32_e32 58, v0
	s_cbranch_execz .LBB125_269
; %bb.268:
	scratch_load_b64 v[126:127], off, off offset:464
	v_mov_b64_e32 v[128:129], 0
	scratch_store_b64 off, v[128:129], off offset:464
	s_wait_loadcnt 0x0
	ds_store_b64 v1, v[126:127]
.LBB125_269:
	s_wait_xcnt 0x0
	s_or_b32 exec_lo, exec_lo, s0
	s_wait_storecnt_dscnt 0x0
	s_barrier_signal -1
	s_barrier_wait -1
	s_clause 0x2
	scratch_load_b128 v[126:129], off, off offset:472
	scratch_load_b64 v[134:135], off, off offset:488
	scratch_load_b64 v[136:137], off, off offset:464
	v_mov_b32_e32 v7, 0
	ds_load_2addr_b64 v[130:133], v7 offset0:121 offset1:122
	ds_load_b64 v[138:139], v7 offset:984
	s_mov_b32 s0, exec_lo
	s_wait_dscnt 0x1
	v_dual_mov_b32 v140, v133 :: v_dual_mov_b32 v141, v132
	s_wait_loadcnt 0x2
	v_mov_b32_e32 v144, v129
	v_pk_mul_f32 v[142:143], v[130:131], v[126:127] op_sel:[1,1] op_sel_hi:[0,1]
	s_delay_alu instid0(VALU_DEP_2) | instskip(NEXT) | instid1(VALU_DEP_2)
	v_pk_mul_f32 v[140:141], v[140:141], v[144:145] op_sel_hi:[1,0]
	v_pk_fma_f32 v[146:147], v[130:131], v[126:127], v[142:143] op_sel_hi:[1,0,1]
	v_pk_fma_f32 v[126:127], v[130:131], v[126:127], v[142:143] neg_lo:[0,0,1] neg_hi:[0,0,1]
	s_wait_loadcnt_dscnt 0x100
	v_pk_mul_f32 v[142:143], v[138:139], v[134:135] op_sel:[1,1] op_sel_hi:[0,1]
	v_pk_fma_f32 v[130:131], v[132:133], v[128:129], v[140:141] op_sel_hi:[1,0,1]
	v_mov_b32_e32 v127, v147
	v_pk_fma_f32 v[128:129], v[132:133], v[128:129], v[140:141] neg_lo:[0,0,1] neg_hi:[0,0,1]
	s_delay_alu instid0(VALU_DEP_4) | instskip(NEXT) | instid1(VALU_DEP_4)
	v_pk_fma_f32 v[132:133], v[138:139], v[134:135], v[142:143] neg_lo:[0,0,1] neg_hi:[0,0,1]
	v_mov_b32_e32 v129, v131
	s_delay_alu instid0(VALU_DEP_4) | instskip(SKIP_1) | instid1(VALU_DEP_2)
	v_pk_add_f32 v[126:127], v[126:127], 0 op_sel_hi:[1,0]
	v_pk_fma_f32 v[130:131], v[138:139], v[134:135], v[142:143] op_sel_hi:[1,0,1]
	v_pk_add_f32 v[126:127], v[126:127], v[128:129]
	s_delay_alu instid0(VALU_DEP_2) | instskip(NEXT) | instid1(VALU_DEP_1)
	v_mov_b32_e32 v133, v131
	v_pk_add_f32 v[126:127], v[126:127], v[132:133]
	s_wait_loadcnt 0x0
	s_delay_alu instid0(VALU_DEP_1)
	v_pk_add_f32 v[126:127], v[136:137], v[126:127] neg_lo:[0,1] neg_hi:[0,1]
	scratch_store_b64 off, v[126:127], off offset:464
	s_wait_xcnt 0x0
	v_cmpx_lt_u32_e32 57, v0
	s_cbranch_execz .LBB125_271
; %bb.270:
	scratch_load_b64 v[126:127], off, off offset:456
	v_mov_b64_e32 v[128:129], 0
	scratch_store_b64 off, v[128:129], off offset:456
	s_wait_loadcnt 0x0
	ds_store_b64 v1, v[126:127]
.LBB125_271:
	s_wait_xcnt 0x0
	s_or_b32 exec_lo, exec_lo, s0
	s_wait_storecnt_dscnt 0x0
	s_barrier_signal -1
	s_barrier_wait -1
	s_clause 0x2
	scratch_load_b128 v[126:129], off, off offset:464
	scratch_load_b128 v[130:133], off, off offset:480
	scratch_load_b64 v[142:143], off, off offset:456
	ds_load_b128 v[134:137], v7 offset:960
	ds_load_b128 v[138:141], v7 offset:976
	s_mov_b32 s0, exec_lo
	s_wait_dscnt 0x1
	v_dual_mov_b32 v144, v137 :: v_dual_mov_b32 v145, v136
	s_wait_loadcnt_dscnt 0x200
	v_dual_mov_b32 v150, v141 :: v_dual_mov_b32 v148, v129
	v_pk_mul_f32 v[146:147], v[134:135], v[126:127] op_sel:[1,1] op_sel_hi:[0,1]
	s_delay_alu instid0(VALU_DEP_2) | instskip(NEXT) | instid1(VALU_DEP_2)
	v_pk_mul_f32 v[144:145], v[144:145], v[148:149] op_sel_hi:[1,0]
	v_pk_fma_f32 v[152:153], v[134:135], v[126:127], v[146:147] op_sel_hi:[1,0,1]
	v_pk_fma_f32 v[126:127], v[134:135], v[126:127], v[146:147] neg_lo:[0,0,1] neg_hi:[0,0,1]
	v_mov_b32_e32 v151, v140
	s_wait_loadcnt 0x1
	v_pk_mul_f32 v[148:149], v[138:139], v[130:131] op_sel:[1,1] op_sel_hi:[0,1]
	v_pk_fma_f32 v[134:135], v[136:137], v[128:129], v[144:145] op_sel_hi:[1,0,1]
	v_dual_mov_b32 v127, v153 :: v_dual_mov_b32 v134, v133
	v_pk_fma_f32 v[128:129], v[136:137], v[128:129], v[144:145] neg_lo:[0,0,1] neg_hi:[0,0,1]
	s_delay_alu instid0(VALU_DEP_4) | instskip(NEXT) | instid1(VALU_DEP_4)
	v_pk_fma_f32 v[146:147], v[138:139], v[130:131], v[148:149] op_sel_hi:[1,0,1]
	v_mov_b32_e32 v129, v135
	s_delay_alu instid0(VALU_DEP_4) | instskip(SKIP_2) | instid1(VALU_DEP_3)
	v_pk_add_f32 v[126:127], v[126:127], 0 op_sel_hi:[1,0]
	v_pk_mul_f32 v[134:135], v[150:151], v[134:135] op_sel_hi:[1,0]
	v_pk_fma_f32 v[130:131], v[138:139], v[130:131], v[148:149] neg_lo:[0,0,1] neg_hi:[0,0,1]
	v_pk_add_f32 v[126:127], v[126:127], v[128:129]
	s_delay_alu instid0(VALU_DEP_3) | instskip(SKIP_2) | instid1(VALU_DEP_3)
	v_pk_fma_f32 v[128:129], v[140:141], v[132:133], v[134:135] op_sel_hi:[1,0,1]
	v_mov_b32_e32 v131, v147
	v_pk_fma_f32 v[132:133], v[140:141], v[132:133], v[134:135] neg_lo:[0,0,1] neg_hi:[0,0,1]
	v_mov_b32_e32 v133, v129
	s_delay_alu instid0(VALU_DEP_3) | instskip(NEXT) | instid1(VALU_DEP_1)
	v_pk_add_f32 v[126:127], v[126:127], v[130:131]
	v_pk_add_f32 v[126:127], v[126:127], v[132:133]
	s_wait_loadcnt 0x0
	s_delay_alu instid0(VALU_DEP_1)
	v_pk_add_f32 v[126:127], v[142:143], v[126:127] neg_lo:[0,1] neg_hi:[0,1]
	scratch_store_b64 off, v[126:127], off offset:456
	s_wait_xcnt 0x0
	v_cmpx_lt_u32_e32 56, v0
	s_cbranch_execz .LBB125_273
; %bb.272:
	scratch_load_b64 v[126:127], off, off offset:448
	v_mov_b64_e32 v[128:129], 0
	scratch_store_b64 off, v[128:129], off offset:448
	s_wait_loadcnt 0x0
	ds_store_b64 v1, v[126:127]
.LBB125_273:
	s_wait_xcnt 0x0
	s_or_b32 exec_lo, exec_lo, s0
	s_wait_storecnt_dscnt 0x0
	s_barrier_signal -1
	s_barrier_wait -1
	s_clause 0x3
	scratch_load_b128 v[126:129], off, off offset:456
	scratch_load_b128 v[130:133], off, off offset:472
	scratch_load_b64 v[142:143], off, off offset:488
	scratch_load_b64 v[144:145], off, off offset:448
	v_mov_b32_e32 v7, 0
	ds_load_2addr_b64 v[134:137], v7 offset0:119 offset1:120
	ds_load_2addr_b64 v[138:141], v7 offset0:121 offset1:122
	s_mov_b32 s0, exec_lo
	s_wait_dscnt 0x1
	v_dual_mov_b32 v146, v137 :: v_dual_mov_b32 v147, v136
	ds_load_b64 v[152:153], v7 offset:984
	s_wait_dscnt 0x1
	v_dual_mov_b32 v154, v141 :: v_dual_mov_b32 v155, v140
	s_wait_loadcnt 0x3
	v_pk_mul_f32 v[148:149], v[134:135], v[126:127] op_sel:[1,1] op_sel_hi:[0,1]
	v_mov_b32_e32 v150, v129
	s_delay_alu instid0(VALU_DEP_2) | instskip(NEXT) | instid1(VALU_DEP_2)
	v_pk_fma_f32 v[156:157], v[134:135], v[126:127], v[148:149] op_sel_hi:[1,0,1]
	v_pk_mul_f32 v[146:147], v[146:147], v[150:151] op_sel_hi:[1,0]
	v_pk_fma_f32 v[126:127], v[134:135], v[126:127], v[148:149] neg_lo:[0,0,1] neg_hi:[0,0,1]
	s_wait_loadcnt 0x2
	v_pk_mul_f32 v[150:151], v[138:139], v[130:131] op_sel:[1,1] op_sel_hi:[0,1]
	v_dual_mov_b32 v156, v133 :: v_dual_mov_b32 v127, v157
	v_pk_fma_f32 v[134:135], v[136:137], v[128:129], v[146:147] op_sel_hi:[1,0,1]
	v_pk_fma_f32 v[128:129], v[136:137], v[128:129], v[146:147] neg_lo:[0,0,1] neg_hi:[0,0,1]
	s_delay_alu instid0(VALU_DEP_4) | instskip(NEXT) | instid1(VALU_DEP_4)
	v_pk_fma_f32 v[148:149], v[138:139], v[130:131], v[150:151] op_sel_hi:[1,0,1]
	v_pk_mul_f32 v[154:155], v[154:155], v[156:157] op_sel_hi:[1,0]
	v_pk_add_f32 v[126:127], v[126:127], 0 op_sel_hi:[1,0]
	v_mov_b32_e32 v129, v135
	v_pk_fma_f32 v[130:131], v[138:139], v[130:131], v[150:151] neg_lo:[0,0,1] neg_hi:[0,0,1]
	v_mov_b32_e32 v131, v149
	v_pk_fma_f32 v[134:135], v[140:141], v[132:133], v[154:155] op_sel_hi:[1,0,1]
	v_pk_fma_f32 v[132:133], v[140:141], v[132:133], v[154:155] neg_lo:[0,0,1] neg_hi:[0,0,1]
	v_pk_add_f32 v[126:127], v[126:127], v[128:129]
	s_wait_loadcnt_dscnt 0x100
	v_pk_mul_f32 v[128:129], v[152:153], v[142:143] op_sel:[1,1] op_sel_hi:[0,1]
	s_delay_alu instid0(VALU_DEP_2) | instskip(NEXT) | instid1(VALU_DEP_2)
	v_pk_add_f32 v[126:127], v[126:127], v[130:131]
	v_pk_fma_f32 v[130:131], v[152:153], v[142:143], v[128:129] op_sel_hi:[1,0,1]
	v_mov_b32_e32 v133, v135
	v_pk_fma_f32 v[128:129], v[152:153], v[142:143], v[128:129] neg_lo:[0,0,1] neg_hi:[0,0,1]
	s_delay_alu instid0(VALU_DEP_3) | instskip(NEXT) | instid1(VALU_DEP_3)
	v_mov_b32_e32 v129, v131
	v_pk_add_f32 v[126:127], v[126:127], v[132:133]
	s_delay_alu instid0(VALU_DEP_1) | instskip(SKIP_1) | instid1(VALU_DEP_1)
	v_pk_add_f32 v[126:127], v[126:127], v[128:129]
	s_wait_loadcnt 0x0
	v_pk_add_f32 v[126:127], v[144:145], v[126:127] neg_lo:[0,1] neg_hi:[0,1]
	scratch_store_b64 off, v[126:127], off offset:448
	s_wait_xcnt 0x0
	v_cmpx_lt_u32_e32 55, v0
	s_cbranch_execz .LBB125_275
; %bb.274:
	scratch_load_b64 v[126:127], off, off offset:440
	v_mov_b64_e32 v[128:129], 0
	scratch_store_b64 off, v[128:129], off offset:440
	s_wait_loadcnt 0x0
	ds_store_b64 v1, v[126:127]
.LBB125_275:
	s_wait_xcnt 0x0
	s_or_b32 exec_lo, exec_lo, s0
	s_wait_storecnt_dscnt 0x0
	s_barrier_signal -1
	s_barrier_wait -1
	s_clause 0x3
	scratch_load_b128 v[126:129], off, off offset:448
	scratch_load_b128 v[130:133], off, off offset:464
	;; [unrolled: 1-line block ×3, first 2 shown]
	scratch_load_b64 v[150:151], off, off offset:440
	ds_load_b128 v[138:141], v7 offset:944
	ds_load_b128 v[142:145], v7 offset:960
	;; [unrolled: 1-line block ×3, first 2 shown]
	s_mov_b32 s0, exec_lo
	s_wait_dscnt 0x2
	v_dual_mov_b32 v152, v141 :: v_dual_mov_b32 v153, v140
	s_wait_dscnt 0x1
	v_dual_mov_b32 v154, v145 :: v_dual_mov_b32 v155, v144
	;; [unrolled: 2-line block ×3, first 2 shown]
	s_wait_loadcnt 0x3
	v_pk_mul_f32 v[156:157], v[138:139], v[126:127] op_sel:[1,1] op_sel_hi:[0,1]
	v_mov_b32_e32 v158, v129
	s_delay_alu instid0(VALU_DEP_2) | instskip(NEXT) | instid1(VALU_DEP_2)
	v_pk_fma_f32 v[162:163], v[138:139], v[126:127], v[156:157] op_sel_hi:[1,0,1]
	v_pk_mul_f32 v[152:153], v[152:153], v[158:159] op_sel_hi:[1,0]
	v_pk_fma_f32 v[126:127], v[138:139], v[126:127], v[156:157] neg_lo:[0,0,1] neg_hi:[0,0,1]
	s_wait_loadcnt 0x2
	v_pk_mul_f32 v[158:159], v[142:143], v[130:131] op_sel:[1,1] op_sel_hi:[0,1]
	v_mov_b32_e32 v162, v133
	v_pk_fma_f32 v[138:139], v[140:141], v[128:129], v[152:153] op_sel_hi:[1,0,1]
	v_mov_b32_e32 v127, v163
	v_pk_fma_f32 v[128:129], v[140:141], v[128:129], v[152:153] neg_lo:[0,0,1] neg_hi:[0,0,1]
	v_pk_fma_f32 v[156:157], v[142:143], v[130:131], v[158:159] op_sel_hi:[1,0,1]
	v_pk_mul_f32 v[154:155], v[154:155], v[162:163] op_sel_hi:[1,0]
	v_mov_b32_e32 v129, v139
	v_pk_add_f32 v[126:127], v[126:127], 0 op_sel_hi:[1,0]
	v_pk_fma_f32 v[130:131], v[142:143], v[130:131], v[158:159] neg_lo:[0,0,1] neg_hi:[0,0,1]
	s_wait_loadcnt 0x1
	v_pk_mul_f32 v[138:139], v[146:147], v[134:135] op_sel:[1,1] op_sel_hi:[0,1]
	v_mov_b32_e32 v131, v157
	v_pk_fma_f32 v[140:141], v[144:145], v[132:133], v[154:155] op_sel_hi:[1,0,1]
	v_pk_add_f32 v[126:127], v[126:127], v[128:129]
	v_mov_b32_e32 v128, v137
	v_pk_fma_f32 v[132:133], v[144:145], v[132:133], v[154:155] neg_lo:[0,0,1] neg_hi:[0,0,1]
	v_pk_fma_f32 v[142:143], v[146:147], v[134:135], v[138:139] op_sel_hi:[1,0,1]
	v_mov_b32_e32 v133, v141
	v_pk_add_f32 v[126:127], v[126:127], v[130:131]
	v_pk_mul_f32 v[128:129], v[160:161], v[128:129] op_sel_hi:[1,0]
	v_pk_fma_f32 v[130:131], v[146:147], v[134:135], v[138:139] neg_lo:[0,0,1] neg_hi:[0,0,1]
	v_mov_b32_e32 v131, v143
	s_delay_alu instid0(VALU_DEP_4) | instskip(NEXT) | instid1(VALU_DEP_4)
	v_pk_add_f32 v[126:127], v[126:127], v[132:133]
	v_pk_fma_f32 v[132:133], v[148:149], v[136:137], v[128:129] op_sel_hi:[1,0,1]
	v_pk_fma_f32 v[128:129], v[148:149], v[136:137], v[128:129] neg_lo:[0,0,1] neg_hi:[0,0,1]
	s_delay_alu instid0(VALU_DEP_3) | instskip(NEXT) | instid1(VALU_DEP_3)
	v_pk_add_f32 v[126:127], v[126:127], v[130:131]
	v_mov_b32_e32 v129, v133
	s_delay_alu instid0(VALU_DEP_1) | instskip(SKIP_1) | instid1(VALU_DEP_1)
	v_pk_add_f32 v[126:127], v[126:127], v[128:129]
	s_wait_loadcnt 0x0
	v_pk_add_f32 v[126:127], v[150:151], v[126:127] neg_lo:[0,1] neg_hi:[0,1]
	scratch_store_b64 off, v[126:127], off offset:440
	s_wait_xcnt 0x0
	v_cmpx_lt_u32_e32 54, v0
	s_cbranch_execz .LBB125_277
; %bb.276:
	scratch_load_b64 v[126:127], off, off offset:432
	v_mov_b64_e32 v[128:129], 0
	scratch_store_b64 off, v[128:129], off offset:432
	s_wait_loadcnt 0x0
	ds_store_b64 v1, v[126:127]
.LBB125_277:
	s_wait_xcnt 0x0
	s_or_b32 exec_lo, exec_lo, s0
	s_wait_storecnt_dscnt 0x0
	s_barrier_signal -1
	s_barrier_wait -1
	s_clause 0x4
	scratch_load_b128 v[126:129], off, off offset:440
	scratch_load_b128 v[130:133], off, off offset:456
	;; [unrolled: 1-line block ×3, first 2 shown]
	scratch_load_b64 v[150:151], off, off offset:488
	scratch_load_b64 v[152:153], off, off offset:432
	v_mov_b32_e32 v7, 0
	ds_load_2addr_b64 v[138:141], v7 offset0:117 offset1:118
	ds_load_2addr_b64 v[142:145], v7 offset0:119 offset1:120
	;; [unrolled: 1-line block ×3, first 2 shown]
	ds_load_b64 v[154:155], v7 offset:984
	s_mov_b32 s0, exec_lo
	s_wait_dscnt 0x3
	v_dual_mov_b32 v156, v141 :: v_dual_mov_b32 v157, v140
	s_wait_dscnt 0x2
	v_dual_mov_b32 v158, v145 :: v_dual_mov_b32 v159, v144
	s_wait_dscnt 0x1
	v_dual_mov_b32 v164, v149 :: v_dual_mov_b32 v165, v148
	s_wait_loadcnt 0x4
	v_pk_mul_f32 v[160:161], v[138:139], v[126:127] op_sel:[1,1] op_sel_hi:[0,1]
	v_mov_b32_e32 v162, v129
	s_wait_loadcnt 0x3
	v_pk_mul_f32 v[166:167], v[142:143], v[130:131] op_sel:[1,1] op_sel_hi:[0,1]
	s_wait_loadcnt 0x2
	v_pk_mul_f32 v[170:171], v[146:147], v[134:135] op_sel:[1,1] op_sel_hi:[0,1]
	v_pk_fma_f32 v[168:169], v[138:139], v[126:127], v[160:161] op_sel_hi:[1,0,1]
	v_pk_mul_f32 v[156:157], v[156:157], v[162:163] op_sel_hi:[1,0]
	v_pk_fma_f32 v[126:127], v[138:139], v[126:127], v[160:161] neg_lo:[0,0,1] neg_hi:[0,0,1]
	v_mov_b32_e32 v162, v133
	v_pk_fma_f32 v[160:161], v[142:143], v[130:131], v[166:167] op_sel_hi:[1,0,1]
	v_mov_b32_e32 v127, v169
	v_pk_fma_f32 v[138:139], v[140:141], v[128:129], v[156:157] op_sel_hi:[1,0,1]
	v_pk_fma_f32 v[128:129], v[140:141], v[128:129], v[156:157] neg_lo:[0,0,1] neg_hi:[0,0,1]
	v_pk_mul_f32 v[158:159], v[158:159], v[162:163] op_sel_hi:[1,0]
	v_pk_fma_f32 v[130:131], v[142:143], v[130:131], v[166:167] neg_lo:[0,0,1] neg_hi:[0,0,1]
	v_pk_add_f32 v[126:127], v[126:127], 0 op_sel_hi:[1,0]
	v_dual_mov_b32 v129, v139 :: v_dual_mov_b32 v138, v137
	s_delay_alu instid0(VALU_DEP_4) | instskip(SKIP_2) | instid1(VALU_DEP_4)
	v_pk_fma_f32 v[140:141], v[144:145], v[132:133], v[158:159] op_sel_hi:[1,0,1]
	v_mov_b32_e32 v131, v161
	v_pk_fma_f32 v[132:133], v[144:145], v[132:133], v[158:159] neg_lo:[0,0,1] neg_hi:[0,0,1]
	v_pk_add_f32 v[126:127], v[126:127], v[128:129]
	v_pk_fma_f32 v[128:129], v[146:147], v[134:135], v[170:171] op_sel_hi:[1,0,1]
	v_pk_mul_f32 v[138:139], v[164:165], v[138:139] op_sel_hi:[1,0]
	v_mov_b32_e32 v133, v141
	s_delay_alu instid0(VALU_DEP_4)
	v_pk_add_f32 v[126:127], v[126:127], v[130:131]
	v_pk_fma_f32 v[130:131], v[146:147], v[134:135], v[170:171] neg_lo:[0,0,1] neg_hi:[0,0,1]
	v_mov_b32_e32 v131, v129
	v_pk_fma_f32 v[128:129], v[148:149], v[136:137], v[138:139] op_sel_hi:[1,0,1]
	v_pk_fma_f32 v[134:135], v[148:149], v[136:137], v[138:139] neg_lo:[0,0,1] neg_hi:[0,0,1]
	v_pk_add_f32 v[126:127], v[126:127], v[132:133]
	s_wait_loadcnt_dscnt 0x100
	v_pk_mul_f32 v[132:133], v[154:155], v[150:151] op_sel:[1,1] op_sel_hi:[0,1]
	v_mov_b32_e32 v135, v129
	s_delay_alu instid0(VALU_DEP_3) | instskip(NEXT) | instid1(VALU_DEP_3)
	v_pk_add_f32 v[126:127], v[126:127], v[130:131]
	v_pk_fma_f32 v[128:129], v[154:155], v[150:151], v[132:133] op_sel_hi:[1,0,1]
	v_pk_fma_f32 v[130:131], v[154:155], v[150:151], v[132:133] neg_lo:[0,0,1] neg_hi:[0,0,1]
	s_delay_alu instid0(VALU_DEP_3) | instskip(NEXT) | instid1(VALU_DEP_3)
	v_pk_add_f32 v[126:127], v[126:127], v[134:135]
	v_mov_b32_e32 v131, v129
	s_delay_alu instid0(VALU_DEP_1) | instskip(SKIP_1) | instid1(VALU_DEP_1)
	v_pk_add_f32 v[126:127], v[126:127], v[130:131]
	s_wait_loadcnt 0x0
	v_pk_add_f32 v[126:127], v[152:153], v[126:127] neg_lo:[0,1] neg_hi:[0,1]
	scratch_store_b64 off, v[126:127], off offset:432
	s_wait_xcnt 0x0
	v_cmpx_lt_u32_e32 53, v0
	s_cbranch_execz .LBB125_279
; %bb.278:
	scratch_load_b64 v[126:127], off, off offset:424
	v_mov_b64_e32 v[128:129], 0
	scratch_store_b64 off, v[128:129], off offset:424
	s_wait_loadcnt 0x0
	ds_store_b64 v1, v[126:127]
.LBB125_279:
	s_wait_xcnt 0x0
	s_or_b32 exec_lo, exec_lo, s0
	s_wait_storecnt_dscnt 0x0
	s_barrier_signal -1
	s_barrier_wait -1
	s_clause 0x4
	scratch_load_b128 v[126:129], off, off offset:432
	scratch_load_b128 v[130:133], off, off offset:448
	;; [unrolled: 1-line block ×4, first 2 shown]
	scratch_load_b64 v[158:159], off, off offset:424
	ds_load_b128 v[142:145], v7 offset:928
	ds_load_b128 v[146:149], v7 offset:944
	;; [unrolled: 1-line block ×4, first 2 shown]
	s_mov_b32 s0, exec_lo
	s_wait_dscnt 0x3
	v_dual_mov_b32 v160, v145 :: v_dual_mov_b32 v161, v144
	s_wait_dscnt 0x2
	v_dual_mov_b32 v162, v149 :: v_dual_mov_b32 v163, v148
	;; [unrolled: 2-line block ×3, first 2 shown]
	v_dual_mov_b32 v165, v152 :: v_dual_mov_b32 v170, v157
	s_wait_loadcnt 0x4
	v_mov_b32_e32 v168, v129
	v_pk_mul_f32 v[166:167], v[142:143], v[126:127] op_sel:[1,1] op_sel_hi:[0,1]
	s_wait_loadcnt 0x3
	v_pk_mul_f32 v[172:173], v[146:147], v[130:131] op_sel:[1,1] op_sel_hi:[0,1]
	s_wait_loadcnt 0x2
	v_pk_mul_f32 v[176:177], v[150:151], v[134:135] op_sel:[1,1] op_sel_hi:[0,1]
	v_pk_mul_f32 v[160:161], v[160:161], v[168:169] op_sel_hi:[1,0]
	v_pk_fma_f32 v[174:175], v[142:143], v[126:127], v[166:167] op_sel_hi:[1,0,1]
	v_pk_fma_f32 v[126:127], v[142:143], v[126:127], v[166:167] neg_lo:[0,0,1] neg_hi:[0,0,1]
	v_mov_b32_e32 v168, v133
	v_pk_fma_f32 v[166:167], v[146:147], v[130:131], v[172:173] op_sel_hi:[1,0,1]
	v_pk_fma_f32 v[142:143], v[144:145], v[128:129], v[160:161] op_sel_hi:[1,0,1]
	v_mov_b32_e32 v127, v175
	v_pk_fma_f32 v[128:129], v[144:145], v[128:129], v[160:161] neg_lo:[0,0,1] neg_hi:[0,0,1]
	v_pk_mul_f32 v[162:163], v[162:163], v[168:169] op_sel_hi:[1,0]
	s_delay_alu instid0(VALU_DEP_4) | instskip(NEXT) | instid1(VALU_DEP_4)
	v_dual_mov_b32 v142, v137 :: v_dual_mov_b32 v129, v143
	v_pk_add_f32 v[126:127], v[126:127], 0 op_sel_hi:[1,0]
	v_pk_fma_f32 v[130:131], v[146:147], v[130:131], v[172:173] neg_lo:[0,0,1] neg_hi:[0,0,1]
	v_mov_b32_e32 v131, v167
	v_pk_fma_f32 v[144:145], v[148:149], v[132:133], v[162:163] op_sel_hi:[1,0,1]
	v_pk_mul_f32 v[142:143], v[164:165], v[142:143] op_sel_hi:[1,0]
	v_pk_add_f32 v[126:127], v[126:127], v[128:129]
	v_pk_fma_f32 v[128:129], v[150:151], v[134:135], v[176:177] op_sel_hi:[1,0,1]
	v_pk_fma_f32 v[132:133], v[148:149], v[132:133], v[162:163] neg_lo:[0,0,1] neg_hi:[0,0,1]
	v_mov_b32_e32 v133, v145
	v_pk_fma_f32 v[134:135], v[150:151], v[134:135], v[176:177] neg_lo:[0,0,1] neg_hi:[0,0,1]
	v_pk_add_f32 v[126:127], v[126:127], v[130:131]
	v_mov_b32_e32 v135, v129
	v_pk_fma_f32 v[128:129], v[152:153], v[136:137], v[142:143] op_sel_hi:[1,0,1]
	s_wait_loadcnt 0x1
	v_pk_mul_f32 v[130:131], v[154:155], v[138:139] op_sel:[1,1] op_sel_hi:[0,1]
	v_mov_b32_e32 v128, v141
	v_pk_add_f32 v[126:127], v[126:127], v[132:133]
	v_pk_fma_f32 v[136:137], v[152:153], v[136:137], v[142:143] neg_lo:[0,0,1] neg_hi:[0,0,1]
	v_mov_b32_e32 v137, v129
	v_pk_fma_f32 v[132:133], v[154:155], v[138:139], v[130:131] op_sel_hi:[1,0,1]
	v_pk_mul_f32 v[128:129], v[170:171], v[128:129] op_sel_hi:[1,0]
	v_pk_add_f32 v[126:127], v[126:127], v[134:135]
	v_pk_fma_f32 v[130:131], v[154:155], v[138:139], v[130:131] neg_lo:[0,0,1] neg_hi:[0,0,1]
	s_delay_alu instid0(VALU_DEP_4) | instskip(NEXT) | instid1(VALU_DEP_4)
	v_mov_b32_e32 v131, v133
	v_pk_fma_f32 v[132:133], v[156:157], v[140:141], v[128:129] op_sel_hi:[1,0,1]
	s_delay_alu instid0(VALU_DEP_4) | instskip(SKIP_1) | instid1(VALU_DEP_3)
	v_pk_add_f32 v[126:127], v[126:127], v[136:137]
	v_pk_fma_f32 v[128:129], v[156:157], v[140:141], v[128:129] neg_lo:[0,0,1] neg_hi:[0,0,1]
	v_mov_b32_e32 v129, v133
	s_delay_alu instid0(VALU_DEP_3) | instskip(NEXT) | instid1(VALU_DEP_1)
	v_pk_add_f32 v[126:127], v[126:127], v[130:131]
	v_pk_add_f32 v[126:127], v[126:127], v[128:129]
	s_wait_loadcnt 0x0
	s_delay_alu instid0(VALU_DEP_1)
	v_pk_add_f32 v[126:127], v[158:159], v[126:127] neg_lo:[0,1] neg_hi:[0,1]
	scratch_store_b64 off, v[126:127], off offset:424
	s_wait_xcnt 0x0
	v_cmpx_lt_u32_e32 52, v0
	s_cbranch_execz .LBB125_281
; %bb.280:
	scratch_load_b64 v[126:127], off, off offset:416
	v_mov_b64_e32 v[128:129], 0
	scratch_store_b64 off, v[128:129], off offset:416
	s_wait_loadcnt 0x0
	ds_store_b64 v1, v[126:127]
.LBB125_281:
	s_wait_xcnt 0x0
	s_or_b32 exec_lo, exec_lo, s0
	s_wait_storecnt_dscnt 0x0
	s_barrier_signal -1
	s_barrier_wait -1
	s_clause 0x5
	scratch_load_b128 v[126:129], off, off offset:424
	scratch_load_b128 v[130:133], off, off offset:440
	;; [unrolled: 1-line block ×4, first 2 shown]
	scratch_load_b64 v[158:159], off, off offset:488
	scratch_load_b64 v[160:161], off, off offset:416
	v_mov_b32_e32 v7, 0
	ds_load_2addr_b64 v[142:145], v7 offset0:115 offset1:116
	ds_load_2addr_b64 v[146:149], v7 offset0:117 offset1:118
	;; [unrolled: 1-line block ×4, first 2 shown]
	ds_load_b64 v[162:163], v7 offset:984
	s_mov_b32 s0, exec_lo
	s_wait_dscnt 0x4
	v_dual_mov_b32 v164, v145 :: v_dual_mov_b32 v165, v144
	s_wait_dscnt 0x1
	v_dual_mov_b32 v166, v149 :: v_dual_mov_b32 v171, v156
	v_dual_mov_b32 v167, v148 :: v_dual_mov_b32 v168, v153
	;; [unrolled: 1-line block ×3, first 2 shown]
	s_wait_loadcnt 0x5
	v_dual_mov_b32 v172, v129 :: v_dual_mul_f32 v173, v142, v127
	v_mul_f32_e32 v9, v143, v127
	s_wait_loadcnt 0x4
	v_pk_mul_f32 v[174:175], v[146:147], v[130:131] op_sel:[1,1] op_sel_hi:[0,1]
	v_mov_b32_e32 v176, v133
	s_wait_loadcnt 0x3
	v_pk_mul_f32 v[178:179], v[150:151], v[134:135] op_sel:[1,1] op_sel_hi:[0,1]
	v_pk_mul_f32 v[164:165], v[164:165], v[172:173] op_sel_hi:[1,0]
	v_fmac_f32_e32 v173, v143, v126
	v_dual_fma_f32 v172, v142, v126, -v9 :: v_dual_mov_b32 v126, v137
	v_pk_fma_f32 v[180:181], v[146:147], v[130:131], v[174:175] op_sel_hi:[1,0,1]
	s_delay_alu instid0(VALU_DEP_4)
	v_pk_fma_f32 v[142:143], v[144:145], v[128:129], v[164:165] op_sel_hi:[1,0,1]
	v_pk_fma_f32 v[128:129], v[144:145], v[128:129], v[164:165] neg_lo:[0,0,1] neg_hi:[0,0,1]
	v_pk_mul_f32 v[166:167], v[166:167], v[176:177] op_sel_hi:[1,0]
	v_pk_add_f32 v[172:173], v[172:173], 0 op_sel_hi:[1,0]
	v_pk_fma_f32 v[130:131], v[146:147], v[130:131], v[174:175] neg_lo:[0,0,1] neg_hi:[0,0,1]
	v_dual_mov_b32 v129, v143 :: v_dual_mov_b32 v131, v181
	s_delay_alu instid0(VALU_DEP_4) | instskip(SKIP_2) | instid1(VALU_DEP_4)
	v_pk_fma_f32 v[144:145], v[148:149], v[132:133], v[166:167] op_sel_hi:[1,0,1]
	v_pk_fma_f32 v[132:133], v[148:149], v[132:133], v[166:167] neg_lo:[0,0,1] neg_hi:[0,0,1]
	v_pk_fma_f32 v[146:147], v[150:151], v[134:135], v[178:179] op_sel_hi:[1,0,1]
	v_pk_add_f32 v[128:129], v[172:173], v[128:129]
	v_pk_mul_f32 v[126:127], v[168:169], v[126:127] op_sel_hi:[1,0]
	v_mov_b32_e32 v133, v145
	v_pk_fma_f32 v[134:135], v[150:151], v[134:135], v[178:179] neg_lo:[0,0,1] neg_hi:[0,0,1]
	s_wait_loadcnt 0x2
	v_pk_mul_f32 v[142:143], v[154:155], v[138:139] op_sel:[1,1] op_sel_hi:[0,1]
	v_pk_add_f32 v[128:129], v[128:129], v[130:131]
	v_mov_b32_e32 v130, v141
	v_pk_fma_f32 v[144:145], v[152:153], v[136:137], v[126:127] op_sel_hi:[1,0,1]
	v_mov_b32_e32 v135, v147
	v_pk_fma_f32 v[126:127], v[152:153], v[136:137], v[126:127] neg_lo:[0,0,1] neg_hi:[0,0,1]
	v_pk_add_f32 v[128:129], v[128:129], v[132:133]
	v_pk_fma_f32 v[132:133], v[154:155], v[138:139], v[142:143] op_sel_hi:[1,0,1]
	v_pk_mul_f32 v[130:131], v[170:171], v[130:131] op_sel_hi:[1,0]
	v_mov_b32_e32 v127, v145
	s_delay_alu instid0(VALU_DEP_4)
	v_pk_add_f32 v[128:129], v[128:129], v[134:135]
	v_pk_fma_f32 v[134:135], v[154:155], v[138:139], v[142:143] neg_lo:[0,0,1] neg_hi:[0,0,1]
	v_mov_b32_e32 v135, v133
	v_pk_fma_f32 v[132:133], v[156:157], v[140:141], v[130:131] op_sel_hi:[1,0,1]
	v_pk_fma_f32 v[130:131], v[156:157], v[140:141], v[130:131] neg_lo:[0,0,1] neg_hi:[0,0,1]
	v_pk_add_f32 v[126:127], v[128:129], v[126:127]
	s_wait_loadcnt_dscnt 0x100
	v_pk_mul_f32 v[128:129], v[162:163], v[158:159] op_sel:[1,1] op_sel_hi:[0,1]
	v_mov_b32_e32 v131, v133
	s_delay_alu instid0(VALU_DEP_3) | instskip(NEXT) | instid1(VALU_DEP_3)
	v_pk_add_f32 v[126:127], v[126:127], v[134:135]
	v_pk_fma_f32 v[132:133], v[162:163], v[158:159], v[128:129] op_sel_hi:[1,0,1]
	v_pk_fma_f32 v[128:129], v[162:163], v[158:159], v[128:129] neg_lo:[0,0,1] neg_hi:[0,0,1]
	s_delay_alu instid0(VALU_DEP_3) | instskip(NEXT) | instid1(VALU_DEP_3)
	v_pk_add_f32 v[126:127], v[126:127], v[130:131]
	v_mov_b32_e32 v129, v133
	s_delay_alu instid0(VALU_DEP_1) | instskip(SKIP_1) | instid1(VALU_DEP_1)
	v_pk_add_f32 v[126:127], v[126:127], v[128:129]
	s_wait_loadcnt 0x0
	v_pk_add_f32 v[126:127], v[160:161], v[126:127] neg_lo:[0,1] neg_hi:[0,1]
	scratch_store_b64 off, v[126:127], off offset:416
	s_wait_xcnt 0x0
	v_cmpx_lt_u32_e32 51, v0
	s_cbranch_execz .LBB125_283
; %bb.282:
	scratch_load_b64 v[126:127], off, off offset:408
	v_mov_b64_e32 v[128:129], 0
	scratch_store_b64 off, v[128:129], off offset:408
	s_wait_loadcnt 0x0
	ds_store_b64 v1, v[126:127]
.LBB125_283:
	s_wait_xcnt 0x0
	s_or_b32 exec_lo, exec_lo, s0
	s_wait_storecnt_dscnt 0x0
	s_barrier_signal -1
	s_barrier_wait -1
	s_clause 0x5
	scratch_load_b128 v[126:129], off, off offset:416
	scratch_load_b128 v[130:133], off, off offset:432
	;; [unrolled: 1-line block ×5, first 2 shown]
	scratch_load_b64 v[166:167], off, off offset:408
	ds_load_b128 v[146:149], v7 offset:928
	ds_load_b128 v[150:153], v7 offset:944
	;; [unrolled: 1-line block ×5, first 2 shown]
	s_mov_b32 s0, exec_lo
	s_wait_dscnt 0x4
	v_dual_mov_b32 v168, v149 :: v_dual_mov_b32 v169, v148
	s_wait_dscnt 0x3
	v_dual_mov_b32 v170, v153 :: v_dual_mov_b32 v171, v152
	;; [unrolled: 2-line block ×4, first 2 shown]
	s_wait_loadcnt_dscnt 0x500
	v_dual_mul_f32 v177, v162, v127 :: v_dual_mul_f32 v179, v164, v129
	v_dual_mul_f32 v7, v163, v127 :: v_dual_mul_f32 v9, v165, v129
	s_wait_loadcnt 0x4
	v_pk_mul_f32 v[180:181], v[146:147], v[130:131] op_sel:[1,1] op_sel_hi:[0,1]
	s_wait_loadcnt 0x3
	v_dual_mov_b32 v182, v133 :: v_dual_mov_b32 v186, v137
	v_dual_fmac_f32 v177, v163, v126 :: v_dual_fma_f32 v176, v162, v126, -v7
	v_dual_fmac_f32 v179, v165, v128 :: v_dual_fma_f32 v178, v164, v128, -v9
	v_pk_fma_f32 v[126:127], v[146:147], v[130:131], v[180:181] op_sel_hi:[1,0,1]
	s_delay_alu instid0(VALU_DEP_4) | instskip(NEXT) | instid1(VALU_DEP_4)
	v_pk_mul_f32 v[128:129], v[168:169], v[182:183] op_sel_hi:[1,0]
	v_pk_add_f32 v[162:163], v[176:177], 0 op_sel_hi:[1,0]
	v_pk_fma_f32 v[130:131], v[146:147], v[130:131], v[180:181] neg_lo:[0,0,1] neg_hi:[0,0,1]
	v_pk_mul_f32 v[184:185], v[150:151], v[134:135] op_sel:[1,1] op_sel_hi:[0,1]
	v_mov_b32_e32 v131, v127
	v_pk_fma_f32 v[126:127], v[148:149], v[132:133], v[128:129] op_sel_hi:[1,0,1]
	v_pk_add_f32 v[146:147], v[162:163], v[178:179]
	v_pk_fma_f32 v[128:129], v[148:149], v[132:133], v[128:129] neg_lo:[0,0,1] neg_hi:[0,0,1]
	v_pk_fma_f32 v[162:163], v[150:151], v[134:135], v[184:185] op_sel_hi:[1,0,1]
	v_pk_mul_f32 v[168:169], v[170:171], v[186:187] op_sel_hi:[1,0]
	v_mov_b32_e32 v129, v127
	v_pk_add_f32 v[126:127], v[146:147], v[130:131]
	s_wait_loadcnt 0x2
	v_pk_mul_f32 v[164:165], v[154:155], v[138:139] op_sel:[1,1] op_sel_hi:[0,1]
	v_mov_b32_e32 v130, v141
	v_pk_fma_f32 v[132:133], v[150:151], v[134:135], v[184:185] neg_lo:[0,0,1] neg_hi:[0,0,1]
	v_mov_b32_e32 v133, v163
	v_pk_fma_f32 v[134:135], v[152:153], v[136:137], v[168:169] op_sel_hi:[1,0,1]
	v_pk_add_f32 v[126:127], v[126:127], v[128:129]
	v_pk_fma_f32 v[128:129], v[154:155], v[138:139], v[164:165] op_sel_hi:[1,0,1]
	v_pk_mul_f32 v[130:131], v[172:173], v[130:131] op_sel_hi:[1,0]
	v_pk_fma_f32 v[136:137], v[152:153], v[136:137], v[168:169] neg_lo:[0,0,1] neg_hi:[0,0,1]
	v_mov_b32_e32 v137, v135
	v_pk_add_f32 v[126:127], v[126:127], v[132:133]
	v_pk_fma_f32 v[134:135], v[154:155], v[138:139], v[164:165] neg_lo:[0,0,1] neg_hi:[0,0,1]
	v_mov_b32_e32 v135, v129
	v_pk_fma_f32 v[128:129], v[156:157], v[140:141], v[130:131] op_sel_hi:[1,0,1]
	s_wait_loadcnt 0x1
	v_pk_mul_f32 v[132:133], v[158:159], v[142:143] op_sel:[1,1] op_sel_hi:[0,1]
	v_pk_add_f32 v[126:127], v[126:127], v[136:137]
	v_mov_b32_e32 v128, v145
	v_pk_fma_f32 v[130:131], v[156:157], v[140:141], v[130:131] neg_lo:[0,0,1] neg_hi:[0,0,1]
	v_mov_b32_e32 v131, v129
	v_pk_fma_f32 v[136:137], v[158:159], v[142:143], v[132:133] op_sel_hi:[1,0,1]
	v_pk_add_f32 v[126:127], v[126:127], v[134:135]
	v_pk_mul_f32 v[128:129], v[174:175], v[128:129] op_sel_hi:[1,0]
	v_pk_fma_f32 v[132:133], v[158:159], v[142:143], v[132:133] neg_lo:[0,0,1] neg_hi:[0,0,1]
	s_delay_alu instid0(VALU_DEP_3) | instskip(NEXT) | instid1(VALU_DEP_3)
	v_pk_add_f32 v[126:127], v[126:127], v[130:131]
	v_pk_fma_f32 v[130:131], v[160:161], v[144:145], v[128:129] op_sel_hi:[1,0,1]
	v_mov_b32_e32 v133, v137
	v_pk_fma_f32 v[128:129], v[160:161], v[144:145], v[128:129] neg_lo:[0,0,1] neg_hi:[0,0,1]
	s_delay_alu instid0(VALU_DEP_3) | instskip(NEXT) | instid1(VALU_DEP_3)
	v_mov_b32_e32 v129, v131
	v_pk_add_f32 v[126:127], v[126:127], v[132:133]
	s_delay_alu instid0(VALU_DEP_1) | instskip(SKIP_1) | instid1(VALU_DEP_1)
	v_pk_add_f32 v[126:127], v[126:127], v[128:129]
	s_wait_loadcnt 0x0
	v_pk_add_f32 v[126:127], v[166:167], v[126:127] neg_lo:[0,1] neg_hi:[0,1]
	scratch_store_b64 off, v[126:127], off offset:408
	s_wait_xcnt 0x0
	v_cmpx_lt_u32_e32 50, v0
	s_cbranch_execz .LBB125_285
; %bb.284:
	scratch_load_b64 v[126:127], off, off offset:400
	v_mov_b64_e32 v[128:129], 0
	scratch_store_b64 off, v[128:129], off offset:400
	s_wait_loadcnt 0x0
	ds_store_b64 v1, v[126:127]
.LBB125_285:
	s_wait_xcnt 0x0
	s_or_b32 exec_lo, exec_lo, s0
	s_wait_storecnt_dscnt 0x0
	s_barrier_signal -1
	s_barrier_wait -1
	s_clause 0x6
	scratch_load_b128 v[126:129], off, off offset:408
	scratch_load_b128 v[130:133], off, off offset:424
	;; [unrolled: 1-line block ×5, first 2 shown]
	scratch_load_b64 v[166:167], off, off offset:488
	scratch_load_b64 v[168:169], off, off offset:400
	v_mov_b32_e32 v7, 0
	ds_load_2addr_b64 v[146:149], v7 offset0:115 offset1:116
	ds_load_2addr_b64 v[150:153], v7 offset0:117 offset1:118
	;; [unrolled: 1-line block ×5, first 2 shown]
	ds_load_b64 v[170:171], v7 offset:984
	s_mov_b32 s0, exec_lo
	s_wait_dscnt 0x5
	v_dual_mov_b32 v172, v149 :: v_dual_mov_b32 v173, v148
	s_wait_dscnt 0x2
	v_dual_mov_b32 v174, v153 :: v_dual_mov_b32 v179, v160
	v_dual_mov_b32 v175, v152 :: v_dual_mov_b32 v176, v157
	;; [unrolled: 1-line block ×3, first 2 shown]
	s_wait_loadcnt_dscnt 0x601
	v_dual_mul_f32 v9, v162, v127 :: v_dual_mul_f32 v11, v163, v127
	v_dual_mul_f32 v13, v165, v129 :: v_dual_mul_f32 v181, v164, v129
	s_wait_loadcnt 0x5
	v_dual_mul_f32 v183, v146, v131 :: v_dual_mul_f32 v15, v147, v131
	s_wait_loadcnt 0x4
	v_dual_mov_b32 v182, v133 :: v_dual_mov_b32 v186, v137
	v_dual_fmac_f32 v9, v163, v126 :: v_dual_fma_f32 v11, v162, v126, -v11
	v_fmac_f32_e32 v181, v165, v128
	v_pk_mul_f32 v[184:185], v[150:151], v[134:135] op_sel:[1,1] op_sel_hi:[0,1]
	s_delay_alu instid0(VALU_DEP_3)
	v_dual_fma_f32 v180, v164, v128, -v13 :: v_dual_add_f32 v129, 0, v9
	v_pk_mul_f32 v[126:127], v[172:173], v[182:183] op_sel_hi:[1,0]
	s_wait_loadcnt 0x3
	v_dual_add_f32 v128, 0, v11 :: v_dual_mov_b32 v162, v141
	v_fmac_f32_e32 v183, v147, v130
	v_fma_f32 v182, v146, v130, -v15
	v_pk_fma_f32 v[130:131], v[148:149], v[132:133], v[126:127] op_sel_hi:[1,0,1]
	s_delay_alu instid0(VALU_DEP_4) | instskip(SKIP_4) | instid1(VALU_DEP_4)
	v_pk_add_f32 v[128:129], v[128:129], v[180:181]
	v_pk_fma_f32 v[146:147], v[150:151], v[134:135], v[184:185] op_sel_hi:[1,0,1]
	v_pk_fma_f32 v[126:127], v[148:149], v[132:133], v[126:127] neg_lo:[0,0,1] neg_hi:[0,0,1]
	v_pk_fma_f32 v[132:133], v[150:151], v[134:135], v[184:185] neg_lo:[0,0,1] neg_hi:[0,0,1]
	v_pk_mul_f32 v[164:165], v[174:175], v[186:187] op_sel_hi:[1,0]
	v_dual_mov_b32 v127, v131 :: v_dual_mov_b32 v133, v147
	v_pk_add_f32 v[128:129], v[128:129], v[182:183]
	v_pk_mul_f32 v[188:189], v[154:155], v[138:139] op_sel:[1,1] op_sel_hi:[0,1]
	s_delay_alu instid0(VALU_DEP_4)
	v_pk_fma_f32 v[134:135], v[152:153], v[136:137], v[164:165] op_sel_hi:[1,0,1]
	v_pk_fma_f32 v[136:137], v[152:153], v[136:137], v[164:165] neg_lo:[0,0,1] neg_hi:[0,0,1]
	v_pk_mul_f32 v[146:147], v[176:177], v[162:163] op_sel_hi:[1,0]
	v_pk_add_f32 v[126:127], v[128:129], v[126:127]
	v_pk_fma_f32 v[128:129], v[154:155], v[138:139], v[188:189] op_sel_hi:[1,0,1]
	s_wait_loadcnt 0x2
	v_dual_mov_b32 v137, v135 :: v_dual_mov_b32 v128, v145
	v_pk_mul_f32 v[130:131], v[158:159], v[142:143] op_sel:[1,1] op_sel_hi:[0,1]
	v_pk_add_f32 v[126:127], v[126:127], v[132:133]
	v_pk_fma_f32 v[132:133], v[154:155], v[138:139], v[188:189] neg_lo:[0,0,1] neg_hi:[0,0,1]
	v_pk_fma_f32 v[134:135], v[156:157], v[140:141], v[146:147] op_sel_hi:[1,0,1]
	v_mov_b32_e32 v133, v129
	v_pk_fma_f32 v[138:139], v[156:157], v[140:141], v[146:147] neg_lo:[0,0,1] neg_hi:[0,0,1]
	v_pk_add_f32 v[126:127], v[126:127], v[136:137]
	v_pk_fma_f32 v[136:137], v[158:159], v[142:143], v[130:131] op_sel_hi:[1,0,1]
	v_pk_mul_f32 v[128:129], v[178:179], v[128:129] op_sel_hi:[1,0]
	v_mov_b32_e32 v139, v135
	v_pk_fma_f32 v[130:131], v[158:159], v[142:143], v[130:131] neg_lo:[0,0,1] neg_hi:[0,0,1]
	v_pk_add_f32 v[126:127], v[126:127], v[132:133]
	s_wait_loadcnt_dscnt 0x100
	v_pk_mul_f32 v[134:135], v[170:171], v[166:167] op_sel:[1,1] op_sel_hi:[0,1]
	v_pk_fma_f32 v[132:133], v[160:161], v[144:145], v[128:129] op_sel_hi:[1,0,1]
	v_mov_b32_e32 v131, v137
	v_pk_fma_f32 v[128:129], v[160:161], v[144:145], v[128:129] neg_lo:[0,0,1] neg_hi:[0,0,1]
	v_pk_add_f32 v[126:127], v[126:127], v[138:139]
	s_delay_alu instid0(VALU_DEP_4) | instskip(SKIP_1) | instid1(VALU_DEP_3)
	v_mov_b32_e32 v129, v133
	v_pk_fma_f32 v[132:133], v[170:171], v[166:167], v[134:135] neg_lo:[0,0,1] neg_hi:[0,0,1]
	v_pk_add_f32 v[126:127], v[126:127], v[130:131]
	v_pk_fma_f32 v[130:131], v[170:171], v[166:167], v[134:135] op_sel_hi:[1,0,1]
	s_delay_alu instid0(VALU_DEP_2) | instskip(NEXT) | instid1(VALU_DEP_2)
	v_pk_add_f32 v[126:127], v[126:127], v[128:129]
	v_mov_b32_e32 v133, v131
	s_delay_alu instid0(VALU_DEP_1) | instskip(SKIP_1) | instid1(VALU_DEP_1)
	v_pk_add_f32 v[126:127], v[126:127], v[132:133]
	s_wait_loadcnt 0x0
	v_pk_add_f32 v[126:127], v[168:169], v[126:127] neg_lo:[0,1] neg_hi:[0,1]
	scratch_store_b64 off, v[126:127], off offset:400
	s_wait_xcnt 0x0
	v_cmpx_lt_u32_e32 49, v0
	s_cbranch_execz .LBB125_287
; %bb.286:
	scratch_load_b64 v[126:127], off, off offset:392
	v_mov_b64_e32 v[128:129], 0
	scratch_store_b64 off, v[128:129], off offset:392
	s_wait_loadcnt 0x0
	ds_store_b64 v1, v[126:127]
.LBB125_287:
	s_wait_xcnt 0x0
	s_or_b32 exec_lo, exec_lo, s0
	s_wait_storecnt_dscnt 0x0
	s_barrier_signal -1
	s_barrier_wait -1
	s_clause 0x6
	scratch_load_b128 v[126:129], off, off offset:400
	scratch_load_b128 v[130:133], off, off offset:416
	;; [unrolled: 1-line block ×6, first 2 shown]
	scratch_load_b64 v[174:175], off, off offset:392
	ds_load_b128 v[150:153], v7 offset:928
	ds_load_b128 v[154:157], v7 offset:944
	;; [unrolled: 1-line block ×6, first 2 shown]
	s_mov_b32 s0, exec_lo
	s_wait_dscnt 0x5
	v_dual_mov_b32 v176, v153 :: v_dual_mov_b32 v177, v152
	s_wait_dscnt 0x4
	v_dual_mov_b32 v178, v157 :: v_dual_mov_b32 v179, v156
	;; [unrolled: 2-line block ×4, first 2 shown]
	s_wait_loadcnt_dscnt 0x601
	v_dual_mul_f32 v7, v166, v127 :: v_dual_mul_f32 v9, v168, v129
	v_dual_mul_f32 v11, v167, v127 :: v_dual_mul_f32 v13, v169, v129
	s_wait_loadcnt 0x4
	s_delay_alu instid0(VALU_DEP_2)
	v_dual_mov_b32 v190, v137 :: v_dual_fmac_f32 v7, v167, v126
	s_wait_dscnt 0x0
	v_dual_mul_f32 v185, v170, v131 :: v_dual_mul_f32 v187, v172, v133
	v_dual_fma_f32 v11, v166, v126, -v11 :: v_dual_fmac_f32 v9, v169, v128
	v_dual_mul_f32 v15, v171, v131 :: v_dual_mul_f32 v17, v173, v133
	v_dual_fma_f32 v13, v168, v128, -v13 :: v_dual_add_f32 v7, 0, v7
	s_wait_loadcnt 0x3
	s_delay_alu instid0(VALU_DEP_3) | instskip(SKIP_3) | instid1(VALU_DEP_4)
	v_dual_add_f32 v11, 0, v11 :: v_dual_mov_b32 v128, v141
	v_pk_mul_f32 v[188:189], v[150:151], v[134:135] op_sel:[1,1] op_sel_hi:[0,1]
	v_dual_fmac_f32 v185, v171, v130 :: v_dual_fma_f32 v184, v170, v130, -v15
	v_dual_add_f32 v131, v7, v9 :: v_dual_fmac_f32 v187, v173, v132
	v_dual_add_f32 v130, v11, v13 :: v_dual_fma_f32 v186, v172, v132, -v17
	s_delay_alu instid0(VALU_DEP_4) | instskip(SKIP_2) | instid1(VALU_DEP_4)
	v_pk_fma_f32 v[132:133], v[150:151], v[134:135], v[188:189] op_sel_hi:[1,0,1]
	v_pk_mul_f32 v[166:167], v[176:177], v[190:191] op_sel_hi:[1,0]
	v_pk_fma_f32 v[134:135], v[150:151], v[134:135], v[188:189] neg_lo:[0,0,1] neg_hi:[0,0,1]
	v_pk_add_f32 v[130:131], v[130:131], v[184:185]
	v_pk_mul_f32 v[126:127], v[154:155], v[138:139] op_sel:[1,1] op_sel_hi:[0,1]
	v_mov_b32_e32 v135, v133
	v_pk_fma_f32 v[132:133], v[152:153], v[136:137], v[166:167] op_sel_hi:[1,0,1]
	v_pk_fma_f32 v[136:137], v[152:153], v[136:137], v[166:167] neg_lo:[0,0,1] neg_hi:[0,0,1]
	v_pk_add_f32 v[130:131], v[130:131], v[186:187]
	v_pk_fma_f32 v[150:151], v[154:155], v[138:139], v[126:127] op_sel_hi:[1,0,1]
	v_pk_mul_f32 v[128:129], v[178:179], v[128:129] op_sel_hi:[1,0]
	v_mov_b32_e32 v137, v133
	v_pk_fma_f32 v[126:127], v[154:155], v[138:139], v[126:127] neg_lo:[0,0,1] neg_hi:[0,0,1]
	v_pk_add_f32 v[130:131], v[130:131], v[134:135]
	s_wait_loadcnt 0x2
	v_pk_mul_f32 v[168:169], v[158:159], v[142:143] op_sel:[1,1] op_sel_hi:[0,1]
	v_dual_mov_b32 v132, v145 :: v_dual_mov_b32 v127, v151
	v_pk_fma_f32 v[134:135], v[156:157], v[140:141], v[128:129] op_sel_hi:[1,0,1]
	v_pk_add_f32 v[130:131], v[130:131], v[136:137]
	v_pk_fma_f32 v[128:129], v[156:157], v[140:141], v[128:129] neg_lo:[0,0,1] neg_hi:[0,0,1]
	v_pk_fma_f32 v[136:137], v[158:159], v[142:143], v[168:169] op_sel_hi:[1,0,1]
	v_pk_mul_f32 v[132:133], v[180:181], v[132:133] op_sel_hi:[1,0]
	v_mov_b32_e32 v129, v135
	v_pk_add_f32 v[126:127], v[130:131], v[126:127]
	v_pk_fma_f32 v[134:135], v[158:159], v[142:143], v[168:169] neg_lo:[0,0,1] neg_hi:[0,0,1]
	s_wait_loadcnt 0x1
	v_pk_mul_f32 v[130:131], v[162:163], v[146:147] op_sel:[1,1] op_sel_hi:[0,1]
	v_mov_b32_e32 v135, v137
	v_pk_fma_f32 v[136:137], v[160:161], v[144:145], v[132:133] op_sel_hi:[1,0,1]
	v_pk_add_f32 v[126:127], v[126:127], v[128:129]
	v_mov_b32_e32 v128, v149
	v_pk_fma_f32 v[132:133], v[160:161], v[144:145], v[132:133] neg_lo:[0,0,1] neg_hi:[0,0,1]
	v_pk_fma_f32 v[138:139], v[162:163], v[146:147], v[130:131] op_sel_hi:[1,0,1]
	v_mov_b32_e32 v133, v137
	v_pk_add_f32 v[126:127], v[126:127], v[134:135]
	v_pk_mul_f32 v[128:129], v[182:183], v[128:129] op_sel_hi:[1,0]
	v_pk_fma_f32 v[130:131], v[162:163], v[146:147], v[130:131] neg_lo:[0,0,1] neg_hi:[0,0,1]
	s_delay_alu instid0(VALU_DEP_3) | instskip(NEXT) | instid1(VALU_DEP_3)
	v_pk_add_f32 v[126:127], v[126:127], v[132:133]
	v_pk_fma_f32 v[132:133], v[164:165], v[148:149], v[128:129] op_sel_hi:[1,0,1]
	v_mov_b32_e32 v131, v139
	v_pk_fma_f32 v[128:129], v[164:165], v[148:149], v[128:129] neg_lo:[0,0,1] neg_hi:[0,0,1]
	s_delay_alu instid0(VALU_DEP_3) | instskip(NEXT) | instid1(VALU_DEP_3)
	v_mov_b32_e32 v129, v133
	v_pk_add_f32 v[126:127], v[126:127], v[130:131]
	s_delay_alu instid0(VALU_DEP_1) | instskip(SKIP_1) | instid1(VALU_DEP_1)
	v_pk_add_f32 v[126:127], v[126:127], v[128:129]
	s_wait_loadcnt 0x0
	v_pk_add_f32 v[126:127], v[174:175], v[126:127] neg_lo:[0,1] neg_hi:[0,1]
	scratch_store_b64 off, v[126:127], off offset:392
	s_wait_xcnt 0x0
	v_cmpx_lt_u32_e32 48, v0
	s_cbranch_execz .LBB125_289
; %bb.288:
	scratch_load_b64 v[126:127], off, off offset:384
	v_mov_b64_e32 v[128:129], 0
	scratch_store_b64 off, v[128:129], off offset:384
	s_wait_loadcnt 0x0
	ds_store_b64 v1, v[126:127]
.LBB125_289:
	s_wait_xcnt 0x0
	s_or_b32 exec_lo, exec_lo, s0
	s_wait_storecnt_dscnt 0x0
	s_barrier_signal -1
	s_barrier_wait -1
	s_clause 0x7
	scratch_load_b128 v[126:129], off, off offset:392
	scratch_load_b128 v[130:133], off, off offset:408
	;; [unrolled: 1-line block ×6, first 2 shown]
	scratch_load_b64 v[174:175], off, off offset:488
	scratch_load_b64 v[176:177], off, off offset:384
	v_mov_b32_e32 v7, 0
	ds_load_2addr_b64 v[150:153], v7 offset0:115 offset1:116
	ds_load_2addr_b64 v[154:157], v7 offset0:117 offset1:118
	;; [unrolled: 1-line block ×6, first 2 shown]
	ds_load_b64 v[178:179], v7 offset:984
	s_mov_b32 s0, exec_lo
	s_wait_dscnt 0x6
	v_dual_mov_b32 v180, v153 :: v_dual_mov_b32 v181, v152
	s_wait_dscnt 0x3
	v_dual_mov_b32 v182, v157 :: v_dual_mov_b32 v187, v164
	v_dual_mov_b32 v183, v156 :: v_dual_mov_b32 v184, v161
	;; [unrolled: 1-line block ×3, first 2 shown]
	s_wait_loadcnt_dscnt 0x702
	v_dual_mul_f32 v9, v166, v127 :: v_dual_mul_f32 v15, v167, v127
	v_dual_mul_f32 v17, v169, v129 :: v_dual_mul_f32 v11, v168, v129
	s_wait_loadcnt_dscnt 0x601
	s_delay_alu instid0(VALU_DEP_2) | instskip(NEXT) | instid1(VALU_DEP_3)
	v_dual_mul_f32 v13, v170, v131 :: v_dual_fmac_f32 v9, v167, v126
	v_dual_fma_f32 v15, v166, v126, -v15 :: v_dual_mul_f32 v19, v171, v131
	v_mul_f32_e32 v21, v173, v133
	s_wait_loadcnt 0x4
	v_dual_mov_b32 v126, v141 :: v_dual_fma_f32 v17, v168, v128, -v17
	v_dual_fmac_f32 v11, v169, v128 :: v_dual_add_f32 v9, 0, v9
	v_dual_add_f32 v15, 0, v15 :: v_dual_fmac_f32 v13, v171, v130
	v_dual_mul_f32 v189, v172, v133 :: v_dual_mul_f32 v191, v150, v135
	v_dual_mul_f32 v23, v151, v135 :: v_dual_mov_b32 v190, v137
	s_delay_alu instid0(VALU_DEP_4) | instskip(NEXT) | instid1(VALU_DEP_3)
	v_dual_fma_f32 v19, v170, v130, -v19 :: v_dual_add_f32 v9, v9, v11
	v_dual_add_f32 v11, v15, v17 :: v_dual_fmac_f32 v189, v173, v132
	v_pk_mul_f32 v[192:193], v[154:155], v[138:139] op_sel:[1,1] op_sel_hi:[0,1]
	s_delay_alu instid0(VALU_DEP_3)
	v_dual_fma_f32 v188, v172, v132, -v21 :: v_dual_add_f32 v133, v9, v13
	v_pk_mul_f32 v[130:131], v[180:181], v[190:191] op_sel_hi:[1,0]
	s_wait_loadcnt 0x3
	v_dual_add_f32 v132, v11, v19 :: v_dual_mov_b32 v166, v145
	v_fmac_f32_e32 v191, v151, v134
	v_fma_f32 v190, v150, v134, -v23
	v_pk_fma_f32 v[134:135], v[152:153], v[136:137], v[130:131] op_sel_hi:[1,0,1]
	s_delay_alu instid0(VALU_DEP_4) | instskip(SKIP_4) | instid1(VALU_DEP_4)
	v_pk_add_f32 v[132:133], v[132:133], v[188:189]
	v_pk_fma_f32 v[150:151], v[154:155], v[138:139], v[192:193] op_sel_hi:[1,0,1]
	v_pk_fma_f32 v[130:131], v[152:153], v[136:137], v[130:131] neg_lo:[0,0,1] neg_hi:[0,0,1]
	v_pk_fma_f32 v[136:137], v[154:155], v[138:139], v[192:193] neg_lo:[0,0,1] neg_hi:[0,0,1]
	v_pk_mul_f32 v[126:127], v[182:183], v[126:127] op_sel_hi:[1,0]
	v_dual_mov_b32 v131, v135 :: v_dual_mov_b32 v137, v151
	v_pk_add_f32 v[132:133], v[132:133], v[190:191]
	v_pk_mul_f32 v[128:129], v[158:159], v[142:143] op_sel:[1,1] op_sel_hi:[0,1]
	s_delay_alu instid0(VALU_DEP_4)
	v_pk_fma_f32 v[138:139], v[156:157], v[140:141], v[126:127] op_sel_hi:[1,0,1]
	v_pk_fma_f32 v[126:127], v[156:157], v[140:141], v[126:127] neg_lo:[0,0,1] neg_hi:[0,0,1]
	v_pk_mul_f32 v[150:151], v[184:185], v[166:167] op_sel_hi:[1,0]
	v_pk_add_f32 v[130:131], v[132:133], v[130:131]
	v_pk_fma_f32 v[132:133], v[158:159], v[142:143], v[128:129] op_sel_hi:[1,0,1]
	s_wait_loadcnt 0x2
	v_dual_mov_b32 v127, v139 :: v_dual_mov_b32 v132, v149
	v_pk_fma_f32 v[128:129], v[158:159], v[142:143], v[128:129] neg_lo:[0,0,1] neg_hi:[0,0,1]
	v_pk_add_f32 v[130:131], v[130:131], v[136:137]
	v_pk_mul_f32 v[134:135], v[162:163], v[146:147] op_sel:[1,1] op_sel_hi:[0,1]
	v_pk_fma_f32 v[136:137], v[160:161], v[144:145], v[150:151] op_sel_hi:[1,0,1]
	v_mov_b32_e32 v129, v133
	v_pk_fma_f32 v[138:139], v[160:161], v[144:145], v[150:151] neg_lo:[0,0,1] neg_hi:[0,0,1]
	v_pk_add_f32 v[126:127], v[130:131], v[126:127]
	v_pk_fma_f32 v[130:131], v[162:163], v[146:147], v[134:135] op_sel_hi:[1,0,1]
	v_pk_mul_f32 v[132:133], v[186:187], v[132:133] op_sel_hi:[1,0]
	v_mov_b32_e32 v139, v137
	s_delay_alu instid0(VALU_DEP_4)
	v_pk_add_f32 v[126:127], v[126:127], v[128:129]
	v_pk_fma_f32 v[128:129], v[162:163], v[146:147], v[134:135] neg_lo:[0,0,1] neg_hi:[0,0,1]
	v_mov_b32_e32 v129, v131
	v_pk_fma_f32 v[130:131], v[164:165], v[148:149], v[132:133] op_sel_hi:[1,0,1]
	s_wait_loadcnt_dscnt 0x100
	v_pk_mul_f32 v[134:135], v[178:179], v[174:175] op_sel:[1,1] op_sel_hi:[0,1]
	v_pk_add_f32 v[126:127], v[126:127], v[138:139]
	v_pk_fma_f32 v[132:133], v[164:165], v[148:149], v[132:133] neg_lo:[0,0,1] neg_hi:[0,0,1]
	v_mov_b32_e32 v133, v131
	s_delay_alu instid0(VALU_DEP_4) | instskip(NEXT) | instid1(VALU_DEP_4)
	v_pk_fma_f32 v[130:131], v[178:179], v[174:175], v[134:135] neg_lo:[0,0,1] neg_hi:[0,0,1]
	v_pk_add_f32 v[126:127], v[126:127], v[128:129]
	v_pk_fma_f32 v[128:129], v[178:179], v[174:175], v[134:135] op_sel_hi:[1,0,1]
	s_delay_alu instid0(VALU_DEP_2) | instskip(NEXT) | instid1(VALU_DEP_2)
	v_pk_add_f32 v[126:127], v[126:127], v[132:133]
	v_mov_b32_e32 v131, v129
	s_delay_alu instid0(VALU_DEP_1) | instskip(SKIP_1) | instid1(VALU_DEP_1)
	v_pk_add_f32 v[126:127], v[126:127], v[130:131]
	s_wait_loadcnt 0x0
	v_pk_add_f32 v[126:127], v[176:177], v[126:127] neg_lo:[0,1] neg_hi:[0,1]
	scratch_store_b64 off, v[126:127], off offset:384
	s_wait_xcnt 0x0
	v_cmpx_lt_u32_e32 47, v0
	s_cbranch_execz .LBB125_291
; %bb.290:
	scratch_load_b64 v[126:127], off, off offset:376
	v_mov_b64_e32 v[128:129], 0
	scratch_store_b64 off, v[128:129], off offset:376
	s_wait_loadcnt 0x0
	ds_store_b64 v1, v[126:127]
.LBB125_291:
	s_wait_xcnt 0x0
	s_or_b32 exec_lo, exec_lo, s0
	s_wait_storecnt_dscnt 0x0
	s_barrier_signal -1
	s_barrier_wait -1
	s_clause 0x7
	scratch_load_b128 v[126:129], off, off offset:384
	scratch_load_b128 v[130:133], off, off offset:400
	;; [unrolled: 1-line block ×7, first 2 shown]
	scratch_load_b64 v[182:183], off, off offset:376
	ds_load_b128 v[154:157], v7 offset:928
	ds_load_b128 v[158:161], v7 offset:944
	;; [unrolled: 1-line block ×7, first 2 shown]
	s_mov_b32 s0, exec_lo
	s_wait_dscnt 0x6
	v_dual_mov_b32 v184, v157 :: v_dual_mov_b32 v185, v156
	s_wait_dscnt 0x5
	v_dual_mov_b32 v186, v161 :: v_dual_mov_b32 v187, v160
	;; [unrolled: 2-line block ×4, first 2 shown]
	s_wait_loadcnt_dscnt 0x702
	v_dual_mul_f32 v7, v170, v127 :: v_dual_mul_f32 v9, v172, v129
	v_dual_mul_f32 v15, v171, v127 :: v_dual_mul_f32 v17, v173, v129
	s_wait_loadcnt_dscnt 0x601
	v_dual_mul_f32 v11, v174, v131 :: v_dual_mul_f32 v13, v176, v133
	s_delay_alu instid0(VALU_DEP_3) | instskip(NEXT) | instid1(VALU_DEP_3)
	v_dual_fmac_f32 v7, v171, v126 :: v_dual_fmac_f32 v9, v173, v128
	v_dual_fma_f32 v15, v170, v126, -v15 :: v_dual_fma_f32 v17, v172, v128, -v17
	v_dual_mul_f32 v19, v175, v131 :: v_dual_mul_f32 v21, v177, v133
	s_wait_loadcnt 0x4
	s_delay_alu instid0(VALU_DEP_3) | instskip(NEXT) | instid1(VALU_DEP_3)
	v_dual_add_f32 v7, 0, v7 :: v_dual_mov_b32 v128, v141
	v_dual_add_f32 v15, 0, v15 :: v_dual_fmac_f32 v11, v175, v130
	s_delay_alu instid0(VALU_DEP_2) | instskip(SKIP_2) | instid1(VALU_DEP_3)
	v_dual_fma_f32 v19, v174, v130, -v19 :: v_dual_add_f32 v7, v7, v9
	s_wait_dscnt 0x0
	v_dual_mul_f32 v193, v178, v135 :: v_dual_mul_f32 v195, v180, v137
	v_dual_add_f32 v9, v15, v17 :: v_dual_fmac_f32 v13, v177, v132
	v_dual_mul_f32 v23, v179, v135 :: v_dual_mul_f32 v25, v181, v137
	v_dual_fma_f32 v15, v176, v132, -v21 :: v_dual_add_f32 v7, v7, v11
	s_delay_alu instid0(VALU_DEP_3) | instskip(SKIP_3) | instid1(VALU_DEP_3)
	v_dual_add_f32 v9, v9, v19 :: v_dual_fmac_f32 v193, v179, v134
	v_pk_mul_f32 v[126:127], v[154:155], v[138:139] op_sel:[1,1] op_sel_hi:[0,1]
	s_wait_loadcnt 0x3
	v_dual_mov_b32 v132, v145 :: v_dual_fma_f32 v192, v178, v134, -v23
	v_dual_add_f32 v135, v7, v13 :: v_dual_add_f32 v134, v9, v15
	v_dual_fmac_f32 v195, v181, v136 :: v_dual_fma_f32 v194, v180, v136, -v25
	v_pk_fma_f32 v[136:137], v[154:155], v[138:139], v[126:127] op_sel_hi:[1,0,1]
	v_pk_mul_f32 v[128:129], v[184:185], v[128:129] op_sel_hi:[1,0]
	s_delay_alu instid0(VALU_DEP_4)
	v_pk_add_f32 v[134:135], v[134:135], v[192:193]
	v_pk_fma_f32 v[126:127], v[154:155], v[138:139], v[126:127] neg_lo:[0,0,1] neg_hi:[0,0,1]
	v_pk_mul_f32 v[130:131], v[158:159], v[142:143] op_sel:[1,1] op_sel_hi:[0,1]
	v_mov_b32_e32 v127, v137
	v_pk_fma_f32 v[136:137], v[156:157], v[140:141], v[128:129] op_sel_hi:[1,0,1]
	v_pk_add_f32 v[134:135], v[134:135], v[194:195]
	v_pk_fma_f32 v[128:129], v[156:157], v[140:141], v[128:129] neg_lo:[0,0,1] neg_hi:[0,0,1]
	v_pk_fma_f32 v[138:139], v[158:159], v[142:143], v[130:131] op_sel_hi:[1,0,1]
	v_pk_mul_f32 v[132:133], v[186:187], v[132:133] op_sel_hi:[1,0]
	v_mov_b32_e32 v129, v137
	v_pk_add_f32 v[126:127], v[134:135], v[126:127]
	s_wait_loadcnt 0x2
	v_pk_mul_f32 v[170:171], v[162:163], v[146:147] op_sel:[1,1] op_sel_hi:[0,1]
	v_mov_b32_e32 v134, v149
	v_pk_fma_f32 v[130:131], v[158:159], v[142:143], v[130:131] neg_lo:[0,0,1] neg_hi:[0,0,1]
	v_mov_b32_e32 v131, v139
	v_pk_fma_f32 v[136:137], v[160:161], v[144:145], v[132:133] op_sel_hi:[1,0,1]
	v_pk_add_f32 v[126:127], v[126:127], v[128:129]
	v_pk_fma_f32 v[128:129], v[162:163], v[146:147], v[170:171] op_sel_hi:[1,0,1]
	v_pk_mul_f32 v[134:135], v[188:189], v[134:135] op_sel_hi:[1,0]
	v_pk_fma_f32 v[132:133], v[160:161], v[144:145], v[132:133] neg_lo:[0,0,1] neg_hi:[0,0,1]
	v_mov_b32_e32 v133, v137
	v_pk_add_f32 v[126:127], v[126:127], v[130:131]
	v_pk_fma_f32 v[136:137], v[162:163], v[146:147], v[170:171] neg_lo:[0,0,1] neg_hi:[0,0,1]
	v_mov_b32_e32 v137, v129
	v_pk_fma_f32 v[128:129], v[164:165], v[148:149], v[134:135] op_sel_hi:[1,0,1]
	s_wait_loadcnt 0x1
	v_pk_mul_f32 v[130:131], v[166:167], v[150:151] op_sel:[1,1] op_sel_hi:[0,1]
	v_pk_add_f32 v[126:127], v[126:127], v[132:133]
	v_mov_b32_e32 v128, v153
	v_pk_fma_f32 v[134:135], v[164:165], v[148:149], v[134:135] neg_lo:[0,0,1] neg_hi:[0,0,1]
	v_mov_b32_e32 v135, v129
	v_pk_fma_f32 v[132:133], v[166:167], v[150:151], v[130:131] op_sel_hi:[1,0,1]
	v_pk_add_f32 v[126:127], v[126:127], v[136:137]
	v_pk_mul_f32 v[128:129], v[190:191], v[128:129] op_sel_hi:[1,0]
	v_pk_fma_f32 v[130:131], v[166:167], v[150:151], v[130:131] neg_lo:[0,0,1] neg_hi:[0,0,1]
	s_delay_alu instid0(VALU_DEP_4) | instskip(NEXT) | instid1(VALU_DEP_4)
	v_mov_b32_e32 v131, v133
	v_pk_add_f32 v[126:127], v[126:127], v[134:135]
	s_delay_alu instid0(VALU_DEP_4) | instskip(SKIP_1) | instid1(VALU_DEP_2)
	v_pk_fma_f32 v[132:133], v[168:169], v[152:153], v[128:129] op_sel_hi:[1,0,1]
	v_pk_fma_f32 v[128:129], v[168:169], v[152:153], v[128:129] neg_lo:[0,0,1] neg_hi:[0,0,1]
	v_mov_b32_e32 v129, v133
	s_delay_alu instid0(VALU_DEP_4) | instskip(NEXT) | instid1(VALU_DEP_1)
	v_pk_add_f32 v[126:127], v[126:127], v[130:131]
	v_pk_add_f32 v[126:127], v[126:127], v[128:129]
	s_wait_loadcnt 0x0
	s_delay_alu instid0(VALU_DEP_1)
	v_pk_add_f32 v[126:127], v[182:183], v[126:127] neg_lo:[0,1] neg_hi:[0,1]
	scratch_store_b64 off, v[126:127], off offset:376
	s_wait_xcnt 0x0
	v_cmpx_lt_u32_e32 46, v0
	s_cbranch_execz .LBB125_293
; %bb.292:
	scratch_load_b64 v[126:127], off, off offset:368
	v_mov_b64_e32 v[128:129], 0
	scratch_store_b64 off, v[128:129], off offset:368
	s_wait_loadcnt 0x0
	ds_store_b64 v1, v[126:127]
.LBB125_293:
	s_wait_xcnt 0x0
	s_or_b32 exec_lo, exec_lo, s0
	s_wait_storecnt_dscnt 0x0
	s_barrier_signal -1
	s_barrier_wait -1
	s_clause 0x8
	scratch_load_b128 v[126:129], off, off offset:376
	scratch_load_b128 v[130:133], off, off offset:392
	;; [unrolled: 1-line block ×7, first 2 shown]
	scratch_load_b64 v[182:183], off, off offset:488
	scratch_load_b64 v[184:185], off, off offset:368
	v_mov_b32_e32 v7, 0
	ds_load_2addr_b64 v[154:157], v7 offset0:115 offset1:116
	ds_load_2addr_b64 v[158:161], v7 offset0:117 offset1:118
	;; [unrolled: 1-line block ×7, first 2 shown]
	ds_load_b64 v[186:187], v7 offset:984
	s_mov_b32 s0, exec_lo
	s_wait_dscnt 0x7
	v_dual_mov_b32 v188, v157 :: v_dual_mov_b32 v189, v156
	s_wait_dscnt 0x4
	v_dual_mov_b32 v190, v161 :: v_dual_mov_b32 v195, v168
	v_dual_mov_b32 v191, v160 :: v_dual_mov_b32 v192, v165
	;; [unrolled: 1-line block ×3, first 2 shown]
	s_wait_loadcnt_dscnt 0x803
	v_dual_mul_f32 v9, v170, v127 :: v_dual_mul_f32 v19, v171, v127
	v_dual_mul_f32 v21, v173, v129 :: v_dual_mul_f32 v11, v172, v129
	s_wait_loadcnt_dscnt 0x702
	v_mul_f32_e32 v13, v174, v131
	s_wait_loadcnt 0x5
	v_dual_mul_f32 v31, v155, v139 :: v_dual_fma_f32 v19, v170, v126, -v19
	v_dual_fmac_f32 v9, v171, v126 :: v_dual_mov_b32 v126, v141
	v_dual_mul_f32 v23, v175, v131 :: v_dual_mul_f32 v25, v177, v133
	v_dual_fmac_f32 v11, v173, v128 :: v_dual_fma_f32 v21, v172, v128, -v21
	s_delay_alu instid0(VALU_DEP_3) | instskip(SKIP_3) | instid1(VALU_DEP_3)
	v_dual_add_f32 v9, 0, v9 :: v_dual_add_f32 v19, 0, v19
	s_wait_dscnt 0x1
	v_dual_mul_f32 v15, v176, v133 :: v_dual_mul_f32 v17, v178, v135
	v_dual_fmac_f32 v13, v175, v130 :: v_dual_fma_f32 v23, v174, v130, -v23
	v_dual_add_f32 v9, v9, v11 :: v_dual_add_f32 v11, v19, v21
	v_dual_mul_f32 v27, v179, v135 :: v_dual_mul_f32 v29, v181, v137
	s_wait_loadcnt 0x4
	v_dual_mov_b32 v130, v145 :: v_dual_fma_f32 v19, v176, v132, -v25
	s_delay_alu instid0(VALU_DEP_3) | instskip(SKIP_2) | instid1(VALU_DEP_2)
	v_dual_fmac_f32 v15, v177, v132 :: v_dual_add_f32 v11, v11, v23
	v_dual_add_f32 v9, v9, v13 :: v_dual_fmac_f32 v17, v179, v134
	v_dual_mul_f32 v197, v180, v137 :: v_dual_mul_f32 v199, v154, v139
	v_dual_fma_f32 v13, v178, v134, -v27 :: v_dual_add_f32 v9, v9, v15
	s_delay_alu instid0(VALU_DEP_2) | instskip(SKIP_1) | instid1(VALU_DEP_3)
	v_dual_add_f32 v11, v11, v19 :: v_dual_fmac_f32 v197, v181, v136
	v_pk_mul_f32 v[128:129], v[158:159], v[142:143] op_sel:[1,1] op_sel_hi:[0,1]
	v_dual_fma_f32 v196, v180, v136, -v29 :: v_dual_add_f32 v135, v9, v17
	v_pk_mul_f32 v[126:127], v[188:189], v[126:127] op_sel_hi:[1,0]
	s_wait_loadcnt 0x3
	v_dual_add_f32 v134, v11, v13 :: v_dual_mov_b32 v136, v149
	v_fmac_f32_e32 v199, v155, v138
	v_fma_f32 v198, v154, v138, -v31
	v_pk_fma_f32 v[138:139], v[156:157], v[140:141], v[126:127] op_sel_hi:[1,0,1]
	s_delay_alu instid0(VALU_DEP_4) | instskip(SKIP_4) | instid1(VALU_DEP_4)
	v_pk_add_f32 v[134:135], v[134:135], v[196:197]
	v_pk_fma_f32 v[154:155], v[158:159], v[142:143], v[128:129] op_sel_hi:[1,0,1]
	v_pk_fma_f32 v[126:127], v[156:157], v[140:141], v[126:127] neg_lo:[0,0,1] neg_hi:[0,0,1]
	v_pk_fma_f32 v[128:129], v[158:159], v[142:143], v[128:129] neg_lo:[0,0,1] neg_hi:[0,0,1]
	v_pk_mul_f32 v[130:131], v[190:191], v[130:131] op_sel_hi:[1,0]
	v_dual_mov_b32 v127, v139 :: v_dual_mov_b32 v129, v155
	v_pk_add_f32 v[134:135], v[134:135], v[198:199]
	v_pk_mul_f32 v[132:133], v[162:163], v[146:147] op_sel:[1,1] op_sel_hi:[0,1]
	s_delay_alu instid0(VALU_DEP_4)
	v_pk_fma_f32 v[140:141], v[160:161], v[144:145], v[130:131] op_sel_hi:[1,0,1]
	v_pk_fma_f32 v[130:131], v[160:161], v[144:145], v[130:131] neg_lo:[0,0,1] neg_hi:[0,0,1]
	v_pk_mul_f32 v[136:137], v[192:193], v[136:137] op_sel_hi:[1,0]
	v_pk_add_f32 v[126:127], v[134:135], v[126:127]
	v_pk_fma_f32 v[134:135], v[162:163], v[146:147], v[132:133] op_sel_hi:[1,0,1]
	v_mov_b32_e32 v131, v141
	v_pk_fma_f32 v[132:133], v[162:163], v[146:147], v[132:133] neg_lo:[0,0,1] neg_hi:[0,0,1]
	s_wait_loadcnt 0x2
	v_pk_mul_f32 v[138:139], v[166:167], v[150:151] op_sel:[1,1] op_sel_hi:[0,1]
	v_pk_add_f32 v[126:127], v[126:127], v[128:129]
	v_dual_mov_b32 v128, v153 :: v_dual_mov_b32 v133, v135
	v_pk_fma_f32 v[134:135], v[164:165], v[148:149], v[136:137] op_sel_hi:[1,0,1]
	v_pk_fma_f32 v[136:137], v[164:165], v[148:149], v[136:137] neg_lo:[0,0,1] neg_hi:[0,0,1]
	s_delay_alu instid0(VALU_DEP_4)
	v_pk_add_f32 v[126:127], v[126:127], v[130:131]
	v_pk_fma_f32 v[130:131], v[166:167], v[150:151], v[138:139] op_sel_hi:[1,0,1]
	v_pk_mul_f32 v[128:129], v[194:195], v[128:129] op_sel_hi:[1,0]
	v_mov_b32_e32 v137, v135
	s_wait_loadcnt_dscnt 0x100
	v_pk_mul_f32 v[134:135], v[186:187], v[182:183] op_sel:[1,1] op_sel_hi:[0,1]
	v_pk_add_f32 v[126:127], v[126:127], v[132:133]
	v_pk_fma_f32 v[132:133], v[166:167], v[150:151], v[138:139] neg_lo:[0,0,1] neg_hi:[0,0,1]
	v_mov_b32_e32 v133, v131
	v_pk_fma_f32 v[130:131], v[168:169], v[152:153], v[128:129] op_sel_hi:[1,0,1]
	v_pk_fma_f32 v[128:129], v[168:169], v[152:153], v[128:129] neg_lo:[0,0,1] neg_hi:[0,0,1]
	v_pk_add_f32 v[126:127], v[126:127], v[136:137]
	s_delay_alu instid0(VALU_DEP_3) | instskip(SKIP_1) | instid1(VALU_DEP_3)
	v_mov_b32_e32 v129, v131
	v_pk_fma_f32 v[130:131], v[186:187], v[182:183], v[134:135] op_sel_hi:[1,0,1]
	v_pk_add_f32 v[126:127], v[126:127], v[132:133]
	v_pk_fma_f32 v[132:133], v[186:187], v[182:183], v[134:135] neg_lo:[0,0,1] neg_hi:[0,0,1]
	s_delay_alu instid0(VALU_DEP_3) | instskip(NEXT) | instid1(VALU_DEP_3)
	v_mov_b32_e32 v133, v131
	v_pk_add_f32 v[126:127], v[126:127], v[128:129]
	s_delay_alu instid0(VALU_DEP_1) | instskip(SKIP_1) | instid1(VALU_DEP_1)
	v_pk_add_f32 v[126:127], v[126:127], v[132:133]
	s_wait_loadcnt 0x0
	v_pk_add_f32 v[126:127], v[184:185], v[126:127] neg_lo:[0,1] neg_hi:[0,1]
	scratch_store_b64 off, v[126:127], off offset:368
	s_wait_xcnt 0x0
	v_cmpx_lt_u32_e32 45, v0
	s_cbranch_execz .LBB125_295
; %bb.294:
	scratch_load_b64 v[126:127], off, off offset:360
	v_mov_b64_e32 v[128:129], 0
	scratch_store_b64 off, v[128:129], off offset:360
	s_wait_loadcnt 0x0
	ds_store_b64 v1, v[126:127]
.LBB125_295:
	s_wait_xcnt 0x0
	s_or_b32 exec_lo, exec_lo, s0
	s_wait_storecnt_dscnt 0x0
	s_barrier_signal -1
	s_barrier_wait -1
	s_clause 0x8
	scratch_load_b128 v[126:129], off, off offset:368
	scratch_load_b128 v[130:133], off, off offset:384
	;; [unrolled: 1-line block ×8, first 2 shown]
	scratch_load_b64 v[190:191], off, off offset:360
	ds_load_b128 v[158:161], v7 offset:928
	ds_load_b128 v[162:165], v7 offset:944
	;; [unrolled: 1-line block ×8, first 2 shown]
	s_mov_b32 s0, exec_lo
	s_wait_dscnt 0x7
	v_dual_mov_b32 v192, v161 :: v_dual_mov_b32 v193, v160
	s_wait_dscnt 0x6
	v_dual_mov_b32 v194, v165 :: v_dual_mov_b32 v195, v164
	;; [unrolled: 2-line block ×4, first 2 shown]
	s_wait_loadcnt_dscnt 0x803
	v_dual_mul_f32 v7, v174, v127 :: v_dual_mul_f32 v9, v176, v129
	v_dual_mul_f32 v19, v175, v127 :: v_dual_mul_f32 v21, v177, v129
	s_wait_loadcnt_dscnt 0x702
	v_dual_mul_f32 v11, v178, v131 :: v_dual_mul_f32 v13, v180, v133
	s_delay_alu instid0(VALU_DEP_3) | instskip(SKIP_3) | instid1(VALU_DEP_3)
	v_dual_fmac_f32 v7, v175, v126 :: v_dual_fmac_f32 v9, v177, v128
	s_wait_loadcnt_dscnt 0x500
	v_dual_fma_f32 v19, v174, v126, -v19 :: v_dual_mul_f32 v31, v187, v139
	v_dual_mul_f32 v23, v179, v131 :: v_dual_mul_f32 v25, v181, v133
	v_dual_fma_f32 v21, v176, v128, -v21 :: v_dual_add_f32 v7, 0, v7
	s_delay_alu instid0(VALU_DEP_3) | instskip(SKIP_1) | instid1(VALU_DEP_3)
	v_dual_add_f32 v19, 0, v19 :: v_dual_mul_f32 v33, v189, v141
	v_dual_fmac_f32 v11, v179, v130 :: v_dual_fmac_f32 v13, v181, v132
	v_dual_fma_f32 v23, v178, v130, -v23 :: v_dual_add_f32 v7, v7, v9
	s_delay_alu instid0(VALU_DEP_3) | instskip(SKIP_4) | instid1(VALU_DEP_3)
	v_dual_add_f32 v9, v19, v21 :: v_dual_fma_f32 v19, v180, v132, -v25
	v_dual_mul_f32 v15, v182, v135 :: v_dual_mul_f32 v17, v184, v137
	v_dual_mul_f32 v27, v183, v135 :: v_dual_mul_f32 v29, v185, v137
	s_wait_loadcnt 0x4
	v_dual_add_f32 v7, v7, v11 :: v_dual_mov_b32 v128, v145
	v_dual_add_f32 v9, v9, v23 :: v_dual_fmac_f32 v15, v183, v134
	s_delay_alu instid0(VALU_DEP_2) | instskip(SKIP_1) | instid1(VALU_DEP_3)
	v_dual_fma_f32 v11, v182, v134, -v27 :: v_dual_add_f32 v7, v7, v13
	v_dual_mul_f32 v201, v186, v139 :: v_dual_mul_f32 v203, v188, v141
	v_dual_add_f32 v9, v9, v19 :: v_dual_fma_f32 v13, v184, v136, -v29
	s_delay_alu instid0(VALU_DEP_3) | instskip(SKIP_1) | instid1(VALU_DEP_3)
	v_dual_fmac_f32 v17, v185, v136 :: v_dual_add_f32 v7, v7, v15
	v_pk_mul_f32 v[126:127], v[158:159], v[142:143] op_sel:[1,1] op_sel_hi:[0,1]
	v_dual_add_f32 v9, v9, v11 :: v_dual_fmac_f32 v201, v187, v138
	s_wait_loadcnt 0x3
	v_dual_mov_b32 v132, v149 :: v_dual_fma_f32 v200, v186, v138, -v31
	v_dual_add_f32 v135, v7, v17 :: v_dual_fmac_f32 v203, v189, v140
	s_delay_alu instid0(VALU_DEP_3) | instskip(SKIP_3) | instid1(VALU_DEP_4)
	v_dual_add_f32 v134, v9, v13 :: v_dual_fma_f32 v202, v188, v140, -v33
	v_pk_fma_f32 v[136:137], v[158:159], v[142:143], v[126:127] op_sel_hi:[1,0,1]
	v_pk_mul_f32 v[128:129], v[192:193], v[128:129] op_sel_hi:[1,0]
	v_pk_fma_f32 v[126:127], v[158:159], v[142:143], v[126:127] neg_lo:[0,0,1] neg_hi:[0,0,1]
	v_pk_add_f32 v[134:135], v[134:135], v[200:201]
	v_pk_mul_f32 v[130:131], v[162:163], v[146:147] op_sel:[1,1] op_sel_hi:[0,1]
	v_mov_b32_e32 v127, v137
	v_pk_fma_f32 v[136:137], v[160:161], v[144:145], v[128:129] op_sel_hi:[1,0,1]
	v_pk_fma_f32 v[128:129], v[160:161], v[144:145], v[128:129] neg_lo:[0,0,1] neg_hi:[0,0,1]
	v_pk_add_f32 v[134:135], v[134:135], v[202:203]
	v_pk_fma_f32 v[140:141], v[162:163], v[146:147], v[130:131] op_sel_hi:[1,0,1]
	v_pk_mul_f32 v[132:133], v[194:195], v[132:133] op_sel_hi:[1,0]
	v_mov_b32_e32 v129, v137
	s_wait_loadcnt 0x2
	v_pk_mul_f32 v[138:139], v[166:167], v[150:151] op_sel:[1,1] op_sel_hi:[0,1]
	v_pk_add_f32 v[126:127], v[134:135], v[126:127]
	v_mov_b32_e32 v134, v153
	v_pk_fma_f32 v[130:131], v[162:163], v[146:147], v[130:131] neg_lo:[0,0,1] neg_hi:[0,0,1]
	v_mov_b32_e32 v131, v141
	v_pk_fma_f32 v[136:137], v[164:165], v[148:149], v[132:133] op_sel_hi:[1,0,1]
	v_pk_add_f32 v[126:127], v[126:127], v[128:129]
	v_pk_fma_f32 v[128:129], v[166:167], v[150:151], v[138:139] op_sel_hi:[1,0,1]
	v_pk_mul_f32 v[134:135], v[196:197], v[134:135] op_sel_hi:[1,0]
	v_pk_fma_f32 v[132:133], v[164:165], v[148:149], v[132:133] neg_lo:[0,0,1] neg_hi:[0,0,1]
	v_mov_b32_e32 v133, v137
	v_pk_add_f32 v[126:127], v[126:127], v[130:131]
	v_pk_fma_f32 v[136:137], v[166:167], v[150:151], v[138:139] neg_lo:[0,0,1] neg_hi:[0,0,1]
	v_mov_b32_e32 v137, v129
	v_pk_fma_f32 v[128:129], v[168:169], v[152:153], v[134:135] op_sel_hi:[1,0,1]
	s_wait_loadcnt 0x1
	v_pk_mul_f32 v[130:131], v[170:171], v[154:155] op_sel:[1,1] op_sel_hi:[0,1]
	v_pk_add_f32 v[126:127], v[126:127], v[132:133]
	v_mov_b32_e32 v128, v157
	v_pk_fma_f32 v[134:135], v[168:169], v[152:153], v[134:135] neg_lo:[0,0,1] neg_hi:[0,0,1]
	v_mov_b32_e32 v135, v129
	v_pk_fma_f32 v[132:133], v[170:171], v[154:155], v[130:131] op_sel_hi:[1,0,1]
	v_pk_add_f32 v[126:127], v[126:127], v[136:137]
	v_pk_mul_f32 v[128:129], v[198:199], v[128:129] op_sel_hi:[1,0]
	v_pk_fma_f32 v[130:131], v[170:171], v[154:155], v[130:131] neg_lo:[0,0,1] neg_hi:[0,0,1]
	s_delay_alu instid0(VALU_DEP_4) | instskip(NEXT) | instid1(VALU_DEP_4)
	v_mov_b32_e32 v131, v133
	v_pk_add_f32 v[126:127], v[126:127], v[134:135]
	s_delay_alu instid0(VALU_DEP_4) | instskip(SKIP_1) | instid1(VALU_DEP_2)
	v_pk_fma_f32 v[132:133], v[172:173], v[156:157], v[128:129] op_sel_hi:[1,0,1]
	v_pk_fma_f32 v[128:129], v[172:173], v[156:157], v[128:129] neg_lo:[0,0,1] neg_hi:[0,0,1]
	v_mov_b32_e32 v129, v133
	s_delay_alu instid0(VALU_DEP_4) | instskip(NEXT) | instid1(VALU_DEP_1)
	v_pk_add_f32 v[126:127], v[126:127], v[130:131]
	v_pk_add_f32 v[126:127], v[126:127], v[128:129]
	s_wait_loadcnt 0x0
	s_delay_alu instid0(VALU_DEP_1)
	v_pk_add_f32 v[126:127], v[190:191], v[126:127] neg_lo:[0,1] neg_hi:[0,1]
	scratch_store_b64 off, v[126:127], off offset:360
	s_wait_xcnt 0x0
	v_cmpx_lt_u32_e32 44, v0
	s_cbranch_execz .LBB125_297
; %bb.296:
	scratch_load_b64 v[126:127], off, off offset:352
	v_mov_b64_e32 v[128:129], 0
	scratch_store_b64 off, v[128:129], off offset:352
	s_wait_loadcnt 0x0
	ds_store_b64 v1, v[126:127]
.LBB125_297:
	s_wait_xcnt 0x0
	s_or_b32 exec_lo, exec_lo, s0
	s_wait_storecnt_dscnt 0x0
	s_barrier_signal -1
	s_barrier_wait -1
	s_clause 0x9
	scratch_load_b128 v[126:129], off, off offset:360
	scratch_load_b128 v[130:133], off, off offset:376
	;; [unrolled: 1-line block ×8, first 2 shown]
	scratch_load_b64 v[190:191], off, off offset:488
	scratch_load_b64 v[192:193], off, off offset:352
	v_mov_b32_e32 v7, 0
	ds_load_2addr_b64 v[158:161], v7 offset0:115 offset1:116
	ds_load_2addr_b64 v[162:165], v7 offset0:117 offset1:118
	;; [unrolled: 1-line block ×8, first 2 shown]
	ds_load_b64 v[194:195], v7 offset:984
	s_mov_b32 s0, exec_lo
	s_wait_dscnt 0x8
	v_dual_mov_b32 v196, v161 :: v_dual_mov_b32 v197, v160
	s_wait_dscnt 0x5
	v_dual_mov_b32 v198, v165 :: v_dual_mov_b32 v203, v172
	v_dual_mov_b32 v199, v164 :: v_dual_mov_b32 v200, v169
	;; [unrolled: 1-line block ×3, first 2 shown]
	s_wait_loadcnt_dscnt 0x904
	v_dual_mul_f32 v9, v174, v127 :: v_dual_mul_f32 v23, v175, v127
	v_dual_mul_f32 v25, v177, v129 :: v_dual_mul_f32 v11, v176, v129
	s_wait_loadcnt_dscnt 0x803
	v_mul_f32_e32 v13, v178, v131
	s_wait_loadcnt_dscnt 0x601
	v_dual_mul_f32 v35, v187, v139 :: v_dual_fma_f32 v23, v174, v126, -v23
	v_dual_fmac_f32 v9, v175, v126 :: v_dual_mul_f32 v37, v189, v141
	v_dual_mul_f32 v27, v179, v131 :: v_dual_mul_f32 v29, v181, v133
	v_dual_fmac_f32 v11, v177, v128 :: v_dual_fma_f32 v25, v176, v128, -v25
	s_delay_alu instid0(VALU_DEP_3) | instskip(SKIP_3) | instid1(VALU_DEP_3)
	v_dual_add_f32 v9, 0, v9 :: v_dual_add_f32 v23, 0, v23
	v_dual_mul_f32 v15, v180, v133 :: v_dual_mul_f32 v17, v182, v135
	s_wait_loadcnt 0x5
	v_dual_mul_f32 v39, v159, v143 :: v_dual_fma_f32 v27, v178, v130, -v27
	v_dual_fmac_f32 v13, v179, v130 :: v_dual_add_f32 v9, v9, v11
	v_dual_add_f32 v11, v23, v25 :: v_dual_mov_b32 v126, v145
	v_dual_mul_f32 v31, v183, v135 :: v_dual_mul_f32 v33, v185, v137
	v_dual_fmac_f32 v15, v181, v132 :: v_dual_fma_f32 v23, v180, v132, -v29
	s_delay_alu instid0(VALU_DEP_3) | instskip(SKIP_1) | instid1(VALU_DEP_4)
	v_dual_add_f32 v9, v9, v13 :: v_dual_add_f32 v11, v11, v27
	v_dual_mul_f32 v19, v184, v137 :: v_dual_mul_f32 v21, v186, v139
	v_dual_fmac_f32 v17, v183, v134 :: v_dual_fma_f32 v13, v182, v134, -v31
	s_delay_alu instid0(VALU_DEP_3) | instskip(SKIP_3) | instid1(VALU_DEP_3)
	v_dual_add_f32 v9, v9, v15 :: v_dual_fma_f32 v15, v184, v136, -v33
	s_wait_loadcnt 0x4
	v_dual_add_f32 v11, v11, v23 :: v_dual_mov_b32 v130, v149
	v_fmac_f32_e32 v19, v185, v136
	v_dual_add_f32 v9, v9, v17 :: v_dual_fmac_f32 v21, v187, v138
	s_delay_alu instid0(VALU_DEP_3) | instskip(SKIP_1) | instid1(VALU_DEP_3)
	v_add_f32_e32 v11, v11, v13
	v_dual_mul_f32 v205, v188, v141 :: v_dual_mul_f32 v207, v158, v143
	v_dual_fma_f32 v13, v186, v138, -v35 :: v_dual_add_f32 v9, v9, v19
	s_delay_alu instid0(VALU_DEP_2) | instskip(SKIP_1) | instid1(VALU_DEP_3)
	v_dual_add_f32 v11, v11, v15 :: v_dual_fmac_f32 v205, v189, v140
	v_pk_mul_f32 v[128:129], v[162:163], v[146:147] op_sel:[1,1] op_sel_hi:[0,1]
	v_dual_fma_f32 v204, v188, v140, -v37 :: v_dual_add_f32 v135, v9, v21
	v_pk_mul_f32 v[126:127], v[196:197], v[126:127] op_sel_hi:[1,0]
	s_wait_loadcnt 0x3
	v_dual_add_f32 v134, v11, v13 :: v_dual_mov_b32 v136, v153
	v_pk_fma_f32 v[140:141], v[162:163], v[146:147], v[128:129] op_sel_hi:[1,0,1]
	v_fmac_f32_e32 v207, v159, v142
	v_pk_fma_f32 v[138:139], v[160:161], v[144:145], v[126:127] op_sel_hi:[1,0,1]
	v_fma_f32 v206, v158, v142, -v39
	v_pk_add_f32 v[134:135], v[134:135], v[204:205]
	v_pk_fma_f32 v[126:127], v[160:161], v[144:145], v[126:127] neg_lo:[0,0,1] neg_hi:[0,0,1]
	v_pk_fma_f32 v[128:129], v[162:163], v[146:147], v[128:129] neg_lo:[0,0,1] neg_hi:[0,0,1]
	v_pk_mul_f32 v[130:131], v[198:199], v[130:131] op_sel_hi:[1,0]
	v_dual_mov_b32 v127, v139 :: v_dual_mov_b32 v129, v141
	v_pk_add_f32 v[134:135], v[134:135], v[206:207]
	v_pk_mul_f32 v[132:133], v[166:167], v[150:151] op_sel:[1,1] op_sel_hi:[0,1]
	s_delay_alu instid0(VALU_DEP_4)
	v_pk_fma_f32 v[140:141], v[164:165], v[148:149], v[130:131] op_sel_hi:[1,0,1]
	v_pk_fma_f32 v[130:131], v[164:165], v[148:149], v[130:131] neg_lo:[0,0,1] neg_hi:[0,0,1]
	v_pk_mul_f32 v[136:137], v[200:201], v[136:137] op_sel_hi:[1,0]
	v_pk_add_f32 v[126:127], v[134:135], v[126:127]
	v_pk_fma_f32 v[134:135], v[166:167], v[150:151], v[132:133] op_sel_hi:[1,0,1]
	v_mov_b32_e32 v131, v141
	v_pk_fma_f32 v[132:133], v[166:167], v[150:151], v[132:133] neg_lo:[0,0,1] neg_hi:[0,0,1]
	s_wait_loadcnt 0x2
	v_pk_mul_f32 v[138:139], v[170:171], v[154:155] op_sel:[1,1] op_sel_hi:[0,1]
	v_pk_add_f32 v[126:127], v[126:127], v[128:129]
	v_dual_mov_b32 v128, v157 :: v_dual_mov_b32 v133, v135
	v_pk_fma_f32 v[134:135], v[168:169], v[152:153], v[136:137] op_sel_hi:[1,0,1]
	v_pk_fma_f32 v[136:137], v[168:169], v[152:153], v[136:137] neg_lo:[0,0,1] neg_hi:[0,0,1]
	s_delay_alu instid0(VALU_DEP_4)
	v_pk_add_f32 v[126:127], v[126:127], v[130:131]
	v_pk_fma_f32 v[130:131], v[170:171], v[154:155], v[138:139] op_sel_hi:[1,0,1]
	v_pk_mul_f32 v[128:129], v[202:203], v[128:129] op_sel_hi:[1,0]
	v_mov_b32_e32 v137, v135
	s_wait_loadcnt_dscnt 0x100
	v_pk_mul_f32 v[134:135], v[194:195], v[190:191] op_sel:[1,1] op_sel_hi:[0,1]
	v_pk_add_f32 v[126:127], v[126:127], v[132:133]
	v_pk_fma_f32 v[132:133], v[170:171], v[154:155], v[138:139] neg_lo:[0,0,1] neg_hi:[0,0,1]
	v_mov_b32_e32 v133, v131
	v_pk_fma_f32 v[130:131], v[172:173], v[156:157], v[128:129] op_sel_hi:[1,0,1]
	v_pk_fma_f32 v[128:129], v[172:173], v[156:157], v[128:129] neg_lo:[0,0,1] neg_hi:[0,0,1]
	v_pk_add_f32 v[126:127], v[126:127], v[136:137]
	s_delay_alu instid0(VALU_DEP_3) | instskip(SKIP_1) | instid1(VALU_DEP_3)
	v_mov_b32_e32 v129, v131
	v_pk_fma_f32 v[130:131], v[194:195], v[190:191], v[134:135] op_sel_hi:[1,0,1]
	v_pk_add_f32 v[126:127], v[126:127], v[132:133]
	v_pk_fma_f32 v[132:133], v[194:195], v[190:191], v[134:135] neg_lo:[0,0,1] neg_hi:[0,0,1]
	s_delay_alu instid0(VALU_DEP_3) | instskip(NEXT) | instid1(VALU_DEP_3)
	v_mov_b32_e32 v133, v131
	v_pk_add_f32 v[126:127], v[126:127], v[128:129]
	s_delay_alu instid0(VALU_DEP_1) | instskip(SKIP_1) | instid1(VALU_DEP_1)
	v_pk_add_f32 v[126:127], v[126:127], v[132:133]
	s_wait_loadcnt 0x0
	v_pk_add_f32 v[126:127], v[192:193], v[126:127] neg_lo:[0,1] neg_hi:[0,1]
	scratch_store_b64 off, v[126:127], off offset:352
	s_wait_xcnt 0x0
	v_cmpx_lt_u32_e32 43, v0
	s_cbranch_execz .LBB125_299
; %bb.298:
	scratch_load_b64 v[126:127], off, off offset:344
	v_mov_b64_e32 v[128:129], 0
	scratch_store_b64 off, v[128:129], off offset:344
	s_wait_loadcnt 0x0
	ds_store_b64 v1, v[126:127]
.LBB125_299:
	s_wait_xcnt 0x0
	s_or_b32 exec_lo, exec_lo, s0
	s_wait_storecnt_dscnt 0x0
	s_barrier_signal -1
	s_barrier_wait -1
	s_clause 0x9
	scratch_load_b128 v[126:129], off, off offset:352
	scratch_load_b128 v[130:133], off, off offset:368
	;; [unrolled: 1-line block ×9, first 2 shown]
	scratch_load_b64 v[198:199], off, off offset:344
	ds_load_b128 v[162:165], v7 offset:928
	ds_load_b128 v[166:169], v7 offset:944
	;; [unrolled: 1-line block ×9, first 2 shown]
	s_mov_b32 s0, exec_lo
	s_wait_dscnt 0x8
	v_dual_mov_b32 v200, v165 :: v_dual_mov_b32 v201, v164
	s_wait_dscnt 0x7
	v_dual_mov_b32 v202, v169 :: v_dual_mov_b32 v203, v168
	;; [unrolled: 2-line block ×4, first 2 shown]
	s_wait_loadcnt_dscnt 0x904
	v_dual_mul_f32 v7, v178, v127 :: v_dual_mul_f32 v9, v180, v129
	v_dual_mul_f32 v23, v179, v127 :: v_dual_mul_f32 v25, v181, v129
	s_wait_loadcnt_dscnt 0x803
	v_dual_mul_f32 v11, v182, v131 :: v_dual_mul_f32 v13, v184, v133
	s_delay_alu instid0(VALU_DEP_3) | instskip(SKIP_3) | instid1(VALU_DEP_3)
	v_dual_fmac_f32 v7, v179, v126 :: v_dual_fmac_f32 v9, v181, v128
	s_wait_loadcnt_dscnt 0x601
	v_dual_fma_f32 v23, v178, v126, -v23 :: v_dual_mul_f32 v35, v191, v139
	v_dual_mul_f32 v27, v183, v131 :: v_dual_mul_f32 v29, v185, v133
	v_dual_fma_f32 v25, v180, v128, -v25 :: v_dual_add_f32 v7, 0, v7
	s_delay_alu instid0(VALU_DEP_3) | instskip(SKIP_1) | instid1(VALU_DEP_3)
	v_dual_add_f32 v23, 0, v23 :: v_dual_mul_f32 v37, v193, v141
	v_dual_fmac_f32 v11, v183, v130 :: v_dual_fmac_f32 v13, v185, v132
	v_dual_fma_f32 v27, v182, v130, -v27 :: v_dual_add_f32 v7, v7, v9
	s_delay_alu instid0(VALU_DEP_3) | instskip(SKIP_2) | instid1(VALU_DEP_4)
	v_dual_add_f32 v9, v23, v25 :: v_dual_fma_f32 v25, v184, v132, -v29
	v_dual_mul_f32 v15, v186, v135 :: v_dual_mul_f32 v17, v188, v137
	v_dual_mul_f32 v31, v187, v135 :: v_dual_mul_f32 v33, v189, v137
	v_add_f32_e32 v7, v7, v11
	s_delay_alu instid0(VALU_DEP_3) | instskip(NEXT) | instid1(VALU_DEP_3)
	v_dual_add_f32 v9, v9, v27 :: v_dual_fmac_f32 v15, v187, v134
	v_fma_f32 v27, v186, v134, -v31
	v_dual_mul_f32 v19, v190, v139 :: v_dual_mul_f32 v21, v192, v141
	s_delay_alu instid0(VALU_DEP_4) | instskip(NEXT) | instid1(VALU_DEP_4)
	v_dual_add_f32 v7, v7, v13 :: v_dual_fmac_f32 v17, v189, v136
	v_dual_add_f32 v9, v9, v25 :: v_dual_fma_f32 v13, v188, v136, -v33
	s_wait_loadcnt 0x4
	s_delay_alu instid0(VALU_DEP_2) | instskip(NEXT) | instid1(VALU_DEP_2)
	v_dual_mov_b32 v128, v149 :: v_dual_add_f32 v7, v7, v15
	v_dual_fmac_f32 v19, v191, v138 :: v_dual_add_f32 v9, v9, v27
	v_fma_f32 v15, v190, v138, -v35
	s_wait_dscnt 0x0
	v_dual_mul_f32 v209, v194, v143 :: v_dual_mul_f32 v211, v196, v145
	v_add_f32_e32 v7, v7, v17
	v_dual_add_f32 v9, v9, v13 :: v_dual_fma_f32 v13, v192, v140, -v37
	v_dual_mul_f32 v23, v195, v143 :: v_dual_mul_f32 v11, v197, v145
	s_delay_alu instid0(VALU_DEP_3) | instskip(NEXT) | instid1(VALU_DEP_3)
	v_dual_fmac_f32 v21, v193, v140 :: v_dual_add_f32 v7, v7, v19
	v_dual_add_f32 v9, v9, v15 :: v_dual_fmac_f32 v209, v195, v142
	v_pk_mul_f32 v[126:127], v[162:163], v[146:147] op_sel:[1,1] op_sel_hi:[0,1]
	s_wait_loadcnt 0x3
	v_dual_mov_b32 v132, v153 :: v_dual_fma_f32 v208, v194, v142, -v23
	v_dual_add_f32 v135, v7, v21 :: v_dual_fmac_f32 v211, v197, v144
	v_dual_add_f32 v134, v9, v13 :: v_dual_fma_f32 v210, v196, v144, -v11
	v_pk_fma_f32 v[136:137], v[162:163], v[146:147], v[126:127] op_sel_hi:[1,0,1]
	v_pk_mul_f32 v[128:129], v[200:201], v[128:129] op_sel_hi:[1,0]
	v_pk_fma_f32 v[126:127], v[162:163], v[146:147], v[126:127] neg_lo:[0,0,1] neg_hi:[0,0,1]
	s_delay_alu instid0(VALU_DEP_4)
	v_pk_add_f32 v[134:135], v[134:135], v[208:209]
	v_pk_mul_f32 v[130:131], v[166:167], v[150:151] op_sel:[1,1] op_sel_hi:[0,1]
	v_mov_b32_e32 v127, v137
	v_pk_fma_f32 v[136:137], v[164:165], v[148:149], v[128:129] op_sel_hi:[1,0,1]
	v_pk_fma_f32 v[128:129], v[164:165], v[148:149], v[128:129] neg_lo:[0,0,1] neg_hi:[0,0,1]
	v_pk_add_f32 v[134:135], v[134:135], v[210:211]
	v_pk_fma_f32 v[140:141], v[166:167], v[150:151], v[130:131] op_sel_hi:[1,0,1]
	v_pk_mul_f32 v[132:133], v[202:203], v[132:133] op_sel_hi:[1,0]
	v_mov_b32_e32 v129, v137
	s_wait_loadcnt 0x2
	v_pk_mul_f32 v[138:139], v[170:171], v[154:155] op_sel:[1,1] op_sel_hi:[0,1]
	v_pk_add_f32 v[126:127], v[134:135], v[126:127]
	v_mov_b32_e32 v134, v157
	v_pk_fma_f32 v[130:131], v[166:167], v[150:151], v[130:131] neg_lo:[0,0,1] neg_hi:[0,0,1]
	v_mov_b32_e32 v131, v141
	v_pk_fma_f32 v[136:137], v[168:169], v[152:153], v[132:133] op_sel_hi:[1,0,1]
	v_pk_add_f32 v[126:127], v[126:127], v[128:129]
	v_pk_fma_f32 v[128:129], v[170:171], v[154:155], v[138:139] op_sel_hi:[1,0,1]
	v_pk_mul_f32 v[134:135], v[204:205], v[134:135] op_sel_hi:[1,0]
	v_pk_fma_f32 v[132:133], v[168:169], v[152:153], v[132:133] neg_lo:[0,0,1] neg_hi:[0,0,1]
	v_mov_b32_e32 v133, v137
	v_pk_add_f32 v[126:127], v[126:127], v[130:131]
	v_pk_fma_f32 v[136:137], v[170:171], v[154:155], v[138:139] neg_lo:[0,0,1] neg_hi:[0,0,1]
	v_mov_b32_e32 v137, v129
	v_pk_fma_f32 v[128:129], v[172:173], v[156:157], v[134:135] op_sel_hi:[1,0,1]
	s_wait_loadcnt 0x1
	v_pk_mul_f32 v[130:131], v[174:175], v[158:159] op_sel:[1,1] op_sel_hi:[0,1]
	v_pk_add_f32 v[126:127], v[126:127], v[132:133]
	v_mov_b32_e32 v128, v161
	v_pk_fma_f32 v[134:135], v[172:173], v[156:157], v[134:135] neg_lo:[0,0,1] neg_hi:[0,0,1]
	v_mov_b32_e32 v135, v129
	v_pk_fma_f32 v[132:133], v[174:175], v[158:159], v[130:131] op_sel_hi:[1,0,1]
	v_pk_add_f32 v[126:127], v[126:127], v[136:137]
	v_pk_mul_f32 v[128:129], v[206:207], v[128:129] op_sel_hi:[1,0]
	v_pk_fma_f32 v[130:131], v[174:175], v[158:159], v[130:131] neg_lo:[0,0,1] neg_hi:[0,0,1]
	s_delay_alu instid0(VALU_DEP_4) | instskip(NEXT) | instid1(VALU_DEP_4)
	v_mov_b32_e32 v131, v133
	v_pk_add_f32 v[126:127], v[126:127], v[134:135]
	s_delay_alu instid0(VALU_DEP_4) | instskip(SKIP_1) | instid1(VALU_DEP_2)
	v_pk_fma_f32 v[132:133], v[176:177], v[160:161], v[128:129] op_sel_hi:[1,0,1]
	v_pk_fma_f32 v[128:129], v[176:177], v[160:161], v[128:129] neg_lo:[0,0,1] neg_hi:[0,0,1]
	v_mov_b32_e32 v129, v133
	s_delay_alu instid0(VALU_DEP_4) | instskip(NEXT) | instid1(VALU_DEP_1)
	v_pk_add_f32 v[126:127], v[126:127], v[130:131]
	v_pk_add_f32 v[126:127], v[126:127], v[128:129]
	s_wait_loadcnt 0x0
	s_delay_alu instid0(VALU_DEP_1)
	v_pk_add_f32 v[126:127], v[198:199], v[126:127] neg_lo:[0,1] neg_hi:[0,1]
	scratch_store_b64 off, v[126:127], off offset:344
	s_wait_xcnt 0x0
	v_cmpx_lt_u32_e32 42, v0
	s_cbranch_execz .LBB125_301
; %bb.300:
	scratch_load_b64 v[126:127], off, off offset:336
	v_mov_b64_e32 v[128:129], 0
	scratch_store_b64 off, v[128:129], off offset:336
	s_wait_loadcnt 0x0
	ds_store_b64 v1, v[126:127]
.LBB125_301:
	s_wait_xcnt 0x0
	s_or_b32 exec_lo, exec_lo, s0
	s_wait_storecnt_dscnt 0x0
	s_barrier_signal -1
	s_barrier_wait -1
	s_clause 0xa
	scratch_load_b128 v[126:129], off, off offset:344
	scratch_load_b128 v[130:133], off, off offset:360
	;; [unrolled: 1-line block ×9, first 2 shown]
	scratch_load_b64 v[198:199], off, off offset:488
	scratch_load_b64 v[200:201], off, off offset:336
	v_mov_b32_e32 v7, 0
	ds_load_2addr_b64 v[162:165], v7 offset0:115 offset1:116
	ds_load_2addr_b64 v[166:169], v7 offset0:117 offset1:118
	;; [unrolled: 1-line block ×9, first 2 shown]
	ds_load_b64 v[202:203], v7 offset:984
	s_mov_b32 s0, exec_lo
	s_wait_dscnt 0x9
	v_dual_mov_b32 v204, v165 :: v_dual_mov_b32 v205, v164
	s_wait_dscnt 0x6
	v_dual_mov_b32 v206, v169 :: v_dual_mov_b32 v211, v176
	v_dual_mov_b32 v207, v168 :: v_dual_mov_b32 v208, v173
	;; [unrolled: 1-line block ×3, first 2 shown]
	s_wait_loadcnt_dscnt 0xa05
	v_dual_mul_f32 v9, v178, v127 :: v_dual_mul_f32 v27, v179, v127
	v_dual_mul_f32 v29, v181, v129 :: v_dual_mul_f32 v11, v180, v129
	s_wait_loadcnt_dscnt 0x904
	v_mul_f32_e32 v13, v182, v131
	s_wait_loadcnt_dscnt 0x702
	v_dual_mul_f32 v39, v191, v139 :: v_dual_fma_f32 v27, v178, v126, -v27
	v_dual_fmac_f32 v9, v179, v126 :: v_dual_mul_f32 v41, v193, v141
	v_dual_mul_f32 v31, v183, v131 :: v_dual_mul_f32 v33, v185, v133
	v_dual_fmac_f32 v11, v181, v128 :: v_dual_fma_f32 v29, v180, v128, -v29
	s_delay_alu instid0(VALU_DEP_3) | instskip(SKIP_3) | instid1(VALU_DEP_3)
	v_dual_add_f32 v9, 0, v9 :: v_dual_add_f32 v27, 0, v27
	v_dual_mul_f32 v15, v184, v133 :: v_dual_mul_f32 v17, v186, v135
	s_wait_loadcnt_dscnt 0x601
	v_dual_mul_f32 v43, v195, v143 :: v_dual_fma_f32 v31, v182, v130, -v31
	v_dual_fmac_f32 v13, v183, v130 :: v_dual_add_f32 v9, v9, v11
	s_delay_alu instid0(VALU_DEP_3) | instskip(SKIP_2) | instid1(VALU_DEP_3)
	v_dual_add_f32 v11, v27, v29 :: v_dual_fmac_f32 v15, v185, v132
	v_dual_mul_f32 v35, v187, v135 :: v_dual_mul_f32 v37, v189, v137
	v_dual_mul_f32 v27, v197, v145 :: v_dual_fma_f32 v29, v184, v132, -v33
	v_dual_add_f32 v9, v9, v13 :: v_dual_add_f32 v11, v11, v31
	v_dual_mul_f32 v19, v188, v137 :: v_dual_mul_f32 v21, v190, v139
	s_wait_loadcnt 0x5
	v_dual_mul_f32 v13, v163, v147 :: v_dual_fma_f32 v31, v186, v134, -v35
	s_delay_alu instid0(VALU_DEP_3) | instskip(SKIP_2) | instid1(VALU_DEP_2)
	v_dual_fmac_f32 v17, v187, v134 :: v_dual_add_f32 v9, v9, v15
	v_dual_add_f32 v11, v11, v29 :: v_dual_mov_b32 v126, v149
	v_dual_fmac_f32 v19, v189, v136 :: v_dual_fma_f32 v15, v188, v136, -v37
	v_dual_add_f32 v9, v9, v17 :: v_dual_add_f32 v11, v11, v31
	v_dual_mul_f32 v23, v192, v141 :: v_dual_mul_f32 v25, v194, v143
	v_dual_fmac_f32 v21, v191, v138 :: v_dual_fma_f32 v17, v190, v138, -v39
	s_delay_alu instid0(VALU_DEP_3) | instskip(SKIP_3) | instid1(VALU_DEP_3)
	v_add_f32_e32 v9, v9, v19
	s_wait_loadcnt 0x4
	v_dual_add_f32 v11, v11, v15 :: v_dual_mov_b32 v130, v153
	v_dual_fmac_f32 v23, v193, v140 :: v_dual_fma_f32 v15, v192, v140, -v41
	v_dual_add_f32 v9, v9, v21 :: v_dual_fmac_f32 v25, v195, v142
	s_delay_alu instid0(VALU_DEP_3) | instskip(SKIP_1) | instid1(VALU_DEP_3)
	v_add_f32_e32 v11, v11, v17
	v_dual_mul_f32 v213, v196, v145 :: v_dual_mul_f32 v215, v162, v147
	v_dual_fma_f32 v17, v194, v142, -v43 :: v_dual_add_f32 v9, v9, v23
	s_delay_alu instid0(VALU_DEP_2) | instskip(SKIP_2) | instid1(VALU_DEP_4)
	v_dual_add_f32 v11, v11, v15 :: v_dual_fmac_f32 v213, v197, v144
	v_fma_f32 v212, v196, v144, -v27
	v_pk_mul_f32 v[126:127], v[204:205], v[126:127] op_sel_hi:[1,0]
	v_add_f32_e32 v135, v9, v25
	s_wait_loadcnt 0x3
	v_dual_add_f32 v134, v11, v17 :: v_dual_mov_b32 v136, v157
	v_pk_mul_f32 v[128:129], v[166:167], v[150:151] op_sel:[1,1] op_sel_hi:[0,1]
	v_dual_fmac_f32 v215, v163, v146 :: v_dual_fma_f32 v214, v162, v146, -v13
	v_pk_fma_f32 v[138:139], v[164:165], v[148:149], v[126:127] op_sel_hi:[1,0,1]
	s_delay_alu instid0(VALU_DEP_4)
	v_pk_add_f32 v[134:135], v[134:135], v[212:213]
	v_pk_fma_f32 v[126:127], v[164:165], v[148:149], v[126:127] neg_lo:[0,0,1] neg_hi:[0,0,1]
	v_pk_fma_f32 v[140:141], v[166:167], v[150:151], v[128:129] op_sel_hi:[1,0,1]
	v_pk_mul_f32 v[130:131], v[206:207], v[130:131] op_sel_hi:[1,0]
	v_mov_b32_e32 v127, v139
	v_pk_add_f32 v[134:135], v[134:135], v[214:215]
	v_pk_fma_f32 v[128:129], v[166:167], v[150:151], v[128:129] neg_lo:[0,0,1] neg_hi:[0,0,1]
	v_pk_mul_f32 v[132:133], v[170:171], v[154:155] op_sel:[1,1] op_sel_hi:[0,1]
	v_mov_b32_e32 v129, v141
	v_pk_fma_f32 v[140:141], v[168:169], v[152:153], v[130:131] op_sel_hi:[1,0,1]
	v_pk_add_f32 v[126:127], v[134:135], v[126:127]
	v_pk_fma_f32 v[130:131], v[168:169], v[152:153], v[130:131] neg_lo:[0,0,1] neg_hi:[0,0,1]
	v_pk_fma_f32 v[134:135], v[170:171], v[154:155], v[132:133] op_sel_hi:[1,0,1]
	v_pk_mul_f32 v[136:137], v[208:209], v[136:137] op_sel_hi:[1,0]
	v_mov_b32_e32 v131, v141
	v_pk_add_f32 v[126:127], v[126:127], v[128:129]
	v_pk_fma_f32 v[132:133], v[170:171], v[154:155], v[132:133] neg_lo:[0,0,1] neg_hi:[0,0,1]
	s_wait_loadcnt 0x2
	v_pk_mul_f32 v[138:139], v[174:175], v[158:159] op_sel:[1,1] op_sel_hi:[0,1]
	v_dual_mov_b32 v128, v161 :: v_dual_mov_b32 v133, v135
	v_pk_fma_f32 v[134:135], v[172:173], v[156:157], v[136:137] op_sel_hi:[1,0,1]
	v_pk_add_f32 v[126:127], v[126:127], v[130:131]
	v_pk_fma_f32 v[136:137], v[172:173], v[156:157], v[136:137] neg_lo:[0,0,1] neg_hi:[0,0,1]
	v_pk_fma_f32 v[130:131], v[174:175], v[158:159], v[138:139] op_sel_hi:[1,0,1]
	v_pk_mul_f32 v[128:129], v[210:211], v[128:129] op_sel_hi:[1,0]
	v_mov_b32_e32 v137, v135
	v_pk_add_f32 v[126:127], v[126:127], v[132:133]
	v_pk_fma_f32 v[132:133], v[174:175], v[158:159], v[138:139] neg_lo:[0,0,1] neg_hi:[0,0,1]
	v_mov_b32_e32 v133, v131
	v_pk_fma_f32 v[130:131], v[176:177], v[160:161], v[128:129] op_sel_hi:[1,0,1]
	s_wait_loadcnt_dscnt 0x100
	v_pk_mul_f32 v[134:135], v[202:203], v[198:199] op_sel:[1,1] op_sel_hi:[0,1]
	v_pk_add_f32 v[126:127], v[126:127], v[136:137]
	v_pk_fma_f32 v[128:129], v[176:177], v[160:161], v[128:129] neg_lo:[0,0,1] neg_hi:[0,0,1]
	v_mov_b32_e32 v129, v131
	s_delay_alu instid0(VALU_DEP_4) | instskip(NEXT) | instid1(VALU_DEP_4)
	v_pk_fma_f32 v[130:131], v[202:203], v[198:199], v[134:135] op_sel_hi:[1,0,1]
	v_pk_add_f32 v[126:127], v[126:127], v[132:133]
	v_pk_fma_f32 v[132:133], v[202:203], v[198:199], v[134:135] neg_lo:[0,0,1] neg_hi:[0,0,1]
	s_delay_alu instid0(VALU_DEP_3) | instskip(NEXT) | instid1(VALU_DEP_3)
	v_mov_b32_e32 v133, v131
	v_pk_add_f32 v[126:127], v[126:127], v[128:129]
	s_delay_alu instid0(VALU_DEP_1) | instskip(SKIP_1) | instid1(VALU_DEP_1)
	v_pk_add_f32 v[126:127], v[126:127], v[132:133]
	s_wait_loadcnt 0x0
	v_pk_add_f32 v[126:127], v[200:201], v[126:127] neg_lo:[0,1] neg_hi:[0,1]
	scratch_store_b64 off, v[126:127], off offset:336
	s_wait_xcnt 0x0
	v_cmpx_lt_u32_e32 41, v0
	s_cbranch_execz .LBB125_303
; %bb.302:
	scratch_load_b64 v[126:127], off, off offset:328
	v_mov_b64_e32 v[128:129], 0
	scratch_store_b64 off, v[128:129], off offset:328
	s_wait_loadcnt 0x0
	ds_store_b64 v1, v[126:127]
.LBB125_303:
	s_wait_xcnt 0x0
	s_or_b32 exec_lo, exec_lo, s0
	s_wait_storecnt_dscnt 0x0
	s_barrier_signal -1
	s_barrier_wait -1
	s_clause 0xa
	scratch_load_b128 v[126:129], off, off offset:336
	scratch_load_b128 v[130:133], off, off offset:352
	;; [unrolled: 1-line block ×10, first 2 shown]
	scratch_load_b64 v[206:207], off, off offset:328
	ds_load_b128 v[166:169], v7 offset:928
	ds_load_b128 v[170:173], v7 offset:944
	;; [unrolled: 1-line block ×10, first 2 shown]
	s_mov_b32 s0, exec_lo
	s_wait_dscnt 0x9
	v_dual_mov_b32 v208, v169 :: v_dual_mov_b32 v209, v168
	s_wait_dscnt 0x8
	v_dual_mov_b32 v210, v173 :: v_dual_mov_b32 v211, v172
	;; [unrolled: 2-line block ×4, first 2 shown]
	s_wait_loadcnt_dscnt 0xa05
	v_dual_mul_f32 v7, v182, v127 :: v_dual_mul_f32 v9, v184, v129
	v_dual_mul_f32 v27, v183, v127 :: v_dual_mul_f32 v29, v185, v129
	s_wait_loadcnt_dscnt 0x904
	v_dual_mul_f32 v11, v186, v131 :: v_dual_mul_f32 v13, v188, v133
	s_delay_alu instid0(VALU_DEP_3) | instskip(SKIP_3) | instid1(VALU_DEP_3)
	v_dual_fmac_f32 v7, v183, v126 :: v_dual_fmac_f32 v9, v185, v128
	s_wait_loadcnt_dscnt 0x702
	v_dual_fma_f32 v27, v182, v126, -v27 :: v_dual_mul_f32 v39, v195, v139
	v_dual_mul_f32 v31, v187, v131 :: v_dual_mul_f32 v33, v189, v133
	v_dual_fma_f32 v29, v184, v128, -v29 :: v_dual_add_f32 v7, 0, v7
	s_delay_alu instid0(VALU_DEP_3) | instskip(SKIP_1) | instid1(VALU_DEP_3)
	v_dual_add_f32 v27, 0, v27 :: v_dual_mul_f32 v41, v197, v141
	v_dual_fmac_f32 v11, v187, v130 :: v_dual_fmac_f32 v13, v189, v132
	v_dual_fma_f32 v31, v186, v130, -v31 :: v_dual_add_f32 v7, v7, v9
	s_delay_alu instid0(VALU_DEP_3) | instskip(SKIP_2) | instid1(VALU_DEP_4)
	v_dual_add_f32 v9, v27, v29 :: v_dual_fma_f32 v29, v188, v132, -v33
	v_dual_mul_f32 v15, v190, v135 :: v_dual_mul_f32 v17, v192, v137
	v_dual_mul_f32 v35, v191, v135 :: v_dual_mul_f32 v37, v193, v137
	v_add_f32_e32 v7, v7, v11
	s_delay_alu instid0(VALU_DEP_3) | instskip(NEXT) | instid1(VALU_DEP_3)
	v_dual_add_f32 v9, v9, v31 :: v_dual_fmac_f32 v15, v191, v134
	v_fma_f32 v31, v190, v134, -v35
	v_dual_mul_f32 v19, v194, v139 :: v_dual_mul_f32 v21, v196, v141
	s_delay_alu instid0(VALU_DEP_4) | instskip(SKIP_2) | instid1(VALU_DEP_2)
	v_dual_add_f32 v7, v7, v13 :: v_dual_fmac_f32 v17, v193, v136
	s_wait_loadcnt_dscnt 0x500
	v_dual_add_f32 v9, v9, v29 :: v_dual_mul_f32 v13, v203, v147
	v_dual_fma_f32 v29, v192, v136, -v37 :: v_dual_add_f32 v7, v7, v15
	v_mul_f32_e32 v15, v205, v149
	s_delay_alu instid0(VALU_DEP_3) | instskip(NEXT) | instid1(VALU_DEP_3)
	v_dual_add_f32 v9, v9, v31 :: v_dual_fmac_f32 v19, v195, v138
	v_dual_fma_f32 v31, v194, v138, -v39 :: v_dual_add_f32 v7, v7, v17
	v_fmac_f32_e32 v21, v197, v140
	s_delay_alu instid0(VALU_DEP_3) | instskip(SKIP_4) | instid1(VALU_DEP_3)
	v_dual_add_f32 v9, v9, v29 :: v_dual_fma_f32 v17, v196, v140, -v41
	v_dual_mul_f32 v23, v198, v143 :: v_dual_mul_f32 v25, v200, v145
	v_dual_mul_f32 v27, v199, v143 :: v_dual_mul_f32 v11, v201, v145
	s_wait_loadcnt 0x4
	v_dual_add_f32 v7, v7, v19 :: v_dual_mov_b32 v128, v153
	v_dual_add_f32 v9, v9, v31 :: v_dual_fmac_f32 v23, v199, v142
	s_delay_alu instid0(VALU_DEP_2) | instskip(SKIP_1) | instid1(VALU_DEP_3)
	v_dual_fma_f32 v19, v198, v142, -v27 :: v_dual_add_f32 v7, v7, v21
	v_dual_mul_f32 v217, v202, v147 :: v_dual_mul_f32 v219, v204, v149
	v_dual_add_f32 v9, v9, v17 :: v_dual_fma_f32 v11, v200, v144, -v11
	s_delay_alu instid0(VALU_DEP_3) | instskip(SKIP_1) | instid1(VALU_DEP_3)
	v_dual_fmac_f32 v25, v201, v144 :: v_dual_add_f32 v7, v7, v23
	v_pk_mul_f32 v[126:127], v[166:167], v[150:151] op_sel:[1,1] op_sel_hi:[0,1]
	v_dual_add_f32 v9, v9, v19 :: v_dual_fmac_f32 v217, v203, v146
	s_wait_loadcnt 0x3
	v_dual_mov_b32 v132, v157 :: v_dual_fma_f32 v216, v202, v146, -v13
	s_delay_alu instid0(VALU_DEP_2)
	v_dual_add_f32 v135, v7, v25 :: v_dual_add_f32 v134, v9, v11
	v_fmac_f32_e32 v219, v205, v148
	v_pk_fma_f32 v[136:137], v[166:167], v[150:151], v[126:127] op_sel_hi:[1,0,1]
	v_fma_f32 v218, v204, v148, -v15
	v_pk_mul_f32 v[128:129], v[208:209], v[128:129] op_sel_hi:[1,0]
	v_pk_add_f32 v[134:135], v[134:135], v[216:217]
	v_pk_fma_f32 v[126:127], v[166:167], v[150:151], v[126:127] neg_lo:[0,0,1] neg_hi:[0,0,1]
	v_pk_mul_f32 v[130:131], v[170:171], v[154:155] op_sel:[1,1] op_sel_hi:[0,1]
	v_mov_b32_e32 v127, v137
	v_pk_fma_f32 v[136:137], v[168:169], v[152:153], v[128:129] op_sel_hi:[1,0,1]
	v_pk_add_f32 v[134:135], v[134:135], v[218:219]
	v_pk_fma_f32 v[128:129], v[168:169], v[152:153], v[128:129] neg_lo:[0,0,1] neg_hi:[0,0,1]
	v_pk_fma_f32 v[140:141], v[170:171], v[154:155], v[130:131] op_sel_hi:[1,0,1]
	v_pk_mul_f32 v[132:133], v[210:211], v[132:133] op_sel_hi:[1,0]
	v_mov_b32_e32 v129, v137
	v_pk_add_f32 v[126:127], v[134:135], v[126:127]
	s_wait_loadcnt 0x2
	v_pk_mul_f32 v[138:139], v[174:175], v[158:159] op_sel:[1,1] op_sel_hi:[0,1]
	v_mov_b32_e32 v134, v161
	v_pk_fma_f32 v[130:131], v[170:171], v[154:155], v[130:131] neg_lo:[0,0,1] neg_hi:[0,0,1]
	v_pk_fma_f32 v[136:137], v[172:173], v[156:157], v[132:133] op_sel_hi:[1,0,1]
	v_mov_b32_e32 v131, v141
	v_pk_add_f32 v[126:127], v[126:127], v[128:129]
	v_pk_fma_f32 v[128:129], v[174:175], v[158:159], v[138:139] op_sel_hi:[1,0,1]
	v_pk_mul_f32 v[134:135], v[212:213], v[134:135] op_sel_hi:[1,0]
	v_pk_fma_f32 v[132:133], v[172:173], v[156:157], v[132:133] neg_lo:[0,0,1] neg_hi:[0,0,1]
	v_mov_b32_e32 v133, v137
	v_pk_add_f32 v[126:127], v[126:127], v[130:131]
	v_pk_fma_f32 v[136:137], v[174:175], v[158:159], v[138:139] neg_lo:[0,0,1] neg_hi:[0,0,1]
	v_mov_b32_e32 v137, v129
	v_pk_fma_f32 v[128:129], v[176:177], v[160:161], v[134:135] op_sel_hi:[1,0,1]
	s_wait_loadcnt 0x1
	v_pk_mul_f32 v[130:131], v[178:179], v[162:163] op_sel:[1,1] op_sel_hi:[0,1]
	v_pk_add_f32 v[126:127], v[126:127], v[132:133]
	v_mov_b32_e32 v128, v165
	v_pk_fma_f32 v[134:135], v[176:177], v[160:161], v[134:135] neg_lo:[0,0,1] neg_hi:[0,0,1]
	s_delay_alu instid0(VALU_DEP_4)
	v_pk_fma_f32 v[132:133], v[178:179], v[162:163], v[130:131] op_sel_hi:[1,0,1]
	v_mov_b32_e32 v135, v129
	v_pk_add_f32 v[126:127], v[126:127], v[136:137]
	v_pk_mul_f32 v[128:129], v[214:215], v[128:129] op_sel_hi:[1,0]
	v_pk_fma_f32 v[130:131], v[178:179], v[162:163], v[130:131] neg_lo:[0,0,1] neg_hi:[0,0,1]
	v_mov_b32_e32 v131, v133
	s_delay_alu instid0(VALU_DEP_4) | instskip(NEXT) | instid1(VALU_DEP_4)
	v_pk_add_f32 v[126:127], v[126:127], v[134:135]
	v_pk_fma_f32 v[132:133], v[180:181], v[164:165], v[128:129] op_sel_hi:[1,0,1]
	v_pk_fma_f32 v[128:129], v[180:181], v[164:165], v[128:129] neg_lo:[0,0,1] neg_hi:[0,0,1]
	s_delay_alu instid0(VALU_DEP_3) | instskip(NEXT) | instid1(VALU_DEP_3)
	v_pk_add_f32 v[126:127], v[126:127], v[130:131]
	v_mov_b32_e32 v129, v133
	s_delay_alu instid0(VALU_DEP_1) | instskip(SKIP_1) | instid1(VALU_DEP_1)
	v_pk_add_f32 v[126:127], v[126:127], v[128:129]
	s_wait_loadcnt 0x0
	v_pk_add_f32 v[126:127], v[206:207], v[126:127] neg_lo:[0,1] neg_hi:[0,1]
	scratch_store_b64 off, v[126:127], off offset:328
	s_wait_xcnt 0x0
	v_cmpx_lt_u32_e32 40, v0
	s_cbranch_execz .LBB125_305
; %bb.304:
	scratch_load_b64 v[126:127], off, off offset:320
	v_mov_b64_e32 v[128:129], 0
	scratch_store_b64 off, v[128:129], off offset:320
	s_wait_loadcnt 0x0
	ds_store_b64 v1, v[126:127]
.LBB125_305:
	s_wait_xcnt 0x0
	s_or_b32 exec_lo, exec_lo, s0
	s_wait_storecnt_dscnt 0x0
	s_barrier_signal -1
	s_barrier_wait -1
	s_clause 0xb
	scratch_load_b128 v[126:129], off, off offset:328
	scratch_load_b128 v[130:133], off, off offset:344
	;; [unrolled: 1-line block ×10, first 2 shown]
	scratch_load_b64 v[206:207], off, off offset:488
	scratch_load_b64 v[208:209], off, off offset:320
	v_mov_b32_e32 v7, 0
	ds_load_2addr_b64 v[166:169], v7 offset0:115 offset1:116
	ds_load_2addr_b64 v[170:173], v7 offset0:117 offset1:118
	;; [unrolled: 1-line block ×10, first 2 shown]
	ds_load_b64 v[210:211], v7 offset:984
	s_mov_b32 s0, exec_lo
	s_wait_dscnt 0xa
	v_dual_mov_b32 v212, v169 :: v_dual_mov_b32 v213, v168
	s_wait_dscnt 0x7
	v_dual_mov_b32 v214, v173 :: v_dual_mov_b32 v219, v180
	v_dual_mov_b32 v215, v172 :: v_dual_mov_b32 v216, v177
	;; [unrolled: 1-line block ×3, first 2 shown]
	s_wait_loadcnt_dscnt 0xb06
	v_dual_mul_f32 v9, v182, v127 :: v_dual_mul_f32 v31, v183, v127
	v_dual_mul_f32 v33, v185, v129 :: v_dual_mul_f32 v11, v184, v129
	s_wait_loadcnt_dscnt 0xa05
	v_mul_f32_e32 v13, v186, v131
	s_wait_loadcnt_dscnt 0x803
	v_dual_mul_f32 v43, v195, v139 :: v_dual_fma_f32 v31, v182, v126, -v31
	v_dual_fmac_f32 v9, v183, v126 :: v_dual_mul_f32 v45, v197, v141
	v_dual_mul_f32 v35, v187, v131 :: v_dual_mul_f32 v37, v189, v133
	v_dual_fmac_f32 v11, v185, v128 :: v_dual_fma_f32 v33, v184, v128, -v33
	s_delay_alu instid0(VALU_DEP_3) | instskip(SKIP_3) | instid1(VALU_DEP_3)
	v_dual_add_f32 v9, 0, v9 :: v_dual_add_f32 v31, 0, v31
	v_dual_mul_f32 v15, v188, v133 :: v_dual_mul_f32 v17, v190, v135
	s_wait_loadcnt_dscnt 0x702
	v_dual_mul_f32 v47, v199, v143 :: v_dual_fma_f32 v35, v186, v130, -v35
	v_dual_fmac_f32 v13, v187, v130 :: v_dual_add_f32 v9, v9, v11
	s_delay_alu instid0(VALU_DEP_3) | instskip(SKIP_2) | instid1(VALU_DEP_3)
	v_dual_add_f32 v11, v31, v33 :: v_dual_fmac_f32 v15, v189, v132
	v_dual_mul_f32 v39, v191, v135 :: v_dual_mul_f32 v41, v193, v137
	v_dual_mul_f32 v31, v201, v145 :: v_dual_fma_f32 v33, v188, v132, -v37
	v_dual_add_f32 v9, v9, v13 :: v_dual_add_f32 v11, v11, v35
	v_dual_mul_f32 v19, v192, v137 :: v_dual_mul_f32 v21, v194, v139
	s_wait_loadcnt_dscnt 0x601
	v_dual_mul_f32 v13, v203, v147 :: v_dual_fma_f32 v35, v190, v134, -v39
	s_delay_alu instid0(VALU_DEP_3) | instskip(NEXT) | instid1(VALU_DEP_3)
	v_dual_fmac_f32 v17, v191, v134 :: v_dual_add_f32 v9, v9, v15
	v_dual_add_f32 v11, v11, v33 :: v_dual_fmac_f32 v19, v193, v136
	v_dual_mul_f32 v15, v205, v149 :: v_dual_fma_f32 v33, v192, v136, -v41
	s_delay_alu instid0(VALU_DEP_2) | instskip(SKIP_3) | instid1(VALU_DEP_3)
	v_dual_add_f32 v9, v9, v17 :: v_dual_add_f32 v11, v11, v35
	v_dual_mul_f32 v23, v196, v141 :: v_dual_mul_f32 v25, v198, v143
	s_wait_loadcnt 0x5
	v_dual_mul_f32 v17, v167, v151 :: v_dual_fma_f32 v35, v194, v138, -v43
	v_dual_fmac_f32 v21, v195, v138 :: v_dual_add_f32 v9, v9, v19
	v_dual_add_f32 v11, v11, v33 :: v_dual_mov_b32 v126, v153
	v_dual_fmac_f32 v23, v197, v140 :: v_dual_fma_f32 v19, v196, v140, -v45
	s_delay_alu instid0(VALU_DEP_2) | instskip(SKIP_2) | instid1(VALU_DEP_3)
	v_dual_add_f32 v9, v9, v21 :: v_dual_add_f32 v11, v11, v35
	v_dual_mul_f32 v27, v200, v145 :: v_dual_mul_f32 v29, v202, v147
	v_dual_fmac_f32 v25, v199, v142 :: v_dual_fma_f32 v21, v198, v142, -v47
	v_add_f32_e32 v9, v9, v23
	s_wait_loadcnt 0x4
	v_dual_add_f32 v11, v11, v19 :: v_dual_mov_b32 v130, v157
	v_fmac_f32_e32 v27, v201, v144
	s_delay_alu instid0(VALU_DEP_3) | instskip(SKIP_1) | instid1(VALU_DEP_4)
	v_dual_fma_f32 v19, v200, v144, -v31 :: v_dual_add_f32 v9, v9, v25
	v_fmac_f32_e32 v29, v203, v146
	v_add_f32_e32 v11, v11, v21
	v_dual_mul_f32 v221, v204, v149 :: v_dual_mul_f32 v223, v166, v151
	s_delay_alu instid0(VALU_DEP_4) | instskip(NEXT) | instid1(VALU_DEP_2)
	v_dual_fma_f32 v13, v202, v146, -v13 :: v_dual_add_f32 v9, v9, v27
	v_dual_add_f32 v11, v11, v19 :: v_dual_fmac_f32 v221, v205, v148
	v_fma_f32 v220, v204, v148, -v15
	v_pk_mul_f32 v[126:127], v[212:213], v[126:127] op_sel_hi:[1,0]
	s_delay_alu instid0(VALU_DEP_4)
	v_add_f32_e32 v135, v9, v29
	s_wait_loadcnt 0x3
	v_dual_add_f32 v134, v11, v13 :: v_dual_mov_b32 v136, v161
	v_pk_mul_f32 v[128:129], v[170:171], v[154:155] op_sel:[1,1] op_sel_hi:[0,1]
	v_dual_fmac_f32 v223, v167, v150 :: v_dual_fma_f32 v222, v166, v150, -v17
	v_pk_fma_f32 v[138:139], v[168:169], v[152:153], v[126:127] op_sel_hi:[1,0,1]
	s_delay_alu instid0(VALU_DEP_4)
	v_pk_add_f32 v[134:135], v[134:135], v[220:221]
	v_pk_fma_f32 v[126:127], v[168:169], v[152:153], v[126:127] neg_lo:[0,0,1] neg_hi:[0,0,1]
	v_pk_fma_f32 v[140:141], v[170:171], v[154:155], v[128:129] op_sel_hi:[1,0,1]
	v_pk_mul_f32 v[130:131], v[214:215], v[130:131] op_sel_hi:[1,0]
	v_mov_b32_e32 v127, v139
	v_pk_add_f32 v[134:135], v[134:135], v[222:223]
	v_pk_fma_f32 v[128:129], v[170:171], v[154:155], v[128:129] neg_lo:[0,0,1] neg_hi:[0,0,1]
	v_pk_mul_f32 v[132:133], v[174:175], v[158:159] op_sel:[1,1] op_sel_hi:[0,1]
	v_mov_b32_e32 v129, v141
	v_pk_fma_f32 v[140:141], v[172:173], v[156:157], v[130:131] op_sel_hi:[1,0,1]
	v_pk_add_f32 v[126:127], v[134:135], v[126:127]
	v_pk_fma_f32 v[130:131], v[172:173], v[156:157], v[130:131] neg_lo:[0,0,1] neg_hi:[0,0,1]
	v_pk_fma_f32 v[134:135], v[174:175], v[158:159], v[132:133] op_sel_hi:[1,0,1]
	v_pk_mul_f32 v[136:137], v[216:217], v[136:137] op_sel_hi:[1,0]
	v_mov_b32_e32 v131, v141
	v_pk_add_f32 v[126:127], v[126:127], v[128:129]
	v_pk_fma_f32 v[132:133], v[174:175], v[158:159], v[132:133] neg_lo:[0,0,1] neg_hi:[0,0,1]
	s_wait_loadcnt 0x2
	v_pk_mul_f32 v[138:139], v[178:179], v[162:163] op_sel:[1,1] op_sel_hi:[0,1]
	v_dual_mov_b32 v128, v165 :: v_dual_mov_b32 v133, v135
	v_pk_fma_f32 v[134:135], v[176:177], v[160:161], v[136:137] op_sel_hi:[1,0,1]
	v_pk_add_f32 v[126:127], v[126:127], v[130:131]
	v_pk_fma_f32 v[136:137], v[176:177], v[160:161], v[136:137] neg_lo:[0,0,1] neg_hi:[0,0,1]
	v_pk_fma_f32 v[130:131], v[178:179], v[162:163], v[138:139] op_sel_hi:[1,0,1]
	v_pk_mul_f32 v[128:129], v[218:219], v[128:129] op_sel_hi:[1,0]
	v_mov_b32_e32 v137, v135
	v_pk_add_f32 v[126:127], v[126:127], v[132:133]
	v_pk_fma_f32 v[132:133], v[178:179], v[162:163], v[138:139] neg_lo:[0,0,1] neg_hi:[0,0,1]
	v_mov_b32_e32 v133, v131
	v_pk_fma_f32 v[130:131], v[180:181], v[164:165], v[128:129] op_sel_hi:[1,0,1]
	s_wait_loadcnt_dscnt 0x100
	v_pk_mul_f32 v[134:135], v[210:211], v[206:207] op_sel:[1,1] op_sel_hi:[0,1]
	v_pk_add_f32 v[126:127], v[126:127], v[136:137]
	v_pk_fma_f32 v[128:129], v[180:181], v[164:165], v[128:129] neg_lo:[0,0,1] neg_hi:[0,0,1]
	v_mov_b32_e32 v129, v131
	s_delay_alu instid0(VALU_DEP_4) | instskip(NEXT) | instid1(VALU_DEP_4)
	v_pk_fma_f32 v[130:131], v[210:211], v[206:207], v[134:135] op_sel_hi:[1,0,1]
	v_pk_add_f32 v[126:127], v[126:127], v[132:133]
	v_pk_fma_f32 v[132:133], v[210:211], v[206:207], v[134:135] neg_lo:[0,0,1] neg_hi:[0,0,1]
	s_delay_alu instid0(VALU_DEP_3) | instskip(NEXT) | instid1(VALU_DEP_3)
	v_mov_b32_e32 v133, v131
	v_pk_add_f32 v[126:127], v[126:127], v[128:129]
	s_delay_alu instid0(VALU_DEP_1) | instskip(SKIP_1) | instid1(VALU_DEP_1)
	v_pk_add_f32 v[126:127], v[126:127], v[132:133]
	s_wait_loadcnt 0x0
	v_pk_add_f32 v[126:127], v[208:209], v[126:127] neg_lo:[0,1] neg_hi:[0,1]
	scratch_store_b64 off, v[126:127], off offset:320
	s_wait_xcnt 0x0
	v_cmpx_lt_u32_e32 39, v0
	s_cbranch_execz .LBB125_307
; %bb.306:
	scratch_load_b64 v[126:127], off, off offset:312
	v_mov_b64_e32 v[128:129], 0
	scratch_store_b64 off, v[128:129], off offset:312
	s_wait_loadcnt 0x0
	ds_store_b64 v1, v[126:127]
.LBB125_307:
	s_wait_xcnt 0x0
	s_or_b32 exec_lo, exec_lo, s0
	s_wait_storecnt_dscnt 0x0
	s_barrier_signal -1
	s_barrier_wait -1
	s_clause 0xb
	scratch_load_b128 v[126:129], off, off offset:320
	scratch_load_b128 v[130:133], off, off offset:336
	;; [unrolled: 1-line block ×11, first 2 shown]
	scratch_load_b64 v[214:215], off, off offset:312
	ds_load_b128 v[170:173], v7 offset:928
	ds_load_b128 v[174:177], v7 offset:944
	;; [unrolled: 1-line block ×11, first 2 shown]
	s_mov_b32 s0, exec_lo
	s_wait_dscnt 0xa
	v_dual_mov_b32 v216, v173 :: v_dual_mov_b32 v217, v172
	s_wait_dscnt 0x9
	v_dual_mov_b32 v218, v177 :: v_dual_mov_b32 v219, v176
	;; [unrolled: 2-line block ×4, first 2 shown]
	s_wait_loadcnt_dscnt 0xb06
	v_dual_mul_f32 v7, v186, v127 :: v_dual_mul_f32 v9, v188, v129
	v_dual_mul_f32 v31, v187, v127 :: v_dual_mul_f32 v33, v189, v129
	s_wait_loadcnt_dscnt 0xa05
	v_dual_mul_f32 v11, v190, v131 :: v_dual_mul_f32 v13, v192, v133
	s_delay_alu instid0(VALU_DEP_3) | instskip(SKIP_3) | instid1(VALU_DEP_3)
	v_dual_fmac_f32 v7, v187, v126 :: v_dual_fmac_f32 v9, v189, v128
	s_wait_loadcnt_dscnt 0x803
	v_dual_fma_f32 v31, v186, v126, -v31 :: v_dual_mul_f32 v43, v199, v139
	v_dual_mul_f32 v35, v191, v131 :: v_dual_mul_f32 v37, v193, v133
	v_dual_fma_f32 v33, v188, v128, -v33 :: v_dual_add_f32 v7, 0, v7
	s_delay_alu instid0(VALU_DEP_3) | instskip(SKIP_1) | instid1(VALU_DEP_3)
	v_dual_add_f32 v31, 0, v31 :: v_dual_mul_f32 v45, v201, v141
	v_dual_fmac_f32 v11, v191, v130 :: v_dual_fmac_f32 v13, v193, v132
	v_dual_fma_f32 v35, v190, v130, -v35 :: v_dual_add_f32 v7, v7, v9
	s_delay_alu instid0(VALU_DEP_3) | instskip(SKIP_2) | instid1(VALU_DEP_4)
	v_dual_add_f32 v9, v31, v33 :: v_dual_fma_f32 v33, v192, v132, -v37
	v_dual_mul_f32 v15, v194, v135 :: v_dual_mul_f32 v17, v196, v137
	v_dual_mul_f32 v39, v195, v135 :: v_dual_mul_f32 v41, v197, v137
	v_add_f32_e32 v7, v7, v11
	s_delay_alu instid0(VALU_DEP_3) | instskip(NEXT) | instid1(VALU_DEP_3)
	v_dual_add_f32 v9, v9, v35 :: v_dual_fmac_f32 v15, v195, v134
	v_fma_f32 v35, v194, v134, -v39
	v_dual_mul_f32 v19, v198, v139 :: v_dual_mul_f32 v21, v200, v141
	s_delay_alu instid0(VALU_DEP_4) | instskip(SKIP_2) | instid1(VALU_DEP_2)
	v_dual_add_f32 v7, v7, v13 :: v_dual_fmac_f32 v17, v197, v136
	s_wait_loadcnt_dscnt 0x601
	v_dual_add_f32 v9, v9, v33 :: v_dual_mul_f32 v13, v207, v147
	v_dual_fma_f32 v33, v196, v136, -v41 :: v_dual_add_f32 v7, v7, v15
	v_mul_f32_e32 v15, v209, v149
	s_delay_alu instid0(VALU_DEP_3) | instskip(NEXT) | instid1(VALU_DEP_3)
	v_dual_add_f32 v9, v9, v35 :: v_dual_fmac_f32 v19, v199, v138
	v_dual_fma_f32 v35, v198, v138, -v43 :: v_dual_add_f32 v7, v7, v17
	v_fmac_f32_e32 v21, v201, v140
	s_wait_loadcnt_dscnt 0x500
	s_delay_alu instid0(VALU_DEP_3) | instskip(SKIP_3) | instid1(VALU_DEP_3)
	v_dual_add_f32 v9, v9, v33 :: v_dual_mul_f32 v17, v211, v151
	v_dual_mul_f32 v23, v202, v143 :: v_dual_mul_f32 v25, v204, v145
	v_dual_mul_f32 v31, v203, v143 :: v_dual_mul_f32 v11, v205, v145
	v_dual_fma_f32 v33, v200, v140, -v45 :: v_dual_add_f32 v7, v7, v19
	v_dual_add_f32 v9, v9, v35 :: v_dual_fmac_f32 v23, v203, v142
	s_delay_alu instid0(VALU_DEP_3) | instskip(NEXT) | instid1(VALU_DEP_3)
	v_dual_mul_f32 v19, v213, v153 :: v_dual_fma_f32 v31, v202, v142, -v31
	v_dual_add_f32 v7, v7, v21 :: v_dual_fmac_f32 v25, v205, v144
	s_delay_alu instid0(VALU_DEP_3) | instskip(SKIP_2) | instid1(VALU_DEP_3)
	v_dual_add_f32 v9, v9, v33 :: v_dual_fma_f32 v11, v204, v144, -v11
	v_dual_mul_f32 v27, v206, v147 :: v_dual_mul_f32 v29, v208, v149
	s_wait_loadcnt 0x4
	v_dual_add_f32 v7, v7, v23 :: v_dual_mov_b32 v128, v157
	s_delay_alu instid0(VALU_DEP_2) | instskip(NEXT) | instid1(VALU_DEP_2)
	v_dual_add_f32 v9, v9, v31 :: v_dual_fmac_f32 v27, v207, v146
	v_dual_fma_f32 v13, v206, v146, -v13 :: v_dual_add_f32 v7, v7, v25
	v_dual_mul_f32 v225, v210, v151 :: v_dual_mul_f32 v227, v212, v153
	s_delay_alu instid0(VALU_DEP_3) | instskip(NEXT) | instid1(VALU_DEP_3)
	v_dual_add_f32 v9, v9, v11 :: v_dual_fma_f32 v11, v208, v148, -v15
	v_dual_fmac_f32 v29, v209, v148 :: v_dual_add_f32 v7, v7, v27
	v_pk_mul_f32 v[126:127], v[170:171], v[154:155] op_sel:[1,1] op_sel_hi:[0,1]
	s_delay_alu instid0(VALU_DEP_3) | instskip(SKIP_2) | instid1(VALU_DEP_2)
	v_dual_add_f32 v9, v9, v13 :: v_dual_fmac_f32 v225, v211, v150
	s_wait_loadcnt 0x3
	v_dual_mov_b32 v132, v161 :: v_dual_fma_f32 v224, v210, v150, -v17
	v_dual_add_f32 v135, v7, v29 :: v_dual_add_f32 v134, v9, v11
	v_fmac_f32_e32 v227, v213, v152
	v_pk_fma_f32 v[136:137], v[170:171], v[154:155], v[126:127] op_sel_hi:[1,0,1]
	v_fma_f32 v226, v212, v152, -v19
	v_pk_mul_f32 v[128:129], v[216:217], v[128:129] op_sel_hi:[1,0]
	v_pk_add_f32 v[134:135], v[134:135], v[224:225]
	v_pk_fma_f32 v[126:127], v[170:171], v[154:155], v[126:127] neg_lo:[0,0,1] neg_hi:[0,0,1]
	v_pk_mul_f32 v[130:131], v[174:175], v[158:159] op_sel:[1,1] op_sel_hi:[0,1]
	v_mov_b32_e32 v127, v137
	v_pk_fma_f32 v[136:137], v[172:173], v[156:157], v[128:129] op_sel_hi:[1,0,1]
	v_pk_add_f32 v[134:135], v[134:135], v[226:227]
	v_pk_fma_f32 v[128:129], v[172:173], v[156:157], v[128:129] neg_lo:[0,0,1] neg_hi:[0,0,1]
	v_pk_fma_f32 v[140:141], v[174:175], v[158:159], v[130:131] op_sel_hi:[1,0,1]
	v_pk_mul_f32 v[132:133], v[218:219], v[132:133] op_sel_hi:[1,0]
	v_mov_b32_e32 v129, v137
	v_pk_add_f32 v[126:127], v[134:135], v[126:127]
	s_wait_loadcnt 0x2
	v_pk_mul_f32 v[138:139], v[178:179], v[162:163] op_sel:[1,1] op_sel_hi:[0,1]
	v_mov_b32_e32 v134, v165
	v_pk_fma_f32 v[130:131], v[174:175], v[158:159], v[130:131] neg_lo:[0,0,1] neg_hi:[0,0,1]
	v_pk_fma_f32 v[136:137], v[176:177], v[160:161], v[132:133] op_sel_hi:[1,0,1]
	v_mov_b32_e32 v131, v141
	v_pk_add_f32 v[126:127], v[126:127], v[128:129]
	v_pk_fma_f32 v[128:129], v[178:179], v[162:163], v[138:139] op_sel_hi:[1,0,1]
	v_pk_mul_f32 v[134:135], v[220:221], v[134:135] op_sel_hi:[1,0]
	v_pk_fma_f32 v[132:133], v[176:177], v[160:161], v[132:133] neg_lo:[0,0,1] neg_hi:[0,0,1]
	v_mov_b32_e32 v133, v137
	v_pk_add_f32 v[126:127], v[126:127], v[130:131]
	v_pk_fma_f32 v[136:137], v[178:179], v[162:163], v[138:139] neg_lo:[0,0,1] neg_hi:[0,0,1]
	v_mov_b32_e32 v137, v129
	v_pk_fma_f32 v[128:129], v[180:181], v[164:165], v[134:135] op_sel_hi:[1,0,1]
	s_wait_loadcnt 0x1
	v_pk_mul_f32 v[130:131], v[182:183], v[166:167] op_sel:[1,1] op_sel_hi:[0,1]
	v_pk_add_f32 v[126:127], v[126:127], v[132:133]
	v_mov_b32_e32 v128, v169
	v_pk_fma_f32 v[134:135], v[180:181], v[164:165], v[134:135] neg_lo:[0,0,1] neg_hi:[0,0,1]
	s_delay_alu instid0(VALU_DEP_4)
	v_pk_fma_f32 v[132:133], v[182:183], v[166:167], v[130:131] op_sel_hi:[1,0,1]
	v_mov_b32_e32 v135, v129
	v_pk_add_f32 v[126:127], v[126:127], v[136:137]
	v_pk_mul_f32 v[128:129], v[222:223], v[128:129] op_sel_hi:[1,0]
	v_pk_fma_f32 v[130:131], v[182:183], v[166:167], v[130:131] neg_lo:[0,0,1] neg_hi:[0,0,1]
	v_mov_b32_e32 v131, v133
	s_delay_alu instid0(VALU_DEP_4) | instskip(NEXT) | instid1(VALU_DEP_4)
	v_pk_add_f32 v[126:127], v[126:127], v[134:135]
	v_pk_fma_f32 v[132:133], v[184:185], v[168:169], v[128:129] op_sel_hi:[1,0,1]
	v_pk_fma_f32 v[128:129], v[184:185], v[168:169], v[128:129] neg_lo:[0,0,1] neg_hi:[0,0,1]
	s_delay_alu instid0(VALU_DEP_3) | instskip(NEXT) | instid1(VALU_DEP_3)
	v_pk_add_f32 v[126:127], v[126:127], v[130:131]
	v_mov_b32_e32 v129, v133
	s_delay_alu instid0(VALU_DEP_1) | instskip(SKIP_1) | instid1(VALU_DEP_1)
	v_pk_add_f32 v[126:127], v[126:127], v[128:129]
	s_wait_loadcnt 0x0
	v_pk_add_f32 v[126:127], v[214:215], v[126:127] neg_lo:[0,1] neg_hi:[0,1]
	scratch_store_b64 off, v[126:127], off offset:312
	s_wait_xcnt 0x0
	v_cmpx_lt_u32_e32 38, v0
	s_cbranch_execz .LBB125_309
; %bb.308:
	scratch_load_b64 v[126:127], off, off offset:304
	v_mov_b64_e32 v[128:129], 0
	scratch_store_b64 off, v[128:129], off offset:304
	s_wait_loadcnt 0x0
	ds_store_b64 v1, v[126:127]
.LBB125_309:
	s_wait_xcnt 0x0
	s_or_b32 exec_lo, exec_lo, s0
	s_wait_storecnt_dscnt 0x0
	s_barrier_signal -1
	s_barrier_wait -1
	s_clause 0xc
	scratch_load_b128 v[126:129], off, off offset:312
	scratch_load_b128 v[130:133], off, off offset:328
	;; [unrolled: 1-line block ×11, first 2 shown]
	scratch_load_b64 v[214:215], off, off offset:488
	scratch_load_b64 v[216:217], off, off offset:304
	v_mov_b32_e32 v7, 0
	ds_load_2addr_b64 v[170:173], v7 offset0:115 offset1:116
	ds_load_2addr_b64 v[174:177], v7 offset0:117 offset1:118
	;; [unrolled: 1-line block ×11, first 2 shown]
	ds_load_b64 v[218:219], v7 offset:984
	s_mov_b32 s0, exec_lo
	s_wait_dscnt 0xb
	v_dual_mov_b32 v220, v173 :: v_dual_mov_b32 v221, v172
	s_wait_dscnt 0x8
	v_dual_mov_b32 v222, v177 :: v_dual_mov_b32 v227, v184
	v_dual_mov_b32 v223, v176 :: v_dual_mov_b32 v224, v181
	v_dual_mov_b32 v225, v180 :: v_dual_mov_b32 v226, v185
	s_wait_loadcnt_dscnt 0xc07
	v_dual_mul_f32 v9, v186, v127 :: v_dual_mul_f32 v35, v187, v127
	v_dual_mul_f32 v37, v189, v129 :: v_dual_mul_f32 v11, v188, v129
	s_wait_loadcnt_dscnt 0xb06
	v_mul_f32_e32 v13, v190, v131
	s_wait_loadcnt_dscnt 0x904
	v_dual_mul_f32 v47, v199, v139 :: v_dual_fma_f32 v35, v186, v126, -v35
	v_dual_fmac_f32 v9, v187, v126 :: v_dual_mul_f32 v49, v201, v141
	v_dual_mul_f32 v39, v191, v131 :: v_dual_mul_f32 v41, v193, v133
	v_dual_fmac_f32 v11, v189, v128 :: v_dual_fma_f32 v37, v188, v128, -v37
	s_delay_alu instid0(VALU_DEP_3) | instskip(SKIP_3) | instid1(VALU_DEP_3)
	v_dual_add_f32 v9, 0, v9 :: v_dual_add_f32 v35, 0, v35
	v_dual_mul_f32 v15, v192, v133 :: v_dual_mul_f32 v17, v194, v135
	s_wait_loadcnt_dscnt 0x803
	v_dual_mul_f32 v51, v203, v143 :: v_dual_fma_f32 v39, v190, v130, -v39
	v_dual_fmac_f32 v13, v191, v130 :: v_dual_add_f32 v9, v9, v11
	s_delay_alu instid0(VALU_DEP_3) | instskip(SKIP_2) | instid1(VALU_DEP_3)
	v_dual_add_f32 v11, v35, v37 :: v_dual_fmac_f32 v15, v193, v132
	v_dual_mul_f32 v43, v195, v135 :: v_dual_mul_f32 v45, v197, v137
	v_dual_mul_f32 v35, v205, v145 :: v_dual_fma_f32 v37, v192, v132, -v41
	v_dual_add_f32 v9, v9, v13 :: v_dual_add_f32 v11, v11, v39
	v_dual_mul_f32 v19, v196, v137 :: v_dual_mul_f32 v21, v198, v139
	s_wait_loadcnt_dscnt 0x701
	v_dual_mul_f32 v13, v211, v147 :: v_dual_fma_f32 v39, v194, v134, -v43
	s_delay_alu instid0(VALU_DEP_3) | instskip(NEXT) | instid1(VALU_DEP_3)
	v_dual_fmac_f32 v17, v195, v134 :: v_dual_add_f32 v9, v9, v15
	v_dual_add_f32 v11, v11, v37 :: v_dual_fmac_f32 v19, v197, v136
	v_dual_mul_f32 v15, v213, v149 :: v_dual_fma_f32 v37, v196, v136, -v45
	s_delay_alu instid0(VALU_DEP_2) | instskip(SKIP_3) | instid1(VALU_DEP_3)
	v_dual_add_f32 v9, v9, v17 :: v_dual_add_f32 v11, v11, v39
	v_dual_mul_f32 v23, v200, v141 :: v_dual_mul_f32 v25, v202, v143
	s_wait_loadcnt 0x6
	v_dual_mul_f32 v17, v207, v151 :: v_dual_fma_f32 v39, v198, v138, -v47
	v_dual_fmac_f32 v21, v199, v138 :: v_dual_add_f32 v9, v9, v19
	s_delay_alu instid0(VALU_DEP_3) | instskip(SKIP_1) | instid1(VALU_DEP_2)
	v_dual_add_f32 v11, v11, v37 :: v_dual_fmac_f32 v23, v201, v140
	v_dual_mul_f32 v19, v209, v153 :: v_dual_fma_f32 v37, v200, v140, -v49
	v_dual_add_f32 v9, v9, v21 :: v_dual_add_f32 v11, v11, v39
	v_dual_mul_f32 v27, v204, v145 :: v_dual_mul_f32 v29, v210, v147
	s_wait_loadcnt 0x5
	v_dual_mul_f32 v21, v171, v155 :: v_dual_fma_f32 v39, v202, v142, -v51
	s_delay_alu instid0(VALU_DEP_3) | instskip(SKIP_2) | instid1(VALU_DEP_3)
	v_dual_fmac_f32 v25, v203, v142 :: v_dual_add_f32 v9, v9, v23
	v_dual_add_f32 v11, v11, v37 :: v_dual_mov_b32 v126, v157
	v_fmac_f32_e32 v27, v205, v144
	v_dual_fma_f32 v23, v204, v144, -v35 :: v_dual_add_f32 v9, v9, v25
	s_delay_alu instid0(VALU_DEP_3) | instskip(SKIP_1) | instid1(VALU_DEP_3)
	v_dual_add_f32 v11, v11, v39 :: v_dual_mul_f32 v31, v212, v149
	v_dual_mul_f32 v33, v206, v151 :: v_dual_fmac_f32 v29, v211, v146
	v_dual_add_f32 v9, v9, v27 :: v_dual_fma_f32 v13, v210, v146, -v13
	s_wait_loadcnt 0x4
	s_delay_alu instid0(VALU_DEP_3) | instskip(SKIP_3) | instid1(VALU_DEP_4)
	v_dual_add_f32 v11, v11, v23 :: v_dual_mov_b32 v130, v161
	v_fma_f32 v15, v212, v148, -v15
	v_fmac_f32_e32 v31, v213, v148
	v_dual_add_f32 v9, v9, v29 :: v_dual_fmac_f32 v33, v207, v150
	v_add_f32_e32 v11, v11, v13
	v_dual_mul_f32 v229, v208, v153 :: v_dual_mul_f32 v231, v170, v155
	s_delay_alu instid0(VALU_DEP_3) | instskip(NEXT) | instid1(VALU_DEP_2)
	v_dual_fma_f32 v13, v206, v150, -v17 :: v_dual_add_f32 v9, v9, v31
	v_dual_add_f32 v11, v11, v15 :: v_dual_fmac_f32 v229, v209, v152
	v_fma_f32 v228, v208, v152, -v19
	v_pk_mul_f32 v[126:127], v[220:221], v[126:127] op_sel_hi:[1,0]
	s_delay_alu instid0(VALU_DEP_4)
	v_add_f32_e32 v135, v9, v33
	s_wait_loadcnt 0x3
	v_dual_add_f32 v134, v11, v13 :: v_dual_mov_b32 v136, v165
	v_pk_mul_f32 v[128:129], v[174:175], v[158:159] op_sel:[1,1] op_sel_hi:[0,1]
	v_dual_fmac_f32 v231, v171, v154 :: v_dual_fma_f32 v230, v170, v154, -v21
	v_pk_fma_f32 v[138:139], v[172:173], v[156:157], v[126:127] op_sel_hi:[1,0,1]
	s_delay_alu instid0(VALU_DEP_4)
	v_pk_add_f32 v[134:135], v[134:135], v[228:229]
	v_pk_fma_f32 v[126:127], v[172:173], v[156:157], v[126:127] neg_lo:[0,0,1] neg_hi:[0,0,1]
	v_pk_fma_f32 v[140:141], v[174:175], v[158:159], v[128:129] op_sel_hi:[1,0,1]
	v_pk_mul_f32 v[130:131], v[222:223], v[130:131] op_sel_hi:[1,0]
	v_mov_b32_e32 v127, v139
	v_pk_add_f32 v[134:135], v[134:135], v[230:231]
	v_pk_fma_f32 v[128:129], v[174:175], v[158:159], v[128:129] neg_lo:[0,0,1] neg_hi:[0,0,1]
	v_pk_mul_f32 v[132:133], v[178:179], v[162:163] op_sel:[1,1] op_sel_hi:[0,1]
	v_mov_b32_e32 v129, v141
	v_pk_fma_f32 v[140:141], v[176:177], v[160:161], v[130:131] op_sel_hi:[1,0,1]
	v_pk_add_f32 v[126:127], v[134:135], v[126:127]
	v_pk_fma_f32 v[130:131], v[176:177], v[160:161], v[130:131] neg_lo:[0,0,1] neg_hi:[0,0,1]
	v_pk_fma_f32 v[134:135], v[178:179], v[162:163], v[132:133] op_sel_hi:[1,0,1]
	v_pk_mul_f32 v[136:137], v[224:225], v[136:137] op_sel_hi:[1,0]
	v_mov_b32_e32 v131, v141
	v_pk_add_f32 v[126:127], v[126:127], v[128:129]
	v_pk_fma_f32 v[132:133], v[178:179], v[162:163], v[132:133] neg_lo:[0,0,1] neg_hi:[0,0,1]
	s_wait_loadcnt 0x2
	v_pk_mul_f32 v[138:139], v[182:183], v[166:167] op_sel:[1,1] op_sel_hi:[0,1]
	v_dual_mov_b32 v128, v169 :: v_dual_mov_b32 v133, v135
	v_pk_fma_f32 v[134:135], v[180:181], v[164:165], v[136:137] op_sel_hi:[1,0,1]
	v_pk_add_f32 v[126:127], v[126:127], v[130:131]
	v_pk_fma_f32 v[136:137], v[180:181], v[164:165], v[136:137] neg_lo:[0,0,1] neg_hi:[0,0,1]
	v_pk_fma_f32 v[130:131], v[182:183], v[166:167], v[138:139] op_sel_hi:[1,0,1]
	v_pk_mul_f32 v[128:129], v[226:227], v[128:129] op_sel_hi:[1,0]
	v_mov_b32_e32 v137, v135
	v_pk_add_f32 v[126:127], v[126:127], v[132:133]
	v_pk_fma_f32 v[132:133], v[182:183], v[166:167], v[138:139] neg_lo:[0,0,1] neg_hi:[0,0,1]
	v_mov_b32_e32 v133, v131
	v_pk_fma_f32 v[130:131], v[184:185], v[168:169], v[128:129] op_sel_hi:[1,0,1]
	s_wait_loadcnt_dscnt 0x100
	v_pk_mul_f32 v[134:135], v[218:219], v[214:215] op_sel:[1,1] op_sel_hi:[0,1]
	v_pk_add_f32 v[126:127], v[126:127], v[136:137]
	v_pk_fma_f32 v[128:129], v[184:185], v[168:169], v[128:129] neg_lo:[0,0,1] neg_hi:[0,0,1]
	v_mov_b32_e32 v129, v131
	s_delay_alu instid0(VALU_DEP_4) | instskip(NEXT) | instid1(VALU_DEP_4)
	v_pk_fma_f32 v[130:131], v[218:219], v[214:215], v[134:135] op_sel_hi:[1,0,1]
	v_pk_add_f32 v[126:127], v[126:127], v[132:133]
	v_pk_fma_f32 v[132:133], v[218:219], v[214:215], v[134:135] neg_lo:[0,0,1] neg_hi:[0,0,1]
	s_delay_alu instid0(VALU_DEP_3) | instskip(NEXT) | instid1(VALU_DEP_3)
	v_mov_b32_e32 v133, v131
	v_pk_add_f32 v[126:127], v[126:127], v[128:129]
	s_delay_alu instid0(VALU_DEP_1) | instskip(SKIP_1) | instid1(VALU_DEP_1)
	v_pk_add_f32 v[126:127], v[126:127], v[132:133]
	s_wait_loadcnt 0x0
	v_pk_add_f32 v[126:127], v[216:217], v[126:127] neg_lo:[0,1] neg_hi:[0,1]
	scratch_store_b64 off, v[126:127], off offset:304
	s_wait_xcnt 0x0
	v_cmpx_lt_u32_e32 37, v0
	s_cbranch_execz .LBB125_311
; %bb.310:
	scratch_load_b64 v[126:127], off, off offset:296
	v_mov_b64_e32 v[128:129], 0
	scratch_store_b64 off, v[128:129], off offset:296
	s_wait_loadcnt 0x0
	ds_store_b64 v1, v[126:127]
.LBB125_311:
	s_wait_xcnt 0x0
	s_or_b32 exec_lo, exec_lo, s0
	s_wait_storecnt_dscnt 0x0
	s_barrier_signal -1
	s_barrier_wait -1
	s_clause 0xc
	scratch_load_b128 v[126:129], off, off offset:304
	scratch_load_b128 v[130:133], off, off offset:320
	;; [unrolled: 1-line block ×12, first 2 shown]
	scratch_load_b64 v[222:223], off, off offset:296
	ds_load_b128 v[174:177], v7 offset:928
	ds_load_b128 v[178:181], v7 offset:944
	;; [unrolled: 1-line block ×12, first 2 shown]
	s_mov_b32 s0, exec_lo
	s_wait_dscnt 0xb
	v_dual_mov_b32 v224, v177 :: v_dual_mov_b32 v225, v176
	s_wait_dscnt 0xa
	v_dual_mov_b32 v226, v181 :: v_dual_mov_b32 v227, v180
	;; [unrolled: 2-line block ×4, first 2 shown]
	s_wait_loadcnt_dscnt 0xc07
	v_dual_mul_f32 v7, v190, v127 :: v_dual_mul_f32 v9, v192, v129
	v_dual_mul_f32 v35, v191, v127 :: v_dual_mul_f32 v37, v193, v129
	s_wait_loadcnt_dscnt 0xb06
	v_dual_mul_f32 v11, v194, v131 :: v_dual_mul_f32 v13, v196, v133
	s_delay_alu instid0(VALU_DEP_3) | instskip(SKIP_3) | instid1(VALU_DEP_3)
	v_dual_fmac_f32 v7, v191, v126 :: v_dual_fmac_f32 v9, v193, v128
	s_wait_loadcnt_dscnt 0x904
	v_dual_fma_f32 v35, v190, v126, -v35 :: v_dual_mul_f32 v47, v203, v139
	v_dual_mul_f32 v39, v195, v131 :: v_dual_mul_f32 v41, v197, v133
	v_dual_fma_f32 v37, v192, v128, -v37 :: v_dual_add_f32 v7, 0, v7
	s_delay_alu instid0(VALU_DEP_3) | instskip(SKIP_1) | instid1(VALU_DEP_3)
	v_dual_add_f32 v35, 0, v35 :: v_dual_mul_f32 v49, v205, v141
	v_dual_fmac_f32 v11, v195, v130 :: v_dual_fmac_f32 v13, v197, v132
	v_dual_fma_f32 v39, v194, v130, -v39 :: v_dual_add_f32 v7, v7, v9
	s_delay_alu instid0(VALU_DEP_3) | instskip(SKIP_2) | instid1(VALU_DEP_4)
	v_dual_add_f32 v9, v35, v37 :: v_dual_fma_f32 v37, v196, v132, -v41
	v_dual_mul_f32 v15, v198, v135 :: v_dual_mul_f32 v17, v200, v137
	v_dual_mul_f32 v43, v199, v135 :: v_dual_mul_f32 v45, v201, v137
	v_add_f32_e32 v7, v7, v11
	s_delay_alu instid0(VALU_DEP_3) | instskip(NEXT) | instid1(VALU_DEP_3)
	v_dual_add_f32 v9, v9, v39 :: v_dual_fmac_f32 v15, v199, v134
	v_fma_f32 v39, v198, v134, -v43
	v_dual_mul_f32 v19, v202, v139 :: v_dual_mul_f32 v21, v204, v141
	s_delay_alu instid0(VALU_DEP_4) | instskip(SKIP_2) | instid1(VALU_DEP_2)
	v_dual_add_f32 v7, v7, v13 :: v_dual_fmac_f32 v17, v201, v136
	s_wait_loadcnt_dscnt 0x702
	v_dual_add_f32 v9, v9, v37 :: v_dual_mul_f32 v13, v211, v147
	v_dual_fma_f32 v37, v200, v136, -v45 :: v_dual_add_f32 v7, v7, v15
	v_mul_f32_e32 v15, v213, v149
	s_delay_alu instid0(VALU_DEP_3) | instskip(NEXT) | instid1(VALU_DEP_3)
	v_dual_add_f32 v9, v9, v39 :: v_dual_fmac_f32 v19, v203, v138
	v_dual_fma_f32 v39, v202, v138, -v47 :: v_dual_add_f32 v7, v7, v17
	v_fmac_f32_e32 v21, v205, v140
	s_wait_loadcnt_dscnt 0x601
	s_delay_alu instid0(VALU_DEP_3) | instskip(SKIP_3) | instid1(VALU_DEP_3)
	v_dual_add_f32 v9, v9, v37 :: v_dual_mul_f32 v17, v215, v151
	v_dual_mul_f32 v23, v206, v143 :: v_dual_mul_f32 v25, v208, v145
	v_dual_mul_f32 v35, v207, v143 :: v_dual_mul_f32 v11, v209, v145
	v_dual_fma_f32 v37, v204, v140, -v49 :: v_dual_add_f32 v7, v7, v19
	v_dual_add_f32 v9, v9, v39 :: v_dual_fmac_f32 v23, v207, v142
	s_delay_alu instid0(VALU_DEP_3) | instskip(NEXT) | instid1(VALU_DEP_3)
	v_dual_mul_f32 v19, v217, v153 :: v_dual_fma_f32 v35, v206, v142, -v35
	v_dual_add_f32 v7, v7, v21 :: v_dual_fmac_f32 v25, v209, v144
	s_wait_loadcnt_dscnt 0x500
	s_delay_alu instid0(VALU_DEP_3) | instskip(SKIP_1) | instid1(VALU_DEP_3)
	v_dual_add_f32 v9, v9, v37 :: v_dual_mul_f32 v21, v219, v155
	v_dual_mul_f32 v27, v210, v147 :: v_dual_mul_f32 v29, v212, v149
	v_dual_fma_f32 v11, v208, v144, -v11 :: v_dual_add_f32 v7, v7, v23
	s_delay_alu instid0(VALU_DEP_2) | instskip(SKIP_1) | instid1(VALU_DEP_2)
	v_dual_add_f32 v9, v9, v35 :: v_dual_fmac_f32 v27, v211, v146
	v_dual_mul_f32 v23, v221, v157 :: v_dual_fma_f32 v13, v210, v146, -v13
	v_dual_add_f32 v7, v7, v25 :: v_dual_add_f32 v9, v9, v11
	v_dual_mul_f32 v31, v214, v151 :: v_dual_mul_f32 v33, v216, v153
	v_dual_fmac_f32 v29, v213, v148 :: v_dual_fma_f32 v11, v212, v148, -v15
	s_delay_alu instid0(VALU_DEP_3) | instskip(SKIP_1) | instid1(VALU_DEP_3)
	v_dual_add_f32 v7, v7, v27 :: v_dual_add_f32 v9, v9, v13
	s_wait_loadcnt 0x4
	v_dual_mov_b32 v128, v161 :: v_dual_fmac_f32 v31, v215, v150
	s_delay_alu instid0(VALU_DEP_2) | instskip(NEXT) | instid1(VALU_DEP_3)
	v_dual_fma_f32 v13, v214, v150, -v17 :: v_dual_add_f32 v7, v7, v29
	v_dual_add_f32 v9, v9, v11 :: v_dual_fma_f32 v11, v216, v152, -v19
	v_dual_mul_f32 v233, v218, v155 :: v_dual_mul_f32 v235, v220, v157
	s_delay_alu instid0(VALU_DEP_3) | instskip(NEXT) | instid1(VALU_DEP_2)
	v_dual_fmac_f32 v33, v217, v152 :: v_dual_add_f32 v7, v7, v31
	v_dual_add_f32 v9, v9, v13 :: v_dual_fmac_f32 v233, v219, v154
	v_pk_mul_f32 v[126:127], v[174:175], v[158:159] op_sel:[1,1] op_sel_hi:[0,1]
	s_wait_loadcnt 0x3
	v_dual_mov_b32 v132, v165 :: v_dual_fma_f32 v232, v218, v154, -v21
	s_delay_alu instid0(VALU_DEP_3)
	v_dual_add_f32 v135, v7, v33 :: v_dual_add_f32 v134, v9, v11
	v_fmac_f32_e32 v235, v221, v156
	v_pk_fma_f32 v[136:137], v[174:175], v[158:159], v[126:127] op_sel_hi:[1,0,1]
	v_fma_f32 v234, v220, v156, -v23
	v_pk_mul_f32 v[128:129], v[224:225], v[128:129] op_sel_hi:[1,0]
	v_pk_add_f32 v[134:135], v[134:135], v[232:233]
	v_pk_fma_f32 v[126:127], v[174:175], v[158:159], v[126:127] neg_lo:[0,0,1] neg_hi:[0,0,1]
	v_pk_mul_f32 v[130:131], v[178:179], v[162:163] op_sel:[1,1] op_sel_hi:[0,1]
	v_mov_b32_e32 v127, v137
	v_pk_fma_f32 v[136:137], v[176:177], v[160:161], v[128:129] op_sel_hi:[1,0,1]
	v_pk_add_f32 v[134:135], v[134:135], v[234:235]
	v_pk_fma_f32 v[128:129], v[176:177], v[160:161], v[128:129] neg_lo:[0,0,1] neg_hi:[0,0,1]
	v_pk_fma_f32 v[140:141], v[178:179], v[162:163], v[130:131] op_sel_hi:[1,0,1]
	v_pk_mul_f32 v[132:133], v[226:227], v[132:133] op_sel_hi:[1,0]
	v_mov_b32_e32 v129, v137
	v_pk_add_f32 v[126:127], v[134:135], v[126:127]
	s_wait_loadcnt 0x2
	v_pk_mul_f32 v[138:139], v[182:183], v[166:167] op_sel:[1,1] op_sel_hi:[0,1]
	v_mov_b32_e32 v134, v169
	v_pk_fma_f32 v[130:131], v[178:179], v[162:163], v[130:131] neg_lo:[0,0,1] neg_hi:[0,0,1]
	v_pk_fma_f32 v[136:137], v[180:181], v[164:165], v[132:133] op_sel_hi:[1,0,1]
	v_mov_b32_e32 v131, v141
	v_pk_add_f32 v[126:127], v[126:127], v[128:129]
	v_pk_fma_f32 v[128:129], v[182:183], v[166:167], v[138:139] op_sel_hi:[1,0,1]
	v_pk_mul_f32 v[134:135], v[228:229], v[134:135] op_sel_hi:[1,0]
	v_pk_fma_f32 v[132:133], v[180:181], v[164:165], v[132:133] neg_lo:[0,0,1] neg_hi:[0,0,1]
	v_mov_b32_e32 v133, v137
	v_pk_add_f32 v[126:127], v[126:127], v[130:131]
	v_pk_fma_f32 v[136:137], v[182:183], v[166:167], v[138:139] neg_lo:[0,0,1] neg_hi:[0,0,1]
	v_mov_b32_e32 v137, v129
	v_pk_fma_f32 v[128:129], v[184:185], v[168:169], v[134:135] op_sel_hi:[1,0,1]
	s_wait_loadcnt 0x1
	v_pk_mul_f32 v[130:131], v[186:187], v[170:171] op_sel:[1,1] op_sel_hi:[0,1]
	v_pk_add_f32 v[126:127], v[126:127], v[132:133]
	v_mov_b32_e32 v128, v173
	v_pk_fma_f32 v[134:135], v[184:185], v[168:169], v[134:135] neg_lo:[0,0,1] neg_hi:[0,0,1]
	s_delay_alu instid0(VALU_DEP_4)
	v_pk_fma_f32 v[132:133], v[186:187], v[170:171], v[130:131] op_sel_hi:[1,0,1]
	v_mov_b32_e32 v135, v129
	v_pk_add_f32 v[126:127], v[126:127], v[136:137]
	v_pk_mul_f32 v[128:129], v[230:231], v[128:129] op_sel_hi:[1,0]
	v_pk_fma_f32 v[130:131], v[186:187], v[170:171], v[130:131] neg_lo:[0,0,1] neg_hi:[0,0,1]
	v_mov_b32_e32 v131, v133
	s_delay_alu instid0(VALU_DEP_4) | instskip(NEXT) | instid1(VALU_DEP_4)
	v_pk_add_f32 v[126:127], v[126:127], v[134:135]
	v_pk_fma_f32 v[132:133], v[188:189], v[172:173], v[128:129] op_sel_hi:[1,0,1]
	v_pk_fma_f32 v[128:129], v[188:189], v[172:173], v[128:129] neg_lo:[0,0,1] neg_hi:[0,0,1]
	s_delay_alu instid0(VALU_DEP_3) | instskip(NEXT) | instid1(VALU_DEP_3)
	v_pk_add_f32 v[126:127], v[126:127], v[130:131]
	v_mov_b32_e32 v129, v133
	s_delay_alu instid0(VALU_DEP_1) | instskip(SKIP_1) | instid1(VALU_DEP_1)
	v_pk_add_f32 v[126:127], v[126:127], v[128:129]
	s_wait_loadcnt 0x0
	v_pk_add_f32 v[126:127], v[222:223], v[126:127] neg_lo:[0,1] neg_hi:[0,1]
	scratch_store_b64 off, v[126:127], off offset:296
	s_wait_xcnt 0x0
	v_cmpx_lt_u32_e32 36, v0
	s_cbranch_execz .LBB125_313
; %bb.312:
	scratch_load_b64 v[126:127], off, off offset:288
	v_mov_b64_e32 v[128:129], 0
	scratch_store_b64 off, v[128:129], off offset:288
	s_wait_loadcnt 0x0
	ds_store_b64 v1, v[126:127]
.LBB125_313:
	s_wait_xcnt 0x0
	s_or_b32 exec_lo, exec_lo, s0
	s_wait_storecnt_dscnt 0x0
	s_barrier_signal -1
	s_barrier_wait -1
	s_clause 0xd
	scratch_load_b128 v[126:129], off, off offset:296
	scratch_load_b128 v[130:133], off, off offset:312
	;; [unrolled: 1-line block ×12, first 2 shown]
	scratch_load_b64 v[222:223], off, off offset:488
	scratch_load_b64 v[224:225], off, off offset:288
	v_mov_b32_e32 v7, 0
	ds_load_2addr_b64 v[174:177], v7 offset0:115 offset1:116
	ds_load_2addr_b64 v[178:181], v7 offset0:117 offset1:118
	;; [unrolled: 1-line block ×12, first 2 shown]
	ds_load_b64 v[226:227], v7 offset:984
	s_mov_b32 s0, exec_lo
	s_wait_dscnt 0xc
	v_dual_mov_b32 v228, v177 :: v_dual_mov_b32 v229, v176
	s_wait_dscnt 0x9
	v_dual_mov_b32 v230, v181 :: v_dual_mov_b32 v235, v188
	v_dual_mov_b32 v231, v180 :: v_dual_mov_b32 v232, v185
	;; [unrolled: 1-line block ×3, first 2 shown]
	s_wait_loadcnt_dscnt 0xd08
	v_dual_mul_f32 v9, v190, v127 :: v_dual_mul_f32 v39, v191, v127
	v_dual_mul_f32 v41, v193, v129 :: v_dual_mul_f32 v11, v192, v129
	s_wait_loadcnt_dscnt 0xc07
	v_mul_f32_e32 v13, v194, v131
	s_wait_loadcnt_dscnt 0xa05
	v_dual_mul_f32 v51, v203, v139 :: v_dual_fma_f32 v39, v190, v126, -v39
	v_dual_fmac_f32 v9, v191, v126 :: v_dual_mul_f32 v53, v205, v141
	v_dual_mul_f32 v43, v195, v131 :: v_dual_mul_f32 v45, v197, v133
	v_dual_fmac_f32 v11, v193, v128 :: v_dual_fma_f32 v41, v192, v128, -v41
	s_delay_alu instid0(VALU_DEP_3) | instskip(SKIP_3) | instid1(VALU_DEP_3)
	v_dual_add_f32 v9, 0, v9 :: v_dual_add_f32 v39, 0, v39
	v_dual_mul_f32 v15, v196, v133 :: v_dual_mul_f32 v17, v198, v135
	s_wait_loadcnt_dscnt 0x904
	v_dual_mul_f32 v55, v207, v143 :: v_dual_fma_f32 v43, v194, v130, -v43
	v_dual_fmac_f32 v13, v195, v130 :: v_dual_add_f32 v9, v9, v11
	s_delay_alu instid0(VALU_DEP_3) | instskip(SKIP_2) | instid1(VALU_DEP_3)
	v_dual_add_f32 v11, v39, v41 :: v_dual_fmac_f32 v15, v197, v132
	v_dual_mul_f32 v47, v199, v135 :: v_dual_mul_f32 v49, v201, v137
	v_dual_mul_f32 v39, v209, v145 :: v_dual_fma_f32 v41, v196, v132, -v45
	v_dual_add_f32 v9, v9, v13 :: v_dual_add_f32 v11, v11, v43
	v_dual_mul_f32 v19, v200, v137 :: v_dual_mul_f32 v21, v202, v139
	s_wait_loadcnt_dscnt 0x803
	v_dual_mul_f32 v13, v211, v147 :: v_dual_fma_f32 v43, v198, v134, -v47
	s_delay_alu instid0(VALU_DEP_3) | instskip(NEXT) | instid1(VALU_DEP_3)
	v_dual_fmac_f32 v17, v199, v134 :: v_dual_add_f32 v9, v9, v15
	v_dual_add_f32 v11, v11, v41 :: v_dual_fmac_f32 v19, v201, v136
	v_dual_mul_f32 v15, v213, v149 :: v_dual_fma_f32 v41, v200, v136, -v49
	s_delay_alu instid0(VALU_DEP_2) | instskip(SKIP_3) | instid1(VALU_DEP_3)
	v_dual_add_f32 v9, v9, v17 :: v_dual_add_f32 v11, v11, v43
	v_dual_mul_f32 v23, v204, v141 :: v_dual_mul_f32 v25, v206, v143
	s_wait_loadcnt_dscnt 0x702
	v_dual_mul_f32 v17, v215, v151 :: v_dual_fma_f32 v43, v202, v138, -v51
	v_dual_fmac_f32 v21, v203, v138 :: v_dual_add_f32 v9, v9, v19
	s_delay_alu instid0(VALU_DEP_3) | instskip(SKIP_1) | instid1(VALU_DEP_2)
	v_dual_add_f32 v11, v11, v41 :: v_dual_fmac_f32 v23, v205, v140
	v_dual_mul_f32 v19, v217, v153 :: v_dual_fma_f32 v41, v204, v140, -v53
	v_dual_add_f32 v9, v9, v21 :: v_dual_add_f32 v11, v11, v43
	v_dual_mul_f32 v27, v208, v145 :: v_dual_mul_f32 v29, v210, v147
	s_wait_loadcnt_dscnt 0x601
	v_dual_mul_f32 v21, v219, v155 :: v_dual_fma_f32 v43, v206, v142, -v55
	s_delay_alu instid0(VALU_DEP_3) | instskip(NEXT) | instid1(VALU_DEP_3)
	v_dual_fmac_f32 v25, v207, v142 :: v_dual_add_f32 v9, v9, v23
	v_dual_add_f32 v11, v11, v41 :: v_dual_fmac_f32 v27, v209, v144
	v_dual_mul_f32 v23, v221, v157 :: v_dual_fma_f32 v39, v208, v144, -v39
	s_delay_alu instid0(VALU_DEP_2) | instskip(SKIP_3) | instid1(VALU_DEP_3)
	v_dual_add_f32 v9, v9, v25 :: v_dual_add_f32 v11, v11, v43
	v_dual_mul_f32 v31, v212, v149 :: v_dual_mul_f32 v33, v214, v151
	s_wait_loadcnt 0x5
	v_dual_mul_f32 v25, v175, v159 :: v_dual_fma_f32 v13, v210, v146, -v13
	v_dual_fmac_f32 v29, v211, v146 :: v_dual_add_f32 v9, v9, v27
	v_dual_add_f32 v11, v11, v39 :: v_dual_mov_b32 v126, v161
	v_fmac_f32_e32 v31, v213, v148
	s_delay_alu instid0(VALU_DEP_3) | instskip(NEXT) | instid1(VALU_DEP_3)
	v_dual_fma_f32 v15, v212, v148, -v15 :: v_dual_add_f32 v9, v9, v29
	v_add_f32_e32 v11, v11, v13
	v_dual_mul_f32 v35, v216, v153 :: v_dual_mul_f32 v37, v218, v155
	s_delay_alu instid0(VALU_DEP_3) | instskip(NEXT) | instid1(VALU_DEP_3)
	v_dual_fmac_f32 v33, v215, v150 :: v_dual_add_f32 v9, v9, v31
	v_dual_fma_f32 v13, v214, v150, -v17 :: v_dual_add_f32 v11, v11, v15
	s_wait_loadcnt 0x4
	v_dual_mov_b32 v130, v165 :: v_dual_fma_f32 v15, v216, v152, -v19
	v_fmac_f32_e32 v35, v217, v152
	v_dual_add_f32 v9, v9, v33 :: v_dual_fmac_f32 v37, v219, v154
	v_add_f32_e32 v11, v11, v13
	v_dual_mul_f32 v237, v220, v157 :: v_dual_mul_f32 v239, v174, v159
	s_delay_alu instid0(VALU_DEP_3) | instskip(NEXT) | instid1(VALU_DEP_2)
	v_dual_fma_f32 v13, v218, v154, -v21 :: v_dual_add_f32 v9, v9, v35
	v_dual_add_f32 v11, v11, v15 :: v_dual_fmac_f32 v237, v221, v156
	v_fma_f32 v236, v220, v156, -v23
	v_pk_mul_f32 v[126:127], v[228:229], v[126:127] op_sel_hi:[1,0]
	s_delay_alu instid0(VALU_DEP_4)
	v_add_f32_e32 v135, v9, v37
	s_wait_loadcnt 0x3
	v_dual_add_f32 v134, v11, v13 :: v_dual_mov_b32 v136, v169
	v_pk_mul_f32 v[128:129], v[178:179], v[162:163] op_sel:[1,1] op_sel_hi:[0,1]
	v_dual_fmac_f32 v239, v175, v158 :: v_dual_fma_f32 v238, v174, v158, -v25
	v_pk_fma_f32 v[138:139], v[176:177], v[160:161], v[126:127] op_sel_hi:[1,0,1]
	s_delay_alu instid0(VALU_DEP_4)
	v_pk_add_f32 v[134:135], v[134:135], v[236:237]
	v_pk_fma_f32 v[126:127], v[176:177], v[160:161], v[126:127] neg_lo:[0,0,1] neg_hi:[0,0,1]
	v_pk_fma_f32 v[140:141], v[178:179], v[162:163], v[128:129] op_sel_hi:[1,0,1]
	v_pk_mul_f32 v[130:131], v[230:231], v[130:131] op_sel_hi:[1,0]
	v_mov_b32_e32 v127, v139
	v_pk_add_f32 v[134:135], v[134:135], v[238:239]
	v_pk_fma_f32 v[128:129], v[178:179], v[162:163], v[128:129] neg_lo:[0,0,1] neg_hi:[0,0,1]
	v_pk_mul_f32 v[132:133], v[182:183], v[166:167] op_sel:[1,1] op_sel_hi:[0,1]
	v_mov_b32_e32 v129, v141
	v_pk_fma_f32 v[140:141], v[180:181], v[164:165], v[130:131] op_sel_hi:[1,0,1]
	v_pk_add_f32 v[126:127], v[134:135], v[126:127]
	v_pk_fma_f32 v[130:131], v[180:181], v[164:165], v[130:131] neg_lo:[0,0,1] neg_hi:[0,0,1]
	v_pk_fma_f32 v[134:135], v[182:183], v[166:167], v[132:133] op_sel_hi:[1,0,1]
	v_pk_mul_f32 v[136:137], v[232:233], v[136:137] op_sel_hi:[1,0]
	v_mov_b32_e32 v131, v141
	v_pk_add_f32 v[126:127], v[126:127], v[128:129]
	v_pk_fma_f32 v[132:133], v[182:183], v[166:167], v[132:133] neg_lo:[0,0,1] neg_hi:[0,0,1]
	s_wait_loadcnt 0x2
	v_pk_mul_f32 v[138:139], v[186:187], v[170:171] op_sel:[1,1] op_sel_hi:[0,1]
	v_dual_mov_b32 v128, v173 :: v_dual_mov_b32 v133, v135
	v_pk_fma_f32 v[134:135], v[184:185], v[168:169], v[136:137] op_sel_hi:[1,0,1]
	v_pk_add_f32 v[126:127], v[126:127], v[130:131]
	v_pk_fma_f32 v[136:137], v[184:185], v[168:169], v[136:137] neg_lo:[0,0,1] neg_hi:[0,0,1]
	v_pk_fma_f32 v[130:131], v[186:187], v[170:171], v[138:139] op_sel_hi:[1,0,1]
	v_pk_mul_f32 v[128:129], v[234:235], v[128:129] op_sel_hi:[1,0]
	v_mov_b32_e32 v137, v135
	v_pk_add_f32 v[126:127], v[126:127], v[132:133]
	v_pk_fma_f32 v[132:133], v[186:187], v[170:171], v[138:139] neg_lo:[0,0,1] neg_hi:[0,0,1]
	v_mov_b32_e32 v133, v131
	v_pk_fma_f32 v[130:131], v[188:189], v[172:173], v[128:129] op_sel_hi:[1,0,1]
	s_wait_loadcnt_dscnt 0x100
	v_pk_mul_f32 v[134:135], v[226:227], v[222:223] op_sel:[1,1] op_sel_hi:[0,1]
	v_pk_add_f32 v[126:127], v[126:127], v[136:137]
	v_pk_fma_f32 v[128:129], v[188:189], v[172:173], v[128:129] neg_lo:[0,0,1] neg_hi:[0,0,1]
	v_mov_b32_e32 v129, v131
	s_delay_alu instid0(VALU_DEP_4) | instskip(NEXT) | instid1(VALU_DEP_4)
	v_pk_fma_f32 v[130:131], v[226:227], v[222:223], v[134:135] op_sel_hi:[1,0,1]
	v_pk_add_f32 v[126:127], v[126:127], v[132:133]
	v_pk_fma_f32 v[132:133], v[226:227], v[222:223], v[134:135] neg_lo:[0,0,1] neg_hi:[0,0,1]
	s_delay_alu instid0(VALU_DEP_3) | instskip(NEXT) | instid1(VALU_DEP_3)
	v_mov_b32_e32 v133, v131
	v_pk_add_f32 v[126:127], v[126:127], v[128:129]
	s_delay_alu instid0(VALU_DEP_1) | instskip(SKIP_1) | instid1(VALU_DEP_1)
	v_pk_add_f32 v[126:127], v[126:127], v[132:133]
	s_wait_loadcnt 0x0
	v_pk_add_f32 v[126:127], v[224:225], v[126:127] neg_lo:[0,1] neg_hi:[0,1]
	scratch_store_b64 off, v[126:127], off offset:288
	s_wait_xcnt 0x0
	v_cmpx_lt_u32_e32 35, v0
	s_cbranch_execz .LBB125_315
; %bb.314:
	scratch_load_b64 v[126:127], off, off offset:280
	v_mov_b64_e32 v[128:129], 0
	scratch_store_b64 off, v[128:129], off offset:280
	s_wait_loadcnt 0x0
	ds_store_b64 v1, v[126:127]
.LBB125_315:
	s_wait_xcnt 0x0
	s_or_b32 exec_lo, exec_lo, s0
	s_wait_storecnt_dscnt 0x0
	s_barrier_signal -1
	s_barrier_wait -1
	s_clause 0xd
	scratch_load_b128 v[126:129], off, off offset:288
	scratch_load_b128 v[130:133], off, off offset:304
	;; [unrolled: 1-line block ×13, first 2 shown]
	scratch_load_b64 v[230:231], off, off offset:280
	ds_load_b128 v[178:181], v7 offset:928
	ds_load_b128 v[182:185], v7 offset:944
	;; [unrolled: 1-line block ×13, first 2 shown]
	s_mov_b32 s0, exec_lo
	s_wait_dscnt 0xc
	v_dual_mov_b32 v232, v181 :: v_dual_mov_b32 v233, v180
	s_wait_dscnt 0xb
	v_dual_mov_b32 v234, v185 :: v_dual_mov_b32 v235, v184
	;; [unrolled: 2-line block ×4, first 2 shown]
	s_wait_loadcnt_dscnt 0xd08
	v_dual_mul_f32 v7, v194, v127 :: v_dual_mul_f32 v9, v196, v129
	v_dual_mul_f32 v39, v195, v127 :: v_dual_mul_f32 v41, v197, v129
	s_wait_loadcnt_dscnt 0xc07
	v_dual_mul_f32 v11, v198, v131 :: v_dual_mul_f32 v13, v200, v133
	s_delay_alu instid0(VALU_DEP_3) | instskip(SKIP_3) | instid1(VALU_DEP_3)
	v_dual_fmac_f32 v7, v195, v126 :: v_dual_fmac_f32 v9, v197, v128
	s_wait_loadcnt_dscnt 0xa05
	v_dual_fma_f32 v39, v194, v126, -v39 :: v_dual_mul_f32 v51, v207, v139
	v_dual_mul_f32 v43, v199, v131 :: v_dual_mul_f32 v45, v201, v133
	v_dual_fma_f32 v41, v196, v128, -v41 :: v_dual_add_f32 v7, 0, v7
	s_delay_alu instid0(VALU_DEP_3) | instskip(SKIP_1) | instid1(VALU_DEP_3)
	v_dual_add_f32 v39, 0, v39 :: v_dual_mul_f32 v53, v209, v141
	v_dual_fmac_f32 v11, v199, v130 :: v_dual_fmac_f32 v13, v201, v132
	v_dual_fma_f32 v43, v198, v130, -v43 :: v_dual_add_f32 v7, v7, v9
	s_delay_alu instid0(VALU_DEP_3) | instskip(SKIP_2) | instid1(VALU_DEP_4)
	v_dual_add_f32 v9, v39, v41 :: v_dual_fma_f32 v41, v200, v132, -v45
	v_dual_mul_f32 v15, v202, v135 :: v_dual_mul_f32 v17, v204, v137
	v_dual_mul_f32 v47, v203, v135 :: v_dual_mul_f32 v49, v205, v137
	v_add_f32_e32 v7, v7, v11
	s_delay_alu instid0(VALU_DEP_3) | instskip(NEXT) | instid1(VALU_DEP_3)
	v_dual_add_f32 v9, v9, v43 :: v_dual_fmac_f32 v15, v203, v134
	v_fma_f32 v43, v202, v134, -v47
	v_dual_mul_f32 v19, v206, v139 :: v_dual_mul_f32 v21, v208, v141
	s_delay_alu instid0(VALU_DEP_4) | instskip(SKIP_2) | instid1(VALU_DEP_2)
	v_dual_add_f32 v7, v7, v13 :: v_dual_fmac_f32 v17, v205, v136
	s_wait_loadcnt_dscnt 0x802
	v_dual_add_f32 v9, v9, v41 :: v_dual_mul_f32 v13, v219, v147
	v_dual_fma_f32 v41, v204, v136, -v49 :: v_dual_add_f32 v7, v7, v15
	v_mul_f32_e32 v15, v221, v149
	s_delay_alu instid0(VALU_DEP_3) | instskip(NEXT) | instid1(VALU_DEP_3)
	v_dual_add_f32 v9, v9, v43 :: v_dual_fmac_f32 v19, v207, v138
	v_dual_fma_f32 v43, v206, v138, -v51 :: v_dual_add_f32 v7, v7, v17
	v_fmac_f32_e32 v21, v209, v140
	s_wait_loadcnt_dscnt 0x701
	s_delay_alu instid0(VALU_DEP_3) | instskip(SKIP_3) | instid1(VALU_DEP_3)
	v_dual_add_f32 v9, v9, v41 :: v_dual_mul_f32 v17, v223, v151
	v_dual_mul_f32 v23, v214, v143 :: v_dual_mul_f32 v25, v216, v145
	v_dual_mul_f32 v39, v215, v143 :: v_dual_mul_f32 v11, v217, v145
	v_dual_fma_f32 v41, v208, v140, -v53 :: v_dual_add_f32 v7, v7, v19
	v_dual_add_f32 v9, v9, v43 :: v_dual_fmac_f32 v23, v215, v142
	s_delay_alu instid0(VALU_DEP_3) | instskip(NEXT) | instid1(VALU_DEP_3)
	v_dual_mul_f32 v19, v225, v153 :: v_dual_fma_f32 v39, v214, v142, -v39
	v_dual_add_f32 v7, v7, v21 :: v_dual_fmac_f32 v25, v217, v144
	s_wait_loadcnt_dscnt 0x600
	s_delay_alu instid0(VALU_DEP_3) | instskip(SKIP_1) | instid1(VALU_DEP_3)
	v_dual_add_f32 v9, v9, v41 :: v_dual_mul_f32 v21, v227, v155
	v_dual_mul_f32 v27, v218, v147 :: v_dual_mul_f32 v29, v220, v149
	v_dual_fma_f32 v11, v216, v144, -v11 :: v_dual_add_f32 v7, v7, v23
	s_delay_alu instid0(VALU_DEP_2) | instskip(SKIP_1) | instid1(VALU_DEP_2)
	v_dual_add_f32 v9, v9, v39 :: v_dual_fmac_f32 v27, v219, v146
	v_dual_mul_f32 v23, v229, v157 :: v_dual_fma_f32 v13, v218, v146, -v13
	v_dual_add_f32 v7, v7, v25 :: v_dual_add_f32 v9, v9, v11
	v_dual_mul_f32 v31, v222, v151 :: v_dual_mul_f32 v33, v224, v153
	s_wait_loadcnt 0x5
	v_dual_mul_f32 v11, v211, v159 :: v_dual_fmac_f32 v29, v221, v148
	s_delay_alu instid0(VALU_DEP_3) | instskip(NEXT) | instid1(VALU_DEP_3)
	v_dual_fma_f32 v15, v220, v148, -v15 :: v_dual_add_f32 v7, v7, v27
	v_dual_add_f32 v9, v9, v13 :: v_dual_fmac_f32 v31, v223, v150
	v_dual_mul_f32 v13, v213, v161 :: v_dual_fma_f32 v17, v222, v150, -v17
	s_delay_alu instid0(VALU_DEP_2) | instskip(SKIP_2) | instid1(VALU_DEP_3)
	v_dual_add_f32 v7, v7, v29 :: v_dual_add_f32 v9, v9, v15
	v_dual_mul_f32 v35, v226, v155 :: v_dual_mul_f32 v37, v228, v157
	v_dual_fmac_f32 v33, v225, v152 :: v_dual_fma_f32 v15, v224, v152, -v19
	v_dual_add_f32 v7, v7, v31 :: v_dual_add_f32 v9, v9, v17
	s_wait_loadcnt 0x4
	s_delay_alu instid0(VALU_DEP_3) | instskip(NEXT) | instid1(VALU_DEP_2)
	v_dual_mov_b32 v128, v165 :: v_dual_fmac_f32 v35, v227, v154
	v_dual_fma_f32 v17, v226, v154, -v21 :: v_dual_add_f32 v7, v7, v33
	s_delay_alu instid0(VALU_DEP_3) | instskip(SKIP_1) | instid1(VALU_DEP_3)
	v_dual_add_f32 v9, v9, v15 :: v_dual_fma_f32 v15, v228, v156, -v23
	v_dual_mul_f32 v241, v210, v159 :: v_dual_mul_f32 v243, v212, v161
	v_dual_fmac_f32 v37, v229, v156 :: v_dual_add_f32 v7, v7, v35
	s_delay_alu instid0(VALU_DEP_2) | instskip(SKIP_3) | instid1(VALU_DEP_3)
	v_dual_add_f32 v9, v9, v17 :: v_dual_fmac_f32 v241, v211, v158
	v_pk_mul_f32 v[126:127], v[178:179], v[162:163] op_sel:[1,1] op_sel_hi:[0,1]
	s_wait_loadcnt 0x3
	v_dual_mov_b32 v132, v169 :: v_dual_fma_f32 v240, v210, v158, -v11
	v_dual_add_f32 v135, v7, v37 :: v_dual_add_f32 v134, v9, v15
	v_dual_fmac_f32 v243, v213, v160 :: v_dual_fma_f32 v242, v212, v160, -v13
	v_pk_fma_f32 v[136:137], v[178:179], v[162:163], v[126:127] op_sel_hi:[1,0,1]
	v_pk_mul_f32 v[128:129], v[232:233], v[128:129] op_sel_hi:[1,0]
	s_delay_alu instid0(VALU_DEP_4)
	v_pk_add_f32 v[134:135], v[134:135], v[240:241]
	v_pk_fma_f32 v[126:127], v[178:179], v[162:163], v[126:127] neg_lo:[0,0,1] neg_hi:[0,0,1]
	v_pk_mul_f32 v[130:131], v[182:183], v[166:167] op_sel:[1,1] op_sel_hi:[0,1]
	v_mov_b32_e32 v127, v137
	v_pk_fma_f32 v[136:137], v[180:181], v[164:165], v[128:129] op_sel_hi:[1,0,1]
	v_pk_add_f32 v[134:135], v[134:135], v[242:243]
	v_pk_fma_f32 v[128:129], v[180:181], v[164:165], v[128:129] neg_lo:[0,0,1] neg_hi:[0,0,1]
	v_pk_fma_f32 v[140:141], v[182:183], v[166:167], v[130:131] op_sel_hi:[1,0,1]
	v_pk_mul_f32 v[132:133], v[234:235], v[132:133] op_sel_hi:[1,0]
	v_mov_b32_e32 v129, v137
	v_pk_add_f32 v[126:127], v[134:135], v[126:127]
	s_wait_loadcnt 0x2
	v_pk_mul_f32 v[138:139], v[186:187], v[170:171] op_sel:[1,1] op_sel_hi:[0,1]
	v_mov_b32_e32 v134, v173
	v_pk_fma_f32 v[130:131], v[182:183], v[166:167], v[130:131] neg_lo:[0,0,1] neg_hi:[0,0,1]
	v_mov_b32_e32 v131, v141
	v_pk_fma_f32 v[136:137], v[184:185], v[168:169], v[132:133] op_sel_hi:[1,0,1]
	v_pk_add_f32 v[126:127], v[126:127], v[128:129]
	v_pk_fma_f32 v[128:129], v[186:187], v[170:171], v[138:139] op_sel_hi:[1,0,1]
	v_pk_mul_f32 v[134:135], v[236:237], v[134:135] op_sel_hi:[1,0]
	v_pk_fma_f32 v[132:133], v[184:185], v[168:169], v[132:133] neg_lo:[0,0,1] neg_hi:[0,0,1]
	v_mov_b32_e32 v133, v137
	v_pk_add_f32 v[126:127], v[126:127], v[130:131]
	v_pk_fma_f32 v[136:137], v[186:187], v[170:171], v[138:139] neg_lo:[0,0,1] neg_hi:[0,0,1]
	v_mov_b32_e32 v137, v129
	v_pk_fma_f32 v[128:129], v[188:189], v[172:173], v[134:135] op_sel_hi:[1,0,1]
	s_wait_loadcnt 0x1
	v_pk_mul_f32 v[130:131], v[190:191], v[174:175] op_sel:[1,1] op_sel_hi:[0,1]
	v_pk_add_f32 v[126:127], v[126:127], v[132:133]
	v_mov_b32_e32 v128, v177
	v_pk_fma_f32 v[134:135], v[188:189], v[172:173], v[134:135] neg_lo:[0,0,1] neg_hi:[0,0,1]
	v_mov_b32_e32 v135, v129
	v_pk_fma_f32 v[132:133], v[190:191], v[174:175], v[130:131] op_sel_hi:[1,0,1]
	v_pk_add_f32 v[126:127], v[126:127], v[136:137]
	v_pk_mul_f32 v[128:129], v[238:239], v[128:129] op_sel_hi:[1,0]
	v_pk_fma_f32 v[130:131], v[190:191], v[174:175], v[130:131] neg_lo:[0,0,1] neg_hi:[0,0,1]
	s_delay_alu instid0(VALU_DEP_4) | instskip(NEXT) | instid1(VALU_DEP_4)
	v_mov_b32_e32 v131, v133
	v_pk_add_f32 v[126:127], v[126:127], v[134:135]
	s_delay_alu instid0(VALU_DEP_4) | instskip(SKIP_1) | instid1(VALU_DEP_2)
	v_pk_fma_f32 v[132:133], v[192:193], v[176:177], v[128:129] op_sel_hi:[1,0,1]
	v_pk_fma_f32 v[128:129], v[192:193], v[176:177], v[128:129] neg_lo:[0,0,1] neg_hi:[0,0,1]
	v_mov_b32_e32 v129, v133
	s_delay_alu instid0(VALU_DEP_4) | instskip(NEXT) | instid1(VALU_DEP_1)
	v_pk_add_f32 v[126:127], v[126:127], v[130:131]
	v_pk_add_f32 v[126:127], v[126:127], v[128:129]
	s_wait_loadcnt 0x0
	s_delay_alu instid0(VALU_DEP_1)
	v_pk_add_f32 v[126:127], v[230:231], v[126:127] neg_lo:[0,1] neg_hi:[0,1]
	scratch_store_b64 off, v[126:127], off offset:280
	s_wait_xcnt 0x0
	v_cmpx_lt_u32_e32 34, v0
	s_cbranch_execz .LBB125_317
; %bb.316:
	scratch_load_b64 v[126:127], off, off offset:272
	v_mov_b64_e32 v[128:129], 0
	scratch_store_b64 off, v[128:129], off offset:272
	s_wait_loadcnt 0x0
	ds_store_b64 v1, v[126:127]
.LBB125_317:
	s_wait_xcnt 0x0
	s_or_b32 exec_lo, exec_lo, s0
	s_wait_storecnt_dscnt 0x0
	s_barrier_signal -1
	s_barrier_wait -1
	s_clause 0xe
	scratch_load_b128 v[126:129], off, off offset:280
	scratch_load_b128 v[130:133], off, off offset:296
	;; [unrolled: 1-line block ×13, first 2 shown]
	scratch_load_b64 v[230:231], off, off offset:488
	scratch_load_b64 v[232:233], off, off offset:272
	v_mov_b32_e32 v7, 0
	ds_load_2addr_b64 v[178:181], v7 offset0:115 offset1:116
	ds_load_2addr_b64 v[182:185], v7 offset0:117 offset1:118
	;; [unrolled: 1-line block ×13, first 2 shown]
	ds_load_b64 v[234:235], v7 offset:984
	s_mov_b32 s0, exec_lo
	s_wait_dscnt 0xd
	v_dual_mov_b32 v236, v181 :: v_dual_mov_b32 v237, v180
	s_wait_dscnt 0xa
	v_dual_mov_b32 v238, v185 :: v_dual_mov_b32 v243, v192
	v_dual_mov_b32 v239, v184 :: v_dual_mov_b32 v240, v189
	;; [unrolled: 1-line block ×3, first 2 shown]
	s_wait_loadcnt_dscnt 0xe09
	v_dual_mul_f32 v9, v194, v127 :: v_dual_mul_f32 v43, v195, v127
	v_dual_mul_f32 v45, v197, v129 :: v_dual_mul_f32 v11, v196, v129
	s_wait_loadcnt_dscnt 0xd08
	v_mul_f32_e32 v13, v198, v131
	s_wait_loadcnt_dscnt 0xb05
	v_dual_mul_f32 v55, v211, v139 :: v_dual_fma_f32 v43, v194, v126, -v43
	v_dual_fmac_f32 v9, v195, v126 :: v_dual_mul_f32 v57, v213, v141
	v_dual_mul_f32 v47, v199, v131 :: v_dual_mul_f32 v49, v201, v133
	v_dual_fmac_f32 v11, v197, v128 :: v_dual_fma_f32 v45, v196, v128, -v45
	s_delay_alu instid0(VALU_DEP_3) | instskip(SKIP_3) | instid1(VALU_DEP_3)
	v_dual_add_f32 v9, 0, v9 :: v_dual_add_f32 v43, 0, v43
	v_dual_mul_f32 v15, v200, v133 :: v_dual_mul_f32 v17, v202, v135
	s_wait_loadcnt_dscnt 0xa04
	v_dual_mul_f32 v59, v215, v143 :: v_dual_fma_f32 v47, v198, v130, -v47
	v_dual_fmac_f32 v13, v199, v130 :: v_dual_add_f32 v9, v9, v11
	s_delay_alu instid0(VALU_DEP_3) | instskip(SKIP_2) | instid1(VALU_DEP_3)
	v_dual_add_f32 v11, v43, v45 :: v_dual_fmac_f32 v15, v201, v132
	v_dual_mul_f32 v51, v203, v135 :: v_dual_mul_f32 v53, v205, v137
	v_dual_mul_f32 v43, v217, v145 :: v_dual_fma_f32 v45, v200, v132, -v49
	v_dual_add_f32 v9, v9, v13 :: v_dual_add_f32 v11, v11, v47
	v_dual_mul_f32 v19, v204, v137 :: v_dual_mul_f32 v21, v210, v139
	s_wait_loadcnt_dscnt 0x903
	v_dual_mul_f32 v13, v219, v147 :: v_dual_fma_f32 v47, v202, v134, -v51
	s_delay_alu instid0(VALU_DEP_3) | instskip(NEXT) | instid1(VALU_DEP_3)
	v_dual_fmac_f32 v17, v203, v134 :: v_dual_add_f32 v9, v9, v15
	v_dual_add_f32 v11, v11, v45 :: v_dual_fmac_f32 v19, v205, v136
	v_dual_mul_f32 v15, v221, v149 :: v_dual_fma_f32 v45, v204, v136, -v53
	s_delay_alu instid0(VALU_DEP_2) | instskip(SKIP_3) | instid1(VALU_DEP_3)
	v_dual_add_f32 v9, v9, v17 :: v_dual_add_f32 v11, v11, v47
	v_dual_mul_f32 v23, v212, v141 :: v_dual_mul_f32 v25, v214, v143
	s_wait_loadcnt_dscnt 0x802
	v_dual_mul_f32 v17, v223, v151 :: v_dual_fma_f32 v47, v210, v138, -v55
	v_dual_fmac_f32 v21, v211, v138 :: v_dual_add_f32 v9, v9, v19
	s_delay_alu instid0(VALU_DEP_3) | instskip(SKIP_1) | instid1(VALU_DEP_2)
	v_dual_add_f32 v11, v11, v45 :: v_dual_fmac_f32 v23, v213, v140
	v_dual_mul_f32 v19, v225, v153 :: v_dual_fma_f32 v45, v212, v140, -v57
	v_dual_add_f32 v9, v9, v21 :: v_dual_add_f32 v11, v11, v47
	v_dual_mul_f32 v27, v216, v145 :: v_dual_mul_f32 v29, v218, v147
	s_wait_loadcnt_dscnt 0x701
	v_dual_mul_f32 v21, v227, v155 :: v_dual_fma_f32 v47, v214, v142, -v59
	s_delay_alu instid0(VALU_DEP_3) | instskip(NEXT) | instid1(VALU_DEP_3)
	v_dual_fmac_f32 v25, v215, v142 :: v_dual_add_f32 v9, v9, v23
	v_dual_add_f32 v11, v11, v45 :: v_dual_fmac_f32 v27, v217, v144
	v_dual_mul_f32 v23, v229, v157 :: v_dual_fma_f32 v43, v216, v144, -v43
	s_delay_alu instid0(VALU_DEP_2) | instskip(SKIP_3) | instid1(VALU_DEP_3)
	v_dual_add_f32 v9, v9, v25 :: v_dual_add_f32 v11, v11, v47
	v_dual_mul_f32 v31, v220, v149 :: v_dual_mul_f32 v33, v222, v151
	s_wait_loadcnt 0x6
	v_dual_mul_f32 v25, v207, v159 :: v_dual_fma_f32 v13, v218, v146, -v13
	v_dual_fmac_f32 v29, v219, v146 :: v_dual_add_f32 v9, v9, v27
	v_dual_add_f32 v11, v11, v43 :: v_dual_mul_f32 v27, v209, v161
	v_fmac_f32_e32 v31, v221, v148
	s_delay_alu instid0(VALU_DEP_3) | instskip(NEXT) | instid1(VALU_DEP_3)
	v_dual_fma_f32 v15, v220, v148, -v15 :: v_dual_add_f32 v9, v9, v29
	v_add_f32_e32 v11, v11, v13
	v_dual_mul_f32 v35, v224, v153 :: v_dual_mul_f32 v37, v226, v155
	s_wait_loadcnt 0x5
	v_dual_mul_f32 v13, v179, v163 :: v_dual_fma_f32 v17, v222, v150, -v17
	v_dual_fmac_f32 v33, v223, v150 :: v_dual_add_f32 v9, v9, v31
	v_dual_add_f32 v11, v11, v15 :: v_dual_mov_b32 v126, v165
	v_fmac_f32_e32 v35, v225, v152
	s_delay_alu instid0(VALU_DEP_3) | instskip(NEXT) | instid1(VALU_DEP_3)
	v_dual_fma_f32 v15, v224, v152, -v19 :: v_dual_add_f32 v9, v9, v33
	v_add_f32_e32 v11, v11, v17
	v_dual_mul_f32 v39, v228, v157 :: v_dual_mul_f32 v41, v206, v159
	s_delay_alu instid0(VALU_DEP_3) | instskip(NEXT) | instid1(VALU_DEP_3)
	v_dual_fmac_f32 v37, v227, v154 :: v_dual_add_f32 v9, v9, v35
	v_dual_fma_f32 v17, v226, v154, -v21 :: v_dual_add_f32 v11, v11, v15
	s_wait_loadcnt 0x4
	v_dual_mov_b32 v130, v169 :: v_dual_fma_f32 v15, v228, v156, -v23
	v_fmac_f32_e32 v39, v229, v156
	v_dual_add_f32 v9, v9, v37 :: v_dual_fmac_f32 v41, v207, v158
	v_add_f32_e32 v11, v11, v17
	v_dual_mul_f32 v245, v208, v161 :: v_dual_mul_f32 v247, v178, v163
	s_delay_alu instid0(VALU_DEP_3) | instskip(NEXT) | instid1(VALU_DEP_2)
	v_dual_fma_f32 v17, v206, v158, -v25 :: v_dual_add_f32 v9, v9, v39
	v_dual_add_f32 v11, v11, v15 :: v_dual_fmac_f32 v245, v209, v160
	v_fma_f32 v244, v208, v160, -v27
	v_pk_mul_f32 v[126:127], v[236:237], v[126:127] op_sel_hi:[1,0]
	s_delay_alu instid0(VALU_DEP_4)
	v_add_f32_e32 v135, v9, v41
	s_wait_loadcnt 0x3
	v_dual_add_f32 v134, v11, v17 :: v_dual_mov_b32 v136, v173
	v_pk_mul_f32 v[128:129], v[182:183], v[166:167] op_sel:[1,1] op_sel_hi:[0,1]
	v_dual_fmac_f32 v247, v179, v162 :: v_dual_fma_f32 v246, v178, v162, -v13
	v_pk_fma_f32 v[138:139], v[180:181], v[164:165], v[126:127] op_sel_hi:[1,0,1]
	s_delay_alu instid0(VALU_DEP_4)
	v_pk_add_f32 v[134:135], v[134:135], v[244:245]
	v_pk_fma_f32 v[126:127], v[180:181], v[164:165], v[126:127] neg_lo:[0,0,1] neg_hi:[0,0,1]
	v_pk_fma_f32 v[140:141], v[182:183], v[166:167], v[128:129] op_sel_hi:[1,0,1]
	v_pk_mul_f32 v[130:131], v[238:239], v[130:131] op_sel_hi:[1,0]
	v_mov_b32_e32 v127, v139
	v_pk_add_f32 v[134:135], v[134:135], v[246:247]
	v_pk_fma_f32 v[128:129], v[182:183], v[166:167], v[128:129] neg_lo:[0,0,1] neg_hi:[0,0,1]
	v_pk_mul_f32 v[132:133], v[186:187], v[170:171] op_sel:[1,1] op_sel_hi:[0,1]
	v_mov_b32_e32 v129, v141
	v_pk_fma_f32 v[140:141], v[184:185], v[168:169], v[130:131] op_sel_hi:[1,0,1]
	v_pk_add_f32 v[126:127], v[134:135], v[126:127]
	v_pk_fma_f32 v[130:131], v[184:185], v[168:169], v[130:131] neg_lo:[0,0,1] neg_hi:[0,0,1]
	v_pk_fma_f32 v[134:135], v[186:187], v[170:171], v[132:133] op_sel_hi:[1,0,1]
	v_pk_mul_f32 v[136:137], v[240:241], v[136:137] op_sel_hi:[1,0]
	v_mov_b32_e32 v131, v141
	v_pk_add_f32 v[126:127], v[126:127], v[128:129]
	v_pk_fma_f32 v[132:133], v[186:187], v[170:171], v[132:133] neg_lo:[0,0,1] neg_hi:[0,0,1]
	s_wait_loadcnt 0x2
	v_pk_mul_f32 v[138:139], v[190:191], v[174:175] op_sel:[1,1] op_sel_hi:[0,1]
	v_dual_mov_b32 v128, v177 :: v_dual_mov_b32 v133, v135
	v_pk_fma_f32 v[134:135], v[188:189], v[172:173], v[136:137] op_sel_hi:[1,0,1]
	v_pk_add_f32 v[126:127], v[126:127], v[130:131]
	v_pk_fma_f32 v[136:137], v[188:189], v[172:173], v[136:137] neg_lo:[0,0,1] neg_hi:[0,0,1]
	v_pk_fma_f32 v[130:131], v[190:191], v[174:175], v[138:139] op_sel_hi:[1,0,1]
	v_pk_mul_f32 v[128:129], v[242:243], v[128:129] op_sel_hi:[1,0]
	v_mov_b32_e32 v137, v135
	v_pk_add_f32 v[126:127], v[126:127], v[132:133]
	v_pk_fma_f32 v[132:133], v[190:191], v[174:175], v[138:139] neg_lo:[0,0,1] neg_hi:[0,0,1]
	v_mov_b32_e32 v133, v131
	v_pk_fma_f32 v[130:131], v[192:193], v[176:177], v[128:129] op_sel_hi:[1,0,1]
	s_wait_loadcnt_dscnt 0x100
	v_pk_mul_f32 v[134:135], v[234:235], v[230:231] op_sel:[1,1] op_sel_hi:[0,1]
	v_pk_add_f32 v[126:127], v[126:127], v[136:137]
	v_pk_fma_f32 v[128:129], v[192:193], v[176:177], v[128:129] neg_lo:[0,0,1] neg_hi:[0,0,1]
	v_mov_b32_e32 v129, v131
	s_delay_alu instid0(VALU_DEP_4) | instskip(NEXT) | instid1(VALU_DEP_4)
	v_pk_fma_f32 v[130:131], v[234:235], v[230:231], v[134:135] op_sel_hi:[1,0,1]
	v_pk_add_f32 v[126:127], v[126:127], v[132:133]
	v_pk_fma_f32 v[132:133], v[234:235], v[230:231], v[134:135] neg_lo:[0,0,1] neg_hi:[0,0,1]
	s_delay_alu instid0(VALU_DEP_3) | instskip(NEXT) | instid1(VALU_DEP_3)
	v_mov_b32_e32 v133, v131
	v_pk_add_f32 v[126:127], v[126:127], v[128:129]
	s_delay_alu instid0(VALU_DEP_1) | instskip(SKIP_1) | instid1(VALU_DEP_1)
	v_pk_add_f32 v[126:127], v[126:127], v[132:133]
	s_wait_loadcnt 0x0
	v_pk_add_f32 v[126:127], v[232:233], v[126:127] neg_lo:[0,1] neg_hi:[0,1]
	scratch_store_b64 off, v[126:127], off offset:272
	s_wait_xcnt 0x0
	v_cmpx_lt_u32_e32 33, v0
	s_cbranch_execz .LBB125_319
; %bb.318:
	scratch_load_b64 v[126:127], off, off offset:264
	v_mov_b64_e32 v[128:129], 0
	scratch_store_b64 off, v[128:129], off offset:264
	s_wait_loadcnt 0x0
	ds_store_b64 v1, v[126:127]
.LBB125_319:
	s_wait_xcnt 0x0
	s_or_b32 exec_lo, exec_lo, s0
	s_wait_storecnt_dscnt 0x0
	s_barrier_signal -1
	s_barrier_wait -1
	s_clause 0xe
	scratch_load_b128 v[126:129], off, off offset:272
	scratch_load_b128 v[130:133], off, off offset:288
	;; [unrolled: 1-line block ×14, first 2 shown]
	scratch_load_b64 v[238:239], off, off offset:264
	ds_load_b128 v[182:185], v7 offset:928
	ds_load_b128 v[186:189], v7 offset:944
	;; [unrolled: 1-line block ×14, first 2 shown]
	s_mov_b32 s0, exec_lo
	s_wait_dscnt 0xd
	v_dual_mov_b32 v240, v185 :: v_dual_mov_b32 v241, v184
	s_wait_dscnt 0xc
	v_dual_mov_b32 v242, v189 :: v_dual_mov_b32 v243, v188
	;; [unrolled: 2-line block ×4, first 2 shown]
	s_wait_loadcnt_dscnt 0xe09
	v_dual_mul_f32 v7, v198, v127 :: v_dual_mul_f32 v9, v200, v129
	v_dual_mul_f32 v43, v199, v127 :: v_dual_mul_f32 v45, v201, v129
	s_wait_loadcnt_dscnt 0xd08
	v_dual_mul_f32 v11, v202, v131 :: v_dual_mul_f32 v13, v204, v133
	s_delay_alu instid0(VALU_DEP_3) | instskip(SKIP_3) | instid1(VALU_DEP_3)
	v_dual_fmac_f32 v7, v199, v126 :: v_dual_fmac_f32 v9, v201, v128
	s_wait_loadcnt_dscnt 0xb06
	v_dual_fma_f32 v43, v198, v126, -v43 :: v_dual_mul_f32 v55, v211, v139
	v_dual_mul_f32 v47, v203, v131 :: v_dual_mul_f32 v49, v205, v133
	v_dual_fma_f32 v45, v200, v128, -v45 :: v_dual_add_f32 v7, 0, v7
	s_delay_alu instid0(VALU_DEP_3) | instskip(SKIP_1) | instid1(VALU_DEP_3)
	v_dual_add_f32 v43, 0, v43 :: v_dual_mul_f32 v57, v213, v141
	v_dual_fmac_f32 v11, v203, v130 :: v_dual_fmac_f32 v13, v205, v132
	v_dual_fma_f32 v47, v202, v130, -v47 :: v_dual_add_f32 v7, v7, v9
	s_delay_alu instid0(VALU_DEP_3) | instskip(SKIP_2) | instid1(VALU_DEP_4)
	v_dual_add_f32 v9, v43, v45 :: v_dual_fma_f32 v45, v204, v132, -v49
	v_dual_mul_f32 v15, v206, v135 :: v_dual_mul_f32 v17, v208, v137
	v_dual_mul_f32 v51, v207, v135 :: v_dual_mul_f32 v53, v209, v137
	v_add_f32_e32 v7, v7, v11
	s_delay_alu instid0(VALU_DEP_3) | instskip(NEXT) | instid1(VALU_DEP_3)
	v_dual_add_f32 v9, v9, v47 :: v_dual_fmac_f32 v15, v207, v134
	v_fma_f32 v47, v206, v134, -v51
	v_dual_mul_f32 v19, v210, v139 :: v_dual_mul_f32 v21, v212, v141
	s_delay_alu instid0(VALU_DEP_4) | instskip(SKIP_2) | instid1(VALU_DEP_2)
	v_dual_add_f32 v7, v7, v13 :: v_dual_fmac_f32 v17, v209, v136
	s_wait_loadcnt_dscnt 0x904
	v_dual_add_f32 v9, v9, v45 :: v_dual_mul_f32 v13, v219, v147
	v_dual_fma_f32 v45, v208, v136, -v53 :: v_dual_add_f32 v7, v7, v15
	v_mul_f32_e32 v15, v221, v149
	s_delay_alu instid0(VALU_DEP_3) | instskip(NEXT) | instid1(VALU_DEP_3)
	v_dual_add_f32 v9, v9, v47 :: v_dual_fmac_f32 v19, v211, v138
	v_dual_fma_f32 v47, v210, v138, -v55 :: v_dual_add_f32 v7, v7, v17
	v_fmac_f32_e32 v21, v213, v140
	s_wait_loadcnt_dscnt 0x803
	s_delay_alu instid0(VALU_DEP_3) | instskip(SKIP_3) | instid1(VALU_DEP_3)
	v_dual_add_f32 v9, v9, v45 :: v_dual_mul_f32 v17, v223, v151
	v_dual_mul_f32 v23, v214, v143 :: v_dual_mul_f32 v25, v216, v145
	v_dual_mul_f32 v43, v215, v143 :: v_dual_mul_f32 v11, v217, v145
	v_dual_fma_f32 v45, v212, v140, -v57 :: v_dual_add_f32 v7, v7, v19
	v_dual_add_f32 v9, v9, v47 :: v_dual_fmac_f32 v23, v215, v142
	s_delay_alu instid0(VALU_DEP_3) | instskip(NEXT) | instid1(VALU_DEP_3)
	v_dual_mul_f32 v19, v225, v153 :: v_dual_fma_f32 v43, v214, v142, -v43
	v_dual_add_f32 v7, v7, v21 :: v_dual_fmac_f32 v25, v217, v144
	s_wait_loadcnt_dscnt 0x702
	s_delay_alu instid0(VALU_DEP_3) | instskip(SKIP_1) | instid1(VALU_DEP_3)
	v_dual_add_f32 v9, v9, v45 :: v_dual_mul_f32 v21, v227, v155
	v_dual_mul_f32 v27, v218, v147 :: v_dual_mul_f32 v29, v220, v149
	v_dual_fma_f32 v11, v216, v144, -v11 :: v_dual_add_f32 v7, v7, v23
	s_delay_alu instid0(VALU_DEP_2) | instskip(SKIP_1) | instid1(VALU_DEP_2)
	v_dual_add_f32 v9, v9, v43 :: v_dual_fmac_f32 v27, v219, v146
	v_dual_mul_f32 v23, v229, v157 :: v_dual_fma_f32 v13, v218, v146, -v13
	v_dual_add_f32 v7, v7, v25 :: v_dual_add_f32 v9, v9, v11
	v_dual_mul_f32 v31, v222, v151 :: v_dual_mul_f32 v33, v224, v153
	s_wait_loadcnt_dscnt 0x601
	v_dual_mul_f32 v11, v231, v159 :: v_dual_fmac_f32 v29, v221, v148
	s_delay_alu instid0(VALU_DEP_3) | instskip(NEXT) | instid1(VALU_DEP_3)
	v_dual_fma_f32 v15, v220, v148, -v15 :: v_dual_add_f32 v7, v7, v27
	v_dual_add_f32 v9, v9, v13 :: v_dual_fmac_f32 v31, v223, v150
	v_dual_mul_f32 v13, v233, v161 :: v_dual_fma_f32 v17, v222, v150, -v17
	s_delay_alu instid0(VALU_DEP_2) | instskip(SKIP_3) | instid1(VALU_DEP_3)
	v_dual_add_f32 v7, v7, v29 :: v_dual_add_f32 v9, v9, v15
	v_dual_mul_f32 v35, v226, v155 :: v_dual_mul_f32 v37, v228, v157
	s_wait_loadcnt_dscnt 0x500
	v_dual_mul_f32 v15, v235, v163 :: v_dual_fmac_f32 v33, v225, v152
	v_dual_fma_f32 v19, v224, v152, -v19 :: v_dual_add_f32 v7, v7, v31
	s_delay_alu instid0(VALU_DEP_3) | instskip(SKIP_1) | instid1(VALU_DEP_2)
	v_dual_add_f32 v9, v9, v17 :: v_dual_fmac_f32 v35, v227, v154
	v_dual_mul_f32 v17, v237, v165 :: v_dual_fma_f32 v21, v226, v154, -v21
	v_dual_add_f32 v7, v7, v33 :: v_dual_add_f32 v9, v9, v19
	v_dual_mul_f32 v39, v230, v159 :: v_dual_mul_f32 v41, v232, v161
	v_dual_fmac_f32 v37, v229, v156 :: v_dual_fma_f32 v19, v228, v156, -v23
	s_delay_alu instid0(VALU_DEP_3) | instskip(SKIP_1) | instid1(VALU_DEP_3)
	v_dual_add_f32 v7, v7, v35 :: v_dual_add_f32 v9, v9, v21
	s_wait_loadcnt 0x4
	v_dual_mov_b32 v128, v169 :: v_dual_fmac_f32 v39, v231, v158
	s_delay_alu instid0(VALU_DEP_2) | instskip(NEXT) | instid1(VALU_DEP_3)
	v_dual_fma_f32 v11, v230, v158, -v11 :: v_dual_add_f32 v7, v7, v37
	v_dual_add_f32 v9, v9, v19 :: v_dual_fma_f32 v13, v232, v160, -v13
	v_dual_mul_f32 v249, v234, v163 :: v_dual_mul_f32 v251, v236, v165
	s_delay_alu instid0(VALU_DEP_3) | instskip(NEXT) | instid1(VALU_DEP_2)
	v_dual_fmac_f32 v41, v233, v160 :: v_dual_add_f32 v7, v7, v39
	v_dual_add_f32 v9, v9, v11 :: v_dual_fmac_f32 v249, v235, v162
	v_pk_mul_f32 v[126:127], v[182:183], v[166:167] op_sel:[1,1] op_sel_hi:[0,1]
	s_wait_loadcnt 0x3
	v_dual_mov_b32 v132, v173 :: v_dual_fma_f32 v248, v234, v162, -v15
	v_dual_add_f32 v135, v7, v41 :: v_dual_fmac_f32 v251, v237, v164
	v_dual_add_f32 v134, v9, v13 :: v_dual_fma_f32 v250, v236, v164, -v17
	v_pk_fma_f32 v[136:137], v[182:183], v[166:167], v[126:127] op_sel_hi:[1,0,1]
	v_pk_mul_f32 v[128:129], v[240:241], v[128:129] op_sel_hi:[1,0]
	v_pk_fma_f32 v[126:127], v[182:183], v[166:167], v[126:127] neg_lo:[0,0,1] neg_hi:[0,0,1]
	s_delay_alu instid0(VALU_DEP_4)
	v_pk_add_f32 v[134:135], v[134:135], v[248:249]
	v_pk_mul_f32 v[130:131], v[186:187], v[170:171] op_sel:[1,1] op_sel_hi:[0,1]
	v_mov_b32_e32 v127, v137
	v_pk_fma_f32 v[136:137], v[184:185], v[168:169], v[128:129] op_sel_hi:[1,0,1]
	v_pk_fma_f32 v[128:129], v[184:185], v[168:169], v[128:129] neg_lo:[0,0,1] neg_hi:[0,0,1]
	v_pk_add_f32 v[134:135], v[134:135], v[250:251]
	v_pk_fma_f32 v[140:141], v[186:187], v[170:171], v[130:131] op_sel_hi:[1,0,1]
	v_pk_mul_f32 v[132:133], v[242:243], v[132:133] op_sel_hi:[1,0]
	v_mov_b32_e32 v129, v137
	s_wait_loadcnt 0x2
	v_pk_mul_f32 v[138:139], v[190:191], v[174:175] op_sel:[1,1] op_sel_hi:[0,1]
	v_pk_add_f32 v[126:127], v[134:135], v[126:127]
	v_mov_b32_e32 v134, v177
	v_pk_fma_f32 v[130:131], v[186:187], v[170:171], v[130:131] neg_lo:[0,0,1] neg_hi:[0,0,1]
	v_mov_b32_e32 v131, v141
	v_pk_fma_f32 v[136:137], v[188:189], v[172:173], v[132:133] op_sel_hi:[1,0,1]
	v_pk_add_f32 v[126:127], v[126:127], v[128:129]
	v_pk_fma_f32 v[128:129], v[190:191], v[174:175], v[138:139] op_sel_hi:[1,0,1]
	v_pk_mul_f32 v[134:135], v[244:245], v[134:135] op_sel_hi:[1,0]
	v_pk_fma_f32 v[132:133], v[188:189], v[172:173], v[132:133] neg_lo:[0,0,1] neg_hi:[0,0,1]
	v_mov_b32_e32 v133, v137
	v_pk_add_f32 v[126:127], v[126:127], v[130:131]
	v_pk_fma_f32 v[136:137], v[190:191], v[174:175], v[138:139] neg_lo:[0,0,1] neg_hi:[0,0,1]
	v_mov_b32_e32 v137, v129
	v_pk_fma_f32 v[128:129], v[192:193], v[176:177], v[134:135] op_sel_hi:[1,0,1]
	s_wait_loadcnt 0x1
	v_pk_mul_f32 v[130:131], v[194:195], v[178:179] op_sel:[1,1] op_sel_hi:[0,1]
	v_pk_add_f32 v[126:127], v[126:127], v[132:133]
	v_mov_b32_e32 v128, v181
	v_pk_fma_f32 v[134:135], v[192:193], v[176:177], v[134:135] neg_lo:[0,0,1] neg_hi:[0,0,1]
	v_mov_b32_e32 v135, v129
	v_pk_fma_f32 v[132:133], v[194:195], v[178:179], v[130:131] op_sel_hi:[1,0,1]
	v_pk_add_f32 v[126:127], v[126:127], v[136:137]
	v_pk_mul_f32 v[128:129], v[246:247], v[128:129] op_sel_hi:[1,0]
	v_pk_fma_f32 v[130:131], v[194:195], v[178:179], v[130:131] neg_lo:[0,0,1] neg_hi:[0,0,1]
	s_delay_alu instid0(VALU_DEP_4) | instskip(NEXT) | instid1(VALU_DEP_4)
	v_mov_b32_e32 v131, v133
	v_pk_add_f32 v[126:127], v[126:127], v[134:135]
	s_delay_alu instid0(VALU_DEP_4) | instskip(SKIP_1) | instid1(VALU_DEP_2)
	v_pk_fma_f32 v[132:133], v[196:197], v[180:181], v[128:129] op_sel_hi:[1,0,1]
	v_pk_fma_f32 v[128:129], v[196:197], v[180:181], v[128:129] neg_lo:[0,0,1] neg_hi:[0,0,1]
	v_mov_b32_e32 v129, v133
	s_delay_alu instid0(VALU_DEP_4) | instskip(NEXT) | instid1(VALU_DEP_1)
	v_pk_add_f32 v[126:127], v[126:127], v[130:131]
	v_pk_add_f32 v[126:127], v[126:127], v[128:129]
	s_wait_loadcnt 0x0
	s_delay_alu instid0(VALU_DEP_1)
	v_pk_add_f32 v[126:127], v[238:239], v[126:127] neg_lo:[0,1] neg_hi:[0,1]
	scratch_store_b64 off, v[126:127], off offset:264
	s_wait_xcnt 0x0
	v_cmpx_lt_u32_e32 32, v0
	s_cbranch_execz .LBB125_321
; %bb.320:
	scratch_load_b64 v[126:127], off, off offset:256
	v_mov_b64_e32 v[128:129], 0
	scratch_store_b64 off, v[128:129], off offset:256
	s_wait_loadcnt 0x0
	ds_store_b64 v1, v[126:127]
.LBB125_321:
	s_wait_xcnt 0x0
	s_or_b32 exec_lo, exec_lo, s0
	s_wait_storecnt_dscnt 0x0
	s_barrier_signal -1
	s_barrier_wait -1
	s_clause 0xf
	scratch_load_b128 v[126:129], off, off offset:264
	scratch_load_b128 v[130:133], off, off offset:280
	;; [unrolled: 1-line block ×14, first 2 shown]
	scratch_load_b64 v[238:239], off, off offset:488
	scratch_load_b64 v[240:241], off, off offset:256
	v_mov_b32_e32 v7, 0
	ds_load_2addr_b64 v[182:185], v7 offset0:115 offset1:116
	ds_load_2addr_b64 v[186:189], v7 offset0:117 offset1:118
	;; [unrolled: 1-line block ×14, first 2 shown]
	ds_load_b64 v[242:243], v7 offset:984
	s_mov_b32 s0, exec_lo
	s_wait_dscnt 0xe
	v_dual_mov_b32 v244, v185 :: v_dual_mov_b32 v245, v184
	s_wait_dscnt 0xb
	v_dual_mov_b32 v246, v189 :: v_dual_mov_b32 v251, v196
	v_dual_mov_b32 v247, v188 :: v_dual_mov_b32 v248, v193
	;; [unrolled: 1-line block ×3, first 2 shown]
	s_wait_loadcnt_dscnt 0xf0a
	v_dual_mul_f32 v9, v198, v127 :: v_dual_mul_f32 v47, v199, v127
	v_dual_mul_f32 v49, v201, v129 :: v_dual_mul_f32 v11, v200, v129
	s_wait_loadcnt_dscnt 0xe09
	v_mul_f32_e32 v13, v202, v131
	s_wait_loadcnt_dscnt 0xc07
	v_dual_mul_f32 v59, v211, v139 :: v_dual_fma_f32 v47, v198, v126, -v47
	v_dual_fmac_f32 v9, v199, v126 :: v_dual_mul_f32 v61, v213, v141
	v_dual_mul_f32 v51, v203, v131 :: v_dual_mul_f32 v53, v205, v133
	v_dual_fmac_f32 v11, v201, v128 :: v_dual_fma_f32 v49, v200, v128, -v49
	s_delay_alu instid0(VALU_DEP_3) | instskip(SKIP_3) | instid1(VALU_DEP_3)
	v_dual_add_f32 v9, 0, v9 :: v_dual_add_f32 v47, 0, v47
	v_dual_mul_f32 v15, v204, v133 :: v_dual_mul_f32 v17, v206, v135
	s_wait_loadcnt_dscnt 0xb06
	v_dual_mul_f32 v63, v215, v143 :: v_dual_fma_f32 v51, v202, v130, -v51
	v_dual_fmac_f32 v13, v203, v130 :: v_dual_add_f32 v9, v9, v11
	s_delay_alu instid0(VALU_DEP_3) | instskip(SKIP_2) | instid1(VALU_DEP_3)
	v_dual_add_f32 v11, v47, v49 :: v_dual_fmac_f32 v15, v205, v132
	v_dual_mul_f32 v55, v207, v135 :: v_dual_mul_f32 v57, v209, v137
	v_dual_mul_f32 v47, v217, v145 :: v_dual_fma_f32 v49, v204, v132, -v53
	v_dual_add_f32 v9, v9, v13 :: v_dual_add_f32 v11, v11, v51
	v_dual_mul_f32 v19, v208, v137 :: v_dual_mul_f32 v21, v210, v139
	s_wait_loadcnt_dscnt 0xa05
	v_dual_mul_f32 v13, v219, v147 :: v_dual_fma_f32 v51, v206, v134, -v55
	s_delay_alu instid0(VALU_DEP_3) | instskip(NEXT) | instid1(VALU_DEP_3)
	v_dual_fmac_f32 v17, v207, v134 :: v_dual_add_f32 v9, v9, v15
	v_dual_add_f32 v11, v11, v49 :: v_dual_fmac_f32 v19, v209, v136
	v_dual_mul_f32 v15, v221, v149 :: v_dual_fma_f32 v49, v208, v136, -v57
	s_delay_alu instid0(VALU_DEP_2) | instskip(SKIP_3) | instid1(VALU_DEP_3)
	v_dual_add_f32 v9, v9, v17 :: v_dual_add_f32 v11, v11, v51
	v_dual_mul_f32 v23, v212, v141 :: v_dual_mul_f32 v25, v214, v143
	s_wait_loadcnt_dscnt 0x904
	v_dual_mul_f32 v17, v223, v151 :: v_dual_fma_f32 v51, v210, v138, -v59
	v_dual_fmac_f32 v21, v211, v138 :: v_dual_add_f32 v9, v9, v19
	s_delay_alu instid0(VALU_DEP_3) | instskip(SKIP_1) | instid1(VALU_DEP_2)
	v_dual_add_f32 v11, v11, v49 :: v_dual_fmac_f32 v23, v213, v140
	v_dual_mul_f32 v19, v225, v153 :: v_dual_fma_f32 v49, v212, v140, -v61
	v_dual_add_f32 v9, v9, v21 :: v_dual_add_f32 v11, v11, v51
	v_dual_mul_f32 v27, v216, v145 :: v_dual_mul_f32 v29, v218, v147
	s_wait_loadcnt_dscnt 0x803
	v_dual_mul_f32 v21, v227, v155 :: v_dual_fma_f32 v51, v214, v142, -v63
	s_delay_alu instid0(VALU_DEP_3) | instskip(NEXT) | instid1(VALU_DEP_3)
	v_dual_fmac_f32 v25, v215, v142 :: v_dual_add_f32 v9, v9, v23
	v_dual_add_f32 v11, v11, v49 :: v_dual_fmac_f32 v27, v217, v144
	v_dual_mul_f32 v23, v229, v157 :: v_dual_fma_f32 v47, v216, v144, -v47
	s_delay_alu instid0(VALU_DEP_2) | instskip(SKIP_3) | instid1(VALU_DEP_3)
	v_dual_add_f32 v9, v9, v25 :: v_dual_add_f32 v11, v11, v51
	v_dual_mul_f32 v31, v220, v149 :: v_dual_mul_f32 v33, v222, v151
	s_wait_loadcnt_dscnt 0x702
	v_dual_mul_f32 v25, v231, v159 :: v_dual_fma_f32 v13, v218, v146, -v13
	v_dual_fmac_f32 v29, v219, v146 :: v_dual_add_f32 v9, v9, v27
	v_dual_add_f32 v11, v11, v47 :: v_dual_mul_f32 v27, v233, v161
	v_fmac_f32_e32 v31, v221, v148
	s_delay_alu instid0(VALU_DEP_3) | instskip(NEXT) | instid1(VALU_DEP_3)
	v_dual_fma_f32 v15, v220, v148, -v15 :: v_dual_add_f32 v9, v9, v29
	v_add_f32_e32 v11, v11, v13
	v_dual_mul_f32 v35, v224, v153 :: v_dual_mul_f32 v37, v226, v155
	s_wait_loadcnt_dscnt 0x601
	v_dual_mul_f32 v13, v235, v163 :: v_dual_fma_f32 v17, v222, v150, -v17
	v_dual_fmac_f32 v33, v223, v150 :: v_dual_add_f32 v9, v9, v31
	v_dual_add_f32 v11, v11, v15 :: v_dual_mul_f32 v15, v237, v165
	v_fmac_f32_e32 v35, v225, v152
	s_delay_alu instid0(VALU_DEP_3) | instskip(NEXT) | instid1(VALU_DEP_3)
	v_dual_fma_f32 v19, v224, v152, -v19 :: v_dual_add_f32 v9, v9, v33
	v_add_f32_e32 v11, v11, v17
	v_dual_mul_f32 v39, v228, v157 :: v_dual_mul_f32 v41, v230, v159
	s_wait_loadcnt 0x5
	v_dual_mul_f32 v17, v183, v167 :: v_dual_fma_f32 v21, v226, v154, -v21
	v_dual_fmac_f32 v37, v227, v154 :: v_dual_add_f32 v9, v9, v35
	v_dual_add_f32 v11, v11, v19 :: v_dual_mov_b32 v126, v169
	v_fmac_f32_e32 v39, v229, v156
	s_delay_alu instid0(VALU_DEP_3) | instskip(NEXT) | instid1(VALU_DEP_3)
	v_dual_fma_f32 v19, v228, v156, -v23 :: v_dual_add_f32 v9, v9, v37
	v_add_f32_e32 v11, v11, v21
	v_dual_mul_f32 v43, v232, v161 :: v_dual_mul_f32 v45, v234, v163
	s_delay_alu instid0(VALU_DEP_3) | instskip(NEXT) | instid1(VALU_DEP_3)
	v_dual_fmac_f32 v41, v231, v158 :: v_dual_add_f32 v9, v9, v39
	v_dual_fma_f32 v21, v230, v158, -v25 :: v_dual_add_f32 v11, v11, v19
	s_wait_loadcnt 0x4
	v_dual_mov_b32 v130, v173 :: v_dual_fma_f32 v19, v232, v160, -v27
	v_fmac_f32_e32 v43, v233, v160
	v_dual_add_f32 v9, v9, v41 :: v_dual_fmac_f32 v45, v235, v162
	v_add_f32_e32 v11, v11, v21
	v_dual_mul_f32 v253, v236, v165 :: v_dual_mul_f32 v255, v182, v167
	s_delay_alu instid0(VALU_DEP_3) | instskip(NEXT) | instid1(VALU_DEP_2)
	v_dual_fma_f32 v13, v234, v162, -v13 :: v_dual_add_f32 v9, v9, v43
	v_dual_add_f32 v11, v11, v19 :: v_dual_fmac_f32 v253, v237, v164
	v_fma_f32 v252, v236, v164, -v15
	v_pk_mul_f32 v[126:127], v[244:245], v[126:127] op_sel_hi:[1,0]
	s_delay_alu instid0(VALU_DEP_4)
	v_add_f32_e32 v135, v9, v45
	s_wait_loadcnt 0x3
	v_dual_add_f32 v134, v11, v13 :: v_dual_mov_b32 v136, v177
	v_pk_mul_f32 v[128:129], v[186:187], v[170:171] op_sel:[1,1] op_sel_hi:[0,1]
	v_dual_fmac_f32 v255, v183, v166 :: v_dual_fma_f32 v254, v182, v166, -v17
	v_pk_fma_f32 v[138:139], v[184:185], v[168:169], v[126:127] op_sel_hi:[1,0,1]
	s_delay_alu instid0(VALU_DEP_4)
	v_pk_add_f32 v[134:135], v[134:135], v[252:253]
	v_pk_fma_f32 v[126:127], v[184:185], v[168:169], v[126:127] neg_lo:[0,0,1] neg_hi:[0,0,1]
	v_pk_fma_f32 v[140:141], v[186:187], v[170:171], v[128:129] op_sel_hi:[1,0,1]
	v_pk_mul_f32 v[130:131], v[246:247], v[130:131] op_sel_hi:[1,0]
	v_mov_b32_e32 v127, v139
	v_pk_add_f32 v[134:135], v[134:135], v[254:255]
	v_pk_fma_f32 v[128:129], v[186:187], v[170:171], v[128:129] neg_lo:[0,0,1] neg_hi:[0,0,1]
	v_pk_mul_f32 v[132:133], v[190:191], v[174:175] op_sel:[1,1] op_sel_hi:[0,1]
	v_mov_b32_e32 v129, v141
	v_pk_fma_f32 v[140:141], v[188:189], v[172:173], v[130:131] op_sel_hi:[1,0,1]
	v_pk_add_f32 v[126:127], v[134:135], v[126:127]
	v_pk_fma_f32 v[130:131], v[188:189], v[172:173], v[130:131] neg_lo:[0,0,1] neg_hi:[0,0,1]
	v_pk_fma_f32 v[134:135], v[190:191], v[174:175], v[132:133] op_sel_hi:[1,0,1]
	v_pk_mul_f32 v[136:137], v[248:249], v[136:137] op_sel_hi:[1,0]
	v_mov_b32_e32 v131, v141
	v_pk_add_f32 v[126:127], v[126:127], v[128:129]
	v_pk_fma_f32 v[132:133], v[190:191], v[174:175], v[132:133] neg_lo:[0,0,1] neg_hi:[0,0,1]
	s_wait_loadcnt 0x2
	v_pk_mul_f32 v[138:139], v[194:195], v[178:179] op_sel:[1,1] op_sel_hi:[0,1]
	v_dual_mov_b32 v128, v181 :: v_dual_mov_b32 v133, v135
	v_pk_fma_f32 v[134:135], v[192:193], v[176:177], v[136:137] op_sel_hi:[1,0,1]
	v_pk_add_f32 v[126:127], v[126:127], v[130:131]
	v_pk_fma_f32 v[136:137], v[192:193], v[176:177], v[136:137] neg_lo:[0,0,1] neg_hi:[0,0,1]
	v_pk_fma_f32 v[130:131], v[194:195], v[178:179], v[138:139] op_sel_hi:[1,0,1]
	v_pk_mul_f32 v[128:129], v[250:251], v[128:129] op_sel_hi:[1,0]
	v_mov_b32_e32 v137, v135
	v_pk_add_f32 v[126:127], v[126:127], v[132:133]
	v_pk_fma_f32 v[132:133], v[194:195], v[178:179], v[138:139] neg_lo:[0,0,1] neg_hi:[0,0,1]
	v_mov_b32_e32 v133, v131
	v_pk_fma_f32 v[130:131], v[196:197], v[180:181], v[128:129] op_sel_hi:[1,0,1]
	s_wait_loadcnt_dscnt 0x100
	v_pk_mul_f32 v[134:135], v[242:243], v[238:239] op_sel:[1,1] op_sel_hi:[0,1]
	v_pk_add_f32 v[126:127], v[126:127], v[136:137]
	v_pk_fma_f32 v[128:129], v[196:197], v[180:181], v[128:129] neg_lo:[0,0,1] neg_hi:[0,0,1]
	v_mov_b32_e32 v129, v131
	s_delay_alu instid0(VALU_DEP_4) | instskip(NEXT) | instid1(VALU_DEP_4)
	v_pk_fma_f32 v[130:131], v[242:243], v[238:239], v[134:135] op_sel_hi:[1,0,1]
	v_pk_add_f32 v[126:127], v[126:127], v[132:133]
	v_pk_fma_f32 v[132:133], v[242:243], v[238:239], v[134:135] neg_lo:[0,0,1] neg_hi:[0,0,1]
	s_delay_alu instid0(VALU_DEP_3) | instskip(NEXT) | instid1(VALU_DEP_3)
	v_mov_b32_e32 v133, v131
	v_pk_add_f32 v[126:127], v[126:127], v[128:129]
	s_delay_alu instid0(VALU_DEP_1) | instskip(SKIP_1) | instid1(VALU_DEP_1)
	v_pk_add_f32 v[126:127], v[126:127], v[132:133]
	s_wait_loadcnt 0x0
	v_pk_add_f32 v[126:127], v[240:241], v[126:127] neg_lo:[0,1] neg_hi:[0,1]
	scratch_store_b64 off, v[126:127], off offset:256
	s_wait_xcnt 0x0
	v_cmpx_lt_u32_e32 31, v0
	s_cbranch_execz .LBB125_323
; %bb.322:
	scratch_load_b64 v[126:127], off, off offset:248
	v_mov_b64_e32 v[128:129], 0
	scratch_store_b64 off, v[128:129], off offset:248
	s_wait_loadcnt 0x0
	ds_store_b64 v1, v[126:127]
.LBB125_323:
	s_wait_xcnt 0x0
	s_or_b32 exec_lo, exec_lo, s0
	s_wait_storecnt_dscnt 0x0
	s_barrier_signal -1
	s_barrier_wait -1
	s_clause 0xf
	scratch_load_b128 v[126:129], off, off offset:256
	scratch_load_b128 v[130:133], off, off offset:272
	;; [unrolled: 1-line block ×15, first 2 shown]
	scratch_load_b64 v[246:247], off, off offset:248
	ds_load_b128 v[186:189], v7 offset:928
	ds_load_b128 v[190:193], v7 offset:944
	ds_load_b128 v[194:197], v7 offset:960
	ds_load_b128 v[198:201], v7 offset:976
	ds_load_b128 v[202:205], v7 offset:752
	ds_load_b128 v[206:209], v7 offset:768
	ds_load_b128 v[210:213], v7 offset:912
	ds_load_b128 v[214:217], v7 offset:784
	ds_load_b128 v[218:221], v7 offset:800
	ds_load_b128 v[222:225], v7 offset:816
	ds_load_b128 v[226:229], v7 offset:832
	ds_load_b128 v[230:233], v7 offset:848
	ds_load_b128 v[234:237], v7 offset:864
	ds_load_b128 v[238:241], v7 offset:880
	ds_load_b128 v[242:245], v7 offset:896
	s_mov_b32 s0, exec_lo
	s_wait_dscnt 0xe
	v_dual_mov_b32 v248, v189 :: v_dual_mov_b32 v249, v188
	s_wait_dscnt 0xd
	v_dual_mov_b32 v250, v193 :: v_dual_mov_b32 v251, v192
	s_wait_dscnt 0xc
	v_dual_mov_b32 v252, v197 :: v_dual_mov_b32 v253, v196
	s_wait_dscnt 0xb
	v_dual_mov_b32 v254, v201 :: v_dual_mov_b32 v255, v200
	s_wait_loadcnt_dscnt 0xf0a
	v_dual_mul_f32 v7, v202, v127 :: v_dual_mul_f32 v9, v204, v129
	v_dual_mul_f32 v47, v203, v127 :: v_dual_mul_f32 v49, v205, v129
	s_wait_loadcnt_dscnt 0xe09
	v_dual_mul_f32 v11, v206, v131 :: v_dual_mul_f32 v13, v208, v133
	s_delay_alu instid0(VALU_DEP_3) | instskip(SKIP_3) | instid1(VALU_DEP_3)
	v_dual_fmac_f32 v7, v203, v126 :: v_dual_fmac_f32 v9, v205, v128
	s_wait_loadcnt_dscnt 0xc06
	v_dual_fma_f32 v47, v202, v126, -v47 :: v_dual_mul_f32 v59, v219, v139
	v_dual_mul_f32 v51, v207, v131 :: v_dual_mul_f32 v53, v209, v133
	v_dual_fma_f32 v49, v204, v128, -v49 :: v_dual_add_f32 v7, 0, v7
	s_delay_alu instid0(VALU_DEP_3) | instskip(SKIP_1) | instid1(VALU_DEP_3)
	v_dual_add_f32 v47, 0, v47 :: v_dual_mul_f32 v61, v221, v141
	v_dual_fmac_f32 v11, v207, v130 :: v_dual_fmac_f32 v13, v209, v132
	v_dual_fma_f32 v51, v206, v130, -v51 :: v_dual_add_f32 v7, v7, v9
	s_delay_alu instid0(VALU_DEP_3) | instskip(SKIP_2) | instid1(VALU_DEP_4)
	v_dual_add_f32 v9, v47, v49 :: v_dual_fma_f32 v49, v208, v132, -v53
	v_dual_mul_f32 v15, v214, v135 :: v_dual_mul_f32 v17, v216, v137
	v_dual_mul_f32 v55, v215, v135 :: v_dual_mul_f32 v57, v217, v137
	v_add_f32_e32 v7, v7, v11
	s_delay_alu instid0(VALU_DEP_3) | instskip(NEXT) | instid1(VALU_DEP_3)
	v_dual_add_f32 v9, v9, v51 :: v_dual_fmac_f32 v15, v215, v134
	v_fma_f32 v51, v214, v134, -v55
	v_dual_mul_f32 v19, v218, v139 :: v_dual_mul_f32 v21, v220, v141
	s_delay_alu instid0(VALU_DEP_4) | instskip(SKIP_2) | instid1(VALU_DEP_2)
	v_dual_add_f32 v7, v7, v13 :: v_dual_fmac_f32 v17, v217, v136
	s_wait_loadcnt_dscnt 0xa04
	v_dual_add_f32 v9, v9, v49 :: v_dual_mul_f32 v13, v227, v147
	v_dual_fma_f32 v49, v216, v136, -v57 :: v_dual_add_f32 v7, v7, v15
	v_mul_f32_e32 v15, v229, v149
	s_delay_alu instid0(VALU_DEP_3) | instskip(NEXT) | instid1(VALU_DEP_3)
	v_dual_add_f32 v9, v9, v51 :: v_dual_fmac_f32 v19, v219, v138
	v_dual_fma_f32 v51, v218, v138, -v59 :: v_dual_add_f32 v7, v7, v17
	v_fmac_f32_e32 v21, v221, v140
	s_wait_loadcnt_dscnt 0x903
	s_delay_alu instid0(VALU_DEP_3) | instskip(SKIP_3) | instid1(VALU_DEP_3)
	v_dual_add_f32 v9, v9, v49 :: v_dual_mul_f32 v17, v231, v151
	v_dual_mul_f32 v23, v222, v143 :: v_dual_mul_f32 v25, v224, v145
	v_dual_mul_f32 v47, v223, v143 :: v_dual_mul_f32 v11, v225, v145
	v_dual_fma_f32 v49, v220, v140, -v61 :: v_dual_add_f32 v7, v7, v19
	v_dual_add_f32 v9, v9, v51 :: v_dual_fmac_f32 v23, v223, v142
	s_delay_alu instid0(VALU_DEP_3) | instskip(NEXT) | instid1(VALU_DEP_3)
	v_dual_mul_f32 v19, v233, v153 :: v_dual_fma_f32 v47, v222, v142, -v47
	v_dual_add_f32 v7, v7, v21 :: v_dual_fmac_f32 v25, v225, v144
	s_wait_loadcnt_dscnt 0x802
	s_delay_alu instid0(VALU_DEP_3) | instskip(SKIP_1) | instid1(VALU_DEP_3)
	v_dual_add_f32 v9, v9, v49 :: v_dual_mul_f32 v21, v235, v155
	v_dual_mul_f32 v27, v226, v147 :: v_dual_mul_f32 v29, v228, v149
	v_dual_fma_f32 v11, v224, v144, -v11 :: v_dual_add_f32 v7, v7, v23
	s_delay_alu instid0(VALU_DEP_2) | instskip(SKIP_1) | instid1(VALU_DEP_2)
	v_dual_add_f32 v9, v9, v47 :: v_dual_fmac_f32 v27, v227, v146
	v_dual_mul_f32 v23, v237, v157 :: v_dual_fma_f32 v13, v226, v146, -v13
	v_dual_add_f32 v7, v7, v25 :: v_dual_add_f32 v9, v9, v11
	v_dual_mul_f32 v31, v230, v151 :: v_dual_mul_f32 v33, v232, v153
	s_wait_loadcnt_dscnt 0x701
	v_dual_mul_f32 v11, v239, v159 :: v_dual_fmac_f32 v29, v229, v148
	s_delay_alu instid0(VALU_DEP_3) | instskip(NEXT) | instid1(VALU_DEP_3)
	v_dual_fma_f32 v15, v228, v148, -v15 :: v_dual_add_f32 v7, v7, v27
	v_dual_add_f32 v9, v9, v13 :: v_dual_fmac_f32 v31, v231, v150
	v_dual_mul_f32 v13, v241, v161 :: v_dual_fma_f32 v17, v230, v150, -v17
	s_delay_alu instid0(VALU_DEP_2) | instskip(SKIP_3) | instid1(VALU_DEP_3)
	v_dual_add_f32 v7, v7, v29 :: v_dual_add_f32 v9, v9, v15
	v_dual_mul_f32 v35, v234, v155 :: v_dual_mul_f32 v37, v236, v157
	s_wait_loadcnt_dscnt 0x600
	v_dual_mul_f32 v15, v243, v163 :: v_dual_fmac_f32 v33, v233, v152
	v_dual_fma_f32 v19, v232, v152, -v19 :: v_dual_add_f32 v7, v7, v31
	s_delay_alu instid0(VALU_DEP_3) | instskip(SKIP_1) | instid1(VALU_DEP_2)
	v_dual_add_f32 v9, v9, v17 :: v_dual_fmac_f32 v35, v235, v154
	v_dual_mul_f32 v17, v245, v165 :: v_dual_fma_f32 v21, v234, v154, -v21
	v_dual_add_f32 v7, v7, v33 :: v_dual_add_f32 v9, v9, v19
	v_dual_mul_f32 v39, v238, v159 :: v_dual_mul_f32 v41, v240, v161
	s_wait_loadcnt 0x5
	v_dual_mul_f32 v19, v211, v167 :: v_dual_fmac_f32 v37, v237, v156
	s_delay_alu instid0(VALU_DEP_3) | instskip(NEXT) | instid1(VALU_DEP_3)
	v_dual_fma_f32 v23, v236, v156, -v23 :: v_dual_add_f32 v7, v7, v35
	v_dual_add_f32 v9, v9, v21 :: v_dual_fmac_f32 v39, v239, v158
	v_dual_mul_f32 v21, v213, v169 :: v_dual_fma_f32 v11, v238, v158, -v11
	s_delay_alu instid0(VALU_DEP_2) | instskip(SKIP_1) | instid1(VALU_DEP_2)
	v_dual_add_f32 v7, v7, v37 :: v_dual_add_f32 v9, v9, v23
	v_dual_mul_f32 v43, v242, v163 :: v_dual_mul_f32 v45, v244, v165
	v_dual_fmac_f32 v41, v241, v160 :: v_dual_add_f32 v7, v7, v39
	s_delay_alu instid0(VALU_DEP_3) | instskip(SKIP_1) | instid1(VALU_DEP_3)
	v_dual_fma_f32 v13, v240, v160, -v13 :: v_dual_add_f32 v9, v9, v11
	s_wait_loadcnt 0x4
	v_dual_mov_b32 v128, v173 :: v_dual_fmac_f32 v43, v243, v162
	s_delay_alu instid0(VALU_DEP_3) | instskip(NEXT) | instid1(VALU_DEP_3)
	v_dual_fma_f32 v11, v242, v162, -v15 :: v_dual_add_f32 v7, v7, v41
	v_dual_add_f32 v9, v9, v13 :: v_dual_fma_f32 v13, v244, v164, -v17
	s_set_vgpr_msb 64                       ;  msbs: dst=1 src0=0 src1=0 src2=0
	v_dual_mul_f32 v1 /*v257*/, v210, v167 :: v_dual_mul_f32 v3 /*v259*/, v212, v169
	s_set_vgpr_msb 0                        ;  msbs: dst=0 src0=0 src1=0 src2=0
	v_dual_fmac_f32 v45, v245, v164 :: v_dual_add_f32 v7, v7, v43
	v_add_f32_e32 v9, v9, v11
	v_pk_mul_f32 v[126:127], v[186:187], v[170:171] op_sel:[1,1] op_sel_hi:[0,1]
	s_set_vgpr_msb 64                       ;  msbs: dst=1 src0=0 src1=0 src2=0
	v_dual_fmac_f32 v1 /*v257*/, v211, v166 :: v_dual_fmac_f32 v3 /*v259*/, v213, v168
	v_dual_fma_f32 v0 /*v256*/, v210, v166, -v19 :: v_dual_fma_f32 v2 /*v258*/, v212, v168, -v21
	s_set_vgpr_msb 0                        ;  msbs: dst=0 src0=0 src1=0 src2=0
	v_add_f32_e32 v135, v7, v45
	v_add_f32_e32 v134, v9, v13
	v_pk_fma_f32 v[136:137], v[186:187], v[170:171], v[126:127] op_sel_hi:[1,0,1]
	v_pk_mul_f32 v[128:129], v[248:249], v[128:129] op_sel_hi:[1,0]
	v_pk_fma_f32 v[126:127], v[186:187], v[170:171], v[126:127] neg_lo:[0,0,1] neg_hi:[0,0,1]
	s_wait_loadcnt 0x3
	v_pk_mul_f32 v[130:131], v[190:191], v[174:175] op_sel:[1,1] op_sel_hi:[0,1]
	s_set_vgpr_msb 4                        ;  msbs: dst=0 src0=0 src1=1 src2=0
	v_pk_add_f32 v[134:135], v[134:135], v[0:1] /*v[256:257]*/
	v_dual_mov_b32 v132, v177 :: v_dual_mov_b32 v127, v137
	s_set_vgpr_msb 0                        ;  msbs: dst=0 src0=0 src1=0 src2=0
	v_pk_fma_f32 v[136:137], v[188:189], v[172:173], v[128:129] op_sel_hi:[1,0,1]
	v_pk_fma_f32 v[128:129], v[188:189], v[172:173], v[128:129] neg_lo:[0,0,1] neg_hi:[0,0,1]
	s_set_vgpr_msb 4                        ;  msbs: dst=0 src0=0 src1=1 src2=0
	v_pk_add_f32 v[134:135], v[134:135], v[2:3] /*v[258:259]*/
	s_set_vgpr_msb 0                        ;  msbs: dst=0 src0=0 src1=0 src2=0
	v_pk_fma_f32 v[140:141], v[190:191], v[174:175], v[130:131] op_sel_hi:[1,0,1]
	v_pk_mul_f32 v[132:133], v[250:251], v[132:133] op_sel_hi:[1,0]
	v_mov_b32_e32 v129, v137
	s_wait_loadcnt 0x2
	v_pk_mul_f32 v[138:139], v[194:195], v[178:179] op_sel:[1,1] op_sel_hi:[0,1]
	v_pk_add_f32 v[126:127], v[134:135], v[126:127]
	v_mov_b32_e32 v134, v181
	v_pk_fma_f32 v[130:131], v[190:191], v[174:175], v[130:131] neg_lo:[0,0,1] neg_hi:[0,0,1]
	v_pk_fma_f32 v[136:137], v[192:193], v[176:177], v[132:133] op_sel_hi:[1,0,1]
	v_mov_b32_e32 v131, v141
	v_pk_add_f32 v[126:127], v[126:127], v[128:129]
	v_pk_fma_f32 v[128:129], v[194:195], v[178:179], v[138:139] op_sel_hi:[1,0,1]
	v_pk_mul_f32 v[134:135], v[252:253], v[134:135] op_sel_hi:[1,0]
	v_pk_fma_f32 v[132:133], v[192:193], v[176:177], v[132:133] neg_lo:[0,0,1] neg_hi:[0,0,1]
	v_mov_b32_e32 v133, v137
	v_pk_add_f32 v[126:127], v[126:127], v[130:131]
	v_pk_fma_f32 v[136:137], v[194:195], v[178:179], v[138:139] neg_lo:[0,0,1] neg_hi:[0,0,1]
	v_mov_b32_e32 v137, v129
	v_pk_fma_f32 v[128:129], v[196:197], v[180:181], v[134:135] op_sel_hi:[1,0,1]
	s_wait_loadcnt 0x1
	v_pk_mul_f32 v[130:131], v[198:199], v[182:183] op_sel:[1,1] op_sel_hi:[0,1]
	v_pk_add_f32 v[126:127], v[126:127], v[132:133]
	v_mov_b32_e32 v128, v185
	v_pk_fma_f32 v[134:135], v[196:197], v[180:181], v[134:135] neg_lo:[0,0,1] neg_hi:[0,0,1]
	s_delay_alu instid0(VALU_DEP_4)
	v_pk_fma_f32 v[132:133], v[198:199], v[182:183], v[130:131] op_sel_hi:[1,0,1]
	v_mov_b32_e32 v135, v129
	v_pk_add_f32 v[126:127], v[126:127], v[136:137]
	v_pk_mul_f32 v[128:129], v[254:255], v[128:129] op_sel_hi:[1,0]
	v_pk_fma_f32 v[130:131], v[198:199], v[182:183], v[130:131] neg_lo:[0,0,1] neg_hi:[0,0,1]
	v_mov_b32_e32 v131, v133
	s_delay_alu instid0(VALU_DEP_4) | instskip(NEXT) | instid1(VALU_DEP_4)
	v_pk_add_f32 v[126:127], v[126:127], v[134:135]
	v_pk_fma_f32 v[132:133], v[200:201], v[184:185], v[128:129] op_sel_hi:[1,0,1]
	v_pk_fma_f32 v[128:129], v[200:201], v[184:185], v[128:129] neg_lo:[0,0,1] neg_hi:[0,0,1]
	s_delay_alu instid0(VALU_DEP_3) | instskip(NEXT) | instid1(VALU_DEP_3)
	v_pk_add_f32 v[126:127], v[126:127], v[130:131]
	v_mov_b32_e32 v129, v133
	s_delay_alu instid0(VALU_DEP_1) | instskip(SKIP_1) | instid1(VALU_DEP_1)
	v_pk_add_f32 v[126:127], v[126:127], v[128:129]
	s_wait_loadcnt 0x0
	v_pk_add_f32 v[126:127], v[246:247], v[126:127] neg_lo:[0,1] neg_hi:[0,1]
	scratch_store_b64 off, v[126:127], off offset:248
	s_wait_xcnt 0x0
	v_cmpx_lt_u32_e32 30, v0
	s_cbranch_execz .LBB125_325
; %bb.324:
	scratch_load_b64 v[126:127], off, off offset:240
	v_mov_b64_e32 v[128:129], 0
	scratch_store_b64 off, v[128:129], off offset:240
	s_wait_loadcnt 0x0
	ds_store_b64 v1, v[126:127]
.LBB125_325:
	s_wait_xcnt 0x0
	s_or_b32 exec_lo, exec_lo, s0
	s_wait_storecnt_dscnt 0x0
	s_barrier_signal -1
	s_barrier_wait -1
	s_clause 0x10
	scratch_load_b128 v[126:129], off, off offset:248
	scratch_load_b128 v[130:133], off, off offset:264
	;; [unrolled: 1-line block ×15, first 2 shown]
	scratch_load_b64 v[246:247], off, off offset:488
	scratch_load_b64 v[248:249], off, off offset:240
	v_mov_b32_e32 v7, 0
	ds_load_2addr_b64 v[186:189], v7 offset0:115 offset1:116
	ds_load_2addr_b64 v[190:193], v7 offset0:117 offset1:118
	;; [unrolled: 1-line block ×15, first 2 shown]
	ds_load_b64 v[250:251], v7 offset:984
	s_mov_b32 s0, exec_lo
	s_wait_dscnt 0xe
	v_dual_mov_b32 v252, v189 :: v_dual_mov_b32 v255, v192
	v_dual_mov_b32 v253, v188 :: v_dual_mov_b32 v254, v193
	s_wait_dscnt 0xd
	s_set_vgpr_msb 64                       ;  msbs: dst=1 src0=0 src1=0 src2=0
	v_dual_mov_b32 v0 /*v256*/, v197 :: v_dual_mov_b32 v1 /*v257*/, v196
	s_wait_dscnt 0xc
	v_dual_mov_b32 v2 /*v258*/, v201 :: v_dual_mov_b32 v3 /*v259*/, v200
	s_wait_loadcnt_dscnt 0x100b
	s_set_vgpr_msb 0                        ;  msbs: dst=0 src0=0 src1=0 src2=0
	v_dual_mul_f32 v9, v202, v127 :: v_dual_mul_f32 v51, v203, v127
	v_dual_mul_f32 v53, v205, v129 :: v_dual_mul_f32 v11, v204, v129
	s_wait_loadcnt_dscnt 0xf09
	v_mul_f32_e32 v13, v210, v131
	s_wait_loadcnt_dscnt 0xd07
	v_dual_mul_f32 v63, v219, v139 :: v_dual_fma_f32 v51, v202, v126, -v51
	v_dual_fmac_f32 v9, v203, v126 :: v_dual_mul_f32 v65, v221, v141
	v_dual_mul_f32 v55, v211, v131 :: v_dual_mul_f32 v57, v213, v133
	v_dual_fmac_f32 v11, v205, v128 :: v_dual_fma_f32 v53, v204, v128, -v53
	s_delay_alu instid0(VALU_DEP_3) | instskip(SKIP_3) | instid1(VALU_DEP_3)
	v_dual_add_f32 v9, 0, v9 :: v_dual_add_f32 v51, 0, v51
	v_dual_mul_f32 v15, v212, v133 :: v_dual_mul_f32 v17, v214, v135
	s_wait_loadcnt_dscnt 0xc06
	v_dual_mul_f32 v67, v223, v143 :: v_dual_fma_f32 v55, v210, v130, -v55
	v_dual_fmac_f32 v13, v211, v130 :: v_dual_add_f32 v9, v9, v11
	s_delay_alu instid0(VALU_DEP_3) | instskip(SKIP_2) | instid1(VALU_DEP_3)
	v_dual_add_f32 v11, v51, v53 :: v_dual_fmac_f32 v15, v213, v132
	v_dual_mul_f32 v59, v215, v135 :: v_dual_mul_f32 v61, v217, v137
	v_dual_mul_f32 v51, v225, v145 :: v_dual_fma_f32 v53, v212, v132, -v57
	v_dual_add_f32 v9, v9, v13 :: v_dual_add_f32 v11, v11, v55
	v_dual_mul_f32 v19, v216, v137 :: v_dual_mul_f32 v21, v218, v139
	s_wait_loadcnt_dscnt 0xb05
	v_dual_mul_f32 v13, v227, v147 :: v_dual_fma_f32 v55, v214, v134, -v59
	s_delay_alu instid0(VALU_DEP_3) | instskip(NEXT) | instid1(VALU_DEP_3)
	v_dual_fmac_f32 v17, v215, v134 :: v_dual_add_f32 v9, v9, v15
	v_dual_add_f32 v11, v11, v53 :: v_dual_fmac_f32 v19, v217, v136
	v_dual_mul_f32 v15, v229, v149 :: v_dual_fma_f32 v53, v216, v136, -v61
	s_delay_alu instid0(VALU_DEP_2) | instskip(SKIP_3) | instid1(VALU_DEP_3)
	v_dual_add_f32 v9, v9, v17 :: v_dual_add_f32 v11, v11, v55
	v_dual_mul_f32 v23, v220, v141 :: v_dual_mul_f32 v25, v222, v143
	s_wait_loadcnt_dscnt 0xa04
	v_dual_mul_f32 v17, v231, v151 :: v_dual_fma_f32 v55, v218, v138, -v63
	v_dual_fmac_f32 v21, v219, v138 :: v_dual_add_f32 v9, v9, v19
	s_delay_alu instid0(VALU_DEP_3) | instskip(SKIP_1) | instid1(VALU_DEP_2)
	v_dual_add_f32 v11, v11, v53 :: v_dual_fmac_f32 v23, v221, v140
	v_dual_mul_f32 v19, v233, v153 :: v_dual_fma_f32 v53, v220, v140, -v65
	v_dual_add_f32 v9, v9, v21 :: v_dual_add_f32 v11, v11, v55
	v_dual_mul_f32 v27, v224, v145 :: v_dual_mul_f32 v29, v226, v147
	s_wait_loadcnt_dscnt 0x903
	v_dual_mul_f32 v21, v235, v155 :: v_dual_fma_f32 v55, v222, v142, -v67
	s_delay_alu instid0(VALU_DEP_3) | instskip(NEXT) | instid1(VALU_DEP_3)
	v_dual_fmac_f32 v25, v223, v142 :: v_dual_add_f32 v9, v9, v23
	v_dual_add_f32 v11, v11, v53 :: v_dual_fmac_f32 v27, v225, v144
	v_dual_mul_f32 v23, v237, v157 :: v_dual_fma_f32 v51, v224, v144, -v51
	s_delay_alu instid0(VALU_DEP_2) | instskip(SKIP_3) | instid1(VALU_DEP_3)
	v_dual_add_f32 v9, v9, v25 :: v_dual_add_f32 v11, v11, v55
	v_dual_mul_f32 v31, v228, v149 :: v_dual_mul_f32 v33, v230, v151
	s_wait_loadcnt_dscnt 0x802
	v_dual_mul_f32 v25, v239, v159 :: v_dual_fma_f32 v13, v226, v146, -v13
	v_dual_fmac_f32 v29, v227, v146 :: v_dual_add_f32 v9, v9, v27
	v_dual_add_f32 v11, v11, v51 :: v_dual_mul_f32 v27, v241, v161
	v_fmac_f32_e32 v31, v229, v148
	s_delay_alu instid0(VALU_DEP_3) | instskip(NEXT) | instid1(VALU_DEP_3)
	v_dual_fma_f32 v15, v228, v148, -v15 :: v_dual_add_f32 v9, v9, v29
	v_add_f32_e32 v11, v11, v13
	v_dual_mul_f32 v35, v232, v153 :: v_dual_mul_f32 v37, v234, v155
	s_wait_loadcnt_dscnt 0x701
	v_dual_mul_f32 v13, v243, v163 :: v_dual_fma_f32 v17, v230, v150, -v17
	v_dual_fmac_f32 v33, v231, v150 :: v_dual_add_f32 v9, v9, v31
	v_dual_add_f32 v11, v11, v15 :: v_dual_mul_f32 v15, v245, v165
	v_fmac_f32_e32 v35, v233, v152
	s_delay_alu instid0(VALU_DEP_3) | instskip(NEXT) | instid1(VALU_DEP_3)
	v_dual_fma_f32 v19, v232, v152, -v19 :: v_dual_add_f32 v9, v9, v33
	v_add_f32_e32 v11, v11, v17
	v_dual_mul_f32 v39, v236, v157 :: v_dual_mul_f32 v41, v238, v159
	s_wait_loadcnt 0x6
	v_dual_mul_f32 v17, v207, v167 :: v_dual_fma_f32 v21, v234, v154, -v21
	v_dual_fmac_f32 v37, v235, v154 :: v_dual_add_f32 v9, v9, v35
	v_dual_add_f32 v11, v11, v19 :: v_dual_mul_f32 v19, v209, v169
	v_fmac_f32_e32 v39, v237, v156
	s_delay_alu instid0(VALU_DEP_3) | instskip(NEXT) | instid1(VALU_DEP_3)
	v_dual_fma_f32 v23, v236, v156, -v23 :: v_dual_add_f32 v9, v9, v37
	v_add_f32_e32 v11, v11, v21
	v_dual_mul_f32 v43, v240, v161 :: v_dual_mul_f32 v45, v242, v163
	s_wait_loadcnt 0x5
	v_dual_mul_f32 v21, v187, v171 :: v_dual_fma_f32 v25, v238, v158, -v25
	v_dual_fmac_f32 v41, v239, v158 :: v_dual_add_f32 v9, v9, v39
	v_dual_add_f32 v11, v11, v23 :: v_dual_mov_b32 v126, v173
	v_fmac_f32_e32 v43, v241, v160
	s_delay_alu instid0(VALU_DEP_3) | instskip(NEXT) | instid1(VALU_DEP_3)
	v_dual_fma_f32 v23, v240, v160, -v27 :: v_dual_add_f32 v9, v9, v41
	v_add_f32_e32 v11, v11, v25
	v_dual_mul_f32 v47, v244, v165 :: v_dual_mul_f32 v49, v206, v167
	s_delay_alu instid0(VALU_DEP_3) | instskip(NEXT) | instid1(VALU_DEP_3)
	v_dual_fmac_f32 v45, v243, v162 :: v_dual_add_f32 v9, v9, v43
	v_dual_fma_f32 v13, v242, v162, -v13 :: v_dual_add_f32 v11, v11, v23
	s_wait_loadcnt 0x4
	v_dual_mov_b32 v130, v177 :: v_dual_fma_f32 v15, v244, v164, -v15
	v_fmac_f32_e32 v47, v245, v164
	v_dual_add_f32 v9, v9, v45 :: v_dual_fmac_f32 v49, v207, v166
	v_add_f32_e32 v11, v11, v13
	s_set_vgpr_msb 64                       ;  msbs: dst=1 src0=0 src1=0 src2=0
	v_dual_mul_f32 v5 /*v261*/, v208, v169 :: v_dual_mul_f32 v7 /*v263*/, v186, v171
	s_set_vgpr_msb 0                        ;  msbs: dst=0 src0=0 src1=0 src2=0
	v_dual_fma_f32 v13, v206, v166, -v17 :: v_dual_add_f32 v9, v9, v47
	v_add_f32_e32 v11, v11, v15
	s_set_vgpr_msb 64                       ;  msbs: dst=1 src0=0 src1=0 src2=0
	v_dual_fmac_f32 v5 /*v261*/, v209, v168 :: v_dual_fmac_f32 v7 /*v263*/, v187, v170
	v_dual_fma_f32 v4 /*v260*/, v208, v168, -v19 :: v_dual_fma_f32 v6 /*v262*/, v186, v170, -v21
	s_set_vgpr_msb 0                        ;  msbs: dst=0 src0=0 src1=0 src2=0
	v_pk_mul_f32 v[126:127], v[252:253], v[126:127] op_sel_hi:[1,0]
	v_add_f32_e32 v135, v9, v49
	s_wait_loadcnt 0x3
	v_dual_add_f32 v134, v11, v13 :: v_dual_mov_b32 v136, v181
	v_pk_mul_f32 v[128:129], v[190:191], v[174:175] op_sel:[1,1] op_sel_hi:[0,1]
	v_pk_fma_f32 v[138:139], v[188:189], v[172:173], v[126:127] op_sel_hi:[1,0,1]
	v_pk_fma_f32 v[126:127], v[188:189], v[172:173], v[126:127] neg_lo:[0,0,1] neg_hi:[0,0,1]
	s_set_vgpr_msb 4                        ;  msbs: dst=0 src0=0 src1=1 src2=0
	v_pk_add_f32 v[134:135], v[134:135], v[4:5] /*v[260:261]*/
	s_set_vgpr_msb 0                        ;  msbs: dst=0 src0=0 src1=0 src2=0
	v_pk_mul_f32 v[130:131], v[254:255], v[130:131] op_sel_hi:[1,0]
	v_pk_fma_f32 v[140:141], v[190:191], v[174:175], v[128:129] op_sel_hi:[1,0,1]
	v_mov_b32_e32 v127, v139
	v_pk_fma_f32 v[128:129], v[190:191], v[174:175], v[128:129] neg_lo:[0,0,1] neg_hi:[0,0,1]
	s_set_vgpr_msb 4                        ;  msbs: dst=0 src0=0 src1=1 src2=0
	v_pk_add_f32 v[134:135], v[134:135], v[6:7] /*v[262:263]*/
	s_set_vgpr_msb 0                        ;  msbs: dst=0 src0=0 src1=0 src2=0
	v_pk_mul_f32 v[132:133], v[194:195], v[178:179] op_sel:[1,1] op_sel_hi:[0,1]
	v_mov_b32_e32 v129, v141
	v_pk_fma_f32 v[140:141], v[192:193], v[176:177], v[130:131] op_sel_hi:[1,0,1]
	v_pk_fma_f32 v[130:131], v[192:193], v[176:177], v[130:131] neg_lo:[0,0,1] neg_hi:[0,0,1]
	v_pk_add_f32 v[126:127], v[134:135], v[126:127]
	v_pk_fma_f32 v[134:135], v[194:195], v[178:179], v[132:133] op_sel_hi:[1,0,1]
	s_set_vgpr_msb 1                        ;  msbs: dst=0 src0=1 src1=0 src2=0
	v_pk_mul_f32 v[136:137], v[0:1] /*v[256:257]*/, v[136:137] op_sel_hi:[1,0]
	s_set_vgpr_msb 0                        ;  msbs: dst=0 src0=0 src1=0 src2=0
	v_mov_b32_e32 v131, v141
	v_pk_fma_f32 v[132:133], v[194:195], v[178:179], v[132:133] neg_lo:[0,0,1] neg_hi:[0,0,1]
	v_pk_add_f32 v[126:127], v[126:127], v[128:129]
	s_wait_loadcnt 0x2
	v_pk_mul_f32 v[138:139], v[198:199], v[182:183] op_sel:[1,1] op_sel_hi:[0,1]
	v_dual_mov_b32 v128, v185 :: v_dual_mov_b32 v133, v135
	v_pk_fma_f32 v[134:135], v[196:197], v[180:181], v[136:137] op_sel_hi:[1,0,1]
	v_pk_add_f32 v[126:127], v[126:127], v[130:131]
	v_pk_fma_f32 v[136:137], v[196:197], v[180:181], v[136:137] neg_lo:[0,0,1] neg_hi:[0,0,1]
	v_pk_fma_f32 v[130:131], v[198:199], v[182:183], v[138:139] op_sel_hi:[1,0,1]
	s_set_vgpr_msb 1                        ;  msbs: dst=0 src0=1 src1=0 src2=0
	v_pk_mul_f32 v[128:129], v[2:3] /*v[258:259]*/, v[128:129] op_sel_hi:[1,0]
	s_set_vgpr_msb 0                        ;  msbs: dst=0 src0=0 src1=0 src2=0
	v_mov_b32_e32 v137, v135
	v_pk_add_f32 v[126:127], v[126:127], v[132:133]
	v_pk_fma_f32 v[132:133], v[198:199], v[182:183], v[138:139] neg_lo:[0,0,1] neg_hi:[0,0,1]
	v_mov_b32_e32 v133, v131
	v_pk_fma_f32 v[130:131], v[200:201], v[184:185], v[128:129] op_sel_hi:[1,0,1]
	s_wait_loadcnt_dscnt 0x100
	v_pk_mul_f32 v[134:135], v[250:251], v[246:247] op_sel:[1,1] op_sel_hi:[0,1]
	v_pk_add_f32 v[126:127], v[126:127], v[136:137]
	v_pk_fma_f32 v[128:129], v[200:201], v[184:185], v[128:129] neg_lo:[0,0,1] neg_hi:[0,0,1]
	v_mov_b32_e32 v129, v131
	s_delay_alu instid0(VALU_DEP_4) | instskip(NEXT) | instid1(VALU_DEP_4)
	v_pk_fma_f32 v[130:131], v[250:251], v[246:247], v[134:135] op_sel_hi:[1,0,1]
	v_pk_add_f32 v[126:127], v[126:127], v[132:133]
	v_pk_fma_f32 v[132:133], v[250:251], v[246:247], v[134:135] neg_lo:[0,0,1] neg_hi:[0,0,1]
	s_delay_alu instid0(VALU_DEP_3) | instskip(NEXT) | instid1(VALU_DEP_3)
	v_mov_b32_e32 v133, v131
	v_pk_add_f32 v[126:127], v[126:127], v[128:129]
	s_delay_alu instid0(VALU_DEP_1) | instskip(SKIP_1) | instid1(VALU_DEP_1)
	v_pk_add_f32 v[126:127], v[126:127], v[132:133]
	s_wait_loadcnt 0x0
	v_pk_add_f32 v[126:127], v[248:249], v[126:127] neg_lo:[0,1] neg_hi:[0,1]
	scratch_store_b64 off, v[126:127], off offset:240
	s_wait_xcnt 0x0
	v_cmpx_lt_u32_e32 29, v0
	s_cbranch_execz .LBB125_327
; %bb.326:
	scratch_load_b64 v[126:127], off, off offset:232
	v_mov_b64_e32 v[128:129], 0
	scratch_store_b64 off, v[128:129], off offset:232
	s_wait_loadcnt 0x0
	ds_store_b64 v1, v[126:127]
.LBB125_327:
	s_wait_xcnt 0x0
	s_or_b32 exec_lo, exec_lo, s0
	s_wait_storecnt_dscnt 0x0
	s_barrier_signal -1
	s_barrier_wait -1
	s_clause 0x10
	scratch_load_b128 v[126:129], off, off offset:240
	scratch_load_b128 v[130:133], off, off offset:256
	;; [unrolled: 1-line block ×16, first 2 shown]
	scratch_load_b64 v[254:255], off, off offset:232
	ds_load_b128 v[190:193], v7 offset:928
	ds_load_b128 v[194:197], v7 offset:944
	;; [unrolled: 1-line block ×16, first 2 shown]
	s_mov_b32 s0, exec_lo
	s_wait_dscnt 0xf
	s_set_vgpr_msb 64                       ;  msbs: dst=1 src0=0 src1=0 src2=0
	v_dual_mov_b32 v0 /*v256*/, v193 :: v_dual_mov_b32 v1 /*v257*/, v192
	s_wait_dscnt 0xe
	v_dual_mov_b32 v2 /*v258*/, v197 :: v_dual_mov_b32 v3 /*v259*/, v196
	s_wait_dscnt 0xd
	;; [unrolled: 2-line block ×3, first 2 shown]
	v_dual_mov_b32 v6 /*v262*/, v205 :: v_dual_mov_b32 v7 /*v263*/, v204
	s_wait_loadcnt_dscnt 0x100b
	s_set_vgpr_msb 0                        ;  msbs: dst=0 src0=0 src1=0 src2=0
	v_dual_mul_f32 v7, v206, v127 :: v_dual_mul_f32 v9, v208, v129
	v_dual_mul_f32 v51, v207, v127 :: v_dual_mul_f32 v53, v209, v129
	s_wait_loadcnt_dscnt 0xf0a
	v_dual_mul_f32 v11, v210, v131 :: v_dual_mul_f32 v13, v212, v133
	s_delay_alu instid0(VALU_DEP_3) | instskip(SKIP_3) | instid1(VALU_DEP_3)
	v_dual_fmac_f32 v7, v207, v126 :: v_dual_fmac_f32 v9, v209, v128
	s_wait_loadcnt_dscnt 0xd08
	v_dual_fma_f32 v51, v206, v126, -v51 :: v_dual_mul_f32 v63, v219, v139
	v_dual_mul_f32 v55, v211, v131 :: v_dual_mul_f32 v57, v213, v133
	v_dual_fma_f32 v53, v208, v128, -v53 :: v_dual_add_f32 v7, 0, v7
	s_delay_alu instid0(VALU_DEP_3) | instskip(SKIP_1) | instid1(VALU_DEP_3)
	v_dual_add_f32 v51, 0, v51 :: v_dual_mul_f32 v65, v221, v141
	v_dual_fmac_f32 v11, v211, v130 :: v_dual_fmac_f32 v13, v213, v132
	v_dual_fma_f32 v55, v210, v130, -v55 :: v_dual_add_f32 v7, v7, v9
	s_delay_alu instid0(VALU_DEP_3) | instskip(SKIP_2) | instid1(VALU_DEP_4)
	v_dual_add_f32 v9, v51, v53 :: v_dual_fma_f32 v53, v212, v132, -v57
	v_dual_mul_f32 v15, v214, v135 :: v_dual_mul_f32 v17, v216, v137
	v_dual_mul_f32 v59, v215, v135 :: v_dual_mul_f32 v61, v217, v137
	v_add_f32_e32 v7, v7, v11
	s_delay_alu instid0(VALU_DEP_3) | instskip(NEXT) | instid1(VALU_DEP_3)
	v_dual_add_f32 v9, v9, v55 :: v_dual_fmac_f32 v15, v215, v134
	v_fma_f32 v55, v214, v134, -v59
	v_dual_mul_f32 v19, v218, v139 :: v_dual_mul_f32 v21, v220, v141
	s_delay_alu instid0(VALU_DEP_4) | instskip(SKIP_2) | instid1(VALU_DEP_2)
	v_dual_add_f32 v7, v7, v13 :: v_dual_fmac_f32 v17, v217, v136
	s_wait_loadcnt_dscnt 0xb06
	v_dual_add_f32 v9, v9, v53 :: v_dual_mul_f32 v13, v227, v147
	v_dual_fma_f32 v53, v216, v136, -v61 :: v_dual_add_f32 v7, v7, v15
	v_mul_f32_e32 v15, v229, v149
	s_delay_alu instid0(VALU_DEP_3) | instskip(NEXT) | instid1(VALU_DEP_3)
	v_dual_add_f32 v9, v9, v55 :: v_dual_fmac_f32 v19, v219, v138
	v_dual_fma_f32 v55, v218, v138, -v63 :: v_dual_add_f32 v7, v7, v17
	v_fmac_f32_e32 v21, v221, v140
	s_wait_loadcnt_dscnt 0xa05
	s_delay_alu instid0(VALU_DEP_3) | instskip(SKIP_3) | instid1(VALU_DEP_3)
	v_dual_add_f32 v9, v9, v53 :: v_dual_mul_f32 v17, v231, v151
	v_dual_mul_f32 v23, v222, v143 :: v_dual_mul_f32 v25, v224, v145
	v_dual_mul_f32 v51, v223, v143 :: v_dual_mul_f32 v11, v225, v145
	v_dual_fma_f32 v53, v220, v140, -v65 :: v_dual_add_f32 v7, v7, v19
	v_dual_add_f32 v9, v9, v55 :: v_dual_fmac_f32 v23, v223, v142
	s_delay_alu instid0(VALU_DEP_3) | instskip(NEXT) | instid1(VALU_DEP_3)
	v_dual_mul_f32 v19, v233, v153 :: v_dual_fma_f32 v51, v222, v142, -v51
	v_dual_add_f32 v7, v7, v21 :: v_dual_fmac_f32 v25, v225, v144
	s_wait_loadcnt_dscnt 0x904
	s_delay_alu instid0(VALU_DEP_3) | instskip(SKIP_1) | instid1(VALU_DEP_3)
	v_dual_add_f32 v9, v9, v53 :: v_dual_mul_f32 v21, v235, v155
	v_dual_mul_f32 v27, v226, v147 :: v_dual_mul_f32 v29, v228, v149
	v_dual_fma_f32 v11, v224, v144, -v11 :: v_dual_add_f32 v7, v7, v23
	s_delay_alu instid0(VALU_DEP_2) | instskip(SKIP_1) | instid1(VALU_DEP_2)
	v_dual_add_f32 v9, v9, v51 :: v_dual_fmac_f32 v27, v227, v146
	v_dual_mul_f32 v23, v237, v157 :: v_dual_fma_f32 v13, v226, v146, -v13
	v_dual_add_f32 v7, v7, v25 :: v_dual_add_f32 v9, v9, v11
	v_dual_mul_f32 v31, v230, v151 :: v_dual_mul_f32 v33, v232, v153
	s_wait_loadcnt_dscnt 0x803
	v_dual_mul_f32 v11, v239, v159 :: v_dual_fmac_f32 v29, v229, v148
	s_delay_alu instid0(VALU_DEP_3) | instskip(NEXT) | instid1(VALU_DEP_3)
	v_dual_fma_f32 v15, v228, v148, -v15 :: v_dual_add_f32 v7, v7, v27
	v_dual_add_f32 v9, v9, v13 :: v_dual_fmac_f32 v31, v231, v150
	v_dual_mul_f32 v13, v241, v161 :: v_dual_fma_f32 v17, v230, v150, -v17
	s_delay_alu instid0(VALU_DEP_2) | instskip(SKIP_3) | instid1(VALU_DEP_3)
	v_dual_add_f32 v7, v7, v29 :: v_dual_add_f32 v9, v9, v15
	v_dual_mul_f32 v35, v234, v155 :: v_dual_mul_f32 v37, v236, v157
	s_wait_loadcnt_dscnt 0x702
	v_dual_mul_f32 v15, v243, v163 :: v_dual_fmac_f32 v33, v233, v152
	v_dual_fma_f32 v19, v232, v152, -v19 :: v_dual_add_f32 v7, v7, v31
	s_delay_alu instid0(VALU_DEP_3) | instskip(SKIP_1) | instid1(VALU_DEP_2)
	v_dual_add_f32 v9, v9, v17 :: v_dual_fmac_f32 v35, v235, v154
	v_dual_mul_f32 v17, v245, v165 :: v_dual_fma_f32 v21, v234, v154, -v21
	v_dual_add_f32 v7, v7, v33 :: v_dual_add_f32 v9, v9, v19
	v_dual_mul_f32 v39, v238, v159 :: v_dual_mul_f32 v41, v240, v161
	s_wait_loadcnt_dscnt 0x601
	v_dual_mul_f32 v19, v247, v167 :: v_dual_fmac_f32 v37, v237, v156
	s_delay_alu instid0(VALU_DEP_3) | instskip(NEXT) | instid1(VALU_DEP_3)
	v_dual_fma_f32 v23, v236, v156, -v23 :: v_dual_add_f32 v7, v7, v35
	v_dual_add_f32 v9, v9, v21 :: v_dual_fmac_f32 v39, v239, v158
	v_dual_mul_f32 v21, v249, v169 :: v_dual_fma_f32 v11, v238, v158, -v11
	s_delay_alu instid0(VALU_DEP_2) | instskip(SKIP_3) | instid1(VALU_DEP_3)
	v_dual_add_f32 v7, v7, v37 :: v_dual_add_f32 v9, v9, v23
	v_dual_mul_f32 v43, v242, v163 :: v_dual_mul_f32 v45, v244, v165
	s_wait_loadcnt_dscnt 0x500
	v_dual_mul_f32 v23, v251, v171 :: v_dual_fmac_f32 v41, v241, v160
	v_dual_fma_f32 v13, v240, v160, -v13 :: v_dual_add_f32 v7, v7, v39
	s_delay_alu instid0(VALU_DEP_3) | instskip(SKIP_1) | instid1(VALU_DEP_3)
	v_dual_add_f32 v9, v9, v11 :: v_dual_fmac_f32 v43, v243, v162
	v_dual_mul_f32 v11, v253, v173 :: v_dual_fma_f32 v15, v242, v162, -v15
	v_dual_add_f32 v7, v7, v41 :: v_dual_fmac_f32 v45, v245, v164
	s_delay_alu instid0(VALU_DEP_3) | instskip(SKIP_2) | instid1(VALU_DEP_3)
	v_dual_add_f32 v9, v9, v13 :: v_dual_fma_f32 v13, v244, v164, -v17
	v_dual_mul_f32 v47, v246, v167 :: v_dual_mul_f32 v49, v248, v169
	s_wait_loadcnt 0x4
	v_dual_add_f32 v7, v7, v43 :: v_dual_mov_b32 v128, v177
	s_delay_alu instid0(VALU_DEP_2) | instskip(NEXT) | instid1(VALU_DEP_2)
	v_dual_add_f32 v9, v9, v15 :: v_dual_fmac_f32 v47, v247, v166
	v_dual_fma_f32 v15, v246, v166, -v19 :: v_dual_add_f32 v7, v7, v45
	s_set_vgpr_msb 64                       ;  msbs: dst=1 src0=0 src1=0 src2=0
	v_dual_mul_f32 v9 /*v265*/, v250, v171 :: v_dual_mul_f32 v11 /*v267*/, v252, v173
	s_set_vgpr_msb 0                        ;  msbs: dst=0 src0=0 src1=0 src2=0
	v_dual_add_f32 v9, v9, v13 :: v_dual_fma_f32 v13, v248, v168, -v21
	v_dual_fmac_f32 v49, v249, v168 :: v_dual_add_f32 v7, v7, v47
	v_pk_mul_f32 v[126:127], v[190:191], v[174:175] op_sel:[1,1] op_sel_hi:[0,1]
	s_delay_alu instid0(VALU_DEP_3)
	v_add_f32_e32 v9, v9, v15
	s_set_vgpr_msb 64                       ;  msbs: dst=1 src0=0 src1=0 src2=0
	v_dual_fmac_f32 v9 /*v265*/, v251, v170 :: v_dual_fmac_f32 v11 /*v267*/, v253, v172
	v_fma_f32 v8 /*v264*/, v250, v170, -v23
	s_set_vgpr_msb 0                        ;  msbs: dst=0 src0=0 src1=0 src2=0
	v_add_f32_e32 v135, v7, v49
	v_add_f32_e32 v134, v9, v13
	s_set_vgpr_msb 64                       ;  msbs: dst=1 src0=0 src1=0 src2=0
	v_fma_f32 v10 /*v266*/, v252, v172, -v11
	s_set_vgpr_msb 0                        ;  msbs: dst=0 src0=0 src1=0 src2=0
	v_pk_fma_f32 v[136:137], v[190:191], v[174:175], v[126:127] op_sel_hi:[1,0,1]
	s_set_vgpr_msb 1                        ;  msbs: dst=0 src0=1 src1=0 src2=0
	v_pk_mul_f32 v[128:129], v[0:1] /*v[256:257]*/, v[128:129] op_sel_hi:[1,0]
	s_set_vgpr_msb 0                        ;  msbs: dst=0 src0=0 src1=0 src2=0
	v_pk_fma_f32 v[126:127], v[190:191], v[174:175], v[126:127] neg_lo:[0,0,1] neg_hi:[0,0,1]
	s_set_vgpr_msb 4                        ;  msbs: dst=0 src0=0 src1=1 src2=0
	v_pk_add_f32 v[134:135], v[134:135], v[8:9] /*v[264:265]*/
	s_wait_loadcnt 0x3
	s_set_vgpr_msb 0                        ;  msbs: dst=0 src0=0 src1=0 src2=0
	v_pk_mul_f32 v[130:131], v[194:195], v[178:179] op_sel:[1,1] op_sel_hi:[0,1]
	v_dual_mov_b32 v132, v181 :: v_dual_mov_b32 v127, v137
	v_pk_fma_f32 v[136:137], v[192:193], v[176:177], v[128:129] op_sel_hi:[1,0,1]
	s_set_vgpr_msb 4                        ;  msbs: dst=0 src0=0 src1=1 src2=0
	v_pk_add_f32 v[134:135], v[134:135], v[10:11] /*v[266:267]*/
	s_set_vgpr_msb 0                        ;  msbs: dst=0 src0=0 src1=0 src2=0
	v_pk_fma_f32 v[128:129], v[192:193], v[176:177], v[128:129] neg_lo:[0,0,1] neg_hi:[0,0,1]
	v_pk_fma_f32 v[140:141], v[194:195], v[178:179], v[130:131] op_sel_hi:[1,0,1]
	s_set_vgpr_msb 1                        ;  msbs: dst=0 src0=1 src1=0 src2=0
	v_pk_mul_f32 v[132:133], v[2:3] /*v[258:259]*/, v[132:133] op_sel_hi:[1,0]
	s_set_vgpr_msb 0                        ;  msbs: dst=0 src0=0 src1=0 src2=0
	v_mov_b32_e32 v129, v137
	v_pk_add_f32 v[126:127], v[134:135], v[126:127]
	s_wait_loadcnt 0x2
	v_pk_mul_f32 v[138:139], v[198:199], v[182:183] op_sel:[1,1] op_sel_hi:[0,1]
	v_mov_b32_e32 v134, v185
	v_pk_fma_f32 v[130:131], v[194:195], v[178:179], v[130:131] neg_lo:[0,0,1] neg_hi:[0,0,1]
	v_pk_fma_f32 v[136:137], v[196:197], v[180:181], v[132:133] op_sel_hi:[1,0,1]
	v_mov_b32_e32 v131, v141
	v_pk_add_f32 v[126:127], v[126:127], v[128:129]
	v_pk_fma_f32 v[128:129], v[198:199], v[182:183], v[138:139] op_sel_hi:[1,0,1]
	s_set_vgpr_msb 1                        ;  msbs: dst=0 src0=1 src1=0 src2=0
	v_pk_mul_f32 v[134:135], v[4:5] /*v[260:261]*/, v[134:135] op_sel_hi:[1,0]
	s_set_vgpr_msb 0                        ;  msbs: dst=0 src0=0 src1=0 src2=0
	v_pk_fma_f32 v[132:133], v[196:197], v[180:181], v[132:133] neg_lo:[0,0,1] neg_hi:[0,0,1]
	v_mov_b32_e32 v133, v137
	v_pk_add_f32 v[126:127], v[126:127], v[130:131]
	v_pk_fma_f32 v[136:137], v[198:199], v[182:183], v[138:139] neg_lo:[0,0,1] neg_hi:[0,0,1]
	v_mov_b32_e32 v137, v129
	v_pk_fma_f32 v[128:129], v[200:201], v[184:185], v[134:135] op_sel_hi:[1,0,1]
	s_wait_loadcnt 0x1
	v_pk_mul_f32 v[130:131], v[202:203], v[186:187] op_sel:[1,1] op_sel_hi:[0,1]
	v_pk_add_f32 v[126:127], v[126:127], v[132:133]
	v_mov_b32_e32 v128, v189
	v_pk_fma_f32 v[134:135], v[200:201], v[184:185], v[134:135] neg_lo:[0,0,1] neg_hi:[0,0,1]
	s_delay_alu instid0(VALU_DEP_4)
	v_pk_fma_f32 v[132:133], v[202:203], v[186:187], v[130:131] op_sel_hi:[1,0,1]
	v_mov_b32_e32 v135, v129
	v_pk_add_f32 v[126:127], v[126:127], v[136:137]
	s_set_vgpr_msb 1                        ;  msbs: dst=0 src0=1 src1=0 src2=0
	v_pk_mul_f32 v[128:129], v[6:7] /*v[262:263]*/, v[128:129] op_sel_hi:[1,0]
	s_set_vgpr_msb 0                        ;  msbs: dst=0 src0=0 src1=0 src2=0
	v_pk_fma_f32 v[130:131], v[202:203], v[186:187], v[130:131] neg_lo:[0,0,1] neg_hi:[0,0,1]
	v_mov_b32_e32 v131, v133
	v_pk_add_f32 v[126:127], v[126:127], v[134:135]
	v_pk_fma_f32 v[132:133], v[204:205], v[188:189], v[128:129] op_sel_hi:[1,0,1]
	v_pk_fma_f32 v[128:129], v[204:205], v[188:189], v[128:129] neg_lo:[0,0,1] neg_hi:[0,0,1]
	s_delay_alu instid0(VALU_DEP_3) | instskip(NEXT) | instid1(VALU_DEP_3)
	v_pk_add_f32 v[126:127], v[126:127], v[130:131]
	v_mov_b32_e32 v129, v133
	s_delay_alu instid0(VALU_DEP_1) | instskip(SKIP_1) | instid1(VALU_DEP_1)
	v_pk_add_f32 v[126:127], v[126:127], v[128:129]
	s_wait_loadcnt 0x0
	v_pk_add_f32 v[126:127], v[254:255], v[126:127] neg_lo:[0,1] neg_hi:[0,1]
	scratch_store_b64 off, v[126:127], off offset:232
	s_wait_xcnt 0x0
	v_cmpx_lt_u32_e32 28, v0
	s_cbranch_execz .LBB125_329
; %bb.328:
	scratch_load_b64 v[126:127], off, off offset:224
	v_mov_b64_e32 v[128:129], 0
	scratch_store_b64 off, v[128:129], off offset:224
	s_wait_loadcnt 0x0
	ds_store_b64 v1, v[126:127]
.LBB125_329:
	s_wait_xcnt 0x0
	s_or_b32 exec_lo, exec_lo, s0
	s_wait_storecnt_dscnt 0x0
	s_barrier_signal -1
	s_barrier_wait -1
	s_clause 0x12
	scratch_load_b128 v[126:129], off, off offset:232
	scratch_load_b128 v[130:133], off, off offset:248
	;; [unrolled: 1-line block ×16, first 2 shown]
	scratch_load_b64 v[254:255], off, off offset:488
	s_set_vgpr_msb 64                       ;  msbs: dst=1 src0=0 src1=0 src2=0
	scratch_load_b64 v[0:1] /*v[256:257]*/, off, off offset:224
	s_set_vgpr_msb 0                        ;  msbs: dst=0 src0=0 src1=0 src2=0
	v_mov_b32_e32 v7, 0
	ds_load_2addr_b64 v[190:193], v7 offset0:115 offset1:116
	ds_load_2addr_b64 v[194:197], v7 offset0:117 offset1:118
	;; [unrolled: 1-line block ×16, first 2 shown]
	s_set_vgpr_msb 64                       ;  msbs: dst=1 src0=0 src1=0 src2=0
	ds_load_b64 v[2:3] /*v[258:259]*/, v7 offset:984
	s_mov_b32 s0, exec_lo
	s_wait_dscnt 0x10
	v_dual_mov_b32 v4 /*v260*/, v193 :: v_dual_mov_b32 v5 /*v261*/, v192
	s_wait_dscnt 0xf
	v_dual_mov_b32 v6 /*v262*/, v197 :: v_dual_mov_b32 v7 /*v263*/, v196
	s_wait_dscnt 0xe
	v_dual_mov_b32 v8 /*v264*/, v201 :: v_dual_mov_b32 v9 /*v265*/, v200
	s_wait_dscnt 0xd
	v_dual_mov_b32 v10 /*v266*/, v205 :: v_dual_mov_b32 v11 /*v267*/, v204
	s_wait_loadcnt_dscnt 0x110c
	s_set_vgpr_msb 0                        ;  msbs: dst=0 src0=0 src1=0 src2=0
	v_dual_mul_f32 v9, v206, v127 :: v_dual_mul_f32 v55, v207, v127
	v_dual_mul_f32 v57, v209, v129 :: v_dual_mul_f32 v11, v208, v129
	s_wait_loadcnt_dscnt 0x100b
	v_mul_f32_e32 v13, v210, v131
	s_wait_loadcnt_dscnt 0xe09
	v_dual_mul_f32 v67, v219, v139 :: v_dual_fma_f32 v55, v206, v126, -v55
	v_dual_fmac_f32 v9, v207, v126 :: v_dual_mul_f32 v69, v221, v141
	v_dual_mul_f32 v59, v211, v131 :: v_dual_mul_f32 v61, v213, v133
	v_dual_fmac_f32 v11, v209, v128 :: v_dual_fma_f32 v57, v208, v128, -v57
	s_delay_alu instid0(VALU_DEP_3) | instskip(SKIP_3) | instid1(VALU_DEP_3)
	v_dual_add_f32 v9, 0, v9 :: v_dual_add_f32 v55, 0, v55
	v_dual_mul_f32 v15, v212, v133 :: v_dual_mul_f32 v17, v214, v135
	s_wait_loadcnt_dscnt 0xd08
	v_dual_mul_f32 v71, v223, v143 :: v_dual_fma_f32 v59, v210, v130, -v59
	v_dual_fmac_f32 v13, v211, v130 :: v_dual_add_f32 v9, v9, v11
	s_delay_alu instid0(VALU_DEP_3) | instskip(SKIP_2) | instid1(VALU_DEP_3)
	v_dual_add_f32 v11, v55, v57 :: v_dual_fmac_f32 v15, v213, v132
	v_dual_mul_f32 v63, v215, v135 :: v_dual_mul_f32 v65, v217, v137
	v_dual_mul_f32 v55, v225, v145 :: v_dual_fma_f32 v57, v212, v132, -v61
	v_dual_add_f32 v9, v9, v13 :: v_dual_add_f32 v11, v11, v59
	v_dual_mul_f32 v19, v216, v137 :: v_dual_mul_f32 v21, v218, v139
	s_wait_loadcnt_dscnt 0xc07
	v_dual_mul_f32 v13, v227, v147 :: v_dual_fma_f32 v59, v214, v134, -v63
	s_delay_alu instid0(VALU_DEP_3) | instskip(NEXT) | instid1(VALU_DEP_3)
	v_dual_fmac_f32 v17, v215, v134 :: v_dual_add_f32 v9, v9, v15
	v_dual_add_f32 v11, v11, v57 :: v_dual_fmac_f32 v19, v217, v136
	v_dual_mul_f32 v15, v229, v149 :: v_dual_fma_f32 v57, v216, v136, -v65
	s_delay_alu instid0(VALU_DEP_2) | instskip(SKIP_3) | instid1(VALU_DEP_3)
	v_dual_add_f32 v9, v9, v17 :: v_dual_add_f32 v11, v11, v59
	v_dual_mul_f32 v23, v220, v141 :: v_dual_mul_f32 v25, v222, v143
	s_wait_loadcnt_dscnt 0xb06
	v_dual_mul_f32 v17, v231, v151 :: v_dual_fma_f32 v59, v218, v138, -v67
	v_dual_fmac_f32 v21, v219, v138 :: v_dual_add_f32 v9, v9, v19
	s_delay_alu instid0(VALU_DEP_3) | instskip(SKIP_1) | instid1(VALU_DEP_2)
	v_dual_add_f32 v11, v11, v57 :: v_dual_fmac_f32 v23, v221, v140
	v_dual_mul_f32 v19, v233, v153 :: v_dual_fma_f32 v57, v220, v140, -v69
	v_dual_add_f32 v9, v9, v21 :: v_dual_add_f32 v11, v11, v59
	v_dual_mul_f32 v27, v224, v145 :: v_dual_mul_f32 v29, v226, v147
	s_wait_loadcnt_dscnt 0xa05
	v_dual_mul_f32 v21, v235, v155 :: v_dual_fma_f32 v59, v222, v142, -v71
	s_delay_alu instid0(VALU_DEP_3) | instskip(NEXT) | instid1(VALU_DEP_3)
	v_dual_fmac_f32 v25, v223, v142 :: v_dual_add_f32 v9, v9, v23
	v_dual_add_f32 v11, v11, v57 :: v_dual_fmac_f32 v27, v225, v144
	v_dual_mul_f32 v23, v237, v157 :: v_dual_fma_f32 v55, v224, v144, -v55
	s_delay_alu instid0(VALU_DEP_2) | instskip(SKIP_3) | instid1(VALU_DEP_3)
	v_dual_add_f32 v9, v9, v25 :: v_dual_add_f32 v11, v11, v59
	v_dual_mul_f32 v31, v228, v149 :: v_dual_mul_f32 v33, v230, v151
	s_wait_loadcnt_dscnt 0x904
	v_dual_mul_f32 v25, v239, v159 :: v_dual_fma_f32 v13, v226, v146, -v13
	v_dual_fmac_f32 v29, v227, v146 :: v_dual_add_f32 v9, v9, v27
	v_dual_add_f32 v11, v11, v55 :: v_dual_mul_f32 v27, v241, v161
	v_fmac_f32_e32 v31, v229, v148
	s_delay_alu instid0(VALU_DEP_3) | instskip(NEXT) | instid1(VALU_DEP_3)
	v_dual_fma_f32 v15, v228, v148, -v15 :: v_dual_add_f32 v9, v9, v29
	v_add_f32_e32 v11, v11, v13
	v_dual_mul_f32 v35, v232, v153 :: v_dual_mul_f32 v37, v234, v155
	s_wait_loadcnt_dscnt 0x803
	v_dual_mul_f32 v13, v243, v163 :: v_dual_fma_f32 v17, v230, v150, -v17
	v_dual_fmac_f32 v33, v231, v150 :: v_dual_add_f32 v9, v9, v31
	v_dual_add_f32 v11, v11, v15 :: v_dual_mul_f32 v15, v245, v165
	v_fmac_f32_e32 v35, v233, v152
	s_delay_alu instid0(VALU_DEP_3) | instskip(NEXT) | instid1(VALU_DEP_3)
	v_dual_fma_f32 v19, v232, v152, -v19 :: v_dual_add_f32 v9, v9, v33
	v_add_f32_e32 v11, v11, v17
	;; [unrolled: 9-line block ×4, first 2 shown]
	v_dual_mul_f32 v47, v244, v165 :: v_dual_mul_f32 v49, v246, v167
	s_wait_loadcnt 0x5
	v_dual_mul_f32 v25, v191, v175 :: v_dual_fma_f32 v13, v242, v162, -v13
	v_dual_fmac_f32 v45, v243, v162 :: v_dual_add_f32 v9, v9, v43
	v_dual_add_f32 v11, v11, v27 :: v_dual_mov_b32 v126, v177
	v_fmac_f32_e32 v47, v245, v164
	s_delay_alu instid0(VALU_DEP_3) | instskip(NEXT) | instid1(VALU_DEP_3)
	v_dual_fma_f32 v15, v244, v164, -v15 :: v_dual_add_f32 v9, v9, v45
	v_add_f32_e32 v11, v11, v13
	v_dual_mul_f32 v51, v248, v169 :: v_dual_mul_f32 v53, v250, v171
	s_delay_alu instid0(VALU_DEP_3) | instskip(NEXT) | instid1(VALU_DEP_3)
	v_dual_fmac_f32 v49, v247, v166 :: v_dual_add_f32 v9, v9, v47
	v_dual_fma_f32 v13, v246, v166, -v17 :: v_dual_add_f32 v11, v11, v15
	s_wait_loadcnt 0x4
	v_dual_mov_b32 v130, v181 :: v_dual_fma_f32 v15, v248, v168, -v19
	v_fmac_f32_e32 v51, v249, v168
	v_dual_add_f32 v9, v9, v49 :: v_dual_fmac_f32 v53, v251, v170
	v_add_f32_e32 v11, v11, v13
	s_set_vgpr_msb 64                       ;  msbs: dst=1 src0=0 src1=0 src2=0
	v_dual_mul_f32 v13 /*v269*/, v252, v173 :: v_dual_mul_f32 v15 /*v271*/, v190, v175
	s_set_vgpr_msb 0                        ;  msbs: dst=0 src0=0 src1=0 src2=0
	v_dual_fma_f32 v13, v250, v170, -v21 :: v_dual_add_f32 v9, v9, v51
	v_add_f32_e32 v11, v11, v15
	s_set_vgpr_msb 64                       ;  msbs: dst=1 src0=0 src1=0 src2=0
	v_dual_fmac_f32 v13 /*v269*/, v253, v172 :: v_dual_fmac_f32 v15 /*v271*/, v191, v174
	v_dual_fma_f32 v12 /*v268*/, v252, v172, -v23 :: v_dual_fma_f32 v14 /*v270*/, v190, v174, -v25
	s_set_vgpr_msb 1                        ;  msbs: dst=0 src0=1 src1=0 src2=0
	v_pk_mul_f32 v[126:127], v[4:5] /*v[260:261]*/, v[126:127] op_sel_hi:[1,0]
	s_set_vgpr_msb 0                        ;  msbs: dst=0 src0=0 src1=0 src2=0
	v_add_f32_e32 v135, v9, v53
	s_wait_loadcnt 0x3
	v_dual_add_f32 v134, v11, v13 :: v_dual_mov_b32 v136, v185
	v_pk_mul_f32 v[128:129], v[194:195], v[178:179] op_sel:[1,1] op_sel_hi:[0,1]
	v_pk_fma_f32 v[138:139], v[192:193], v[176:177], v[126:127] op_sel_hi:[1,0,1]
	v_pk_fma_f32 v[126:127], v[192:193], v[176:177], v[126:127] neg_lo:[0,0,1] neg_hi:[0,0,1]
	s_set_vgpr_msb 4                        ;  msbs: dst=0 src0=0 src1=1 src2=0
	v_pk_add_f32 v[134:135], v[134:135], v[12:13] /*v[268:269]*/
	s_set_vgpr_msb 1                        ;  msbs: dst=0 src0=1 src1=0 src2=0
	v_pk_mul_f32 v[130:131], v[6:7] /*v[262:263]*/, v[130:131] op_sel_hi:[1,0]
	s_set_vgpr_msb 0                        ;  msbs: dst=0 src0=0 src1=0 src2=0
	v_pk_fma_f32 v[140:141], v[194:195], v[178:179], v[128:129] op_sel_hi:[1,0,1]
	v_mov_b32_e32 v127, v139
	v_pk_fma_f32 v[128:129], v[194:195], v[178:179], v[128:129] neg_lo:[0,0,1] neg_hi:[0,0,1]
	s_set_vgpr_msb 4                        ;  msbs: dst=0 src0=0 src1=1 src2=0
	v_pk_add_f32 v[134:135], v[134:135], v[14:15] /*v[270:271]*/
	s_set_vgpr_msb 0                        ;  msbs: dst=0 src0=0 src1=0 src2=0
	v_pk_mul_f32 v[132:133], v[198:199], v[182:183] op_sel:[1,1] op_sel_hi:[0,1]
	v_mov_b32_e32 v129, v141
	v_pk_fma_f32 v[140:141], v[196:197], v[180:181], v[130:131] op_sel_hi:[1,0,1]
	v_pk_fma_f32 v[130:131], v[196:197], v[180:181], v[130:131] neg_lo:[0,0,1] neg_hi:[0,0,1]
	v_pk_add_f32 v[126:127], v[134:135], v[126:127]
	v_pk_fma_f32 v[134:135], v[198:199], v[182:183], v[132:133] op_sel_hi:[1,0,1]
	s_set_vgpr_msb 1                        ;  msbs: dst=0 src0=1 src1=0 src2=0
	v_pk_mul_f32 v[136:137], v[8:9] /*v[264:265]*/, v[136:137] op_sel_hi:[1,0]
	s_set_vgpr_msb 0                        ;  msbs: dst=0 src0=0 src1=0 src2=0
	v_mov_b32_e32 v131, v141
	v_pk_fma_f32 v[132:133], v[198:199], v[182:183], v[132:133] neg_lo:[0,0,1] neg_hi:[0,0,1]
	v_pk_add_f32 v[126:127], v[126:127], v[128:129]
	s_wait_loadcnt 0x2
	v_pk_mul_f32 v[138:139], v[202:203], v[186:187] op_sel:[1,1] op_sel_hi:[0,1]
	v_dual_mov_b32 v128, v189 :: v_dual_mov_b32 v133, v135
	v_pk_fma_f32 v[134:135], v[200:201], v[184:185], v[136:137] op_sel_hi:[1,0,1]
	v_pk_add_f32 v[126:127], v[126:127], v[130:131]
	v_pk_fma_f32 v[136:137], v[200:201], v[184:185], v[136:137] neg_lo:[0,0,1] neg_hi:[0,0,1]
	v_pk_fma_f32 v[130:131], v[202:203], v[186:187], v[138:139] op_sel_hi:[1,0,1]
	s_set_vgpr_msb 1                        ;  msbs: dst=0 src0=1 src1=0 src2=0
	v_pk_mul_f32 v[128:129], v[10:11] /*v[266:267]*/, v[128:129] op_sel_hi:[1,0]
	s_set_vgpr_msb 0                        ;  msbs: dst=0 src0=0 src1=0 src2=0
	v_mov_b32_e32 v137, v135
	v_pk_add_f32 v[126:127], v[126:127], v[132:133]
	v_pk_fma_f32 v[132:133], v[202:203], v[186:187], v[138:139] neg_lo:[0,0,1] neg_hi:[0,0,1]
	v_mov_b32_e32 v133, v131
	v_pk_fma_f32 v[130:131], v[204:205], v[188:189], v[128:129] op_sel_hi:[1,0,1]
	s_wait_loadcnt_dscnt 0x100
	s_set_vgpr_msb 1                        ;  msbs: dst=0 src0=1 src1=0 src2=0
	v_pk_mul_f32 v[134:135], v[2:3] /*v[258:259]*/, v[254:255] op_sel:[1,1] op_sel_hi:[0,1]
	s_set_vgpr_msb 0                        ;  msbs: dst=0 src0=0 src1=0 src2=0
	v_pk_add_f32 v[126:127], v[126:127], v[136:137]
	v_pk_fma_f32 v[128:129], v[204:205], v[188:189], v[128:129] neg_lo:[0,0,1] neg_hi:[0,0,1]
	v_mov_b32_e32 v129, v131
	s_set_vgpr_msb 1                        ;  msbs: dst=0 src0=1 src1=0 src2=0
	v_pk_fma_f32 v[130:131], v[2:3] /*v[258:259]*/, v[254:255], v[134:135] op_sel_hi:[1,0,1]
	s_set_vgpr_msb 0                        ;  msbs: dst=0 src0=0 src1=0 src2=0
	v_pk_add_f32 v[126:127], v[126:127], v[132:133]
	s_set_vgpr_msb 1                        ;  msbs: dst=0 src0=1 src1=0 src2=0
	v_pk_fma_f32 v[132:133], v[2:3] /*v[258:259]*/, v[254:255], v[134:135] neg_lo:[0,0,1] neg_hi:[0,0,1]
	s_set_vgpr_msb 0                        ;  msbs: dst=0 src0=0 src1=0 src2=0
	v_mov_b32_e32 v133, v131
	v_pk_add_f32 v[126:127], v[126:127], v[128:129]
	s_delay_alu instid0(VALU_DEP_1) | instskip(SKIP_2) | instid1(VALU_DEP_1)
	v_pk_add_f32 v[126:127], v[126:127], v[132:133]
	s_wait_loadcnt 0x0
	s_set_vgpr_msb 1                        ;  msbs: dst=0 src0=1 src1=0 src2=0
	v_pk_add_f32 v[126:127], v[0:1] /*v[256:257]*/, v[126:127] neg_lo:[0,1] neg_hi:[0,1]
	scratch_store_b64 off, v[126:127], off offset:224
	s_wait_xcnt 0x0
	v_cmpx_lt_u32_e32 27, v0
	s_set_vgpr_msb 0                        ;  msbs: dst=0 src0=0 src1=0 src2=0
	s_cbranch_execz .LBB125_331
; %bb.330:
	scratch_load_b64 v[126:127], off, off offset:216
	v_mov_b64_e32 v[128:129], 0
	scratch_store_b64 off, v[128:129], off offset:216
	s_wait_loadcnt 0x0
	ds_store_b64 v1, v[126:127]
.LBB125_331:
	s_wait_xcnt 0x0
	s_or_b32 exec_lo, exec_lo, s0
	s_wait_storecnt_dscnt 0x0
	s_barrier_signal -1
	s_barrier_wait -1
	s_clause 0x12
	scratch_load_b128 v[126:129], off, off offset:224
	scratch_load_b128 v[130:133], off, off offset:240
	;; [unrolled: 1-line block ×17, first 2 shown]
	s_set_vgpr_msb 64                       ;  msbs: dst=1 src0=0 src1=0 src2=0
	scratch_load_b64 v[6:7] /*v[262:263]*/, off, off offset:216
	s_set_vgpr_msb 0                        ;  msbs: dst=0 src0=0 src1=0 src2=0
	ds_load_b128 v[194:197], v7 offset:928
	ds_load_b128 v[198:201], v7 offset:944
	;; [unrolled: 1-line block ×16, first 2 shown]
	s_set_vgpr_msb 64                       ;  msbs: dst=1 src0=0 src1=0 src2=0
	ds_load_b128 v[2:5] /*v[258:261]*/, v7 offset:896
	s_mov_b32 s0, exec_lo
	s_wait_dscnt 0x10
	v_dual_mov_b32 v8 /*v264*/, v197 :: v_dual_mov_b32 v9 /*v265*/, v196
	s_wait_dscnt 0xf
	v_dual_mov_b32 v10 /*v266*/, v201 :: v_dual_mov_b32 v11 /*v267*/, v200
	s_wait_dscnt 0xe
	v_dual_mov_b32 v12 /*v268*/, v205 :: v_dual_mov_b32 v13 /*v269*/, v204
	s_wait_dscnt 0xd
	v_dual_mov_b32 v14 /*v270*/, v209 :: v_dual_mov_b32 v15 /*v271*/, v208
	s_wait_loadcnt_dscnt 0x110b
	s_set_vgpr_msb 0                        ;  msbs: dst=0 src0=0 src1=0 src2=0
	v_dual_mul_f32 v7, v214, v127 :: v_dual_mul_f32 v9, v216, v129
	s_wait_loadcnt_dscnt 0x100a
	v_dual_mul_f32 v55, v215, v127 :: v_dual_mul_f32 v61, v221, v133
	s_wait_loadcnt_dscnt 0xf09
	v_mul_f32_e32 v63, v223, v135
	v_dual_fmac_f32 v7, v215, v126 :: v_dual_fmac_f32 v9, v217, v128
	s_delay_alu instid0(VALU_DEP_3)
	v_dual_mul_f32 v57, v217, v129 :: v_dual_fma_f32 v55, v214, v126, -v55
	v_dual_mul_f32 v11, v218, v131 :: v_dual_mul_f32 v13, v220, v133
	s_wait_loadcnt_dscnt 0x701
	v_mul_f32_e32 v47, v254, v167
	s_wait_loadcnt_dscnt 0x600
	s_set_vgpr_msb 1                        ;  msbs: dst=0 src0=1 src1=0 src2=0
	v_dual_mul_f32 v53, v4 /*v260*/, v173 :: v_dual_add_f32 v7, 0, v7
	s_set_vgpr_msb 0                        ;  msbs: dst=0 src0=0 src1=0 src2=0
	v_dual_mul_f32 v59, v219, v131 :: v_dual_mul_f32 v65, v225, v137
	v_dual_mul_f32 v67, v227, v139 :: v_dual_fma_f32 v57, v216, v128, -v57
	v_dual_add_f32 v55, 0, v55 :: v_dual_mul_f32 v69, v229, v141
	v_dual_fmac_f32 v11, v219, v130 :: v_dual_fmac_f32 v13, v221, v132
	s_delay_alu instid0(VALU_DEP_4) | instskip(NEXT) | instid1(VALU_DEP_3)
	v_dual_fma_f32 v59, v218, v130, -v59 :: v_dual_add_f32 v7, v7, v9
	v_dual_add_f32 v9, v55, v57 :: v_dual_fma_f32 v57, v220, v132, -v61
	v_dual_mul_f32 v15, v222, v135 :: v_dual_mul_f32 v17, v224, v137
	s_delay_alu instid0(VALU_DEP_3) | instskip(NEXT) | instid1(VALU_DEP_3)
	v_add_f32_e32 v7, v7, v11
	v_dual_add_f32 v9, v9, v59 :: v_dual_fma_f32 v59, v222, v134, -v63
	s_delay_alu instid0(VALU_DEP_3) | instskip(SKIP_1) | instid1(VALU_DEP_4)
	v_dual_fmac_f32 v15, v223, v134 :: v_dual_mul_f32 v19, v226, v139
	v_mul_f32_e32 v21, v228, v141
	v_dual_add_f32 v7, v7, v13 :: v_dual_fmac_f32 v17, v225, v136
	s_delay_alu instid0(VALU_DEP_4) | instskip(NEXT) | instid1(VALU_DEP_2)
	v_dual_add_f32 v9, v9, v57 :: v_dual_mul_f32 v13, v235, v147
	v_dual_fma_f32 v57, v224, v136, -v65 :: v_dual_add_f32 v7, v7, v15
	v_mul_f32_e32 v15, v237, v149
	s_delay_alu instid0(VALU_DEP_3) | instskip(NEXT) | instid1(VALU_DEP_3)
	v_dual_add_f32 v9, v9, v59 :: v_dual_fmac_f32 v19, v227, v138
	v_dual_fma_f32 v59, v226, v138, -v67 :: v_dual_add_f32 v7, v7, v17
	v_fmac_f32_e32 v21, v229, v140
	s_delay_alu instid0(VALU_DEP_3) | instskip(SKIP_3) | instid1(VALU_DEP_3)
	v_dual_add_f32 v9, v9, v57 :: v_dual_mul_f32 v17, v239, v151
	v_dual_mul_f32 v23, v230, v143 :: v_dual_mul_f32 v25, v232, v145
	v_dual_mul_f32 v55, v231, v143 :: v_dual_mul_f32 v11, v233, v145
	v_dual_fma_f32 v57, v228, v140, -v69 :: v_dual_add_f32 v7, v7, v19
	v_dual_add_f32 v9, v9, v59 :: v_dual_fmac_f32 v23, v231, v142
	s_delay_alu instid0(VALU_DEP_3) | instskip(NEXT) | instid1(VALU_DEP_3)
	v_dual_mul_f32 v19, v241, v153 :: v_dual_fma_f32 v55, v230, v142, -v55
	v_dual_add_f32 v7, v7, v21 :: v_dual_fmac_f32 v25, v233, v144
	s_delay_alu instid0(VALU_DEP_3) | instskip(SKIP_1) | instid1(VALU_DEP_3)
	v_dual_add_f32 v9, v9, v57 :: v_dual_mul_f32 v21, v243, v155
	v_dual_mul_f32 v27, v234, v147 :: v_dual_mul_f32 v29, v236, v149
	v_dual_fma_f32 v11, v232, v144, -v11 :: v_dual_add_f32 v7, v7, v23
	s_delay_alu instid0(VALU_DEP_2) | instskip(SKIP_1) | instid1(VALU_DEP_2)
	v_dual_add_f32 v9, v9, v55 :: v_dual_fmac_f32 v27, v235, v146
	v_dual_mul_f32 v23, v245, v157 :: v_dual_fma_f32 v13, v234, v146, -v13
	v_dual_add_f32 v7, v7, v25 :: v_dual_add_f32 v9, v9, v11
	v_dual_mul_f32 v31, v238, v151 :: v_dual_mul_f32 v33, v240, v153
	v_dual_mul_f32 v11, v247, v159 :: v_dual_fmac_f32 v29, v237, v148
	s_delay_alu instid0(VALU_DEP_3) | instskip(NEXT) | instid1(VALU_DEP_3)
	v_dual_fma_f32 v15, v236, v148, -v15 :: v_dual_add_f32 v7, v7, v27
	v_dual_add_f32 v9, v9, v13 :: v_dual_fmac_f32 v31, v239, v150
	v_dual_mul_f32 v13, v249, v161 :: v_dual_fma_f32 v17, v238, v150, -v17
	s_delay_alu instid0(VALU_DEP_2) | instskip(SKIP_2) | instid1(VALU_DEP_3)
	v_dual_add_f32 v7, v7, v29 :: v_dual_add_f32 v9, v9, v15
	v_dual_mul_f32 v35, v242, v155 :: v_dual_mul_f32 v37, v244, v157
	v_dual_mul_f32 v15, v251, v163 :: v_dual_fmac_f32 v33, v241, v152
	v_dual_fma_f32 v19, v240, v152, -v19 :: v_dual_add_f32 v7, v7, v31
	s_delay_alu instid0(VALU_DEP_3) | instskip(SKIP_1) | instid1(VALU_DEP_2)
	v_dual_add_f32 v9, v9, v17 :: v_dual_fmac_f32 v35, v243, v154
	v_dual_mul_f32 v17, v253, v165 :: v_dual_fma_f32 v21, v242, v154, -v21
	v_dual_add_f32 v7, v7, v33 :: v_dual_add_f32 v9, v9, v19
	v_dual_mul_f32 v39, v246, v159 :: v_dual_mul_f32 v41, v248, v161
	v_dual_mul_f32 v19, v255, v167 :: v_dual_fmac_f32 v37, v245, v156
	s_delay_alu instid0(VALU_DEP_3) | instskip(NEXT) | instid1(VALU_DEP_3)
	v_dual_fma_f32 v23, v244, v156, -v23 :: v_dual_add_f32 v7, v7, v35
	v_dual_add_f32 v9, v9, v21 :: v_dual_fmac_f32 v39, v247, v158
	v_fma_f32 v11, v246, v158, -v11
	v_dual_mul_f32 v43, v250, v163 :: v_dual_mul_f32 v45, v252, v165
	s_delay_alu instid0(VALU_DEP_3) | instskip(SKIP_1) | instid1(VALU_DEP_3)
	v_dual_add_f32 v7, v7, v37 :: v_dual_add_f32 v9, v9, v23
	v_fma_f32 v13, v248, v160, -v13
	v_dual_fmac_f32 v41, v249, v160 :: v_dual_fmac_f32 v43, v251, v162
	s_delay_alu instid0(VALU_DEP_3) | instskip(NEXT) | instid1(VALU_DEP_4)
	v_add_f32_e32 v7, v7, v39
	v_dual_add_f32 v9, v9, v11 :: v_dual_fma_f32 v15, v250, v162, -v15
	s_set_vgpr_msb 1                        ;  msbs: dst=0 src0=1 src1=0 src2=0
	v_dual_mul_f32 v49, v0 /*v256*/, v169 :: v_dual_mul_f32 v51, v2 /*v258*/, v171
	s_set_vgpr_msb 0                        ;  msbs: dst=0 src0=0 src1=0 src2=0
	v_add_f32_e32 v7, v7, v41
	s_wait_loadcnt 0x5
	v_dual_add_f32 v9, v9, v13 :: v_dual_mul_f32 v13, v211, v175
	v_fmac_f32_e32 v45, v253, v164
	s_delay_alu instid0(VALU_DEP_3) | instskip(NEXT) | instid1(VALU_DEP_3)
	v_dual_fma_f32 v17, v252, v164, -v17 :: v_dual_add_f32 v7, v7, v43
	v_add_f32_e32 v9, v9, v15
	s_set_vgpr_msb 1                        ;  msbs: dst=0 src0=1 src1=0 src2=0
	v_dual_mul_f32 v21, v1 /*v257*/, v169 :: v_dual_mul_f32 v23, v3 /*v259*/, v171
	s_set_vgpr_msb 0                        ;  msbs: dst=0 src0=0 src1=0 src2=0
	v_dual_mul_f32 v15, v213, v177 :: v_dual_fmac_f32 v47, v255, v166
	v_dual_fma_f32 v19, v254, v166, -v19 :: v_dual_add_f32 v7, v7, v45
	v_add_f32_e32 v9, v9, v17
	s_set_vgpr_msb 1                        ;  msbs: dst=0 src0=1 src1=0 src2=0
	v_dual_mul_f32 v11, v5 /*v261*/, v173 :: v_dual_fma_f32 v17, v0 /*v256*/, v168, -v21
	v_dual_fmac_f32 v49, v1 /*v257*/, v168 :: v_dual_fmac_f32 v51, v3 /*v259*/, v170
	s_set_vgpr_msb 0                        ;  msbs: dst=0 src0=0 src1=0 src2=0
	v_add_f32_e32 v7, v7, v47
	v_add_f32_e32 v9, v9, v19
	s_set_vgpr_msb 1                        ;  msbs: dst=0 src0=1 src1=0 src2=0
	v_dual_fma_f32 v19, v2 /*v258*/, v170, -v23 :: v_dual_fmac_f32 v53, v5 /*v261*/, v172
	s_set_vgpr_msb 64                       ;  msbs: dst=1 src0=0 src1=0 src2=0
	v_dual_mul_f32 v17 /*v273*/, v210, v175 :: v_dual_mul_f32 v19 /*v275*/, v212, v177
	s_set_vgpr_msb 0                        ;  msbs: dst=0 src0=0 src1=0 src2=0
	v_add_f32_e32 v7, v7, v49
	v_add_f32_e32 v9, v9, v17
	s_wait_loadcnt 0x4
	v_mov_b32_e32 v128, v181
	s_set_vgpr_msb 1                        ;  msbs: dst=0 src0=1 src1=0 src2=0
	v_fma_f32 v11, v4 /*v260*/, v172, -v11
	s_set_vgpr_msb 0                        ;  msbs: dst=0 src0=0 src1=0 src2=0
	v_pk_mul_f32 v[126:127], v[194:195], v[178:179] op_sel:[1,1] op_sel_hi:[0,1]
	v_add_f32_e32 v7, v7, v51
	v_add_f32_e32 v9, v9, v19
	s_set_vgpr_msb 64                       ;  msbs: dst=1 src0=0 src1=0 src2=0
	v_dual_fmac_f32 v17 /*v273*/, v211, v174 :: v_dual_fmac_f32 v19 /*v275*/, v213, v176
	v_dual_fma_f32 v16 /*v272*/, v210, v174, -v13 :: v_dual_fma_f32 v18 /*v274*/, v212, v176, -v15
	s_set_vgpr_msb 0                        ;  msbs: dst=0 src0=0 src1=0 src2=0
	v_dual_add_f32 v135, v7, v53 :: v_dual_add_f32 v134, v9, v11
	v_pk_fma_f32 v[136:137], v[194:195], v[178:179], v[126:127] op_sel_hi:[1,0,1]
	s_set_vgpr_msb 1                        ;  msbs: dst=0 src0=1 src1=0 src2=0
	v_pk_mul_f32 v[128:129], v[8:9] /*v[264:265]*/, v[128:129] op_sel_hi:[1,0]
	s_set_vgpr_msb 0                        ;  msbs: dst=0 src0=0 src1=0 src2=0
	v_pk_fma_f32 v[126:127], v[194:195], v[178:179], v[126:127] neg_lo:[0,0,1] neg_hi:[0,0,1]
	s_wait_loadcnt 0x3
	v_pk_mul_f32 v[130:131], v[198:199], v[182:183] op_sel:[1,1] op_sel_hi:[0,1]
	s_set_vgpr_msb 4                        ;  msbs: dst=0 src0=0 src1=1 src2=0
	v_pk_add_f32 v[134:135], v[134:135], v[16:17] /*v[272:273]*/
	v_dual_mov_b32 v132, v185 :: v_dual_mov_b32 v127, v137
	s_set_vgpr_msb 0                        ;  msbs: dst=0 src0=0 src1=0 src2=0
	v_pk_fma_f32 v[136:137], v[196:197], v[180:181], v[128:129] op_sel_hi:[1,0,1]
	v_pk_fma_f32 v[128:129], v[196:197], v[180:181], v[128:129] neg_lo:[0,0,1] neg_hi:[0,0,1]
	s_set_vgpr_msb 4                        ;  msbs: dst=0 src0=0 src1=1 src2=0
	v_pk_add_f32 v[134:135], v[134:135], v[18:19] /*v[274:275]*/
	s_set_vgpr_msb 0                        ;  msbs: dst=0 src0=0 src1=0 src2=0
	v_pk_fma_f32 v[140:141], v[198:199], v[182:183], v[130:131] op_sel_hi:[1,0,1]
	s_set_vgpr_msb 1                        ;  msbs: dst=0 src0=1 src1=0 src2=0
	v_pk_mul_f32 v[132:133], v[10:11] /*v[266:267]*/, v[132:133] op_sel_hi:[1,0]
	s_set_vgpr_msb 0                        ;  msbs: dst=0 src0=0 src1=0 src2=0
	v_mov_b32_e32 v129, v137
	s_wait_loadcnt 0x2
	v_pk_mul_f32 v[138:139], v[202:203], v[186:187] op_sel:[1,1] op_sel_hi:[0,1]
	v_pk_add_f32 v[126:127], v[134:135], v[126:127]
	v_mov_b32_e32 v134, v189
	v_pk_fma_f32 v[130:131], v[198:199], v[182:183], v[130:131] neg_lo:[0,0,1] neg_hi:[0,0,1]
	v_pk_fma_f32 v[136:137], v[200:201], v[184:185], v[132:133] op_sel_hi:[1,0,1]
	v_mov_b32_e32 v131, v141
	v_pk_add_f32 v[126:127], v[126:127], v[128:129]
	v_pk_fma_f32 v[128:129], v[202:203], v[186:187], v[138:139] op_sel_hi:[1,0,1]
	s_set_vgpr_msb 1                        ;  msbs: dst=0 src0=1 src1=0 src2=0
	v_pk_mul_f32 v[134:135], v[12:13] /*v[268:269]*/, v[134:135] op_sel_hi:[1,0]
	s_set_vgpr_msb 0                        ;  msbs: dst=0 src0=0 src1=0 src2=0
	v_pk_fma_f32 v[132:133], v[200:201], v[184:185], v[132:133] neg_lo:[0,0,1] neg_hi:[0,0,1]
	v_mov_b32_e32 v133, v137
	v_pk_add_f32 v[126:127], v[126:127], v[130:131]
	v_pk_fma_f32 v[136:137], v[202:203], v[186:187], v[138:139] neg_lo:[0,0,1] neg_hi:[0,0,1]
	v_mov_b32_e32 v137, v129
	v_pk_fma_f32 v[128:129], v[204:205], v[188:189], v[134:135] op_sel_hi:[1,0,1]
	s_wait_loadcnt 0x1
	v_pk_mul_f32 v[130:131], v[206:207], v[190:191] op_sel:[1,1] op_sel_hi:[0,1]
	v_pk_add_f32 v[126:127], v[126:127], v[132:133]
	v_mov_b32_e32 v128, v193
	v_pk_fma_f32 v[134:135], v[204:205], v[188:189], v[134:135] neg_lo:[0,0,1] neg_hi:[0,0,1]
	s_delay_alu instid0(VALU_DEP_4)
	v_pk_fma_f32 v[132:133], v[206:207], v[190:191], v[130:131] op_sel_hi:[1,0,1]
	v_mov_b32_e32 v135, v129
	v_pk_add_f32 v[126:127], v[126:127], v[136:137]
	s_set_vgpr_msb 1                        ;  msbs: dst=0 src0=1 src1=0 src2=0
	v_pk_mul_f32 v[128:129], v[14:15] /*v[270:271]*/, v[128:129] op_sel_hi:[1,0]
	s_set_vgpr_msb 0                        ;  msbs: dst=0 src0=0 src1=0 src2=0
	v_pk_fma_f32 v[130:131], v[206:207], v[190:191], v[130:131] neg_lo:[0,0,1] neg_hi:[0,0,1]
	v_mov_b32_e32 v131, v133
	v_pk_add_f32 v[126:127], v[126:127], v[134:135]
	v_pk_fma_f32 v[132:133], v[208:209], v[192:193], v[128:129] op_sel_hi:[1,0,1]
	v_pk_fma_f32 v[128:129], v[208:209], v[192:193], v[128:129] neg_lo:[0,0,1] neg_hi:[0,0,1]
	s_delay_alu instid0(VALU_DEP_3) | instskip(NEXT) | instid1(VALU_DEP_3)
	v_pk_add_f32 v[126:127], v[126:127], v[130:131]
	v_mov_b32_e32 v129, v133
	s_delay_alu instid0(VALU_DEP_1) | instskip(SKIP_2) | instid1(VALU_DEP_1)
	v_pk_add_f32 v[126:127], v[126:127], v[128:129]
	s_wait_loadcnt 0x0
	s_set_vgpr_msb 1                        ;  msbs: dst=0 src0=1 src1=0 src2=0
	v_pk_add_f32 v[126:127], v[6:7] /*v[262:263]*/, v[126:127] neg_lo:[0,1] neg_hi:[0,1]
	scratch_store_b64 off, v[126:127], off offset:216
	s_wait_xcnt 0x0
	v_cmpx_lt_u32_e32 26, v0
	s_set_vgpr_msb 0                        ;  msbs: dst=0 src0=0 src1=0 src2=0
	s_cbranch_execz .LBB125_333
; %bb.332:
	scratch_load_b64 v[126:127], off, off offset:208
	v_mov_b64_e32 v[128:129], 0
	scratch_store_b64 off, v[128:129], off offset:208
	s_wait_loadcnt 0x0
	ds_store_b64 v1, v[126:127]
.LBB125_333:
	s_wait_xcnt 0x0
	s_or_b32 exec_lo, exec_lo, s0
	s_wait_storecnt_dscnt 0x0
	s_barrier_signal -1
	s_barrier_wait -1
	s_clause 0x13
	scratch_load_b128 v[126:129], off, off offset:216
	scratch_load_b128 v[130:133], off, off offset:232
	;; [unrolled: 1-line block ×17, first 2 shown]
	s_set_vgpr_msb 64                       ;  msbs: dst=1 src0=0 src1=0 src2=0
	scratch_load_b64 v[6:7] /*v[262:263]*/, off, off offset:488
	scratch_load_b64 v[8:9] /*v[264:265]*/, off, off offset:208
	s_set_vgpr_msb 0                        ;  msbs: dst=0 src0=0 src1=0 src2=0
	v_mov_b32_e32 v7, 0
	ds_load_2addr_b64 v[194:197], v7 offset0:115 offset1:116
	ds_load_2addr_b64 v[198:201], v7 offset0:117 offset1:118
	;; [unrolled: 1-line block ×16, first 2 shown]
	s_set_vgpr_msb 64                       ;  msbs: dst=1 src0=0 src1=0 src2=0
	ds_load_2addr_b64 v[2:5] /*v[258:261]*/, v7 offset0:111 offset1:112
	ds_load_b64 v[10:11] /*v[266:267]*/, v7 offset:984
	s_mov_b32 s0, exec_lo
	s_wait_dscnt 0x11
	v_dual_mov_b32 v12 /*v268*/, v197 :: v_dual_mov_b32 v13 /*v269*/, v196
	s_wait_dscnt 0x10
	v_dual_mov_b32 v14 /*v270*/, v201 :: v_dual_mov_b32 v15 /*v271*/, v200
	;; [unrolled: 2-line block ×4, first 2 shown]
	s_wait_loadcnt_dscnt 0x120c
	s_set_vgpr_msb 0                        ;  msbs: dst=0 src0=0 src1=0 src2=0
	v_dual_mul_f32 v9, v214, v127 :: v_dual_mul_f32 v59, v215, v127
	s_wait_loadcnt_dscnt 0x110b
	v_mul_f32_e32 v65, v221, v133
	v_dual_mul_f32 v11, v216, v129 :: v_dual_mul_f32 v13, v218, v131
	s_wait_loadcnt_dscnt 0x100a
	v_dual_mul_f32 v67, v223, v135 :: v_dual_fma_f32 v59, v214, v126, -v59
	s_delay_alu instid0(VALU_DEP_2)
	v_dual_fmac_f32 v9, v215, v126 :: v_dual_fmac_f32 v11, v217, v128
	v_dual_mul_f32 v61, v217, v129 :: v_dual_mul_f32 v63, v219, v131
	s_wait_loadcnt 0x6
	v_dual_mul_f32 v69, v225, v137 :: v_dual_mul_f32 v57, v206, v175
	s_wait_dscnt 0x1
	s_set_vgpr_msb 1                        ;  msbs: dst=0 src0=1 src1=0 src2=0
	v_dual_mul_f32 v55, v4 /*v260*/, v173 :: v_dual_add_f32 v59, 0, v59
	s_set_vgpr_msb 0                        ;  msbs: dst=0 src0=0 src1=0 src2=0
	v_dual_fma_f32 v61, v216, v128, -v61 :: v_dual_add_f32 v9, 0, v9
	v_dual_mul_f32 v15, v220, v133 :: v_dual_mul_f32 v17, v222, v135
	v_dual_mul_f32 v75, v231, v143 :: v_dual_fma_f32 v63, v218, v130, -v63
	s_delay_alu instid0(VALU_DEP_3) | instskip(NEXT) | instid1(VALU_DEP_3)
	v_dual_fmac_f32 v13, v219, v130 :: v_dual_add_f32 v9, v9, v11
	v_dual_add_f32 v11, v59, v61 :: v_dual_fmac_f32 v15, v221, v132
	v_dual_mul_f32 v59, v233, v145 :: v_dual_fma_f32 v61, v220, v132, -v65
	s_delay_alu instid0(VALU_DEP_2) | instskip(SKIP_2) | instid1(VALU_DEP_3)
	v_dual_add_f32 v9, v9, v13 :: v_dual_add_f32 v11, v11, v63
	v_dual_mul_f32 v19, v224, v137 :: v_dual_mul_f32 v21, v226, v139
	v_dual_mul_f32 v13, v235, v147 :: v_dual_fma_f32 v63, v222, v134, -v67
	v_dual_fmac_f32 v17, v223, v134 :: v_dual_add_f32 v9, v9, v15
	s_delay_alu instid0(VALU_DEP_3) | instskip(SKIP_2) | instid1(VALU_DEP_3)
	v_dual_add_f32 v11, v11, v61 :: v_dual_fmac_f32 v19, v225, v136
	v_dual_mul_f32 v71, v227, v139 :: v_dual_mul_f32 v73, v229, v141
	v_dual_mul_f32 v15, v237, v149 :: v_dual_fma_f32 v61, v224, v136, -v69
	v_dual_add_f32 v9, v9, v17 :: v_dual_add_f32 v11, v11, v63
	v_dual_mul_f32 v23, v228, v141 :: v_dual_mul_f32 v25, v230, v143
	s_delay_alu instid0(VALU_DEP_4) | instskip(NEXT) | instid1(VALU_DEP_3)
	v_dual_mul_f32 v17, v239, v151 :: v_dual_fma_f32 v63, v226, v138, -v71
	v_dual_fmac_f32 v21, v227, v138 :: v_dual_add_f32 v9, v9, v19
	s_delay_alu instid0(VALU_DEP_3) | instskip(SKIP_1) | instid1(VALU_DEP_2)
	v_dual_add_f32 v11, v11, v61 :: v_dual_fmac_f32 v23, v229, v140
	v_dual_mul_f32 v19, v241, v153 :: v_dual_fma_f32 v61, v228, v140, -v73
	v_dual_add_f32 v9, v9, v21 :: v_dual_add_f32 v11, v11, v63
	v_dual_mul_f32 v27, v232, v145 :: v_dual_mul_f32 v29, v234, v147
	v_dual_mul_f32 v21, v243, v155 :: v_dual_fma_f32 v63, v230, v142, -v75
	s_delay_alu instid0(VALU_DEP_3) | instskip(NEXT) | instid1(VALU_DEP_3)
	v_dual_fmac_f32 v25, v231, v142 :: v_dual_add_f32 v9, v9, v23
	v_dual_add_f32 v11, v11, v61 :: v_dual_fmac_f32 v27, v233, v144
	v_dual_mul_f32 v23, v245, v157 :: v_dual_fma_f32 v59, v232, v144, -v59
	s_delay_alu instid0(VALU_DEP_2) | instskip(SKIP_2) | instid1(VALU_DEP_3)
	v_dual_add_f32 v9, v9, v25 :: v_dual_add_f32 v11, v11, v63
	v_dual_mul_f32 v31, v236, v149 :: v_dual_mul_f32 v33, v238, v151
	v_dual_mul_f32 v25, v247, v159 :: v_dual_fma_f32 v13, v234, v146, -v13
	v_dual_fmac_f32 v29, v235, v146 :: v_dual_add_f32 v9, v9, v27
	s_delay_alu instid0(VALU_DEP_4) | instskip(NEXT) | instid1(VALU_DEP_4)
	v_dual_add_f32 v11, v11, v59 :: v_dual_mul_f32 v27, v249, v161
	v_fmac_f32_e32 v31, v237, v148
	s_delay_alu instid0(VALU_DEP_3) | instskip(NEXT) | instid1(VALU_DEP_3)
	v_dual_fma_f32 v15, v236, v148, -v15 :: v_dual_add_f32 v9, v9, v29
	v_add_f32_e32 v11, v11, v13
	v_dual_mul_f32 v35, v240, v153 :: v_dual_mul_f32 v37, v242, v155
	v_dual_mul_f32 v13, v251, v163 :: v_dual_fma_f32 v17, v238, v150, -v17
	s_delay_alu instid0(VALU_DEP_4) | instskip(NEXT) | instid1(VALU_DEP_4)
	v_dual_fmac_f32 v33, v239, v150 :: v_dual_add_f32 v9, v9, v31
	v_dual_add_f32 v11, v11, v15 :: v_dual_mul_f32 v15, v253, v165
	s_delay_alu instid0(VALU_DEP_4) | instskip(NEXT) | instid1(VALU_DEP_3)
	v_fmac_f32_e32 v35, v241, v152
	v_dual_fma_f32 v19, v240, v152, -v19 :: v_dual_add_f32 v9, v9, v33
	s_delay_alu instid0(VALU_DEP_3) | instskip(SKIP_2) | instid1(VALU_DEP_4)
	v_add_f32_e32 v11, v11, v17
	v_dual_mul_f32 v39, v244, v157 :: v_dual_mul_f32 v41, v246, v159
	v_dual_mul_f32 v17, v255, v167 :: v_dual_fma_f32 v21, v242, v154, -v21
	v_dual_fmac_f32 v37, v243, v154 :: v_dual_add_f32 v9, v9, v35
	s_delay_alu instid0(VALU_DEP_3) | instskip(SKIP_2) | instid1(VALU_DEP_4)
	v_dual_add_f32 v11, v11, v19 :: v_dual_fmac_f32 v39, v245, v156
	v_fma_f32 v23, v244, v156, -v23
	v_dual_mul_f32 v43, v248, v161 :: v_dual_mul_f32 v45, v250, v163
	v_add_f32_e32 v9, v9, v37
	s_delay_alu instid0(VALU_DEP_4) | instskip(NEXT) | instid1(VALU_DEP_3)
	v_dual_add_f32 v11, v11, v21 :: v_dual_fma_f32 v25, v246, v158, -v25
	v_dual_fmac_f32 v41, v247, v158 :: v_dual_fmac_f32 v43, v249, v160
	s_delay_alu instid0(VALU_DEP_3) | instskip(NEXT) | instid1(VALU_DEP_3)
	v_add_f32_e32 v9, v9, v39
	v_dual_add_f32 v11, v11, v23 :: v_dual_fma_f32 v27, v248, v160, -v27
	v_dual_mul_f32 v47, v252, v165 :: v_dual_mul_f32 v49, v254, v167
	s_delay_alu instid0(VALU_DEP_3) | instskip(NEXT) | instid1(VALU_DEP_3)
	v_add_f32_e32 v9, v9, v41
	v_dual_add_f32 v11, v11, v25 :: v_dual_fma_f32 v13, v250, v162, -v13
	s_delay_alu instid0(VALU_DEP_3) | instskip(NEXT) | instid1(VALU_DEP_3)
	v_dual_fmac_f32 v45, v251, v162 :: v_dual_fmac_f32 v47, v253, v164
	v_add_f32_e32 v9, v9, v43
	s_delay_alu instid0(VALU_DEP_3)
	v_dual_add_f32 v11, v11, v27 :: v_dual_fma_f32 v15, v252, v164, -v15
	s_set_vgpr_msb 1                        ;  msbs: dst=0 src0=1 src1=0 src2=0
	v_dual_mul_f32 v51, v0 /*v256*/, v169 :: v_dual_mul_f32 v53, v2 /*v258*/, v171
	s_set_vgpr_msb 0                        ;  msbs: dst=0 src0=0 src1=0 src2=0
	v_add_f32_e32 v9, v9, v45
	v_dual_add_f32 v11, v11, v13 :: v_dual_fma_f32 v17, v254, v166, -v17
	s_set_vgpr_msb 1                        ;  msbs: dst=0 src0=1 src1=0 src2=0
	v_dual_mul_f32 v19, v1 /*v257*/, v169 :: v_dual_mul_f32 v21, v3 /*v259*/, v171
	s_set_vgpr_msb 0                        ;  msbs: dst=0 src0=0 src1=0 src2=0
	v_dual_fmac_f32 v49, v255, v166 :: v_dual_add_f32 v9, v9, v47
	v_add_f32_e32 v11, v11, v15
	s_set_vgpr_msb 1                        ;  msbs: dst=0 src0=1 src1=0 src2=0
	v_dual_mul_f32 v23, v5 /*v261*/, v173 :: v_dual_fma_f32 v15, v0 /*v256*/, v168, -v19
	v_dual_fmac_f32 v51, v1 /*v257*/, v168 :: v_dual_fmac_f32 v53, v3 /*v259*/, v170
	s_set_vgpr_msb 0                        ;  msbs: dst=0 src0=0 src1=0 src2=0
	v_add_f32_e32 v9, v9, v49
	v_add_f32_e32 v11, v11, v17
	s_set_vgpr_msb 1                        ;  msbs: dst=0 src0=1 src1=0 src2=0
	v_dual_fma_f32 v17, v2 /*v258*/, v170, -v21 :: v_dual_fmac_f32 v55, v5 /*v261*/, v172
	s_set_vgpr_msb 0                        ;  msbs: dst=0 src0=0 src1=0 src2=0
	v_dual_mul_f32 v25, v207, v175 :: v_dual_mul_f32 v27, v209, v177
	v_add_f32_e32 v9, v9, v51
	s_wait_loadcnt 0x4
	v_dual_add_f32 v11, v11, v15 :: v_dual_mov_b32 v130, v185
	s_set_vgpr_msb 1                        ;  msbs: dst=0 src0=1 src1=0 src2=0
	v_fma_f32 v15, v4 /*v260*/, v172, -v23
	s_set_vgpr_msb 64                       ;  msbs: dst=1 src0=0 src1=0 src2=0
	v_dual_mul_f32 v21 /*v277*/, v208, v177 :: v_dual_mul_f32 v23 /*v279*/, v194, v179
	s_set_vgpr_msb 0                        ;  msbs: dst=0 src0=0 src1=0 src2=0
	v_dual_add_f32 v9, v9, v53 :: v_dual_fmac_f32 v57, v207, v174
	v_dual_add_f32 v11, v11, v17 :: v_dual_fma_f32 v17, v206, v174, -v25
	v_dual_mul_f32 v13, v195, v179 :: v_dual_mov_b32 v126, v181
	s_set_vgpr_msb 64                       ;  msbs: dst=1 src0=0 src1=0 src2=0
	v_dual_fmac_f32 v21 /*v277*/, v209, v176 :: v_dual_fmac_f32 v23 /*v279*/, v195, v178
	s_set_vgpr_msb 0                        ;  msbs: dst=0 src0=0 src1=0 src2=0
	v_add_f32_e32 v11, v11, v15
	v_add_f32_e32 v9, v9, v55
	s_set_vgpr_msb 64                       ;  msbs: dst=1 src0=0 src1=0 src2=0
	v_dual_fma_f32 v20 /*v276*/, v208, v176, -v27 :: v_dual_fma_f32 v22 /*v278*/, v194, v178, -v13
	s_set_vgpr_msb 1                        ;  msbs: dst=0 src0=1 src1=0 src2=0
	v_pk_mul_f32 v[126:127], v[12:13] /*v[268:269]*/, v[126:127] op_sel_hi:[1,0]
	s_set_vgpr_msb 0                        ;  msbs: dst=0 src0=0 src1=0 src2=0
	v_add_f32_e32 v134, v11, v17
	v_add_f32_e32 v135, v9, v57
	v_pk_mul_f32 v[128:129], v[198:199], v[182:183] op_sel:[1,1] op_sel_hi:[0,1]
	s_set_vgpr_msb 1                        ;  msbs: dst=0 src0=1 src1=0 src2=0
	v_pk_mul_f32 v[130:131], v[14:15] /*v[270:271]*/, v[130:131] op_sel_hi:[1,0]
	s_set_vgpr_msb 0                        ;  msbs: dst=0 src0=0 src1=0 src2=0
	v_pk_fma_f32 v[138:139], v[196:197], v[180:181], v[126:127] op_sel_hi:[1,0,1]
	v_pk_fma_f32 v[126:127], v[196:197], v[180:181], v[126:127] neg_lo:[0,0,1] neg_hi:[0,0,1]
	s_set_vgpr_msb 4                        ;  msbs: dst=0 src0=0 src1=1 src2=0
	v_pk_add_f32 v[134:135], v[134:135], v[20:21] /*v[276:277]*/
	s_wait_loadcnt 0x3
	v_mov_b32_e32 v136, v189
	s_set_vgpr_msb 0                        ;  msbs: dst=0 src0=0 src1=0 src2=0
	v_pk_fma_f32 v[140:141], v[198:199], v[182:183], v[128:129] op_sel_hi:[1,0,1]
	v_mov_b32_e32 v127, v139
	v_pk_fma_f32 v[128:129], v[198:199], v[182:183], v[128:129] neg_lo:[0,0,1] neg_hi:[0,0,1]
	s_set_vgpr_msb 4                        ;  msbs: dst=0 src0=0 src1=1 src2=0
	v_pk_add_f32 v[134:135], v[134:135], v[22:23] /*v[278:279]*/
	s_set_vgpr_msb 0                        ;  msbs: dst=0 src0=0 src1=0 src2=0
	v_pk_mul_f32 v[132:133], v[202:203], v[186:187] op_sel:[1,1] op_sel_hi:[0,1]
	v_mov_b32_e32 v129, v141
	v_pk_fma_f32 v[140:141], v[200:201], v[184:185], v[130:131] op_sel_hi:[1,0,1]
	v_pk_fma_f32 v[130:131], v[200:201], v[184:185], v[130:131] neg_lo:[0,0,1] neg_hi:[0,0,1]
	v_pk_add_f32 v[126:127], v[134:135], v[126:127]
	v_pk_fma_f32 v[134:135], v[202:203], v[186:187], v[132:133] op_sel_hi:[1,0,1]
	s_set_vgpr_msb 1                        ;  msbs: dst=0 src0=1 src1=0 src2=0
	v_pk_mul_f32 v[136:137], v[16:17] /*v[272:273]*/, v[136:137] op_sel_hi:[1,0]
	s_set_vgpr_msb 0                        ;  msbs: dst=0 src0=0 src1=0 src2=0
	v_mov_b32_e32 v131, v141
	v_pk_fma_f32 v[132:133], v[202:203], v[186:187], v[132:133] neg_lo:[0,0,1] neg_hi:[0,0,1]
	v_pk_add_f32 v[126:127], v[126:127], v[128:129]
	s_wait_loadcnt 0x2
	v_pk_mul_f32 v[138:139], v[210:211], v[190:191] op_sel:[1,1] op_sel_hi:[0,1]
	v_dual_mov_b32 v128, v193 :: v_dual_mov_b32 v133, v135
	v_pk_fma_f32 v[134:135], v[204:205], v[188:189], v[136:137] op_sel_hi:[1,0,1]
	v_pk_add_f32 v[126:127], v[126:127], v[130:131]
	v_pk_fma_f32 v[136:137], v[204:205], v[188:189], v[136:137] neg_lo:[0,0,1] neg_hi:[0,0,1]
	v_pk_fma_f32 v[130:131], v[210:211], v[190:191], v[138:139] op_sel_hi:[1,0,1]
	s_set_vgpr_msb 1                        ;  msbs: dst=0 src0=1 src1=0 src2=0
	v_pk_mul_f32 v[128:129], v[18:19] /*v[274:275]*/, v[128:129] op_sel_hi:[1,0]
	s_set_vgpr_msb 0                        ;  msbs: dst=0 src0=0 src1=0 src2=0
	v_mov_b32_e32 v137, v135
	v_pk_add_f32 v[126:127], v[126:127], v[132:133]
	v_pk_fma_f32 v[132:133], v[210:211], v[190:191], v[138:139] neg_lo:[0,0,1] neg_hi:[0,0,1]
	v_mov_b32_e32 v133, v131
	v_pk_fma_f32 v[130:131], v[212:213], v[192:193], v[128:129] op_sel_hi:[1,0,1]
	s_wait_loadcnt_dscnt 0x100
	s_set_vgpr_msb 5                        ;  msbs: dst=0 src0=1 src1=1 src2=0
	v_pk_mul_f32 v[134:135], v[10:11] /*v[266:267]*/, v[6:7] /*v[262:263]*/ op_sel:[1,1] op_sel_hi:[0,1]
	s_set_vgpr_msb 0                        ;  msbs: dst=0 src0=0 src1=0 src2=0
	v_pk_add_f32 v[126:127], v[126:127], v[136:137]
	v_pk_fma_f32 v[128:129], v[212:213], v[192:193], v[128:129] neg_lo:[0,0,1] neg_hi:[0,0,1]
	v_mov_b32_e32 v129, v131
	s_set_vgpr_msb 5                        ;  msbs: dst=0 src0=1 src1=1 src2=0
	v_pk_fma_f32 v[130:131], v[10:11] /*v[266:267]*/, v[6:7] /*v[262:263]*/, v[134:135] op_sel_hi:[1,0,1]
	s_set_vgpr_msb 0                        ;  msbs: dst=0 src0=0 src1=0 src2=0
	v_pk_add_f32 v[126:127], v[126:127], v[132:133]
	s_set_vgpr_msb 5                        ;  msbs: dst=0 src0=1 src1=1 src2=0
	v_pk_fma_f32 v[132:133], v[10:11] /*v[266:267]*/, v[6:7] /*v[262:263]*/, v[134:135] neg_lo:[0,0,1] neg_hi:[0,0,1]
	s_set_vgpr_msb 0                        ;  msbs: dst=0 src0=0 src1=0 src2=0
	v_mov_b32_e32 v133, v131
	v_pk_add_f32 v[126:127], v[126:127], v[128:129]
	s_delay_alu instid0(VALU_DEP_1) | instskip(SKIP_2) | instid1(VALU_DEP_1)
	v_pk_add_f32 v[126:127], v[126:127], v[132:133]
	s_wait_loadcnt 0x0
	s_set_vgpr_msb 1                        ;  msbs: dst=0 src0=1 src1=0 src2=0
	v_pk_add_f32 v[126:127], v[8:9] /*v[264:265]*/, v[126:127] neg_lo:[0,1] neg_hi:[0,1]
	scratch_store_b64 off, v[126:127], off offset:208
	s_wait_xcnt 0x0
	v_cmpx_lt_u32_e32 25, v0
	s_set_vgpr_msb 0                        ;  msbs: dst=0 src0=0 src1=0 src2=0
	s_cbranch_execz .LBB125_335
; %bb.334:
	scratch_load_b64 v[126:127], off, off offset:200
	v_mov_b64_e32 v[128:129], 0
	scratch_store_b64 off, v[128:129], off offset:200
	s_wait_loadcnt 0x0
	ds_store_b64 v1, v[126:127]
.LBB125_335:
	s_wait_xcnt 0x0
	s_or_b32 exec_lo, exec_lo, s0
	s_wait_storecnt_dscnt 0x0
	s_barrier_signal -1
	s_barrier_wait -1
	s_clause 0x13
	scratch_load_b128 v[126:129], off, off offset:208
	scratch_load_b128 v[130:133], off, off offset:224
	;; [unrolled: 1-line block ×18, first 2 shown]
	s_set_vgpr_msb 64                       ;  msbs: dst=1 src0=0 src1=0 src2=0
	scratch_load_b64 v[14:15] /*v[270:271]*/, off, off offset:200
	s_set_vgpr_msb 0                        ;  msbs: dst=0 src0=0 src1=0 src2=0
	ds_load_b128 v[198:201], v7 offset:928
	ds_load_b128 v[202:205], v7 offset:944
	;; [unrolled: 1-line block ×15, first 2 shown]
	s_set_vgpr_msb 64                       ;  msbs: dst=1 src0=0 src1=0 src2=0
	ds_load_b128 v[2:5] /*v[258:261]*/, v7 offset:880
	ds_load_b128 v[6:9] /*v[262:265]*/, v7 offset:896
	;; [unrolled: 1-line block ×3, first 2 shown]
	s_mov_b32 s0, exec_lo
	s_wait_dscnt 0x11
	v_dual_mov_b32 v16 /*v272*/, v201 :: v_dual_mov_b32 v17 /*v273*/, v200
	s_wait_dscnt 0x10
	v_dual_mov_b32 v18 /*v274*/, v205 :: v_dual_mov_b32 v19 /*v275*/, v204
	s_wait_dscnt 0xf
	v_dual_mov_b32 v20 /*v276*/, v209 :: v_dual_mov_b32 v21 /*v277*/, v208
	s_wait_dscnt 0xe
	v_dual_mov_b32 v22 /*v278*/, v213 :: v_dual_mov_b32 v23 /*v279*/, v212
	s_wait_loadcnt_dscnt 0x120d
	s_set_vgpr_msb 0                        ;  msbs: dst=0 src0=0 src1=0 src2=0
	v_dual_mul_f32 v7, v214, v127 :: v_dual_mul_f32 v9, v216, v129
	s_wait_loadcnt_dscnt 0x110c
	v_dual_mul_f32 v59, v215, v127 :: v_dual_mul_f32 v65, v221, v133
	v_dual_mul_f32 v11, v218, v131 :: v_dual_mul_f32 v13, v220, v133
	s_delay_alu instid0(VALU_DEP_3)
	v_dual_fmac_f32 v7, v215, v126 :: v_dual_fmac_f32 v9, v217, v128
	v_dual_mul_f32 v61, v217, v129 :: v_dual_mul_f32 v63, v219, v131
	s_wait_loadcnt_dscnt 0x803
	v_dual_mul_f32 v69, v225, v137 :: v_dual_mul_f32 v47, v254, v167
	s_wait_loadcnt_dscnt 0x601
	s_set_vgpr_msb 1                        ;  msbs: dst=0 src0=1 src1=0 src2=0
	v_dual_mul_f32 v57, v8 /*v264*/, v177 :: v_dual_add_f32 v7, 0, v7
	s_set_vgpr_msb 0                        ;  msbs: dst=0 src0=0 src1=0 src2=0
	v_dual_mul_f32 v67, v223, v135 :: v_dual_fma_f32 v59, v214, v126, -v59
	v_dual_mul_f32 v71, v227, v139 :: v_dual_fma_f32 v61, v216, v128, -v61
	v_dual_fmac_f32 v11, v219, v130 :: v_dual_fmac_f32 v13, v221, v132
	s_delay_alu instid0(VALU_DEP_3) | instskip(SKIP_2) | instid1(VALU_DEP_3)
	v_dual_add_f32 v59, 0, v59 :: v_dual_mul_f32 v73, v229, v141
	v_dual_fma_f32 v63, v218, v130, -v63 :: v_dual_add_f32 v7, v7, v9
	v_dual_mul_f32 v15, v222, v135 :: v_dual_mul_f32 v17, v224, v137
	v_dual_add_f32 v9, v59, v61 :: v_dual_fma_f32 v61, v220, v132, -v65
	s_delay_alu instid0(VALU_DEP_3) | instskip(NEXT) | instid1(VALU_DEP_3)
	v_add_f32_e32 v7, v7, v11
	v_dual_fmac_f32 v15, v223, v134 :: v_dual_mul_f32 v19, v226, v139
	s_delay_alu instid0(VALU_DEP_3) | instskip(NEXT) | instid1(VALU_DEP_3)
	v_dual_mul_f32 v21, v228, v141 :: v_dual_add_f32 v9, v9, v63
	v_dual_fma_f32 v63, v222, v134, -v67 :: v_dual_add_f32 v7, v7, v13
	v_dual_fmac_f32 v17, v225, v136 :: v_dual_mul_f32 v13, v235, v147
	s_delay_alu instid0(VALU_DEP_3) | instskip(NEXT) | instid1(VALU_DEP_3)
	v_dual_add_f32 v9, v9, v61 :: v_dual_fma_f32 v61, v224, v136, -v69
	v_add_f32_e32 v7, v7, v15
	v_dual_fmac_f32 v19, v227, v138 :: v_dual_mul_f32 v23, v230, v143
	s_delay_alu instid0(VALU_DEP_3) | instskip(NEXT) | instid1(VALU_DEP_3)
	v_dual_mul_f32 v25, v232, v145 :: v_dual_add_f32 v9, v9, v63
	v_dual_add_f32 v7, v7, v17 :: v_dual_fmac_f32 v21, v229, v140
	v_dual_mul_f32 v15, v237, v149 :: v_dual_fma_f32 v63, v226, v138, -v71
	s_delay_alu instid0(VALU_DEP_3) | instskip(NEXT) | instid1(VALU_DEP_3)
	v_dual_add_f32 v9, v9, v61 :: v_dual_mul_f32 v17, v239, v151
	v_dual_fma_f32 v61, v228, v140, -v73 :: v_dual_add_f32 v7, v7, v19
	v_dual_mul_f32 v59, v231, v143 :: v_dual_mul_f32 v11, v233, v145
	s_delay_alu instid0(VALU_DEP_3) | instskip(NEXT) | instid1(VALU_DEP_3)
	v_dual_add_f32 v9, v9, v63 :: v_dual_fmac_f32 v23, v231, v142
	v_dual_add_f32 v7, v7, v21 :: v_dual_fmac_f32 v25, v233, v144
	v_dual_mul_f32 v27, v234, v147 :: v_dual_mul_f32 v29, v236, v149
	s_delay_alu instid0(VALU_DEP_4) | instskip(NEXT) | instid1(VALU_DEP_4)
	v_dual_mul_f32 v19, v241, v153 :: v_dual_fma_f32 v59, v230, v142, -v59
	v_dual_add_f32 v9, v9, v61 :: v_dual_mul_f32 v21, v243, v155
	s_delay_alu instid0(VALU_DEP_4) | instskip(NEXT) | instid1(VALU_DEP_2)
	v_dual_fma_f32 v11, v232, v144, -v11 :: v_dual_add_f32 v7, v7, v23
	v_dual_fmac_f32 v27, v235, v146 :: v_dual_add_f32 v9, v9, v59
	v_dual_mul_f32 v31, v238, v151 :: v_dual_mul_f32 v33, v240, v153
	s_delay_alu instid0(VALU_DEP_3) | instskip(SKIP_1) | instid1(VALU_DEP_4)
	v_add_f32_e32 v7, v7, v25
	v_dual_mul_f32 v23, v245, v157 :: v_dual_fma_f32 v13, v234, v146, -v13
	v_add_f32_e32 v9, v9, v11
	v_dual_mul_f32 v11, v247, v159 :: v_dual_fmac_f32 v29, v237, v148
	s_delay_alu instid0(VALU_DEP_4) | instskip(NEXT) | instid1(VALU_DEP_3)
	v_dual_fma_f32 v15, v236, v148, -v15 :: v_dual_add_f32 v7, v7, v27
	v_dual_add_f32 v9, v9, v13 :: v_dual_fmac_f32 v31, v239, v150
	v_dual_mul_f32 v35, v242, v155 :: v_dual_mul_f32 v37, v244, v157
	s_delay_alu instid0(VALU_DEP_2) | instskip(SKIP_2) | instid1(VALU_DEP_3)
	v_dual_add_f32 v7, v7, v29 :: v_dual_add_f32 v9, v9, v15
	v_dual_mul_f32 v13, v249, v161 :: v_dual_fma_f32 v17, v238, v150, -v17
	v_dual_mul_f32 v15, v251, v163 :: v_dual_fmac_f32 v33, v241, v152
	v_dual_fma_f32 v19, v240, v152, -v19 :: v_dual_add_f32 v7, v7, v31
	s_delay_alu instid0(VALU_DEP_3) | instskip(SKIP_1) | instid1(VALU_DEP_2)
	v_dual_add_f32 v9, v9, v17 :: v_dual_fmac_f32 v35, v243, v154
	v_dual_mul_f32 v39, v246, v159 :: v_dual_mul_f32 v41, v248, v161
	v_dual_add_f32 v7, v7, v33 :: v_dual_add_f32 v9, v9, v19
	v_dual_mul_f32 v17, v253, v165 :: v_dual_fma_f32 v21, v242, v154, -v21
	v_dual_mul_f32 v19, v255, v167 :: v_dual_fmac_f32 v37, v245, v156
	s_delay_alu instid0(VALU_DEP_3) | instskip(NEXT) | instid1(VALU_DEP_3)
	v_dual_fma_f32 v23, v244, v156, -v23 :: v_dual_add_f32 v7, v7, v35
	v_dual_add_f32 v9, v9, v21 :: v_dual_fmac_f32 v39, v247, v158
	v_fma_f32 v11, v246, v158, -v11
	v_dual_mul_f32 v43, v250, v163 :: v_dual_mul_f32 v45, v252, v165
	s_delay_alu instid0(VALU_DEP_3) | instskip(SKIP_1) | instid1(VALU_DEP_3)
	v_dual_add_f32 v7, v7, v37 :: v_dual_add_f32 v9, v9, v23
	v_fma_f32 v13, v248, v160, -v13
	v_dual_fmac_f32 v41, v249, v160 :: v_dual_fmac_f32 v43, v251, v162
	s_delay_alu instid0(VALU_DEP_3) | instskip(NEXT) | instid1(VALU_DEP_4)
	v_add_f32_e32 v7, v7, v39
	v_dual_add_f32 v9, v9, v11 :: v_dual_fma_f32 v15, v250, v162, -v15
	s_set_vgpr_msb 1                        ;  msbs: dst=0 src0=1 src1=0 src2=0
	v_dual_mul_f32 v49, v0 /*v256*/, v169 :: v_dual_mul_f32 v51, v2 /*v258*/, v171
	s_set_vgpr_msb 0                        ;  msbs: dst=0 src0=0 src1=0 src2=0
	v_add_f32_e32 v7, v7, v41
	v_dual_add_f32 v9, v9, v13 :: v_dual_fma_f32 v17, v252, v164, -v17
	v_dual_fmac_f32 v45, v253, v164 :: v_dual_fmac_f32 v47, v255, v166
	s_delay_alu instid0(VALU_DEP_3) | instskip(NEXT) | instid1(VALU_DEP_3)
	v_add_f32_e32 v7, v7, v43
	v_dual_add_f32 v9, v9, v15 :: v_dual_fma_f32 v19, v254, v166, -v19
	s_set_vgpr_msb 1                        ;  msbs: dst=0 src0=1 src1=0 src2=0
	v_dual_mul_f32 v21, v1 /*v257*/, v169 :: v_dual_mul_f32 v23, v3 /*v259*/, v171
	s_set_vgpr_msb 0                        ;  msbs: dst=0 src0=0 src1=0 src2=0
	v_add_f32_e32 v7, v7, v45
	v_add_f32_e32 v9, v9, v17
	s_set_vgpr_msb 1                        ;  msbs: dst=0 src0=1 src1=0 src2=0
	v_dual_fmac_f32 v49, v1 /*v257*/, v168 :: v_dual_fmac_f32 v51, v3 /*v259*/, v170
	v_dual_mul_f32 v53, v4 /*v260*/, v173 :: v_dual_mul_f32 v55, v6 /*v262*/, v175
	s_set_vgpr_msb 0                        ;  msbs: dst=0 src0=0 src1=0 src2=0
	v_add_f32_e32 v7, v7, v47
	s_set_vgpr_msb 1                        ;  msbs: dst=0 src0=1 src1=0 src2=0
	v_fma_f32 v21, v0 /*v256*/, v168, -v21
	s_set_vgpr_msb 0                        ;  msbs: dst=0 src0=0 src1=0 src2=0
	v_add_f32_e32 v9, v9, v19
	s_set_vgpr_msb 1                        ;  msbs: dst=0 src0=1 src1=0 src2=0
	v_dual_mul_f32 v11, v5 /*v261*/, v173 :: v_dual_mul_f32 v13, v7 /*v263*/, v175
	s_set_vgpr_msb 0                        ;  msbs: dst=0 src0=0 src1=0 src2=0
	v_add_f32_e32 v7, v7, v49
	s_wait_loadcnt_dscnt 0x500
	s_set_vgpr_msb 1                        ;  msbs: dst=0 src0=1 src1=0 src2=0
	v_dual_mul_f32 v19, v13 /*v269*/, v181 :: v_dual_fma_f32 v23, v2 /*v258*/, v170, -v23
	v_fmac_f32_e32 v53, v5 /*v261*/, v172
	s_set_vgpr_msb 0                        ;  msbs: dst=0 src0=0 src1=0 src2=0
	v_dual_add_f32 v9, v9, v21 :: v_dual_add_f32 v7, v7, v51
	s_set_vgpr_msb 1                        ;  msbs: dst=0 src0=1 src1=0 src2=0
	v_dual_fma_f32 v11, v4 /*v260*/, v172, -v11 :: v_dual_fma_f32 v13, v6 /*v262*/, v174, -v13
	v_dual_fmac_f32 v55, v7 /*v263*/, v174 :: v_dual_fmac_f32 v57, v9 /*v265*/, v176
	s_set_vgpr_msb 0                        ;  msbs: dst=0 src0=0 src1=0 src2=0
	v_dual_add_f32 v9, v9, v23 :: v_dual_add_f32 v7, v7, v53
	s_set_vgpr_msb 1                        ;  msbs: dst=0 src0=1 src1=0 src2=0
	v_dual_mul_f32 v15, v9 /*v265*/, v177 :: v_dual_mul_f32 v17, v11 /*v267*/, v179
	s_wait_loadcnt 0x4
	s_set_vgpr_msb 0                        ;  msbs: dst=0 src0=0 src1=0 src2=0
	v_mov_b32_e32 v128, v185
	s_set_vgpr_msb 0x41                     ;  msbs: dst=1 src0=1 src1=0 src2=0
	v_dual_mul_f32 v25 /*v281*/, v10 /*v266*/, v179 :: v_dual_mul_f32 v27 /*v283*/, v12 /*v268*/, v181
	s_set_vgpr_msb 0                        ;  msbs: dst=0 src0=0 src1=0 src2=0
	v_add_f32_e32 v7, v7, v55
	v_add_f32_e32 v9, v9, v11
	s_set_vgpr_msb 1                        ;  msbs: dst=0 src0=1 src1=0 src2=0
	v_fma_f32 v11, v8 /*v264*/, v176, -v15
	s_set_vgpr_msb 0                        ;  msbs: dst=0 src0=0 src1=0 src2=0
	v_pk_mul_f32 v[126:127], v[198:199], v[182:183] op_sel:[1,1] op_sel_hi:[0,1]
	s_set_vgpr_msb 0x41                     ;  msbs: dst=1 src0=1 src1=0 src2=0
	v_dual_fmac_f32 v25 /*v281*/, v11 /*v267*/, v178 :: v_dual_fmac_f32 v27 /*v283*/, v13 /*v269*/, v180
	s_set_vgpr_msb 0                        ;  msbs: dst=0 src0=0 src1=0 src2=0
	v_add_f32_e32 v135, v7, v57
	v_add_f32_e32 v9, v9, v13
	s_set_vgpr_msb 0x41                     ;  msbs: dst=1 src0=1 src1=0 src2=0
	v_dual_fma_f32 v24 /*v280*/, v10 /*v266*/, v178, -v17 :: v_dual_fma_f32 v26 /*v282*/, v12 /*v268*/, v180, -v19
	s_set_vgpr_msb 0                        ;  msbs: dst=0 src0=0 src1=0 src2=0
	v_pk_fma_f32 v[136:137], v[198:199], v[182:183], v[126:127] op_sel_hi:[1,0,1]
	s_set_vgpr_msb 1                        ;  msbs: dst=0 src0=1 src1=0 src2=0
	v_pk_mul_f32 v[128:129], v[16:17] /*v[272:273]*/, v[128:129] op_sel_hi:[1,0]
	s_set_vgpr_msb 0                        ;  msbs: dst=0 src0=0 src1=0 src2=0
	v_add_f32_e32 v134, v9, v11
	v_pk_fma_f32 v[126:127], v[198:199], v[182:183], v[126:127] neg_lo:[0,0,1] neg_hi:[0,0,1]
	s_wait_loadcnt 0x3
	v_pk_mul_f32 v[130:131], v[202:203], v[186:187] op_sel:[1,1] op_sel_hi:[0,1]
	v_dual_mov_b32 v132, v189 :: v_dual_mov_b32 v127, v137
	s_set_vgpr_msb 4                        ;  msbs: dst=0 src0=0 src1=1 src2=0
	v_pk_add_f32 v[134:135], v[134:135], v[24:25] /*v[280:281]*/
	s_set_vgpr_msb 0                        ;  msbs: dst=0 src0=0 src1=0 src2=0
	v_pk_fma_f32 v[136:137], v[200:201], v[184:185], v[128:129] op_sel_hi:[1,0,1]
	v_pk_fma_f32 v[128:129], v[200:201], v[184:185], v[128:129] neg_lo:[0,0,1] neg_hi:[0,0,1]
	v_pk_fma_f32 v[140:141], v[202:203], v[186:187], v[130:131] op_sel_hi:[1,0,1]
	s_set_vgpr_msb 1                        ;  msbs: dst=0 src0=1 src1=0 src2=0
	v_pk_mul_f32 v[132:133], v[18:19] /*v[274:275]*/, v[132:133] op_sel_hi:[1,0]
	s_set_vgpr_msb 4                        ;  msbs: dst=0 src0=0 src1=1 src2=0
	v_pk_add_f32 v[134:135], v[134:135], v[26:27] /*v[282:283]*/
	v_mov_b32_e32 v129, v137
	s_wait_loadcnt 0x2
	s_set_vgpr_msb 0                        ;  msbs: dst=0 src0=0 src1=0 src2=0
	v_pk_mul_f32 v[138:139], v[206:207], v[190:191] op_sel:[1,1] op_sel_hi:[0,1]
	v_pk_fma_f32 v[130:131], v[202:203], v[186:187], v[130:131] neg_lo:[0,0,1] neg_hi:[0,0,1]
	v_pk_fma_f32 v[136:137], v[204:205], v[188:189], v[132:133] op_sel_hi:[1,0,1]
	v_pk_add_f32 v[126:127], v[134:135], v[126:127]
	v_dual_mov_b32 v134, v193 :: v_dual_mov_b32 v131, v141
	v_pk_fma_f32 v[132:133], v[204:205], v[188:189], v[132:133] neg_lo:[0,0,1] neg_hi:[0,0,1]
	s_delay_alu instid0(VALU_DEP_4) | instskip(NEXT) | instid1(VALU_DEP_4)
	v_mov_b32_e32 v133, v137
	v_pk_add_f32 v[126:127], v[126:127], v[128:129]
	v_pk_fma_f32 v[128:129], v[206:207], v[190:191], v[138:139] op_sel_hi:[1,0,1]
	s_set_vgpr_msb 1                        ;  msbs: dst=0 src0=1 src1=0 src2=0
	v_pk_mul_f32 v[134:135], v[20:21] /*v[276:277]*/, v[134:135] op_sel_hi:[1,0]
	s_set_vgpr_msb 0                        ;  msbs: dst=0 src0=0 src1=0 src2=0
	v_pk_fma_f32 v[136:137], v[206:207], v[190:191], v[138:139] neg_lo:[0,0,1] neg_hi:[0,0,1]
	v_pk_add_f32 v[126:127], v[126:127], v[130:131]
	v_mov_b32_e32 v137, v129
	v_pk_fma_f32 v[128:129], v[208:209], v[192:193], v[134:135] op_sel_hi:[1,0,1]
	s_wait_loadcnt 0x1
	v_pk_mul_f32 v[130:131], v[210:211], v[194:195] op_sel:[1,1] op_sel_hi:[0,1]
	v_mov_b32_e32 v128, v197
	v_pk_add_f32 v[126:127], v[126:127], v[132:133]
	v_pk_fma_f32 v[134:135], v[208:209], v[192:193], v[134:135] neg_lo:[0,0,1] neg_hi:[0,0,1]
	s_delay_alu instid0(VALU_DEP_4) | instskip(SKIP_1) | instid1(VALU_DEP_4)
	v_pk_fma_f32 v[132:133], v[210:211], v[194:195], v[130:131] op_sel_hi:[1,0,1]
	v_mov_b32_e32 v135, v129
	v_pk_add_f32 v[126:127], v[126:127], v[136:137]
	s_set_vgpr_msb 1                        ;  msbs: dst=0 src0=1 src1=0 src2=0
	v_pk_mul_f32 v[128:129], v[22:23] /*v[278:279]*/, v[128:129] op_sel_hi:[1,0]
	s_set_vgpr_msb 0                        ;  msbs: dst=0 src0=0 src1=0 src2=0
	v_pk_fma_f32 v[130:131], v[210:211], v[194:195], v[130:131] neg_lo:[0,0,1] neg_hi:[0,0,1]
	v_mov_b32_e32 v131, v133
	v_pk_add_f32 v[126:127], v[126:127], v[134:135]
	v_pk_fma_f32 v[132:133], v[212:213], v[196:197], v[128:129] op_sel_hi:[1,0,1]
	v_pk_fma_f32 v[128:129], v[212:213], v[196:197], v[128:129] neg_lo:[0,0,1] neg_hi:[0,0,1]
	s_delay_alu instid0(VALU_DEP_3) | instskip(NEXT) | instid1(VALU_DEP_3)
	v_pk_add_f32 v[126:127], v[126:127], v[130:131]
	v_mov_b32_e32 v129, v133
	s_delay_alu instid0(VALU_DEP_1) | instskip(SKIP_2) | instid1(VALU_DEP_1)
	v_pk_add_f32 v[126:127], v[126:127], v[128:129]
	s_wait_loadcnt 0x0
	s_set_vgpr_msb 1                        ;  msbs: dst=0 src0=1 src1=0 src2=0
	v_pk_add_f32 v[126:127], v[14:15] /*v[270:271]*/, v[126:127] neg_lo:[0,1] neg_hi:[0,1]
	scratch_store_b64 off, v[126:127], off offset:200
	s_wait_xcnt 0x0
	v_cmpx_lt_u32_e32 24, v0
	s_set_vgpr_msb 0                        ;  msbs: dst=0 src0=0 src1=0 src2=0
	s_cbranch_execz .LBB125_337
; %bb.336:
	scratch_load_b64 v[126:127], off, off offset:192
	v_mov_b64_e32 v[128:129], 0
	scratch_store_b64 off, v[128:129], off offset:192
	s_wait_loadcnt 0x0
	ds_store_b64 v1, v[126:127]
.LBB125_337:
	s_wait_xcnt 0x0
	s_or_b32 exec_lo, exec_lo, s0
	s_wait_storecnt_dscnt 0x0
	s_barrier_signal -1
	s_barrier_wait -1
	s_clause 0x14
	scratch_load_b128 v[126:129], off, off offset:200
	scratch_load_b128 v[130:133], off, off offset:216
	;; [unrolled: 1-line block ×18, first 2 shown]
	s_set_vgpr_msb 64                       ;  msbs: dst=1 src0=0 src1=0 src2=0
	scratch_load_b64 v[14:15] /*v[270:271]*/, off, off offset:488
	scratch_load_b64 v[16:17] /*v[272:273]*/, off, off offset:192
	s_set_vgpr_msb 0                        ;  msbs: dst=0 src0=0 src1=0 src2=0
	v_mov_b32_e32 v7, 0
	ds_load_2addr_b64 v[198:201], v7 offset0:115 offset1:116
	ds_load_2addr_b64 v[202:205], v7 offset0:117 offset1:118
	;; [unrolled: 1-line block ×15, first 2 shown]
	s_set_vgpr_msb 64                       ;  msbs: dst=1 src0=0 src1=0 src2=0
	ds_load_2addr_b64 v[2:5] /*v[258:261]*/, v7 offset0:109 offset1:110
	ds_load_2addr_b64 v[6:9] /*v[262:265]*/, v7 offset0:111 offset1:112
	;; [unrolled: 1-line block ×3, first 2 shown]
	ds_load_b64 v[18:19] /*v[274:275]*/, v7 offset:984
	s_mov_b32 s0, exec_lo
	s_wait_dscnt 0x12
	v_dual_mov_b32 v20 /*v276*/, v201 :: v_dual_mov_b32 v21 /*v277*/, v200
	s_wait_dscnt 0x11
	v_dual_mov_b32 v22 /*v278*/, v205 :: v_dual_mov_b32 v23 /*v279*/, v204
	;; [unrolled: 2-line block ×4, first 2 shown]
	s_wait_loadcnt 0x13
	s_set_vgpr_msb 0                        ;  msbs: dst=0 src0=0 src1=0 src2=0
	v_dual_mul_f32 v9, v210, v127 :: v_dual_mul_f32 v63, v211, v127
	v_dual_mul_f32 v65, v213, v129 :: v_dual_mul_f32 v11, v212, v129
	s_wait_loadcnt 0x12
	v_mul_f32_e32 v13, v214, v131
	s_wait_loadcnt_dscnt 0x100b
	v_dual_mul_f32 v75, v227, v139 :: v_dual_fma_f32 v63, v210, v126, -v63
	v_dual_fmac_f32 v9, v211, v126 :: v_dual_mul_f32 v77, v229, v141
	v_dual_mul_f32 v67, v215, v131 :: v_dual_mul_f32 v69, v217, v133
	v_dual_fmac_f32 v11, v213, v128 :: v_dual_fma_f32 v65, v212, v128, -v65
	s_delay_alu instid0(VALU_DEP_3) | instskip(SKIP_3) | instid1(VALU_DEP_3)
	v_dual_add_f32 v9, 0, v9 :: v_dual_add_f32 v63, 0, v63
	v_dual_mul_f32 v15, v216, v133 :: v_dual_mul_f32 v17, v222, v135
	s_wait_loadcnt_dscnt 0xf0a
	v_dual_mul_f32 v79, v231, v143 :: v_dual_fma_f32 v67, v214, v130, -v67
	v_dual_fmac_f32 v13, v215, v130 :: v_dual_add_f32 v9, v9, v11
	s_delay_alu instid0(VALU_DEP_3) | instskip(SKIP_2) | instid1(VALU_DEP_3)
	v_dual_add_f32 v11, v63, v65 :: v_dual_fmac_f32 v15, v217, v132
	v_dual_mul_f32 v71, v223, v135 :: v_dual_mul_f32 v73, v225, v137
	v_dual_mul_f32 v63, v233, v145 :: v_dual_fma_f32 v65, v216, v132, -v69
	v_dual_add_f32 v9, v9, v13 :: v_dual_add_f32 v11, v11, v67
	v_dual_mul_f32 v19, v224, v137 :: v_dual_mul_f32 v21, v226, v139
	s_wait_loadcnt_dscnt 0xe09
	v_dual_mul_f32 v13, v235, v147 :: v_dual_fma_f32 v67, v222, v134, -v71
	s_delay_alu instid0(VALU_DEP_3) | instskip(NEXT) | instid1(VALU_DEP_3)
	v_dual_fmac_f32 v17, v223, v134 :: v_dual_add_f32 v9, v9, v15
	v_dual_add_f32 v11, v11, v65 :: v_dual_fmac_f32 v19, v225, v136
	v_dual_mul_f32 v15, v237, v149 :: v_dual_fma_f32 v65, v224, v136, -v73
	s_delay_alu instid0(VALU_DEP_2) | instskip(SKIP_3) | instid1(VALU_DEP_3)
	v_dual_add_f32 v9, v9, v17 :: v_dual_add_f32 v11, v11, v67
	v_dual_mul_f32 v23, v228, v141 :: v_dual_mul_f32 v25, v230, v143
	s_wait_loadcnt_dscnt 0xd08
	v_dual_mul_f32 v17, v239, v151 :: v_dual_fma_f32 v67, v226, v138, -v75
	v_dual_fmac_f32 v21, v227, v138 :: v_dual_add_f32 v9, v9, v19
	s_delay_alu instid0(VALU_DEP_3) | instskip(SKIP_1) | instid1(VALU_DEP_2)
	v_dual_add_f32 v11, v11, v65 :: v_dual_fmac_f32 v23, v229, v140
	v_dual_mul_f32 v19, v241, v153 :: v_dual_fma_f32 v65, v228, v140, -v77
	v_dual_add_f32 v9, v9, v21 :: v_dual_add_f32 v11, v11, v67
	v_dual_mul_f32 v27, v232, v145 :: v_dual_mul_f32 v29, v234, v147
	s_wait_loadcnt_dscnt 0xc07
	v_dual_mul_f32 v21, v243, v155 :: v_dual_fma_f32 v67, v230, v142, -v79
	s_delay_alu instid0(VALU_DEP_3) | instskip(NEXT) | instid1(VALU_DEP_3)
	v_dual_fmac_f32 v25, v231, v142 :: v_dual_add_f32 v9, v9, v23
	v_dual_add_f32 v11, v11, v65 :: v_dual_fmac_f32 v27, v233, v144
	v_dual_mul_f32 v23, v245, v157 :: v_dual_fma_f32 v63, v232, v144, -v63
	s_delay_alu instid0(VALU_DEP_2) | instskip(SKIP_3) | instid1(VALU_DEP_3)
	v_dual_add_f32 v9, v9, v25 :: v_dual_add_f32 v11, v11, v67
	v_dual_mul_f32 v31, v236, v149 :: v_dual_mul_f32 v33, v238, v151
	s_wait_loadcnt_dscnt 0xb06
	v_dual_mul_f32 v25, v247, v159 :: v_dual_fma_f32 v13, v234, v146, -v13
	v_dual_fmac_f32 v29, v235, v146 :: v_dual_add_f32 v9, v9, v27
	v_dual_add_f32 v11, v11, v63 :: v_dual_mul_f32 v27, v249, v161
	v_fmac_f32_e32 v31, v237, v148
	s_delay_alu instid0(VALU_DEP_3) | instskip(NEXT) | instid1(VALU_DEP_3)
	v_dual_fma_f32 v15, v236, v148, -v15 :: v_dual_add_f32 v9, v9, v29
	v_add_f32_e32 v11, v11, v13
	v_dual_mul_f32 v35, v240, v153 :: v_dual_mul_f32 v37, v242, v155
	s_wait_loadcnt_dscnt 0xa05
	v_dual_mul_f32 v13, v251, v163 :: v_dual_fma_f32 v17, v238, v150, -v17
	v_dual_fmac_f32 v33, v239, v150 :: v_dual_add_f32 v9, v9, v31
	v_dual_add_f32 v11, v11, v15 :: v_dual_mul_f32 v15, v253, v165
	v_fmac_f32_e32 v35, v241, v152
	s_delay_alu instid0(VALU_DEP_3) | instskip(NEXT) | instid1(VALU_DEP_3)
	v_dual_fma_f32 v19, v240, v152, -v19 :: v_dual_add_f32 v9, v9, v33
	v_add_f32_e32 v11, v11, v17
	v_dual_mul_f32 v39, v244, v157 :: v_dual_mul_f32 v41, v246, v159
	s_wait_loadcnt_dscnt 0x904
	v_dual_mul_f32 v17, v255, v167 :: v_dual_fma_f32 v21, v242, v154, -v21
	v_dual_fmac_f32 v37, v243, v154 :: v_dual_add_f32 v9, v9, v35
	s_delay_alu instid0(VALU_DEP_3) | instskip(SKIP_2) | instid1(VALU_DEP_4)
	v_dual_add_f32 v11, v11, v19 :: v_dual_fmac_f32 v39, v245, v156
	v_fma_f32 v23, v244, v156, -v23
	v_dual_mul_f32 v43, v248, v161 :: v_dual_mul_f32 v45, v250, v163
	v_add_f32_e32 v9, v9, v37
	s_delay_alu instid0(VALU_DEP_4) | instskip(NEXT) | instid1(VALU_DEP_3)
	v_dual_add_f32 v11, v11, v21 :: v_dual_fma_f32 v25, v246, v158, -v25
	v_dual_fmac_f32 v41, v247, v158 :: v_dual_fmac_f32 v43, v249, v160
	s_delay_alu instid0(VALU_DEP_3) | instskip(NEXT) | instid1(VALU_DEP_3)
	v_add_f32_e32 v9, v9, v39
	v_dual_add_f32 v11, v11, v23 :: v_dual_fma_f32 v27, v248, v160, -v27
	v_dual_mul_f32 v47, v252, v165 :: v_dual_mul_f32 v49, v254, v167
	s_delay_alu instid0(VALU_DEP_3) | instskip(NEXT) | instid1(VALU_DEP_3)
	v_add_f32_e32 v9, v9, v41
	v_dual_add_f32 v11, v11, v25 :: v_dual_fma_f32 v13, v250, v162, -v13
	s_delay_alu instid0(VALU_DEP_3) | instskip(NEXT) | instid1(VALU_DEP_3)
	v_dual_fmac_f32 v45, v251, v162 :: v_dual_fmac_f32 v47, v253, v164
	v_add_f32_e32 v9, v9, v43
	s_delay_alu instid0(VALU_DEP_3)
	v_dual_add_f32 v11, v11, v27 :: v_dual_fma_f32 v15, v252, v164, -v15
	s_wait_loadcnt_dscnt 0x803
	s_set_vgpr_msb 1                        ;  msbs: dst=0 src0=1 src1=0 src2=0
	v_dual_mul_f32 v51, v0 /*v256*/, v169 :: v_dual_mul_f32 v53, v2 /*v258*/, v171
	s_set_vgpr_msb 0                        ;  msbs: dst=0 src0=0 src1=0 src2=0
	v_add_f32_e32 v9, v9, v45
	v_dual_add_f32 v11, v11, v13 :: v_dual_fma_f32 v17, v254, v166, -v17
	s_set_vgpr_msb 1                        ;  msbs: dst=0 src0=1 src1=0 src2=0
	v_dual_mul_f32 v19, v1 /*v257*/, v169 :: v_dual_mul_f32 v21, v3 /*v259*/, v171
	s_set_vgpr_msb 0                        ;  msbs: dst=0 src0=0 src1=0 src2=0
	v_dual_fmac_f32 v49, v255, v166 :: v_dual_add_f32 v9, v9, v47
	v_add_f32_e32 v11, v11, v15
	s_wait_loadcnt_dscnt 0x601
	s_set_vgpr_msb 1                        ;  msbs: dst=0 src0=1 src1=0 src2=0
	v_dual_mul_f32 v15, v13 /*v269*/, v181 :: v_dual_fma_f32 v19, v0 /*v256*/, v168, -v19
	v_dual_fmac_f32 v51, v1 /*v257*/, v168 :: v_dual_fmac_f32 v53, v3 /*v259*/, v170
	s_set_vgpr_msb 0                        ;  msbs: dst=0 src0=0 src1=0 src2=0
	v_add_f32_e32 v9, v9, v49
	v_add_f32_e32 v11, v11, v17
	s_set_vgpr_msb 1                        ;  msbs: dst=0 src0=1 src1=0 src2=0
	v_dual_mul_f32 v55, v4 /*v260*/, v173 :: v_dual_mul_f32 v57, v6 /*v262*/, v175
	v_dual_mul_f32 v23, v5 /*v261*/, v173 :: v_dual_mul_f32 v25, v7 /*v263*/, v175
	s_delay_alu instid0(VALU_DEP_2)
	v_dual_fma_f32 v21, v2 /*v258*/, v170, -v21 :: v_dual_fmac_f32 v55, v5 /*v261*/, v172
	s_set_vgpr_msb 0                        ;  msbs: dst=0 src0=0 src1=0 src2=0
	v_add_f32_e32 v9, v9, v51
	v_add_f32_e32 v11, v11, v19
	s_set_vgpr_msb 1                        ;  msbs: dst=0 src0=1 src1=0 src2=0
	v_dual_fma_f32 v19, v4 /*v260*/, v172, -v23 :: v_dual_fmac_f32 v57, v7 /*v263*/, v174
	v_dual_mul_f32 v59, v8 /*v264*/, v177 :: v_dual_mul_f32 v61, v10 /*v266*/, v179
	s_set_vgpr_msb 0                        ;  msbs: dst=0 src0=0 src1=0 src2=0
	v_add_f32_e32 v9, v9, v53
	v_add_f32_e32 v11, v11, v21
	s_set_vgpr_msb 1                        ;  msbs: dst=0 src0=1 src1=0 src2=0
	v_dual_mul_f32 v27, v9 /*v265*/, v177 :: v_dual_mul_f32 v13, v11 /*v267*/, v179
	v_dual_fma_f32 v21, v6 /*v262*/, v174, -v25 :: v_dual_fmac_f32 v59, v9 /*v265*/, v176
	s_set_vgpr_msb 0                        ;  msbs: dst=0 src0=0 src1=0 src2=0
	v_add_f32_e32 v9, v9, v55
	s_wait_loadcnt 0x4
	v_dual_add_f32 v11, v11, v19 :: v_dual_mov_b32 v130, v189
	v_dual_mul_f32 v17, v199, v183 :: v_dual_mov_b32 v126, v185
	s_set_vgpr_msb 1                        ;  msbs: dst=0 src0=1 src1=0 src2=0
	v_dual_fma_f32 v19, v8 /*v264*/, v176, -v27 :: v_dual_fmac_f32 v61, v11 /*v267*/, v178
	s_set_vgpr_msb 0                        ;  msbs: dst=0 src0=0 src1=0 src2=0
	v_add_f32_e32 v11, v11, v21
	v_add_f32_e32 v9, v9, v57
	s_set_vgpr_msb 0x41                     ;  msbs: dst=1 src0=1 src1=0 src2=0
	v_dual_mul_f32 v29 /*v285*/, v12 /*v268*/, v181 :: v_dual_fma_f32 v28 /*v284*/, v12 /*v268*/, v180, -v15
	s_set_vgpr_msb 1                        ;  msbs: dst=0 src0=1 src1=0 src2=0
	v_fma_f32 v13, v10 /*v266*/, v178, -v13
	s_set_vgpr_msb 0                        ;  msbs: dst=0 src0=0 src1=0 src2=0
	v_add_f32_e32 v11, v11, v19
	v_add_f32_e32 v9, v9, v59
	s_set_vgpr_msb 1                        ;  msbs: dst=0 src0=1 src1=0 src2=0
	v_pk_mul_f32 v[126:127], v[20:21] /*v[276:277]*/, v[126:127] op_sel_hi:[1,0]
	s_set_vgpr_msb 64                       ;  msbs: dst=1 src0=0 src1=0 src2=0
	v_dual_mul_f32 v31 /*v287*/, v198, v183 :: v_dual_fma_f32 v30 /*v286*/, v198, v182, -v17
	s_set_vgpr_msb 0x41                     ;  msbs: dst=1 src0=1 src1=0 src2=0
	v_fmac_f32_e32 v29 /*v285*/, v13 /*v269*/, v180
	s_wait_loadcnt 0x3
	s_set_vgpr_msb 0                        ;  msbs: dst=0 src0=0 src1=0 src2=0
	v_dual_add_f32 v134, v11, v13 :: v_dual_mov_b32 v136, v193
	v_pk_fma_f32 v[138:139], v[200:201], v[184:185], v[126:127] op_sel_hi:[1,0,1]
	v_add_f32_e32 v135, v9, v61
	v_pk_fma_f32 v[126:127], v[200:201], v[184:185], v[126:127] neg_lo:[0,0,1] neg_hi:[0,0,1]
	v_pk_mul_f32 v[128:129], v[202:203], v[186:187] op_sel:[1,1] op_sel_hi:[0,1]
	s_set_vgpr_msb 64                       ;  msbs: dst=1 src0=0 src1=0 src2=0
	v_fmac_f32_e32 v31 /*v287*/, v199, v182
	s_set_vgpr_msb 4                        ;  msbs: dst=0 src0=0 src1=1 src2=0
	v_mov_b32_e32 v127, v139
	v_pk_add_f32 v[134:135], v[134:135], v[28:29] /*v[284:285]*/
	s_set_vgpr_msb 1                        ;  msbs: dst=0 src0=1 src1=0 src2=0
	v_pk_mul_f32 v[130:131], v[22:23] /*v[278:279]*/, v[130:131] op_sel_hi:[1,0]
	s_set_vgpr_msb 0                        ;  msbs: dst=0 src0=0 src1=0 src2=0
	v_pk_fma_f32 v[140:141], v[202:203], v[186:187], v[128:129] op_sel_hi:[1,0,1]
	v_pk_fma_f32 v[128:129], v[202:203], v[186:187], v[128:129] neg_lo:[0,0,1] neg_hi:[0,0,1]
	v_pk_mul_f32 v[132:133], v[206:207], v[190:191] op_sel:[1,1] op_sel_hi:[0,1]
	s_set_vgpr_msb 4                        ;  msbs: dst=0 src0=0 src1=1 src2=0
	v_pk_add_f32 v[134:135], v[134:135], v[30:31] /*v[286:287]*/
	s_set_vgpr_msb 1                        ;  msbs: dst=0 src0=1 src1=0 src2=0
	v_pk_mul_f32 v[136:137], v[24:25] /*v[280:281]*/, v[136:137] op_sel_hi:[1,0]
	s_set_vgpr_msb 0                        ;  msbs: dst=0 src0=0 src1=0 src2=0
	v_mov_b32_e32 v129, v141
	v_pk_fma_f32 v[140:141], v[204:205], v[188:189], v[130:131] op_sel_hi:[1,0,1]
	v_pk_fma_f32 v[130:131], v[204:205], v[188:189], v[130:131] neg_lo:[0,0,1] neg_hi:[0,0,1]
	v_pk_add_f32 v[126:127], v[134:135], v[126:127]
	v_pk_fma_f32 v[134:135], v[206:207], v[190:191], v[132:133] op_sel_hi:[1,0,1]
	v_pk_fma_f32 v[132:133], v[206:207], v[190:191], v[132:133] neg_lo:[0,0,1] neg_hi:[0,0,1]
	v_mov_b32_e32 v131, v141
	s_wait_loadcnt 0x2
	v_pk_mul_f32 v[138:139], v[218:219], v[194:195] op_sel:[1,1] op_sel_hi:[0,1]
	v_pk_add_f32 v[126:127], v[126:127], v[128:129]
	v_dual_mov_b32 v128, v197 :: v_dual_mov_b32 v133, v135
	v_pk_fma_f32 v[134:135], v[208:209], v[192:193], v[136:137] op_sel_hi:[1,0,1]
	v_pk_fma_f32 v[136:137], v[208:209], v[192:193], v[136:137] neg_lo:[0,0,1] neg_hi:[0,0,1]
	s_delay_alu instid0(VALU_DEP_4)
	v_pk_add_f32 v[126:127], v[126:127], v[130:131]
	v_pk_fma_f32 v[130:131], v[218:219], v[194:195], v[138:139] op_sel_hi:[1,0,1]
	s_set_vgpr_msb 1                        ;  msbs: dst=0 src0=1 src1=0 src2=0
	v_pk_mul_f32 v[128:129], v[26:27] /*v[282:283]*/, v[128:129] op_sel_hi:[1,0]
	s_set_vgpr_msb 0                        ;  msbs: dst=0 src0=0 src1=0 src2=0
	v_mov_b32_e32 v137, v135
	s_wait_loadcnt_dscnt 0x100
	s_set_vgpr_msb 5                        ;  msbs: dst=0 src0=1 src1=1 src2=0
	v_pk_mul_f32 v[134:135], v[18:19] /*v[274:275]*/, v[14:15] /*v[270:271]*/ op_sel:[1,1] op_sel_hi:[0,1]
	s_set_vgpr_msb 0                        ;  msbs: dst=0 src0=0 src1=0 src2=0
	v_pk_add_f32 v[126:127], v[126:127], v[132:133]
	v_pk_fma_f32 v[132:133], v[218:219], v[194:195], v[138:139] neg_lo:[0,0,1] neg_hi:[0,0,1]
	v_mov_b32_e32 v133, v131
	v_pk_fma_f32 v[130:131], v[220:221], v[196:197], v[128:129] op_sel_hi:[1,0,1]
	v_pk_fma_f32 v[128:129], v[220:221], v[196:197], v[128:129] neg_lo:[0,0,1] neg_hi:[0,0,1]
	v_pk_add_f32 v[126:127], v[126:127], v[136:137]
	s_delay_alu instid0(VALU_DEP_3)
	v_mov_b32_e32 v129, v131
	s_set_vgpr_msb 5                        ;  msbs: dst=0 src0=1 src1=1 src2=0
	v_pk_fma_f32 v[130:131], v[18:19] /*v[274:275]*/, v[14:15] /*v[270:271]*/, v[134:135] op_sel_hi:[1,0,1]
	s_set_vgpr_msb 0                        ;  msbs: dst=0 src0=0 src1=0 src2=0
	v_pk_add_f32 v[126:127], v[126:127], v[132:133]
	s_set_vgpr_msb 5                        ;  msbs: dst=0 src0=1 src1=1 src2=0
	v_pk_fma_f32 v[132:133], v[18:19] /*v[274:275]*/, v[14:15] /*v[270:271]*/, v[134:135] neg_lo:[0,0,1] neg_hi:[0,0,1]
	s_set_vgpr_msb 0                        ;  msbs: dst=0 src0=0 src1=0 src2=0
	v_mov_b32_e32 v133, v131
	v_pk_add_f32 v[126:127], v[126:127], v[128:129]
	s_delay_alu instid0(VALU_DEP_1) | instskip(SKIP_2) | instid1(VALU_DEP_1)
	v_pk_add_f32 v[126:127], v[126:127], v[132:133]
	s_wait_loadcnt 0x0
	s_set_vgpr_msb 1                        ;  msbs: dst=0 src0=1 src1=0 src2=0
	v_pk_add_f32 v[126:127], v[16:17] /*v[272:273]*/, v[126:127] neg_lo:[0,1] neg_hi:[0,1]
	scratch_store_b64 off, v[126:127], off offset:192
	s_wait_xcnt 0x0
	v_cmpx_lt_u32_e32 23, v0
	s_set_vgpr_msb 0                        ;  msbs: dst=0 src0=0 src1=0 src2=0
	s_cbranch_execz .LBB125_339
; %bb.338:
	scratch_load_b64 v[126:127], off, off offset:184
	v_mov_b64_e32 v[128:129], 0
	scratch_store_b64 off, v[128:129], off offset:184
	s_wait_loadcnt 0x0
	ds_store_b64 v1, v[126:127]
.LBB125_339:
	s_wait_xcnt 0x0
	s_or_b32 exec_lo, exec_lo, s0
	s_wait_storecnt_dscnt 0x0
	s_barrier_signal -1
	s_barrier_wait -1
	ds_load_b128 v[126:129], v7 offset:688
	ds_load_b128 v[130:133], v7 offset:704
	;; [unrolled: 1-line block ×4, first 2 shown]
	s_clause 0xe
	scratch_load_b128 v[142:145], off, off offset:192
	scratch_load_b128 v[146:149], off, off offset:208
	;; [unrolled: 1-line block ×15, first 2 shown]
	ds_load_b128 v[158:161], v7 offset:752
	ds_load_b128 v[166:169], v7 offset:768
	;; [unrolled: 1-line block ×11, first 2 shown]
	s_clause 0x4
	scratch_load_b128 v[246:249], off, off offset:432
	scratch_load_b128 v[250:253], off, off offset:448
	;; [unrolled: 1-line block ×3, first 2 shown]
	s_set_vgpr_msb 64                       ;  msbs: dst=1 src0=0 src1=0 src2=0
	scratch_load_b128 v[2:5] /*v[258:261]*/, off, off offset:480
	s_mov_b32 s0, exec_lo
	s_wait_loadcnt_dscnt 0x120e
	s_set_vgpr_msb 0                        ;  msbs: dst=0 src0=0 src1=0 src2=0
	v_dual_mul_f32 v9, v126, v143 :: v_dual_mul_f32 v11, v128, v145
	s_delay_alu instid0(VALU_DEP_1) | instskip(NEXT) | instid1(VALU_DEP_1)
	v_dual_fmac_f32 v9, v127, v142 :: v_dual_fmac_f32 v11, v129, v144
	v_add_f32_e32 v9, 0, v9
	s_wait_loadcnt_dscnt 0x408
	s_set_vgpr_msb 64                       ;  msbs: dst=1 src0=0 src1=0 src2=0
	v_dual_mul_f32 v9 /*v265*/, v238, v243 :: v_dual_mul_f32 v11 /*v267*/, v240, v245
	s_set_vgpr_msb 0                        ;  msbs: dst=0 src0=0 src1=0 src2=0
	v_add_f32_e32 v9, v9, v11
	v_mul_f32_e32 v11, v130, v147
	s_set_vgpr_msb 64                       ;  msbs: dst=1 src0=0 src1=0 src2=0
	v_dual_fmac_f32 v9 /*v265*/, v239, v242 :: v_dual_fmac_f32 v11 /*v267*/, v241, v244
	s_set_vgpr_msb 0                        ;  msbs: dst=0 src0=0 src1=0 src2=0
	s_delay_alu instid0(VALU_DEP_2) | instskip(NEXT) | instid1(VALU_DEP_1)
	v_fmac_f32_e32 v11, v131, v146
	v_dual_add_f32 v9, v9, v11 :: v_dual_mul_f32 v11, v132, v149
	s_delay_alu instid0(VALU_DEP_1) | instskip(NEXT) | instid1(VALU_DEP_1)
	v_fmac_f32_e32 v11, v133, v148
	v_add_f32_e32 v9, v9, v11
	v_mul_f32_e32 v11, v134, v151
	s_delay_alu instid0(VALU_DEP_1) | instskip(NEXT) | instid1(VALU_DEP_1)
	v_fmac_f32_e32 v11, v135, v150
	v_dual_add_f32 v9, v9, v11 :: v_dual_mul_f32 v11, v136, v153
	s_delay_alu instid0(VALU_DEP_1) | instskip(NEXT) | instid1(VALU_DEP_1)
	v_fmac_f32_e32 v11, v137, v152
	v_add_f32_e32 v9, v9, v11
	v_mul_f32_e32 v11, v138, v155
	s_delay_alu instid0(VALU_DEP_1) | instskip(NEXT) | instid1(VALU_DEP_1)
	;; [unrolled: 7-line block ×4, first 2 shown]
	v_fmac_f32_e32 v11, v167, v170
	v_dual_add_f32 v9, v9, v11 :: v_dual_mul_f32 v11, v168, v173
	s_delay_alu instid0(VALU_DEP_1) | instskip(NEXT) | instid1(VALU_DEP_1)
	v_fmac_f32_e32 v11, v169, v172
	v_add_f32_e32 v9, v9, v11
	s_wait_dscnt 0x7
	v_mul_f32_e32 v11, v174, v179
	s_delay_alu instid0(VALU_DEP_1) | instskip(NEXT) | instid1(VALU_DEP_1)
	v_fmac_f32_e32 v11, v175, v178
	v_dual_add_f32 v9, v9, v11 :: v_dual_mul_f32 v11, v176, v181
	s_delay_alu instid0(VALU_DEP_1) | instskip(NEXT) | instid1(VALU_DEP_1)
	v_fmac_f32_e32 v11, v177, v180
	v_add_f32_e32 v9, v9, v11
	s_wait_dscnt 0x6
	v_mul_f32_e32 v11, v182, v187
	s_delay_alu instid0(VALU_DEP_1) | instskip(NEXT) | instid1(VALU_DEP_1)
	;; [unrolled: 8-line block ×8, first 2 shown]
	v_fmac_f32_e32 v11, v231, v234
	v_dual_add_f32 v9, v9, v11 :: v_dual_mul_f32 v11, v232, v237
	s_delay_alu instid0(VALU_DEP_1) | instskip(SKIP_1) | instid1(VALU_DEP_1)
	v_fmac_f32_e32 v11, v233, v236
	s_set_vgpr_msb 64                       ;  msbs: dst=1 src0=0 src1=0 src2=0
	v_add_f32_e32 v7 /*v263*/, v9, v11
	s_set_vgpr_msb 0                        ;  msbs: dst=0 src0=0 src1=0 src2=0
	v_dual_mul_f32 v9, v127, v143 :: v_dual_mul_f32 v11, v129, v145
	s_delay_alu instid0(VALU_DEP_1) | instskip(NEXT) | instid1(VALU_DEP_1)
	v_dual_fma_f32 v9, v126, v142, -v9 :: v_dual_fma_f32 v11, v128, v144, -v11
	v_add_f32_e32 v9, 0, v9
	s_delay_alu instid0(VALU_DEP_1) | instskip(SKIP_1) | instid1(VALU_DEP_1)
	v_add_f32_e32 v9, v9, v11
	v_mul_f32_e32 v11, v131, v147
	v_fma_f32 v11, v130, v146, -v11
	s_delay_alu instid0(VALU_DEP_1) | instskip(SKIP_1) | instid1(VALU_DEP_1)
	v_add_f32_e32 v9, v9, v11
	v_mul_f32_e32 v11, v133, v149
	v_fma_f32 v11, v132, v148, -v11
	;; [unrolled: 4-line block ×6, first 2 shown]
	ds_load_b128 v[126:129], v7 offset:928
	ds_load_b128 v[130:133], v7 offset:944
	;; [unrolled: 1-line block ×4, first 2 shown]
	v_add_f32_e32 v9, v9, v11
	v_mul_f32_e32 v11, v159, v163
	s_delay_alu instid0(VALU_DEP_1) | instskip(NEXT) | instid1(VALU_DEP_1)
	v_fma_f32 v11, v158, v162, -v11
	v_add_f32_e32 v9, v9, v11
	v_mul_f32_e32 v11, v161, v165
	s_wait_loadcnt_dscnt 0x303
	v_pk_mul_f32 v[144:145], v[126:127], v[246:247] op_sel:[1,1] op_sel_hi:[0,1]
	s_delay_alu instid0(VALU_DEP_2) | instskip(NEXT) | instid1(VALU_DEP_2)
	v_fma_f32 v11, v160, v164, -v11
	v_pk_fma_f32 v[146:147], v[126:127], v[246:247], v[144:145] neg_lo:[0,0,1] neg_hi:[0,0,1]
	v_pk_fma_f32 v[126:127], v[126:127], v[246:247], v[144:145] op_sel_hi:[1,0,1]
	v_mov_b32_e32 v144, v249
	s_delay_alu instid0(VALU_DEP_4) | instskip(SKIP_1) | instid1(VALU_DEP_1)
	v_add_f32_e32 v9, v9, v11
	v_mul_f32_e32 v11, v167, v171
	v_dual_mov_b32 v147, v127 :: v_dual_fma_f32 v11, v166, v170, -v11
	s_delay_alu instid0(VALU_DEP_1) | instskip(SKIP_1) | instid1(VALU_DEP_1)
	v_add_f32_e32 v9, v9, v11
	v_mul_f32_e32 v11, v169, v173
	v_fma_f32 v11, v168, v172, -v11
	s_delay_alu instid0(VALU_DEP_1) | instskip(SKIP_1) | instid1(VALU_DEP_1)
	v_add_f32_e32 v9, v9, v11
	v_mul_f32_e32 v11, v175, v179
	v_fma_f32 v11, v174, v178, -v11
	;; [unrolled: 4-line block ×17, first 2 shown]
	s_set_vgpr_msb 64                       ;  msbs: dst=1 src0=0 src1=0 src2=0
	s_delay_alu instid0(VALU_DEP_1) | instskip(SKIP_3) | instid1(VALU_DEP_1)
	v_add_f32_e32 v6 /*v262*/, v9, v11
	s_set_vgpr_msb 0                        ;  msbs: dst=0 src0=0 src1=0 src2=0
	v_mul_f32_e32 v9, v239, v243
	s_set_vgpr_msb 64                       ;  msbs: dst=1 src0=0 src1=0 src2=0
	v_fma_f32 v8 /*v264*/, v238, v242, -v9
	s_set_vgpr_msb 0                        ;  msbs: dst=0 src0=0 src1=0 src2=0
	v_mul_f32_e32 v9, v241, v245
	s_set_vgpr_msb 5                        ;  msbs: dst=0 src0=1 src1=1 src2=0
	s_delay_alu instid0(VALU_DEP_2) | instskip(SKIP_1) | instid1(VALU_DEP_2)
	v_pk_add_f32 v[142:143], v[6:7] /*v[262:263]*/, v[8:9] /*v[264:265]*/
	s_set_vgpr_msb 64                       ;  msbs: dst=1 src0=0 src1=0 src2=0
	v_fma_f32 v10 /*v266*/, v240, v244, -v9
	s_set_vgpr_msb 4                        ;  msbs: dst=0 src0=0 src1=1 src2=0
	s_delay_alu instid0(VALU_DEP_1) | instskip(SKIP_1) | instid1(VALU_DEP_1)
	v_pk_add_f32 v[142:143], v[142:143], v[10:11] /*v[266:267]*/
	s_set_vgpr_msb 0                        ;  msbs: dst=0 src0=0 src1=0 src2=0
	v_pk_add_f32 v[126:127], v[142:143], v[146:147]
	v_dual_mov_b32 v142, v129 :: v_dual_mov_b32 v143, v128
	s_delay_alu instid0(VALU_DEP_1) | instskip(NEXT) | instid1(VALU_DEP_1)
	v_pk_mul_f32 v[142:143], v[142:143], v[144:145] op_sel_hi:[1,0]
	v_pk_fma_f32 v[144:145], v[128:129], v[248:249], v[142:143] neg_lo:[0,0,1] neg_hi:[0,0,1]
	v_pk_fma_f32 v[128:129], v[128:129], v[248:249], v[142:143] op_sel_hi:[1,0,1]
	s_delay_alu instid0(VALU_DEP_1) | instskip(SKIP_2) | instid1(VALU_DEP_2)
	v_mov_b32_e32 v145, v129
	s_wait_loadcnt_dscnt 0x202
	v_pk_mul_f32 v[128:129], v[130:131], v[250:251] op_sel:[1,1] op_sel_hi:[0,1]
	v_pk_add_f32 v[126:127], v[126:127], v[144:145]
	s_delay_alu instid0(VALU_DEP_2) | instskip(SKIP_2) | instid1(VALU_DEP_2)
	v_pk_fma_f32 v[142:143], v[130:131], v[250:251], v[128:129] neg_lo:[0,0,1] neg_hi:[0,0,1]
	v_pk_fma_f32 v[128:129], v[130:131], v[250:251], v[128:129] op_sel_hi:[1,0,1]
	v_dual_mov_b32 v128, v133 :: v_dual_mov_b32 v130, v253
	v_dual_mov_b32 v143, v129 :: v_dual_mov_b32 v129, v132
	s_delay_alu instid0(VALU_DEP_1) | instskip(NEXT) | instid1(VALU_DEP_2)
	v_pk_add_f32 v[126:127], v[126:127], v[142:143]
	v_pk_mul_f32 v[128:129], v[128:129], v[130:131] op_sel_hi:[1,0]
	s_delay_alu instid0(VALU_DEP_1) | instskip(SKIP_1) | instid1(VALU_DEP_1)
	v_pk_fma_f32 v[130:131], v[132:133], v[252:253], v[128:129] neg_lo:[0,0,1] neg_hi:[0,0,1]
	v_pk_fma_f32 v[128:129], v[132:133], v[252:253], v[128:129] op_sel_hi:[1,0,1]
	v_mov_b32_e32 v131, v129
	s_wait_loadcnt_dscnt 0x101
	v_pk_mul_f32 v[128:129], v[134:135], v[254:255] op_sel:[1,1] op_sel_hi:[0,1]
	s_delay_alu instid0(VALU_DEP_2) | instskip(NEXT) | instid1(VALU_DEP_2)
	v_pk_add_f32 v[126:127], v[126:127], v[130:131]
	v_pk_fma_f32 v[130:131], v[134:135], v[254:255], v[128:129] neg_lo:[0,0,1] neg_hi:[0,0,1]
	v_pk_fma_f32 v[128:129], v[134:135], v[254:255], v[128:129] op_sel_hi:[1,0,1]
	s_delay_alu instid0(VALU_DEP_1) | instskip(SKIP_1) | instid1(VALU_DEP_2)
	v_dual_mov_b32 v128, v137 :: v_dual_mov_b32 v131, v129
	v_mov_b32_e32 v129, v136
	v_pk_add_f32 v[126:127], v[126:127], v[130:131]
	s_set_vgpr_msb 1                        ;  msbs: dst=0 src0=1 src1=0 src2=0
	v_mov_b32_e32 v130, v1 /*v257*/
	s_set_vgpr_msb 0                        ;  msbs: dst=0 src0=0 src1=0 src2=0
	s_delay_alu instid0(VALU_DEP_1) | instskip(SKIP_1) | instid1(VALU_DEP_1)
	v_pk_mul_f32 v[128:129], v[128:129], v[130:131] op_sel_hi:[1,0]
	s_set_vgpr_msb 4                        ;  msbs: dst=0 src0=0 src1=1 src2=0
	v_pk_fma_f32 v[130:131], v[136:137], v[0:1] /*v[256:257]*/, v[128:129] neg_lo:[0,0,1] neg_hi:[0,0,1]
	v_pk_fma_f32 v[128:129], v[136:137], v[0:1] /*v[256:257]*/, v[128:129] op_sel_hi:[1,0,1]
	s_delay_alu instid0(VALU_DEP_1) | instskip(SKIP_3) | instid1(VALU_DEP_2)
	v_mov_b32_e32 v131, v129
	s_wait_loadcnt_dscnt 0x0
	v_pk_mul_f32 v[128:129], v[138:139], v[2:3] /*v[258:259]*/ op_sel:[1,1] op_sel_hi:[0,1]
	s_set_vgpr_msb 0                        ;  msbs: dst=0 src0=0 src1=0 src2=0
	v_pk_add_f32 v[126:127], v[126:127], v[130:131]
	s_set_vgpr_msb 4                        ;  msbs: dst=0 src0=0 src1=1 src2=0
	s_delay_alu instid0(VALU_DEP_2) | instskip(SKIP_1) | instid1(VALU_DEP_1)
	v_pk_fma_f32 v[130:131], v[138:139], v[2:3] /*v[258:259]*/, v[128:129] neg_lo:[0,0,1] neg_hi:[0,0,1]
	v_pk_fma_f32 v[128:129], v[138:139], v[2:3] /*v[258:259]*/, v[128:129] op_sel_hi:[1,0,1]
	v_dual_mov_b32 v128, v141 :: v_dual_mov_b32 v131, v129
	v_mov_b32_e32 v129, v140
	s_set_vgpr_msb 0                        ;  msbs: dst=0 src0=0 src1=0 src2=0
	s_delay_alu instid0(VALU_DEP_2) | instskip(SKIP_3) | instid1(VALU_DEP_1)
	v_pk_add_f32 v[126:127], v[126:127], v[130:131]
	s_set_vgpr_msb 1                        ;  msbs: dst=0 src0=1 src1=0 src2=0
	v_mov_b32_e32 v130, v5 /*v261*/
	s_set_vgpr_msb 0                        ;  msbs: dst=0 src0=0 src1=0 src2=0
	v_pk_mul_f32 v[128:129], v[128:129], v[130:131] op_sel_hi:[1,0]
	s_set_vgpr_msb 4                        ;  msbs: dst=0 src0=0 src1=1 src2=0
	s_delay_alu instid0(VALU_DEP_1) | instskip(SKIP_1) | instid1(VALU_DEP_1)
	v_pk_fma_f32 v[130:131], v[140:141], v[4:5] /*v[260:261]*/, v[128:129] neg_lo:[0,0,1] neg_hi:[0,0,1]
	v_pk_fma_f32 v[128:129], v[140:141], v[4:5] /*v[260:261]*/, v[128:129] op_sel_hi:[1,0,1]
	v_mov_b32_e32 v131, v129
	scratch_load_b64 v[128:129], off, off offset:184
	s_set_vgpr_msb 0                        ;  msbs: dst=0 src0=0 src1=0 src2=0
	v_pk_add_f32 v[126:127], v[126:127], v[130:131]
	s_wait_loadcnt 0x0
	s_delay_alu instid0(VALU_DEP_1)
	v_pk_add_f32 v[126:127], v[128:129], v[126:127] neg_lo:[0,1] neg_hi:[0,1]
	scratch_store_b64 off, v[126:127], off offset:184
	s_wait_xcnt 0x0
	v_cmpx_lt_u32_e32 22, v0
	s_cbranch_execz .LBB125_341
; %bb.340:
	scratch_load_b64 v[126:127], off, off offset:176
	v_mov_b64_e32 v[128:129], 0
	scratch_store_b64 off, v[128:129], off offset:176
	s_wait_loadcnt 0x0
	ds_store_b64 v1, v[126:127]
.LBB125_341:
	s_wait_xcnt 0x0
	s_or_b32 exec_lo, exec_lo, s0
	s_wait_storecnt_dscnt 0x0
	s_barrier_signal -1
	s_barrier_wait -1
	s_clause 0xf
	scratch_load_b128 v[130:133], off, off offset:184
	scratch_load_b128 v[138:141], off, off offset:200
	;; [unrolled: 1-line block ×16, first 2 shown]
	v_mov_b32_e32 v7, 0
	s_mov_b32 s0, exec_lo
	ds_load_2addr_b64 v[126:129], v7 offset0:85 offset1:86
	ds_load_2addr_b64 v[134:137], v7 offset0:87 offset1:88
	s_wait_loadcnt_dscnt 0xf01
	v_dual_mul_f32 v9, v126, v131 :: v_dual_mul_f32 v11, v128, v133
	ds_load_2addr_b64 v[142:145], v7 offset0:89 offset1:90
	ds_load_2addr_b64 v[150:153], v7 offset0:91 offset1:92
	;; [unrolled: 1-line block ×4, first 2 shown]
	v_dual_fmac_f32 v9, v127, v130 :: v_dual_fmac_f32 v11, v129, v132
	ds_load_2addr_b64 v[158:161], v7 offset0:93 offset1:94
	ds_load_2addr_b64 v[166:169], v7 offset0:95 offset1:96
	;; [unrolled: 1-line block ×4, first 2 shown]
	v_add_f32_e32 v9, 0, v9
	ds_load_2addr_b64 v[190:193], v7 offset0:101 offset1:102
	ds_load_2addr_b64 v[198:201], v7 offset0:103 offset1:104
	;; [unrolled: 1-line block ×4, first 2 shown]
	v_add_f32_e32 v9, v9, v11
	s_wait_loadcnt_dscnt 0xe0c
	v_mul_f32_e32 v11, v134, v139
	ds_load_2addr_b64 v[222:225], v7 offset0:109 offset1:110
	ds_load_2addr_b64 v[230:233], v7 offset0:111 offset1:112
	s_clause 0x4
	scratch_load_b128 v[254:257], off, off offset:440
	s_set_vgpr_msb 64                       ;  msbs: dst=1 src0=0 src1=0 src2=0
	scratch_load_b128 v[2:5] /*v[258:261]*/, off, off offset:456
	scratch_load_b128 v[6:9] /*v[262:265]*/, off, off offset:472
	scratch_load_b64 v[16:17] /*v[272:273]*/, off, off offset:488
	s_set_vgpr_msb 0                        ;  msbs: dst=0 src0=0 src1=0 src2=0
	v_fmac_f32_e32 v11, v135, v138
	s_wait_loadcnt_dscnt 0x40a
	s_set_vgpr_msb 64                       ;  msbs: dst=1 src0=0 src1=0 src2=0
	v_dual_mul_f32 v13 /*v269*/, v240, v245 :: v_dual_mul_f32 v15 /*v271*/, v246, v251
	s_set_vgpr_msb 0                        ;  msbs: dst=0 src0=0 src1=0 src2=0
	v_dual_add_f32 v9, v9, v11 :: v_dual_mul_f32 v11, v136, v141
	s_set_vgpr_msb 64                       ;  msbs: dst=1 src0=0 src1=0 src2=0
	s_delay_alu instid0(VALU_DEP_2) | instskip(SKIP_1) | instid1(VALU_DEP_2)
	v_fmac_f32_e32 v13 /*v269*/, v241, v244
	s_set_vgpr_msb 0                        ;  msbs: dst=0 src0=0 src1=0 src2=0
	v_fmac_f32_e32 v11, v137, v140
	s_delay_alu instid0(VALU_DEP_1) | instskip(SKIP_1) | instid1(VALU_DEP_1)
	v_add_f32_e32 v9, v9, v11
	v_mul_f32_e32 v11, v142, v147
	v_fmac_f32_e32 v11, v143, v146
	s_delay_alu instid0(VALU_DEP_1) | instskip(NEXT) | instid1(VALU_DEP_1)
	v_dual_add_f32 v9, v9, v11 :: v_dual_mul_f32 v11, v144, v149
	v_fmac_f32_e32 v11, v145, v148
	s_delay_alu instid0(VALU_DEP_1) | instskip(SKIP_1) | instid1(VALU_DEP_1)
	v_add_f32_e32 v9, v9, v11
	v_mul_f32_e32 v11, v150, v155
	v_fmac_f32_e32 v11, v151, v154
	s_delay_alu instid0(VALU_DEP_1) | instskip(NEXT) | instid1(VALU_DEP_1)
	v_dual_add_f32 v9, v9, v11 :: v_dual_mul_f32 v11, v152, v157
	v_fmac_f32_e32 v11, v153, v156
	s_delay_alu instid0(VALU_DEP_1) | instskip(SKIP_2) | instid1(VALU_DEP_1)
	v_add_f32_e32 v9, v9, v11
	s_wait_dscnt 0x9
	v_mul_f32_e32 v11, v158, v163
	v_fmac_f32_e32 v11, v159, v162
	s_delay_alu instid0(VALU_DEP_1) | instskip(NEXT) | instid1(VALU_DEP_1)
	v_dual_add_f32 v9, v9, v11 :: v_dual_mul_f32 v11, v160, v165
	v_fmac_f32_e32 v11, v161, v164
	s_delay_alu instid0(VALU_DEP_1) | instskip(SKIP_2) | instid1(VALU_DEP_1)
	v_add_f32_e32 v9, v9, v11
	s_wait_dscnt 0x8
	;; [unrolled: 8-line block ×10, first 2 shown]
	v_mul_f32_e32 v11, v230, v235
	v_fmac_f32_e32 v11, v231, v234
	s_delay_alu instid0(VALU_DEP_1) | instskip(NEXT) | instid1(VALU_DEP_1)
	v_dual_add_f32 v9, v9, v11 :: v_dual_mul_f32 v11, v232, v237
	v_fmac_f32_e32 v11, v233, v236
	s_delay_alu instid0(VALU_DEP_1) | instskip(SKIP_1) | instid1(VALU_DEP_1)
	v_add_f32_e32 v9, v9, v11
	v_mul_f32_e32 v11, v238, v243
	v_fmac_f32_e32 v11, v239, v242
	s_set_vgpr_msb 64                       ;  msbs: dst=1 src0=0 src1=0 src2=0
	s_delay_alu instid0(VALU_DEP_1) | instskip(SKIP_2) | instid1(VALU_DEP_1)
	v_add_f32_e32 v11 /*v267*/, v9, v11
	s_set_vgpr_msb 0                        ;  msbs: dst=0 src0=0 src1=0 src2=0
	v_dual_mul_f32 v9, v127, v131 :: v_dual_mul_f32 v11, v129, v133
	v_dual_fma_f32 v9, v126, v130, -v9 :: v_dual_fma_f32 v11, v128, v132, -v11
	s_delay_alu instid0(VALU_DEP_1) | instskip(NEXT) | instid1(VALU_DEP_1)
	v_add_f32_e32 v9, 0, v9
	v_add_f32_e32 v9, v9, v11
	v_mul_f32_e32 v11, v135, v139
	s_delay_alu instid0(VALU_DEP_1) | instskip(NEXT) | instid1(VALU_DEP_1)
	v_fma_f32 v11, v134, v138, -v11
	v_add_f32_e32 v9, v9, v11
	v_mul_f32_e32 v11, v137, v141
	s_delay_alu instid0(VALU_DEP_1)
	v_fma_f32 v11, v136, v140, -v11
	ds_load_2addr_b64 v[126:129], v7 offset0:117 offset1:118
	ds_load_2addr_b64 v[130:133], v7 offset0:119 offset1:120
	;; [unrolled: 1-line block ×3, first 2 shown]
	ds_load_b64 v[138:139], v7 offset:984
	v_add_f32_e32 v9, v9, v11
	v_dual_mul_f32 v11, v143, v147 :: v_dual_mov_b32 v143, v248
	s_delay_alu instid0(VALU_DEP_1) | instskip(NEXT) | instid1(VALU_DEP_1)
	v_dual_fma_f32 v11, v142, v146, -v11 :: v_dual_mov_b32 v142, v249
	v_add_f32_e32 v9, v9, v11
	v_mul_f32_e32 v11, v145, v149
	s_delay_alu instid0(VALU_DEP_1) | instskip(NEXT) | instid1(VALU_DEP_1)
	v_dual_fma_f32 v11, v144, v148, -v11 :: v_dual_mov_b32 v144, v253
	v_add_f32_e32 v9, v9, v11
	v_mul_f32_e32 v11, v151, v155
	s_delay_alu instid0(VALU_DEP_3) | instskip(NEXT) | instid1(VALU_DEP_2)
	v_pk_mul_f32 v[142:143], v[142:143], v[144:145] op_sel_hi:[1,0]
	v_fma_f32 v11, v150, v154, -v11
	s_delay_alu instid0(VALU_DEP_2) | instskip(SKIP_1) | instid1(VALU_DEP_3)
	v_pk_fma_f32 v[144:145], v[248:249], v[252:253], v[142:143] neg_lo:[0,0,1] neg_hi:[0,0,1]
	v_pk_fma_f32 v[142:143], v[248:249], v[252:253], v[142:143] op_sel_hi:[1,0,1]
	v_add_f32_e32 v9, v9, v11
	s_delay_alu instid0(VALU_DEP_2) | instskip(SKIP_2) | instid1(VALU_DEP_2)
	v_dual_mul_f32 v11, v153, v157 :: v_dual_mov_b32 v145, v143
	s_wait_loadcnt_dscnt 0x303
	v_pk_mul_f32 v[142:143], v[126:127], v[254:255] op_sel:[1,1] op_sel_hi:[0,1]
	v_fma_f32 v11, v152, v156, -v11
	s_delay_alu instid0(VALU_DEP_1) | instskip(SKIP_1) | instid1(VALU_DEP_1)
	v_add_f32_e32 v9, v9, v11
	v_mul_f32_e32 v11, v159, v163
	v_fma_f32 v11, v158, v162, -v11
	s_delay_alu instid0(VALU_DEP_1) | instskip(SKIP_1) | instid1(VALU_DEP_1)
	v_add_f32_e32 v9, v9, v11
	v_mul_f32_e32 v11, v161, v165
	;; [unrolled: 4-line block ×21, first 2 shown]
	v_fma_f32 v11, v238, v242, -v11
	s_set_vgpr_msb 64                       ;  msbs: dst=1 src0=0 src1=0 src2=0
	s_delay_alu instid0(VALU_DEP_1) | instskip(SKIP_3) | instid1(VALU_DEP_1)
	v_dual_fmac_f32 v15 /*v271*/, v247, v250 :: v_dual_add_f32 v10 /*v266*/, v9, v11
	s_set_vgpr_msb 0                        ;  msbs: dst=0 src0=0 src1=0 src2=0
	v_mul_f32_e32 v9, v241, v245
	s_set_vgpr_msb 64                       ;  msbs: dst=1 src0=0 src1=0 src2=0
	v_fma_f32 v12 /*v268*/, v240, v244, -v9
	s_set_vgpr_msb 0                        ;  msbs: dst=0 src0=0 src1=0 src2=0
	v_mul_f32_e32 v9, v247, v251
	s_set_vgpr_msb 64                       ;  msbs: dst=1 src0=0 src1=0 src2=0
	s_delay_alu instid0(VALU_DEP_1) | instskip(SKIP_3) | instid1(VALU_DEP_1)
	v_fma_f32 v14 /*v270*/, v246, v250, -v9
	s_set_vgpr_msb 5                        ;  msbs: dst=0 src0=1 src1=1 src2=0
	v_pk_add_f32 v[140:141], v[10:11] /*v[266:267]*/, v[12:13] /*v[268:269]*/
	s_set_vgpr_msb 4                        ;  msbs: dst=0 src0=0 src1=1 src2=0
	v_pk_add_f32 v[140:141], v[140:141], v[14:15] /*v[270:271]*/
	s_set_vgpr_msb 0                        ;  msbs: dst=0 src0=0 src1=0 src2=0
	s_delay_alu instid0(VALU_DEP_1)
	v_pk_add_f32 v[140:141], v[140:141], v[144:145]
	v_pk_fma_f32 v[144:145], v[126:127], v[254:255], v[142:143] neg_lo:[0,0,1] neg_hi:[0,0,1]
	v_pk_fma_f32 v[126:127], v[126:127], v[254:255], v[142:143] op_sel_hi:[1,0,1]
	s_set_vgpr_msb 1                        ;  msbs: dst=0 src0=1 src1=0 src2=0
	v_mov_b32_e32 v142, v1 /*v257*/
	s_set_vgpr_msb 0                        ;  msbs: dst=0 src0=0 src1=0 src2=0
	s_delay_alu instid0(VALU_DEP_2) | instskip(NEXT) | instid1(VALU_DEP_1)
	v_mov_b32_e32 v145, v127
	v_pk_add_f32 v[126:127], v[140:141], v[144:145]
	v_dual_mov_b32 v140, v129 :: v_dual_mov_b32 v141, v128
	s_delay_alu instid0(VALU_DEP_1) | instskip(SKIP_1) | instid1(VALU_DEP_1)
	v_pk_mul_f32 v[140:141], v[140:141], v[142:143] op_sel_hi:[1,0]
	s_set_vgpr_msb 4                        ;  msbs: dst=0 src0=0 src1=1 src2=0
	v_pk_fma_f32 v[142:143], v[128:129], v[0:1] /*v[256:257]*/, v[140:141] neg_lo:[0,0,1] neg_hi:[0,0,1]
	v_pk_fma_f32 v[128:129], v[128:129], v[0:1] /*v[256:257]*/, v[140:141] op_sel_hi:[1,0,1]
	s_delay_alu instid0(VALU_DEP_1) | instskip(SKIP_3) | instid1(VALU_DEP_2)
	v_mov_b32_e32 v143, v129
	s_wait_loadcnt_dscnt 0x202
	v_pk_mul_f32 v[128:129], v[130:131], v[2:3] /*v[258:259]*/ op_sel:[1,1] op_sel_hi:[0,1]
	s_set_vgpr_msb 0                        ;  msbs: dst=0 src0=0 src1=0 src2=0
	v_pk_add_f32 v[126:127], v[126:127], v[142:143]
	s_set_vgpr_msb 4                        ;  msbs: dst=0 src0=0 src1=1 src2=0
	s_delay_alu instid0(VALU_DEP_2)
	v_pk_fma_f32 v[140:141], v[130:131], v[2:3] /*v[258:259]*/, v[128:129] neg_lo:[0,0,1] neg_hi:[0,0,1]
	v_pk_fma_f32 v[128:129], v[130:131], v[2:3] /*v[258:259]*/, v[128:129] op_sel_hi:[1,0,1]
	v_mov_b32_e32 v128, v133
	s_set_vgpr_msb 1                        ;  msbs: dst=0 src0=1 src1=0 src2=0
	v_mov_b32_e32 v130, v5 /*v261*/
	s_set_vgpr_msb 0                        ;  msbs: dst=0 src0=0 src1=0 src2=0
	v_dual_mov_b32 v141, v129 :: v_dual_mov_b32 v129, v132
	s_delay_alu instid0(VALU_DEP_1) | instskip(NEXT) | instid1(VALU_DEP_2)
	v_pk_add_f32 v[126:127], v[126:127], v[140:141]
	v_pk_mul_f32 v[128:129], v[128:129], v[130:131] op_sel_hi:[1,0]
	s_set_vgpr_msb 4                        ;  msbs: dst=0 src0=0 src1=1 src2=0
	s_delay_alu instid0(VALU_DEP_1) | instskip(SKIP_1) | instid1(VALU_DEP_1)
	v_pk_fma_f32 v[130:131], v[132:133], v[4:5] /*v[260:261]*/, v[128:129] neg_lo:[0,0,1] neg_hi:[0,0,1]
	v_pk_fma_f32 v[128:129], v[132:133], v[4:5] /*v[260:261]*/, v[128:129] op_sel_hi:[1,0,1]
	v_mov_b32_e32 v131, v129
	s_wait_loadcnt_dscnt 0x101
	v_pk_mul_f32 v[128:129], v[134:135], v[6:7] /*v[262:263]*/ op_sel:[1,1] op_sel_hi:[0,1]
	s_set_vgpr_msb 0                        ;  msbs: dst=0 src0=0 src1=0 src2=0
	s_delay_alu instid0(VALU_DEP_2) | instskip(SKIP_1) | instid1(VALU_DEP_2)
	v_pk_add_f32 v[126:127], v[126:127], v[130:131]
	s_set_vgpr_msb 4                        ;  msbs: dst=0 src0=0 src1=1 src2=0
	v_pk_fma_f32 v[130:131], v[134:135], v[6:7] /*v[262:263]*/, v[128:129] neg_lo:[0,0,1] neg_hi:[0,0,1]
	v_pk_fma_f32 v[128:129], v[134:135], v[6:7] /*v[262:263]*/, v[128:129] op_sel_hi:[1,0,1]
	s_delay_alu instid0(VALU_DEP_1) | instskip(SKIP_2) | instid1(VALU_DEP_2)
	v_dual_mov_b32 v128, v137 :: v_dual_mov_b32 v131, v129
	v_mov_b32_e32 v129, v136
	s_set_vgpr_msb 0                        ;  msbs: dst=0 src0=0 src1=0 src2=0
	v_pk_add_f32 v[126:127], v[126:127], v[130:131]
	s_set_vgpr_msb 1                        ;  msbs: dst=0 src0=1 src1=0 src2=0
	v_mov_b32_e32 v130, v9 /*v265*/
	s_set_vgpr_msb 0                        ;  msbs: dst=0 src0=0 src1=0 src2=0
	s_delay_alu instid0(VALU_DEP_1) | instskip(SKIP_1) | instid1(VALU_DEP_1)
	v_pk_mul_f32 v[128:129], v[128:129], v[130:131] op_sel_hi:[1,0]
	s_set_vgpr_msb 4                        ;  msbs: dst=0 src0=0 src1=1 src2=0
	v_pk_fma_f32 v[130:131], v[136:137], v[8:9] /*v[264:265]*/, v[128:129] neg_lo:[0,0,1] neg_hi:[0,0,1]
	v_pk_fma_f32 v[128:129], v[136:137], v[8:9] /*v[264:265]*/, v[128:129] op_sel_hi:[1,0,1]
	s_delay_alu instid0(VALU_DEP_1) | instskip(SKIP_3) | instid1(VALU_DEP_2)
	v_mov_b32_e32 v131, v129
	s_wait_loadcnt_dscnt 0x0
	v_pk_mul_f32 v[128:129], v[138:139], v[16:17] /*v[272:273]*/ op_sel:[1,1] op_sel_hi:[0,1]
	s_set_vgpr_msb 0                        ;  msbs: dst=0 src0=0 src1=0 src2=0
	v_pk_add_f32 v[126:127], v[126:127], v[130:131]
	s_set_vgpr_msb 4                        ;  msbs: dst=0 src0=0 src1=1 src2=0
	s_delay_alu instid0(VALU_DEP_2) | instskip(SKIP_1) | instid1(VALU_DEP_1)
	v_pk_fma_f32 v[130:131], v[138:139], v[16:17] /*v[272:273]*/, v[128:129] neg_lo:[0,0,1] neg_hi:[0,0,1]
	v_pk_fma_f32 v[128:129], v[138:139], v[16:17] /*v[272:273]*/, v[128:129] op_sel_hi:[1,0,1]
	v_mov_b32_e32 v131, v129
	scratch_load_b64 v[128:129], off, off offset:176
	s_set_vgpr_msb 0                        ;  msbs: dst=0 src0=0 src1=0 src2=0
	v_pk_add_f32 v[126:127], v[126:127], v[130:131]
	s_wait_loadcnt 0x0
	s_delay_alu instid0(VALU_DEP_1)
	v_pk_add_f32 v[126:127], v[128:129], v[126:127] neg_lo:[0,1] neg_hi:[0,1]
	scratch_store_b64 off, v[126:127], off offset:176
	s_wait_xcnt 0x0
	v_cmpx_lt_u32_e32 21, v0
	s_cbranch_execz .LBB125_343
; %bb.342:
	scratch_load_b64 v[126:127], off, off offset:168
	v_mov_b64_e32 v[128:129], 0
	scratch_store_b64 off, v[128:129], off offset:168
	s_wait_loadcnt 0x0
	ds_store_b64 v1, v[126:127]
.LBB125_343:
	s_wait_xcnt 0x0
	s_or_b32 exec_lo, exec_lo, s0
	s_wait_storecnt_dscnt 0x0
	s_barrier_signal -1
	s_barrier_wait -1
	ds_load_b128 v[126:129], v7 offset:672
	ds_load_b128 v[130:133], v7 offset:688
	;; [unrolled: 1-line block ×4, first 2 shown]
	s_clause 0xf
	scratch_load_b128 v[142:145], off, off offset:176
	scratch_load_b128 v[146:149], off, off offset:192
	;; [unrolled: 1-line block ×16, first 2 shown]
	ds_load_b128 v[158:161], v7 offset:736
	ds_load_b128 v[166:169], v7 offset:752
	;; [unrolled: 1-line block ×12, first 2 shown]
	s_clause 0x4
	scratch_load_b128 v[254:257], off, off offset:432
	s_set_vgpr_msb 64                       ;  msbs: dst=1 src0=0 src1=0 src2=0
	scratch_load_b128 v[2:5] /*v[258:261]*/, off, off offset:448
	scratch_load_b128 v[6:9] /*v[262:265]*/, off, off offset:464
	;; [unrolled: 1-line block ×3, first 2 shown]
	s_mov_b32 s0, exec_lo
	s_wait_loadcnt_dscnt 0x130f
	s_set_vgpr_msb 0                        ;  msbs: dst=0 src0=0 src1=0 src2=0
	v_dual_mul_f32 v9, v126, v143 :: v_dual_mul_f32 v11, v128, v145
	s_delay_alu instid0(VALU_DEP_1) | instskip(NEXT) | instid1(VALU_DEP_1)
	v_dual_fmac_f32 v9, v127, v142 :: v_dual_fmac_f32 v11, v129, v144
	v_add_f32_e32 v9, 0, v9
	s_delay_alu instid0(VALU_DEP_1)
	v_add_f32_e32 v9, v9, v11
	s_wait_loadcnt_dscnt 0x120e
	v_mul_f32_e32 v11, v130, v147
	s_wait_loadcnt_dscnt 0x408
	s_set_vgpr_msb 64                       ;  msbs: dst=1 src0=0 src1=0 src2=0
	v_dual_mul_f32 v17 /*v273*/, v246, v251 :: v_dual_mul_f32 v19 /*v275*/, v248, v253
	s_set_vgpr_msb 0                        ;  msbs: dst=0 src0=0 src1=0 src2=0
	v_fmac_f32_e32 v11, v131, v146
	s_set_vgpr_msb 64                       ;  msbs: dst=1 src0=0 src1=0 src2=0
	s_delay_alu instid0(VALU_DEP_2) | instskip(SKIP_1) | instid1(VALU_DEP_2)
	v_dual_fmac_f32 v17 /*v273*/, v247, v250 :: v_dual_fmac_f32 v19 /*v275*/, v249, v252
	s_set_vgpr_msb 0                        ;  msbs: dst=0 src0=0 src1=0 src2=0
	v_dual_add_f32 v9, v9, v11 :: v_dual_mul_f32 v11, v132, v149
	s_delay_alu instid0(VALU_DEP_1) | instskip(NEXT) | instid1(VALU_DEP_1)
	v_fmac_f32_e32 v11, v133, v148
	v_add_f32_e32 v9, v9, v11
	v_mul_f32_e32 v11, v134, v151
	s_delay_alu instid0(VALU_DEP_1) | instskip(NEXT) | instid1(VALU_DEP_1)
	v_fmac_f32_e32 v11, v135, v150
	v_dual_add_f32 v9, v9, v11 :: v_dual_mul_f32 v11, v136, v153
	s_delay_alu instid0(VALU_DEP_1) | instskip(NEXT) | instid1(VALU_DEP_1)
	v_fmac_f32_e32 v11, v137, v152
	v_add_f32_e32 v9, v9, v11
	v_mul_f32_e32 v11, v138, v155
	s_delay_alu instid0(VALU_DEP_1) | instskip(NEXT) | instid1(VALU_DEP_1)
	v_fmac_f32_e32 v11, v139, v154
	;; [unrolled: 7-line block ×4, first 2 shown]
	v_dual_add_f32 v9, v9, v11 :: v_dual_mul_f32 v11, v168, v173
	s_delay_alu instid0(VALU_DEP_1) | instskip(NEXT) | instid1(VALU_DEP_1)
	v_fmac_f32_e32 v11, v169, v172
	v_add_f32_e32 v9, v9, v11
	s_wait_dscnt 0x7
	v_mul_f32_e32 v11, v174, v179
	s_delay_alu instid0(VALU_DEP_1) | instskip(NEXT) | instid1(VALU_DEP_1)
	v_fmac_f32_e32 v11, v175, v178
	v_dual_add_f32 v9, v9, v11 :: v_dual_mul_f32 v11, v176, v181
	s_delay_alu instid0(VALU_DEP_1) | instskip(NEXT) | instid1(VALU_DEP_1)
	v_fmac_f32_e32 v11, v177, v180
	v_add_f32_e32 v9, v9, v11
	s_wait_dscnt 0x6
	v_mul_f32_e32 v11, v182, v187
	s_delay_alu instid0(VALU_DEP_1) | instskip(NEXT) | instid1(VALU_DEP_1)
	v_fmac_f32_e32 v11, v183, v186
	;; [unrolled: 8-line block ×8, first 2 shown]
	v_dual_add_f32 v9, v9, v11 :: v_dual_mul_f32 v11, v232, v237
	s_delay_alu instid0(VALU_DEP_1) | instskip(NEXT) | instid1(VALU_DEP_1)
	v_fmac_f32_e32 v11, v233, v236
	v_add_f32_e32 v9, v9, v11
	v_mul_f32_e32 v11, v238, v243
	s_delay_alu instid0(VALU_DEP_1) | instskip(NEXT) | instid1(VALU_DEP_1)
	v_fmac_f32_e32 v11, v239, v242
	v_dual_add_f32 v9, v9, v11 :: v_dual_mul_f32 v11, v240, v245
	s_delay_alu instid0(VALU_DEP_1) | instskip(SKIP_1) | instid1(VALU_DEP_1)
	v_fmac_f32_e32 v11, v241, v244
	s_set_vgpr_msb 64                       ;  msbs: dst=1 src0=0 src1=0 src2=0
	v_add_f32_e32 v15 /*v271*/, v9, v11
	s_set_vgpr_msb 0                        ;  msbs: dst=0 src0=0 src1=0 src2=0
	v_dual_mul_f32 v9, v127, v143 :: v_dual_mul_f32 v11, v129, v145
	s_delay_alu instid0(VALU_DEP_1) | instskip(NEXT) | instid1(VALU_DEP_1)
	v_dual_fma_f32 v9, v126, v142, -v9 :: v_dual_fma_f32 v11, v128, v144, -v11
	v_add_f32_e32 v9, 0, v9
	s_delay_alu instid0(VALU_DEP_1) | instskip(SKIP_1) | instid1(VALU_DEP_1)
	v_add_f32_e32 v9, v9, v11
	v_mul_f32_e32 v11, v131, v147
	v_fma_f32 v11, v130, v146, -v11
	s_delay_alu instid0(VALU_DEP_1) | instskip(SKIP_1) | instid1(VALU_DEP_1)
	v_add_f32_e32 v9, v9, v11
	v_mul_f32_e32 v11, v133, v149
	v_fma_f32 v11, v132, v148, -v11
	;; [unrolled: 4-line block ×6, first 2 shown]
	ds_load_b128 v[126:129], v7 offset:928
	ds_load_b128 v[130:133], v7 offset:944
	;; [unrolled: 1-line block ×4, first 2 shown]
	v_add_f32_e32 v9, v9, v11
	v_mul_f32_e32 v11, v159, v163
	s_delay_alu instid0(VALU_DEP_1) | instskip(NEXT) | instid1(VALU_DEP_1)
	v_fma_f32 v11, v158, v162, -v11
	v_add_f32_e32 v9, v9, v11
	v_mul_f32_e32 v11, v161, v165
	s_wait_loadcnt_dscnt 0x303
	v_pk_mul_f32 v[144:145], v[126:127], v[254:255] op_sel:[1,1] op_sel_hi:[0,1]
	s_delay_alu instid0(VALU_DEP_2) | instskip(NEXT) | instid1(VALU_DEP_2)
	v_fma_f32 v11, v160, v164, -v11
	v_pk_fma_f32 v[146:147], v[126:127], v[254:255], v[144:145] neg_lo:[0,0,1] neg_hi:[0,0,1]
	v_pk_fma_f32 v[126:127], v[126:127], v[254:255], v[144:145] op_sel_hi:[1,0,1]
	s_set_vgpr_msb 1                        ;  msbs: dst=0 src0=1 src1=0 src2=0
	v_mov_b32_e32 v144, v1 /*v257*/
	s_set_vgpr_msb 0                        ;  msbs: dst=0 src0=0 src1=0 src2=0
	v_add_f32_e32 v9, v9, v11
	v_mul_f32_e32 v11, v167, v171
	s_delay_alu instid0(VALU_DEP_1) | instskip(NEXT) | instid1(VALU_DEP_1)
	v_dual_mov_b32 v147, v127 :: v_dual_fma_f32 v11, v166, v170, -v11
	v_add_f32_e32 v9, v9, v11
	v_mul_f32_e32 v11, v169, v173
	s_delay_alu instid0(VALU_DEP_1) | instskip(NEXT) | instid1(VALU_DEP_1)
	v_fma_f32 v11, v168, v172, -v11
	v_add_f32_e32 v9, v9, v11
	v_mul_f32_e32 v11, v175, v179
	s_delay_alu instid0(VALU_DEP_1) | instskip(NEXT) | instid1(VALU_DEP_1)
	v_fma_f32 v11, v174, v178, -v11
	;; [unrolled: 4-line block ×18, first 2 shown]
	v_add_f32_e32 v9, v9, v11
	v_mul_f32_e32 v11, v241, v245
	s_delay_alu instid0(VALU_DEP_1) | instskip(SKIP_1) | instid1(VALU_DEP_1)
	v_fma_f32 v11, v240, v244, -v11
	s_set_vgpr_msb 64                       ;  msbs: dst=1 src0=0 src1=0 src2=0
	v_add_f32_e32 v14 /*v270*/, v9, v11
	s_set_vgpr_msb 0                        ;  msbs: dst=0 src0=0 src1=0 src2=0
	v_mul_f32_e32 v9, v247, v251
	s_set_vgpr_msb 64                       ;  msbs: dst=1 src0=0 src1=0 src2=0
	s_delay_alu instid0(VALU_DEP_1) | instskip(SKIP_3) | instid1(VALU_DEP_2)
	v_fma_f32 v16 /*v272*/, v246, v250, -v9
	s_set_vgpr_msb 0                        ;  msbs: dst=0 src0=0 src1=0 src2=0
	v_mul_f32_e32 v9, v249, v253
	s_set_vgpr_msb 5                        ;  msbs: dst=0 src0=1 src1=1 src2=0
	v_pk_add_f32 v[142:143], v[14:15] /*v[270:271]*/, v[16:17] /*v[272:273]*/
	s_set_vgpr_msb 64                       ;  msbs: dst=1 src0=0 src1=0 src2=0
	s_delay_alu instid0(VALU_DEP_2) | instskip(SKIP_1) | instid1(VALU_DEP_1)
	v_fma_f32 v18 /*v274*/, v248, v252, -v9
	s_set_vgpr_msb 4                        ;  msbs: dst=0 src0=0 src1=1 src2=0
	v_pk_add_f32 v[142:143], v[142:143], v[18:19] /*v[274:275]*/
	s_set_vgpr_msb 0                        ;  msbs: dst=0 src0=0 src1=0 src2=0
	s_delay_alu instid0(VALU_DEP_1) | instskip(SKIP_1) | instid1(VALU_DEP_1)
	v_pk_add_f32 v[126:127], v[142:143], v[146:147]
	v_dual_mov_b32 v142, v129 :: v_dual_mov_b32 v143, v128
	v_pk_mul_f32 v[142:143], v[142:143], v[144:145] op_sel_hi:[1,0]
	s_set_vgpr_msb 4                        ;  msbs: dst=0 src0=0 src1=1 src2=0
	s_delay_alu instid0(VALU_DEP_1) | instskip(SKIP_1) | instid1(VALU_DEP_1)
	v_pk_fma_f32 v[144:145], v[128:129], v[0:1] /*v[256:257]*/, v[142:143] neg_lo:[0,0,1] neg_hi:[0,0,1]
	v_pk_fma_f32 v[128:129], v[128:129], v[0:1] /*v[256:257]*/, v[142:143] op_sel_hi:[1,0,1]
	v_mov_b32_e32 v145, v129
	s_wait_loadcnt_dscnt 0x202
	v_pk_mul_f32 v[128:129], v[130:131], v[2:3] /*v[258:259]*/ op_sel:[1,1] op_sel_hi:[0,1]
	s_set_vgpr_msb 0                        ;  msbs: dst=0 src0=0 src1=0 src2=0
	s_delay_alu instid0(VALU_DEP_2) | instskip(SKIP_1) | instid1(VALU_DEP_2)
	v_pk_add_f32 v[126:127], v[126:127], v[144:145]
	s_set_vgpr_msb 4                        ;  msbs: dst=0 src0=0 src1=1 src2=0
	v_pk_fma_f32 v[142:143], v[130:131], v[2:3] /*v[258:259]*/, v[128:129] neg_lo:[0,0,1] neg_hi:[0,0,1]
	v_pk_fma_f32 v[128:129], v[130:131], v[2:3] /*v[258:259]*/, v[128:129] op_sel_hi:[1,0,1]
	v_mov_b32_e32 v128, v133
	s_set_vgpr_msb 1                        ;  msbs: dst=0 src0=1 src1=0 src2=0
	v_mov_b32_e32 v130, v5 /*v261*/
	s_set_vgpr_msb 0                        ;  msbs: dst=0 src0=0 src1=0 src2=0
	v_dual_mov_b32 v143, v129 :: v_dual_mov_b32 v129, v132
	s_delay_alu instid0(VALU_DEP_1) | instskip(NEXT) | instid1(VALU_DEP_2)
	v_pk_add_f32 v[126:127], v[126:127], v[142:143]
	v_pk_mul_f32 v[128:129], v[128:129], v[130:131] op_sel_hi:[1,0]
	s_set_vgpr_msb 4                        ;  msbs: dst=0 src0=0 src1=1 src2=0
	s_delay_alu instid0(VALU_DEP_1) | instskip(SKIP_1) | instid1(VALU_DEP_1)
	v_pk_fma_f32 v[130:131], v[132:133], v[4:5] /*v[260:261]*/, v[128:129] neg_lo:[0,0,1] neg_hi:[0,0,1]
	v_pk_fma_f32 v[128:129], v[132:133], v[4:5] /*v[260:261]*/, v[128:129] op_sel_hi:[1,0,1]
	v_mov_b32_e32 v131, v129
	s_wait_loadcnt_dscnt 0x101
	v_pk_mul_f32 v[128:129], v[134:135], v[6:7] /*v[262:263]*/ op_sel:[1,1] op_sel_hi:[0,1]
	s_set_vgpr_msb 0                        ;  msbs: dst=0 src0=0 src1=0 src2=0
	s_delay_alu instid0(VALU_DEP_2) | instskip(SKIP_1) | instid1(VALU_DEP_2)
	v_pk_add_f32 v[126:127], v[126:127], v[130:131]
	s_set_vgpr_msb 4                        ;  msbs: dst=0 src0=0 src1=1 src2=0
	v_pk_fma_f32 v[130:131], v[134:135], v[6:7] /*v[262:263]*/, v[128:129] neg_lo:[0,0,1] neg_hi:[0,0,1]
	v_pk_fma_f32 v[128:129], v[134:135], v[6:7] /*v[262:263]*/, v[128:129] op_sel_hi:[1,0,1]
	s_delay_alu instid0(VALU_DEP_1) | instskip(SKIP_2) | instid1(VALU_DEP_2)
	v_dual_mov_b32 v128, v137 :: v_dual_mov_b32 v131, v129
	v_mov_b32_e32 v129, v136
	s_set_vgpr_msb 0                        ;  msbs: dst=0 src0=0 src1=0 src2=0
	v_pk_add_f32 v[126:127], v[126:127], v[130:131]
	s_set_vgpr_msb 1                        ;  msbs: dst=0 src0=1 src1=0 src2=0
	v_mov_b32_e32 v130, v9 /*v265*/
	s_set_vgpr_msb 0                        ;  msbs: dst=0 src0=0 src1=0 src2=0
	s_delay_alu instid0(VALU_DEP_1) | instskip(SKIP_1) | instid1(VALU_DEP_1)
	v_pk_mul_f32 v[128:129], v[128:129], v[130:131] op_sel_hi:[1,0]
	s_set_vgpr_msb 4                        ;  msbs: dst=0 src0=0 src1=1 src2=0
	v_pk_fma_f32 v[130:131], v[136:137], v[8:9] /*v[264:265]*/, v[128:129] neg_lo:[0,0,1] neg_hi:[0,0,1]
	v_pk_fma_f32 v[128:129], v[136:137], v[8:9] /*v[264:265]*/, v[128:129] op_sel_hi:[1,0,1]
	s_delay_alu instid0(VALU_DEP_1) | instskip(SKIP_3) | instid1(VALU_DEP_2)
	v_mov_b32_e32 v131, v129
	s_wait_loadcnt_dscnt 0x0
	v_pk_mul_f32 v[128:129], v[138:139], v[10:11] /*v[266:267]*/ op_sel:[1,1] op_sel_hi:[0,1]
	s_set_vgpr_msb 0                        ;  msbs: dst=0 src0=0 src1=0 src2=0
	v_pk_add_f32 v[126:127], v[126:127], v[130:131]
	s_set_vgpr_msb 4                        ;  msbs: dst=0 src0=0 src1=1 src2=0
	s_delay_alu instid0(VALU_DEP_2) | instskip(SKIP_1) | instid1(VALU_DEP_1)
	v_pk_fma_f32 v[130:131], v[138:139], v[10:11] /*v[266:267]*/, v[128:129] neg_lo:[0,0,1] neg_hi:[0,0,1]
	v_pk_fma_f32 v[128:129], v[138:139], v[10:11] /*v[266:267]*/, v[128:129] op_sel_hi:[1,0,1]
	v_dual_mov_b32 v128, v141 :: v_dual_mov_b32 v131, v129
	v_mov_b32_e32 v129, v140
	s_set_vgpr_msb 0                        ;  msbs: dst=0 src0=0 src1=0 src2=0
	s_delay_alu instid0(VALU_DEP_2) | instskip(SKIP_3) | instid1(VALU_DEP_1)
	v_pk_add_f32 v[126:127], v[126:127], v[130:131]
	s_set_vgpr_msb 1                        ;  msbs: dst=0 src0=1 src1=0 src2=0
	v_mov_b32_e32 v130, v13 /*v269*/
	s_set_vgpr_msb 0                        ;  msbs: dst=0 src0=0 src1=0 src2=0
	v_pk_mul_f32 v[128:129], v[128:129], v[130:131] op_sel_hi:[1,0]
	s_set_vgpr_msb 4                        ;  msbs: dst=0 src0=0 src1=1 src2=0
	s_delay_alu instid0(VALU_DEP_1) | instskip(SKIP_1) | instid1(VALU_DEP_1)
	v_pk_fma_f32 v[130:131], v[140:141], v[12:13] /*v[268:269]*/, v[128:129] neg_lo:[0,0,1] neg_hi:[0,0,1]
	v_pk_fma_f32 v[128:129], v[140:141], v[12:13] /*v[268:269]*/, v[128:129] op_sel_hi:[1,0,1]
	v_mov_b32_e32 v131, v129
	scratch_load_b64 v[128:129], off, off offset:168
	s_set_vgpr_msb 0                        ;  msbs: dst=0 src0=0 src1=0 src2=0
	v_pk_add_f32 v[126:127], v[126:127], v[130:131]
	s_wait_loadcnt 0x0
	s_delay_alu instid0(VALU_DEP_1)
	v_pk_add_f32 v[126:127], v[128:129], v[126:127] neg_lo:[0,1] neg_hi:[0,1]
	scratch_store_b64 off, v[126:127], off offset:168
	s_wait_xcnt 0x0
	v_cmpx_lt_u32_e32 20, v0
	s_cbranch_execz .LBB125_345
; %bb.344:
	scratch_load_b64 v[126:127], off, off offset:160
	v_mov_b64_e32 v[128:129], 0
	scratch_store_b64 off, v[128:129], off offset:160
	s_wait_loadcnt 0x0
	ds_store_b64 v1, v[126:127]
.LBB125_345:
	s_wait_xcnt 0x0
	s_or_b32 exec_lo, exec_lo, s0
	s_wait_storecnt_dscnt 0x0
	s_barrier_signal -1
	s_barrier_wait -1
	s_clause 0xf
	scratch_load_b128 v[130:133], off, off offset:168
	scratch_load_b128 v[138:141], off, off offset:184
	;; [unrolled: 1-line block ×16, first 2 shown]
	v_mov_b32_e32 v7, 0
	s_set_vgpr_msb 64                       ;  msbs: dst=1 src0=0 src1=0 src2=0
	scratch_load_b128 v[2:5] /*v[258:261]*/, off, off offset:424
	s_mov_b32 s0, exec_lo
	s_set_vgpr_msb 0                        ;  msbs: dst=0 src0=0 src1=0 src2=0
	ds_load_2addr_b64 v[126:129], v7 offset0:83 offset1:84
	ds_load_2addr_b64 v[134:137], v7 offset0:85 offset1:86
	s_wait_loadcnt_dscnt 0x1001
	v_dual_mul_f32 v9, v126, v131 :: v_dual_mul_f32 v11, v128, v133
	ds_load_2addr_b64 v[142:145], v7 offset0:87 offset1:88
	ds_load_2addr_b64 v[150:153], v7 offset0:89 offset1:90
	ds_load_2addr_b64 v[238:241], v7 offset0:111 offset1:112
	ds_load_2addr_b64 v[246:249], v7 offset0:113 offset1:114
	v_dual_fmac_f32 v9, v127, v130 :: v_dual_fmac_f32 v11, v129, v132
	ds_load_2addr_b64 v[158:161], v7 offset0:91 offset1:92
	ds_load_2addr_b64 v[166:169], v7 offset0:93 offset1:94
	;; [unrolled: 1-line block ×4, first 2 shown]
	v_add_f32_e32 v9, 0, v9
	ds_load_2addr_b64 v[190:193], v7 offset0:99 offset1:100
	ds_load_2addr_b64 v[198:201], v7 offset0:101 offset1:102
	;; [unrolled: 1-line block ×4, first 2 shown]
	v_add_f32_e32 v9, v9, v11
	s_wait_loadcnt_dscnt 0xf0c
	v_mul_f32_e32 v11, v134, v139
	ds_load_2addr_b64 v[222:225], v7 offset0:107 offset1:108
	ds_load_2addr_b64 v[230:233], v7 offset0:109 offset1:110
	;; [unrolled: 1-line block ×3, first 2 shown]
	s_set_vgpr_msb 64                       ;  msbs: dst=1 src0=0 src1=0 src2=0
	s_clause 0x3
	scratch_load_b128 v[6:9] /*v[262:265]*/, off, off offset:440
	scratch_load_b128 v[10:13] /*v[266:269]*/, off, off offset:456
	;; [unrolled: 1-line block ×3, first 2 shown]
	scratch_load_b64 v[24:25] /*v[280:281]*/, off, off offset:488
	s_set_vgpr_msb 0                        ;  msbs: dst=0 src0=0 src1=0 src2=0
	v_fmac_f32_e32 v11, v135, v138
	s_wait_loadcnt_dscnt 0x50b
	s_set_vgpr_msb 64                       ;  msbs: dst=1 src0=0 src1=0 src2=0
	v_mul_f32_e32 v21 /*v277*/, v248, v253
	s_set_vgpr_msb 0                        ;  msbs: dst=0 src0=0 src1=0 src2=0
	v_dual_add_f32 v9, v9, v11 :: v_dual_mul_f32 v11, v136, v141
	s_set_vgpr_msb 64                       ;  msbs: dst=1 src0=0 src1=0 src2=0
	s_delay_alu instid0(VALU_DEP_2) | instskip(SKIP_1) | instid1(VALU_DEP_2)
	v_fmac_f32_e32 v21 /*v277*/, v249, v252
	s_set_vgpr_msb 0                        ;  msbs: dst=0 src0=0 src1=0 src2=0
	v_fmac_f32_e32 v11, v137, v140
	s_delay_alu instid0(VALU_DEP_1) | instskip(SKIP_1) | instid1(VALU_DEP_1)
	v_add_f32_e32 v9, v9, v11
	v_mul_f32_e32 v11, v142, v147
	v_fmac_f32_e32 v11, v143, v146
	s_delay_alu instid0(VALU_DEP_1) | instskip(NEXT) | instid1(VALU_DEP_1)
	v_dual_add_f32 v9, v9, v11 :: v_dual_mul_f32 v11, v144, v149
	v_fmac_f32_e32 v11, v145, v148
	s_delay_alu instid0(VALU_DEP_1) | instskip(SKIP_1) | instid1(VALU_DEP_1)
	v_add_f32_e32 v9, v9, v11
	v_mul_f32_e32 v11, v150, v155
	v_fmac_f32_e32 v11, v151, v154
	s_delay_alu instid0(VALU_DEP_1) | instskip(NEXT) | instid1(VALU_DEP_1)
	v_dual_add_f32 v9, v9, v11 :: v_dual_mul_f32 v11, v152, v157
	v_fmac_f32_e32 v11, v153, v156
	s_delay_alu instid0(VALU_DEP_1) | instskip(SKIP_2) | instid1(VALU_DEP_1)
	v_add_f32_e32 v9, v9, v11
	s_wait_dscnt 0xa
	v_mul_f32_e32 v11, v158, v163
	v_fmac_f32_e32 v11, v159, v162
	s_delay_alu instid0(VALU_DEP_1) | instskip(NEXT) | instid1(VALU_DEP_1)
	v_dual_add_f32 v9, v9, v11 :: v_dual_mul_f32 v11, v160, v165
	v_fmac_f32_e32 v11, v161, v164
	s_delay_alu instid0(VALU_DEP_1) | instskip(SKIP_2) | instid1(VALU_DEP_1)
	v_add_f32_e32 v9, v9, v11
	s_wait_dscnt 0x9
	;; [unrolled: 8-line block ×10, first 2 shown]
	v_mul_f32_e32 v11, v230, v235
	v_fmac_f32_e32 v11, v231, v234
	s_delay_alu instid0(VALU_DEP_1) | instskip(NEXT) | instid1(VALU_DEP_1)
	v_dual_add_f32 v9, v9, v11 :: v_dual_mul_f32 v11, v232, v237
	v_fmac_f32_e32 v11, v233, v236
	s_delay_alu instid0(VALU_DEP_1) | instskip(SKIP_1) | instid1(VALU_DEP_1)
	v_add_f32_e32 v9, v9, v11
	v_mul_f32_e32 v11, v238, v243
	v_fmac_f32_e32 v11, v239, v242
	s_delay_alu instid0(VALU_DEP_1) | instskip(NEXT) | instid1(VALU_DEP_1)
	v_dual_add_f32 v9, v9, v11 :: v_dual_mul_f32 v11, v240, v245
	v_fmac_f32_e32 v11, v241, v244
	s_delay_alu instid0(VALU_DEP_1) | instskip(SKIP_1) | instid1(VALU_DEP_1)
	v_add_f32_e32 v9, v9, v11
	v_mul_f32_e32 v11, v246, v251
	v_fmac_f32_e32 v11, v247, v250
	s_set_vgpr_msb 64                       ;  msbs: dst=1 src0=0 src1=0 src2=0
	s_delay_alu instid0(VALU_DEP_1) | instskip(SKIP_2) | instid1(VALU_DEP_1)
	v_add_f32_e32 v19 /*v275*/, v9, v11
	s_set_vgpr_msb 0                        ;  msbs: dst=0 src0=0 src1=0 src2=0
	v_dual_mul_f32 v9, v127, v131 :: v_dual_mul_f32 v11, v129, v133
	v_dual_fma_f32 v9, v126, v130, -v9 :: v_dual_fma_f32 v11, v128, v132, -v11
	s_delay_alu instid0(VALU_DEP_1) | instskip(NEXT) | instid1(VALU_DEP_1)
	v_add_f32_e32 v9, 0, v9
	v_add_f32_e32 v9, v9, v11
	v_mul_f32_e32 v11, v135, v139
	s_delay_alu instid0(VALU_DEP_1) | instskip(NEXT) | instid1(VALU_DEP_1)
	v_fma_f32 v11, v134, v138, -v11
	v_add_f32_e32 v9, v9, v11
	v_mul_f32_e32 v11, v137, v141
	s_delay_alu instid0(VALU_DEP_1)
	v_fma_f32 v11, v136, v140, -v11
	ds_load_2addr_b64 v[126:129], v7 offset0:117 offset1:118
	ds_load_2addr_b64 v[130:133], v7 offset0:119 offset1:120
	ds_load_2addr_b64 v[134:137], v7 offset0:121 offset1:122
	ds_load_b64 v[138:139], v7 offset:984
	v_add_f32_e32 v9, v9, v11
	v_mul_f32_e32 v11, v143, v147
	s_wait_dscnt 0x4
	s_set_vgpr_msb 1                        ;  msbs: dst=0 src0=1 src1=0 src2=0
	v_mov_b32_e32 v143, v0 /*v256*/
	s_set_vgpr_msb 0                        ;  msbs: dst=0 src0=0 src1=0 src2=0
	v_fma_f32 v11, v142, v146, -v11
	s_set_vgpr_msb 1                        ;  msbs: dst=0 src0=1 src1=0 src2=0
	v_mov_b32_e32 v142, v1 /*v257*/
	s_set_vgpr_msb 0                        ;  msbs: dst=0 src0=0 src1=0 src2=0
	s_delay_alu instid0(VALU_DEP_2) | instskip(SKIP_1) | instid1(VALU_DEP_1)
	v_add_f32_e32 v9, v9, v11
	v_mul_f32_e32 v11, v145, v149
	v_fma_f32 v11, v144, v148, -v11
	s_wait_loadcnt 0x4
	s_set_vgpr_msb 1                        ;  msbs: dst=0 src0=1 src1=0 src2=0
	v_mov_b32_e32 v144, v5 /*v261*/
	s_set_vgpr_msb 0                        ;  msbs: dst=0 src0=0 src1=0 src2=0
	v_add_f32_e32 v9, v9, v11
	v_mul_f32_e32 v11, v151, v155
	s_delay_alu instid0(VALU_DEP_3) | instskip(NEXT) | instid1(VALU_DEP_2)
	v_pk_mul_f32 v[142:143], v[142:143], v[144:145] op_sel_hi:[1,0]
	v_fma_f32 v11, v150, v154, -v11
	s_set_vgpr_msb 5                        ;  msbs: dst=0 src0=1 src1=1 src2=0
	s_delay_alu instid0(VALU_DEP_2) | instskip(SKIP_3) | instid1(VALU_DEP_2)
	v_pk_fma_f32 v[144:145], v[0:1] /*v[256:257]*/, v[4:5] /*v[260:261]*/, v[142:143] neg_lo:[0,0,1] neg_hi:[0,0,1]
	v_pk_fma_f32 v[142:143], v[0:1] /*v[256:257]*/, v[4:5] /*v[260:261]*/, v[142:143] op_sel_hi:[1,0,1]
	s_set_vgpr_msb 0                        ;  msbs: dst=0 src0=0 src1=0 src2=0
	v_add_f32_e32 v9, v9, v11
	v_dual_mul_f32 v11, v153, v157 :: v_dual_mov_b32 v145, v143
	s_wait_loadcnt_dscnt 0x303
	s_set_vgpr_msb 4                        ;  msbs: dst=0 src0=0 src1=1 src2=0
	v_pk_mul_f32 v[142:143], v[126:127], v[6:7] /*v[262:263]*/ op_sel:[1,1] op_sel_hi:[0,1]
	s_set_vgpr_msb 0                        ;  msbs: dst=0 src0=0 src1=0 src2=0
	v_fma_f32 v11, v152, v156, -v11
	s_delay_alu instid0(VALU_DEP_1) | instskip(SKIP_1) | instid1(VALU_DEP_1)
	v_add_f32_e32 v9, v9, v11
	v_mul_f32_e32 v11, v159, v163
	v_fma_f32 v11, v158, v162, -v11
	s_delay_alu instid0(VALU_DEP_1) | instskip(SKIP_1) | instid1(VALU_DEP_1)
	v_add_f32_e32 v9, v9, v11
	v_mul_f32_e32 v11, v161, v165
	;; [unrolled: 4-line block ×23, first 2 shown]
	v_fma_f32 v11, v246, v250, -v11
	s_set_vgpr_msb 64                       ;  msbs: dst=1 src0=0 src1=0 src2=0
	s_delay_alu instid0(VALU_DEP_1) | instskip(SKIP_3) | instid1(VALU_DEP_1)
	v_add_f32_e32 v18 /*v274*/, v9, v11
	s_set_vgpr_msb 0                        ;  msbs: dst=0 src0=0 src1=0 src2=0
	v_mul_f32_e32 v9, v249, v253
	s_set_vgpr_msb 64                       ;  msbs: dst=1 src0=0 src1=0 src2=0
	v_fma_f32 v20 /*v276*/, v248, v252, -v9
	s_set_vgpr_msb 4                        ;  msbs: dst=0 src0=0 src1=1 src2=0
	v_mul_f32_e32 v9, v255, v3 /*v259*/
	s_set_vgpr_msb 0x44                     ;  msbs: dst=1 src0=0 src1=1 src2=0
	v_mul_f32_e32 v23 /*v279*/, v254, v3 /*v259*/
	s_set_vgpr_msb 5                        ;  msbs: dst=0 src0=1 src1=1 src2=0
	v_pk_add_f32 v[140:141], v[18:19] /*v[274:275]*/, v[20:21] /*v[276:277]*/
	s_set_vgpr_msb 0x44                     ;  msbs: dst=1 src0=0 src1=1 src2=0
	v_fma_f32 v22 /*v278*/, v254, v2 /*v258*/, -v9
	v_fmac_f32_e32 v23 /*v279*/, v255, v2 /*v258*/
	s_set_vgpr_msb 4                        ;  msbs: dst=0 src0=0 src1=1 src2=0
	s_delay_alu instid0(VALU_DEP_1) | instskip(SKIP_1) | instid1(VALU_DEP_1)
	v_pk_add_f32 v[140:141], v[140:141], v[22:23] /*v[278:279]*/
	s_set_vgpr_msb 0                        ;  msbs: dst=0 src0=0 src1=0 src2=0
	v_pk_add_f32 v[140:141], v[140:141], v[144:145]
	s_set_vgpr_msb 4                        ;  msbs: dst=0 src0=0 src1=1 src2=0
	v_pk_fma_f32 v[144:145], v[126:127], v[6:7] /*v[262:263]*/, v[142:143] neg_lo:[0,0,1] neg_hi:[0,0,1]
	v_pk_fma_f32 v[126:127], v[126:127], v[6:7] /*v[262:263]*/, v[142:143] op_sel_hi:[1,0,1]
	s_set_vgpr_msb 1                        ;  msbs: dst=0 src0=1 src1=0 src2=0
	v_mov_b32_e32 v142, v9 /*v265*/
	s_set_vgpr_msb 0                        ;  msbs: dst=0 src0=0 src1=0 src2=0
	s_delay_alu instid0(VALU_DEP_2) | instskip(NEXT) | instid1(VALU_DEP_1)
	v_mov_b32_e32 v145, v127
	v_pk_add_f32 v[126:127], v[140:141], v[144:145]
	v_dual_mov_b32 v140, v129 :: v_dual_mov_b32 v141, v128
	s_delay_alu instid0(VALU_DEP_1) | instskip(SKIP_1) | instid1(VALU_DEP_1)
	v_pk_mul_f32 v[140:141], v[140:141], v[142:143] op_sel_hi:[1,0]
	s_set_vgpr_msb 4                        ;  msbs: dst=0 src0=0 src1=1 src2=0
	v_pk_fma_f32 v[142:143], v[128:129], v[8:9] /*v[264:265]*/, v[140:141] neg_lo:[0,0,1] neg_hi:[0,0,1]
	v_pk_fma_f32 v[128:129], v[128:129], v[8:9] /*v[264:265]*/, v[140:141] op_sel_hi:[1,0,1]
	s_delay_alu instid0(VALU_DEP_1) | instskip(SKIP_3) | instid1(VALU_DEP_2)
	v_mov_b32_e32 v143, v129
	s_wait_loadcnt_dscnt 0x202
	v_pk_mul_f32 v[128:129], v[130:131], v[10:11] /*v[266:267]*/ op_sel:[1,1] op_sel_hi:[0,1]
	s_set_vgpr_msb 0                        ;  msbs: dst=0 src0=0 src1=0 src2=0
	v_pk_add_f32 v[126:127], v[126:127], v[142:143]
	s_set_vgpr_msb 4                        ;  msbs: dst=0 src0=0 src1=1 src2=0
	s_delay_alu instid0(VALU_DEP_2)
	v_pk_fma_f32 v[140:141], v[130:131], v[10:11] /*v[266:267]*/, v[128:129] neg_lo:[0,0,1] neg_hi:[0,0,1]
	v_pk_fma_f32 v[128:129], v[130:131], v[10:11] /*v[266:267]*/, v[128:129] op_sel_hi:[1,0,1]
	v_mov_b32_e32 v128, v133
	s_set_vgpr_msb 1                        ;  msbs: dst=0 src0=1 src1=0 src2=0
	v_mov_b32_e32 v130, v13 /*v269*/
	s_set_vgpr_msb 0                        ;  msbs: dst=0 src0=0 src1=0 src2=0
	v_dual_mov_b32 v141, v129 :: v_dual_mov_b32 v129, v132
	s_delay_alu instid0(VALU_DEP_1) | instskip(NEXT) | instid1(VALU_DEP_2)
	v_pk_add_f32 v[126:127], v[126:127], v[140:141]
	v_pk_mul_f32 v[128:129], v[128:129], v[130:131] op_sel_hi:[1,0]
	s_set_vgpr_msb 4                        ;  msbs: dst=0 src0=0 src1=1 src2=0
	s_delay_alu instid0(VALU_DEP_1) | instskip(SKIP_1) | instid1(VALU_DEP_1)
	v_pk_fma_f32 v[130:131], v[132:133], v[12:13] /*v[268:269]*/, v[128:129] neg_lo:[0,0,1] neg_hi:[0,0,1]
	v_pk_fma_f32 v[128:129], v[132:133], v[12:13] /*v[268:269]*/, v[128:129] op_sel_hi:[1,0,1]
	v_mov_b32_e32 v131, v129
	s_wait_loadcnt_dscnt 0x101
	v_pk_mul_f32 v[128:129], v[134:135], v[14:15] /*v[270:271]*/ op_sel:[1,1] op_sel_hi:[0,1]
	s_set_vgpr_msb 0                        ;  msbs: dst=0 src0=0 src1=0 src2=0
	s_delay_alu instid0(VALU_DEP_2) | instskip(SKIP_1) | instid1(VALU_DEP_2)
	v_pk_add_f32 v[126:127], v[126:127], v[130:131]
	s_set_vgpr_msb 4                        ;  msbs: dst=0 src0=0 src1=1 src2=0
	v_pk_fma_f32 v[130:131], v[134:135], v[14:15] /*v[270:271]*/, v[128:129] neg_lo:[0,0,1] neg_hi:[0,0,1]
	v_pk_fma_f32 v[128:129], v[134:135], v[14:15] /*v[270:271]*/, v[128:129] op_sel_hi:[1,0,1]
	s_delay_alu instid0(VALU_DEP_1) | instskip(SKIP_2) | instid1(VALU_DEP_2)
	v_dual_mov_b32 v128, v137 :: v_dual_mov_b32 v131, v129
	v_mov_b32_e32 v129, v136
	s_set_vgpr_msb 0                        ;  msbs: dst=0 src0=0 src1=0 src2=0
	v_pk_add_f32 v[126:127], v[126:127], v[130:131]
	s_set_vgpr_msb 1                        ;  msbs: dst=0 src0=1 src1=0 src2=0
	v_mov_b32_e32 v130, v17 /*v273*/
	s_set_vgpr_msb 0                        ;  msbs: dst=0 src0=0 src1=0 src2=0
	s_delay_alu instid0(VALU_DEP_1) | instskip(SKIP_1) | instid1(VALU_DEP_1)
	v_pk_mul_f32 v[128:129], v[128:129], v[130:131] op_sel_hi:[1,0]
	s_set_vgpr_msb 4                        ;  msbs: dst=0 src0=0 src1=1 src2=0
	v_pk_fma_f32 v[130:131], v[136:137], v[16:17] /*v[272:273]*/, v[128:129] neg_lo:[0,0,1] neg_hi:[0,0,1]
	v_pk_fma_f32 v[128:129], v[136:137], v[16:17] /*v[272:273]*/, v[128:129] op_sel_hi:[1,0,1]
	s_delay_alu instid0(VALU_DEP_1) | instskip(SKIP_3) | instid1(VALU_DEP_2)
	v_mov_b32_e32 v131, v129
	s_wait_loadcnt_dscnt 0x0
	v_pk_mul_f32 v[128:129], v[138:139], v[24:25] /*v[280:281]*/ op_sel:[1,1] op_sel_hi:[0,1]
	s_set_vgpr_msb 0                        ;  msbs: dst=0 src0=0 src1=0 src2=0
	v_pk_add_f32 v[126:127], v[126:127], v[130:131]
	s_set_vgpr_msb 4                        ;  msbs: dst=0 src0=0 src1=1 src2=0
	s_delay_alu instid0(VALU_DEP_2) | instskip(SKIP_1) | instid1(VALU_DEP_1)
	v_pk_fma_f32 v[130:131], v[138:139], v[24:25] /*v[280:281]*/, v[128:129] neg_lo:[0,0,1] neg_hi:[0,0,1]
	v_pk_fma_f32 v[128:129], v[138:139], v[24:25] /*v[280:281]*/, v[128:129] op_sel_hi:[1,0,1]
	v_mov_b32_e32 v131, v129
	scratch_load_b64 v[128:129], off, off offset:160
	s_set_vgpr_msb 0                        ;  msbs: dst=0 src0=0 src1=0 src2=0
	v_pk_add_f32 v[126:127], v[126:127], v[130:131]
	s_wait_loadcnt 0x0
	s_delay_alu instid0(VALU_DEP_1)
	v_pk_add_f32 v[126:127], v[128:129], v[126:127] neg_lo:[0,1] neg_hi:[0,1]
	scratch_store_b64 off, v[126:127], off offset:160
	s_wait_xcnt 0x0
	v_cmpx_lt_u32_e32 19, v0
	s_cbranch_execz .LBB125_347
; %bb.346:
	scratch_load_b64 v[126:127], off, off offset:152
	v_mov_b64_e32 v[128:129], 0
	scratch_store_b64 off, v[128:129], off offset:152
	s_wait_loadcnt 0x0
	ds_store_b64 v1, v[126:127]
.LBB125_347:
	s_wait_xcnt 0x0
	s_or_b32 exec_lo, exec_lo, s0
	s_wait_storecnt_dscnt 0x0
	s_barrier_signal -1
	s_barrier_wait -1
	ds_load_b128 v[126:129], v7 offset:656
	ds_load_b128 v[130:133], v7 offset:672
	;; [unrolled: 1-line block ×4, first 2 shown]
	s_clause 0xf
	scratch_load_b128 v[142:145], off, off offset:160
	scratch_load_b128 v[146:149], off, off offset:176
	;; [unrolled: 1-line block ×16, first 2 shown]
	ds_load_b128 v[158:161], v7 offset:720
	ds_load_b128 v[166:169], v7 offset:736
	;; [unrolled: 1-line block ×12, first 2 shown]
	s_set_vgpr_msb 64                       ;  msbs: dst=1 src0=0 src1=0 src2=0
	scratch_load_b128 v[2:5] /*v[258:261]*/, off, off offset:416
	s_set_vgpr_msb 0                        ;  msbs: dst=0 src0=0 src1=0 src2=0
	ds_load_b128 v[254:257], v7 offset:912
	s_set_vgpr_msb 64                       ;  msbs: dst=1 src0=0 src1=0 src2=0
	s_clause 0x3
	scratch_load_b128 v[6:9] /*v[262:265]*/, off, off offset:432
	scratch_load_b128 v[10:13] /*v[266:269]*/, off, off offset:448
	;; [unrolled: 1-line block ×4, first 2 shown]
	s_mov_b32 s0, exec_lo
	s_wait_loadcnt_dscnt 0x1410
	s_set_vgpr_msb 0                        ;  msbs: dst=0 src0=0 src1=0 src2=0
	v_dual_mul_f32 v9, v126, v143 :: v_dual_mul_f32 v11, v128, v145
	s_delay_alu instid0(VALU_DEP_1) | instskip(NEXT) | instid1(VALU_DEP_1)
	v_dual_fmac_f32 v9, v127, v142 :: v_dual_fmac_f32 v11, v129, v144
	v_add_f32_e32 v9, 0, v9
	s_delay_alu instid0(VALU_DEP_1) | instskip(SKIP_2) | instid1(VALU_DEP_1)
	v_add_f32_e32 v9, v9, v11
	s_wait_loadcnt_dscnt 0x130f
	v_mul_f32_e32 v11, v130, v147
	v_fmac_f32_e32 v11, v131, v146
	s_delay_alu instid0(VALU_DEP_1) | instskip(NEXT) | instid1(VALU_DEP_1)
	v_dual_add_f32 v9, v9, v11 :: v_dual_mul_f32 v11, v132, v149
	v_fmac_f32_e32 v11, v133, v148
	s_delay_alu instid0(VALU_DEP_1) | instskip(SKIP_2) | instid1(VALU_DEP_1)
	v_add_f32_e32 v9, v9, v11
	s_wait_loadcnt_dscnt 0x120e
	v_mul_f32_e32 v11, v134, v151
	v_fmac_f32_e32 v11, v135, v150
	s_delay_alu instid0(VALU_DEP_1) | instskip(NEXT) | instid1(VALU_DEP_1)
	v_dual_add_f32 v9, v9, v11 :: v_dual_mul_f32 v11, v136, v153
	v_fmac_f32_e32 v11, v137, v152
	;; [unrolled: 8-line block ×15, first 2 shown]
	s_set_vgpr_msb 64                       ;  msbs: dst=1 src0=0 src1=0 src2=0
	s_delay_alu instid0(VALU_DEP_1) | instskip(SKIP_2) | instid1(VALU_DEP_1)
	v_add_f32_e32 v23 /*v279*/, v9, v11
	s_set_vgpr_msb 0                        ;  msbs: dst=0 src0=0 src1=0 src2=0
	v_dual_mul_f32 v9, v127, v143 :: v_dual_mul_f32 v11, v129, v145
	v_dual_fma_f32 v9, v126, v142, -v9 :: v_dual_fma_f32 v11, v128, v144, -v11
	s_delay_alu instid0(VALU_DEP_1) | instskip(NEXT) | instid1(VALU_DEP_1)
	v_add_f32_e32 v9, 0, v9
	v_add_f32_e32 v9, v9, v11
	v_mul_f32_e32 v11, v131, v147
	s_delay_alu instid0(VALU_DEP_1) | instskip(NEXT) | instid1(VALU_DEP_1)
	v_fma_f32 v11, v130, v146, -v11
	v_add_f32_e32 v9, v9, v11
	v_mul_f32_e32 v11, v133, v149
	s_delay_alu instid0(VALU_DEP_1) | instskip(NEXT) | instid1(VALU_DEP_1)
	v_fma_f32 v11, v132, v148, -v11
	;; [unrolled: 4-line block ×5, first 2 shown]
	v_add_f32_e32 v9, v9, v11
	v_mul_f32_e32 v11, v141, v157
	s_delay_alu instid0(VALU_DEP_1)
	v_fma_f32 v11, v140, v156, -v11
	ds_load_b128 v[126:129], v7 offset:928
	ds_load_b128 v[130:133], v7 offset:944
	;; [unrolled: 1-line block ×4, first 2 shown]
	v_add_f32_e32 v9, v9, v11
	v_mul_f32_e32 v11, v159, v163
	s_delay_alu instid0(VALU_DEP_1) | instskip(NEXT) | instid1(VALU_DEP_1)
	v_fma_f32 v11, v158, v162, -v11
	v_add_f32_e32 v9, v9, v11
	v_mul_f32_e32 v11, v161, v165
	s_wait_loadcnt_dscnt 0x303
	s_set_vgpr_msb 4                        ;  msbs: dst=0 src0=0 src1=1 src2=0
	v_pk_mul_f32 v[144:145], v[126:127], v[6:7] /*v[262:263]*/ op_sel:[1,1] op_sel_hi:[0,1]
	s_set_vgpr_msb 0                        ;  msbs: dst=0 src0=0 src1=0 src2=0
	v_fma_f32 v11, v160, v164, -v11
	s_set_vgpr_msb 4                        ;  msbs: dst=0 src0=0 src1=1 src2=0
	s_delay_alu instid0(VALU_DEP_2)
	v_pk_fma_f32 v[146:147], v[126:127], v[6:7] /*v[262:263]*/, v[144:145] neg_lo:[0,0,1] neg_hi:[0,0,1]
	v_pk_fma_f32 v[126:127], v[126:127], v[6:7] /*v[262:263]*/, v[144:145] op_sel_hi:[1,0,1]
	s_set_vgpr_msb 1                        ;  msbs: dst=0 src0=1 src1=0 src2=0
	v_mov_b32_e32 v144, v9 /*v265*/
	s_set_vgpr_msb 0                        ;  msbs: dst=0 src0=0 src1=0 src2=0
	v_add_f32_e32 v9, v9, v11
	v_mul_f32_e32 v11, v167, v171
	s_delay_alu instid0(VALU_DEP_1) | instskip(NEXT) | instid1(VALU_DEP_1)
	v_dual_mov_b32 v147, v127 :: v_dual_fma_f32 v11, v166, v170, -v11
	v_add_f32_e32 v9, v9, v11
	v_mul_f32_e32 v11, v169, v173
	s_delay_alu instid0(VALU_DEP_1) | instskip(NEXT) | instid1(VALU_DEP_1)
	v_fma_f32 v11, v168, v172, -v11
	v_add_f32_e32 v9, v9, v11
	v_mul_f32_e32 v11, v175, v179
	s_delay_alu instid0(VALU_DEP_1) | instskip(NEXT) | instid1(VALU_DEP_1)
	v_fma_f32 v11, v174, v178, -v11
	;; [unrolled: 4-line block ×20, first 2 shown]
	v_add_f32_e32 v9, v9, v11
	v_mul_f32_e32 v11, v249, v253
	s_delay_alu instid0(VALU_DEP_1) | instskip(SKIP_1) | instid1(VALU_DEP_1)
	v_fma_f32 v11, v248, v252, -v11
	s_set_vgpr_msb 64                       ;  msbs: dst=1 src0=0 src1=0 src2=0
	v_add_f32_e32 v22 /*v278*/, v9, v11
	s_set_vgpr_msb 4                        ;  msbs: dst=0 src0=0 src1=1 src2=0
	v_mul_f32_e32 v9, v255, v3 /*v259*/
	s_set_vgpr_msb 0x44                     ;  msbs: dst=1 src0=0 src1=1 src2=0
	s_delay_alu instid0(VALU_DEP_1) | instskip(NEXT) | instid1(VALU_DEP_1)
	v_dual_mul_f32 v25 /*v281*/, v254, v3 /*v259*/ :: v_dual_fma_f32 v24 /*v280*/, v254, v2 /*v258*/, -v9
	v_fmac_f32_e32 v25 /*v281*/, v255, v2 /*v258*/
	s_set_vgpr_msb 5                        ;  msbs: dst=0 src0=1 src1=1 src2=0
	v_mul_f32_e32 v9, v1 /*v257*/, v5 /*v261*/
	s_set_vgpr_msb 0x45                     ;  msbs: dst=1 src0=1 src1=1 src2=0
	v_mul_f32_e32 v27 /*v283*/, v0 /*v256*/, v5 /*v261*/
	s_set_vgpr_msb 5                        ;  msbs: dst=0 src0=1 src1=1 src2=0
	v_pk_add_f32 v[142:143], v[22:23] /*v[278:279]*/, v[24:25] /*v[280:281]*/
	s_set_vgpr_msb 0x45                     ;  msbs: dst=1 src0=1 src1=1 src2=0
	v_fma_f32 v26 /*v282*/, v0 /*v256*/, v4 /*v260*/, -v9
	v_fmac_f32_e32 v27 /*v283*/, v1 /*v257*/, v4 /*v260*/
	s_set_vgpr_msb 4                        ;  msbs: dst=0 src0=0 src1=1 src2=0
	s_delay_alu instid0(VALU_DEP_1) | instskip(SKIP_1) | instid1(VALU_DEP_1)
	v_pk_add_f32 v[142:143], v[142:143], v[26:27] /*v[282:283]*/
	s_set_vgpr_msb 0                        ;  msbs: dst=0 src0=0 src1=0 src2=0
	v_pk_add_f32 v[126:127], v[142:143], v[146:147]
	v_dual_mov_b32 v142, v129 :: v_dual_mov_b32 v143, v128
	s_delay_alu instid0(VALU_DEP_1) | instskip(SKIP_1) | instid1(VALU_DEP_1)
	v_pk_mul_f32 v[142:143], v[142:143], v[144:145] op_sel_hi:[1,0]
	s_set_vgpr_msb 4                        ;  msbs: dst=0 src0=0 src1=1 src2=0
	v_pk_fma_f32 v[144:145], v[128:129], v[8:9] /*v[264:265]*/, v[142:143] neg_lo:[0,0,1] neg_hi:[0,0,1]
	v_pk_fma_f32 v[128:129], v[128:129], v[8:9] /*v[264:265]*/, v[142:143] op_sel_hi:[1,0,1]
	s_delay_alu instid0(VALU_DEP_1) | instskip(SKIP_3) | instid1(VALU_DEP_2)
	v_mov_b32_e32 v145, v129
	s_wait_loadcnt_dscnt 0x202
	v_pk_mul_f32 v[128:129], v[130:131], v[10:11] /*v[266:267]*/ op_sel:[1,1] op_sel_hi:[0,1]
	s_set_vgpr_msb 0                        ;  msbs: dst=0 src0=0 src1=0 src2=0
	v_pk_add_f32 v[126:127], v[126:127], v[144:145]
	s_set_vgpr_msb 4                        ;  msbs: dst=0 src0=0 src1=1 src2=0
	s_delay_alu instid0(VALU_DEP_2)
	v_pk_fma_f32 v[142:143], v[130:131], v[10:11] /*v[266:267]*/, v[128:129] neg_lo:[0,0,1] neg_hi:[0,0,1]
	v_pk_fma_f32 v[128:129], v[130:131], v[10:11] /*v[266:267]*/, v[128:129] op_sel_hi:[1,0,1]
	v_mov_b32_e32 v128, v133
	s_set_vgpr_msb 1                        ;  msbs: dst=0 src0=1 src1=0 src2=0
	v_mov_b32_e32 v130, v13 /*v269*/
	s_set_vgpr_msb 0                        ;  msbs: dst=0 src0=0 src1=0 src2=0
	v_dual_mov_b32 v143, v129 :: v_dual_mov_b32 v129, v132
	s_delay_alu instid0(VALU_DEP_1) | instskip(NEXT) | instid1(VALU_DEP_2)
	v_pk_add_f32 v[126:127], v[126:127], v[142:143]
	v_pk_mul_f32 v[128:129], v[128:129], v[130:131] op_sel_hi:[1,0]
	s_set_vgpr_msb 4                        ;  msbs: dst=0 src0=0 src1=1 src2=0
	s_delay_alu instid0(VALU_DEP_1) | instskip(SKIP_1) | instid1(VALU_DEP_1)
	v_pk_fma_f32 v[130:131], v[132:133], v[12:13] /*v[268:269]*/, v[128:129] neg_lo:[0,0,1] neg_hi:[0,0,1]
	v_pk_fma_f32 v[128:129], v[132:133], v[12:13] /*v[268:269]*/, v[128:129] op_sel_hi:[1,0,1]
	v_mov_b32_e32 v131, v129
	s_wait_loadcnt_dscnt 0x101
	v_pk_mul_f32 v[128:129], v[134:135], v[14:15] /*v[270:271]*/ op_sel:[1,1] op_sel_hi:[0,1]
	s_set_vgpr_msb 0                        ;  msbs: dst=0 src0=0 src1=0 src2=0
	s_delay_alu instid0(VALU_DEP_2) | instskip(SKIP_1) | instid1(VALU_DEP_2)
	v_pk_add_f32 v[126:127], v[126:127], v[130:131]
	s_set_vgpr_msb 4                        ;  msbs: dst=0 src0=0 src1=1 src2=0
	v_pk_fma_f32 v[130:131], v[134:135], v[14:15] /*v[270:271]*/, v[128:129] neg_lo:[0,0,1] neg_hi:[0,0,1]
	v_pk_fma_f32 v[128:129], v[134:135], v[14:15] /*v[270:271]*/, v[128:129] op_sel_hi:[1,0,1]
	s_delay_alu instid0(VALU_DEP_1) | instskip(SKIP_2) | instid1(VALU_DEP_2)
	v_dual_mov_b32 v128, v137 :: v_dual_mov_b32 v131, v129
	v_mov_b32_e32 v129, v136
	s_set_vgpr_msb 0                        ;  msbs: dst=0 src0=0 src1=0 src2=0
	v_pk_add_f32 v[126:127], v[126:127], v[130:131]
	s_set_vgpr_msb 1                        ;  msbs: dst=0 src0=1 src1=0 src2=0
	v_mov_b32_e32 v130, v17 /*v273*/
	s_set_vgpr_msb 0                        ;  msbs: dst=0 src0=0 src1=0 src2=0
	s_delay_alu instid0(VALU_DEP_1) | instskip(SKIP_1) | instid1(VALU_DEP_1)
	v_pk_mul_f32 v[128:129], v[128:129], v[130:131] op_sel_hi:[1,0]
	s_set_vgpr_msb 4                        ;  msbs: dst=0 src0=0 src1=1 src2=0
	v_pk_fma_f32 v[130:131], v[136:137], v[16:17] /*v[272:273]*/, v[128:129] neg_lo:[0,0,1] neg_hi:[0,0,1]
	v_pk_fma_f32 v[128:129], v[136:137], v[16:17] /*v[272:273]*/, v[128:129] op_sel_hi:[1,0,1]
	s_delay_alu instid0(VALU_DEP_1) | instskip(SKIP_3) | instid1(VALU_DEP_2)
	v_mov_b32_e32 v131, v129
	s_wait_loadcnt_dscnt 0x0
	v_pk_mul_f32 v[128:129], v[138:139], v[18:19] /*v[274:275]*/ op_sel:[1,1] op_sel_hi:[0,1]
	s_set_vgpr_msb 0                        ;  msbs: dst=0 src0=0 src1=0 src2=0
	v_pk_add_f32 v[126:127], v[126:127], v[130:131]
	s_set_vgpr_msb 4                        ;  msbs: dst=0 src0=0 src1=1 src2=0
	s_delay_alu instid0(VALU_DEP_2) | instskip(SKIP_1) | instid1(VALU_DEP_1)
	v_pk_fma_f32 v[130:131], v[138:139], v[18:19] /*v[274:275]*/, v[128:129] neg_lo:[0,0,1] neg_hi:[0,0,1]
	v_pk_fma_f32 v[128:129], v[138:139], v[18:19] /*v[274:275]*/, v[128:129] op_sel_hi:[1,0,1]
	v_dual_mov_b32 v128, v141 :: v_dual_mov_b32 v131, v129
	v_mov_b32_e32 v129, v140
	s_set_vgpr_msb 0                        ;  msbs: dst=0 src0=0 src1=0 src2=0
	s_delay_alu instid0(VALU_DEP_2) | instskip(SKIP_3) | instid1(VALU_DEP_1)
	v_pk_add_f32 v[126:127], v[126:127], v[130:131]
	s_set_vgpr_msb 1                        ;  msbs: dst=0 src0=1 src1=0 src2=0
	v_mov_b32_e32 v130, v21 /*v277*/
	s_set_vgpr_msb 0                        ;  msbs: dst=0 src0=0 src1=0 src2=0
	v_pk_mul_f32 v[128:129], v[128:129], v[130:131] op_sel_hi:[1,0]
	s_set_vgpr_msb 4                        ;  msbs: dst=0 src0=0 src1=1 src2=0
	s_delay_alu instid0(VALU_DEP_1) | instskip(SKIP_1) | instid1(VALU_DEP_1)
	v_pk_fma_f32 v[130:131], v[140:141], v[20:21] /*v[276:277]*/, v[128:129] neg_lo:[0,0,1] neg_hi:[0,0,1]
	v_pk_fma_f32 v[128:129], v[140:141], v[20:21] /*v[276:277]*/, v[128:129] op_sel_hi:[1,0,1]
	v_mov_b32_e32 v131, v129
	scratch_load_b64 v[128:129], off, off offset:152
	s_set_vgpr_msb 0                        ;  msbs: dst=0 src0=0 src1=0 src2=0
	v_pk_add_f32 v[126:127], v[126:127], v[130:131]
	s_wait_loadcnt 0x0
	s_delay_alu instid0(VALU_DEP_1)
	v_pk_add_f32 v[126:127], v[128:129], v[126:127] neg_lo:[0,1] neg_hi:[0,1]
	scratch_store_b64 off, v[126:127], off offset:152
	s_wait_xcnt 0x0
	v_cmpx_lt_u32_e32 18, v0
	s_cbranch_execz .LBB125_349
; %bb.348:
	scratch_load_b64 v[126:127], off, off offset:144
	v_mov_b64_e32 v[128:129], 0
	scratch_store_b64 off, v[128:129], off offset:144
	s_wait_loadcnt 0x0
	ds_store_b64 v1, v[126:127]
.LBB125_349:
	s_wait_xcnt 0x0
	s_or_b32 exec_lo, exec_lo, s0
	s_wait_storecnt_dscnt 0x0
	s_barrier_signal -1
	s_barrier_wait -1
	s_clause 0xf
	scratch_load_b128 v[130:133], off, off offset:152
	scratch_load_b128 v[138:141], off, off offset:168
	;; [unrolled: 1-line block ×16, first 2 shown]
	v_mov_b32_e32 v7, 0
	s_set_vgpr_msb 64                       ;  msbs: dst=1 src0=0 src1=0 src2=0
	s_clause 0x1
	scratch_load_b128 v[2:5] /*v[258:261]*/, off, off offset:408
	scratch_load_b128 v[10:13] /*v[266:269]*/, off, off offset:424
	s_mov_b32 s0, exec_lo
	s_set_vgpr_msb 0                        ;  msbs: dst=0 src0=0 src1=0 src2=0
	ds_load_2addr_b64 v[126:129], v7 offset0:81 offset1:82
	ds_load_2addr_b64 v[134:137], v7 offset0:83 offset1:84
	s_wait_loadcnt_dscnt 0x1101
	v_dual_mul_f32 v9, v126, v131 :: v_dual_mul_f32 v11, v128, v133
	ds_load_2addr_b64 v[142:145], v7 offset0:85 offset1:86
	ds_load_2addr_b64 v[150:153], v7 offset0:87 offset1:88
	ds_load_2addr_b64 v[158:161], v7 offset0:89 offset1:90
	ds_load_2addr_b64 v[166:169], v7 offset0:91 offset1:92
	v_dual_fmac_f32 v9, v127, v130 :: v_dual_fmac_f32 v11, v129, v132
	ds_load_2addr_b64 v[174:177], v7 offset0:93 offset1:94
	ds_load_2addr_b64 v[182:185], v7 offset0:95 offset1:96
	;; [unrolled: 1-line block ×4, first 2 shown]
	v_add_f32_e32 v9, 0, v9
	ds_load_2addr_b64 v[206:209], v7 offset0:101 offset1:102
	ds_load_2addr_b64 v[214:217], v7 offset0:103 offset1:104
	ds_load_2addr_b64 v[222:225], v7 offset0:105 offset1:106
	ds_load_2addr_b64 v[230:233], v7 offset0:107 offset1:108
	v_add_f32_e32 v9, v9, v11
	s_wait_loadcnt_dscnt 0x100c
	v_mul_f32_e32 v11, v134, v139
	ds_load_2addr_b64 v[238:241], v7 offset0:109 offset1:110
	ds_load_2addr_b64 v[246:249], v7 offset0:111 offset1:112
	;; [unrolled: 1-line block ×3, first 2 shown]
	s_set_vgpr_msb 64                       ;  msbs: dst=1 src0=0 src1=0 src2=0
	ds_load_2addr_b64 v[6:9] /*v[262:265]*/, v7 offset0:115 offset1:116
	s_set_vgpr_msb 0                        ;  msbs: dst=0 src0=0 src1=0 src2=0
	v_fmac_f32_e32 v11, v135, v138
	s_set_vgpr_msb 64                       ;  msbs: dst=1 src0=0 src1=0 src2=0
	s_clause 0x3
	scratch_load_b128 v[14:17] /*v[270:273]*/, off, off offset:440
	scratch_load_b128 v[18:21] /*v[274:277]*/, off, off offset:456
	;; [unrolled: 1-line block ×3, first 2 shown]
	scratch_load_b64 v[32:33] /*v[288:289]*/, off, off offset:488
	s_set_vgpr_msb 0                        ;  msbs: dst=0 src0=0 src1=0 src2=0
	v_dual_add_f32 v9, v9, v11 :: v_dual_mul_f32 v11, v136, v141
	s_delay_alu instid0(VALU_DEP_1) | instskip(NEXT) | instid1(VALU_DEP_1)
	v_fmac_f32_e32 v11, v137, v140
	v_add_f32_e32 v9, v9, v11
	s_wait_loadcnt_dscnt 0x130f
	v_mul_f32_e32 v11, v142, v147
	s_wait_loadcnt_dscnt 0x400
	s_set_vgpr_msb 0x45                     ;  msbs: dst=1 src0=1 src1=1 src2=0
	v_dual_mul_f32 v29 /*v285*/, v0 /*v256*/, v5 /*v261*/ :: v_dual_mul_f32 v31 /*v287*/, v6 /*v262*/, v11 /*v267*/
	s_set_vgpr_msb 0                        ;  msbs: dst=0 src0=0 src1=0 src2=0
	v_fmac_f32_e32 v11, v143, v146
	s_set_vgpr_msb 0x45                     ;  msbs: dst=1 src0=1 src1=1 src2=0
	s_delay_alu instid0(VALU_DEP_2) | instskip(SKIP_1) | instid1(VALU_DEP_2)
	v_dual_fmac_f32 v29 /*v285*/, v1 /*v257*/, v4 /*v260*/ :: v_dual_fmac_f32 v31 /*v287*/, v7 /*v263*/, v10 /*v266*/
	s_set_vgpr_msb 0                        ;  msbs: dst=0 src0=0 src1=0 src2=0
	v_dual_add_f32 v9, v9, v11 :: v_dual_mul_f32 v11, v144, v149
	s_delay_alu instid0(VALU_DEP_1) | instskip(NEXT) | instid1(VALU_DEP_1)
	v_fmac_f32_e32 v11, v145, v148
	v_add_f32_e32 v9, v9, v11
	v_mul_f32_e32 v11, v150, v155
	s_delay_alu instid0(VALU_DEP_1) | instskip(NEXT) | instid1(VALU_DEP_1)
	v_fmac_f32_e32 v11, v151, v154
	v_dual_add_f32 v9, v9, v11 :: v_dual_mul_f32 v11, v152, v157
	s_delay_alu instid0(VALU_DEP_1) | instskip(NEXT) | instid1(VALU_DEP_1)
	v_fmac_f32_e32 v11, v153, v156
	v_add_f32_e32 v9, v9, v11
	v_mul_f32_e32 v11, v158, v163
	s_delay_alu instid0(VALU_DEP_1) | instskip(NEXT) | instid1(VALU_DEP_1)
	v_fmac_f32_e32 v11, v159, v162
	;; [unrolled: 7-line block ×13, first 2 shown]
	v_dual_add_f32 v9, v9, v11 :: v_dual_mul_f32 v11, v248, v253
	s_delay_alu instid0(VALU_DEP_1) | instskip(NEXT) | instid1(VALU_DEP_1)
	v_fmac_f32_e32 v11, v249, v252
	v_add_f32_e32 v9, v9, v11
	s_set_vgpr_msb 4                        ;  msbs: dst=0 src0=0 src1=1 src2=0
	v_mul_f32_e32 v11, v254, v3 /*v259*/
	s_delay_alu instid0(VALU_DEP_1) | instskip(SKIP_1) | instid1(VALU_DEP_1)
	v_fmac_f32_e32 v11, v255, v2 /*v258*/
	s_set_vgpr_msb 64                       ;  msbs: dst=1 src0=0 src1=0 src2=0
	v_add_f32_e32 v27 /*v283*/, v9, v11
	s_set_vgpr_msb 0                        ;  msbs: dst=0 src0=0 src1=0 src2=0
	v_dual_mul_f32 v9, v127, v131 :: v_dual_mul_f32 v11, v129, v133
	s_delay_alu instid0(VALU_DEP_1) | instskip(NEXT) | instid1(VALU_DEP_1)
	v_dual_fma_f32 v9, v126, v130, -v9 :: v_dual_fma_f32 v11, v128, v132, -v11
	v_add_f32_e32 v9, 0, v9
	s_delay_alu instid0(VALU_DEP_1) | instskip(SKIP_1) | instid1(VALU_DEP_1)
	v_add_f32_e32 v9, v9, v11
	v_mul_f32_e32 v11, v135, v139
	v_fma_f32 v11, v134, v138, -v11
	s_delay_alu instid0(VALU_DEP_1) | instskip(SKIP_1) | instid1(VALU_DEP_1)
	v_add_f32_e32 v9, v9, v11
	v_mul_f32_e32 v11, v137, v141
	v_fma_f32 v11, v136, v140, -v11
	ds_load_2addr_b64 v[126:129], v7 offset0:117 offset1:118
	ds_load_2addr_b64 v[130:133], v7 offset0:119 offset1:120
	;; [unrolled: 1-line block ×3, first 2 shown]
	ds_load_b64 v[138:139], v7 offset:984
	v_add_f32_e32 v9, v9, v11
	v_mul_f32_e32 v11, v143, v147
	s_set_vgpr_msb 1                        ;  msbs: dst=0 src0=1 src1=0 src2=0
	v_mov_b32_e32 v143, v8 /*v264*/
	s_set_vgpr_msb 0                        ;  msbs: dst=0 src0=0 src1=0 src2=0
	s_delay_alu instid0(VALU_DEP_2) | instskip(SKIP_3) | instid1(VALU_DEP_2)
	v_fma_f32 v11, v142, v146, -v11
	s_set_vgpr_msb 1                        ;  msbs: dst=0 src0=1 src1=0 src2=0
	v_mov_b32_e32 v142, v9 /*v265*/
	s_set_vgpr_msb 0                        ;  msbs: dst=0 src0=0 src1=0 src2=0
	v_add_f32_e32 v9, v9, v11
	v_mul_f32_e32 v11, v145, v149
	s_delay_alu instid0(VALU_DEP_1) | instskip(SKIP_3) | instid1(VALU_DEP_2)
	v_fma_f32 v11, v144, v148, -v11
	s_set_vgpr_msb 1                        ;  msbs: dst=0 src0=1 src1=0 src2=0
	v_mov_b32_e32 v144, v13 /*v269*/
	s_set_vgpr_msb 0                        ;  msbs: dst=0 src0=0 src1=0 src2=0
	v_add_f32_e32 v9, v9, v11
	v_mul_f32_e32 v11, v151, v155
	s_delay_alu instid0(VALU_DEP_3) | instskip(NEXT) | instid1(VALU_DEP_2)
	v_pk_mul_f32 v[142:143], v[142:143], v[144:145] op_sel_hi:[1,0]
	v_fma_f32 v11, v150, v154, -v11
	s_set_vgpr_msb 5                        ;  msbs: dst=0 src0=1 src1=1 src2=0
	s_delay_alu instid0(VALU_DEP_2) | instskip(SKIP_3) | instid1(VALU_DEP_2)
	v_pk_fma_f32 v[144:145], v[8:9] /*v[264:265]*/, v[12:13] /*v[268:269]*/, v[142:143] neg_lo:[0,0,1] neg_hi:[0,0,1]
	v_pk_fma_f32 v[142:143], v[8:9] /*v[264:265]*/, v[12:13] /*v[268:269]*/, v[142:143] op_sel_hi:[1,0,1]
	s_set_vgpr_msb 0                        ;  msbs: dst=0 src0=0 src1=0 src2=0
	v_add_f32_e32 v9, v9, v11
	v_dual_mul_f32 v11, v153, v157 :: v_dual_mov_b32 v145, v143
	s_wait_loadcnt_dscnt 0x303
	s_set_vgpr_msb 4                        ;  msbs: dst=0 src0=0 src1=1 src2=0
	v_pk_mul_f32 v[142:143], v[126:127], v[14:15] /*v[270:271]*/ op_sel:[1,1] op_sel_hi:[0,1]
	s_set_vgpr_msb 0                        ;  msbs: dst=0 src0=0 src1=0 src2=0
	v_fma_f32 v11, v152, v156, -v11
	s_delay_alu instid0(VALU_DEP_1) | instskip(SKIP_1) | instid1(VALU_DEP_1)
	v_add_f32_e32 v9, v9, v11
	v_mul_f32_e32 v11, v159, v163
	v_fma_f32 v11, v158, v162, -v11
	s_delay_alu instid0(VALU_DEP_1) | instskip(SKIP_1) | instid1(VALU_DEP_1)
	v_add_f32_e32 v9, v9, v11
	v_mul_f32_e32 v11, v161, v165
	;; [unrolled: 4-line block ×24, first 2 shown]
	v_fma_f32 v11, v248, v252, -v11
	s_delay_alu instid0(VALU_DEP_1) | instskip(SKIP_2) | instid1(VALU_DEP_1)
	v_add_f32_e32 v9, v9, v11
	s_set_vgpr_msb 4                        ;  msbs: dst=0 src0=0 src1=1 src2=0
	v_mul_f32_e32 v11, v255, v3 /*v259*/
	v_fma_f32 v11, v254, v2 /*v258*/, -v11
	s_set_vgpr_msb 64                       ;  msbs: dst=1 src0=0 src1=0 src2=0
	s_delay_alu instid0(VALU_DEP_1) | instskip(SKIP_3) | instid1(VALU_DEP_1)
	v_add_f32_e32 v26 /*v282*/, v9, v11
	s_set_vgpr_msb 5                        ;  msbs: dst=0 src0=1 src1=1 src2=0
	v_mul_f32_e32 v9, v1 /*v257*/, v5 /*v261*/
	s_set_vgpr_msb 0x45                     ;  msbs: dst=1 src0=1 src1=1 src2=0
	v_fma_f32 v28 /*v284*/, v0 /*v256*/, v4 /*v260*/, -v9
	s_set_vgpr_msb 5                        ;  msbs: dst=0 src0=1 src1=1 src2=0
	v_mul_f32_e32 v9, v7 /*v263*/, v11 /*v267*/
	s_set_vgpr_msb 0x45                     ;  msbs: dst=1 src0=1 src1=1 src2=0
	s_delay_alu instid0(VALU_DEP_1) | instskip(SKIP_3) | instid1(VALU_DEP_1)
	v_fma_f32 v30 /*v286*/, v6 /*v262*/, v10 /*v266*/, -v9
	s_set_vgpr_msb 5                        ;  msbs: dst=0 src0=1 src1=1 src2=0
	v_pk_add_f32 v[140:141], v[26:27] /*v[282:283]*/, v[28:29] /*v[284:285]*/
	s_set_vgpr_msb 4                        ;  msbs: dst=0 src0=0 src1=1 src2=0
	v_pk_add_f32 v[140:141], v[140:141], v[30:31] /*v[286:287]*/
	s_set_vgpr_msb 0                        ;  msbs: dst=0 src0=0 src1=0 src2=0
	s_delay_alu instid0(VALU_DEP_1)
	v_pk_add_f32 v[140:141], v[140:141], v[144:145]
	s_set_vgpr_msb 4                        ;  msbs: dst=0 src0=0 src1=1 src2=0
	v_pk_fma_f32 v[144:145], v[126:127], v[14:15] /*v[270:271]*/, v[142:143] neg_lo:[0,0,1] neg_hi:[0,0,1]
	v_pk_fma_f32 v[126:127], v[126:127], v[14:15] /*v[270:271]*/, v[142:143] op_sel_hi:[1,0,1]
	s_set_vgpr_msb 1                        ;  msbs: dst=0 src0=1 src1=0 src2=0
	v_mov_b32_e32 v142, v17 /*v273*/
	s_set_vgpr_msb 0                        ;  msbs: dst=0 src0=0 src1=0 src2=0
	s_delay_alu instid0(VALU_DEP_2) | instskip(NEXT) | instid1(VALU_DEP_1)
	v_mov_b32_e32 v145, v127
	v_pk_add_f32 v[126:127], v[140:141], v[144:145]
	v_dual_mov_b32 v140, v129 :: v_dual_mov_b32 v141, v128
	s_delay_alu instid0(VALU_DEP_1) | instskip(SKIP_1) | instid1(VALU_DEP_1)
	v_pk_mul_f32 v[140:141], v[140:141], v[142:143] op_sel_hi:[1,0]
	s_set_vgpr_msb 4                        ;  msbs: dst=0 src0=0 src1=1 src2=0
	v_pk_fma_f32 v[142:143], v[128:129], v[16:17] /*v[272:273]*/, v[140:141] neg_lo:[0,0,1] neg_hi:[0,0,1]
	v_pk_fma_f32 v[128:129], v[128:129], v[16:17] /*v[272:273]*/, v[140:141] op_sel_hi:[1,0,1]
	s_delay_alu instid0(VALU_DEP_1) | instskip(SKIP_3) | instid1(VALU_DEP_2)
	v_mov_b32_e32 v143, v129
	s_wait_loadcnt_dscnt 0x202
	v_pk_mul_f32 v[128:129], v[130:131], v[18:19] /*v[274:275]*/ op_sel:[1,1] op_sel_hi:[0,1]
	s_set_vgpr_msb 0                        ;  msbs: dst=0 src0=0 src1=0 src2=0
	v_pk_add_f32 v[126:127], v[126:127], v[142:143]
	s_set_vgpr_msb 4                        ;  msbs: dst=0 src0=0 src1=1 src2=0
	s_delay_alu instid0(VALU_DEP_2)
	v_pk_fma_f32 v[140:141], v[130:131], v[18:19] /*v[274:275]*/, v[128:129] neg_lo:[0,0,1] neg_hi:[0,0,1]
	v_pk_fma_f32 v[128:129], v[130:131], v[18:19] /*v[274:275]*/, v[128:129] op_sel_hi:[1,0,1]
	v_mov_b32_e32 v128, v133
	s_set_vgpr_msb 1                        ;  msbs: dst=0 src0=1 src1=0 src2=0
	v_mov_b32_e32 v130, v21 /*v277*/
	s_set_vgpr_msb 0                        ;  msbs: dst=0 src0=0 src1=0 src2=0
	v_dual_mov_b32 v141, v129 :: v_dual_mov_b32 v129, v132
	s_delay_alu instid0(VALU_DEP_1) | instskip(NEXT) | instid1(VALU_DEP_2)
	v_pk_add_f32 v[126:127], v[126:127], v[140:141]
	v_pk_mul_f32 v[128:129], v[128:129], v[130:131] op_sel_hi:[1,0]
	s_set_vgpr_msb 4                        ;  msbs: dst=0 src0=0 src1=1 src2=0
	s_delay_alu instid0(VALU_DEP_1) | instskip(SKIP_1) | instid1(VALU_DEP_1)
	v_pk_fma_f32 v[130:131], v[132:133], v[20:21] /*v[276:277]*/, v[128:129] neg_lo:[0,0,1] neg_hi:[0,0,1]
	v_pk_fma_f32 v[128:129], v[132:133], v[20:21] /*v[276:277]*/, v[128:129] op_sel_hi:[1,0,1]
	v_mov_b32_e32 v131, v129
	s_wait_loadcnt_dscnt 0x101
	v_pk_mul_f32 v[128:129], v[134:135], v[22:23] /*v[278:279]*/ op_sel:[1,1] op_sel_hi:[0,1]
	s_set_vgpr_msb 0                        ;  msbs: dst=0 src0=0 src1=0 src2=0
	s_delay_alu instid0(VALU_DEP_2) | instskip(SKIP_1) | instid1(VALU_DEP_2)
	v_pk_add_f32 v[126:127], v[126:127], v[130:131]
	s_set_vgpr_msb 4                        ;  msbs: dst=0 src0=0 src1=1 src2=0
	v_pk_fma_f32 v[130:131], v[134:135], v[22:23] /*v[278:279]*/, v[128:129] neg_lo:[0,0,1] neg_hi:[0,0,1]
	v_pk_fma_f32 v[128:129], v[134:135], v[22:23] /*v[278:279]*/, v[128:129] op_sel_hi:[1,0,1]
	s_delay_alu instid0(VALU_DEP_1) | instskip(SKIP_2) | instid1(VALU_DEP_2)
	v_dual_mov_b32 v128, v137 :: v_dual_mov_b32 v131, v129
	v_mov_b32_e32 v129, v136
	s_set_vgpr_msb 0                        ;  msbs: dst=0 src0=0 src1=0 src2=0
	v_pk_add_f32 v[126:127], v[126:127], v[130:131]
	s_set_vgpr_msb 1                        ;  msbs: dst=0 src0=1 src1=0 src2=0
	v_mov_b32_e32 v130, v25 /*v281*/
	s_set_vgpr_msb 0                        ;  msbs: dst=0 src0=0 src1=0 src2=0
	s_delay_alu instid0(VALU_DEP_1) | instskip(SKIP_1) | instid1(VALU_DEP_1)
	v_pk_mul_f32 v[128:129], v[128:129], v[130:131] op_sel_hi:[1,0]
	s_set_vgpr_msb 4                        ;  msbs: dst=0 src0=0 src1=1 src2=0
	v_pk_fma_f32 v[130:131], v[136:137], v[24:25] /*v[280:281]*/, v[128:129] neg_lo:[0,0,1] neg_hi:[0,0,1]
	v_pk_fma_f32 v[128:129], v[136:137], v[24:25] /*v[280:281]*/, v[128:129] op_sel_hi:[1,0,1]
	s_delay_alu instid0(VALU_DEP_1) | instskip(SKIP_3) | instid1(VALU_DEP_2)
	v_mov_b32_e32 v131, v129
	s_wait_loadcnt_dscnt 0x0
	v_pk_mul_f32 v[128:129], v[138:139], v[32:33] /*v[288:289]*/ op_sel:[1,1] op_sel_hi:[0,1]
	s_set_vgpr_msb 0                        ;  msbs: dst=0 src0=0 src1=0 src2=0
	v_pk_add_f32 v[126:127], v[126:127], v[130:131]
	s_set_vgpr_msb 4                        ;  msbs: dst=0 src0=0 src1=1 src2=0
	s_delay_alu instid0(VALU_DEP_2) | instskip(SKIP_1) | instid1(VALU_DEP_1)
	v_pk_fma_f32 v[130:131], v[138:139], v[32:33] /*v[288:289]*/, v[128:129] neg_lo:[0,0,1] neg_hi:[0,0,1]
	v_pk_fma_f32 v[128:129], v[138:139], v[32:33] /*v[288:289]*/, v[128:129] op_sel_hi:[1,0,1]
	v_mov_b32_e32 v131, v129
	scratch_load_b64 v[128:129], off, off offset:144
	s_set_vgpr_msb 0                        ;  msbs: dst=0 src0=0 src1=0 src2=0
	v_pk_add_f32 v[126:127], v[126:127], v[130:131]
	s_wait_loadcnt 0x0
	s_delay_alu instid0(VALU_DEP_1)
	v_pk_add_f32 v[126:127], v[128:129], v[126:127] neg_lo:[0,1] neg_hi:[0,1]
	scratch_store_b64 off, v[126:127], off offset:144
	s_wait_xcnt 0x0
	v_cmpx_lt_u32_e32 17, v0
	s_cbranch_execz .LBB125_351
; %bb.350:
	scratch_load_b64 v[126:127], off, off offset:136
	v_mov_b64_e32 v[128:129], 0
	scratch_store_b64 off, v[128:129], off offset:136
	s_wait_loadcnt 0x0
	ds_store_b64 v1, v[126:127]
.LBB125_351:
	s_wait_xcnt 0x0
	s_or_b32 exec_lo, exec_lo, s0
	s_wait_storecnt_dscnt 0x0
	s_barrier_signal -1
	s_barrier_wait -1
	ds_load_b128 v[126:129], v7 offset:640
	ds_load_b128 v[130:133], v7 offset:656
	ds_load_b128 v[134:137], v7 offset:672
	ds_load_b128 v[138:141], v7 offset:688
	s_clause 0x12
	scratch_load_b128 v[142:145], off, off offset:144
	scratch_load_b128 v[146:149], off, off offset:160
	;; [unrolled: 1-line block ×16, first 2 shown]
	s_set_vgpr_msb 64                       ;  msbs: dst=1 src0=0 src1=0 src2=0
	scratch_load_b128 v[2:5] /*v[258:261]*/, off, off offset:400
	scratch_load_b128 v[10:13] /*v[266:269]*/, off, off offset:416
	s_set_vgpr_msb 0                        ;  msbs: dst=0 src0=0 src1=0 src2=0
	ds_load_b128 v[158:161], v7 offset:704
	ds_load_b128 v[166:169], v7 offset:720
	;; [unrolled: 1-line block ×13, first 2 shown]
	s_set_vgpr_msb 64                       ;  msbs: dst=1 src0=0 src1=0 src2=0
	ds_load_b128 v[6:9] /*v[262:265]*/, v7 offset:912
	s_clause 0x3
	scratch_load_b128 v[14:17] /*v[270:273]*/, off, off offset:432
	scratch_load_b128 v[18:21] /*v[274:277]*/, off, off offset:448
	scratch_load_b128 v[22:25] /*v[278:281]*/, off, off offset:464
	scratch_load_b128 v[26:29] /*v[282:285]*/, off, off offset:480
	s_mov_b32 s0, exec_lo
	s_wait_loadcnt_dscnt 0x1511
	s_set_vgpr_msb 0                        ;  msbs: dst=0 src0=0 src1=0 src2=0
	v_dual_mul_f32 v9, v126, v143 :: v_dual_mul_f32 v11, v128, v145
	s_delay_alu instid0(VALU_DEP_1) | instskip(NEXT) | instid1(VALU_DEP_1)
	v_dual_fmac_f32 v9, v127, v142 :: v_dual_fmac_f32 v11, v129, v144
	v_add_f32_e32 v9, 0, v9
	s_delay_alu instid0(VALU_DEP_1)
	v_add_f32_e32 v9, v9, v11
	s_wait_loadcnt_dscnt 0x1410
	v_mul_f32_e32 v11, v130, v147
	s_wait_loadcnt_dscnt 0x400
	s_set_vgpr_msb 0x45                     ;  msbs: dst=1 src0=1 src1=1 src2=0
	v_dual_mul_f32 v33 /*v289*/, v6 /*v262*/, v11 /*v267*/ :: v_dual_mul_f32 v35 /*v291*/, v8 /*v264*/, v13 /*v269*/
	s_set_vgpr_msb 0                        ;  msbs: dst=0 src0=0 src1=0 src2=0
	v_fmac_f32_e32 v11, v131, v146
	s_set_vgpr_msb 0x45                     ;  msbs: dst=1 src0=1 src1=1 src2=0
	s_delay_alu instid0(VALU_DEP_2) | instskip(SKIP_1) | instid1(VALU_DEP_2)
	v_dual_fmac_f32 v33 /*v289*/, v7 /*v263*/, v10 /*v266*/ :: v_dual_fmac_f32 v35 /*v291*/, v9 /*v265*/, v12 /*v268*/
	s_set_vgpr_msb 0                        ;  msbs: dst=0 src0=0 src1=0 src2=0
	v_dual_add_f32 v9, v9, v11 :: v_dual_mul_f32 v11, v132, v149
	s_delay_alu instid0(VALU_DEP_1) | instskip(NEXT) | instid1(VALU_DEP_1)
	v_fmac_f32_e32 v11, v133, v148
	v_add_f32_e32 v9, v9, v11
	v_mul_f32_e32 v11, v134, v151
	s_delay_alu instid0(VALU_DEP_1) | instskip(NEXT) | instid1(VALU_DEP_1)
	v_fmac_f32_e32 v11, v135, v150
	v_dual_add_f32 v9, v9, v11 :: v_dual_mul_f32 v11, v136, v153
	s_delay_alu instid0(VALU_DEP_1) | instskip(NEXT) | instid1(VALU_DEP_1)
	v_fmac_f32_e32 v11, v137, v152
	v_add_f32_e32 v9, v9, v11
	v_mul_f32_e32 v11, v138, v155
	s_delay_alu instid0(VALU_DEP_1) | instskip(NEXT) | instid1(VALU_DEP_1)
	v_fmac_f32_e32 v11, v139, v154
	v_dual_add_f32 v9, v9, v11 :: v_dual_mul_f32 v11, v140, v157
	s_delay_alu instid0(VALU_DEP_1) | instskip(NEXT) | instid1(VALU_DEP_1)
	v_fmac_f32_e32 v11, v141, v156
	v_add_f32_e32 v9, v9, v11
	v_mul_f32_e32 v11, v158, v163
	s_delay_alu instid0(VALU_DEP_1) | instskip(NEXT) | instid1(VALU_DEP_1)
	v_fmac_f32_e32 v11, v159, v162
	v_dual_add_f32 v9, v9, v11 :: v_dual_mul_f32 v11, v160, v165
	s_delay_alu instid0(VALU_DEP_1) | instskip(NEXT) | instid1(VALU_DEP_1)
	v_fmac_f32_e32 v11, v161, v164
	v_add_f32_e32 v9, v9, v11
	v_mul_f32_e32 v11, v166, v171
	s_delay_alu instid0(VALU_DEP_1) | instskip(NEXT) | instid1(VALU_DEP_1)
	v_fmac_f32_e32 v11, v167, v170
	v_dual_add_f32 v9, v9, v11 :: v_dual_mul_f32 v11, v168, v173
	s_delay_alu instid0(VALU_DEP_1) | instskip(NEXT) | instid1(VALU_DEP_1)
	v_fmac_f32_e32 v11, v169, v172
	v_add_f32_e32 v9, v9, v11
	v_mul_f32_e32 v11, v174, v179
	s_delay_alu instid0(VALU_DEP_1) | instskip(NEXT) | instid1(VALU_DEP_1)
	v_fmac_f32_e32 v11, v175, v178
	v_dual_add_f32 v9, v9, v11 :: v_dual_mul_f32 v11, v176, v181
	s_delay_alu instid0(VALU_DEP_1) | instskip(NEXT) | instid1(VALU_DEP_1)
	v_fmac_f32_e32 v11, v177, v180
	v_add_f32_e32 v9, v9, v11
	v_mul_f32_e32 v11, v182, v187
	s_delay_alu instid0(VALU_DEP_1) | instskip(NEXT) | instid1(VALU_DEP_1)
	v_fmac_f32_e32 v11, v183, v186
	v_dual_add_f32 v9, v9, v11 :: v_dual_mul_f32 v11, v184, v189
	s_delay_alu instid0(VALU_DEP_1) | instskip(NEXT) | instid1(VALU_DEP_1)
	v_fmac_f32_e32 v11, v185, v188
	v_add_f32_e32 v9, v9, v11
	v_mul_f32_e32 v11, v190, v195
	s_delay_alu instid0(VALU_DEP_1) | instskip(NEXT) | instid1(VALU_DEP_1)
	v_fmac_f32_e32 v11, v191, v194
	v_dual_add_f32 v9, v9, v11 :: v_dual_mul_f32 v11, v192, v197
	s_delay_alu instid0(VALU_DEP_1) | instskip(NEXT) | instid1(VALU_DEP_1)
	v_fmac_f32_e32 v11, v193, v196
	v_add_f32_e32 v9, v9, v11
	v_mul_f32_e32 v11, v198, v203
	s_delay_alu instid0(VALU_DEP_1) | instskip(NEXT) | instid1(VALU_DEP_1)
	v_fmac_f32_e32 v11, v199, v202
	v_dual_add_f32 v9, v9, v11 :: v_dual_mul_f32 v11, v200, v205
	s_delay_alu instid0(VALU_DEP_1) | instskip(NEXT) | instid1(VALU_DEP_1)
	v_fmac_f32_e32 v11, v201, v204
	v_add_f32_e32 v9, v9, v11
	v_mul_f32_e32 v11, v206, v211
	s_delay_alu instid0(VALU_DEP_1) | instskip(NEXT) | instid1(VALU_DEP_1)
	v_fmac_f32_e32 v11, v207, v210
	v_dual_add_f32 v9, v9, v11 :: v_dual_mul_f32 v11, v208, v213
	s_delay_alu instid0(VALU_DEP_1) | instskip(NEXT) | instid1(VALU_DEP_1)
	v_fmac_f32_e32 v11, v209, v212
	v_add_f32_e32 v9, v9, v11
	v_mul_f32_e32 v11, v214, v219
	s_delay_alu instid0(VALU_DEP_1) | instskip(NEXT) | instid1(VALU_DEP_1)
	v_fmac_f32_e32 v11, v215, v218
	v_dual_add_f32 v9, v9, v11 :: v_dual_mul_f32 v11, v216, v221
	s_delay_alu instid0(VALU_DEP_1) | instskip(NEXT) | instid1(VALU_DEP_1)
	v_fmac_f32_e32 v11, v217, v220
	v_add_f32_e32 v9, v9, v11
	v_mul_f32_e32 v11, v222, v227
	s_delay_alu instid0(VALU_DEP_1) | instskip(NEXT) | instid1(VALU_DEP_1)
	v_fmac_f32_e32 v11, v223, v226
	v_dual_add_f32 v9, v9, v11 :: v_dual_mul_f32 v11, v224, v229
	s_delay_alu instid0(VALU_DEP_1) | instskip(NEXT) | instid1(VALU_DEP_1)
	v_fmac_f32_e32 v11, v225, v228
	v_add_f32_e32 v9, v9, v11
	v_mul_f32_e32 v11, v230, v235
	s_delay_alu instid0(VALU_DEP_1) | instskip(NEXT) | instid1(VALU_DEP_1)
	v_fmac_f32_e32 v11, v231, v234
	v_dual_add_f32 v9, v9, v11 :: v_dual_mul_f32 v11, v232, v237
	s_delay_alu instid0(VALU_DEP_1) | instskip(NEXT) | instid1(VALU_DEP_1)
	v_fmac_f32_e32 v11, v233, v236
	v_add_f32_e32 v9, v9, v11
	v_mul_f32_e32 v11, v238, v243
	s_delay_alu instid0(VALU_DEP_1) | instskip(NEXT) | instid1(VALU_DEP_1)
	v_fmac_f32_e32 v11, v239, v242
	v_dual_add_f32 v9, v9, v11 :: v_dual_mul_f32 v11, v240, v245
	s_delay_alu instid0(VALU_DEP_1) | instskip(NEXT) | instid1(VALU_DEP_1)
	v_fmac_f32_e32 v11, v241, v244
	v_add_f32_e32 v9, v9, v11
	v_mul_f32_e32 v11, v246, v251
	s_delay_alu instid0(VALU_DEP_1) | instskip(NEXT) | instid1(VALU_DEP_1)
	v_fmac_f32_e32 v11, v247, v250
	v_dual_add_f32 v9, v9, v11 :: v_dual_mul_f32 v11, v248, v253
	s_delay_alu instid0(VALU_DEP_1) | instskip(NEXT) | instid1(VALU_DEP_1)
	v_fmac_f32_e32 v11, v249, v252
	v_add_f32_e32 v9, v9, v11
	s_set_vgpr_msb 4                        ;  msbs: dst=0 src0=0 src1=1 src2=0
	v_mul_f32_e32 v11, v254, v3 /*v259*/
	s_delay_alu instid0(VALU_DEP_1) | instskip(SKIP_1) | instid1(VALU_DEP_1)
	v_fmac_f32_e32 v11, v255, v2 /*v258*/
	s_set_vgpr_msb 0                        ;  msbs: dst=0 src0=0 src1=0 src2=0
	v_add_f32_e32 v9, v9, v11
	s_set_vgpr_msb 5                        ;  msbs: dst=0 src0=1 src1=1 src2=0
	v_mul_f32_e32 v11, v0 /*v256*/, v5 /*v261*/
	s_delay_alu instid0(VALU_DEP_1) | instskip(SKIP_1) | instid1(VALU_DEP_1)
	v_fmac_f32_e32 v11, v1 /*v257*/, v4 /*v260*/
	s_set_vgpr_msb 64                       ;  msbs: dst=1 src0=0 src1=0 src2=0
	v_add_f32_e32 v31 /*v287*/, v9, v11
	s_set_vgpr_msb 0                        ;  msbs: dst=0 src0=0 src1=0 src2=0
	v_dual_mul_f32 v9, v127, v143 :: v_dual_mul_f32 v11, v129, v145
	s_delay_alu instid0(VALU_DEP_1) | instskip(NEXT) | instid1(VALU_DEP_1)
	v_dual_fma_f32 v9, v126, v142, -v9 :: v_dual_fma_f32 v11, v128, v144, -v11
	v_add_f32_e32 v9, 0, v9
	s_delay_alu instid0(VALU_DEP_1) | instskip(SKIP_1) | instid1(VALU_DEP_1)
	v_add_f32_e32 v9, v9, v11
	v_mul_f32_e32 v11, v131, v147
	v_fma_f32 v11, v130, v146, -v11
	s_delay_alu instid0(VALU_DEP_1) | instskip(SKIP_1) | instid1(VALU_DEP_1)
	v_add_f32_e32 v9, v9, v11
	v_mul_f32_e32 v11, v133, v149
	v_fma_f32 v11, v132, v148, -v11
	s_delay_alu instid0(VALU_DEP_1) | instskip(SKIP_1) | instid1(VALU_DEP_1)
	v_add_f32_e32 v9, v9, v11
	v_mul_f32_e32 v11, v135, v151
	v_fma_f32 v11, v134, v150, -v11
	s_delay_alu instid0(VALU_DEP_1) | instskip(SKIP_1) | instid1(VALU_DEP_1)
	v_add_f32_e32 v9, v9, v11
	v_mul_f32_e32 v11, v137, v153
	v_fma_f32 v11, v136, v152, -v11
	s_delay_alu instid0(VALU_DEP_1) | instskip(SKIP_1) | instid1(VALU_DEP_1)
	v_add_f32_e32 v9, v9, v11
	v_mul_f32_e32 v11, v139, v155
	v_fma_f32 v11, v138, v154, -v11
	s_delay_alu instid0(VALU_DEP_1) | instskip(SKIP_1) | instid1(VALU_DEP_1)
	v_add_f32_e32 v9, v9, v11
	v_mul_f32_e32 v11, v141, v157
	v_fma_f32 v11, v140, v156, -v11
	ds_load_b128 v[126:129], v7 offset:928
	ds_load_b128 v[130:133], v7 offset:944
	;; [unrolled: 1-line block ×4, first 2 shown]
	v_add_f32_e32 v9, v9, v11
	v_mul_f32_e32 v11, v159, v163
	s_delay_alu instid0(VALU_DEP_1) | instskip(NEXT) | instid1(VALU_DEP_1)
	v_fma_f32 v11, v158, v162, -v11
	v_add_f32_e32 v9, v9, v11
	v_mul_f32_e32 v11, v161, v165
	s_wait_loadcnt_dscnt 0x303
	s_set_vgpr_msb 4                        ;  msbs: dst=0 src0=0 src1=1 src2=0
	v_pk_mul_f32 v[144:145], v[126:127], v[14:15] /*v[270:271]*/ op_sel:[1,1] op_sel_hi:[0,1]
	s_set_vgpr_msb 0                        ;  msbs: dst=0 src0=0 src1=0 src2=0
	v_fma_f32 v11, v160, v164, -v11
	s_set_vgpr_msb 4                        ;  msbs: dst=0 src0=0 src1=1 src2=0
	s_delay_alu instid0(VALU_DEP_2)
	v_pk_fma_f32 v[146:147], v[126:127], v[14:15] /*v[270:271]*/, v[144:145] neg_lo:[0,0,1] neg_hi:[0,0,1]
	v_pk_fma_f32 v[126:127], v[126:127], v[14:15] /*v[270:271]*/, v[144:145] op_sel_hi:[1,0,1]
	s_set_vgpr_msb 1                        ;  msbs: dst=0 src0=1 src1=0 src2=0
	v_mov_b32_e32 v144, v17 /*v273*/
	s_set_vgpr_msb 0                        ;  msbs: dst=0 src0=0 src1=0 src2=0
	v_add_f32_e32 v9, v9, v11
	v_mul_f32_e32 v11, v167, v171
	s_delay_alu instid0(VALU_DEP_1) | instskip(NEXT) | instid1(VALU_DEP_1)
	v_dual_mov_b32 v147, v127 :: v_dual_fma_f32 v11, v166, v170, -v11
	v_add_f32_e32 v9, v9, v11
	v_mul_f32_e32 v11, v169, v173
	s_delay_alu instid0(VALU_DEP_1) | instskip(NEXT) | instid1(VALU_DEP_1)
	v_fma_f32 v11, v168, v172, -v11
	v_add_f32_e32 v9, v9, v11
	v_mul_f32_e32 v11, v175, v179
	s_delay_alu instid0(VALU_DEP_1) | instskip(NEXT) | instid1(VALU_DEP_1)
	v_fma_f32 v11, v174, v178, -v11
	;; [unrolled: 4-line block ×21, first 2 shown]
	v_add_f32_e32 v9, v9, v11
	s_set_vgpr_msb 4                        ;  msbs: dst=0 src0=0 src1=1 src2=0
	v_mul_f32_e32 v11, v255, v3 /*v259*/
	s_delay_alu instid0(VALU_DEP_1) | instskip(SKIP_1) | instid1(VALU_DEP_1)
	v_fma_f32 v11, v254, v2 /*v258*/, -v11
	s_set_vgpr_msb 0                        ;  msbs: dst=0 src0=0 src1=0 src2=0
	v_add_f32_e32 v9, v9, v11
	s_set_vgpr_msb 5                        ;  msbs: dst=0 src0=1 src1=1 src2=0
	v_mul_f32_e32 v11, v1 /*v257*/, v5 /*v261*/
	s_delay_alu instid0(VALU_DEP_1) | instskip(SKIP_1) | instid1(VALU_DEP_1)
	v_fma_f32 v11, v0 /*v256*/, v4 /*v260*/, -v11
	s_set_vgpr_msb 64                       ;  msbs: dst=1 src0=0 src1=0 src2=0
	v_add_f32_e32 v30 /*v286*/, v9, v11
	s_set_vgpr_msb 5                        ;  msbs: dst=0 src0=1 src1=1 src2=0
	v_mul_f32_e32 v9, v7 /*v263*/, v11 /*v267*/
	s_set_vgpr_msb 0x45                     ;  msbs: dst=1 src0=1 src1=1 src2=0
	s_delay_alu instid0(VALU_DEP_1) | instskip(SKIP_3) | instid1(VALU_DEP_1)
	v_fma_f32 v32 /*v288*/, v6 /*v262*/, v10 /*v266*/, -v9
	s_set_vgpr_msb 5                        ;  msbs: dst=0 src0=1 src1=1 src2=0
	v_mul_f32_e32 v9, v9 /*v265*/, v13 /*v269*/
	s_set_vgpr_msb 0x45                     ;  msbs: dst=1 src0=1 src1=1 src2=0
	v_fma_f32 v34 /*v290*/, v8 /*v264*/, v12 /*v268*/, -v9
	s_set_vgpr_msb 5                        ;  msbs: dst=0 src0=1 src1=1 src2=0
	v_pk_add_f32 v[142:143], v[30:31] /*v[286:287]*/, v[32:33] /*v[288:289]*/
	s_set_vgpr_msb 4                        ;  msbs: dst=0 src0=0 src1=1 src2=0
	s_delay_alu instid0(VALU_DEP_1) | instskip(SKIP_1) | instid1(VALU_DEP_1)
	v_pk_add_f32 v[142:143], v[142:143], v[34:35] /*v[290:291]*/
	s_set_vgpr_msb 0                        ;  msbs: dst=0 src0=0 src1=0 src2=0
	v_pk_add_f32 v[126:127], v[142:143], v[146:147]
	v_dual_mov_b32 v142, v129 :: v_dual_mov_b32 v143, v128
	s_delay_alu instid0(VALU_DEP_1) | instskip(SKIP_1) | instid1(VALU_DEP_1)
	v_pk_mul_f32 v[142:143], v[142:143], v[144:145] op_sel_hi:[1,0]
	s_set_vgpr_msb 4                        ;  msbs: dst=0 src0=0 src1=1 src2=0
	v_pk_fma_f32 v[144:145], v[128:129], v[16:17] /*v[272:273]*/, v[142:143] neg_lo:[0,0,1] neg_hi:[0,0,1]
	v_pk_fma_f32 v[128:129], v[128:129], v[16:17] /*v[272:273]*/, v[142:143] op_sel_hi:[1,0,1]
	s_delay_alu instid0(VALU_DEP_1) | instskip(SKIP_3) | instid1(VALU_DEP_2)
	v_mov_b32_e32 v145, v129
	s_wait_loadcnt_dscnt 0x202
	v_pk_mul_f32 v[128:129], v[130:131], v[18:19] /*v[274:275]*/ op_sel:[1,1] op_sel_hi:[0,1]
	s_set_vgpr_msb 0                        ;  msbs: dst=0 src0=0 src1=0 src2=0
	v_pk_add_f32 v[126:127], v[126:127], v[144:145]
	s_set_vgpr_msb 4                        ;  msbs: dst=0 src0=0 src1=1 src2=0
	s_delay_alu instid0(VALU_DEP_2)
	v_pk_fma_f32 v[142:143], v[130:131], v[18:19] /*v[274:275]*/, v[128:129] neg_lo:[0,0,1] neg_hi:[0,0,1]
	v_pk_fma_f32 v[128:129], v[130:131], v[18:19] /*v[274:275]*/, v[128:129] op_sel_hi:[1,0,1]
	v_mov_b32_e32 v128, v133
	s_set_vgpr_msb 1                        ;  msbs: dst=0 src0=1 src1=0 src2=0
	v_mov_b32_e32 v130, v21 /*v277*/
	s_set_vgpr_msb 0                        ;  msbs: dst=0 src0=0 src1=0 src2=0
	v_dual_mov_b32 v143, v129 :: v_dual_mov_b32 v129, v132
	s_delay_alu instid0(VALU_DEP_1) | instskip(NEXT) | instid1(VALU_DEP_2)
	v_pk_add_f32 v[126:127], v[126:127], v[142:143]
	v_pk_mul_f32 v[128:129], v[128:129], v[130:131] op_sel_hi:[1,0]
	s_set_vgpr_msb 4                        ;  msbs: dst=0 src0=0 src1=1 src2=0
	s_delay_alu instid0(VALU_DEP_1) | instskip(SKIP_1) | instid1(VALU_DEP_1)
	v_pk_fma_f32 v[130:131], v[132:133], v[20:21] /*v[276:277]*/, v[128:129] neg_lo:[0,0,1] neg_hi:[0,0,1]
	v_pk_fma_f32 v[128:129], v[132:133], v[20:21] /*v[276:277]*/, v[128:129] op_sel_hi:[1,0,1]
	v_mov_b32_e32 v131, v129
	s_wait_loadcnt_dscnt 0x101
	v_pk_mul_f32 v[128:129], v[134:135], v[22:23] /*v[278:279]*/ op_sel:[1,1] op_sel_hi:[0,1]
	s_set_vgpr_msb 0                        ;  msbs: dst=0 src0=0 src1=0 src2=0
	s_delay_alu instid0(VALU_DEP_2) | instskip(SKIP_1) | instid1(VALU_DEP_2)
	v_pk_add_f32 v[126:127], v[126:127], v[130:131]
	s_set_vgpr_msb 4                        ;  msbs: dst=0 src0=0 src1=1 src2=0
	v_pk_fma_f32 v[130:131], v[134:135], v[22:23] /*v[278:279]*/, v[128:129] neg_lo:[0,0,1] neg_hi:[0,0,1]
	v_pk_fma_f32 v[128:129], v[134:135], v[22:23] /*v[278:279]*/, v[128:129] op_sel_hi:[1,0,1]
	s_delay_alu instid0(VALU_DEP_1) | instskip(SKIP_2) | instid1(VALU_DEP_2)
	v_dual_mov_b32 v128, v137 :: v_dual_mov_b32 v131, v129
	v_mov_b32_e32 v129, v136
	s_set_vgpr_msb 0                        ;  msbs: dst=0 src0=0 src1=0 src2=0
	v_pk_add_f32 v[126:127], v[126:127], v[130:131]
	s_set_vgpr_msb 1                        ;  msbs: dst=0 src0=1 src1=0 src2=0
	v_mov_b32_e32 v130, v25 /*v281*/
	s_set_vgpr_msb 0                        ;  msbs: dst=0 src0=0 src1=0 src2=0
	s_delay_alu instid0(VALU_DEP_1) | instskip(SKIP_1) | instid1(VALU_DEP_1)
	v_pk_mul_f32 v[128:129], v[128:129], v[130:131] op_sel_hi:[1,0]
	s_set_vgpr_msb 4                        ;  msbs: dst=0 src0=0 src1=1 src2=0
	v_pk_fma_f32 v[130:131], v[136:137], v[24:25] /*v[280:281]*/, v[128:129] neg_lo:[0,0,1] neg_hi:[0,0,1]
	v_pk_fma_f32 v[128:129], v[136:137], v[24:25] /*v[280:281]*/, v[128:129] op_sel_hi:[1,0,1]
	s_delay_alu instid0(VALU_DEP_1) | instskip(SKIP_3) | instid1(VALU_DEP_2)
	v_mov_b32_e32 v131, v129
	s_wait_loadcnt_dscnt 0x0
	v_pk_mul_f32 v[128:129], v[138:139], v[26:27] /*v[282:283]*/ op_sel:[1,1] op_sel_hi:[0,1]
	s_set_vgpr_msb 0                        ;  msbs: dst=0 src0=0 src1=0 src2=0
	v_pk_add_f32 v[126:127], v[126:127], v[130:131]
	s_set_vgpr_msb 4                        ;  msbs: dst=0 src0=0 src1=1 src2=0
	s_delay_alu instid0(VALU_DEP_2) | instskip(SKIP_1) | instid1(VALU_DEP_1)
	v_pk_fma_f32 v[130:131], v[138:139], v[26:27] /*v[282:283]*/, v[128:129] neg_lo:[0,0,1] neg_hi:[0,0,1]
	v_pk_fma_f32 v[128:129], v[138:139], v[26:27] /*v[282:283]*/, v[128:129] op_sel_hi:[1,0,1]
	v_dual_mov_b32 v128, v141 :: v_dual_mov_b32 v131, v129
	v_mov_b32_e32 v129, v140
	s_set_vgpr_msb 0                        ;  msbs: dst=0 src0=0 src1=0 src2=0
	s_delay_alu instid0(VALU_DEP_2) | instskip(SKIP_3) | instid1(VALU_DEP_1)
	v_pk_add_f32 v[126:127], v[126:127], v[130:131]
	s_set_vgpr_msb 1                        ;  msbs: dst=0 src0=1 src1=0 src2=0
	v_mov_b32_e32 v130, v29 /*v285*/
	s_set_vgpr_msb 0                        ;  msbs: dst=0 src0=0 src1=0 src2=0
	v_pk_mul_f32 v[128:129], v[128:129], v[130:131] op_sel_hi:[1,0]
	s_set_vgpr_msb 4                        ;  msbs: dst=0 src0=0 src1=1 src2=0
	s_delay_alu instid0(VALU_DEP_1) | instskip(SKIP_1) | instid1(VALU_DEP_1)
	v_pk_fma_f32 v[130:131], v[140:141], v[28:29] /*v[284:285]*/, v[128:129] neg_lo:[0,0,1] neg_hi:[0,0,1]
	v_pk_fma_f32 v[128:129], v[140:141], v[28:29] /*v[284:285]*/, v[128:129] op_sel_hi:[1,0,1]
	v_mov_b32_e32 v131, v129
	scratch_load_b64 v[128:129], off, off offset:136
	s_set_vgpr_msb 0                        ;  msbs: dst=0 src0=0 src1=0 src2=0
	v_pk_add_f32 v[126:127], v[126:127], v[130:131]
	s_wait_loadcnt 0x0
	s_delay_alu instid0(VALU_DEP_1)
	v_pk_add_f32 v[126:127], v[128:129], v[126:127] neg_lo:[0,1] neg_hi:[0,1]
	scratch_store_b64 off, v[126:127], off offset:136
	s_wait_xcnt 0x0
	v_cmpx_lt_u32_e32 16, v0
	s_cbranch_execz .LBB125_353
; %bb.352:
	scratch_load_b64 v[126:127], off, off offset:128
	v_mov_b64_e32 v[128:129], 0
	scratch_store_b64 off, v[128:129], off offset:128
	s_wait_loadcnt 0x0
	ds_store_b64 v1, v[126:127]
.LBB125_353:
	s_wait_xcnt 0x0
	s_or_b32 exec_lo, exec_lo, s0
	s_wait_storecnt_dscnt 0x0
	s_barrier_signal -1
	s_barrier_wait -1
	s_clause 0xf
	scratch_load_b128 v[130:133], off, off offset:136
	scratch_load_b128 v[138:141], off, off offset:152
	;; [unrolled: 1-line block ×16, first 2 shown]
	v_mov_b32_e32 v7, 0
	s_set_vgpr_msb 64                       ;  msbs: dst=1 src0=0 src1=0 src2=0
	s_clause 0x2
	scratch_load_b128 v[2:5] /*v[258:261]*/, off, off offset:392
	scratch_load_b128 v[10:13] /*v[266:269]*/, off, off offset:408
	scratch_load_b128 v[18:21] /*v[274:277]*/, off, off offset:424
	s_mov_b32 s0, exec_lo
	s_set_vgpr_msb 0                        ;  msbs: dst=0 src0=0 src1=0 src2=0
	ds_load_2addr_b64 v[126:129], v7 offset0:79 offset1:80
	ds_load_2addr_b64 v[134:137], v7 offset0:81 offset1:82
	s_wait_loadcnt_dscnt 0x1201
	v_dual_mul_f32 v9, v126, v131 :: v_dual_mul_f32 v11, v128, v133
	ds_load_2addr_b64 v[142:145], v7 offset0:83 offset1:84
	ds_load_2addr_b64 v[150:153], v7 offset0:85 offset1:86
	;; [unrolled: 1-line block ×4, first 2 shown]
	v_dual_fmac_f32 v9, v127, v130 :: v_dual_fmac_f32 v11, v129, v132
	ds_load_2addr_b64 v[174:177], v7 offset0:91 offset1:92
	ds_load_2addr_b64 v[182:185], v7 offset0:93 offset1:94
	;; [unrolled: 1-line block ×4, first 2 shown]
	v_add_f32_e32 v9, 0, v9
	ds_load_2addr_b64 v[206:209], v7 offset0:99 offset1:100
	ds_load_2addr_b64 v[214:217], v7 offset0:101 offset1:102
	;; [unrolled: 1-line block ×4, first 2 shown]
	v_add_f32_e32 v9, v9, v11
	s_wait_loadcnt_dscnt 0x110c
	v_mul_f32_e32 v11, v134, v139
	ds_load_2addr_b64 v[238:241], v7 offset0:107 offset1:108
	ds_load_2addr_b64 v[246:249], v7 offset0:109 offset1:110
	;; [unrolled: 1-line block ×3, first 2 shown]
	s_set_vgpr_msb 64                       ;  msbs: dst=1 src0=0 src1=0 src2=0
	ds_load_2addr_b64 v[6:9] /*v[262:265]*/, v7 offset0:113 offset1:114
	s_set_vgpr_msb 0                        ;  msbs: dst=0 src0=0 src1=0 src2=0
	v_fmac_f32_e32 v11, v135, v138
	s_set_vgpr_msb 64                       ;  msbs: dst=1 src0=0 src1=0 src2=0
	ds_load_2addr_b64 v[14:17] /*v[270:273]*/, v7 offset0:115 offset1:116
	s_clause 0x3
	scratch_load_b128 v[22:25] /*v[278:281]*/, off, off offset:440
	scratch_load_b128 v[26:29] /*v[282:285]*/, off, off offset:456
	;; [unrolled: 1-line block ×3, first 2 shown]
	scratch_load_b64 v[40:41] /*v[296:297]*/, off, off offset:488
	s_set_vgpr_msb 0                        ;  msbs: dst=0 src0=0 src1=0 src2=0
	v_dual_add_f32 v9, v9, v11 :: v_dual_mul_f32 v11, v136, v141
	s_delay_alu instid0(VALU_DEP_1) | instskip(NEXT) | instid1(VALU_DEP_1)
	v_fmac_f32_e32 v11, v137, v140
	v_add_f32_e32 v9, v9, v11
	s_wait_loadcnt_dscnt 0x1410
	v_mul_f32_e32 v11, v142, v147
	s_wait_loadcnt_dscnt 0x400
	s_set_vgpr_msb 0x45                     ;  msbs: dst=1 src0=1 src1=1 src2=0
	v_dual_mul_f32 v37 /*v293*/, v8 /*v264*/, v13 /*v269*/ :: v_dual_mul_f32 v39 /*v295*/, v14 /*v270*/, v19 /*v275*/
	s_set_vgpr_msb 0                        ;  msbs: dst=0 src0=0 src1=0 src2=0
	v_fmac_f32_e32 v11, v143, v146
	s_set_vgpr_msb 0x45                     ;  msbs: dst=1 src0=1 src1=1 src2=0
	s_delay_alu instid0(VALU_DEP_2) | instskip(SKIP_1) | instid1(VALU_DEP_2)
	v_dual_fmac_f32 v37 /*v293*/, v9 /*v265*/, v12 /*v268*/ :: v_dual_fmac_f32 v39 /*v295*/, v15 /*v271*/, v18 /*v274*/
	s_set_vgpr_msb 0                        ;  msbs: dst=0 src0=0 src1=0 src2=0
	v_dual_add_f32 v9, v9, v11 :: v_dual_mul_f32 v11, v144, v149
	s_delay_alu instid0(VALU_DEP_1) | instskip(NEXT) | instid1(VALU_DEP_1)
	v_fmac_f32_e32 v11, v145, v148
	v_add_f32_e32 v9, v9, v11
	v_mul_f32_e32 v11, v150, v155
	s_delay_alu instid0(VALU_DEP_1) | instskip(NEXT) | instid1(VALU_DEP_1)
	v_fmac_f32_e32 v11, v151, v154
	v_dual_add_f32 v9, v9, v11 :: v_dual_mul_f32 v11, v152, v157
	s_delay_alu instid0(VALU_DEP_1) | instskip(NEXT) | instid1(VALU_DEP_1)
	v_fmac_f32_e32 v11, v153, v156
	v_add_f32_e32 v9, v9, v11
	v_mul_f32_e32 v11, v158, v163
	s_delay_alu instid0(VALU_DEP_1) | instskip(NEXT) | instid1(VALU_DEP_1)
	v_fmac_f32_e32 v11, v159, v162
	;; [unrolled: 7-line block ×13, first 2 shown]
	v_dual_add_f32 v9, v9, v11 :: v_dual_mul_f32 v11, v248, v253
	s_delay_alu instid0(VALU_DEP_1) | instskip(NEXT) | instid1(VALU_DEP_1)
	v_fmac_f32_e32 v11, v249, v252
	v_add_f32_e32 v9, v9, v11
	s_set_vgpr_msb 4                        ;  msbs: dst=0 src0=0 src1=1 src2=0
	v_mul_f32_e32 v11, v254, v3 /*v259*/
	s_delay_alu instid0(VALU_DEP_1) | instskip(SKIP_1) | instid1(VALU_DEP_1)
	v_fmac_f32_e32 v11, v255, v2 /*v258*/
	s_set_vgpr_msb 0                        ;  msbs: dst=0 src0=0 src1=0 src2=0
	v_add_f32_e32 v9, v9, v11
	s_set_vgpr_msb 5                        ;  msbs: dst=0 src0=1 src1=1 src2=0
	v_mul_f32_e32 v11, v0 /*v256*/, v5 /*v261*/
	s_delay_alu instid0(VALU_DEP_1) | instskip(SKIP_1) | instid1(VALU_DEP_1)
	v_fmac_f32_e32 v11, v1 /*v257*/, v4 /*v260*/
	s_set_vgpr_msb 0                        ;  msbs: dst=0 src0=0 src1=0 src2=0
	v_add_f32_e32 v9, v9, v11
	s_set_vgpr_msb 5                        ;  msbs: dst=0 src0=1 src1=1 src2=0
	v_mul_f32_e32 v11, v6 /*v262*/, v11 /*v267*/
	s_delay_alu instid0(VALU_DEP_1) | instskip(SKIP_1) | instid1(VALU_DEP_1)
	v_fmac_f32_e32 v11, v7 /*v263*/, v10 /*v266*/
	s_set_vgpr_msb 64                       ;  msbs: dst=1 src0=0 src1=0 src2=0
	v_add_f32_e32 v35 /*v291*/, v9, v11
	s_set_vgpr_msb 0                        ;  msbs: dst=0 src0=0 src1=0 src2=0
	v_dual_mul_f32 v9, v127, v131 :: v_dual_mul_f32 v11, v129, v133
	s_delay_alu instid0(VALU_DEP_1) | instskip(NEXT) | instid1(VALU_DEP_1)
	v_dual_fma_f32 v9, v126, v130, -v9 :: v_dual_fma_f32 v11, v128, v132, -v11
	v_add_f32_e32 v9, 0, v9
	s_delay_alu instid0(VALU_DEP_1) | instskip(SKIP_1) | instid1(VALU_DEP_1)
	v_add_f32_e32 v9, v9, v11
	v_mul_f32_e32 v11, v135, v139
	v_fma_f32 v11, v134, v138, -v11
	s_delay_alu instid0(VALU_DEP_1) | instskip(SKIP_1) | instid1(VALU_DEP_1)
	v_add_f32_e32 v9, v9, v11
	v_mul_f32_e32 v11, v137, v141
	v_fma_f32 v11, v136, v140, -v11
	ds_load_2addr_b64 v[126:129], v7 offset0:117 offset1:118
	ds_load_2addr_b64 v[130:133], v7 offset0:119 offset1:120
	ds_load_2addr_b64 v[134:137], v7 offset0:121 offset1:122
	ds_load_b64 v[138:139], v7 offset:984
	v_add_f32_e32 v9, v9, v11
	v_mul_f32_e32 v11, v143, v147
	s_set_vgpr_msb 1                        ;  msbs: dst=0 src0=1 src1=0 src2=0
	v_mov_b32_e32 v143, v16 /*v272*/
	s_set_vgpr_msb 0                        ;  msbs: dst=0 src0=0 src1=0 src2=0
	s_delay_alu instid0(VALU_DEP_2) | instskip(SKIP_3) | instid1(VALU_DEP_2)
	v_fma_f32 v11, v142, v146, -v11
	s_set_vgpr_msb 1                        ;  msbs: dst=0 src0=1 src1=0 src2=0
	v_mov_b32_e32 v142, v17 /*v273*/
	s_set_vgpr_msb 0                        ;  msbs: dst=0 src0=0 src1=0 src2=0
	v_add_f32_e32 v9, v9, v11
	v_mul_f32_e32 v11, v145, v149
	s_delay_alu instid0(VALU_DEP_1) | instskip(SKIP_3) | instid1(VALU_DEP_2)
	v_fma_f32 v11, v144, v148, -v11
	s_set_vgpr_msb 1                        ;  msbs: dst=0 src0=1 src1=0 src2=0
	v_mov_b32_e32 v144, v21 /*v277*/
	s_set_vgpr_msb 0                        ;  msbs: dst=0 src0=0 src1=0 src2=0
	v_add_f32_e32 v9, v9, v11
	v_mul_f32_e32 v11, v151, v155
	s_delay_alu instid0(VALU_DEP_3) | instskip(NEXT) | instid1(VALU_DEP_2)
	v_pk_mul_f32 v[142:143], v[142:143], v[144:145] op_sel_hi:[1,0]
	v_fma_f32 v11, v150, v154, -v11
	s_set_vgpr_msb 5                        ;  msbs: dst=0 src0=1 src1=1 src2=0
	s_delay_alu instid0(VALU_DEP_2) | instskip(SKIP_3) | instid1(VALU_DEP_2)
	v_pk_fma_f32 v[144:145], v[16:17] /*v[272:273]*/, v[20:21] /*v[276:277]*/, v[142:143] neg_lo:[0,0,1] neg_hi:[0,0,1]
	v_pk_fma_f32 v[142:143], v[16:17] /*v[272:273]*/, v[20:21] /*v[276:277]*/, v[142:143] op_sel_hi:[1,0,1]
	s_set_vgpr_msb 0                        ;  msbs: dst=0 src0=0 src1=0 src2=0
	v_add_f32_e32 v9, v9, v11
	v_dual_mul_f32 v11, v153, v157 :: v_dual_mov_b32 v145, v143
	s_wait_loadcnt_dscnt 0x303
	s_set_vgpr_msb 4                        ;  msbs: dst=0 src0=0 src1=1 src2=0
	v_pk_mul_f32 v[142:143], v[126:127], v[22:23] /*v[278:279]*/ op_sel:[1,1] op_sel_hi:[0,1]
	s_set_vgpr_msb 0                        ;  msbs: dst=0 src0=0 src1=0 src2=0
	v_fma_f32 v11, v152, v156, -v11
	s_delay_alu instid0(VALU_DEP_1) | instskip(SKIP_1) | instid1(VALU_DEP_1)
	v_add_f32_e32 v9, v9, v11
	v_mul_f32_e32 v11, v159, v163
	v_fma_f32 v11, v158, v162, -v11
	s_delay_alu instid0(VALU_DEP_1) | instskip(SKIP_1) | instid1(VALU_DEP_1)
	v_add_f32_e32 v9, v9, v11
	v_mul_f32_e32 v11, v161, v165
	;; [unrolled: 4-line block ×24, first 2 shown]
	v_fma_f32 v11, v248, v252, -v11
	s_delay_alu instid0(VALU_DEP_1) | instskip(SKIP_2) | instid1(VALU_DEP_1)
	v_add_f32_e32 v9, v9, v11
	s_set_vgpr_msb 4                        ;  msbs: dst=0 src0=0 src1=1 src2=0
	v_mul_f32_e32 v11, v255, v3 /*v259*/
	v_fma_f32 v11, v254, v2 /*v258*/, -v11
	s_set_vgpr_msb 0                        ;  msbs: dst=0 src0=0 src1=0 src2=0
	s_delay_alu instid0(VALU_DEP_1) | instskip(SKIP_2) | instid1(VALU_DEP_1)
	v_add_f32_e32 v9, v9, v11
	s_set_vgpr_msb 5                        ;  msbs: dst=0 src0=1 src1=1 src2=0
	v_mul_f32_e32 v11, v1 /*v257*/, v5 /*v261*/
	v_fma_f32 v11, v0 /*v256*/, v4 /*v260*/, -v11
	s_set_vgpr_msb 0                        ;  msbs: dst=0 src0=0 src1=0 src2=0
	s_delay_alu instid0(VALU_DEP_1) | instskip(SKIP_2) | instid1(VALU_DEP_1)
	v_add_f32_e32 v9, v9, v11
	s_set_vgpr_msb 5                        ;  msbs: dst=0 src0=1 src1=1 src2=0
	v_mul_f32_e32 v11, v7 /*v263*/, v11 /*v267*/
	v_fma_f32 v11, v6 /*v262*/, v10 /*v266*/, -v11
	s_set_vgpr_msb 64                       ;  msbs: dst=1 src0=0 src1=0 src2=0
	s_delay_alu instid0(VALU_DEP_1) | instskip(SKIP_3) | instid1(VALU_DEP_1)
	v_add_f32_e32 v34 /*v290*/, v9, v11
	s_set_vgpr_msb 5                        ;  msbs: dst=0 src0=1 src1=1 src2=0
	v_mul_f32_e32 v9, v9 /*v265*/, v13 /*v269*/
	s_set_vgpr_msb 0x45                     ;  msbs: dst=1 src0=1 src1=1 src2=0
	v_fma_f32 v36 /*v292*/, v8 /*v264*/, v12 /*v268*/, -v9
	s_set_vgpr_msb 5                        ;  msbs: dst=0 src0=1 src1=1 src2=0
	v_mul_f32_e32 v9, v15 /*v271*/, v19 /*v275*/
	s_set_vgpr_msb 0x45                     ;  msbs: dst=1 src0=1 src1=1 src2=0
	s_delay_alu instid0(VALU_DEP_1) | instskip(SKIP_3) | instid1(VALU_DEP_1)
	v_fma_f32 v38 /*v294*/, v14 /*v270*/, v18 /*v274*/, -v9
	s_set_vgpr_msb 5                        ;  msbs: dst=0 src0=1 src1=1 src2=0
	v_pk_add_f32 v[140:141], v[34:35] /*v[290:291]*/, v[36:37] /*v[292:293]*/
	s_set_vgpr_msb 4                        ;  msbs: dst=0 src0=0 src1=1 src2=0
	v_pk_add_f32 v[140:141], v[140:141], v[38:39] /*v[294:295]*/
	s_set_vgpr_msb 0                        ;  msbs: dst=0 src0=0 src1=0 src2=0
	s_delay_alu instid0(VALU_DEP_1)
	v_pk_add_f32 v[140:141], v[140:141], v[144:145]
	s_set_vgpr_msb 4                        ;  msbs: dst=0 src0=0 src1=1 src2=0
	v_pk_fma_f32 v[144:145], v[126:127], v[22:23] /*v[278:279]*/, v[142:143] neg_lo:[0,0,1] neg_hi:[0,0,1]
	v_pk_fma_f32 v[126:127], v[126:127], v[22:23] /*v[278:279]*/, v[142:143] op_sel_hi:[1,0,1]
	s_set_vgpr_msb 1                        ;  msbs: dst=0 src0=1 src1=0 src2=0
	v_mov_b32_e32 v142, v25 /*v281*/
	s_set_vgpr_msb 0                        ;  msbs: dst=0 src0=0 src1=0 src2=0
	s_delay_alu instid0(VALU_DEP_2) | instskip(NEXT) | instid1(VALU_DEP_1)
	v_mov_b32_e32 v145, v127
	v_pk_add_f32 v[126:127], v[140:141], v[144:145]
	v_dual_mov_b32 v140, v129 :: v_dual_mov_b32 v141, v128
	s_delay_alu instid0(VALU_DEP_1) | instskip(SKIP_1) | instid1(VALU_DEP_1)
	v_pk_mul_f32 v[140:141], v[140:141], v[142:143] op_sel_hi:[1,0]
	s_set_vgpr_msb 4                        ;  msbs: dst=0 src0=0 src1=1 src2=0
	v_pk_fma_f32 v[142:143], v[128:129], v[24:25] /*v[280:281]*/, v[140:141] neg_lo:[0,0,1] neg_hi:[0,0,1]
	v_pk_fma_f32 v[128:129], v[128:129], v[24:25] /*v[280:281]*/, v[140:141] op_sel_hi:[1,0,1]
	s_delay_alu instid0(VALU_DEP_1) | instskip(SKIP_3) | instid1(VALU_DEP_2)
	v_mov_b32_e32 v143, v129
	s_wait_loadcnt_dscnt 0x202
	v_pk_mul_f32 v[128:129], v[130:131], v[26:27] /*v[282:283]*/ op_sel:[1,1] op_sel_hi:[0,1]
	s_set_vgpr_msb 0                        ;  msbs: dst=0 src0=0 src1=0 src2=0
	v_pk_add_f32 v[126:127], v[126:127], v[142:143]
	s_set_vgpr_msb 4                        ;  msbs: dst=0 src0=0 src1=1 src2=0
	s_delay_alu instid0(VALU_DEP_2)
	v_pk_fma_f32 v[140:141], v[130:131], v[26:27] /*v[282:283]*/, v[128:129] neg_lo:[0,0,1] neg_hi:[0,0,1]
	v_pk_fma_f32 v[128:129], v[130:131], v[26:27] /*v[282:283]*/, v[128:129] op_sel_hi:[1,0,1]
	v_mov_b32_e32 v128, v133
	s_set_vgpr_msb 1                        ;  msbs: dst=0 src0=1 src1=0 src2=0
	v_mov_b32_e32 v130, v29 /*v285*/
	s_set_vgpr_msb 0                        ;  msbs: dst=0 src0=0 src1=0 src2=0
	v_dual_mov_b32 v141, v129 :: v_dual_mov_b32 v129, v132
	s_delay_alu instid0(VALU_DEP_1) | instskip(NEXT) | instid1(VALU_DEP_2)
	v_pk_add_f32 v[126:127], v[126:127], v[140:141]
	v_pk_mul_f32 v[128:129], v[128:129], v[130:131] op_sel_hi:[1,0]
	s_set_vgpr_msb 4                        ;  msbs: dst=0 src0=0 src1=1 src2=0
	s_delay_alu instid0(VALU_DEP_1) | instskip(SKIP_1) | instid1(VALU_DEP_1)
	v_pk_fma_f32 v[130:131], v[132:133], v[28:29] /*v[284:285]*/, v[128:129] neg_lo:[0,0,1] neg_hi:[0,0,1]
	v_pk_fma_f32 v[128:129], v[132:133], v[28:29] /*v[284:285]*/, v[128:129] op_sel_hi:[1,0,1]
	v_mov_b32_e32 v131, v129
	s_wait_loadcnt_dscnt 0x101
	v_pk_mul_f32 v[128:129], v[134:135], v[30:31] /*v[286:287]*/ op_sel:[1,1] op_sel_hi:[0,1]
	s_set_vgpr_msb 0                        ;  msbs: dst=0 src0=0 src1=0 src2=0
	s_delay_alu instid0(VALU_DEP_2) | instskip(SKIP_1) | instid1(VALU_DEP_2)
	v_pk_add_f32 v[126:127], v[126:127], v[130:131]
	s_set_vgpr_msb 4                        ;  msbs: dst=0 src0=0 src1=1 src2=0
	v_pk_fma_f32 v[130:131], v[134:135], v[30:31] /*v[286:287]*/, v[128:129] neg_lo:[0,0,1] neg_hi:[0,0,1]
	v_pk_fma_f32 v[128:129], v[134:135], v[30:31] /*v[286:287]*/, v[128:129] op_sel_hi:[1,0,1]
	s_delay_alu instid0(VALU_DEP_1) | instskip(SKIP_2) | instid1(VALU_DEP_2)
	v_dual_mov_b32 v128, v137 :: v_dual_mov_b32 v131, v129
	v_mov_b32_e32 v129, v136
	s_set_vgpr_msb 0                        ;  msbs: dst=0 src0=0 src1=0 src2=0
	v_pk_add_f32 v[126:127], v[126:127], v[130:131]
	s_set_vgpr_msb 1                        ;  msbs: dst=0 src0=1 src1=0 src2=0
	v_mov_b32_e32 v130, v33 /*v289*/
	s_set_vgpr_msb 0                        ;  msbs: dst=0 src0=0 src1=0 src2=0
	s_delay_alu instid0(VALU_DEP_1) | instskip(SKIP_1) | instid1(VALU_DEP_1)
	v_pk_mul_f32 v[128:129], v[128:129], v[130:131] op_sel_hi:[1,0]
	s_set_vgpr_msb 4                        ;  msbs: dst=0 src0=0 src1=1 src2=0
	v_pk_fma_f32 v[130:131], v[136:137], v[32:33] /*v[288:289]*/, v[128:129] neg_lo:[0,0,1] neg_hi:[0,0,1]
	v_pk_fma_f32 v[128:129], v[136:137], v[32:33] /*v[288:289]*/, v[128:129] op_sel_hi:[1,0,1]
	s_delay_alu instid0(VALU_DEP_1) | instskip(SKIP_3) | instid1(VALU_DEP_2)
	v_mov_b32_e32 v131, v129
	s_wait_loadcnt_dscnt 0x0
	v_pk_mul_f32 v[128:129], v[138:139], v[40:41] /*v[296:297]*/ op_sel:[1,1] op_sel_hi:[0,1]
	s_set_vgpr_msb 0                        ;  msbs: dst=0 src0=0 src1=0 src2=0
	v_pk_add_f32 v[126:127], v[126:127], v[130:131]
	s_set_vgpr_msb 4                        ;  msbs: dst=0 src0=0 src1=1 src2=0
	s_delay_alu instid0(VALU_DEP_2) | instskip(SKIP_1) | instid1(VALU_DEP_1)
	v_pk_fma_f32 v[130:131], v[138:139], v[40:41] /*v[296:297]*/, v[128:129] neg_lo:[0,0,1] neg_hi:[0,0,1]
	v_pk_fma_f32 v[128:129], v[138:139], v[40:41] /*v[296:297]*/, v[128:129] op_sel_hi:[1,0,1]
	v_mov_b32_e32 v131, v129
	scratch_load_b64 v[128:129], off, off offset:128
	s_set_vgpr_msb 0                        ;  msbs: dst=0 src0=0 src1=0 src2=0
	v_pk_add_f32 v[126:127], v[126:127], v[130:131]
	s_wait_loadcnt 0x0
	s_delay_alu instid0(VALU_DEP_1)
	v_pk_add_f32 v[126:127], v[128:129], v[126:127] neg_lo:[0,1] neg_hi:[0,1]
	scratch_store_b64 off, v[126:127], off offset:128
	s_wait_xcnt 0x0
	v_cmpx_lt_u32_e32 15, v0
	s_cbranch_execz .LBB125_355
; %bb.354:
	scratch_load_b64 v[126:127], off, off offset:120
	v_mov_b64_e32 v[128:129], 0
	scratch_store_b64 off, v[128:129], off offset:120
	s_wait_loadcnt 0x0
	ds_store_b64 v1, v[126:127]
.LBB125_355:
	s_wait_xcnt 0x0
	s_or_b32 exec_lo, exec_lo, s0
	s_wait_storecnt_dscnt 0x0
	s_barrier_signal -1
	s_barrier_wait -1
	ds_load_b128 v[126:129], v7 offset:624
	ds_load_b128 v[130:133], v7 offset:640
	;; [unrolled: 1-line block ×4, first 2 shown]
	s_clause 0x12
	scratch_load_b128 v[142:145], off, off offset:128
	scratch_load_b128 v[146:149], off, off offset:144
	;; [unrolled: 1-line block ×16, first 2 shown]
	s_set_vgpr_msb 64                       ;  msbs: dst=1 src0=0 src1=0 src2=0
	scratch_load_b128 v[2:5] /*v[258:261]*/, off, off offset:384
	scratch_load_b128 v[10:13] /*v[266:269]*/, off, off offset:400
	s_set_vgpr_msb 0                        ;  msbs: dst=0 src0=0 src1=0 src2=0
	ds_load_b128 v[158:161], v7 offset:688
	ds_load_b128 v[166:169], v7 offset:704
	;; [unrolled: 1-line block ×13, first 2 shown]
	s_set_vgpr_msb 64                       ;  msbs: dst=1 src0=0 src1=0 src2=0
	ds_load_b128 v[6:9] /*v[262:265]*/, v7 offset:896
	ds_load_b128 v[14:17] /*v[270:273]*/, v7 offset:912
	s_clause 0x4
	scratch_load_b128 v[18:21] /*v[274:277]*/, off, off offset:416
	scratch_load_b128 v[22:25] /*v[278:281]*/, off, off offset:432
	;; [unrolled: 1-line block ×5, first 2 shown]
	s_mov_b32 s0, exec_lo
	s_wait_loadcnt_dscnt 0x1612
	s_set_vgpr_msb 0                        ;  msbs: dst=0 src0=0 src1=0 src2=0
	v_dual_mul_f32 v9, v126, v143 :: v_dual_mul_f32 v11, v128, v145
	s_delay_alu instid0(VALU_DEP_1) | instskip(NEXT) | instid1(VALU_DEP_1)
	v_dual_fmac_f32 v9, v127, v142 :: v_dual_fmac_f32 v11, v129, v144
	v_add_f32_e32 v9, 0, v9
	s_delay_alu instid0(VALU_DEP_1) | instskip(SKIP_2) | instid1(VALU_DEP_1)
	v_add_f32_e32 v9, v9, v11
	s_wait_loadcnt_dscnt 0x1511
	v_mul_f32_e32 v11, v130, v147
	v_fmac_f32_e32 v11, v131, v146
	s_delay_alu instid0(VALU_DEP_1) | instskip(NEXT) | instid1(VALU_DEP_1)
	v_dual_add_f32 v9, v9, v11 :: v_dual_mul_f32 v11, v132, v149
	v_fmac_f32_e32 v11, v133, v148
	s_wait_loadcnt_dscnt 0x400
	s_set_vgpr_msb 0x45                     ;  msbs: dst=1 src0=1 src1=1 src2=0
	v_dual_mul_f32 v41 /*v297*/, v14 /*v270*/, v19 /*v275*/ :: v_dual_mul_f32 v43 /*v299*/, v16 /*v272*/, v21 /*v277*/
	s_set_vgpr_msb 0                        ;  msbs: dst=0 src0=0 src1=0 src2=0
	v_add_f32_e32 v9, v9, v11
	v_mul_f32_e32 v11, v134, v151
	s_set_vgpr_msb 0x45                     ;  msbs: dst=1 src0=1 src1=1 src2=0
	v_dual_fmac_f32 v41 /*v297*/, v15 /*v271*/, v18 /*v274*/ :: v_dual_fmac_f32 v43 /*v299*/, v17 /*v273*/, v20 /*v276*/
	s_set_vgpr_msb 0                        ;  msbs: dst=0 src0=0 src1=0 src2=0
	s_delay_alu instid0(VALU_DEP_2) | instskip(NEXT) | instid1(VALU_DEP_1)
	v_fmac_f32_e32 v11, v135, v150
	v_dual_add_f32 v9, v9, v11 :: v_dual_mul_f32 v11, v136, v153
	s_delay_alu instid0(VALU_DEP_1) | instskip(NEXT) | instid1(VALU_DEP_1)
	v_fmac_f32_e32 v11, v137, v152
	v_add_f32_e32 v9, v9, v11
	v_mul_f32_e32 v11, v138, v155
	s_delay_alu instid0(VALU_DEP_1) | instskip(NEXT) | instid1(VALU_DEP_1)
	v_fmac_f32_e32 v11, v139, v154
	v_dual_add_f32 v9, v9, v11 :: v_dual_mul_f32 v11, v140, v157
	s_delay_alu instid0(VALU_DEP_1) | instskip(NEXT) | instid1(VALU_DEP_1)
	v_fmac_f32_e32 v11, v141, v156
	v_add_f32_e32 v9, v9, v11
	v_mul_f32_e32 v11, v158, v163
	s_delay_alu instid0(VALU_DEP_1) | instskip(NEXT) | instid1(VALU_DEP_1)
	;; [unrolled: 7-line block ×13, first 2 shown]
	v_fmac_f32_e32 v11, v247, v250
	v_dual_add_f32 v9, v9, v11 :: v_dual_mul_f32 v11, v248, v253
	s_delay_alu instid0(VALU_DEP_1) | instskip(NEXT) | instid1(VALU_DEP_1)
	v_fmac_f32_e32 v11, v249, v252
	v_add_f32_e32 v9, v9, v11
	s_set_vgpr_msb 4                        ;  msbs: dst=0 src0=0 src1=1 src2=0
	v_mul_f32_e32 v11, v254, v3 /*v259*/
	s_delay_alu instid0(VALU_DEP_1) | instskip(SKIP_1) | instid1(VALU_DEP_1)
	v_fmac_f32_e32 v11, v255, v2 /*v258*/
	s_set_vgpr_msb 0                        ;  msbs: dst=0 src0=0 src1=0 src2=0
	v_add_f32_e32 v9, v9, v11
	s_set_vgpr_msb 5                        ;  msbs: dst=0 src0=1 src1=1 src2=0
	v_mul_f32_e32 v11, v0 /*v256*/, v5 /*v261*/
	s_delay_alu instid0(VALU_DEP_1) | instskip(SKIP_1) | instid1(VALU_DEP_1)
	v_fmac_f32_e32 v11, v1 /*v257*/, v4 /*v260*/
	s_set_vgpr_msb 0                        ;  msbs: dst=0 src0=0 src1=0 src2=0
	v_add_f32_e32 v9, v9, v11
	s_set_vgpr_msb 5                        ;  msbs: dst=0 src0=1 src1=1 src2=0
	v_mul_f32_e32 v11, v6 /*v262*/, v11 /*v267*/
	s_delay_alu instid0(VALU_DEP_1) | instskip(SKIP_1) | instid1(VALU_DEP_1)
	v_fmac_f32_e32 v11, v7 /*v263*/, v10 /*v266*/
	;; [unrolled: 6-line block ×3, first 2 shown]
	s_set_vgpr_msb 64                       ;  msbs: dst=1 src0=0 src1=0 src2=0
	v_add_f32_e32 v39 /*v295*/, v9, v11
	s_set_vgpr_msb 0                        ;  msbs: dst=0 src0=0 src1=0 src2=0
	v_dual_mul_f32 v9, v127, v143 :: v_dual_mul_f32 v11, v129, v145
	s_delay_alu instid0(VALU_DEP_1) | instskip(NEXT) | instid1(VALU_DEP_1)
	v_dual_fma_f32 v9, v126, v142, -v9 :: v_dual_fma_f32 v11, v128, v144, -v11
	v_add_f32_e32 v9, 0, v9
	s_delay_alu instid0(VALU_DEP_1) | instskip(SKIP_1) | instid1(VALU_DEP_1)
	v_add_f32_e32 v9, v9, v11
	v_mul_f32_e32 v11, v131, v147
	v_fma_f32 v11, v130, v146, -v11
	s_delay_alu instid0(VALU_DEP_1) | instskip(SKIP_1) | instid1(VALU_DEP_1)
	v_add_f32_e32 v9, v9, v11
	v_mul_f32_e32 v11, v133, v149
	v_fma_f32 v11, v132, v148, -v11
	;; [unrolled: 4-line block ×6, first 2 shown]
	ds_load_b128 v[126:129], v7 offset:928
	ds_load_b128 v[130:133], v7 offset:944
	;; [unrolled: 1-line block ×4, first 2 shown]
	v_add_f32_e32 v9, v9, v11
	v_mul_f32_e32 v11, v159, v163
	s_delay_alu instid0(VALU_DEP_1) | instskip(NEXT) | instid1(VALU_DEP_1)
	v_fma_f32 v11, v158, v162, -v11
	v_add_f32_e32 v9, v9, v11
	v_mul_f32_e32 v11, v161, v165
	s_wait_loadcnt_dscnt 0x303
	s_set_vgpr_msb 4                        ;  msbs: dst=0 src0=0 src1=1 src2=0
	v_pk_mul_f32 v[144:145], v[126:127], v[22:23] /*v[278:279]*/ op_sel:[1,1] op_sel_hi:[0,1]
	s_set_vgpr_msb 0                        ;  msbs: dst=0 src0=0 src1=0 src2=0
	v_fma_f32 v11, v160, v164, -v11
	s_set_vgpr_msb 4                        ;  msbs: dst=0 src0=0 src1=1 src2=0
	s_delay_alu instid0(VALU_DEP_2)
	v_pk_fma_f32 v[146:147], v[126:127], v[22:23] /*v[278:279]*/, v[144:145] neg_lo:[0,0,1] neg_hi:[0,0,1]
	v_pk_fma_f32 v[126:127], v[126:127], v[22:23] /*v[278:279]*/, v[144:145] op_sel_hi:[1,0,1]
	s_set_vgpr_msb 1                        ;  msbs: dst=0 src0=1 src1=0 src2=0
	v_mov_b32_e32 v144, v25 /*v281*/
	s_set_vgpr_msb 0                        ;  msbs: dst=0 src0=0 src1=0 src2=0
	v_add_f32_e32 v9, v9, v11
	v_mul_f32_e32 v11, v167, v171
	s_delay_alu instid0(VALU_DEP_1) | instskip(NEXT) | instid1(VALU_DEP_1)
	v_dual_mov_b32 v147, v127 :: v_dual_fma_f32 v11, v166, v170, -v11
	v_add_f32_e32 v9, v9, v11
	v_mul_f32_e32 v11, v169, v173
	s_delay_alu instid0(VALU_DEP_1) | instskip(NEXT) | instid1(VALU_DEP_1)
	v_fma_f32 v11, v168, v172, -v11
	v_add_f32_e32 v9, v9, v11
	v_mul_f32_e32 v11, v175, v179
	s_delay_alu instid0(VALU_DEP_1) | instskip(NEXT) | instid1(VALU_DEP_1)
	v_fma_f32 v11, v174, v178, -v11
	;; [unrolled: 4-line block ×21, first 2 shown]
	v_add_f32_e32 v9, v9, v11
	s_set_vgpr_msb 4                        ;  msbs: dst=0 src0=0 src1=1 src2=0
	v_mul_f32_e32 v11, v255, v3 /*v259*/
	s_delay_alu instid0(VALU_DEP_1) | instskip(SKIP_1) | instid1(VALU_DEP_1)
	v_fma_f32 v11, v254, v2 /*v258*/, -v11
	s_set_vgpr_msb 0                        ;  msbs: dst=0 src0=0 src1=0 src2=0
	v_add_f32_e32 v9, v9, v11
	s_set_vgpr_msb 5                        ;  msbs: dst=0 src0=1 src1=1 src2=0
	v_mul_f32_e32 v11, v1 /*v257*/, v5 /*v261*/
	s_delay_alu instid0(VALU_DEP_1) | instskip(SKIP_1) | instid1(VALU_DEP_1)
	v_fma_f32 v11, v0 /*v256*/, v4 /*v260*/, -v11
	s_set_vgpr_msb 0                        ;  msbs: dst=0 src0=0 src1=0 src2=0
	v_add_f32_e32 v9, v9, v11
	s_set_vgpr_msb 5                        ;  msbs: dst=0 src0=1 src1=1 src2=0
	v_mul_f32_e32 v11, v7 /*v263*/, v11 /*v267*/
	s_delay_alu instid0(VALU_DEP_1) | instskip(SKIP_1) | instid1(VALU_DEP_1)
	v_fma_f32 v11, v6 /*v262*/, v10 /*v266*/, -v11
	;; [unrolled: 6-line block ×3, first 2 shown]
	s_set_vgpr_msb 64                       ;  msbs: dst=1 src0=0 src1=0 src2=0
	v_add_f32_e32 v38 /*v294*/, v9, v11
	s_set_vgpr_msb 5                        ;  msbs: dst=0 src0=1 src1=1 src2=0
	v_mul_f32_e32 v9, v15 /*v271*/, v19 /*v275*/
	s_set_vgpr_msb 0x45                     ;  msbs: dst=1 src0=1 src1=1 src2=0
	s_delay_alu instid0(VALU_DEP_1) | instskip(SKIP_3) | instid1(VALU_DEP_1)
	v_fma_f32 v40 /*v296*/, v14 /*v270*/, v18 /*v274*/, -v9
	s_set_vgpr_msb 5                        ;  msbs: dst=0 src0=1 src1=1 src2=0
	v_mul_f32_e32 v9, v17 /*v273*/, v21 /*v277*/
	s_set_vgpr_msb 0x45                     ;  msbs: dst=1 src0=1 src1=1 src2=0
	v_fma_f32 v42 /*v298*/, v16 /*v272*/, v20 /*v276*/, -v9
	s_set_vgpr_msb 5                        ;  msbs: dst=0 src0=1 src1=1 src2=0
	v_pk_add_f32 v[142:143], v[38:39] /*v[294:295]*/, v[40:41] /*v[296:297]*/
	s_set_vgpr_msb 4                        ;  msbs: dst=0 src0=0 src1=1 src2=0
	s_delay_alu instid0(VALU_DEP_1) | instskip(SKIP_1) | instid1(VALU_DEP_1)
	v_pk_add_f32 v[142:143], v[142:143], v[42:43] /*v[298:299]*/
	s_set_vgpr_msb 0                        ;  msbs: dst=0 src0=0 src1=0 src2=0
	v_pk_add_f32 v[126:127], v[142:143], v[146:147]
	v_dual_mov_b32 v142, v129 :: v_dual_mov_b32 v143, v128
	s_delay_alu instid0(VALU_DEP_1) | instskip(SKIP_1) | instid1(VALU_DEP_1)
	v_pk_mul_f32 v[142:143], v[142:143], v[144:145] op_sel_hi:[1,0]
	s_set_vgpr_msb 4                        ;  msbs: dst=0 src0=0 src1=1 src2=0
	v_pk_fma_f32 v[144:145], v[128:129], v[24:25] /*v[280:281]*/, v[142:143] neg_lo:[0,0,1] neg_hi:[0,0,1]
	v_pk_fma_f32 v[128:129], v[128:129], v[24:25] /*v[280:281]*/, v[142:143] op_sel_hi:[1,0,1]
	s_delay_alu instid0(VALU_DEP_1) | instskip(SKIP_3) | instid1(VALU_DEP_2)
	v_mov_b32_e32 v145, v129
	s_wait_loadcnt_dscnt 0x202
	v_pk_mul_f32 v[128:129], v[130:131], v[26:27] /*v[282:283]*/ op_sel:[1,1] op_sel_hi:[0,1]
	s_set_vgpr_msb 0                        ;  msbs: dst=0 src0=0 src1=0 src2=0
	v_pk_add_f32 v[126:127], v[126:127], v[144:145]
	s_set_vgpr_msb 4                        ;  msbs: dst=0 src0=0 src1=1 src2=0
	s_delay_alu instid0(VALU_DEP_2)
	v_pk_fma_f32 v[142:143], v[130:131], v[26:27] /*v[282:283]*/, v[128:129] neg_lo:[0,0,1] neg_hi:[0,0,1]
	v_pk_fma_f32 v[128:129], v[130:131], v[26:27] /*v[282:283]*/, v[128:129] op_sel_hi:[1,0,1]
	v_mov_b32_e32 v128, v133
	s_set_vgpr_msb 1                        ;  msbs: dst=0 src0=1 src1=0 src2=0
	v_mov_b32_e32 v130, v29 /*v285*/
	s_set_vgpr_msb 0                        ;  msbs: dst=0 src0=0 src1=0 src2=0
	v_dual_mov_b32 v143, v129 :: v_dual_mov_b32 v129, v132
	s_delay_alu instid0(VALU_DEP_1) | instskip(NEXT) | instid1(VALU_DEP_2)
	v_pk_add_f32 v[126:127], v[126:127], v[142:143]
	v_pk_mul_f32 v[128:129], v[128:129], v[130:131] op_sel_hi:[1,0]
	s_set_vgpr_msb 4                        ;  msbs: dst=0 src0=0 src1=1 src2=0
	s_delay_alu instid0(VALU_DEP_1) | instskip(SKIP_1) | instid1(VALU_DEP_1)
	v_pk_fma_f32 v[130:131], v[132:133], v[28:29] /*v[284:285]*/, v[128:129] neg_lo:[0,0,1] neg_hi:[0,0,1]
	v_pk_fma_f32 v[128:129], v[132:133], v[28:29] /*v[284:285]*/, v[128:129] op_sel_hi:[1,0,1]
	v_mov_b32_e32 v131, v129
	s_wait_loadcnt_dscnt 0x101
	v_pk_mul_f32 v[128:129], v[134:135], v[30:31] /*v[286:287]*/ op_sel:[1,1] op_sel_hi:[0,1]
	s_set_vgpr_msb 0                        ;  msbs: dst=0 src0=0 src1=0 src2=0
	s_delay_alu instid0(VALU_DEP_2) | instskip(SKIP_1) | instid1(VALU_DEP_2)
	v_pk_add_f32 v[126:127], v[126:127], v[130:131]
	s_set_vgpr_msb 4                        ;  msbs: dst=0 src0=0 src1=1 src2=0
	v_pk_fma_f32 v[130:131], v[134:135], v[30:31] /*v[286:287]*/, v[128:129] neg_lo:[0,0,1] neg_hi:[0,0,1]
	v_pk_fma_f32 v[128:129], v[134:135], v[30:31] /*v[286:287]*/, v[128:129] op_sel_hi:[1,0,1]
	s_delay_alu instid0(VALU_DEP_1) | instskip(SKIP_2) | instid1(VALU_DEP_2)
	v_dual_mov_b32 v128, v137 :: v_dual_mov_b32 v131, v129
	v_mov_b32_e32 v129, v136
	s_set_vgpr_msb 0                        ;  msbs: dst=0 src0=0 src1=0 src2=0
	v_pk_add_f32 v[126:127], v[126:127], v[130:131]
	s_set_vgpr_msb 1                        ;  msbs: dst=0 src0=1 src1=0 src2=0
	v_mov_b32_e32 v130, v33 /*v289*/
	s_set_vgpr_msb 0                        ;  msbs: dst=0 src0=0 src1=0 src2=0
	s_delay_alu instid0(VALU_DEP_1) | instskip(SKIP_1) | instid1(VALU_DEP_1)
	v_pk_mul_f32 v[128:129], v[128:129], v[130:131] op_sel_hi:[1,0]
	s_set_vgpr_msb 4                        ;  msbs: dst=0 src0=0 src1=1 src2=0
	v_pk_fma_f32 v[130:131], v[136:137], v[32:33] /*v[288:289]*/, v[128:129] neg_lo:[0,0,1] neg_hi:[0,0,1]
	v_pk_fma_f32 v[128:129], v[136:137], v[32:33] /*v[288:289]*/, v[128:129] op_sel_hi:[1,0,1]
	s_delay_alu instid0(VALU_DEP_1) | instskip(SKIP_3) | instid1(VALU_DEP_2)
	v_mov_b32_e32 v131, v129
	s_wait_loadcnt_dscnt 0x0
	v_pk_mul_f32 v[128:129], v[138:139], v[34:35] /*v[290:291]*/ op_sel:[1,1] op_sel_hi:[0,1]
	s_set_vgpr_msb 0                        ;  msbs: dst=0 src0=0 src1=0 src2=0
	v_pk_add_f32 v[126:127], v[126:127], v[130:131]
	s_set_vgpr_msb 4                        ;  msbs: dst=0 src0=0 src1=1 src2=0
	s_delay_alu instid0(VALU_DEP_2) | instskip(SKIP_1) | instid1(VALU_DEP_1)
	v_pk_fma_f32 v[130:131], v[138:139], v[34:35] /*v[290:291]*/, v[128:129] neg_lo:[0,0,1] neg_hi:[0,0,1]
	v_pk_fma_f32 v[128:129], v[138:139], v[34:35] /*v[290:291]*/, v[128:129] op_sel_hi:[1,0,1]
	v_dual_mov_b32 v128, v141 :: v_dual_mov_b32 v131, v129
	v_mov_b32_e32 v129, v140
	s_set_vgpr_msb 0                        ;  msbs: dst=0 src0=0 src1=0 src2=0
	s_delay_alu instid0(VALU_DEP_2) | instskip(SKIP_3) | instid1(VALU_DEP_1)
	v_pk_add_f32 v[126:127], v[126:127], v[130:131]
	s_set_vgpr_msb 1                        ;  msbs: dst=0 src0=1 src1=0 src2=0
	v_mov_b32_e32 v130, v37 /*v293*/
	s_set_vgpr_msb 0                        ;  msbs: dst=0 src0=0 src1=0 src2=0
	v_pk_mul_f32 v[128:129], v[128:129], v[130:131] op_sel_hi:[1,0]
	s_set_vgpr_msb 4                        ;  msbs: dst=0 src0=0 src1=1 src2=0
	s_delay_alu instid0(VALU_DEP_1) | instskip(SKIP_1) | instid1(VALU_DEP_1)
	v_pk_fma_f32 v[130:131], v[140:141], v[36:37] /*v[292:293]*/, v[128:129] neg_lo:[0,0,1] neg_hi:[0,0,1]
	v_pk_fma_f32 v[128:129], v[140:141], v[36:37] /*v[292:293]*/, v[128:129] op_sel_hi:[1,0,1]
	v_mov_b32_e32 v131, v129
	scratch_load_b64 v[128:129], off, off offset:120
	s_set_vgpr_msb 0                        ;  msbs: dst=0 src0=0 src1=0 src2=0
	v_pk_add_f32 v[126:127], v[126:127], v[130:131]
	s_wait_loadcnt 0x0
	s_delay_alu instid0(VALU_DEP_1)
	v_pk_add_f32 v[126:127], v[128:129], v[126:127] neg_lo:[0,1] neg_hi:[0,1]
	scratch_store_b64 off, v[126:127], off offset:120
	s_wait_xcnt 0x0
	v_cmpx_lt_u32_e32 14, v0
	s_cbranch_execz .LBB125_357
; %bb.356:
	scratch_load_b64 v[126:127], off, off offset:112
	v_mov_b64_e32 v[128:129], 0
	scratch_store_b64 off, v[128:129], off offset:112
	s_wait_loadcnt 0x0
	ds_store_b64 v1, v[126:127]
.LBB125_357:
	s_wait_xcnt 0x0
	s_or_b32 exec_lo, exec_lo, s0
	s_wait_storecnt_dscnt 0x0
	s_barrier_signal -1
	s_barrier_wait -1
	s_clause 0xf
	scratch_load_b128 v[130:133], off, off offset:120
	scratch_load_b128 v[138:141], off, off offset:136
	;; [unrolled: 1-line block ×16, first 2 shown]
	v_mov_b32_e32 v7, 0
	s_set_vgpr_msb 64                       ;  msbs: dst=1 src0=0 src1=0 src2=0
	s_clause 0x3
	scratch_load_b128 v[2:5] /*v[258:261]*/, off, off offset:376
	scratch_load_b128 v[10:13] /*v[266:269]*/, off, off offset:392
	;; [unrolled: 1-line block ×4, first 2 shown]
	s_set_vgpr_msb 0                        ;  msbs: dst=0 src0=0 src1=0 src2=0
	ds_load_2addr_b64 v[126:129], v7 offset0:77 offset1:78
	ds_load_2addr_b64 v[134:137], v7 offset0:79 offset1:80
	s_mov_b32 s0, exec_lo
	s_wait_loadcnt_dscnt 0x1301
	v_dual_mul_f32 v9, v126, v131 :: v_dual_mul_f32 v11, v128, v133
	ds_load_2addr_b64 v[142:145], v7 offset0:81 offset1:82
	ds_load_2addr_b64 v[150:153], v7 offset0:83 offset1:84
	;; [unrolled: 1-line block ×4, first 2 shown]
	v_dual_fmac_f32 v9, v127, v130 :: v_dual_fmac_f32 v11, v129, v132
	ds_load_2addr_b64 v[174:177], v7 offset0:89 offset1:90
	ds_load_2addr_b64 v[182:185], v7 offset0:91 offset1:92
	ds_load_2addr_b64 v[190:193], v7 offset0:93 offset1:94
	ds_load_2addr_b64 v[198:201], v7 offset0:95 offset1:96
	v_add_f32_e32 v9, 0, v9
	ds_load_2addr_b64 v[206:209], v7 offset0:97 offset1:98
	ds_load_2addr_b64 v[214:217], v7 offset0:99 offset1:100
	;; [unrolled: 1-line block ×4, first 2 shown]
	v_add_f32_e32 v9, v9, v11
	s_wait_loadcnt_dscnt 0x120c
	v_mul_f32_e32 v11, v134, v139
	ds_load_2addr_b64 v[238:241], v7 offset0:105 offset1:106
	ds_load_2addr_b64 v[246:249], v7 offset0:107 offset1:108
	;; [unrolled: 1-line block ×3, first 2 shown]
	s_set_vgpr_msb 64                       ;  msbs: dst=1 src0=0 src1=0 src2=0
	ds_load_2addr_b64 v[6:9] /*v[262:265]*/, v7 offset0:111 offset1:112
	s_set_vgpr_msb 0                        ;  msbs: dst=0 src0=0 src1=0 src2=0
	v_fmac_f32_e32 v11, v135, v138
	s_set_vgpr_msb 64                       ;  msbs: dst=1 src0=0 src1=0 src2=0
	ds_load_2addr_b64 v[14:17] /*v[270:273]*/, v7 offset0:113 offset1:114
	ds_load_2addr_b64 v[22:25] /*v[278:281]*/, v7 offset0:115 offset1:116
	s_clause 0x3
	scratch_load_b128 v[30:33] /*v[286:289]*/, off, off offset:440
	scratch_load_b128 v[34:37] /*v[290:293]*/, off, off offset:456
	;; [unrolled: 1-line block ×3, first 2 shown]
	scratch_load_b64 v[48:49] /*v[304:305]*/, off, off offset:488
	s_set_vgpr_msb 0                        ;  msbs: dst=0 src0=0 src1=0 src2=0
	v_dual_add_f32 v9, v9, v11 :: v_dual_mul_f32 v11, v136, v141
	s_delay_alu instid0(VALU_DEP_1) | instskip(NEXT) | instid1(VALU_DEP_1)
	v_fmac_f32_e32 v11, v137, v140
	v_add_f32_e32 v9, v9, v11
	s_wait_loadcnt_dscnt 0x1511
	v_mul_f32_e32 v11, v142, v147
	s_wait_loadcnt_dscnt 0x400
	s_set_vgpr_msb 0x45                     ;  msbs: dst=1 src0=1 src1=1 src2=0
	v_dual_mul_f32 v45 /*v301*/, v16 /*v272*/, v21 /*v277*/ :: v_dual_mul_f32 v47 /*v303*/, v22 /*v278*/, v27 /*v283*/
	s_set_vgpr_msb 0                        ;  msbs: dst=0 src0=0 src1=0 src2=0
	v_fmac_f32_e32 v11, v143, v146
	s_set_vgpr_msb 0x45                     ;  msbs: dst=1 src0=1 src1=1 src2=0
	s_delay_alu instid0(VALU_DEP_2) | instskip(SKIP_1) | instid1(VALU_DEP_2)
	v_dual_fmac_f32 v45 /*v301*/, v17 /*v273*/, v20 /*v276*/ :: v_dual_fmac_f32 v47 /*v303*/, v23 /*v279*/, v26 /*v282*/
	s_set_vgpr_msb 0                        ;  msbs: dst=0 src0=0 src1=0 src2=0
	v_dual_add_f32 v9, v9, v11 :: v_dual_mul_f32 v11, v144, v149
	s_delay_alu instid0(VALU_DEP_1) | instskip(NEXT) | instid1(VALU_DEP_1)
	v_fmac_f32_e32 v11, v145, v148
	v_add_f32_e32 v9, v9, v11
	v_mul_f32_e32 v11, v150, v155
	s_delay_alu instid0(VALU_DEP_1) | instskip(NEXT) | instid1(VALU_DEP_1)
	v_fmac_f32_e32 v11, v151, v154
	v_dual_add_f32 v9, v9, v11 :: v_dual_mul_f32 v11, v152, v157
	s_delay_alu instid0(VALU_DEP_1) | instskip(NEXT) | instid1(VALU_DEP_1)
	v_fmac_f32_e32 v11, v153, v156
	v_add_f32_e32 v9, v9, v11
	v_mul_f32_e32 v11, v158, v163
	s_delay_alu instid0(VALU_DEP_1) | instskip(NEXT) | instid1(VALU_DEP_1)
	v_fmac_f32_e32 v11, v159, v162
	;; [unrolled: 7-line block ×13, first 2 shown]
	v_dual_add_f32 v9, v9, v11 :: v_dual_mul_f32 v11, v248, v253
	s_delay_alu instid0(VALU_DEP_1) | instskip(NEXT) | instid1(VALU_DEP_1)
	v_fmac_f32_e32 v11, v249, v252
	v_add_f32_e32 v9, v9, v11
	s_set_vgpr_msb 4                        ;  msbs: dst=0 src0=0 src1=1 src2=0
	v_mul_f32_e32 v11, v254, v3 /*v259*/
	s_delay_alu instid0(VALU_DEP_1) | instskip(SKIP_1) | instid1(VALU_DEP_1)
	v_fmac_f32_e32 v11, v255, v2 /*v258*/
	s_set_vgpr_msb 0                        ;  msbs: dst=0 src0=0 src1=0 src2=0
	v_add_f32_e32 v9, v9, v11
	s_set_vgpr_msb 5                        ;  msbs: dst=0 src0=1 src1=1 src2=0
	v_mul_f32_e32 v11, v0 /*v256*/, v5 /*v261*/
	s_delay_alu instid0(VALU_DEP_1) | instskip(SKIP_1) | instid1(VALU_DEP_1)
	v_fmac_f32_e32 v11, v1 /*v257*/, v4 /*v260*/
	s_set_vgpr_msb 0                        ;  msbs: dst=0 src0=0 src1=0 src2=0
	v_add_f32_e32 v9, v9, v11
	s_set_vgpr_msb 5                        ;  msbs: dst=0 src0=1 src1=1 src2=0
	v_mul_f32_e32 v11, v6 /*v262*/, v11 /*v267*/
	s_delay_alu instid0(VALU_DEP_1) | instskip(SKIP_1) | instid1(VALU_DEP_1)
	v_fmac_f32_e32 v11, v7 /*v263*/, v10 /*v266*/
	;; [unrolled: 6-line block ×4, first 2 shown]
	s_set_vgpr_msb 64                       ;  msbs: dst=1 src0=0 src1=0 src2=0
	v_add_f32_e32 v43 /*v299*/, v9, v11
	s_set_vgpr_msb 0                        ;  msbs: dst=0 src0=0 src1=0 src2=0
	v_dual_mul_f32 v9, v127, v131 :: v_dual_mul_f32 v11, v129, v133
	s_delay_alu instid0(VALU_DEP_1) | instskip(NEXT) | instid1(VALU_DEP_1)
	v_dual_fma_f32 v9, v126, v130, -v9 :: v_dual_fma_f32 v11, v128, v132, -v11
	v_add_f32_e32 v9, 0, v9
	s_delay_alu instid0(VALU_DEP_1) | instskip(SKIP_1) | instid1(VALU_DEP_1)
	v_add_f32_e32 v9, v9, v11
	v_mul_f32_e32 v11, v135, v139
	v_fma_f32 v11, v134, v138, -v11
	s_delay_alu instid0(VALU_DEP_1) | instskip(SKIP_1) | instid1(VALU_DEP_1)
	v_add_f32_e32 v9, v9, v11
	v_mul_f32_e32 v11, v137, v141
	v_fma_f32 v11, v136, v140, -v11
	ds_load_2addr_b64 v[126:129], v7 offset0:117 offset1:118
	ds_load_2addr_b64 v[130:133], v7 offset0:119 offset1:120
	;; [unrolled: 1-line block ×3, first 2 shown]
	ds_load_b64 v[138:139], v7 offset:984
	v_add_f32_e32 v9, v9, v11
	v_mul_f32_e32 v11, v143, v147
	s_set_vgpr_msb 1                        ;  msbs: dst=0 src0=1 src1=0 src2=0
	v_mov_b32_e32 v143, v24 /*v280*/
	s_set_vgpr_msb 0                        ;  msbs: dst=0 src0=0 src1=0 src2=0
	s_delay_alu instid0(VALU_DEP_2) | instskip(SKIP_3) | instid1(VALU_DEP_2)
	v_fma_f32 v11, v142, v146, -v11
	s_set_vgpr_msb 1                        ;  msbs: dst=0 src0=1 src1=0 src2=0
	v_mov_b32_e32 v142, v25 /*v281*/
	s_set_vgpr_msb 0                        ;  msbs: dst=0 src0=0 src1=0 src2=0
	v_add_f32_e32 v9, v9, v11
	v_mul_f32_e32 v11, v145, v149
	s_delay_alu instid0(VALU_DEP_1) | instskip(SKIP_3) | instid1(VALU_DEP_2)
	v_fma_f32 v11, v144, v148, -v11
	s_set_vgpr_msb 1                        ;  msbs: dst=0 src0=1 src1=0 src2=0
	v_mov_b32_e32 v144, v29 /*v285*/
	s_set_vgpr_msb 0                        ;  msbs: dst=0 src0=0 src1=0 src2=0
	v_add_f32_e32 v9, v9, v11
	v_mul_f32_e32 v11, v151, v155
	s_delay_alu instid0(VALU_DEP_3) | instskip(NEXT) | instid1(VALU_DEP_2)
	v_pk_mul_f32 v[142:143], v[142:143], v[144:145] op_sel_hi:[1,0]
	v_fma_f32 v11, v150, v154, -v11
	s_set_vgpr_msb 5                        ;  msbs: dst=0 src0=1 src1=1 src2=0
	s_delay_alu instid0(VALU_DEP_2) | instskip(SKIP_3) | instid1(VALU_DEP_2)
	v_pk_fma_f32 v[144:145], v[24:25] /*v[280:281]*/, v[28:29] /*v[284:285]*/, v[142:143] neg_lo:[0,0,1] neg_hi:[0,0,1]
	v_pk_fma_f32 v[142:143], v[24:25] /*v[280:281]*/, v[28:29] /*v[284:285]*/, v[142:143] op_sel_hi:[1,0,1]
	s_set_vgpr_msb 0                        ;  msbs: dst=0 src0=0 src1=0 src2=0
	v_add_f32_e32 v9, v9, v11
	v_dual_mul_f32 v11, v153, v157 :: v_dual_mov_b32 v145, v143
	s_wait_loadcnt_dscnt 0x303
	s_set_vgpr_msb 4                        ;  msbs: dst=0 src0=0 src1=1 src2=0
	v_pk_mul_f32 v[142:143], v[126:127], v[30:31] /*v[286:287]*/ op_sel:[1,1] op_sel_hi:[0,1]
	s_set_vgpr_msb 0                        ;  msbs: dst=0 src0=0 src1=0 src2=0
	v_fma_f32 v11, v152, v156, -v11
	s_delay_alu instid0(VALU_DEP_1) | instskip(SKIP_1) | instid1(VALU_DEP_1)
	v_add_f32_e32 v9, v9, v11
	v_mul_f32_e32 v11, v159, v163
	v_fma_f32 v11, v158, v162, -v11
	s_delay_alu instid0(VALU_DEP_1) | instskip(SKIP_1) | instid1(VALU_DEP_1)
	v_add_f32_e32 v9, v9, v11
	v_mul_f32_e32 v11, v161, v165
	;; [unrolled: 4-line block ×24, first 2 shown]
	v_fma_f32 v11, v248, v252, -v11
	s_delay_alu instid0(VALU_DEP_1) | instskip(SKIP_2) | instid1(VALU_DEP_1)
	v_add_f32_e32 v9, v9, v11
	s_set_vgpr_msb 4                        ;  msbs: dst=0 src0=0 src1=1 src2=0
	v_mul_f32_e32 v11, v255, v3 /*v259*/
	v_fma_f32 v11, v254, v2 /*v258*/, -v11
	s_set_vgpr_msb 0                        ;  msbs: dst=0 src0=0 src1=0 src2=0
	s_delay_alu instid0(VALU_DEP_1) | instskip(SKIP_2) | instid1(VALU_DEP_1)
	v_add_f32_e32 v9, v9, v11
	s_set_vgpr_msb 5                        ;  msbs: dst=0 src0=1 src1=1 src2=0
	v_mul_f32_e32 v11, v1 /*v257*/, v5 /*v261*/
	v_fma_f32 v11, v0 /*v256*/, v4 /*v260*/, -v11
	s_set_vgpr_msb 0                        ;  msbs: dst=0 src0=0 src1=0 src2=0
	s_delay_alu instid0(VALU_DEP_1) | instskip(SKIP_2) | instid1(VALU_DEP_1)
	v_add_f32_e32 v9, v9, v11
	s_set_vgpr_msb 5                        ;  msbs: dst=0 src0=1 src1=1 src2=0
	v_mul_f32_e32 v11, v7 /*v263*/, v11 /*v267*/
	v_fma_f32 v11, v6 /*v262*/, v10 /*v266*/, -v11
	;; [unrolled: 6-line block ×4, first 2 shown]
	s_set_vgpr_msb 64                       ;  msbs: dst=1 src0=0 src1=0 src2=0
	s_delay_alu instid0(VALU_DEP_1) | instskip(SKIP_3) | instid1(VALU_DEP_1)
	v_add_f32_e32 v42 /*v298*/, v9, v11
	s_set_vgpr_msb 5                        ;  msbs: dst=0 src0=1 src1=1 src2=0
	v_mul_f32_e32 v9, v17 /*v273*/, v21 /*v277*/
	s_set_vgpr_msb 0x45                     ;  msbs: dst=1 src0=1 src1=1 src2=0
	v_fma_f32 v44 /*v300*/, v16 /*v272*/, v20 /*v276*/, -v9
	s_set_vgpr_msb 5                        ;  msbs: dst=0 src0=1 src1=1 src2=0
	v_mul_f32_e32 v9, v23 /*v279*/, v27 /*v283*/
	s_set_vgpr_msb 0x45                     ;  msbs: dst=1 src0=1 src1=1 src2=0
	s_delay_alu instid0(VALU_DEP_1) | instskip(SKIP_3) | instid1(VALU_DEP_1)
	v_fma_f32 v46 /*v302*/, v22 /*v278*/, v26 /*v282*/, -v9
	s_set_vgpr_msb 5                        ;  msbs: dst=0 src0=1 src1=1 src2=0
	v_pk_add_f32 v[140:141], v[42:43] /*v[298:299]*/, v[44:45] /*v[300:301]*/
	s_set_vgpr_msb 4                        ;  msbs: dst=0 src0=0 src1=1 src2=0
	v_pk_add_f32 v[140:141], v[140:141], v[46:47] /*v[302:303]*/
	s_set_vgpr_msb 0                        ;  msbs: dst=0 src0=0 src1=0 src2=0
	s_delay_alu instid0(VALU_DEP_1)
	v_pk_add_f32 v[140:141], v[140:141], v[144:145]
	s_set_vgpr_msb 4                        ;  msbs: dst=0 src0=0 src1=1 src2=0
	v_pk_fma_f32 v[144:145], v[126:127], v[30:31] /*v[286:287]*/, v[142:143] neg_lo:[0,0,1] neg_hi:[0,0,1]
	v_pk_fma_f32 v[126:127], v[126:127], v[30:31] /*v[286:287]*/, v[142:143] op_sel_hi:[1,0,1]
	s_set_vgpr_msb 1                        ;  msbs: dst=0 src0=1 src1=0 src2=0
	v_mov_b32_e32 v142, v33 /*v289*/
	s_set_vgpr_msb 0                        ;  msbs: dst=0 src0=0 src1=0 src2=0
	s_delay_alu instid0(VALU_DEP_2) | instskip(NEXT) | instid1(VALU_DEP_1)
	v_mov_b32_e32 v145, v127
	v_pk_add_f32 v[126:127], v[140:141], v[144:145]
	v_dual_mov_b32 v140, v129 :: v_dual_mov_b32 v141, v128
	s_delay_alu instid0(VALU_DEP_1) | instskip(SKIP_1) | instid1(VALU_DEP_1)
	v_pk_mul_f32 v[140:141], v[140:141], v[142:143] op_sel_hi:[1,0]
	s_set_vgpr_msb 4                        ;  msbs: dst=0 src0=0 src1=1 src2=0
	v_pk_fma_f32 v[142:143], v[128:129], v[32:33] /*v[288:289]*/, v[140:141] neg_lo:[0,0,1] neg_hi:[0,0,1]
	v_pk_fma_f32 v[128:129], v[128:129], v[32:33] /*v[288:289]*/, v[140:141] op_sel_hi:[1,0,1]
	s_delay_alu instid0(VALU_DEP_1) | instskip(SKIP_3) | instid1(VALU_DEP_2)
	v_mov_b32_e32 v143, v129
	s_wait_loadcnt_dscnt 0x202
	v_pk_mul_f32 v[128:129], v[130:131], v[34:35] /*v[290:291]*/ op_sel:[1,1] op_sel_hi:[0,1]
	s_set_vgpr_msb 0                        ;  msbs: dst=0 src0=0 src1=0 src2=0
	v_pk_add_f32 v[126:127], v[126:127], v[142:143]
	s_set_vgpr_msb 4                        ;  msbs: dst=0 src0=0 src1=1 src2=0
	s_delay_alu instid0(VALU_DEP_2)
	v_pk_fma_f32 v[140:141], v[130:131], v[34:35] /*v[290:291]*/, v[128:129] neg_lo:[0,0,1] neg_hi:[0,0,1]
	v_pk_fma_f32 v[128:129], v[130:131], v[34:35] /*v[290:291]*/, v[128:129] op_sel_hi:[1,0,1]
	v_mov_b32_e32 v128, v133
	s_set_vgpr_msb 1                        ;  msbs: dst=0 src0=1 src1=0 src2=0
	v_mov_b32_e32 v130, v37 /*v293*/
	s_set_vgpr_msb 0                        ;  msbs: dst=0 src0=0 src1=0 src2=0
	v_dual_mov_b32 v141, v129 :: v_dual_mov_b32 v129, v132
	s_delay_alu instid0(VALU_DEP_1) | instskip(NEXT) | instid1(VALU_DEP_2)
	v_pk_add_f32 v[126:127], v[126:127], v[140:141]
	v_pk_mul_f32 v[128:129], v[128:129], v[130:131] op_sel_hi:[1,0]
	s_set_vgpr_msb 4                        ;  msbs: dst=0 src0=0 src1=1 src2=0
	s_delay_alu instid0(VALU_DEP_1) | instskip(SKIP_1) | instid1(VALU_DEP_1)
	v_pk_fma_f32 v[130:131], v[132:133], v[36:37] /*v[292:293]*/, v[128:129] neg_lo:[0,0,1] neg_hi:[0,0,1]
	v_pk_fma_f32 v[128:129], v[132:133], v[36:37] /*v[292:293]*/, v[128:129] op_sel_hi:[1,0,1]
	v_mov_b32_e32 v131, v129
	s_wait_loadcnt_dscnt 0x101
	v_pk_mul_f32 v[128:129], v[134:135], v[38:39] /*v[294:295]*/ op_sel:[1,1] op_sel_hi:[0,1]
	s_set_vgpr_msb 0                        ;  msbs: dst=0 src0=0 src1=0 src2=0
	s_delay_alu instid0(VALU_DEP_2) | instskip(SKIP_1) | instid1(VALU_DEP_2)
	v_pk_add_f32 v[126:127], v[126:127], v[130:131]
	s_set_vgpr_msb 4                        ;  msbs: dst=0 src0=0 src1=1 src2=0
	v_pk_fma_f32 v[130:131], v[134:135], v[38:39] /*v[294:295]*/, v[128:129] neg_lo:[0,0,1] neg_hi:[0,0,1]
	v_pk_fma_f32 v[128:129], v[134:135], v[38:39] /*v[294:295]*/, v[128:129] op_sel_hi:[1,0,1]
	s_delay_alu instid0(VALU_DEP_1) | instskip(SKIP_2) | instid1(VALU_DEP_2)
	v_dual_mov_b32 v128, v137 :: v_dual_mov_b32 v131, v129
	v_mov_b32_e32 v129, v136
	s_set_vgpr_msb 0                        ;  msbs: dst=0 src0=0 src1=0 src2=0
	v_pk_add_f32 v[126:127], v[126:127], v[130:131]
	s_set_vgpr_msb 1                        ;  msbs: dst=0 src0=1 src1=0 src2=0
	v_mov_b32_e32 v130, v41 /*v297*/
	s_set_vgpr_msb 0                        ;  msbs: dst=0 src0=0 src1=0 src2=0
	s_delay_alu instid0(VALU_DEP_1) | instskip(SKIP_1) | instid1(VALU_DEP_1)
	v_pk_mul_f32 v[128:129], v[128:129], v[130:131] op_sel_hi:[1,0]
	s_set_vgpr_msb 4                        ;  msbs: dst=0 src0=0 src1=1 src2=0
	v_pk_fma_f32 v[130:131], v[136:137], v[40:41] /*v[296:297]*/, v[128:129] neg_lo:[0,0,1] neg_hi:[0,0,1]
	v_pk_fma_f32 v[128:129], v[136:137], v[40:41] /*v[296:297]*/, v[128:129] op_sel_hi:[1,0,1]
	s_delay_alu instid0(VALU_DEP_1) | instskip(SKIP_3) | instid1(VALU_DEP_2)
	v_mov_b32_e32 v131, v129
	s_wait_loadcnt_dscnt 0x0
	v_pk_mul_f32 v[128:129], v[138:139], v[48:49] /*v[304:305]*/ op_sel:[1,1] op_sel_hi:[0,1]
	s_set_vgpr_msb 0                        ;  msbs: dst=0 src0=0 src1=0 src2=0
	v_pk_add_f32 v[126:127], v[126:127], v[130:131]
	s_set_vgpr_msb 4                        ;  msbs: dst=0 src0=0 src1=1 src2=0
	s_delay_alu instid0(VALU_DEP_2) | instskip(SKIP_1) | instid1(VALU_DEP_1)
	v_pk_fma_f32 v[130:131], v[138:139], v[48:49] /*v[304:305]*/, v[128:129] neg_lo:[0,0,1] neg_hi:[0,0,1]
	v_pk_fma_f32 v[128:129], v[138:139], v[48:49] /*v[304:305]*/, v[128:129] op_sel_hi:[1,0,1]
	v_mov_b32_e32 v131, v129
	scratch_load_b64 v[128:129], off, off offset:112
	s_set_vgpr_msb 0                        ;  msbs: dst=0 src0=0 src1=0 src2=0
	v_pk_add_f32 v[126:127], v[126:127], v[130:131]
	s_wait_loadcnt 0x0
	s_delay_alu instid0(VALU_DEP_1)
	v_pk_add_f32 v[126:127], v[128:129], v[126:127] neg_lo:[0,1] neg_hi:[0,1]
	scratch_store_b64 off, v[126:127], off offset:112
	s_wait_xcnt 0x0
	v_cmpx_lt_u32_e32 13, v0
	s_cbranch_execz .LBB125_359
; %bb.358:
	scratch_load_b64 v[126:127], off, off offset:104
	v_mov_b64_e32 v[128:129], 0
	scratch_store_b64 off, v[128:129], off offset:104
	s_wait_loadcnt 0x0
	ds_store_b64 v1, v[126:127]
.LBB125_359:
	s_wait_xcnt 0x0
	s_or_b32 exec_lo, exec_lo, s0
	s_wait_storecnt_dscnt 0x0
	s_barrier_signal -1
	s_barrier_wait -1
	s_clause 0x17
	scratch_load_b128 v[126:129], off, off offset:112
	scratch_load_b128 v[130:133], off, off offset:128
	;; [unrolled: 1-line block ×24, first 2 shown]
	ds_load_b128 v[222:225], v7 offset:608
	ds_load_b128 v[226:229], v7 offset:624
	;; [unrolled: 1-line block ×6, first 2 shown]
	s_set_vgpr_msb 64                       ;  msbs: dst=1 src0=0 src1=0 src2=0
	scratch_load_b64 v[62:63] /*v[318:319]*/, off, off offset:104
	s_set_vgpr_msb 0                        ;  msbs: dst=0 src0=0 src1=0 src2=0
	ds_load_b128 v[246:249], v7 offset:672
	ds_load_b128 v[250:253], v7 offset:688
	;; [unrolled: 1-line block ×3, first 2 shown]
	s_set_vgpr_msb 64                       ;  msbs: dst=1 src0=0 src1=0 src2=0
	ds_load_b128 v[2:5] /*v[258:261]*/, v7 offset:976
	ds_load_b128 v[6:9] /*v[262:265]*/, v7 offset:704
	;; [unrolled: 1-line block ×15, first 2 shown]
	s_mov_b32 s0, exec_lo
	s_wait_dscnt 0xf
	s_set_vgpr_msb 0x41                     ;  msbs: dst=1 src0=1 src1=0 src2=0
	v_dual_mov_b32 v68 /*v324*/, v1 /*v257*/ :: v_dual_mov_b32 v69 /*v325*/, v0 /*v256*/
	s_wait_dscnt 0xe
	v_dual_mov_b32 v70 /*v326*/, v5 /*v261*/ :: v_dual_mov_b32 v71 /*v327*/, v4 /*v260*/
	s_set_vgpr_msb 64                       ;  msbs: dst=1 src0=0 src1=0 src2=0
	v_dual_mov_b32 v64 /*v320*/, v241 :: v_dual_mov_b32 v65 /*v321*/, v240
	v_dual_mov_b32 v66 /*v322*/, v245 :: v_dual_mov_b32 v67 /*v323*/, v244
	s_wait_loadcnt 0x18
	s_set_vgpr_msb 0                        ;  msbs: dst=0 src0=0 src1=0 src2=0
	v_dual_mul_f32 v7, v222, v127 :: v_dual_mul_f32 v9, v224, v129
	v_dual_mul_f32 v83, v223, v127 :: v_dual_mul_f32 v85, v225, v129
	s_wait_loadcnt 0x17
	v_dual_mul_f32 v11, v226, v131 :: v_dual_mul_f32 v13, v228, v133
	s_delay_alu instid0(VALU_DEP_3) | instskip(SKIP_3) | instid1(VALU_DEP_3)
	v_dual_fmac_f32 v7, v223, v126 :: v_dual_fmac_f32 v9, v225, v128
	s_wait_loadcnt 0x15
	v_dual_fma_f32 v83, v222, v126, -v83 :: v_dual_mul_f32 v95, v235, v139
	v_dual_mul_f32 v87, v227, v131 :: v_dual_mul_f32 v89, v229, v133
	v_dual_fma_f32 v85, v224, v128, -v85 :: v_dual_add_f32 v7, 0, v7
	s_delay_alu instid0(VALU_DEP_3) | instskip(SKIP_1) | instid1(VALU_DEP_3)
	v_dual_add_f32 v83, 0, v83 :: v_dual_mul_f32 v97, v237, v141
	v_dual_fmac_f32 v11, v227, v130 :: v_dual_fmac_f32 v13, v229, v132
	v_dual_fma_f32 v87, v226, v130, -v87 :: v_dual_add_f32 v7, v7, v9
	s_delay_alu instid0(VALU_DEP_3) | instskip(SKIP_2) | instid1(VALU_DEP_4)
	v_dual_add_f32 v9, v83, v85 :: v_dual_fma_f32 v85, v228, v132, -v89
	v_dual_mul_f32 v15, v230, v135 :: v_dual_mul_f32 v17, v232, v137
	v_dual_mul_f32 v91, v231, v135 :: v_dual_mul_f32 v93, v233, v137
	v_add_f32_e32 v7, v7, v11
	s_delay_alu instid0(VALU_DEP_3) | instskip(NEXT) | instid1(VALU_DEP_3)
	v_dual_add_f32 v9, v9, v87 :: v_dual_fmac_f32 v15, v231, v134
	v_fma_f32 v87, v230, v134, -v91
	v_dual_mul_f32 v19, v234, v139 :: v_dual_mul_f32 v21, v236, v141
	s_delay_alu instid0(VALU_DEP_4) | instskip(SKIP_2) | instid1(VALU_DEP_2)
	v_dual_add_f32 v7, v7, v13 :: v_dual_fmac_f32 v17, v233, v136
	s_wait_loadcnt 0x13
	v_dual_add_f32 v9, v9, v85 :: v_dual_mul_f32 v13, v251, v147
	v_dual_fma_f32 v85, v232, v136, -v93 :: v_dual_add_f32 v7, v7, v15
	v_mul_f32_e32 v15, v253, v149
	s_delay_alu instid0(VALU_DEP_3) | instskip(NEXT) | instid1(VALU_DEP_3)
	v_dual_add_f32 v9, v9, v87 :: v_dual_fmac_f32 v19, v235, v138
	v_dual_fma_f32 v87, v234, v138, -v95 :: v_dual_add_f32 v7, v7, v17
	v_fmac_f32_e32 v21, v237, v140
	s_delay_alu instid0(VALU_DEP_3) | instskip(SKIP_3) | instid1(VALU_DEP_3)
	v_dual_add_f32 v9, v9, v85 :: v_dual_fma_f32 v85, v236, v140, -v97
	v_dual_mul_f32 v23, v246, v143 :: v_dual_mul_f32 v25, v248, v145
	v_dual_mul_f32 v83, v247, v143 :: v_dual_mul_f32 v11, v249, v145
	v_add_f32_e32 v7, v7, v19
	v_dual_add_f32 v9, v9, v87 :: v_dual_fmac_f32 v23, v247, v142
	s_delay_alu instid0(VALU_DEP_3) | instskip(SKIP_1) | instid1(VALU_DEP_4)
	v_fma_f32 v83, v246, v142, -v83
	v_dual_mul_f32 v27, v250, v147 :: v_dual_mul_f32 v29, v252, v149
	v_dual_add_f32 v7, v7, v21 :: v_dual_fmac_f32 v25, v249, v144
	s_delay_alu instid0(VALU_DEP_4) | instskip(NEXT) | instid1(VALU_DEP_3)
	v_dual_add_f32 v9, v9, v85 :: v_dual_fma_f32 v11, v248, v144, -v11
	v_fmac_f32_e32 v27, v251, v146
	s_delay_alu instid0(VALU_DEP_3) | instskip(NEXT) | instid1(VALU_DEP_3)
	v_dual_add_f32 v7, v7, v23 :: v_dual_fma_f32 v13, v250, v146, -v13
	v_add_f32_e32 v9, v9, v83
	s_wait_loadcnt_dscnt 0x120d
	s_set_vgpr_msb 1                        ;  msbs: dst=0 src0=1 src1=0 src2=0
	v_dual_mul_f32 v31, v6 /*v262*/, v151 :: v_dual_mul_f32 v33, v8 /*v264*/, v153
	s_set_vgpr_msb 0                        ;  msbs: dst=0 src0=0 src1=0 src2=0
	v_add_f32_e32 v7, v7, v25
	s_set_vgpr_msb 1                        ;  msbs: dst=0 src0=1 src1=0 src2=0
	v_dual_mul_f32 v17, v7 /*v263*/, v151 :: v_dual_mul_f32 v19, v9 /*v265*/, v153
	s_set_vgpr_msb 0                        ;  msbs: dst=0 src0=0 src1=0 src2=0
	v_add_f32_e32 v9, v9, v11
	v_dual_fmac_f32 v29, v253, v148 :: v_dual_fma_f32 v15, v252, v148, -v15
	v_add_f32_e32 v7, v7, v27
	s_set_vgpr_msb 1                        ;  msbs: dst=0 src0=1 src1=0 src2=0
	v_dual_fmac_f32 v31, v7 /*v263*/, v150 :: v_dual_fma_f32 v17, v6 /*v262*/, v150, -v17
	s_set_vgpr_msb 0                        ;  msbs: dst=0 src0=0 src1=0 src2=0
	v_add_f32_e32 v9, v9, v13
	s_wait_loadcnt_dscnt 0x110c
	s_set_vgpr_msb 1                        ;  msbs: dst=0 src0=1 src1=0 src2=0
	v_dual_mul_f32 v35, v10 /*v266*/, v155 :: v_dual_mul_f32 v37, v12 /*v268*/, v157
	s_set_vgpr_msb 0                        ;  msbs: dst=0 src0=0 src1=0 src2=0
	v_add_f32_e32 v7, v7, v29
	s_set_vgpr_msb 1                        ;  msbs: dst=0 src0=1 src1=0 src2=0
	v_dual_mul_f32 v21, v11 /*v267*/, v155 :: v_dual_mul_f32 v23, v13 /*v269*/, v157
	s_set_vgpr_msb 0                        ;  msbs: dst=0 src0=0 src1=0 src2=0
	v_add_f32_e32 v9, v9, v15
	s_wait_loadcnt_dscnt 0xf0a
	s_set_vgpr_msb 1                        ;  msbs: dst=0 src0=1 src1=0 src2=0
	v_dual_mul_f32 v15, v19 /*v275*/, v163 :: v_dual_fmac_f32 v33, v9 /*v265*/, v152
	v_fma_f32 v19, v8 /*v264*/, v152, -v19
	s_set_vgpr_msb 0                        ;  msbs: dst=0 src0=0 src1=0 src2=0
	v_dual_add_f32 v7, v7, v31 :: v_dual_add_f32 v9, v9, v17
	s_set_vgpr_msb 1                        ;  msbs: dst=0 src0=1 src1=0 src2=0
	v_dual_mul_f32 v17, v21 /*v277*/, v165 :: v_dual_fmac_f32 v35, v11 /*v267*/, v154
	v_fma_f32 v21, v10 /*v266*/, v154, -v21
	s_set_vgpr_msb 0                        ;  msbs: dst=0 src0=0 src1=0 src2=0
	v_dual_add_f32 v7, v7, v33 :: v_dual_add_f32 v9, v9, v19
	s_set_vgpr_msb 1                        ;  msbs: dst=0 src0=1 src1=0 src2=0
	v_dual_mul_f32 v11, v15 /*v271*/, v159 :: v_dual_mul_f32 v13, v17 /*v273*/, v161
	s_wait_loadcnt_dscnt 0xe09
	v_dual_mul_f32 v19, v23 /*v279*/, v167 :: v_dual_fmac_f32 v37, v13 /*v269*/, v156
	v_fma_f32 v23, v12 /*v268*/, v156, -v23
	s_set_vgpr_msb 0                        ;  msbs: dst=0 src0=0 src1=0 src2=0
	v_dual_add_f32 v7, v7, v35 :: v_dual_add_f32 v9, v9, v21
	s_set_vgpr_msb 1                        ;  msbs: dst=0 src0=1 src1=0 src2=0
	v_dual_mul_f32 v39, v14 /*v270*/, v159 :: v_dual_mul_f32 v41, v16 /*v272*/, v161
	v_dual_mul_f32 v21, v25 /*v281*/, v169 :: v_dual_fma_f32 v11, v14 /*v270*/, v158, -v11
	s_set_vgpr_msb 0                        ;  msbs: dst=0 src0=0 src1=0 src2=0
	v_dual_add_f32 v7, v7, v37 :: v_dual_add_f32 v9, v9, v23
	s_set_vgpr_msb 1                        ;  msbs: dst=0 src0=1 src1=0 src2=0
	v_dual_fmac_f32 v39, v15 /*v271*/, v158 :: v_dual_fmac_f32 v41, v17 /*v273*/, v160
	s_wait_loadcnt_dscnt 0xd08
	v_dual_mul_f32 v23, v27 /*v283*/, v171 :: v_dual_fma_f32 v13, v16 /*v272*/, v160, -v13
	s_set_vgpr_msb 0                        ;  msbs: dst=0 src0=0 src1=0 src2=0
	v_add_f32_e32 v9, v9, v11
	s_set_vgpr_msb 1                        ;  msbs: dst=0 src0=1 src1=0 src2=0
	v_dual_mul_f32 v43, v18 /*v274*/, v163 :: v_dual_mul_f32 v45, v20 /*v276*/, v165
	v_mul_f32_e32 v11, v29 /*v285*/, v173
	s_set_vgpr_msb 0                        ;  msbs: dst=0 src0=0 src1=0 src2=0
	v_dual_add_f32 v7, v7, v39 :: v_dual_add_f32 v9, v9, v13
	s_wait_loadcnt_dscnt 0xc07
	s_set_vgpr_msb 1                        ;  msbs: dst=0 src0=1 src1=0 src2=0
	v_dual_fma_f32 v15, v18 /*v274*/, v162, -v15 :: v_dual_mul_f32 v13, v31 /*v287*/, v175
	v_dual_fmac_f32 v43, v19 /*v275*/, v162 :: v_dual_fmac_f32 v45, v21 /*v277*/, v164
	s_set_vgpr_msb 0                        ;  msbs: dst=0 src0=0 src1=0 src2=0
	v_add_f32_e32 v7, v7, v41
	s_set_vgpr_msb 1                        ;  msbs: dst=0 src0=1 src1=0 src2=0
	v_fma_f32 v17, v20 /*v276*/, v164, -v17
	s_set_vgpr_msb 0                        ;  msbs: dst=0 src0=0 src1=0 src2=0
	v_add_f32_e32 v9, v9, v15
	s_set_vgpr_msb 1                        ;  msbs: dst=0 src0=1 src1=0 src2=0
	v_dual_mul_f32 v47, v22 /*v278*/, v167 :: v_dual_mul_f32 v49, v24 /*v280*/, v169
	v_mul_f32_e32 v15, v33 /*v289*/, v177
	s_set_vgpr_msb 0                        ;  msbs: dst=0 src0=0 src1=0 src2=0
	v_dual_add_f32 v7, v7, v43 :: v_dual_add_f32 v9, v9, v17
	s_wait_loadcnt_dscnt 0xb06
	s_set_vgpr_msb 1                        ;  msbs: dst=0 src0=1 src1=0 src2=0
	v_dual_fma_f32 v19, v22 /*v278*/, v166, -v19 :: v_dual_mul_f32 v17, v35 /*v291*/, v179
	v_dual_fmac_f32 v47, v23 /*v279*/, v166 :: v_dual_fmac_f32 v49, v25 /*v281*/, v168
	s_set_vgpr_msb 0                        ;  msbs: dst=0 src0=0 src1=0 src2=0
	v_add_f32_e32 v7, v7, v45
	s_set_vgpr_msb 1                        ;  msbs: dst=0 src0=1 src1=0 src2=0
	v_fma_f32 v21, v24 /*v280*/, v168, -v21
	s_set_vgpr_msb 0                        ;  msbs: dst=0 src0=0 src1=0 src2=0
	v_add_f32_e32 v9, v9, v19
	s_set_vgpr_msb 1                        ;  msbs: dst=0 src0=1 src1=0 src2=0
	v_dual_mul_f32 v51, v26 /*v282*/, v171 :: v_dual_mul_f32 v53, v28 /*v284*/, v173
	v_mul_f32_e32 v19, v37 /*v293*/, v181
	s_set_vgpr_msb 0                        ;  msbs: dst=0 src0=0 src1=0 src2=0
	v_dual_add_f32 v7, v7, v47 :: v_dual_add_f32 v9, v9, v21
	s_wait_loadcnt_dscnt 0xa05
	s_set_vgpr_msb 1                        ;  msbs: dst=0 src0=1 src1=0 src2=0
	v_dual_fma_f32 v23, v26 /*v282*/, v170, -v23 :: v_dual_mul_f32 v21, v39 /*v295*/, v183
	v_dual_mul_f32 v55, v30 /*v286*/, v175 :: v_dual_mul_f32 v57, v32 /*v288*/, v177
	v_dual_mul_f32 v59, v34 /*v290*/, v179 :: v_dual_mul_f32 v61, v36 /*v292*/, v181
	v_dual_fmac_f32 v51, v27 /*v283*/, v170 :: v_dual_fmac_f32 v53, v29 /*v285*/, v172
	v_fma_f32 v11, v28 /*v284*/, v172, -v11
	s_set_vgpr_msb 0                        ;  msbs: dst=0 src0=0 src1=0 src2=0
	v_dual_add_f32 v9, v9, v23 :: v_dual_add_f32 v7, v7, v49
	s_set_vgpr_msb 1                        ;  msbs: dst=0 src0=1 src1=0 src2=0
	v_dual_mul_f32 v23, v41 /*v297*/, v185 :: v_dual_fmac_f32 v55, v31 /*v287*/, v174
	v_fma_f32 v13, v30 /*v286*/, v174, -v13
	v_dual_fmac_f32 v57, v33 /*v289*/, v176 :: v_dual_fmac_f32 v59, v35 /*v291*/, v178
	s_set_vgpr_msb 0                        ;  msbs: dst=0 src0=0 src1=0 src2=0
	v_add_f32_e32 v9, v9, v11
	s_set_vgpr_msb 1                        ;  msbs: dst=0 src0=1 src1=0 src2=0
	v_dual_mul_f32 v63, v38 /*v294*/, v183 :: v_dual_mul_f32 v65, v40 /*v296*/, v185
	s_set_vgpr_msb 0                        ;  msbs: dst=0 src0=0 src1=0 src2=0
	v_add_f32_e32 v7, v7, v51
	s_wait_loadcnt_dscnt 0x904
	s_set_vgpr_msb 1                        ;  msbs: dst=0 src0=1 src1=0 src2=0
	v_dual_mul_f32 v11, v43 /*v299*/, v187 :: v_dual_fma_f32 v15, v32 /*v288*/, v176, -v15
	s_set_vgpr_msb 0                        ;  msbs: dst=0 src0=0 src1=0 src2=0
	v_add_f32_e32 v9, v9, v13
	s_set_vgpr_msb 1                        ;  msbs: dst=0 src0=1 src1=0 src2=0
	v_dual_mul_f32 v13, v45 /*v301*/, v189 :: v_dual_fma_f32 v17, v34 /*v290*/, v178, -v17
	s_set_vgpr_msb 0                        ;  msbs: dst=0 src0=0 src1=0 src2=0
	v_add_f32_e32 v7, v7, v53
	s_set_vgpr_msb 1                        ;  msbs: dst=0 src0=1 src1=0 src2=0
	v_dual_fmac_f32 v61, v37 /*v293*/, v180 :: v_dual_fmac_f32 v63, v39 /*v295*/, v182
	s_set_vgpr_msb 0                        ;  msbs: dst=0 src0=0 src1=0 src2=0
	v_add_f32_e32 v9, v9, v15
	s_set_vgpr_msb 1                        ;  msbs: dst=0 src0=1 src1=0 src2=0
	v_dual_mul_f32 v67, v42 /*v298*/, v187 :: v_dual_mul_f32 v69, v44 /*v300*/, v189
	s_set_vgpr_msb 0                        ;  msbs: dst=0 src0=0 src1=0 src2=0
	v_add_f32_e32 v7, v7, v55
	s_wait_loadcnt_dscnt 0x803
	s_set_vgpr_msb 1                        ;  msbs: dst=0 src0=1 src1=0 src2=0
	v_dual_mul_f32 v15, v47 /*v303*/, v191 :: v_dual_fma_f32 v19, v36 /*v292*/, v180, -v19
	s_set_vgpr_msb 0                        ;  msbs: dst=0 src0=0 src1=0 src2=0
	v_add_f32_e32 v9, v9, v17
	s_set_vgpr_msb 1                        ;  msbs: dst=0 src0=1 src1=0 src2=0
	v_dual_mul_f32 v17, v49 /*v305*/, v193 :: v_dual_fma_f32 v21, v38 /*v294*/, v182, -v21
	s_set_vgpr_msb 0                        ;  msbs: dst=0 src0=0 src1=0 src2=0
	v_add_f32_e32 v7, v7, v57
	s_set_vgpr_msb 1                        ;  msbs: dst=0 src0=1 src1=0 src2=0
	v_dual_fmac_f32 v65, v41 /*v297*/, v184 :: v_dual_fmac_f32 v67, v43 /*v299*/, v186
	s_set_vgpr_msb 0                        ;  msbs: dst=0 src0=0 src1=0 src2=0
	v_add_f32_e32 v9, v9, v19
	s_set_vgpr_msb 1                        ;  msbs: dst=0 src0=1 src1=0 src2=0
	v_dual_mul_f32 v71, v46 /*v302*/, v191 :: v_dual_mul_f32 v73, v48 /*v304*/, v193
	s_set_vgpr_msb 0                        ;  msbs: dst=0 src0=0 src1=0 src2=0
	v_add_f32_e32 v7, v7, v59
	s_wait_loadcnt_dscnt 0x702
	s_set_vgpr_msb 1                        ;  msbs: dst=0 src0=1 src1=0 src2=0
	v_dual_mul_f32 v19, v51 /*v307*/, v195 :: v_dual_fma_f32 v23, v40 /*v296*/, v184, -v23
	s_set_vgpr_msb 0                        ;  msbs: dst=0 src0=0 src1=0 src2=0
	v_add_f32_e32 v9, v9, v21
	s_set_vgpr_msb 1                        ;  msbs: dst=0 src0=1 src1=0 src2=0
	v_dual_mul_f32 v75, v50 /*v306*/, v195 :: v_dual_mul_f32 v77, v52 /*v308*/, v197
	s_set_vgpr_msb 0                        ;  msbs: dst=0 src0=0 src1=0 src2=0
	v_add_f32_e32 v7, v7, v61
	s_set_vgpr_msb 1                        ;  msbs: dst=0 src0=1 src1=0 src2=0
	v_dual_mul_f32 v21, v53 /*v309*/, v197 :: v_dual_fma_f32 v11, v42 /*v298*/, v186, -v11
	v_dual_fmac_f32 v69, v45 /*v301*/, v188 :: v_dual_fmac_f32 v71, v47 /*v303*/, v190
	s_set_vgpr_msb 0                        ;  msbs: dst=0 src0=0 src1=0 src2=0
	v_add_f32_e32 v9, v9, v23
	s_wait_loadcnt_dscnt 0x601
	s_set_vgpr_msb 1                        ;  msbs: dst=0 src0=1 src1=0 src2=0
	v_dual_mul_f32 v23, v55 /*v311*/, v199 :: v_dual_fma_f32 v13, v44 /*v300*/, v188, -v13
	v_dual_fmac_f32 v73, v49 /*v305*/, v192 :: v_dual_fmac_f32 v75, v51 /*v307*/, v194
	s_set_vgpr_msb 0                        ;  msbs: dst=0 src0=0 src1=0 src2=0
	v_add_f32_e32 v9, v9, v11
	v_add_f32_e32 v7, v7, v63
	s_set_vgpr_msb 1                        ;  msbs: dst=0 src0=1 src1=0 src2=0
	v_dual_mul_f32 v79, v54 /*v310*/, v199 :: v_dual_mul_f32 v81, v56 /*v312*/, v201
	v_dual_mul_f32 v11, v57 /*v313*/, v201 :: v_dual_fma_f32 v15, v46 /*v302*/, v190, -v15
	s_set_vgpr_msb 0                        ;  msbs: dst=0 src0=0 src1=0 src2=0
	v_add_f32_e32 v9, v9, v13
	v_add_f32_e32 v7, v7, v65
	s_wait_loadcnt_dscnt 0x500
	s_set_vgpr_msb 1                        ;  msbs: dst=0 src0=1 src1=0 src2=0
	v_dual_mul_f32 v13, v59 /*v315*/, v203 :: v_dual_fma_f32 v17, v48 /*v304*/, v192, -v17
	v_dual_fmac_f32 v77, v53 /*v309*/, v196 :: v_dual_fmac_f32 v79, v55 /*v311*/, v198
	s_set_vgpr_msb 0                        ;  msbs: dst=0 src0=0 src1=0 src2=0
	v_add_f32_e32 v9, v9, v15
	v_add_f32_e32 v7, v7, v67
	s_set_vgpr_msb 1                        ;  msbs: dst=0 src0=1 src1=0 src2=0
	v_dual_mul_f32 v15, v61 /*v317*/, v205 :: v_dual_fma_f32 v19, v50 /*v306*/, v194, -v19
	s_wait_loadcnt 0x4
	s_set_vgpr_msb 0                        ;  msbs: dst=0 src0=0 src1=0 src2=0
	v_mov_b32_e32 v128, v209
	v_add_f32_e32 v9, v9, v17
	v_add_f32_e32 v7, v7, v69
	s_set_vgpr_msb 1                        ;  msbs: dst=0 src0=1 src1=0 src2=0
	v_fma_f32 v17, v52 /*v308*/, v196, -v21
	v_dual_fmac_f32 v81, v57 /*v313*/, v200 :: v_dual_fma_f32 v11, v56 /*v312*/, v200, -v11
	s_set_vgpr_msb 0                        ;  msbs: dst=0 src0=0 src1=0 src2=0
	v_add_f32_e32 v9, v9, v19
	v_add_f32_e32 v7, v7, v71
	s_set_vgpr_msb 1                        ;  msbs: dst=0 src0=1 src1=0 src2=0
	v_fma_f32 v19, v54 /*v310*/, v198, -v23
	s_set_vgpr_msb 0x41                     ;  msbs: dst=1 src0=1 src1=0 src2=0
	v_dual_mul_f32 v73 /*v329*/, v58 /*v314*/, v203 :: v_dual_mul_f32 v75 /*v331*/, v60 /*v316*/, v205
	s_set_vgpr_msb 0                        ;  msbs: dst=0 src0=0 src1=0 src2=0
	v_add_f32_e32 v9, v9, v17
	v_add_f32_e32 v7, v7, v73
	v_pk_mul_f32 v[126:127], v[238:239], v[206:207] op_sel:[1,1] op_sel_hi:[0,1]
	s_wait_loadcnt 0x3
	v_mov_b32_e32 v132, v213
	s_set_vgpr_msb 0x41                     ;  msbs: dst=1 src0=1 src1=0 src2=0
	v_dual_fmac_f32 v73 /*v329*/, v59 /*v315*/, v202 :: v_dual_fmac_f32 v75 /*v331*/, v61 /*v317*/, v204
	s_set_vgpr_msb 0                        ;  msbs: dst=0 src0=0 src1=0 src2=0
	v_add_f32_e32 v7, v7, v75
	v_add_f32_e32 v9, v9, v19
	s_set_vgpr_msb 0x41                     ;  msbs: dst=1 src0=1 src1=0 src2=0
	v_dual_fma_f32 v72 /*v328*/, v58 /*v314*/, v202, -v13 :: v_dual_fma_f32 v74 /*v330*/, v60 /*v316*/, v204, -v15
	s_set_vgpr_msb 0                        ;  msbs: dst=0 src0=0 src1=0 src2=0
	v_pk_fma_f32 v[136:137], v[238:239], v[206:207], v[126:127] op_sel_hi:[1,0,1]
	v_dual_add_f32 v7, v7, v77 :: v_dual_add_f32 v134, v9, v11
	s_set_vgpr_msb 1                        ;  msbs: dst=0 src0=1 src1=0 src2=0
	v_pk_mul_f32 v[128:129], v[64:65] /*v[320:321]*/, v[128:129] op_sel_hi:[1,0]
	s_set_vgpr_msb 0                        ;  msbs: dst=0 src0=0 src1=0 src2=0
	v_pk_fma_f32 v[126:127], v[238:239], v[206:207], v[126:127] neg_lo:[0,0,1] neg_hi:[0,0,1]
	v_pk_mul_f32 v[130:131], v[242:243], v[210:211] op_sel:[1,1] op_sel_hi:[0,1]
	v_dual_add_f32 v7, v7, v79 :: v_dual_mov_b32 v127, v137
	v_pk_fma_f32 v[136:137], v[240:241], v[208:209], v[128:129] op_sel_hi:[1,0,1]
	v_pk_fma_f32 v[128:129], v[240:241], v[208:209], v[128:129] neg_lo:[0,0,1] neg_hi:[0,0,1]
	s_delay_alu instid0(VALU_DEP_4) | instskip(NEXT) | instid1(VALU_DEP_4)
	v_pk_fma_f32 v[140:141], v[242:243], v[210:211], v[130:131] op_sel_hi:[1,0,1]
	v_add_f32_e32 v135, v7, v81
	s_set_vgpr_msb 1                        ;  msbs: dst=0 src0=1 src1=0 src2=0
	v_pk_mul_f32 v[132:133], v[66:67] /*v[322:323]*/, v[132:133] op_sel_hi:[1,0]
	s_set_vgpr_msb 0                        ;  msbs: dst=0 src0=0 src1=0 src2=0
	v_mov_b32_e32 v129, v137
	s_wait_loadcnt 0x2
	v_pk_mul_f32 v[138:139], v[254:255], v[214:215] op_sel:[1,1] op_sel_hi:[0,1]
	v_pk_fma_f32 v[130:131], v[242:243], v[210:211], v[130:131] neg_lo:[0,0,1] neg_hi:[0,0,1]
	s_set_vgpr_msb 4                        ;  msbs: dst=0 src0=0 src1=1 src2=0
	v_pk_add_f32 v[134:135], v[134:135], v[72:73] /*v[328:329]*/
	v_mov_b32_e32 v131, v141
	s_set_vgpr_msb 0                        ;  msbs: dst=0 src0=0 src1=0 src2=0
	v_pk_fma_f32 v[136:137], v[244:245], v[212:213], v[132:133] op_sel_hi:[1,0,1]
	v_pk_fma_f32 v[132:133], v[244:245], v[212:213], v[132:133] neg_lo:[0,0,1] neg_hi:[0,0,1]
	s_set_vgpr_msb 4                        ;  msbs: dst=0 src0=0 src1=1 src2=0
	v_pk_add_f32 v[134:135], v[134:135], v[74:75] /*v[330:331]*/
	s_set_vgpr_msb 0                        ;  msbs: dst=0 src0=0 src1=0 src2=0
	s_delay_alu instid0(VALU_DEP_1) | instskip(SKIP_1) | instid1(VALU_DEP_2)
	v_pk_add_f32 v[126:127], v[134:135], v[126:127]
	v_mov_b32_e32 v134, v217
	v_pk_add_f32 v[126:127], v[126:127], v[128:129]
	v_pk_fma_f32 v[128:129], v[254:255], v[214:215], v[138:139] op_sel_hi:[1,0,1]
	s_set_vgpr_msb 1                        ;  msbs: dst=0 src0=1 src1=0 src2=0
	s_delay_alu instid0(VALU_DEP_3)
	v_pk_mul_f32 v[134:135], v[68:69] /*v[324:325]*/, v[134:135] op_sel_hi:[1,0]
	s_set_vgpr_msb 0                        ;  msbs: dst=0 src0=0 src1=0 src2=0
	v_mov_b32_e32 v133, v137
	v_pk_fma_f32 v[136:137], v[254:255], v[214:215], v[138:139] neg_lo:[0,0,1] neg_hi:[0,0,1]
	v_pk_add_f32 v[126:127], v[126:127], v[130:131]
	v_mov_b32_e32 v137, v129
	s_set_vgpr_msb 1                        ;  msbs: dst=0 src0=1 src1=0 src2=0
	v_pk_fma_f32 v[128:129], v[0:1] /*v[256:257]*/, v[216:217], v[134:135] op_sel_hi:[1,0,1]
	s_wait_loadcnt 0x1
	v_pk_mul_f32 v[130:131], v[2:3] /*v[258:259]*/, v[218:219] op_sel:[1,1] op_sel_hi:[0,1]
	s_set_vgpr_msb 0                        ;  msbs: dst=0 src0=0 src1=0 src2=0
	v_mov_b32_e32 v128, v221
	v_pk_add_f32 v[126:127], v[126:127], v[132:133]
	s_set_vgpr_msb 1                        ;  msbs: dst=0 src0=1 src1=0 src2=0
	v_pk_fma_f32 v[134:135], v[0:1] /*v[256:257]*/, v[216:217], v[134:135] neg_lo:[0,0,1] neg_hi:[0,0,1]
	s_set_vgpr_msb 0                        ;  msbs: dst=0 src0=0 src1=0 src2=0
	v_mov_b32_e32 v135, v129
	s_set_vgpr_msb 1                        ;  msbs: dst=0 src0=1 src1=0 src2=0
	v_pk_fma_f32 v[132:133], v[2:3] /*v[258:259]*/, v[218:219], v[130:131] op_sel_hi:[1,0,1]
	v_pk_mul_f32 v[128:129], v[70:71] /*v[326:327]*/, v[128:129] op_sel_hi:[1,0]
	s_set_vgpr_msb 0                        ;  msbs: dst=0 src0=0 src1=0 src2=0
	v_pk_add_f32 v[126:127], v[126:127], v[136:137]
	s_set_vgpr_msb 1                        ;  msbs: dst=0 src0=1 src1=0 src2=0
	v_pk_fma_f32 v[130:131], v[2:3] /*v[258:259]*/, v[218:219], v[130:131] neg_lo:[0,0,1] neg_hi:[0,0,1]
	s_set_vgpr_msb 0                        ;  msbs: dst=0 src0=0 src1=0 src2=0
	v_mov_b32_e32 v131, v133
	s_set_vgpr_msb 1                        ;  msbs: dst=0 src0=1 src1=0 src2=0
	v_pk_fma_f32 v[132:133], v[4:5] /*v[260:261]*/, v[220:221], v[128:129] op_sel_hi:[1,0,1]
	s_set_vgpr_msb 0                        ;  msbs: dst=0 src0=0 src1=0 src2=0
	v_pk_add_f32 v[126:127], v[126:127], v[134:135]
	s_set_vgpr_msb 1                        ;  msbs: dst=0 src0=1 src1=0 src2=0
	v_pk_fma_f32 v[128:129], v[4:5] /*v[260:261]*/, v[220:221], v[128:129] neg_lo:[0,0,1] neg_hi:[0,0,1]
	s_set_vgpr_msb 0                        ;  msbs: dst=0 src0=0 src1=0 src2=0
	v_mov_b32_e32 v129, v133
	v_pk_add_f32 v[126:127], v[126:127], v[130:131]
	s_delay_alu instid0(VALU_DEP_1) | instskip(SKIP_2) | instid1(VALU_DEP_1)
	v_pk_add_f32 v[126:127], v[126:127], v[128:129]
	s_wait_loadcnt 0x0
	s_set_vgpr_msb 1                        ;  msbs: dst=0 src0=1 src1=0 src2=0
	v_pk_add_f32 v[126:127], v[62:63] /*v[318:319]*/, v[126:127] neg_lo:[0,1] neg_hi:[0,1]
	scratch_store_b64 off, v[126:127], off offset:104
	s_wait_xcnt 0x0
	v_cmpx_lt_u32_e32 12, v0
	s_set_vgpr_msb 0                        ;  msbs: dst=0 src0=0 src1=0 src2=0
	s_cbranch_execz .LBB125_361
; %bb.360:
	scratch_load_b64 v[126:127], off, off offset:96
	v_mov_b64_e32 v[128:129], 0
	scratch_store_b64 off, v[128:129], off offset:96
	s_wait_loadcnt 0x0
	ds_store_b64 v1, v[126:127]
.LBB125_361:
	s_wait_xcnt 0x0
	s_or_b32 exec_lo, exec_lo, s0
	s_wait_storecnt_dscnt 0x0
	s_barrier_signal -1
	s_barrier_wait -1
	s_clause 0x1a
	scratch_load_b128 v[126:129], off, off offset:104
	scratch_load_b128 v[130:133], off, off offset:120
	;; [unrolled: 1-line block ×24, first 2 shown]
	s_set_vgpr_msb 64                       ;  msbs: dst=1 src0=0 src1=0 src2=0
	scratch_load_b64 v[62:63] /*v[318:319]*/, off, off offset:488
	scratch_load_b64 v[64:65] /*v[320:321]*/, off, off offset:96
	s_set_vgpr_msb 0                        ;  msbs: dst=0 src0=0 src1=0 src2=0
	v_mov_b32_e32 v7, 0
	ds_load_2addr_b64 v[222:225], v7 offset0:75 offset1:76
	ds_load_2addr_b64 v[226:229], v7 offset0:77 offset1:78
	;; [unrolled: 1-line block ×9, first 2 shown]
	s_set_vgpr_msb 64                       ;  msbs: dst=1 src0=0 src1=0 src2=0
	ds_load_2addr_b64 v[2:5] /*v[258:261]*/, v7 offset0:87 offset1:88
	ds_load_2addr_b64 v[6:9] /*v[262:265]*/, v7 offset0:89 offset1:90
	ds_load_2addr_b64 v[10:13] /*v[266:269]*/, v7 offset0:121 offset1:122
	ds_load_2addr_b64 v[14:17] /*v[270:273]*/, v7 offset0:91 offset1:92
	ds_load_2addr_b64 v[18:21] /*v[274:277]*/, v7 offset0:93 offset1:94
	ds_load_2addr_b64 v[22:25] /*v[278:281]*/, v7 offset0:95 offset1:96
	ds_load_2addr_b64 v[26:29] /*v[282:285]*/, v7 offset0:97 offset1:98
	ds_load_2addr_b64 v[30:33] /*v[286:289]*/, v7 offset0:99 offset1:100
	ds_load_2addr_b64 v[34:37] /*v[290:293]*/, v7 offset0:101 offset1:102
	ds_load_2addr_b64 v[38:41] /*v[294:297]*/, v7 offset0:103 offset1:104
	ds_load_2addr_b64 v[42:45] /*v[298:301]*/, v7 offset0:105 offset1:106
	ds_load_2addr_b64 v[46:49] /*v[302:305]*/, v7 offset0:107 offset1:108
	ds_load_2addr_b64 v[50:53] /*v[306:309]*/, v7 offset0:109 offset1:110
	ds_load_2addr_b64 v[54:57] /*v[310:313]*/, v7 offset0:111 offset1:112
	ds_load_2addr_b64 v[58:61] /*v[314:317]*/, v7 offset0:113 offset1:114
	ds_load_b64 v[66:67] /*v[322:323]*/, v7 offset:984
	s_wait_dscnt 0x14
	v_dual_mov_b32 v68 /*v324*/, v241 :: v_dual_mov_b32 v69 /*v325*/, v240
	s_wait_dscnt 0x11
	v_dual_mov_b32 v70 /*v326*/, v253 :: v_dual_mov_b32 v71 /*v327*/, v252
	s_wait_dscnt 0x10
	s_set_vgpr_msb 0x41                     ;  msbs: dst=1 src0=1 src1=0 src2=0
	v_dual_mov_b32 v72 /*v328*/, v1 /*v257*/ :: v_dual_mov_b32 v73 /*v329*/, v0 /*v256*/
	s_wait_dscnt 0xd
	v_dual_mov_b32 v74 /*v330*/, v13 /*v269*/ :: v_dual_mov_b32 v75 /*v331*/, v12 /*v268*/
	s_mov_b32 s0, exec_lo
	s_wait_loadcnt 0x19
	s_set_vgpr_msb 0                        ;  msbs: dst=0 src0=0 src1=0 src2=0
	v_dual_mul_f32 v9, v222, v127 :: v_dual_mul_f32 v87, v223, v127
	s_wait_loadcnt 0x18
	v_dual_mul_f32 v11, v224, v129 :: v_dual_mul_f32 v13, v226, v131
	v_dual_mul_f32 v89, v225, v129 :: v_dual_mul_f32 v91, v227, v131
	s_wait_loadcnt 0x14
	v_dual_mul_f32 v31, v248, v149 :: v_dual_fmac_f32 v9, v223, v126
	v_dual_fma_f32 v87, v222, v126, -v87 :: v_dual_mul_f32 v101, v237, v141
	s_delay_alu instid0(VALU_DEP_3) | instskip(SKIP_1) | instid1(VALU_DEP_3)
	v_dual_fma_f32 v89, v224, v128, -v89 :: v_dual_fmac_f32 v11, v225, v128
	v_dual_mul_f32 v15, v228, v133 :: v_dual_mul_f32 v17, v230, v135
	v_dual_add_f32 v87, 0, v87 :: v_dual_add_f32 v9, 0, v9
	v_dual_mul_f32 v93, v229, v133 :: v_dual_mul_f32 v95, v231, v135
	v_dual_mul_f32 v103, v243, v143 :: v_dual_fma_f32 v91, v226, v130, -v91
	s_wait_loadcnt_dscnt 0x601
	s_set_vgpr_msb 1                        ;  msbs: dst=0 src0=1 src1=0 src2=0
	v_mul_f32_e32 v85, v58 /*v314*/, v203
	s_set_vgpr_msb 0                        ;  msbs: dst=0 src0=0 src1=0 src2=0
	v_dual_fmac_f32 v13, v227, v130 :: v_dual_add_f32 v9, v9, v11
	v_dual_add_f32 v11, v87, v89 :: v_dual_fmac_f32 v15, v229, v132
	v_dual_mul_f32 v87, v245, v145 :: v_dual_fma_f32 v89, v228, v132, -v93
	s_delay_alu instid0(VALU_DEP_2) | instskip(SKIP_3) | instid1(VALU_DEP_4)
	v_dual_add_f32 v9, v9, v13 :: v_dual_add_f32 v11, v11, v91
	v_dual_mul_f32 v19, v232, v137 :: v_dual_mul_f32 v21, v234, v139
	v_dual_mul_f32 v97, v233, v137 :: v_dual_mul_f32 v99, v235, v139
	v_dual_mul_f32 v13, v247, v147 :: v_dual_fma_f32 v91, v230, v134, -v95
	v_dual_fmac_f32 v17, v231, v134 :: v_dual_add_f32 v9, v9, v15
	s_delay_alu instid0(VALU_DEP_4) | instskip(NEXT) | instid1(VALU_DEP_4)
	v_dual_add_f32 v11, v11, v89 :: v_dual_fmac_f32 v19, v233, v136
	v_dual_mul_f32 v15, v249, v149 :: v_dual_fma_f32 v89, v232, v136, -v97
	s_delay_alu instid0(VALU_DEP_2) | instskip(SKIP_2) | instid1(VALU_DEP_3)
	v_dual_add_f32 v9, v9, v17 :: v_dual_add_f32 v11, v11, v91
	v_dual_mul_f32 v23, v236, v141 :: v_dual_mul_f32 v25, v242, v143
	v_dual_fmac_f32 v21, v235, v138 :: v_dual_fma_f32 v91, v234, v138, -v99
	v_dual_add_f32 v9, v9, v19 :: v_dual_add_f32 v11, v11, v89
	s_delay_alu instid0(VALU_DEP_3) | instskip(SKIP_1) | instid1(VALU_DEP_3)
	v_dual_fmac_f32 v23, v237, v140 :: v_dual_fma_f32 v89, v236, v140, -v101
	v_dual_mul_f32 v27, v244, v145 :: v_dual_mul_f32 v29, v246, v147
	v_dual_add_f32 v9, v9, v21 :: v_dual_add_f32 v11, v11, v91
	v_dual_fmac_f32 v25, v243, v142 :: v_dual_fma_f32 v91, v242, v142, -v103
	s_set_vgpr_msb 1                        ;  msbs: dst=0 src0=1 src1=0 src2=0
	v_dual_mul_f32 v33, v2 /*v258*/, v151 :: v_dual_mul_f32 v35, v4 /*v260*/, v153
	s_set_vgpr_msb 0                        ;  msbs: dst=0 src0=0 src1=0 src2=0
	v_dual_add_f32 v9, v9, v23 :: v_dual_add_f32 v11, v11, v89
	v_fmac_f32_e32 v27, v245, v144
	v_fma_f32 v87, v244, v144, -v87
	s_set_vgpr_msb 1                        ;  msbs: dst=0 src0=1 src1=0 src2=0
	v_dual_mul_f32 v17, v3 /*v259*/, v151 :: v_dual_mul_f32 v19, v5 /*v261*/, v153
	s_set_vgpr_msb 0                        ;  msbs: dst=0 src0=0 src1=0 src2=0
	v_dual_add_f32 v9, v9, v25 :: v_dual_add_f32 v11, v11, v91
	v_fmac_f32_e32 v29, v247, v146
	v_fma_f32 v13, v246, v146, -v13
	s_set_vgpr_msb 1                        ;  msbs: dst=0 src0=1 src1=0 src2=0
	v_fmac_f32_e32 v33, v3 /*v259*/, v150
	s_set_vgpr_msb 0                        ;  msbs: dst=0 src0=0 src1=0 src2=0
	v_add_f32_e32 v9, v9, v27
	v_dual_add_f32 v11, v11, v87 :: v_dual_fmac_f32 v31, v249, v148
	v_fma_f32 v15, v248, v148, -v15
	s_set_vgpr_msb 1                        ;  msbs: dst=0 src0=1 src1=0 src2=0
	v_fma_f32 v17, v2 /*v258*/, v150, -v17
	s_set_vgpr_msb 0                        ;  msbs: dst=0 src0=0 src1=0 src2=0
	v_add_f32_e32 v9, v9, v29
	v_add_f32_e32 v11, v11, v13
	s_set_vgpr_msb 1                        ;  msbs: dst=0 src0=1 src1=0 src2=0
	v_mul_f32_e32 v13, v19 /*v275*/, v163
	v_dual_mul_f32 v37, v6 /*v262*/, v155 :: v_dual_mul_f32 v39, v8 /*v264*/, v157
	v_dual_mul_f32 v21, v7 /*v263*/, v155 :: v_dual_mul_f32 v23, v9 /*v265*/, v157
	s_set_vgpr_msb 0                        ;  msbs: dst=0 src0=0 src1=0 src2=0
	v_add_f32_e32 v11, v11, v15
	v_add_f32_e32 v9, v9, v31
	s_set_vgpr_msb 1                        ;  msbs: dst=0 src0=1 src1=0 src2=0
	v_mul_f32_e32 v15, v21 /*v277*/, v165
	v_fmac_f32_e32 v35, v5 /*v261*/, v152
	v_dual_fma_f32 v19, v4 /*v260*/, v152, -v19 :: v_dual_fmac_f32 v37, v7 /*v263*/, v154
	s_set_vgpr_msb 0                        ;  msbs: dst=0 src0=0 src1=0 src2=0
	v_add_f32_e32 v11, v11, v17
	v_add_f32_e32 v9, v9, v33
	s_set_vgpr_msb 1                        ;  msbs: dst=0 src0=1 src1=0 src2=0
	v_dual_mul_f32 v17, v23 /*v279*/, v167 :: v_dual_fma_f32 v21, v6 /*v262*/, v154, -v21
	v_dual_mul_f32 v41, v14 /*v270*/, v159 :: v_dual_mul_f32 v43, v16 /*v272*/, v161
	s_set_vgpr_msb 0                        ;  msbs: dst=0 src0=0 src1=0 src2=0
	v_add_f32_e32 v11, v11, v19
	s_set_vgpr_msb 1                        ;  msbs: dst=0 src0=1 src1=0 src2=0
	v_mul_f32_e32 v19, v25 /*v281*/, v169
	s_set_vgpr_msb 0                        ;  msbs: dst=0 src0=0 src1=0 src2=0
	v_add_f32_e32 v9, v9, v35
	s_set_vgpr_msb 1                        ;  msbs: dst=0 src0=1 src1=0 src2=0
	v_dual_mul_f32 v25, v15 /*v271*/, v159 :: v_dual_mul_f32 v27, v17 /*v273*/, v161
	v_fmac_f32_e32 v39, v9 /*v265*/, v156
	v_dual_fma_f32 v23, v8 /*v264*/, v156, -v23 :: v_dual_fmac_f32 v41, v15 /*v271*/, v158
	s_set_vgpr_msb 0                        ;  msbs: dst=0 src0=0 src1=0 src2=0
	v_add_f32_e32 v11, v11, v21
	v_add_f32_e32 v9, v9, v37
	s_set_vgpr_msb 1                        ;  msbs: dst=0 src0=1 src1=0 src2=0
	v_dual_mul_f32 v21, v27 /*v283*/, v171 :: v_dual_fma_f32 v25, v14 /*v270*/, v158, -v25
	v_dual_mul_f32 v45, v18 /*v274*/, v163 :: v_dual_mul_f32 v47, v20 /*v276*/, v165
	s_set_vgpr_msb 0                        ;  msbs: dst=0 src0=0 src1=0 src2=0
	v_add_f32_e32 v11, v11, v23
	s_set_vgpr_msb 1                        ;  msbs: dst=0 src0=1 src1=0 src2=0
	v_mul_f32_e32 v23, v29 /*v285*/, v173
	s_set_vgpr_msb 0                        ;  msbs: dst=0 src0=0 src1=0 src2=0
	v_add_f32_e32 v9, v9, v39
	s_set_vgpr_msb 1                        ;  msbs: dst=0 src0=1 src1=0 src2=0
	v_fmac_f32_e32 v43, v17 /*v273*/, v160
	v_dual_fma_f32 v27, v16 /*v272*/, v160, -v27 :: v_dual_fmac_f32 v45, v19 /*v275*/, v162
	s_set_vgpr_msb 0                        ;  msbs: dst=0 src0=0 src1=0 src2=0
	v_add_f32_e32 v11, v11, v25
	v_add_f32_e32 v9, v9, v41
	s_set_vgpr_msb 1                        ;  msbs: dst=0 src0=1 src1=0 src2=0
	v_dual_mul_f32 v25, v31 /*v287*/, v175 :: v_dual_fma_f32 v13, v18 /*v274*/, v162, -v13
	v_dual_mul_f32 v49, v22 /*v278*/, v167 :: v_dual_mul_f32 v51, v24 /*v280*/, v169
	s_set_vgpr_msb 0                        ;  msbs: dst=0 src0=0 src1=0 src2=0
	v_add_f32_e32 v11, v11, v27
	s_set_vgpr_msb 1                        ;  msbs: dst=0 src0=1 src1=0 src2=0
	v_mul_f32_e32 v27, v33 /*v289*/, v177
	s_set_vgpr_msb 0                        ;  msbs: dst=0 src0=0 src1=0 src2=0
	v_add_f32_e32 v9, v9, v43
	s_set_vgpr_msb 1                        ;  msbs: dst=0 src0=1 src1=0 src2=0
	;; [unrolled: 15-line block ×9, first 2 shown]
	v_dual_fmac_f32 v75, v49 /*v305*/, v192 :: v_dual_fmac_f32 v77, v51 /*v307*/, v194
	v_dual_fma_f32 v27, v48 /*v304*/, v192, -v27 :: v_dual_fma_f32 v13, v50 /*v306*/, v194, -v13
	s_set_vgpr_msb 0                        ;  msbs: dst=0 src0=0 src1=0 src2=0
	v_add_f32_e32 v11, v11, v25
	v_add_f32_e32 v9, v9, v73
	s_set_vgpr_msb 1                        ;  msbs: dst=0 src0=1 src1=0 src2=0
	v_dual_mul_f32 v81, v54 /*v310*/, v199 :: v_dual_mul_f32 v83, v56 /*v312*/, v201
	v_fmac_f32_e32 v79, v53 /*v309*/, v196
	s_set_vgpr_msb 0                        ;  msbs: dst=0 src0=0 src1=0 src2=0
	v_add_f32_e32 v11, v11, v27
	v_add_f32_e32 v9, v9, v75
	s_set_vgpr_msb 1                        ;  msbs: dst=0 src0=1 src1=0 src2=0
	v_dual_fma_f32 v15, v52 /*v308*/, v196, -v15 :: v_dual_fmac_f32 v81, v55 /*v311*/, v198
	s_wait_loadcnt 0x4
	s_set_vgpr_msb 0                        ;  msbs: dst=0 src0=0 src1=0 src2=0
	v_dual_mov_b32 v130, v213 :: v_dual_add_f32 v11, v11, v13
	v_add_f32_e32 v9, v9, v77
	s_set_vgpr_msb 1                        ;  msbs: dst=0 src0=1 src1=0 src2=0
	v_fma_f32 v13, v54 /*v310*/, v198, -v17
	s_set_vgpr_msb 0                        ;  msbs: dst=0 src0=0 src1=0 src2=0
	v_dual_mul_f32 v25, v239, v207 :: v_dual_mov_b32 v126, v209
	v_add_f32_e32 v11, v11, v15
	v_add_f32_e32 v9, v9, v79
	s_set_vgpr_msb 1                        ;  msbs: dst=0 src0=1 src1=0 src2=0
	v_dual_fmac_f32 v83, v57 /*v313*/, v200 :: v_dual_fmac_f32 v85, v59 /*v315*/, v202
	v_fma_f32 v15, v56 /*v312*/, v200, -v19
	s_set_vgpr_msb 0                        ;  msbs: dst=0 src0=0 src1=0 src2=0
	v_add_f32_e32 v11, v11, v13
	s_set_vgpr_msb 1                        ;  msbs: dst=0 src0=1 src1=0 src2=0
	v_fma_f32 v13, v58 /*v314*/, v202, -v21
	s_set_vgpr_msb 0                        ;  msbs: dst=0 src0=0 src1=0 src2=0
	v_add_f32_e32 v9, v9, v81
	s_set_vgpr_msb 0x41                     ;  msbs: dst=1 src0=1 src1=0 src2=0
	v_dual_mul_f32 v77 /*v333*/, v60 /*v316*/, v205 :: v_dual_fma_f32 v76 /*v332*/, v60 /*v316*/, v204, -v23
	s_set_vgpr_msb 0                        ;  msbs: dst=0 src0=0 src1=0 src2=0
	v_add_f32_e32 v11, v11, v15
	s_set_vgpr_msb 1                        ;  msbs: dst=0 src0=1 src1=0 src2=0
	v_pk_mul_f32 v[126:127], v[68:69] /*v[324:325]*/, v[126:127] op_sel_hi:[1,0]
	s_set_vgpr_msb 0                        ;  msbs: dst=0 src0=0 src1=0 src2=0
	v_add_f32_e32 v9, v9, v83
	s_set_vgpr_msb 64                       ;  msbs: dst=1 src0=0 src1=0 src2=0
	v_dual_mul_f32 v79 /*v335*/, v238, v207 :: v_dual_fma_f32 v78 /*v334*/, v238, v206, -v25
	s_set_vgpr_msb 0x41                     ;  msbs: dst=1 src0=1 src1=0 src2=0
	v_fmac_f32_e32 v77 /*v333*/, v61 /*v317*/, v204
	s_set_vgpr_msb 0                        ;  msbs: dst=0 src0=0 src1=0 src2=0
	v_add_f32_e32 v134, v11, v13
	v_pk_fma_f32 v[138:139], v[240:241], v[208:209], v[126:127] op_sel_hi:[1,0,1]
	v_add_f32_e32 v135, v9, v85
	v_pk_fma_f32 v[126:127], v[240:241], v[208:209], v[126:127] neg_lo:[0,0,1] neg_hi:[0,0,1]
	v_pk_mul_f32 v[128:129], v[250:251], v[210:211] op_sel:[1,1] op_sel_hi:[0,1]
	s_set_vgpr_msb 64                       ;  msbs: dst=1 src0=0 src1=0 src2=0
	v_fmac_f32_e32 v79 /*v335*/, v239, v206
	s_set_vgpr_msb 4                        ;  msbs: dst=0 src0=0 src1=1 src2=0
	v_mov_b32_e32 v127, v139
	v_pk_add_f32 v[134:135], v[134:135], v[76:77] /*v[332:333]*/
	s_set_vgpr_msb 1                        ;  msbs: dst=0 src0=1 src1=0 src2=0
	v_pk_mul_f32 v[130:131], v[70:71] /*v[326:327]*/, v[130:131] op_sel_hi:[1,0]
	s_set_vgpr_msb 0                        ;  msbs: dst=0 src0=0 src1=0 src2=0
	v_pk_fma_f32 v[140:141], v[250:251], v[210:211], v[128:129] op_sel_hi:[1,0,1]
	v_pk_fma_f32 v[128:129], v[250:251], v[210:211], v[128:129] neg_lo:[0,0,1] neg_hi:[0,0,1]
	s_wait_loadcnt 0x3
	v_pk_mul_f32 v[132:133], v[254:255], v[214:215] op_sel:[1,1] op_sel_hi:[0,1]
	s_set_vgpr_msb 4                        ;  msbs: dst=0 src0=0 src1=1 src2=0
	v_pk_add_f32 v[134:135], v[134:135], v[78:79] /*v[334:335]*/
	v_dual_mov_b32 v136, v217 :: v_dual_mov_b32 v129, v141
	s_set_vgpr_msb 0                        ;  msbs: dst=0 src0=0 src1=0 src2=0
	v_pk_fma_f32 v[140:141], v[252:253], v[212:213], v[130:131] op_sel_hi:[1,0,1]
	v_pk_fma_f32 v[130:131], v[252:253], v[212:213], v[130:131] neg_lo:[0,0,1] neg_hi:[0,0,1]
	v_pk_add_f32 v[126:127], v[134:135], v[126:127]
	v_pk_fma_f32 v[134:135], v[254:255], v[214:215], v[132:133] op_sel_hi:[1,0,1]
	s_set_vgpr_msb 1                        ;  msbs: dst=0 src0=1 src1=0 src2=0
	v_pk_mul_f32 v[136:137], v[72:73] /*v[328:329]*/, v[136:137] op_sel_hi:[1,0]
	s_set_vgpr_msb 0                        ;  msbs: dst=0 src0=0 src1=0 src2=0
	v_mov_b32_e32 v131, v141
	v_pk_fma_f32 v[132:133], v[254:255], v[214:215], v[132:133] neg_lo:[0,0,1] neg_hi:[0,0,1]
	v_pk_add_f32 v[126:127], v[126:127], v[128:129]
	s_wait_loadcnt 0x2
	s_set_vgpr_msb 1                        ;  msbs: dst=0 src0=1 src1=0 src2=0
	v_pk_mul_f32 v[138:139], v[10:11] /*v[266:267]*/, v[218:219] op_sel:[1,1] op_sel_hi:[0,1]
	s_set_vgpr_msb 0                        ;  msbs: dst=0 src0=0 src1=0 src2=0
	v_dual_mov_b32 v128, v221 :: v_dual_mov_b32 v133, v135
	s_set_vgpr_msb 1                        ;  msbs: dst=0 src0=1 src1=0 src2=0
	v_pk_fma_f32 v[134:135], v[0:1] /*v[256:257]*/, v[216:217], v[136:137] op_sel_hi:[1,0,1]
	s_set_vgpr_msb 0                        ;  msbs: dst=0 src0=0 src1=0 src2=0
	v_pk_add_f32 v[126:127], v[126:127], v[130:131]
	s_set_vgpr_msb 1                        ;  msbs: dst=0 src0=1 src1=0 src2=0
	v_pk_fma_f32 v[136:137], v[0:1] /*v[256:257]*/, v[216:217], v[136:137] neg_lo:[0,0,1] neg_hi:[0,0,1]
	v_pk_fma_f32 v[130:131], v[10:11] /*v[266:267]*/, v[218:219], v[138:139] op_sel_hi:[1,0,1]
	v_pk_mul_f32 v[128:129], v[74:75] /*v[330:331]*/, v[128:129] op_sel_hi:[1,0]
	s_set_vgpr_msb 0                        ;  msbs: dst=0 src0=0 src1=0 src2=0
	v_mov_b32_e32 v137, v135
	v_pk_add_f32 v[126:127], v[126:127], v[132:133]
	s_set_vgpr_msb 1                        ;  msbs: dst=0 src0=1 src1=0 src2=0
	v_pk_fma_f32 v[132:133], v[10:11] /*v[266:267]*/, v[218:219], v[138:139] neg_lo:[0,0,1] neg_hi:[0,0,1]
	s_set_vgpr_msb 0                        ;  msbs: dst=0 src0=0 src1=0 src2=0
	v_mov_b32_e32 v133, v131
	s_set_vgpr_msb 1                        ;  msbs: dst=0 src0=1 src1=0 src2=0
	v_pk_fma_f32 v[130:131], v[12:13] /*v[268:269]*/, v[220:221], v[128:129] op_sel_hi:[1,0,1]
	s_wait_loadcnt_dscnt 0x100
	s_set_vgpr_msb 5                        ;  msbs: dst=0 src0=1 src1=1 src2=0
	v_pk_mul_f32 v[134:135], v[66:67] /*v[322:323]*/, v[62:63] /*v[318:319]*/ op_sel:[1,1] op_sel_hi:[0,1]
	s_set_vgpr_msb 0                        ;  msbs: dst=0 src0=0 src1=0 src2=0
	v_pk_add_f32 v[126:127], v[126:127], v[136:137]
	s_set_vgpr_msb 1                        ;  msbs: dst=0 src0=1 src1=0 src2=0
	v_pk_fma_f32 v[128:129], v[12:13] /*v[268:269]*/, v[220:221], v[128:129] neg_lo:[0,0,1] neg_hi:[0,0,1]
	s_set_vgpr_msb 0                        ;  msbs: dst=0 src0=0 src1=0 src2=0
	v_mov_b32_e32 v129, v131
	s_set_vgpr_msb 5                        ;  msbs: dst=0 src0=1 src1=1 src2=0
	v_pk_fma_f32 v[130:131], v[66:67] /*v[322:323]*/, v[62:63] /*v[318:319]*/, v[134:135] op_sel_hi:[1,0,1]
	s_set_vgpr_msb 0                        ;  msbs: dst=0 src0=0 src1=0 src2=0
	v_pk_add_f32 v[126:127], v[126:127], v[132:133]
	s_set_vgpr_msb 5                        ;  msbs: dst=0 src0=1 src1=1 src2=0
	v_pk_fma_f32 v[132:133], v[66:67] /*v[322:323]*/, v[62:63] /*v[318:319]*/, v[134:135] neg_lo:[0,0,1] neg_hi:[0,0,1]
	s_set_vgpr_msb 0                        ;  msbs: dst=0 src0=0 src1=0 src2=0
	v_mov_b32_e32 v133, v131
	v_pk_add_f32 v[126:127], v[126:127], v[128:129]
	s_delay_alu instid0(VALU_DEP_1) | instskip(SKIP_2) | instid1(VALU_DEP_1)
	v_pk_add_f32 v[126:127], v[126:127], v[132:133]
	s_wait_loadcnt 0x0
	s_set_vgpr_msb 1                        ;  msbs: dst=0 src0=1 src1=0 src2=0
	v_pk_add_f32 v[126:127], v[64:65] /*v[320:321]*/, v[126:127] neg_lo:[0,1] neg_hi:[0,1]
	scratch_store_b64 off, v[126:127], off offset:96
	s_wait_xcnt 0x0
	v_cmpx_lt_u32_e32 11, v0
	s_set_vgpr_msb 0                        ;  msbs: dst=0 src0=0 src1=0 src2=0
	s_cbranch_execz .LBB125_363
; %bb.362:
	scratch_load_b64 v[126:127], off, off offset:88
	v_mov_b64_e32 v[128:129], 0
	scratch_store_b64 off, v[128:129], off offset:88
	s_wait_loadcnt 0x0
	ds_store_b64 v1, v[126:127]
.LBB125_363:
	s_wait_xcnt 0x0
	s_or_b32 exec_lo, exec_lo, s0
	s_wait_storecnt_dscnt 0x0
	s_barrier_signal -1
	s_barrier_wait -1
	s_clause 0x18
	scratch_load_b128 v[126:129], off, off offset:96
	scratch_load_b128 v[130:133], off, off offset:112
	;; [unrolled: 1-line block ×25, first 2 shown]
	ds_load_b128 v[226:229], v7 offset:592
	ds_load_b128 v[230:233], v7 offset:608
	;; [unrolled: 1-line block ×8, first 2 shown]
	s_set_vgpr_msb 64                       ;  msbs: dst=1 src0=0 src1=0 src2=0
	ds_load_b128 v[2:5] /*v[258:261]*/, v7 offset:944
	ds_load_b128 v[6:9] /*v[262:265]*/, v7 offset:960
	;; [unrolled: 1-line block ×11, first 2 shown]
	scratch_load_b64 v[70:71] /*v[326:327]*/, off, off offset:88
	ds_load_b128 v[46:49] /*v[302:305]*/, v7 offset:816
	ds_load_b128 v[50:53] /*v[306:309]*/, v7 offset:832
	;; [unrolled: 1-line block ×6, first 2 shown]
	s_mov_b32 s0, exec_lo
	s_wait_dscnt 0x13
	v_dual_mov_b32 v72 /*v328*/, v249 :: v_dual_mov_b32 v73 /*v329*/, v248
	s_wait_dscnt 0x10
	s_set_vgpr_msb 0x41                     ;  msbs: dst=1 src0=1 src1=0 src2=0
	v_dual_mov_b32 v74 /*v330*/, v5 /*v261*/ :: v_dual_mov_b32 v75 /*v331*/, v4 /*v260*/
	s_wait_dscnt 0xf
	v_dual_mov_b32 v76 /*v332*/, v9 /*v265*/ :: v_dual_mov_b32 v77 /*v333*/, v8 /*v264*/
	s_wait_dscnt 0xc
	v_dual_mov_b32 v78 /*v334*/, v21 /*v277*/ :: v_dual_mov_b32 v79 /*v335*/, v20 /*v276*/
	s_wait_loadcnt 0x19
	s_set_vgpr_msb 0                        ;  msbs: dst=0 src0=0 src1=0 src2=0
	v_dual_mul_f32 v7, v226, v127 :: v_dual_mul_f32 v9, v228, v129
	s_wait_loadcnt 0x18
	v_dual_mul_f32 v87, v227, v127 :: v_dual_mul_f32 v93, v233, v133
	v_dual_mul_f32 v11, v230, v131 :: v_dual_mul_f32 v13, v232, v133
	s_delay_alu instid0(VALU_DEP_3) | instskip(SKIP_4) | instid1(VALU_DEP_3)
	v_dual_fmac_f32 v7, v227, v126 :: v_dual_fmac_f32 v9, v229, v128
	s_wait_loadcnt 0x14
	v_dual_mul_f32 v27, v254, v147 :: v_dual_mul_f32 v89, v229, v129
	v_dual_mul_f32 v91, v231, v131 :: v_dual_mul_f32 v97, v237, v137
	v_dual_mul_f32 v95, v235, v135 :: v_dual_fma_f32 v87, v226, v126, -v87
	v_dual_mul_f32 v99, v239, v139 :: v_dual_fma_f32 v89, v228, v128, -v89
	v_dual_add_f32 v7, 0, v7 :: v_dual_fmac_f32 v11, v231, v130
	v_fmac_f32_e32 v13, v233, v132
	s_wait_loadcnt_dscnt 0x600
	s_set_vgpr_msb 1                        ;  msbs: dst=0 src0=1 src1=0 src2=0
	v_dual_mul_f32 v85, v68 /*v324*/, v205 :: v_dual_add_f32 v87, 0, v87
	s_set_vgpr_msb 0                        ;  msbs: dst=0 src0=0 src1=0 src2=0
	v_dual_mul_f32 v101, v241, v141 :: v_dual_fma_f32 v91, v230, v130, -v91
	v_dual_add_f32 v7, v7, v9 :: v_dual_mul_f32 v15, v234, v135
	v_mul_f32_e32 v17, v236, v137
	v_dual_add_f32 v9, v87, v89 :: v_dual_fma_f32 v89, v232, v132, -v93
	s_delay_alu instid0(VALU_DEP_3) | instskip(NEXT) | instid1(VALU_DEP_4)
	v_add_f32_e32 v7, v7, v11
	v_dual_fmac_f32 v15, v235, v134 :: v_dual_mul_f32 v19, v238, v139
	s_delay_alu instid0(VALU_DEP_3) | instskip(NEXT) | instid1(VALU_DEP_3)
	v_dual_mul_f32 v21, v240, v141 :: v_dual_add_f32 v9, v9, v91
	v_dual_fma_f32 v91, v234, v134, -v95 :: v_dual_add_f32 v7, v7, v13
	v_dual_fmac_f32 v17, v237, v136 :: v_dual_mul_f32 v13, v255, v147
	s_delay_alu instid0(VALU_DEP_3) | instskip(NEXT) | instid1(VALU_DEP_3)
	v_dual_add_f32 v9, v9, v89 :: v_dual_fma_f32 v89, v236, v136, -v97
	v_add_f32_e32 v7, v7, v15
	v_dual_fmac_f32 v19, v239, v138 :: v_dual_mul_f32 v23, v250, v143
	s_delay_alu instid0(VALU_DEP_3) | instskip(NEXT) | instid1(VALU_DEP_3)
	v_dual_mul_f32 v25, v252, v145 :: v_dual_add_f32 v9, v9, v91
	v_dual_fma_f32 v91, v238, v138, -v99 :: v_dual_add_f32 v7, v7, v17
	v_dual_mul_f32 v87, v251, v143 :: v_dual_mul_f32 v11, v253, v145
	s_delay_alu instid0(VALU_DEP_3) | instskip(NEXT) | instid1(VALU_DEP_3)
	v_dual_add_f32 v9, v9, v89 :: v_dual_fma_f32 v89, v240, v140, -v101
	v_dual_fmac_f32 v21, v241, v140 :: v_dual_add_f32 v7, v7, v19
	s_delay_alu instid0(VALU_DEP_2) | instskip(NEXT) | instid1(VALU_DEP_4)
	v_dual_fmac_f32 v23, v251, v142 :: v_dual_add_f32 v9, v9, v91
	v_fma_f32 v87, v250, v142, -v87
	s_set_vgpr_msb 1                        ;  msbs: dst=0 src0=1 src1=0 src2=0
	v_dual_mul_f32 v29, v0 /*v256*/, v149 :: v_dual_mul_f32 v31, v10 /*v266*/, v151
	s_set_vgpr_msb 0                        ;  msbs: dst=0 src0=0 src1=0 src2=0
	v_add_f32_e32 v7, v7, v21
	v_dual_add_f32 v9, v9, v89 :: v_dual_fma_f32 v11, v252, v144, -v11
	v_fmac_f32_e32 v25, v253, v144
	s_set_vgpr_msb 1                        ;  msbs: dst=0 src0=1 src1=0 src2=0
	v_dual_mul_f32 v15, v1 /*v257*/, v149 :: v_dual_mul_f32 v17, v11 /*v267*/, v151
	s_set_vgpr_msb 0                        ;  msbs: dst=0 src0=0 src1=0 src2=0
	v_add_f32_e32 v7, v7, v23
	v_dual_add_f32 v9, v9, v87 :: v_dual_fmac_f32 v27, v255, v146
	v_fma_f32 v13, v254, v146, -v13
	s_set_vgpr_msb 1                        ;  msbs: dst=0 src0=1 src1=0 src2=0
	v_dual_fmac_f32 v29, v1 /*v257*/, v148 :: v_dual_fma_f32 v15, v0 /*v256*/, v148, -v15
	s_set_vgpr_msb 0                        ;  msbs: dst=0 src0=0 src1=0 src2=0
	v_add_f32_e32 v7, v7, v25
	s_set_vgpr_msb 1                        ;  msbs: dst=0 src0=1 src1=0 src2=0
	v_dual_mul_f32 v33, v12 /*v268*/, v153 :: v_dual_mul_f32 v35, v14 /*v270*/, v155
	v_dual_mul_f32 v19, v13 /*v269*/, v153 :: v_dual_mul_f32 v21, v15 /*v271*/, v155
	s_set_vgpr_msb 0                        ;  msbs: dst=0 src0=0 src1=0 src2=0
	v_add_f32_e32 v7, v7, v27
	v_add_f32_e32 v9, v9, v11
	s_set_vgpr_msb 1                        ;  msbs: dst=0 src0=1 src1=0 src2=0
	v_dual_fmac_f32 v31, v11 /*v267*/, v150 :: v_dual_fma_f32 v17, v10 /*v266*/, v150, -v17
	v_dual_fmac_f32 v33, v13 /*v269*/, v152 :: v_dual_fma_f32 v19, v12 /*v268*/, v152, -v19
	s_set_vgpr_msb 0                        ;  msbs: dst=0 src0=0 src1=0 src2=0
	v_add_f32_e32 v7, v7, v29
	v_add_f32_e32 v9, v9, v13
	s_set_vgpr_msb 1                        ;  msbs: dst=0 src0=1 src1=0 src2=0
	v_mul_f32_e32 v13, v25 /*v281*/, v161
	v_dual_mul_f32 v37, v16 /*v272*/, v157 :: v_dual_mul_f32 v39, v22 /*v278*/, v159
	s_set_vgpr_msb 0                        ;  msbs: dst=0 src0=0 src1=0 src2=0
	v_add_f32_e32 v7, v7, v31
	v_add_f32_e32 v9, v9, v15
	s_set_vgpr_msb 1                        ;  msbs: dst=0 src0=1 src1=0 src2=0
	v_dual_mul_f32 v23, v17 /*v273*/, v157 :: v_dual_mul_f32 v11, v23 /*v279*/, v159
	v_mul_f32_e32 v15, v27 /*v283*/, v163
	v_fmac_f32_e32 v35, v15 /*v271*/, v154
	s_set_vgpr_msb 0                        ;  msbs: dst=0 src0=0 src1=0 src2=0
	v_add_f32_e32 v7, v7, v33
	v_add_f32_e32 v9, v9, v17
	s_set_vgpr_msb 1                        ;  msbs: dst=0 src0=1 src1=0 src2=0
	v_dual_mul_f32 v17, v29 /*v285*/, v165 :: v_dual_fma_f32 v21, v14 /*v270*/, v154, -v21
	v_dual_fmac_f32 v37, v17 /*v273*/, v156 :: v_dual_fma_f32 v23, v16 /*v272*/, v156, -v23
	s_set_vgpr_msb 0                        ;  msbs: dst=0 src0=0 src1=0 src2=0
	v_add_f32_e32 v7, v7, v35
	v_add_f32_e32 v9, v9, v19
	s_set_vgpr_msb 1                        ;  msbs: dst=0 src0=1 src1=0 src2=0
	v_dual_mul_f32 v41, v24 /*v280*/, v161 :: v_dual_mul_f32 v43, v26 /*v282*/, v163
	v_mul_f32_e32 v19, v31 /*v287*/, v167
	v_fmac_f32_e32 v39, v23 /*v279*/, v158
	s_set_vgpr_msb 0                        ;  msbs: dst=0 src0=0 src1=0 src2=0
	v_add_f32_e32 v7, v7, v37
	v_add_f32_e32 v9, v9, v21
	s_set_vgpr_msb 1                        ;  msbs: dst=0 src0=1 src1=0 src2=0
	v_mul_f32_e32 v21, v33 /*v289*/, v169
	v_dual_fmac_f32 v41, v25 /*v281*/, v160 :: v_dual_fmac_f32 v43, v27 /*v283*/, v162
	v_fma_f32 v13, v24 /*v280*/, v160, -v13
	s_set_vgpr_msb 0                        ;  msbs: dst=0 src0=0 src1=0 src2=0
	v_add_f32_e32 v7, v7, v39
	s_set_vgpr_msb 1                        ;  msbs: dst=0 src0=1 src1=0 src2=0
	v_dual_mul_f32 v45, v28 /*v284*/, v165 :: v_dual_mul_f32 v47, v30 /*v286*/, v167
	s_set_vgpr_msb 0                        ;  msbs: dst=0 src0=0 src1=0 src2=0
	v_add_f32_e32 v9, v9, v23
	s_set_vgpr_msb 1                        ;  msbs: dst=0 src0=1 src1=0 src2=0
	v_dual_fma_f32 v11, v22 /*v278*/, v158, -v11 :: v_dual_mul_f32 v23, v35 /*v291*/, v171
	s_set_vgpr_msb 0                        ;  msbs: dst=0 src0=0 src1=0 src2=0
	v_add_f32_e32 v7, v7, v41
	s_set_vgpr_msb 1                        ;  msbs: dst=0 src0=1 src1=0 src2=0
	v_dual_fmac_f32 v45, v29 /*v285*/, v164 :: v_dual_fmac_f32 v47, v31 /*v287*/, v166
	v_fma_f32 v17, v28 /*v284*/, v164, -v17
	v_dual_mul_f32 v49, v32 /*v288*/, v169 :: v_dual_mul_f32 v51, v34 /*v290*/, v171
	s_set_vgpr_msb 0                        ;  msbs: dst=0 src0=0 src1=0 src2=0
	v_add_f32_e32 v7, v7, v43
	v_add_f32_e32 v9, v9, v11
	s_set_vgpr_msb 1                        ;  msbs: dst=0 src0=1 src1=0 src2=0
	v_dual_mul_f32 v11, v37 /*v293*/, v173 :: v_dual_fma_f32 v15, v26 /*v282*/, v162, -v15
	v_dual_fmac_f32 v49, v33 /*v289*/, v168 :: v_dual_fmac_f32 v51, v35 /*v291*/, v170
	s_set_vgpr_msb 0                        ;  msbs: dst=0 src0=0 src1=0 src2=0
	v_add_f32_e32 v7, v7, v45
	v_add_f32_e32 v9, v9, v13
	s_set_vgpr_msb 1                        ;  msbs: dst=0 src0=1 src1=0 src2=0
	v_fma_f32 v21, v32 /*v288*/, v168, -v21
	v_dual_mul_f32 v53, v36 /*v292*/, v173 :: v_dual_mul_f32 v55, v38 /*v294*/, v175
	s_set_vgpr_msb 0                        ;  msbs: dst=0 src0=0 src1=0 src2=0
	v_add_f32_e32 v7, v7, v47
	s_set_vgpr_msb 1                        ;  msbs: dst=0 src0=1 src1=0 src2=0
	v_mul_f32_e32 v13, v39 /*v295*/, v175
	s_set_vgpr_msb 0                        ;  msbs: dst=0 src0=0 src1=0 src2=0
	v_add_f32_e32 v9, v9, v15
	s_set_vgpr_msb 1                        ;  msbs: dst=0 src0=1 src1=0 src2=0
	v_dual_mul_f32 v15, v41 /*v297*/, v177 :: v_dual_fma_f32 v19, v30 /*v286*/, v166, -v19
	s_set_vgpr_msb 0                        ;  msbs: dst=0 src0=0 src1=0 src2=0
	v_add_f32_e32 v7, v7, v49
	s_set_vgpr_msb 1                        ;  msbs: dst=0 src0=1 src1=0 src2=0
	v_dual_fmac_f32 v53, v37 /*v293*/, v172 :: v_dual_fma_f32 v11, v36 /*v292*/, v172, -v11
	s_set_vgpr_msb 0                        ;  msbs: dst=0 src0=0 src1=0 src2=0
	v_add_f32_e32 v9, v9, v17
	s_set_vgpr_msb 1                        ;  msbs: dst=0 src0=1 src1=0 src2=0
	v_dual_fmac_f32 v55, v39 /*v295*/, v174 :: v_dual_fma_f32 v13, v38 /*v294*/, v174, -v13
	s_set_vgpr_msb 0                        ;  msbs: dst=0 src0=0 src1=0 src2=0
	v_add_f32_e32 v7, v7, v51
	s_set_vgpr_msb 1                        ;  msbs: dst=0 src0=1 src1=0 src2=0
	v_dual_mul_f32 v57, v40 /*v296*/, v177 :: v_dual_mul_f32 v59, v42 /*v298*/, v179
	v_mul_f32_e32 v17, v43 /*v299*/, v179
	s_set_vgpr_msb 0                        ;  msbs: dst=0 src0=0 src1=0 src2=0
	v_dual_add_f32 v9, v9, v19 :: v_dual_add_f32 v7, v7, v53
	s_set_vgpr_msb 1                        ;  msbs: dst=0 src0=1 src1=0 src2=0
	v_dual_mul_f32 v19, v45 /*v301*/, v181 :: v_dual_fma_f32 v23, v34 /*v290*/, v170, -v23
	v_dual_fmac_f32 v57, v41 /*v297*/, v176 :: v_dual_fma_f32 v15, v40 /*v296*/, v176, -v15
	s_set_vgpr_msb 0                        ;  msbs: dst=0 src0=0 src1=0 src2=0
	v_add_f32_e32 v9, v9, v21
	s_set_vgpr_msb 1                        ;  msbs: dst=0 src0=1 src1=0 src2=0
	v_dual_fmac_f32 v59, v43 /*v299*/, v178 :: v_dual_fma_f32 v17, v42 /*v298*/, v178, -v17
	s_set_vgpr_msb 0                        ;  msbs: dst=0 src0=0 src1=0 src2=0
	v_add_f32_e32 v7, v7, v55
	s_set_vgpr_msb 1                        ;  msbs: dst=0 src0=1 src1=0 src2=0
	v_dual_mul_f32 v61, v44 /*v300*/, v181 :: v_dual_mul_f32 v63, v46 /*v302*/, v183
	v_mul_f32_e32 v21, v47 /*v303*/, v183
	s_set_vgpr_msb 0                        ;  msbs: dst=0 src0=0 src1=0 src2=0
	v_dual_add_f32 v9, v9, v23 :: v_dual_add_f32 v7, v7, v57
	s_set_vgpr_msb 1                        ;  msbs: dst=0 src0=1 src1=0 src2=0
	v_dual_fmac_f32 v61, v45 /*v301*/, v180 :: v_dual_fma_f32 v19, v44 /*v300*/, v180, -v19
	v_dual_fmac_f32 v63, v47 /*v303*/, v182 :: v_dual_fma_f32 v21, v46 /*v302*/, v182, -v21
	s_set_vgpr_msb 0                        ;  msbs: dst=0 src0=0 src1=0 src2=0
	v_add_f32_e32 v7, v7, v59
	s_set_vgpr_msb 1                        ;  msbs: dst=0 src0=1 src1=0 src2=0
	v_dual_mul_f32 v65, v48 /*v304*/, v185 :: v_dual_mul_f32 v67, v50 /*v306*/, v187
	s_set_vgpr_msb 0                        ;  msbs: dst=0 src0=0 src1=0 src2=0
	v_add_f32_e32 v9, v9, v11
	s_set_vgpr_msb 1                        ;  msbs: dst=0 src0=1 src1=0 src2=0
	v_dual_mul_f32 v23, v49 /*v305*/, v185 :: v_dual_mul_f32 v11, v51 /*v307*/, v187
	s_set_vgpr_msb 0                        ;  msbs: dst=0 src0=0 src1=0 src2=0
	v_add_f32_e32 v7, v7, v61
	s_set_vgpr_msb 1                        ;  msbs: dst=0 src0=1 src1=0 src2=0
	v_fmac_f32_e32 v65, v49 /*v305*/, v184
	s_set_vgpr_msb 0                        ;  msbs: dst=0 src0=0 src1=0 src2=0
	v_add_f32_e32 v9, v9, v13
	s_set_vgpr_msb 1                        ;  msbs: dst=0 src0=1 src1=0 src2=0
	v_dual_mul_f32 v69, v52 /*v308*/, v189 :: v_dual_mul_f32 v71, v54 /*v310*/, v191
	s_set_vgpr_msb 0                        ;  msbs: dst=0 src0=0 src1=0 src2=0
	v_add_f32_e32 v7, v7, v63
	s_set_vgpr_msb 1                        ;  msbs: dst=0 src0=1 src1=0 src2=0
	v_fma_f32 v23, v48 /*v304*/, v184, -v23
	s_set_vgpr_msb 0                        ;  msbs: dst=0 src0=0 src1=0 src2=0
	v_add_f32_e32 v9, v9, v15
	s_set_vgpr_msb 1                        ;  msbs: dst=0 src0=1 src1=0 src2=0
	v_dual_fmac_f32 v67, v51 /*v307*/, v186 :: v_dual_fmac_f32 v69, v53 /*v309*/, v188
	s_set_vgpr_msb 0                        ;  msbs: dst=0 src0=0 src1=0 src2=0
	v_add_f32_e32 v7, v7, v65
	s_set_vgpr_msb 1                        ;  msbs: dst=0 src0=1 src1=0 src2=0
	v_dual_mul_f32 v73, v56 /*v312*/, v193 :: v_dual_mul_f32 v75, v58 /*v314*/, v195
	s_set_vgpr_msb 0                        ;  msbs: dst=0 src0=0 src1=0 src2=0
	v_add_f32_e32 v9, v9, v17
	s_set_vgpr_msb 1                        ;  msbs: dst=0 src0=1 src1=0 src2=0
	v_fmac_f32_e32 v71, v55 /*v311*/, v190
	s_set_vgpr_msb 0                        ;  msbs: dst=0 src0=0 src1=0 src2=0
	v_add_f32_e32 v7, v7, v67
	s_set_vgpr_msb 1                        ;  msbs: dst=0 src0=1 src1=0 src2=0
	v_dual_fmac_f32 v73, v57 /*v313*/, v192 :: v_dual_mul_f32 v77, v60 /*v316*/, v197
	v_mul_f32_e32 v79, v62 /*v318*/, v199
	s_set_vgpr_msb 0                        ;  msbs: dst=0 src0=0 src1=0 src2=0
	v_dual_add_f32 v9, v9, v19 :: v_dual_add_f32 v7, v7, v69
	s_set_vgpr_msb 1                        ;  msbs: dst=0 src0=1 src1=0 src2=0
	v_dual_mul_f32 v13, v53 /*v309*/, v189 :: v_dual_mul_f32 v15, v55 /*v311*/, v191
	v_fma_f32 v11, v50 /*v306*/, v186, -v11
	s_set_vgpr_msb 0                        ;  msbs: dst=0 src0=0 src1=0 src2=0
	v_dual_add_f32 v9, v9, v21 :: v_dual_add_f32 v7, v7, v71
	s_set_vgpr_msb 1                        ;  msbs: dst=0 src0=1 src1=0 src2=0
	v_dual_mul_f32 v21, v61 /*v317*/, v197 :: v_dual_fmac_f32 v75, v59 /*v315*/, v194
	v_fmac_f32_e32 v77, v61 /*v317*/, v196
	s_set_vgpr_msb 0                        ;  msbs: dst=0 src0=0 src1=0 src2=0
	v_dual_add_f32 v9, v9, v23 :: v_dual_add_f32 v7, v7, v73
	s_set_vgpr_msb 1                        ;  msbs: dst=0 src0=1 src1=0 src2=0
	v_dual_mul_f32 v23, v63 /*v319*/, v199 :: v_dual_fma_f32 v13, v52 /*v308*/, v188, -v13
	s_wait_loadcnt 0x4
	s_set_vgpr_msb 0                        ;  msbs: dst=0 src0=0 src1=0 src2=0
	v_mov_b32_e32 v128, v213
	s_set_vgpr_msb 1                        ;  msbs: dst=0 src0=1 src1=0 src2=0
	v_dual_mul_f32 v81, v64 /*v320*/, v201 :: v_dual_mul_f32 v83, v66 /*v322*/, v203
	s_set_vgpr_msb 0                        ;  msbs: dst=0 src0=0 src1=0 src2=0
	v_add_f32_e32 v7, v7, v75
	v_add_f32_e32 v9, v9, v11
	s_set_vgpr_msb 1                        ;  msbs: dst=0 src0=1 src1=0 src2=0
	v_dual_mul_f32 v17, v57 /*v313*/, v193 :: v_dual_mul_f32 v19, v59 /*v315*/, v195
	v_dual_mul_f32 v11, v65 /*v321*/, v201 :: v_dual_fma_f32 v15, v54 /*v310*/, v190, -v15
	v_dual_fma_f32 v21, v60 /*v316*/, v196, -v21 :: v_dual_fmac_f32 v79, v63 /*v319*/, v198
	s_set_vgpr_msb 0                        ;  msbs: dst=0 src0=0 src1=0 src2=0
	v_add_f32_e32 v7, v7, v77
	v_add_f32_e32 v9, v9, v13
	s_set_vgpr_msb 1                        ;  msbs: dst=0 src0=1 src1=0 src2=0
	v_dual_mul_f32 v13, v67 /*v323*/, v203 :: v_dual_fma_f32 v17, v56 /*v312*/, v192, -v17
	v_dual_fma_f32 v23, v62 /*v318*/, v198, -v23 :: v_dual_fmac_f32 v81, v65 /*v321*/, v200
	s_delay_alu instid0(VALU_DEP_2)
	v_dual_fma_f32 v11, v64 /*v320*/, v200, -v11 :: v_dual_fma_f32 v13, v66 /*v322*/, v202, -v13
	s_set_vgpr_msb 0                        ;  msbs: dst=0 src0=0 src1=0 src2=0
	v_add_f32_e32 v7, v7, v79
	v_add_f32_e32 v9, v9, v15
	s_set_vgpr_msb 1                        ;  msbs: dst=0 src0=1 src1=0 src2=0
	v_dual_mul_f32 v15, v69 /*v325*/, v205 :: v_dual_fma_f32 v19, v58 /*v314*/, v194, -v19
	v_dual_fmac_f32 v83, v67 /*v323*/, v202 :: v_dual_fmac_f32 v85, v69 /*v325*/, v204
	s_set_vgpr_msb 0                        ;  msbs: dst=0 src0=0 src1=0 src2=0
	v_add_f32_e32 v7, v7, v81
	v_add_f32_e32 v9, v9, v17
	s_wait_loadcnt 0x3
	v_mov_b32_e32 v132, v217
	s_set_vgpr_msb 64                       ;  msbs: dst=1 src0=0 src1=0 src2=0
	v_dual_mul_f32 v81 /*v337*/, v242, v207 :: v_dual_mul_f32 v83 /*v339*/, v244, v209
	s_set_vgpr_msb 0                        ;  msbs: dst=0 src0=0 src1=0 src2=0
	v_add_f32_e32 v7, v7, v83
	v_add_f32_e32 v9, v9, v19
	v_mul_f32_e32 v19, v245, v209
	v_pk_mul_f32 v[126:127], v[246:247], v[210:211] op_sel:[1,1] op_sel_hi:[0,1]
	s_set_vgpr_msb 64                       ;  msbs: dst=1 src0=0 src1=0 src2=0
	v_dual_fmac_f32 v81 /*v337*/, v243, v206 :: v_dual_fmac_f32 v83 /*v339*/, v245, v208
	s_set_vgpr_msb 0                        ;  msbs: dst=0 src0=0 src1=0 src2=0
	v_add_f32_e32 v135, v7, v85
	v_dual_mul_f32 v17, v243, v207 :: v_dual_add_f32 v9, v9, v21
	s_set_vgpr_msb 64                       ;  msbs: dst=1 src0=0 src1=0 src2=0
	v_fma_f32 v82 /*v338*/, v244, v208, -v19
	s_set_vgpr_msb 0                        ;  msbs: dst=0 src0=0 src1=0 src2=0
	v_pk_fma_f32 v[136:137], v[246:247], v[210:211], v[126:127] op_sel_hi:[1,0,1]
	s_set_vgpr_msb 1                        ;  msbs: dst=0 src0=1 src1=0 src2=0
	v_pk_mul_f32 v[128:129], v[72:73] /*v[328:329]*/, v[128:129] op_sel_hi:[1,0]
	s_set_vgpr_msb 64                       ;  msbs: dst=1 src0=0 src1=0 src2=0
	v_fma_f32 v80 /*v336*/, v242, v206, -v17
	s_set_vgpr_msb 0                        ;  msbs: dst=0 src0=0 src1=0 src2=0
	v_add_f32_e32 v9, v9, v23
	v_pk_fma_f32 v[126:127], v[246:247], v[210:211], v[126:127] neg_lo:[0,0,1] neg_hi:[0,0,1]
	s_set_vgpr_msb 1                        ;  msbs: dst=0 src0=1 src1=0 src2=0
	v_pk_mul_f32 v[130:131], v[2:3] /*v[258:259]*/, v[214:215] op_sel:[1,1] op_sel_hi:[0,1]
	s_set_vgpr_msb 0                        ;  msbs: dst=0 src0=0 src1=0 src2=0
	v_mov_b32_e32 v127, v137
	v_pk_fma_f32 v[136:137], v[248:249], v[212:213], v[128:129] op_sel_hi:[1,0,1]
	v_add_f32_e32 v9, v9, v11
	s_set_vgpr_msb 1                        ;  msbs: dst=0 src0=1 src1=0 src2=0
	v_fma_f32 v11, v68 /*v324*/, v204, -v15
	s_set_vgpr_msb 0                        ;  msbs: dst=0 src0=0 src1=0 src2=0
	v_pk_fma_f32 v[128:129], v[248:249], v[212:213], v[128:129] neg_lo:[0,0,1] neg_hi:[0,0,1]
	s_set_vgpr_msb 1                        ;  msbs: dst=0 src0=1 src1=0 src2=0
	v_pk_fma_f32 v[140:141], v[2:3] /*v[258:259]*/, v[214:215], v[130:131] op_sel_hi:[1,0,1]
	v_pk_mul_f32 v[132:133], v[74:75] /*v[330:331]*/, v[132:133] op_sel_hi:[1,0]
	s_set_vgpr_msb 0                        ;  msbs: dst=0 src0=0 src1=0 src2=0
	v_add_f32_e32 v9, v9, v13
	v_mov_b32_e32 v129, v137
	s_wait_loadcnt 0x2
	s_set_vgpr_msb 1                        ;  msbs: dst=0 src0=1 src1=0 src2=0
	v_pk_mul_f32 v[138:139], v[6:7] /*v[262:263]*/, v[218:219] op_sel:[1,1] op_sel_hi:[0,1]
	v_pk_fma_f32 v[130:131], v[2:3] /*v[258:259]*/, v[214:215], v[130:131] neg_lo:[0,0,1] neg_hi:[0,0,1]
	s_set_vgpr_msb 0                        ;  msbs: dst=0 src0=0 src1=0 src2=0
	v_mov_b32_e32 v131, v141
	v_add_f32_e32 v134, v9, v11
	s_set_vgpr_msb 1                        ;  msbs: dst=0 src0=1 src1=0 src2=0
	v_pk_fma_f32 v[136:137], v[4:5] /*v[260:261]*/, v[216:217], v[132:133] op_sel_hi:[1,0,1]
	v_pk_fma_f32 v[132:133], v[4:5] /*v[260:261]*/, v[216:217], v[132:133] neg_lo:[0,0,1] neg_hi:[0,0,1]
	s_set_vgpr_msb 4                        ;  msbs: dst=0 src0=0 src1=1 src2=0
	v_pk_add_f32 v[134:135], v[134:135], v[80:81] /*v[336:337]*/
	s_delay_alu instid0(VALU_DEP_1) | instskip(SKIP_1) | instid1(VALU_DEP_1)
	v_pk_add_f32 v[134:135], v[134:135], v[82:83] /*v[338:339]*/
	s_set_vgpr_msb 0                        ;  msbs: dst=0 src0=0 src1=0 src2=0
	v_pk_add_f32 v[126:127], v[134:135], v[126:127]
	v_mov_b32_e32 v134, v221
	s_delay_alu instid0(VALU_DEP_2) | instskip(SKIP_2) | instid1(VALU_DEP_3)
	v_pk_add_f32 v[126:127], v[126:127], v[128:129]
	s_set_vgpr_msb 1                        ;  msbs: dst=0 src0=1 src1=0 src2=0
	v_pk_fma_f32 v[128:129], v[6:7] /*v[262:263]*/, v[218:219], v[138:139] op_sel_hi:[1,0,1]
	v_pk_mul_f32 v[134:135], v[76:77] /*v[332:333]*/, v[134:135] op_sel_hi:[1,0]
	s_set_vgpr_msb 0                        ;  msbs: dst=0 src0=0 src1=0 src2=0
	v_mov_b32_e32 v133, v137
	s_set_vgpr_msb 1                        ;  msbs: dst=0 src0=1 src1=0 src2=0
	v_pk_fma_f32 v[136:137], v[6:7] /*v[262:263]*/, v[218:219], v[138:139] neg_lo:[0,0,1] neg_hi:[0,0,1]
	s_set_vgpr_msb 0                        ;  msbs: dst=0 src0=0 src1=0 src2=0
	v_pk_add_f32 v[126:127], v[126:127], v[130:131]
	v_mov_b32_e32 v137, v129
	s_set_vgpr_msb 1                        ;  msbs: dst=0 src0=1 src1=0 src2=0
	v_pk_fma_f32 v[128:129], v[8:9] /*v[264:265]*/, v[220:221], v[134:135] op_sel_hi:[1,0,1]
	s_wait_loadcnt 0x1
	v_pk_mul_f32 v[130:131], v[18:19] /*v[274:275]*/, v[222:223] op_sel:[1,1] op_sel_hi:[0,1]
	s_set_vgpr_msb 0                        ;  msbs: dst=0 src0=0 src1=0 src2=0
	v_mov_b32_e32 v128, v225
	v_pk_add_f32 v[126:127], v[126:127], v[132:133]
	s_set_vgpr_msb 1                        ;  msbs: dst=0 src0=1 src1=0 src2=0
	v_pk_fma_f32 v[134:135], v[8:9] /*v[264:265]*/, v[220:221], v[134:135] neg_lo:[0,0,1] neg_hi:[0,0,1]
	s_set_vgpr_msb 0                        ;  msbs: dst=0 src0=0 src1=0 src2=0
	v_mov_b32_e32 v135, v129
	s_set_vgpr_msb 1                        ;  msbs: dst=0 src0=1 src1=0 src2=0
	v_pk_fma_f32 v[132:133], v[18:19] /*v[274:275]*/, v[222:223], v[130:131] op_sel_hi:[1,0,1]
	v_pk_mul_f32 v[128:129], v[78:79] /*v[334:335]*/, v[128:129] op_sel_hi:[1,0]
	s_set_vgpr_msb 0                        ;  msbs: dst=0 src0=0 src1=0 src2=0
	v_pk_add_f32 v[126:127], v[126:127], v[136:137]
	s_set_vgpr_msb 1                        ;  msbs: dst=0 src0=1 src1=0 src2=0
	v_pk_fma_f32 v[130:131], v[18:19] /*v[274:275]*/, v[222:223], v[130:131] neg_lo:[0,0,1] neg_hi:[0,0,1]
	s_set_vgpr_msb 0                        ;  msbs: dst=0 src0=0 src1=0 src2=0
	v_mov_b32_e32 v131, v133
	s_set_vgpr_msb 1                        ;  msbs: dst=0 src0=1 src1=0 src2=0
	v_pk_fma_f32 v[132:133], v[20:21] /*v[276:277]*/, v[224:225], v[128:129] op_sel_hi:[1,0,1]
	s_set_vgpr_msb 0                        ;  msbs: dst=0 src0=0 src1=0 src2=0
	v_pk_add_f32 v[126:127], v[126:127], v[134:135]
	s_set_vgpr_msb 1                        ;  msbs: dst=0 src0=1 src1=0 src2=0
	v_pk_fma_f32 v[128:129], v[20:21] /*v[276:277]*/, v[224:225], v[128:129] neg_lo:[0,0,1] neg_hi:[0,0,1]
	s_set_vgpr_msb 0                        ;  msbs: dst=0 src0=0 src1=0 src2=0
	v_mov_b32_e32 v129, v133
	v_pk_add_f32 v[126:127], v[126:127], v[130:131]
	s_delay_alu instid0(VALU_DEP_1) | instskip(SKIP_2) | instid1(VALU_DEP_1)
	v_pk_add_f32 v[126:127], v[126:127], v[128:129]
	s_wait_loadcnt 0x0
	s_set_vgpr_msb 1                        ;  msbs: dst=0 src0=1 src1=0 src2=0
	v_pk_add_f32 v[126:127], v[70:71] /*v[326:327]*/, v[126:127] neg_lo:[0,1] neg_hi:[0,1]
	scratch_store_b64 off, v[126:127], off offset:88
	s_wait_xcnt 0x0
	v_cmpx_lt_u32_e32 10, v0
	s_set_vgpr_msb 0                        ;  msbs: dst=0 src0=0 src1=0 src2=0
	s_cbranch_execz .LBB125_365
; %bb.364:
	scratch_load_b64 v[126:127], off, off offset:80
	v_mov_b64_e32 v[128:129], 0
	scratch_store_b64 off, v[128:129], off offset:80
	s_wait_loadcnt 0x0
	ds_store_b64 v1, v[126:127]
.LBB125_365:
	s_wait_xcnt 0x0
	s_or_b32 exec_lo, exec_lo, s0
	s_wait_storecnt_dscnt 0x0
	s_barrier_signal -1
	s_barrier_wait -1
	s_clause 0x1b
	scratch_load_b128 v[126:129], off, off offset:88
	scratch_load_b128 v[130:133], off, off offset:104
	;; [unrolled: 1-line block ×25, first 2 shown]
	s_set_vgpr_msb 64                       ;  msbs: dst=1 src0=0 src1=0 src2=0
	scratch_load_b64 v[70:71] /*v[326:327]*/, off, off offset:488
	scratch_load_b64 v[72:73] /*v[328:329]*/, off, off offset:80
	s_set_vgpr_msb 0                        ;  msbs: dst=0 src0=0 src1=0 src2=0
	v_mov_b32_e32 v7, 0
	ds_load_2addr_b64 v[226:229], v7 offset0:73 offset1:74
	ds_load_2addr_b64 v[230:233], v7 offset0:75 offset1:76
	;; [unrolled: 1-line block ×8, first 2 shown]
	s_set_vgpr_msb 64                       ;  msbs: dst=1 src0=0 src1=0 src2=0
	ds_load_2addr_b64 v[2:5] /*v[258:261]*/, v7 offset0:117 offset1:118
	ds_load_2addr_b64 v[6:9] /*v[262:265]*/, v7 offset0:119 offset1:120
	;; [unrolled: 1-line block ×17, first 2 shown]
	ds_load_b64 v[74:75] /*v[330:331]*/, v7 offset:984
	s_wait_dscnt 0x14
	v_dual_mov_b32 v76 /*v332*/, v249 :: v_dual_mov_b32 v77 /*v333*/, v248
	s_wait_dscnt 0x11
	s_set_vgpr_msb 0x41                     ;  msbs: dst=1 src0=1 src1=0 src2=0
	v_dual_mov_b32 v78 /*v334*/, v5 /*v261*/ :: v_dual_mov_b32 v79 /*v335*/, v4 /*v260*/
	s_wait_dscnt 0x10
	v_dual_mov_b32 v80 /*v336*/, v9 /*v265*/ :: v_dual_mov_b32 v81 /*v337*/, v8 /*v264*/
	s_wait_dscnt 0xd
	v_dual_mov_b32 v82 /*v338*/, v21 /*v277*/ :: v_dual_mov_b32 v83 /*v339*/, v20 /*v276*/
	s_mov_b32 s0, exec_lo
	s_wait_loadcnt 0x1a
	s_set_vgpr_msb 0                        ;  msbs: dst=0 src0=0 src1=0 src2=0
	v_dual_mul_f32 v9, v226, v127 :: v_dual_mul_f32 v75, v227, v127
	v_dual_mul_f32 v77, v229, v129 :: v_dual_mul_f32 v11, v228, v129
	s_wait_loadcnt 0x19
	v_mul_f32_e32 v13, v230, v131
	s_wait_loadcnt 0x18
	v_dual_mul_f32 v99, v235, v135 :: v_dual_fma_f32 v75, v226, v126, -v75
	v_dual_fmac_f32 v9, v227, v126 :: v_dual_fmac_f32 v11, v229, v128
	v_dual_mul_f32 v91, v231, v131 :: v_dual_mul_f32 v93, v233, v133
	s_delay_alu instid0(VALU_DEP_2)
	v_dual_fma_f32 v77, v228, v128, -v77 :: v_dual_add_f32 v9, 0, v9
	v_dual_mul_f32 v15, v232, v133 :: v_dual_mul_f32 v17, v234, v135
	v_add_f32_e32 v75, 0, v75
	s_wait_loadcnt 0x16
	v_dual_mul_f32 v107, v251, v143 :: v_dual_fma_f32 v91, v230, v130, -v91
	v_dual_fmac_f32 v13, v231, v130 :: v_dual_add_f32 v9, v9, v11
	s_wait_loadcnt_dscnt 0x701
	s_set_vgpr_msb 1                        ;  msbs: dst=0 src0=1 src1=0 src2=0
	v_mul_f32_e32 v95, v68 /*v324*/, v205
	s_set_vgpr_msb 0                        ;  msbs: dst=0 src0=0 src1=0 src2=0
	v_dual_add_f32 v11, v75, v77 :: v_dual_fmac_f32 v15, v233, v132
	v_dual_mul_f32 v75, v253, v145 :: v_dual_fma_f32 v77, v232, v132, -v93
	s_delay_alu instid0(VALU_DEP_2)
	v_dual_add_f32 v9, v9, v13 :: v_dual_add_f32 v11, v11, v91
	v_dual_mul_f32 v19, v236, v137 :: v_dual_mul_f32 v21, v238, v139
	s_wait_loadcnt 0x5
	v_dual_mul_f32 v129, v246, v211 :: v_dual_mul_f32 v101, v237, v137
	v_dual_mul_f32 v13, v255, v147 :: v_dual_fma_f32 v91, v234, v134, -v99
	v_dual_fmac_f32 v17, v235, v134 :: v_dual_add_f32 v9, v9, v15
	v_dual_add_f32 v11, v11, v77 :: v_dual_fmac_f32 v19, v237, v136
	v_dual_mul_f32 v103, v239, v139 :: v_dual_mul_f32 v105, v241, v141
	s_delay_alu instid0(VALU_DEP_3) | instskip(NEXT) | instid1(VALU_DEP_2)
	v_dual_fma_f32 v77, v236, v136, -v101 :: v_dual_add_f32 v9, v9, v17
	v_dual_add_f32 v11, v11, v91 :: v_dual_fma_f32 v91, v238, v138, -v103
	v_dual_mul_f32 v23, v240, v141 :: v_dual_mul_f32 v25, v250, v143
	s_delay_alu instid0(VALU_DEP_3) | instskip(NEXT) | instid1(VALU_DEP_2)
	v_dual_fmac_f32 v21, v239, v138 :: v_dual_add_f32 v9, v9, v19
	v_dual_add_f32 v11, v11, v77 :: v_dual_fmac_f32 v23, v241, v140
	v_fma_f32 v77, v240, v140, -v105
	v_dual_mul_f32 v27, v252, v145 :: v_dual_mul_f32 v29, v254, v147
	s_delay_alu instid0(VALU_DEP_3) | instskip(SKIP_1) | instid1(VALU_DEP_3)
	v_dual_add_f32 v9, v9, v21 :: v_dual_add_f32 v11, v11, v91
	v_dual_fma_f32 v91, v250, v142, -v107 :: v_dual_fmac_f32 v25, v251, v142
	v_fmac_f32_e32 v27, v253, v144
	s_delay_alu instid0(VALU_DEP_3)
	v_dual_add_f32 v9, v9, v23 :: v_dual_add_f32 v11, v11, v77
	v_fma_f32 v75, v252, v144, -v75
	s_set_vgpr_msb 1                        ;  msbs: dst=0 src0=1 src1=0 src2=0
	v_dual_mul_f32 v31, v0 /*v256*/, v149 :: v_dual_mul_f32 v33, v10 /*v266*/, v151
	s_set_vgpr_msb 0                        ;  msbs: dst=0 src0=0 src1=0 src2=0
	v_dual_add_f32 v9, v9, v25 :: v_dual_add_f32 v11, v11, v91
	v_fma_f32 v13, v254, v146, -v13
	s_set_vgpr_msb 1                        ;  msbs: dst=0 src0=1 src1=0 src2=0
	v_dual_mul_f32 v15, v1 /*v257*/, v149 :: v_dual_mul_f32 v17, v11 /*v267*/, v151
	s_set_vgpr_msb 0                        ;  msbs: dst=0 src0=0 src1=0 src2=0
	v_dual_fmac_f32 v29, v255, v146 :: v_dual_add_f32 v9, v9, v27
	v_add_f32_e32 v11, v11, v75
	s_set_vgpr_msb 1                        ;  msbs: dst=0 src0=1 src1=0 src2=0
	v_dual_mul_f32 v27, v25 /*v281*/, v161 :: v_dual_fma_f32 v15, v0 /*v256*/, v148, -v15
	v_fmac_f32_e32 v31, v1 /*v257*/, v148
	s_set_vgpr_msb 0                        ;  msbs: dst=0 src0=0 src1=0 src2=0
	v_add_f32_e32 v9, v9, v29
	v_add_f32_e32 v11, v11, v13
	s_set_vgpr_msb 1                        ;  msbs: dst=0 src0=1 src1=0 src2=0
	v_dual_mul_f32 v35, v12 /*v268*/, v153 :: v_dual_mul_f32 v37, v14 /*v270*/, v155
	v_dual_mul_f32 v19, v13 /*v269*/, v153 :: v_dual_mul_f32 v21, v15 /*v271*/, v155
	v_mul_f32_e32 v13, v27 /*v283*/, v163
	v_fmac_f32_e32 v33, v11 /*v267*/, v150
	s_delay_alu instid0(VALU_DEP_4)
	v_dual_fma_f32 v17, v10 /*v266*/, v150, -v17 :: v_dual_fmac_f32 v35, v13 /*v269*/, v152
	s_set_vgpr_msb 0                        ;  msbs: dst=0 src0=0 src1=0 src2=0
	v_add_f32_e32 v9, v9, v31
	v_add_f32_e32 v11, v11, v15
	s_set_vgpr_msb 1                        ;  msbs: dst=0 src0=1 src1=0 src2=0
	v_dual_mul_f32 v15, v29 /*v285*/, v165 :: v_dual_fma_f32 v19, v12 /*v268*/, v152, -v19
	v_dual_mul_f32 v39, v16 /*v272*/, v157 :: v_dual_mul_f32 v41, v22 /*v278*/, v159
	s_set_vgpr_msb 0                        ;  msbs: dst=0 src0=0 src1=0 src2=0
	v_add_f32_e32 v9, v9, v33
	v_add_f32_e32 v11, v11, v17
	s_set_vgpr_msb 1                        ;  msbs: dst=0 src0=1 src1=0 src2=0
	v_dual_mul_f32 v23, v17 /*v273*/, v157 :: v_dual_mul_f32 v25, v23 /*v279*/, v159
	v_mul_f32_e32 v17, v31 /*v287*/, v167
	v_fmac_f32_e32 v37, v15 /*v271*/, v154
	v_dual_fma_f32 v21, v14 /*v270*/, v154, -v21 :: v_dual_fmac_f32 v39, v17 /*v273*/, v156
	s_set_vgpr_msb 0                        ;  msbs: dst=0 src0=0 src1=0 src2=0
	v_add_f32_e32 v9, v9, v35
	v_add_f32_e32 v11, v11, v19
	s_set_vgpr_msb 1                        ;  msbs: dst=0 src0=1 src1=0 src2=0
	v_dual_mul_f32 v19, v33 /*v289*/, v169 :: v_dual_fma_f32 v23, v16 /*v272*/, v156, -v23
	v_dual_mul_f32 v43, v24 /*v280*/, v161 :: v_dual_mul_f32 v45, v26 /*v282*/, v163
	s_set_vgpr_msb 0                        ;  msbs: dst=0 src0=0 src1=0 src2=0
	v_add_f32_e32 v9, v9, v37
	v_add_f32_e32 v11, v11, v21
	s_set_vgpr_msb 1                        ;  msbs: dst=0 src0=1 src1=0 src2=0
	v_mul_f32_e32 v21, v35 /*v291*/, v171
	v_fmac_f32_e32 v41, v23 /*v279*/, v158
	v_dual_fma_f32 v25, v22 /*v278*/, v158, -v25 :: v_dual_fmac_f32 v43, v25 /*v281*/, v160
	s_set_vgpr_msb 0                        ;  msbs: dst=0 src0=0 src1=0 src2=0
	v_add_f32_e32 v9, v9, v39
	v_add_f32_e32 v11, v11, v23
	s_set_vgpr_msb 1                        ;  msbs: dst=0 src0=1 src1=0 src2=0
	v_dual_mul_f32 v23, v37 /*v293*/, v173 :: v_dual_fma_f32 v27, v24 /*v280*/, v160, -v27
	v_dual_mul_f32 v47, v28 /*v284*/, v165 :: v_dual_mul_f32 v49, v30 /*v286*/, v167
	s_set_vgpr_msb 0                        ;  msbs: dst=0 src0=0 src1=0 src2=0
	v_add_f32_e32 v9, v9, v41
	v_add_f32_e32 v11, v11, v25
	s_set_vgpr_msb 1                        ;  msbs: dst=0 src0=1 src1=0 src2=0
	;; [unrolled: 13-line block ×9, first 2 shown]
	v_mul_f32_e32 v21, v67 /*v323*/, v203
	v_fmac_f32_e32 v73, v55 /*v311*/, v190
	v_dual_fma_f32 v25, v54 /*v310*/, v190, -v25 :: v_dual_fmac_f32 v79, v57 /*v313*/, v192
	s_set_vgpr_msb 0                        ;  msbs: dst=0 src0=0 src1=0 src2=0
	v_add_f32_e32 v9, v9, v71
	v_add_f32_e32 v11, v11, v23
	s_set_vgpr_msb 1                        ;  msbs: dst=0 src0=1 src1=0 src2=0
	v_dual_mul_f32 v23, v69 /*v325*/, v205 :: v_dual_fma_f32 v27, v56 /*v312*/, v192, -v27
	v_fmac_f32_e32 v81, v59 /*v315*/, v194
	s_set_vgpr_msb 0                        ;  msbs: dst=0 src0=0 src1=0 src2=0
	v_add_f32_e32 v9, v9, v73
	v_add_f32_e32 v11, v11, v25
	s_set_vgpr_msb 1                        ;  msbs: dst=0 src0=1 src1=0 src2=0
	v_dual_mul_f32 v83, v60 /*v316*/, v197 :: v_dual_mul_f32 v85, v62 /*v318*/, v199
	v_fma_f32 v13, v58 /*v314*/, v194, -v13
	s_set_vgpr_msb 0                        ;  msbs: dst=0 src0=0 src1=0 src2=0
	v_add_f32_e32 v9, v9, v79
	v_add_f32_e32 v11, v11, v27
	s_set_vgpr_msb 1                        ;  msbs: dst=0 src0=1 src1=0 src2=0
	v_fmac_f32_e32 v83, v61 /*v317*/, v196
	v_dual_fma_f32 v15, v60 /*v316*/, v196, -v15 :: v_dual_fmac_f32 v85, v63 /*v319*/, v198
	s_set_vgpr_msb 0                        ;  msbs: dst=0 src0=0 src1=0 src2=0
	v_add_f32_e32 v9, v9, v81
	v_add_f32_e32 v11, v11, v13
	s_set_vgpr_msb 1                        ;  msbs: dst=0 src0=1 src1=0 src2=0
	v_dual_mul_f32 v87, v64 /*v320*/, v201 :: v_dual_mul_f32 v89, v66 /*v322*/, v203
	v_fma_f32 v17, v62 /*v318*/, v198, -v17
	s_set_vgpr_msb 0                        ;  msbs: dst=0 src0=0 src1=0 src2=0
	v_add_f32_e32 v9, v9, v83
	v_add_f32_e32 v11, v11, v15
	s_set_vgpr_msb 1                        ;  msbs: dst=0 src0=1 src1=0 src2=0
	v_fmac_f32_e32 v87, v65 /*v321*/, v200
	v_dual_fma_f32 v15, v64 /*v320*/, v200, -v19 :: v_dual_fmac_f32 v89, v67 /*v323*/, v202
	s_set_vgpr_msb 0                        ;  msbs: dst=0 src0=0 src1=0 src2=0
	v_add_f32_e32 v9, v9, v85
	v_add_f32_e32 v11, v11, v17
	s_set_vgpr_msb 1                        ;  msbs: dst=0 src0=1 src1=0 src2=0
	v_dual_fma_f32 v17, v66 /*v322*/, v202, -v21 :: v_dual_fmac_f32 v95, v69 /*v325*/, v204
	s_set_vgpr_msb 0                        ;  msbs: dst=0 src0=0 src1=0 src2=0
	v_dual_mul_f32 v97, v242, v207 :: v_dual_mul_f32 v127, v244, v209
	v_add_f32_e32 v9, v9, v87
	s_wait_loadcnt 0x4
	v_dual_add_f32 v11, v11, v15 :: v_dual_mov_b32 v132, v217
	v_dual_mul_f32 v25, v243, v207 :: v_dual_mul_f32 v27, v245, v209
	s_set_vgpr_msb 1                        ;  msbs: dst=0 src0=1 src1=0 src2=0
	v_fma_f32 v15, v68 /*v324*/, v204, -v23
	s_set_vgpr_msb 0                        ;  msbs: dst=0 src0=0 src1=0 src2=0
	v_dual_add_f32 v9, v9, v89 :: v_dual_fmac_f32 v97, v243, v206
	v_dual_add_f32 v11, v11, v17 :: v_dual_fma_f32 v17, v242, v206, -v25
	v_dual_mul_f32 v13, v247, v211 :: v_dual_mov_b32 v128, v213
	s_delay_alu instid0(VALU_DEP_3) | instskip(NEXT) | instid1(VALU_DEP_3)
	v_dual_add_f32 v9, v9, v95 :: v_dual_fma_f32 v126, v244, v208, -v27
	v_dual_add_f32 v11, v11, v15 :: v_dual_fmac_f32 v127, v245, v208
	s_set_vgpr_msb 1                        ;  msbs: dst=0 src0=1 src1=0 src2=0
	s_delay_alu instid0(VALU_DEP_3)
	v_pk_mul_f32 v[136:137], v[76:77] /*v[332:333]*/, v[128:129] op_sel_hi:[1,0]
	s_set_vgpr_msb 0                        ;  msbs: dst=0 src0=0 src1=0 src2=0
	v_dual_add_f32 v139, v9, v97 :: v_dual_fmac_f32 v129, v247, v210
	s_wait_loadcnt 0x3
	v_dual_add_f32 v138, v11, v17 :: v_dual_mov_b32 v140, v221
	s_set_vgpr_msb 1                        ;  msbs: dst=0 src0=1 src1=0 src2=0
	v_pk_mul_f32 v[130:131], v[2:3] /*v[258:259]*/, v[214:215] op_sel:[1,1] op_sel_hi:[0,1]
	s_set_vgpr_msb 0                        ;  msbs: dst=0 src0=0 src1=0 src2=0
	v_pk_fma_f32 v[142:143], v[248:249], v[212:213], v[136:137] op_sel_hi:[1,0,1]
	v_fma_f32 v128, v246, v210, -v13
	v_pk_add_f32 v[126:127], v[138:139], v[126:127]
	v_pk_fma_f32 v[136:137], v[248:249], v[212:213], v[136:137] neg_lo:[0,0,1] neg_hi:[0,0,1]
	s_set_vgpr_msb 1                        ;  msbs: dst=0 src0=1 src1=0 src2=0
	v_pk_fma_f32 v[138:139], v[2:3] /*v[258:259]*/, v[214:215], v[130:131] op_sel_hi:[1,0,1]
	v_pk_mul_f32 v[132:133], v[78:79] /*v[334:335]*/, v[132:133] op_sel_hi:[1,0]
	s_set_vgpr_msb 0                        ;  msbs: dst=0 src0=0 src1=0 src2=0
	v_mov_b32_e32 v137, v143
	v_pk_add_f32 v[126:127], v[126:127], v[128:129]
	s_set_vgpr_msb 1                        ;  msbs: dst=0 src0=1 src1=0 src2=0
	v_pk_fma_f32 v[130:131], v[2:3] /*v[258:259]*/, v[214:215], v[130:131] neg_lo:[0,0,1] neg_hi:[0,0,1]
	v_pk_mul_f32 v[134:135], v[6:7] /*v[262:263]*/, v[218:219] op_sel:[1,1] op_sel_hi:[0,1]
	s_set_vgpr_msb 0                        ;  msbs: dst=0 src0=0 src1=0 src2=0
	v_mov_b32_e32 v131, v139
	s_set_vgpr_msb 1                        ;  msbs: dst=0 src0=1 src1=0 src2=0
	v_pk_fma_f32 v[138:139], v[4:5] /*v[260:261]*/, v[216:217], v[132:133] op_sel_hi:[1,0,1]
	s_set_vgpr_msb 0                        ;  msbs: dst=0 src0=0 src1=0 src2=0
	v_pk_add_f32 v[126:127], v[126:127], v[136:137]
	s_set_vgpr_msb 1                        ;  msbs: dst=0 src0=1 src1=0 src2=0
	v_pk_fma_f32 v[132:133], v[4:5] /*v[260:261]*/, v[216:217], v[132:133] neg_lo:[0,0,1] neg_hi:[0,0,1]
	v_pk_fma_f32 v[136:137], v[6:7] /*v[262:263]*/, v[218:219], v[134:135] op_sel_hi:[1,0,1]
	v_pk_mul_f32 v[140:141], v[80:81] /*v[336:337]*/, v[140:141] op_sel_hi:[1,0]
	s_set_vgpr_msb 0                        ;  msbs: dst=0 src0=0 src1=0 src2=0
	v_mov_b32_e32 v133, v139
	v_pk_add_f32 v[126:127], v[126:127], v[130:131]
	s_set_vgpr_msb 1                        ;  msbs: dst=0 src0=1 src1=0 src2=0
	v_pk_fma_f32 v[134:135], v[6:7] /*v[262:263]*/, v[218:219], v[134:135] neg_lo:[0,0,1] neg_hi:[0,0,1]
	s_wait_loadcnt 0x2
	v_pk_mul_f32 v[128:129], v[18:19] /*v[274:275]*/, v[222:223] op_sel:[1,1] op_sel_hi:[0,1]
	s_set_vgpr_msb 0                        ;  msbs: dst=0 src0=0 src1=0 src2=0
	v_dual_mov_b32 v130, v225 :: v_dual_mov_b32 v135, v137
	s_set_vgpr_msb 1                        ;  msbs: dst=0 src0=1 src1=0 src2=0
	v_pk_fma_f32 v[136:137], v[8:9] /*v[264:265]*/, v[220:221], v[140:141] op_sel_hi:[1,0,1]
	s_set_vgpr_msb 0                        ;  msbs: dst=0 src0=0 src1=0 src2=0
	v_pk_add_f32 v[126:127], v[126:127], v[132:133]
	s_set_vgpr_msb 1                        ;  msbs: dst=0 src0=1 src1=0 src2=0
	v_pk_fma_f32 v[138:139], v[8:9] /*v[264:265]*/, v[220:221], v[140:141] neg_lo:[0,0,1] neg_hi:[0,0,1]
	v_pk_fma_f32 v[132:133], v[18:19] /*v[274:275]*/, v[222:223], v[128:129] op_sel_hi:[1,0,1]
	v_pk_mul_f32 v[130:131], v[82:83] /*v[338:339]*/, v[130:131] op_sel_hi:[1,0]
	s_set_vgpr_msb 0                        ;  msbs: dst=0 src0=0 src1=0 src2=0
	v_mov_b32_e32 v139, v137
	v_pk_add_f32 v[126:127], v[126:127], v[134:135]
	s_set_vgpr_msb 1                        ;  msbs: dst=0 src0=1 src1=0 src2=0
	v_pk_fma_f32 v[128:129], v[18:19] /*v[274:275]*/, v[222:223], v[128:129] neg_lo:[0,0,1] neg_hi:[0,0,1]
	s_set_vgpr_msb 0                        ;  msbs: dst=0 src0=0 src1=0 src2=0
	v_mov_b32_e32 v129, v133
	s_set_vgpr_msb 1                        ;  msbs: dst=0 src0=1 src1=0 src2=0
	v_pk_fma_f32 v[132:133], v[20:21] /*v[276:277]*/, v[224:225], v[130:131] op_sel_hi:[1,0,1]
	s_wait_loadcnt_dscnt 0x100
	s_set_vgpr_msb 5                        ;  msbs: dst=0 src0=1 src1=1 src2=0
	v_pk_mul_f32 v[134:135], v[74:75] /*v[330:331]*/, v[70:71] /*v[326:327]*/ op_sel:[1,1] op_sel_hi:[0,1]
	s_set_vgpr_msb 0                        ;  msbs: dst=0 src0=0 src1=0 src2=0
	v_pk_add_f32 v[126:127], v[126:127], v[138:139]
	s_set_vgpr_msb 1                        ;  msbs: dst=0 src0=1 src1=0 src2=0
	v_pk_fma_f32 v[130:131], v[20:21] /*v[276:277]*/, v[224:225], v[130:131] neg_lo:[0,0,1] neg_hi:[0,0,1]
	s_set_vgpr_msb 0                        ;  msbs: dst=0 src0=0 src1=0 src2=0
	s_delay_alu instid0(VALU_DEP_2)
	v_pk_add_f32 v[126:127], v[126:127], v[128:129]
	s_set_vgpr_msb 5                        ;  msbs: dst=0 src0=1 src1=1 src2=0
	v_pk_fma_f32 v[128:129], v[74:75] /*v[330:331]*/, v[70:71] /*v[326:327]*/, v[134:135] op_sel_hi:[1,0,1]
	s_set_vgpr_msb 0                        ;  msbs: dst=0 src0=0 src1=0 src2=0
	v_mov_b32_e32 v131, v133
	s_set_vgpr_msb 5                        ;  msbs: dst=0 src0=1 src1=1 src2=0
	v_pk_fma_f32 v[132:133], v[74:75] /*v[330:331]*/, v[70:71] /*v[326:327]*/, v[134:135] neg_lo:[0,0,1] neg_hi:[0,0,1]
	s_set_vgpr_msb 0                        ;  msbs: dst=0 src0=0 src1=0 src2=0
	v_mov_b32_e32 v133, v129
	v_pk_add_f32 v[126:127], v[126:127], v[130:131]
	s_delay_alu instid0(VALU_DEP_1) | instskip(SKIP_2) | instid1(VALU_DEP_1)
	v_pk_add_f32 v[126:127], v[126:127], v[132:133]
	s_wait_loadcnt 0x0
	s_set_vgpr_msb 1                        ;  msbs: dst=0 src0=1 src1=0 src2=0
	v_pk_add_f32 v[126:127], v[72:73] /*v[328:329]*/, v[126:127] neg_lo:[0,1] neg_hi:[0,1]
	scratch_store_b64 off, v[126:127], off offset:80
	s_wait_xcnt 0x0
	v_cmpx_lt_u32_e32 9, v0
	s_set_vgpr_msb 0                        ;  msbs: dst=0 src0=0 src1=0 src2=0
	s_cbranch_execz .LBB125_367
; %bb.366:
	scratch_load_b64 v[126:127], off, off offset:72
	v_mov_b64_e32 v[128:129], 0
	scratch_store_b64 off, v[128:129], off offset:72
	s_wait_loadcnt 0x0
	ds_store_b64 v1, v[126:127]
.LBB125_367:
	s_wait_xcnt 0x0
	s_or_b32 exec_lo, exec_lo, s0
	s_wait_storecnt_dscnt 0x0
	s_barrier_signal -1
	s_barrier_wait -1
	s_clause 0x18
	scratch_load_b128 v[126:129], off, off offset:80
	scratch_load_b128 v[130:133], off, off offset:96
	;; [unrolled: 1-line block ×25, first 2 shown]
	ds_load_b128 v[226:229], v7 offset:576
	ds_load_b128 v[230:233], v7 offset:592
	scratch_load_b128 v[234:237], off, off offset:480
	ds_load_b128 v[238:241], v7 offset:608
	ds_load_b128 v[242:245], v7 offset:624
	;; [unrolled: 1-line block ×5, first 2 shown]
	s_set_vgpr_msb 64                       ;  msbs: dst=1 src0=0 src1=0 src2=0
	ds_load_b128 v[2:5] /*v[258:261]*/, v7 offset:672
	ds_load_b128 v[6:9] /*v[262:265]*/, v7 offset:688
	;; [unrolled: 1-line block ×19, first 2 shown]
	scratch_load_b64 v[78:79] /*v[334:335]*/, off, off offset:72
	s_wait_dscnt 0x13
	s_set_vgpr_msb 0x41                     ;  msbs: dst=1 src0=1 src1=0 src2=0
	v_dual_mov_b32 v80 /*v336*/, v1 /*v257*/ :: v_dual_mov_b32 v81 /*v337*/, v0 /*v256*/
	s_wait_dscnt 0x10
	v_dual_mov_b32 v82 /*v338*/, v13 /*v269*/ :: v_dual_mov_b32 v83 /*v339*/, v12 /*v268*/
	s_wait_dscnt 0xf
	;; [unrolled: 2-line block ×3, first 2 shown]
	v_dual_mov_b32 v86 /*v342*/, v29 /*v285*/ :: v_dual_mov_b32 v87 /*v343*/, v28 /*v284*/
	s_mov_b32 s0, exec_lo
	s_wait_loadcnt 0x1a
	s_set_vgpr_msb 0                        ;  msbs: dst=0 src0=0 src1=0 src2=0
	v_dual_mul_f32 v7, v226, v127 :: v_dual_mul_f32 v9, v228, v129
	v_dual_mul_f32 v91, v227, v127 :: v_dual_mul_f32 v93, v229, v129
	s_wait_loadcnt 0x19
	v_dual_mul_f32 v11, v230, v131 :: v_dual_mul_f32 v13, v232, v133
	s_delay_alu instid0(VALU_DEP_3) | instskip(SKIP_3) | instid1(VALU_DEP_3)
	v_dual_fmac_f32 v7, v227, v126 :: v_dual_fmac_f32 v9, v229, v128
	s_wait_loadcnt 0x17
	v_dual_fma_f32 v91, v226, v126, -v91 :: v_dual_mul_f32 v103, v243, v139
	v_dual_mul_f32 v95, v231, v131 :: v_dual_mul_f32 v97, v233, v133
	v_dual_fma_f32 v93, v228, v128, -v93 :: v_dual_add_f32 v7, 0, v7
	s_delay_alu instid0(VALU_DEP_3) | instskip(SKIP_1) | instid1(VALU_DEP_3)
	v_dual_add_f32 v91, 0, v91 :: v_dual_mul_f32 v105, v245, v141
	v_dual_fmac_f32 v11, v231, v130 :: v_dual_fmac_f32 v13, v233, v132
	v_dual_fma_f32 v95, v230, v130, -v95 :: v_dual_add_f32 v7, v7, v9
	s_delay_alu instid0(VALU_DEP_3) | instskip(SKIP_2) | instid1(VALU_DEP_4)
	v_dual_add_f32 v9, v91, v93 :: v_dual_fma_f32 v93, v232, v132, -v97
	v_dual_mul_f32 v15, v238, v135 :: v_dual_mul_f32 v17, v240, v137
	v_dual_mul_f32 v99, v239, v135 :: v_dual_mul_f32 v101, v241, v137
	v_add_f32_e32 v7, v7, v11
	s_delay_alu instid0(VALU_DEP_3) | instskip(NEXT) | instid1(VALU_DEP_3)
	v_dual_add_f32 v9, v9, v95 :: v_dual_fmac_f32 v15, v239, v134
	v_fma_f32 v95, v238, v134, -v99
	v_dual_mul_f32 v19, v242, v139 :: v_dual_mul_f32 v21, v244, v141
	s_delay_alu instid0(VALU_DEP_4) | instskip(SKIP_2) | instid1(VALU_DEP_2)
	v_dual_add_f32 v7, v7, v13 :: v_dual_fmac_f32 v17, v241, v136
	s_wait_loadcnt 0x15
	v_dual_add_f32 v9, v9, v93 :: v_dual_mul_f32 v13, v251, v147
	v_dual_fma_f32 v93, v240, v136, -v101 :: v_dual_add_f32 v7, v7, v15
	v_mul_f32_e32 v15, v253, v149
	s_delay_alu instid0(VALU_DEP_3) | instskip(NEXT) | instid1(VALU_DEP_3)
	v_dual_add_f32 v9, v9, v95 :: v_dual_fmac_f32 v19, v243, v138
	v_dual_fma_f32 v95, v242, v138, -v103 :: v_dual_add_f32 v7, v7, v17
	v_fmac_f32_e32 v21, v245, v140
	s_delay_alu instid0(VALU_DEP_3) | instskip(SKIP_3) | instid1(VALU_DEP_3)
	v_dual_add_f32 v9, v9, v93 :: v_dual_fma_f32 v93, v244, v140, -v105
	v_dual_mul_f32 v23, v246, v143 :: v_dual_mul_f32 v25, v248, v145
	v_dual_mul_f32 v91, v247, v143 :: v_dual_mul_f32 v11, v249, v145
	v_add_f32_e32 v7, v7, v19
	v_dual_add_f32 v9, v9, v95 :: v_dual_fmac_f32 v23, v247, v142
	s_delay_alu instid0(VALU_DEP_3) | instskip(SKIP_1) | instid1(VALU_DEP_4)
	v_fma_f32 v91, v246, v142, -v91
	v_dual_mul_f32 v27, v250, v147 :: v_dual_mul_f32 v29, v252, v149
	v_dual_add_f32 v7, v7, v21 :: v_dual_fmac_f32 v25, v249, v144
	s_delay_alu instid0(VALU_DEP_4) | instskip(NEXT) | instid1(VALU_DEP_3)
	v_dual_add_f32 v9, v9, v93 :: v_dual_fma_f32 v11, v248, v144, -v11
	v_fmac_f32_e32 v27, v251, v146
	s_delay_alu instid0(VALU_DEP_3) | instskip(NEXT) | instid1(VALU_DEP_3)
	v_dual_add_f32 v7, v7, v23 :: v_dual_fma_f32 v13, v250, v146, -v13
	v_add_f32_e32 v9, v9, v91
	s_wait_loadcnt 0x14
	s_set_vgpr_msb 1                        ;  msbs: dst=0 src0=1 src1=0 src2=0
	v_dual_mul_f32 v31, v2 /*v258*/, v151 :: v_dual_mul_f32 v33, v4 /*v260*/, v153
	s_set_vgpr_msb 0                        ;  msbs: dst=0 src0=0 src1=0 src2=0
	v_add_f32_e32 v7, v7, v25
	s_set_vgpr_msb 1                        ;  msbs: dst=0 src0=1 src1=0 src2=0
	v_dual_mul_f32 v17, v3 /*v259*/, v151 :: v_dual_mul_f32 v19, v5 /*v261*/, v153
	s_set_vgpr_msb 0                        ;  msbs: dst=0 src0=0 src1=0 src2=0
	v_add_f32_e32 v9, v9, v11
	v_dual_fmac_f32 v29, v253, v148 :: v_dual_fma_f32 v15, v252, v148, -v15
	v_add_f32_e32 v7, v7, v27
	s_set_vgpr_msb 1                        ;  msbs: dst=0 src0=1 src1=0 src2=0
	v_dual_fmac_f32 v31, v3 /*v259*/, v150 :: v_dual_fma_f32 v17, v2 /*v258*/, v150, -v17
	s_set_vgpr_msb 0                        ;  msbs: dst=0 src0=0 src1=0 src2=0
	v_add_f32_e32 v9, v9, v13
	s_wait_loadcnt 0x13
	s_set_vgpr_msb 1                        ;  msbs: dst=0 src0=1 src1=0 src2=0
	v_dual_mul_f32 v35, v6 /*v262*/, v155 :: v_dual_mul_f32 v37, v8 /*v264*/, v157
	s_set_vgpr_msb 0                        ;  msbs: dst=0 src0=0 src1=0 src2=0
	v_add_f32_e32 v7, v7, v29
	s_set_vgpr_msb 1                        ;  msbs: dst=0 src0=1 src1=0 src2=0
	v_dual_mul_f32 v21, v7 /*v263*/, v155 :: v_dual_mul_f32 v23, v9 /*v265*/, v157
	s_set_vgpr_msb 0                        ;  msbs: dst=0 src0=0 src1=0 src2=0
	v_add_f32_e32 v9, v9, v15
	s_wait_loadcnt 0x11
	s_set_vgpr_msb 1                        ;  msbs: dst=0 src0=1 src1=0 src2=0
	v_dual_mul_f32 v15, v23 /*v279*/, v163 :: v_dual_fmac_f32 v33, v5 /*v261*/, v152
	v_fma_f32 v19, v4 /*v260*/, v152, -v19
	s_set_vgpr_msb 0                        ;  msbs: dst=0 src0=0 src1=0 src2=0
	v_dual_add_f32 v7, v7, v31 :: v_dual_add_f32 v9, v9, v17
	s_set_vgpr_msb 1                        ;  msbs: dst=0 src0=1 src1=0 src2=0
	v_dual_mul_f32 v17, v25 /*v281*/, v165 :: v_dual_fmac_f32 v35, v7 /*v263*/, v154
	v_fma_f32 v21, v6 /*v262*/, v154, -v21
	s_set_vgpr_msb 0                        ;  msbs: dst=0 src0=0 src1=0 src2=0
	v_dual_add_f32 v7, v7, v33 :: v_dual_add_f32 v9, v9, v19
	s_set_vgpr_msb 1                        ;  msbs: dst=0 src0=1 src1=0 src2=0
	v_dual_mul_f32 v11, v19 /*v275*/, v159 :: v_dual_mul_f32 v13, v21 /*v277*/, v161
	s_wait_loadcnt_dscnt 0x100b
	v_dual_mul_f32 v19, v31 /*v287*/, v167 :: v_dual_fmac_f32 v37, v9 /*v265*/, v156
	v_fma_f32 v23, v8 /*v264*/, v156, -v23
	s_set_vgpr_msb 0                        ;  msbs: dst=0 src0=0 src1=0 src2=0
	v_dual_add_f32 v7, v7, v35 :: v_dual_add_f32 v9, v9, v21
	s_set_vgpr_msb 1                        ;  msbs: dst=0 src0=1 src1=0 src2=0
	v_dual_mul_f32 v39, v18 /*v274*/, v159 :: v_dual_mul_f32 v41, v20 /*v276*/, v161
	v_dual_mul_f32 v21, v33 /*v289*/, v169 :: v_dual_fma_f32 v11, v18 /*v274*/, v158, -v11
	s_set_vgpr_msb 0                        ;  msbs: dst=0 src0=0 src1=0 src2=0
	v_dual_add_f32 v7, v7, v37 :: v_dual_add_f32 v9, v9, v23
	s_set_vgpr_msb 1                        ;  msbs: dst=0 src0=1 src1=0 src2=0
	v_dual_fmac_f32 v39, v19 /*v275*/, v158 :: v_dual_fmac_f32 v41, v21 /*v277*/, v160
	s_wait_loadcnt_dscnt 0xf0a
	v_dual_mul_f32 v23, v35 /*v291*/, v171 :: v_dual_fma_f32 v13, v20 /*v276*/, v160, -v13
	s_set_vgpr_msb 0                        ;  msbs: dst=0 src0=0 src1=0 src2=0
	v_add_f32_e32 v9, v9, v11
	s_set_vgpr_msb 1                        ;  msbs: dst=0 src0=1 src1=0 src2=0
	v_dual_mul_f32 v43, v22 /*v278*/, v163 :: v_dual_mul_f32 v45, v24 /*v280*/, v165
	v_mul_f32_e32 v11, v37 /*v293*/, v173
	s_set_vgpr_msb 0                        ;  msbs: dst=0 src0=0 src1=0 src2=0
	v_dual_add_f32 v7, v7, v39 :: v_dual_add_f32 v9, v9, v13
	s_wait_loadcnt_dscnt 0xe09
	s_set_vgpr_msb 1                        ;  msbs: dst=0 src0=1 src1=0 src2=0
	v_dual_fma_f32 v15, v22 /*v278*/, v162, -v15 :: v_dual_mul_f32 v13, v39 /*v295*/, v175
	v_dual_fmac_f32 v43, v23 /*v279*/, v162 :: v_dual_fmac_f32 v45, v25 /*v281*/, v164
	s_set_vgpr_msb 0                        ;  msbs: dst=0 src0=0 src1=0 src2=0
	v_add_f32_e32 v7, v7, v41
	s_set_vgpr_msb 1                        ;  msbs: dst=0 src0=1 src1=0 src2=0
	v_fma_f32 v17, v24 /*v280*/, v164, -v17
	s_set_vgpr_msb 0                        ;  msbs: dst=0 src0=0 src1=0 src2=0
	v_add_f32_e32 v9, v9, v15
	s_set_vgpr_msb 1                        ;  msbs: dst=0 src0=1 src1=0 src2=0
	v_dual_mul_f32 v47, v30 /*v286*/, v167 :: v_dual_mul_f32 v49, v32 /*v288*/, v169
	v_mul_f32_e32 v15, v41 /*v297*/, v177
	s_set_vgpr_msb 0                        ;  msbs: dst=0 src0=0 src1=0 src2=0
	v_dual_add_f32 v7, v7, v43 :: v_dual_add_f32 v9, v9, v17
	s_wait_loadcnt_dscnt 0xd08
	s_set_vgpr_msb 1                        ;  msbs: dst=0 src0=1 src1=0 src2=0
	v_dual_fma_f32 v19, v30 /*v286*/, v166, -v19 :: v_dual_mul_f32 v17, v43 /*v299*/, v179
	v_dual_fmac_f32 v47, v31 /*v287*/, v166 :: v_dual_fmac_f32 v49, v33 /*v289*/, v168
	s_set_vgpr_msb 0                        ;  msbs: dst=0 src0=0 src1=0 src2=0
	v_add_f32_e32 v7, v7, v45
	s_set_vgpr_msb 1                        ;  msbs: dst=0 src0=1 src1=0 src2=0
	v_fma_f32 v21, v32 /*v288*/, v168, -v21
	s_set_vgpr_msb 0                        ;  msbs: dst=0 src0=0 src1=0 src2=0
	v_add_f32_e32 v9, v9, v19
	s_set_vgpr_msb 1                        ;  msbs: dst=0 src0=1 src1=0 src2=0
	v_dual_mul_f32 v51, v34 /*v290*/, v171 :: v_dual_mul_f32 v53, v36 /*v292*/, v173
	v_mul_f32_e32 v19, v45 /*v301*/, v181
	s_set_vgpr_msb 0                        ;  msbs: dst=0 src0=0 src1=0 src2=0
	v_dual_add_f32 v7, v7, v47 :: v_dual_add_f32 v9, v9, v21
	s_wait_loadcnt_dscnt 0xc07
	s_set_vgpr_msb 1                        ;  msbs: dst=0 src0=1 src1=0 src2=0
	v_dual_fma_f32 v23, v34 /*v290*/, v170, -v23 :: v_dual_mul_f32 v21, v47 /*v303*/, v183
	v_dual_mul_f32 v55, v38 /*v294*/, v175 :: v_dual_mul_f32 v57, v40 /*v296*/, v177
	v_dual_mul_f32 v59, v42 /*v298*/, v179 :: v_dual_mul_f32 v61, v44 /*v300*/, v181
	v_dual_fmac_f32 v51, v35 /*v291*/, v170 :: v_dual_fmac_f32 v53, v37 /*v293*/, v172
	v_fma_f32 v11, v36 /*v292*/, v172, -v11
	s_set_vgpr_msb 0                        ;  msbs: dst=0 src0=0 src1=0 src2=0
	v_dual_add_f32 v9, v9, v23 :: v_dual_add_f32 v7, v7, v49
	s_set_vgpr_msb 1                        ;  msbs: dst=0 src0=1 src1=0 src2=0
	v_dual_mul_f32 v23, v49 /*v305*/, v185 :: v_dual_fmac_f32 v55, v39 /*v295*/, v174
	v_fma_f32 v13, v38 /*v294*/, v174, -v13
	v_dual_fmac_f32 v57, v41 /*v297*/, v176 :: v_dual_fmac_f32 v59, v43 /*v299*/, v178
	s_set_vgpr_msb 0                        ;  msbs: dst=0 src0=0 src1=0 src2=0
	v_add_f32_e32 v9, v9, v11
	s_set_vgpr_msb 1                        ;  msbs: dst=0 src0=1 src1=0 src2=0
	v_dual_mul_f32 v63, v46 /*v302*/, v183 :: v_dual_mul_f32 v65, v48 /*v304*/, v185
	s_set_vgpr_msb 0                        ;  msbs: dst=0 src0=0 src1=0 src2=0
	v_add_f32_e32 v7, v7, v51
	s_wait_loadcnt_dscnt 0xb06
	s_set_vgpr_msb 1                        ;  msbs: dst=0 src0=1 src1=0 src2=0
	v_dual_mul_f32 v11, v51 /*v307*/, v187 :: v_dual_fma_f32 v15, v40 /*v296*/, v176, -v15
	s_set_vgpr_msb 0                        ;  msbs: dst=0 src0=0 src1=0 src2=0
	v_add_f32_e32 v9, v9, v13
	s_set_vgpr_msb 1                        ;  msbs: dst=0 src0=1 src1=0 src2=0
	v_dual_mul_f32 v13, v53 /*v309*/, v189 :: v_dual_fma_f32 v17, v42 /*v298*/, v178, -v17
	s_set_vgpr_msb 0                        ;  msbs: dst=0 src0=0 src1=0 src2=0
	v_add_f32_e32 v7, v7, v53
	s_set_vgpr_msb 1                        ;  msbs: dst=0 src0=1 src1=0 src2=0
	v_dual_fmac_f32 v61, v45 /*v301*/, v180 :: v_dual_fmac_f32 v63, v47 /*v303*/, v182
	s_set_vgpr_msb 0                        ;  msbs: dst=0 src0=0 src1=0 src2=0
	v_add_f32_e32 v9, v9, v15
	s_set_vgpr_msb 1                        ;  msbs: dst=0 src0=1 src1=0 src2=0
	v_dual_mul_f32 v67, v50 /*v306*/, v187 :: v_dual_mul_f32 v69, v52 /*v308*/, v189
	s_set_vgpr_msb 0                        ;  msbs: dst=0 src0=0 src1=0 src2=0
	v_add_f32_e32 v7, v7, v55
	s_wait_loadcnt_dscnt 0xa05
	s_set_vgpr_msb 1                        ;  msbs: dst=0 src0=1 src1=0 src2=0
	v_dual_mul_f32 v15, v55 /*v311*/, v191 :: v_dual_fma_f32 v19, v44 /*v300*/, v180, -v19
	s_set_vgpr_msb 0                        ;  msbs: dst=0 src0=0 src1=0 src2=0
	v_add_f32_e32 v9, v9, v17
	s_set_vgpr_msb 1                        ;  msbs: dst=0 src0=1 src1=0 src2=0
	v_dual_mul_f32 v17, v57 /*v313*/, v193 :: v_dual_fma_f32 v21, v46 /*v302*/, v182, -v21
	s_set_vgpr_msb 0                        ;  msbs: dst=0 src0=0 src1=0 src2=0
	v_add_f32_e32 v7, v7, v57
	s_set_vgpr_msb 1                        ;  msbs: dst=0 src0=1 src1=0 src2=0
	v_dual_fmac_f32 v65, v49 /*v305*/, v184 :: v_dual_fmac_f32 v67, v51 /*v307*/, v186
	s_set_vgpr_msb 0                        ;  msbs: dst=0 src0=0 src1=0 src2=0
	v_add_f32_e32 v9, v9, v19
	s_set_vgpr_msb 1                        ;  msbs: dst=0 src0=1 src1=0 src2=0
	v_dual_mul_f32 v71, v54 /*v310*/, v191 :: v_dual_mul_f32 v73, v56 /*v312*/, v193
	s_set_vgpr_msb 0                        ;  msbs: dst=0 src0=0 src1=0 src2=0
	v_add_f32_e32 v7, v7, v59
	s_wait_loadcnt_dscnt 0x904
	s_set_vgpr_msb 1                        ;  msbs: dst=0 src0=1 src1=0 src2=0
	v_dual_mul_f32 v19, v59 /*v315*/, v195 :: v_dual_fma_f32 v23, v48 /*v304*/, v184, -v23
	s_set_vgpr_msb 0                        ;  msbs: dst=0 src0=0 src1=0 src2=0
	v_add_f32_e32 v9, v9, v21
	s_set_vgpr_msb 1                        ;  msbs: dst=0 src0=1 src1=0 src2=0
	v_dual_mul_f32 v75, v58 /*v314*/, v195 :: v_dual_mul_f32 v77, v60 /*v316*/, v197
	v_dual_mul_f32 v21, v61 /*v317*/, v197 :: v_dual_fma_f32 v11, v50 /*v306*/, v186, -v11
	v_dual_fmac_f32 v69, v53 /*v309*/, v188 :: v_dual_fmac_f32 v71, v55 /*v311*/, v190
	s_set_vgpr_msb 0                        ;  msbs: dst=0 src0=0 src1=0 src2=0
	v_dual_add_f32 v9, v9, v23 :: v_dual_add_f32 v7, v7, v61
	s_wait_loadcnt_dscnt 0x803
	s_set_vgpr_msb 1                        ;  msbs: dst=0 src0=1 src1=0 src2=0
	v_dual_mul_f32 v23, v63 /*v319*/, v199 :: v_dual_fma_f32 v13, v52 /*v308*/, v188, -v13
	v_dual_fmac_f32 v73, v57 /*v313*/, v192 :: v_dual_fmac_f32 v75, v59 /*v315*/, v194
	s_set_vgpr_msb 0                        ;  msbs: dst=0 src0=0 src1=0 src2=0
	v_add_f32_e32 v9, v9, v11
	s_set_vgpr_msb 1                        ;  msbs: dst=0 src0=1 src1=0 src2=0
	v_dual_mul_f32 v79, v62 /*v318*/, v199 :: v_dual_mul_f32 v81, v64 /*v320*/, v201
	s_set_vgpr_msb 0                        ;  msbs: dst=0 src0=0 src1=0 src2=0
	v_add_f32_e32 v7, v7, v63
	s_set_vgpr_msb 1                        ;  msbs: dst=0 src0=1 src1=0 src2=0
	v_dual_mul_f32 v11, v65 /*v321*/, v201 :: v_dual_fma_f32 v15, v54 /*v310*/, v190, -v15
	s_set_vgpr_msb 0                        ;  msbs: dst=0 src0=0 src1=0 src2=0
	v_add_f32_e32 v9, v9, v13
	s_wait_loadcnt_dscnt 0x702
	s_set_vgpr_msb 1                        ;  msbs: dst=0 src0=1 src1=0 src2=0
	v_dual_mul_f32 v13, v67 /*v323*/, v203 :: v_dual_fma_f32 v17, v56 /*v312*/, v192, -v17
	s_set_vgpr_msb 0                        ;  msbs: dst=0 src0=0 src1=0 src2=0
	v_add_f32_e32 v7, v7, v65
	s_set_vgpr_msb 1                        ;  msbs: dst=0 src0=1 src1=0 src2=0
	v_dual_fmac_f32 v77, v61 /*v317*/, v196 :: v_dual_fmac_f32 v79, v63 /*v319*/, v198
	s_set_vgpr_msb 0                        ;  msbs: dst=0 src0=0 src1=0 src2=0
	v_add_f32_e32 v9, v9, v15
	s_set_vgpr_msb 1                        ;  msbs: dst=0 src0=1 src1=0 src2=0
	v_dual_mul_f32 v83, v66 /*v322*/, v203 :: v_dual_mul_f32 v85, v68 /*v324*/, v205
	s_set_vgpr_msb 0                        ;  msbs: dst=0 src0=0 src1=0 src2=0
	v_add_f32_e32 v7, v7, v67
	s_set_vgpr_msb 1                        ;  msbs: dst=0 src0=1 src1=0 src2=0
	v_dual_mul_f32 v15, v69 /*v325*/, v205 :: v_dual_fma_f32 v19, v58 /*v314*/, v194, -v19
	s_set_vgpr_msb 0                        ;  msbs: dst=0 src0=0 src1=0 src2=0
	v_add_f32_e32 v9, v9, v17
	s_wait_loadcnt_dscnt 0x601
	s_set_vgpr_msb 1                        ;  msbs: dst=0 src0=1 src1=0 src2=0
	v_dual_mul_f32 v17, v71 /*v327*/, v207 :: v_dual_fma_f32 v21, v60 /*v316*/, v196, -v21
	s_set_vgpr_msb 0                        ;  msbs: dst=0 src0=0 src1=0 src2=0
	v_add_f32_e32 v7, v7, v69
	s_set_vgpr_msb 1                        ;  msbs: dst=0 src0=1 src1=0 src2=0
	v_dual_fmac_f32 v81, v65 /*v321*/, v200 :: v_dual_fmac_f32 v83, v67 /*v323*/, v202
	s_set_vgpr_msb 0                        ;  msbs: dst=0 src0=0 src1=0 src2=0
	v_add_f32_e32 v9, v9, v19
	s_set_vgpr_msb 1                        ;  msbs: dst=0 src0=1 src1=0 src2=0
	v_dual_mul_f32 v19, v73 /*v329*/, v209 :: v_dual_fma_f32 v23, v62 /*v318*/, v198, -v23
	s_set_vgpr_msb 0                        ;  msbs: dst=0 src0=0 src1=0 src2=0
	v_add_f32_e32 v7, v7, v71
	s_set_vgpr_msb 1                        ;  msbs: dst=0 src0=1 src1=0 src2=0
	v_dual_mul_f32 v87, v70 /*v326*/, v207 :: v_dual_mul_f32 v89, v72 /*v328*/, v209
	s_set_vgpr_msb 0                        ;  msbs: dst=0 src0=0 src1=0 src2=0
	v_add_f32_e32 v9, v9, v21
	s_wait_loadcnt_dscnt 0x500
	s_set_vgpr_msb 1                        ;  msbs: dst=0 src0=1 src1=0 src2=0
	v_dual_mul_f32 v21, v75 /*v331*/, v211 :: v_dual_fma_f32 v11, v64 /*v320*/, v200, -v11
	s_set_vgpr_msb 0                        ;  msbs: dst=0 src0=0 src1=0 src2=0
	v_add_f32_e32 v7, v7, v73
	s_set_vgpr_msb 1                        ;  msbs: dst=0 src0=1 src1=0 src2=0
	v_fmac_f32_e32 v85, v69 /*v325*/, v204
	s_set_vgpr_msb 0                        ;  msbs: dst=0 src0=0 src1=0 src2=0
	v_add_f32_e32 v9, v9, v23
	s_set_vgpr_msb 1                        ;  msbs: dst=0 src0=1 src1=0 src2=0
	v_dual_mul_f32 v23, v77 /*v333*/, v213 :: v_dual_fma_f32 v13, v66 /*v322*/, v202, -v13
	v_fmac_f32_e32 v89, v73 /*v329*/, v208
	s_wait_loadcnt 0x4
	s_set_vgpr_msb 0                        ;  msbs: dst=0 src0=0 src1=0 src2=0
	v_mov_b32_e32 v128, v217
	v_add_f32_e32 v9, v9, v11
	v_add_f32_e32 v7, v7, v75
	s_set_vgpr_msb 1                        ;  msbs: dst=0 src0=1 src1=0 src2=0
	v_fma_f32 v11, v68 /*v324*/, v204, -v15
	v_fmac_f32_e32 v87, v71 /*v327*/, v206
	s_set_vgpr_msb 0x41                     ;  msbs: dst=1 src0=1 src1=0 src2=0
	v_dual_mul_f32 v89 /*v345*/, v74 /*v330*/, v211 :: v_dual_mul_f32 v91 /*v347*/, v76 /*v332*/, v213
	s_set_vgpr_msb 0                        ;  msbs: dst=0 src0=0 src1=0 src2=0
	v_add_f32_e32 v9, v9, v13
	v_add_f32_e32 v7, v7, v77
	s_set_vgpr_msb 1                        ;  msbs: dst=0 src0=1 src1=0 src2=0
	v_fma_f32 v13, v70 /*v326*/, v206, -v17
	s_set_vgpr_msb 0                        ;  msbs: dst=0 src0=0 src1=0 src2=0
	v_pk_mul_f32 v[126:127], v[254:255], v[214:215] op_sel:[1,1] op_sel_hi:[0,1]
	s_wait_loadcnt 0x3
	v_mov_b32_e32 v132, v221
	v_add_f32_e32 v9, v9, v11
	v_add_f32_e32 v7, v7, v79
	s_set_vgpr_msb 1                        ;  msbs: dst=0 src0=1 src1=0 src2=0
	v_fma_f32 v11, v72 /*v328*/, v208, -v19
	s_set_vgpr_msb 0x41                     ;  msbs: dst=1 src0=1 src1=0 src2=0
	v_dual_fmac_f32 v89 /*v345*/, v75 /*v331*/, v210 :: v_dual_fmac_f32 v91 /*v347*/, v77 /*v333*/, v212
	s_set_vgpr_msb 0                        ;  msbs: dst=0 src0=0 src1=0 src2=0
	v_add_f32_e32 v9, v9, v13
	v_add_f32_e32 v7, v7, v81
	s_set_vgpr_msb 0x41                     ;  msbs: dst=1 src0=1 src1=0 src2=0
	v_dual_fma_f32 v88 /*v344*/, v74 /*v330*/, v210, -v21 :: v_dual_fma_f32 v90 /*v346*/, v76 /*v332*/, v212, -v23
	s_set_vgpr_msb 0                        ;  msbs: dst=0 src0=0 src1=0 src2=0
	v_pk_fma_f32 v[136:137], v[254:255], v[214:215], v[126:127] op_sel_hi:[1,0,1]
	v_add_f32_e32 v134, v9, v11
	v_add_f32_e32 v7, v7, v83
	s_set_vgpr_msb 1                        ;  msbs: dst=0 src0=1 src1=0 src2=0
	v_pk_mul_f32 v[128:129], v[80:81] /*v[336:337]*/, v[128:129] op_sel_hi:[1,0]
	s_set_vgpr_msb 0                        ;  msbs: dst=0 src0=0 src1=0 src2=0
	v_pk_fma_f32 v[126:127], v[254:255], v[214:215], v[126:127] neg_lo:[0,0,1] neg_hi:[0,0,1]
	s_set_vgpr_msb 1                        ;  msbs: dst=0 src0=1 src1=0 src2=0
	v_pk_mul_f32 v[130:131], v[10:11] /*v[266:267]*/, v[218:219] op_sel:[1,1] op_sel_hi:[0,1]
	s_set_vgpr_msb 0                        ;  msbs: dst=0 src0=0 src1=0 src2=0
	v_dual_mov_b32 v127, v137 :: v_dual_add_f32 v7, v7, v85
	s_set_vgpr_msb 1                        ;  msbs: dst=0 src0=1 src1=0 src2=0
	v_pk_fma_f32 v[136:137], v[0:1] /*v[256:257]*/, v[216:217], v[128:129] op_sel_hi:[1,0,1]
	v_pk_fma_f32 v[128:129], v[0:1] /*v[256:257]*/, v[216:217], v[128:129] neg_lo:[0,0,1] neg_hi:[0,0,1]
	v_pk_fma_f32 v[140:141], v[10:11] /*v[266:267]*/, v[218:219], v[130:131] op_sel_hi:[1,0,1]
	v_pk_mul_f32 v[132:133], v[82:83] /*v[338:339]*/, v[132:133] op_sel_hi:[1,0]
	s_set_vgpr_msb 0                        ;  msbs: dst=0 src0=0 src1=0 src2=0
	v_dual_add_f32 v7, v7, v87 :: v_dual_mov_b32 v129, v137
	s_wait_loadcnt 0x2
	s_set_vgpr_msb 1                        ;  msbs: dst=0 src0=1 src1=0 src2=0
	v_pk_mul_f32 v[138:139], v[14:15] /*v[270:271]*/, v[222:223] op_sel:[1,1] op_sel_hi:[0,1]
	v_pk_fma_f32 v[130:131], v[10:11] /*v[266:267]*/, v[218:219], v[130:131] neg_lo:[0,0,1] neg_hi:[0,0,1]
	s_set_vgpr_msb 0                        ;  msbs: dst=0 src0=0 src1=0 src2=0
	v_dual_mov_b32 v131, v141 :: v_dual_add_f32 v135, v7, v89
	s_set_vgpr_msb 1                        ;  msbs: dst=0 src0=1 src1=0 src2=0
	v_pk_fma_f32 v[136:137], v[12:13] /*v[268:269]*/, v[220:221], v[132:133] op_sel_hi:[1,0,1]
	v_pk_fma_f32 v[132:133], v[12:13] /*v[268:269]*/, v[220:221], v[132:133] neg_lo:[0,0,1] neg_hi:[0,0,1]
	s_set_vgpr_msb 4                        ;  msbs: dst=0 src0=0 src1=1 src2=0
	v_pk_add_f32 v[134:135], v[134:135], v[88:89] /*v[344:345]*/
	s_delay_alu instid0(VALU_DEP_1) | instskip(SKIP_1) | instid1(VALU_DEP_1)
	v_pk_add_f32 v[134:135], v[134:135], v[90:91] /*v[346:347]*/
	s_set_vgpr_msb 0                        ;  msbs: dst=0 src0=0 src1=0 src2=0
	v_pk_add_f32 v[126:127], v[134:135], v[126:127]
	v_mov_b32_e32 v134, v225
	s_delay_alu instid0(VALU_DEP_2) | instskip(SKIP_2) | instid1(VALU_DEP_3)
	v_pk_add_f32 v[126:127], v[126:127], v[128:129]
	s_set_vgpr_msb 1                        ;  msbs: dst=0 src0=1 src1=0 src2=0
	v_pk_fma_f32 v[128:129], v[14:15] /*v[270:271]*/, v[222:223], v[138:139] op_sel_hi:[1,0,1]
	v_pk_mul_f32 v[134:135], v[84:85] /*v[340:341]*/, v[134:135] op_sel_hi:[1,0]
	s_set_vgpr_msb 0                        ;  msbs: dst=0 src0=0 src1=0 src2=0
	v_mov_b32_e32 v133, v137
	s_set_vgpr_msb 1                        ;  msbs: dst=0 src0=1 src1=0 src2=0
	v_pk_fma_f32 v[136:137], v[14:15] /*v[270:271]*/, v[222:223], v[138:139] neg_lo:[0,0,1] neg_hi:[0,0,1]
	s_set_vgpr_msb 0                        ;  msbs: dst=0 src0=0 src1=0 src2=0
	v_pk_add_f32 v[126:127], v[126:127], v[130:131]
	v_mov_b32_e32 v137, v129
	s_set_vgpr_msb 1                        ;  msbs: dst=0 src0=1 src1=0 src2=0
	v_pk_fma_f32 v[128:129], v[16:17] /*v[272:273]*/, v[224:225], v[134:135] op_sel_hi:[1,0,1]
	s_wait_loadcnt 0x1
	v_pk_mul_f32 v[130:131], v[26:27] /*v[282:283]*/, v[234:235] op_sel:[1,1] op_sel_hi:[0,1]
	s_set_vgpr_msb 0                        ;  msbs: dst=0 src0=0 src1=0 src2=0
	v_mov_b32_e32 v128, v237
	v_pk_add_f32 v[126:127], v[126:127], v[132:133]
	s_set_vgpr_msb 1                        ;  msbs: dst=0 src0=1 src1=0 src2=0
	v_pk_fma_f32 v[134:135], v[16:17] /*v[272:273]*/, v[224:225], v[134:135] neg_lo:[0,0,1] neg_hi:[0,0,1]
	s_set_vgpr_msb 0                        ;  msbs: dst=0 src0=0 src1=0 src2=0
	v_mov_b32_e32 v135, v129
	s_set_vgpr_msb 1                        ;  msbs: dst=0 src0=1 src1=0 src2=0
	v_pk_fma_f32 v[132:133], v[26:27] /*v[282:283]*/, v[234:235], v[130:131] op_sel_hi:[1,0,1]
	v_pk_mul_f32 v[128:129], v[86:87] /*v[342:343]*/, v[128:129] op_sel_hi:[1,0]
	s_set_vgpr_msb 0                        ;  msbs: dst=0 src0=0 src1=0 src2=0
	v_pk_add_f32 v[126:127], v[126:127], v[136:137]
	s_set_vgpr_msb 1                        ;  msbs: dst=0 src0=1 src1=0 src2=0
	v_pk_fma_f32 v[130:131], v[26:27] /*v[282:283]*/, v[234:235], v[130:131] neg_lo:[0,0,1] neg_hi:[0,0,1]
	s_set_vgpr_msb 0                        ;  msbs: dst=0 src0=0 src1=0 src2=0
	v_mov_b32_e32 v131, v133
	s_set_vgpr_msb 1                        ;  msbs: dst=0 src0=1 src1=0 src2=0
	v_pk_fma_f32 v[132:133], v[28:29] /*v[284:285]*/, v[236:237], v[128:129] op_sel_hi:[1,0,1]
	s_set_vgpr_msb 0                        ;  msbs: dst=0 src0=0 src1=0 src2=0
	v_pk_add_f32 v[126:127], v[126:127], v[134:135]
	s_set_vgpr_msb 1                        ;  msbs: dst=0 src0=1 src1=0 src2=0
	v_pk_fma_f32 v[128:129], v[28:29] /*v[284:285]*/, v[236:237], v[128:129] neg_lo:[0,0,1] neg_hi:[0,0,1]
	s_set_vgpr_msb 0                        ;  msbs: dst=0 src0=0 src1=0 src2=0
	v_mov_b32_e32 v129, v133
	v_pk_add_f32 v[126:127], v[126:127], v[130:131]
	s_delay_alu instid0(VALU_DEP_1) | instskip(SKIP_2) | instid1(VALU_DEP_1)
	v_pk_add_f32 v[126:127], v[126:127], v[128:129]
	s_wait_loadcnt 0x0
	s_set_vgpr_msb 1                        ;  msbs: dst=0 src0=1 src1=0 src2=0
	v_pk_add_f32 v[126:127], v[78:79] /*v[334:335]*/, v[126:127] neg_lo:[0,1] neg_hi:[0,1]
	scratch_store_b64 off, v[126:127], off offset:72
	s_wait_xcnt 0x0
	v_cmpx_lt_u32_e32 8, v0
	s_set_vgpr_msb 0                        ;  msbs: dst=0 src0=0 src1=0 src2=0
	s_cbranch_execz .LBB125_369
; %bb.368:
	scratch_load_b64 v[126:127], off, off offset:64
	v_mov_b64_e32 v[128:129], 0
	scratch_store_b64 off, v[128:129], off offset:64
	s_wait_loadcnt 0x0
	ds_store_b64 v1, v[126:127]
.LBB125_369:
	s_wait_xcnt 0x0
	s_or_b32 exec_lo, exec_lo, s0
	s_wait_storecnt_dscnt 0x0
	s_barrier_signal -1
	s_barrier_wait -1
	s_clause 0x1c
	scratch_load_b128 v[126:129], off, off offset:72
	scratch_load_b128 v[130:133], off, off offset:88
	;; [unrolled: 1-line block ×26, first 2 shown]
	s_set_vgpr_msb 64                       ;  msbs: dst=1 src0=0 src1=0 src2=0
	scratch_load_b64 v[78:79] /*v[334:335]*/, off, off offset:488
	scratch_load_b64 v[80:81] /*v[336:337]*/, off, off offset:64
	s_set_vgpr_msb 0                        ;  msbs: dst=0 src0=0 src1=0 src2=0
	v_mov_b32_e32 v7, 0
	ds_load_2addr_b64 v[230:233], v7 offset0:71 offset1:72
	ds_load_2addr_b64 v[234:237], v7 offset0:73 offset1:74
	;; [unrolled: 1-line block ×7, first 2 shown]
	s_set_vgpr_msb 64                       ;  msbs: dst=1 src0=0 src1=0 src2=0
	ds_load_2addr_b64 v[2:5] /*v[258:261]*/, v7 offset0:83 offset1:84
	ds_load_2addr_b64 v[6:9] /*v[262:265]*/, v7 offset0:85 offset1:86
	;; [unrolled: 1-line block ×19, first 2 shown]
	ds_load_b64 v[82:83] /*v[338:339]*/, v7 offset:984
	s_wait_dscnt 0x14
	s_set_vgpr_msb 0x41                     ;  msbs: dst=1 src0=1 src1=0 src2=0
	v_dual_mov_b32 v84 /*v340*/, v1 /*v257*/ :: v_dual_mov_b32 v85 /*v341*/, v0 /*v256*/
	s_wait_dscnt 0x11
	v_dual_mov_b32 v86 /*v342*/, v13 /*v269*/ :: v_dual_mov_b32 v87 /*v343*/, v12 /*v268*/
	s_wait_dscnt 0x10
	;; [unrolled: 2-line block ×3, first 2 shown]
	v_dual_mov_b32 v90 /*v346*/, v29 /*v285*/ :: v_dual_mov_b32 v91 /*v347*/, v28 /*v284*/
	s_mov_b32 s0, exec_lo
	s_wait_loadcnt 0x1b
	s_set_vgpr_msb 0                        ;  msbs: dst=0 src0=0 src1=0 src2=0
	v_dual_mul_f32 v9, v230, v127 :: v_dual_mul_f32 v95, v231, v127
	s_wait_loadcnt 0x1a
	v_dual_mul_f32 v11, v232, v129 :: v_dual_mul_f32 v13, v234, v131
	v_dual_mul_f32 v97, v233, v129 :: v_dual_mul_f32 v99, v235, v131
	s_wait_loadcnt 0x16
	v_dual_mul_f32 v31, v252, v149 :: v_dual_fmac_f32 v9, v231, v126
	v_dual_fma_f32 v95, v230, v126, -v95 :: v_dual_mul_f32 v109, v245, v141
	s_delay_alu instid0(VALU_DEP_3) | instskip(SKIP_1) | instid1(VALU_DEP_3)
	v_dual_fma_f32 v97, v232, v128, -v97 :: v_dual_fmac_f32 v11, v233, v128
	v_dual_mul_f32 v15, v236, v133 :: v_dual_mul_f32 v17, v238, v135
	v_dual_add_f32 v95, 0, v95 :: v_dual_mul_f32 v101, v237, v133
	v_dual_mul_f32 v103, v239, v135 :: v_dual_add_f32 v9, 0, v9
	v_dual_mul_f32 v111, v247, v143 :: v_dual_fma_f32 v99, v234, v130, -v99
	v_fmac_f32_e32 v13, v235, v130
	s_wait_loadcnt_dscnt 0x601
	s_set_vgpr_msb 1                        ;  msbs: dst=0 src0=1 src1=0 src2=0
	v_mul_f32_e32 v93, v74 /*v330*/, v211
	s_set_vgpr_msb 0                        ;  msbs: dst=0 src0=0 src1=0 src2=0
	v_dual_add_f32 v9, v9, v11 :: v_dual_add_f32 v11, v95, v97
	v_fmac_f32_e32 v15, v237, v132
	v_dual_mul_f32 v95, v249, v145 :: v_dual_fma_f32 v97, v236, v132, -v101
	s_delay_alu instid0(VALU_DEP_3) | instskip(SKIP_3) | instid1(VALU_DEP_4)
	v_dual_add_f32 v9, v9, v13 :: v_dual_add_f32 v11, v11, v99
	v_dual_mul_f32 v19, v240, v137 :: v_dual_mul_f32 v21, v242, v139
	v_dual_mul_f32 v105, v241, v137 :: v_dual_mul_f32 v107, v243, v139
	v_dual_mul_f32 v13, v251, v147 :: v_dual_fma_f32 v99, v238, v134, -v103
	v_dual_fmac_f32 v17, v239, v134 :: v_dual_add_f32 v9, v9, v15
	s_delay_alu instid0(VALU_DEP_4) | instskip(NEXT) | instid1(VALU_DEP_4)
	v_dual_add_f32 v11, v11, v97 :: v_dual_fmac_f32 v19, v241, v136
	v_dual_mul_f32 v15, v253, v149 :: v_dual_fma_f32 v97, v240, v136, -v105
	s_delay_alu instid0(VALU_DEP_2) | instskip(SKIP_2) | instid1(VALU_DEP_3)
	v_dual_add_f32 v9, v9, v17 :: v_dual_add_f32 v11, v11, v99
	v_dual_mul_f32 v23, v244, v141 :: v_dual_mul_f32 v25, v246, v143
	v_dual_fmac_f32 v21, v243, v138 :: v_dual_fma_f32 v99, v242, v138, -v107
	v_dual_add_f32 v9, v9, v19 :: v_dual_add_f32 v11, v11, v97
	s_delay_alu instid0(VALU_DEP_3) | instskip(SKIP_1) | instid1(VALU_DEP_3)
	v_dual_fmac_f32 v23, v245, v140 :: v_dual_fma_f32 v97, v244, v140, -v109
	v_dual_mul_f32 v27, v248, v145 :: v_dual_mul_f32 v29, v250, v147
	v_dual_add_f32 v9, v9, v21 :: v_dual_add_f32 v11, v11, v99
	v_dual_fmac_f32 v25, v247, v142 :: v_dual_fma_f32 v99, v246, v142, -v111
	s_set_vgpr_msb 1                        ;  msbs: dst=0 src0=1 src1=0 src2=0
	v_dual_mul_f32 v33, v2 /*v258*/, v151 :: v_dual_mul_f32 v35, v4 /*v260*/, v153
	s_set_vgpr_msb 0                        ;  msbs: dst=0 src0=0 src1=0 src2=0
	v_dual_add_f32 v9, v9, v23 :: v_dual_add_f32 v11, v11, v97
	v_fmac_f32_e32 v27, v249, v144
	v_fma_f32 v95, v248, v144, -v95
	s_set_vgpr_msb 1                        ;  msbs: dst=0 src0=1 src1=0 src2=0
	v_dual_mul_f32 v17, v3 /*v259*/, v151 :: v_dual_mul_f32 v19, v5 /*v261*/, v153
	s_set_vgpr_msb 0                        ;  msbs: dst=0 src0=0 src1=0 src2=0
	v_dual_add_f32 v9, v9, v25 :: v_dual_add_f32 v11, v11, v99
	v_fmac_f32_e32 v29, v251, v146
	v_fma_f32 v13, v250, v146, -v13
	s_set_vgpr_msb 1                        ;  msbs: dst=0 src0=1 src1=0 src2=0
	v_fmac_f32_e32 v33, v3 /*v259*/, v150
	s_set_vgpr_msb 0                        ;  msbs: dst=0 src0=0 src1=0 src2=0
	v_add_f32_e32 v9, v9, v27
	v_dual_add_f32 v11, v11, v95 :: v_dual_fmac_f32 v31, v253, v148
	v_fma_f32 v15, v252, v148, -v15
	s_set_vgpr_msb 1                        ;  msbs: dst=0 src0=1 src1=0 src2=0
	v_fma_f32 v17, v2 /*v258*/, v150, -v17
	s_set_vgpr_msb 0                        ;  msbs: dst=0 src0=0 src1=0 src2=0
	v_add_f32_e32 v9, v9, v29
	v_add_f32_e32 v11, v11, v13
	s_set_vgpr_msb 1                        ;  msbs: dst=0 src0=1 src1=0 src2=0
	v_mul_f32_e32 v13, v23 /*v279*/, v163
	v_dual_mul_f32 v37, v6 /*v262*/, v155 :: v_dual_mul_f32 v39, v8 /*v264*/, v157
	v_dual_mul_f32 v21, v7 /*v263*/, v155 :: v_dual_mul_f32 v23, v9 /*v265*/, v157
	s_set_vgpr_msb 0                        ;  msbs: dst=0 src0=0 src1=0 src2=0
	v_add_f32_e32 v11, v11, v15
	v_add_f32_e32 v9, v9, v31
	s_set_vgpr_msb 1                        ;  msbs: dst=0 src0=1 src1=0 src2=0
	v_mul_f32_e32 v15, v25 /*v281*/, v165
	v_fmac_f32_e32 v35, v5 /*v261*/, v152
	v_dual_fma_f32 v19, v4 /*v260*/, v152, -v19 :: v_dual_fmac_f32 v37, v7 /*v263*/, v154
	s_set_vgpr_msb 0                        ;  msbs: dst=0 src0=0 src1=0 src2=0
	v_add_f32_e32 v11, v11, v17
	v_add_f32_e32 v9, v9, v33
	s_set_vgpr_msb 1                        ;  msbs: dst=0 src0=1 src1=0 src2=0
	v_dual_mul_f32 v17, v31 /*v287*/, v167 :: v_dual_fma_f32 v21, v6 /*v262*/, v154, -v21
	v_dual_mul_f32 v41, v18 /*v274*/, v159 :: v_dual_mul_f32 v43, v20 /*v276*/, v161
	s_set_vgpr_msb 0                        ;  msbs: dst=0 src0=0 src1=0 src2=0
	v_add_f32_e32 v11, v11, v19
	s_set_vgpr_msb 1                        ;  msbs: dst=0 src0=1 src1=0 src2=0
	v_mul_f32_e32 v19, v33 /*v289*/, v169
	s_set_vgpr_msb 0                        ;  msbs: dst=0 src0=0 src1=0 src2=0
	v_add_f32_e32 v9, v9, v35
	s_set_vgpr_msb 1                        ;  msbs: dst=0 src0=1 src1=0 src2=0
	v_dual_mul_f32 v25, v19 /*v275*/, v159 :: v_dual_mul_f32 v27, v21 /*v277*/, v161
	v_fmac_f32_e32 v39, v9 /*v265*/, v156
	v_dual_fma_f32 v23, v8 /*v264*/, v156, -v23 :: v_dual_fmac_f32 v41, v19 /*v275*/, v158
	s_set_vgpr_msb 0                        ;  msbs: dst=0 src0=0 src1=0 src2=0
	v_add_f32_e32 v11, v11, v21
	v_add_f32_e32 v9, v9, v37
	s_set_vgpr_msb 1                        ;  msbs: dst=0 src0=1 src1=0 src2=0
	v_dual_mul_f32 v21, v35 /*v291*/, v171 :: v_dual_fma_f32 v25, v18 /*v274*/, v158, -v25
	v_dual_mul_f32 v45, v22 /*v278*/, v163 :: v_dual_mul_f32 v47, v24 /*v280*/, v165
	s_set_vgpr_msb 0                        ;  msbs: dst=0 src0=0 src1=0 src2=0
	v_add_f32_e32 v11, v11, v23
	s_set_vgpr_msb 1                        ;  msbs: dst=0 src0=1 src1=0 src2=0
	v_mul_f32_e32 v23, v37 /*v293*/, v173
	s_set_vgpr_msb 0                        ;  msbs: dst=0 src0=0 src1=0 src2=0
	v_add_f32_e32 v9, v9, v39
	s_set_vgpr_msb 1                        ;  msbs: dst=0 src0=1 src1=0 src2=0
	v_fmac_f32_e32 v43, v21 /*v277*/, v160
	v_dual_fma_f32 v27, v20 /*v276*/, v160, -v27 :: v_dual_fmac_f32 v45, v23 /*v279*/, v162
	s_set_vgpr_msb 0                        ;  msbs: dst=0 src0=0 src1=0 src2=0
	v_add_f32_e32 v11, v11, v25
	v_add_f32_e32 v9, v9, v41
	s_set_vgpr_msb 1                        ;  msbs: dst=0 src0=1 src1=0 src2=0
	v_dual_mul_f32 v25, v39 /*v295*/, v175 :: v_dual_fma_f32 v13, v22 /*v278*/, v162, -v13
	v_dual_mul_f32 v49, v30 /*v286*/, v167 :: v_dual_mul_f32 v51, v32 /*v288*/, v169
	s_set_vgpr_msb 0                        ;  msbs: dst=0 src0=0 src1=0 src2=0
	v_add_f32_e32 v11, v11, v27
	s_set_vgpr_msb 1                        ;  msbs: dst=0 src0=1 src1=0 src2=0
	v_mul_f32_e32 v27, v41 /*v297*/, v177
	s_set_vgpr_msb 0                        ;  msbs: dst=0 src0=0 src1=0 src2=0
	v_add_f32_e32 v9, v9, v43
	s_set_vgpr_msb 1                        ;  msbs: dst=0 src0=1 src1=0 src2=0
	;; [unrolled: 15-line block ×11, first 2 shown]
	v_dual_fmac_f32 v83, v65 /*v321*/, v200 :: v_dual_fmac_f32 v85, v67 /*v323*/, v202
	v_dual_fma_f32 v19, v64 /*v320*/, v200, -v19 :: v_dual_fma_f32 v21, v66 /*v322*/, v202, -v21
	s_set_vgpr_msb 0                        ;  msbs: dst=0 src0=0 src1=0 src2=0
	v_add_f32_e32 v11, v11, v17
	v_add_f32_e32 v9, v9, v81
	s_set_vgpr_msb 1                        ;  msbs: dst=0 src0=1 src1=0 src2=0
	v_dual_mul_f32 v89, v70 /*v326*/, v207 :: v_dual_mul_f32 v91, v72 /*v328*/, v209
	v_fmac_f32_e32 v87, v69 /*v325*/, v204
	s_set_vgpr_msb 0                        ;  msbs: dst=0 src0=0 src1=0 src2=0
	v_add_f32_e32 v11, v11, v19
	v_add_f32_e32 v9, v9, v83
	s_set_vgpr_msb 1                        ;  msbs: dst=0 src0=1 src1=0 src2=0
	v_dual_fma_f32 v19, v68 /*v324*/, v204, -v23 :: v_dual_fmac_f32 v89, v71 /*v327*/, v206
	s_wait_loadcnt 0x4
	s_set_vgpr_msb 0                        ;  msbs: dst=0 src0=0 src1=0 src2=0
	v_dual_mov_b32 v130, v221 :: v_dual_add_f32 v11, v11, v21
	v_add_f32_e32 v9, v9, v85
	s_set_vgpr_msb 1                        ;  msbs: dst=0 src0=1 src1=0 src2=0
	v_fma_f32 v21, v70 /*v326*/, v206, -v25
	s_set_vgpr_msb 0                        ;  msbs: dst=0 src0=0 src1=0 src2=0
	v_dual_mul_f32 v17, v255, v215 :: v_dual_mov_b32 v126, v217
	v_add_f32_e32 v11, v11, v19
	v_add_f32_e32 v9, v9, v87
	s_set_vgpr_msb 1                        ;  msbs: dst=0 src0=1 src1=0 src2=0
	v_dual_fmac_f32 v91, v73 /*v329*/, v208 :: v_dual_fmac_f32 v93, v75 /*v331*/, v210
	v_dual_fma_f32 v19, v72 /*v328*/, v208, -v27 :: v_dual_fma_f32 v13, v74 /*v330*/, v210, -v13
	s_set_vgpr_msb 0                        ;  msbs: dst=0 src0=0 src1=0 src2=0
	v_add_f32_e32 v11, v11, v21
	v_add_f32_e32 v9, v9, v89
	s_set_vgpr_msb 0x41                     ;  msbs: dst=1 src0=1 src1=0 src2=0
	v_dual_mul_f32 v93 /*v349*/, v76 /*v332*/, v213 :: v_dual_fma_f32 v92 /*v348*/, v76 /*v332*/, v212, -v15
	s_set_vgpr_msb 1                        ;  msbs: dst=0 src0=1 src1=0 src2=0
	v_pk_mul_f32 v[126:127], v[84:85] /*v[340:341]*/, v[126:127] op_sel_hi:[1,0]
	s_set_vgpr_msb 0                        ;  msbs: dst=0 src0=0 src1=0 src2=0
	v_add_f32_e32 v11, v11, v19
	v_add_f32_e32 v9, v9, v91
	s_set_vgpr_msb 64                       ;  msbs: dst=1 src0=0 src1=0 src2=0
	v_dual_mul_f32 v95 /*v351*/, v254, v215 :: v_dual_fma_f32 v94 /*v350*/, v254, v214, -v17
	s_set_vgpr_msb 0x41                     ;  msbs: dst=1 src0=1 src1=0 src2=0
	v_fmac_f32_e32 v93 /*v349*/, v77 /*v333*/, v212
	s_set_vgpr_msb 0                        ;  msbs: dst=0 src0=0 src1=0 src2=0
	v_add_f32_e32 v134, v11, v13
	s_set_vgpr_msb 1                        ;  msbs: dst=0 src0=1 src1=0 src2=0
	v_pk_fma_f32 v[138:139], v[0:1] /*v[256:257]*/, v[216:217], v[126:127] op_sel_hi:[1,0,1]
	s_set_vgpr_msb 0                        ;  msbs: dst=0 src0=0 src1=0 src2=0
	v_add_f32_e32 v135, v9, v93
	s_set_vgpr_msb 1                        ;  msbs: dst=0 src0=1 src1=0 src2=0
	v_pk_fma_f32 v[126:127], v[0:1] /*v[256:257]*/, v[216:217], v[126:127] neg_lo:[0,0,1] neg_hi:[0,0,1]
	v_pk_mul_f32 v[128:129], v[10:11] /*v[266:267]*/, v[218:219] op_sel:[1,1] op_sel_hi:[0,1]
	s_set_vgpr_msb 64                       ;  msbs: dst=1 src0=0 src1=0 src2=0
	v_fmac_f32_e32 v95 /*v351*/, v255, v214
	s_set_vgpr_msb 4                        ;  msbs: dst=0 src0=0 src1=1 src2=0
	v_mov_b32_e32 v127, v139
	v_pk_add_f32 v[134:135], v[134:135], v[92:93] /*v[348:349]*/
	s_set_vgpr_msb 1                        ;  msbs: dst=0 src0=1 src1=0 src2=0
	v_pk_mul_f32 v[130:131], v[86:87] /*v[342:343]*/, v[130:131] op_sel_hi:[1,0]
	v_pk_fma_f32 v[140:141], v[10:11] /*v[266:267]*/, v[218:219], v[128:129] op_sel_hi:[1,0,1]
	v_pk_fma_f32 v[128:129], v[10:11] /*v[266:267]*/, v[218:219], v[128:129] neg_lo:[0,0,1] neg_hi:[0,0,1]
	s_wait_loadcnt 0x3
	v_pk_mul_f32 v[132:133], v[14:15] /*v[270:271]*/, v[222:223] op_sel:[1,1] op_sel_hi:[0,1]
	s_set_vgpr_msb 4                        ;  msbs: dst=0 src0=0 src1=1 src2=0
	v_pk_add_f32 v[134:135], v[134:135], v[94:95] /*v[350:351]*/
	v_dual_mov_b32 v136, v225 :: v_dual_mov_b32 v129, v141
	s_set_vgpr_msb 1                        ;  msbs: dst=0 src0=1 src1=0 src2=0
	v_pk_fma_f32 v[140:141], v[12:13] /*v[268:269]*/, v[220:221], v[130:131] op_sel_hi:[1,0,1]
	v_pk_fma_f32 v[130:131], v[12:13] /*v[268:269]*/, v[220:221], v[130:131] neg_lo:[0,0,1] neg_hi:[0,0,1]
	s_set_vgpr_msb 0                        ;  msbs: dst=0 src0=0 src1=0 src2=0
	v_pk_add_f32 v[126:127], v[134:135], v[126:127]
	s_set_vgpr_msb 1                        ;  msbs: dst=0 src0=1 src1=0 src2=0
	v_pk_fma_f32 v[134:135], v[14:15] /*v[270:271]*/, v[222:223], v[132:133] op_sel_hi:[1,0,1]
	v_pk_mul_f32 v[136:137], v[88:89] /*v[344:345]*/, v[136:137] op_sel_hi:[1,0]
	s_set_vgpr_msb 0                        ;  msbs: dst=0 src0=0 src1=0 src2=0
	v_mov_b32_e32 v131, v141
	s_set_vgpr_msb 1                        ;  msbs: dst=0 src0=1 src1=0 src2=0
	v_pk_fma_f32 v[132:133], v[14:15] /*v[270:271]*/, v[222:223], v[132:133] neg_lo:[0,0,1] neg_hi:[0,0,1]
	s_set_vgpr_msb 0                        ;  msbs: dst=0 src0=0 src1=0 src2=0
	v_pk_add_f32 v[126:127], v[126:127], v[128:129]
	s_wait_loadcnt 0x2
	s_set_vgpr_msb 1                        ;  msbs: dst=0 src0=1 src1=0 src2=0
	v_pk_mul_f32 v[138:139], v[26:27] /*v[282:283]*/, v[226:227] op_sel:[1,1] op_sel_hi:[0,1]
	s_set_vgpr_msb 0                        ;  msbs: dst=0 src0=0 src1=0 src2=0
	v_dual_mov_b32 v128, v229 :: v_dual_mov_b32 v133, v135
	s_set_vgpr_msb 1                        ;  msbs: dst=0 src0=1 src1=0 src2=0
	v_pk_fma_f32 v[134:135], v[16:17] /*v[272:273]*/, v[224:225], v[136:137] op_sel_hi:[1,0,1]
	s_set_vgpr_msb 0                        ;  msbs: dst=0 src0=0 src1=0 src2=0
	v_pk_add_f32 v[126:127], v[126:127], v[130:131]
	s_set_vgpr_msb 1                        ;  msbs: dst=0 src0=1 src1=0 src2=0
	v_pk_fma_f32 v[136:137], v[16:17] /*v[272:273]*/, v[224:225], v[136:137] neg_lo:[0,0,1] neg_hi:[0,0,1]
	v_pk_fma_f32 v[130:131], v[26:27] /*v[282:283]*/, v[226:227], v[138:139] op_sel_hi:[1,0,1]
	v_pk_mul_f32 v[128:129], v[90:91] /*v[346:347]*/, v[128:129] op_sel_hi:[1,0]
	s_set_vgpr_msb 0                        ;  msbs: dst=0 src0=0 src1=0 src2=0
	v_mov_b32_e32 v137, v135
	v_pk_add_f32 v[126:127], v[126:127], v[132:133]
	s_set_vgpr_msb 1                        ;  msbs: dst=0 src0=1 src1=0 src2=0
	v_pk_fma_f32 v[132:133], v[26:27] /*v[282:283]*/, v[226:227], v[138:139] neg_lo:[0,0,1] neg_hi:[0,0,1]
	s_set_vgpr_msb 0                        ;  msbs: dst=0 src0=0 src1=0 src2=0
	v_mov_b32_e32 v133, v131
	s_set_vgpr_msb 1                        ;  msbs: dst=0 src0=1 src1=0 src2=0
	v_pk_fma_f32 v[130:131], v[28:29] /*v[284:285]*/, v[228:229], v[128:129] op_sel_hi:[1,0,1]
	s_wait_loadcnt_dscnt 0x100
	s_set_vgpr_msb 5                        ;  msbs: dst=0 src0=1 src1=1 src2=0
	v_pk_mul_f32 v[134:135], v[82:83] /*v[338:339]*/, v[78:79] /*v[334:335]*/ op_sel:[1,1] op_sel_hi:[0,1]
	s_set_vgpr_msb 0                        ;  msbs: dst=0 src0=0 src1=0 src2=0
	v_pk_add_f32 v[126:127], v[126:127], v[136:137]
	s_set_vgpr_msb 1                        ;  msbs: dst=0 src0=1 src1=0 src2=0
	v_pk_fma_f32 v[128:129], v[28:29] /*v[284:285]*/, v[228:229], v[128:129] neg_lo:[0,0,1] neg_hi:[0,0,1]
	s_set_vgpr_msb 0                        ;  msbs: dst=0 src0=0 src1=0 src2=0
	v_mov_b32_e32 v129, v131
	s_set_vgpr_msb 5                        ;  msbs: dst=0 src0=1 src1=1 src2=0
	v_pk_fma_f32 v[130:131], v[82:83] /*v[338:339]*/, v[78:79] /*v[334:335]*/, v[134:135] op_sel_hi:[1,0,1]
	s_set_vgpr_msb 0                        ;  msbs: dst=0 src0=0 src1=0 src2=0
	v_pk_add_f32 v[126:127], v[126:127], v[132:133]
	s_set_vgpr_msb 5                        ;  msbs: dst=0 src0=1 src1=1 src2=0
	v_pk_fma_f32 v[132:133], v[82:83] /*v[338:339]*/, v[78:79] /*v[334:335]*/, v[134:135] neg_lo:[0,0,1] neg_hi:[0,0,1]
	s_set_vgpr_msb 0                        ;  msbs: dst=0 src0=0 src1=0 src2=0
	v_mov_b32_e32 v133, v131
	v_pk_add_f32 v[126:127], v[126:127], v[128:129]
	s_delay_alu instid0(VALU_DEP_1) | instskip(SKIP_2) | instid1(VALU_DEP_1)
	v_pk_add_f32 v[126:127], v[126:127], v[132:133]
	s_wait_loadcnt 0x0
	s_set_vgpr_msb 1                        ;  msbs: dst=0 src0=1 src1=0 src2=0
	v_pk_add_f32 v[126:127], v[80:81] /*v[336:337]*/, v[126:127] neg_lo:[0,1] neg_hi:[0,1]
	scratch_store_b64 off, v[126:127], off offset:64
	s_wait_xcnt 0x0
	v_cmpx_lt_u32_e32 7, v0
	s_set_vgpr_msb 0                        ;  msbs: dst=0 src0=0 src1=0 src2=0
	s_cbranch_execz .LBB125_371
; %bb.370:
	scratch_load_b64 v[126:127], off, off offset:56
	v_mov_b64_e32 v[128:129], 0
	scratch_store_b64 off, v[128:129], off offset:56
	s_wait_loadcnt 0x0
	ds_store_b64 v1, v[126:127]
.LBB125_371:
	s_wait_xcnt 0x0
	s_or_b32 exec_lo, exec_lo, s0
	s_wait_storecnt_dscnt 0x0
	s_barrier_signal -1
	s_barrier_wait -1
	ds_load_b128 v[126:129], v7 offset:560
	ds_load_b128 v[130:133], v7 offset:576
	;; [unrolled: 1-line block ×4, first 2 shown]
	s_clause 0x14
	scratch_load_b128 v[142:145], off, off offset:64
	scratch_load_b128 v[146:149], off, off offset:80
	;; [unrolled: 1-line block ×16, first 2 shown]
	s_set_vgpr_msb 64                       ;  msbs: dst=1 src0=0 src1=0 src2=0
	scratch_load_b128 v[2:5] /*v[258:261]*/, off, off offset:320
	scratch_load_b128 v[10:13] /*v[266:269]*/, off, off offset:336
	scratch_load_b128 v[18:21] /*v[274:277]*/, off, off offset:352
	scratch_load_b128 v[26:29] /*v[282:285]*/, off, off offset:368
	s_set_vgpr_msb 0                        ;  msbs: dst=0 src0=0 src1=0 src2=0
	ds_load_b128 v[158:161], v7 offset:624
	ds_load_b128 v[166:169], v7 offset:640
	s_set_vgpr_msb 64                       ;  msbs: dst=1 src0=0 src1=0 src2=0
	s_clause 0x1
	scratch_load_b128 v[34:37] /*v[290:293]*/, off, off offset:384
	scratch_load_b128 v[42:45] /*v[298:301]*/, off, off offset:400
	s_set_vgpr_msb 0                        ;  msbs: dst=0 src0=0 src1=0 src2=0
	ds_load_b128 v[174:177], v7 offset:656
	ds_load_b128 v[182:185], v7 offset:672
	;; [unrolled: 1-line block ×11, first 2 shown]
	s_set_vgpr_msb 64                       ;  msbs: dst=1 src0=0 src1=0 src2=0
	ds_load_b128 v[6:9] /*v[262:265]*/, v7 offset:832
	ds_load_b128 v[46:49] /*v[302:305]*/, v7 offset:912
	scratch_load_b128 v[50:53] /*v[306:309]*/, off, off offset:416
	ds_load_b128 v[14:17] /*v[270:273]*/, v7 offset:848
	ds_load_b128 v[22:25] /*v[278:281]*/, v7 offset:864
	;; [unrolled: 1-line block ×4, first 2 shown]
	s_clause 0x3
	scratch_load_b128 v[54:57] /*v[310:313]*/, off, off offset:432
	scratch_load_b128 v[58:61] /*v[314:317]*/, off, off offset:448
	;; [unrolled: 1-line block ×4, first 2 shown]
	s_mov_b32 s0, exec_lo
	s_wait_loadcnt_dscnt 0x1a16
	s_set_vgpr_msb 0                        ;  msbs: dst=0 src0=0 src1=0 src2=0
	v_dual_mul_f32 v9, v126, v143 :: v_dual_mul_f32 v11, v128, v145
	s_delay_alu instid0(VALU_DEP_1) | instskip(NEXT) | instid1(VALU_DEP_1)
	v_dual_fmac_f32 v9, v127, v142 :: v_dual_fmac_f32 v11, v129, v144
	v_add_f32_e32 v9, 0, v9
	s_delay_alu instid0(VALU_DEP_1) | instskip(SKIP_2) | instid1(VALU_DEP_1)
	v_add_f32_e32 v9, v9, v11
	s_wait_loadcnt_dscnt 0x1915
	v_mul_f32_e32 v11, v130, v147
	v_fmac_f32_e32 v11, v131, v146
	s_delay_alu instid0(VALU_DEP_1) | instskip(NEXT) | instid1(VALU_DEP_1)
	v_dual_add_f32 v9, v9, v11 :: v_dual_mul_f32 v11, v132, v149
	v_fmac_f32_e32 v11, v133, v148
	s_delay_alu instid0(VALU_DEP_1)
	v_add_f32_e32 v9, v9, v11
	s_wait_loadcnt_dscnt 0x1814
	v_mul_f32_e32 v11, v134, v151
	s_wait_loadcnt_dscnt 0x404
	s_set_vgpr_msb 0x45                     ;  msbs: dst=1 src0=1 src1=1 src2=0
	v_dual_mul_f32 v73 /*v329*/, v46 /*v302*/, v51 /*v307*/ :: v_dual_mul_f32 v75 /*v331*/, v48 /*v304*/, v53 /*v309*/
	s_set_vgpr_msb 0                        ;  msbs: dst=0 src0=0 src1=0 src2=0
	v_fmac_f32_e32 v11, v135, v150
	s_set_vgpr_msb 0x45                     ;  msbs: dst=1 src0=1 src1=1 src2=0
	s_delay_alu instid0(VALU_DEP_2) | instskip(SKIP_1) | instid1(VALU_DEP_2)
	v_dual_fmac_f32 v73 /*v329*/, v47 /*v303*/, v50 /*v306*/ :: v_dual_fmac_f32 v75 /*v331*/, v49 /*v305*/, v52 /*v308*/
	s_set_vgpr_msb 0                        ;  msbs: dst=0 src0=0 src1=0 src2=0
	v_dual_add_f32 v9, v9, v11 :: v_dual_mul_f32 v11, v136, v153
	s_delay_alu instid0(VALU_DEP_1) | instskip(NEXT) | instid1(VALU_DEP_1)
	v_fmac_f32_e32 v11, v137, v152
	v_add_f32_e32 v9, v9, v11
	v_mul_f32_e32 v11, v138, v155
	s_delay_alu instid0(VALU_DEP_1) | instskip(NEXT) | instid1(VALU_DEP_1)
	v_fmac_f32_e32 v11, v139, v154
	v_dual_add_f32 v9, v9, v11 :: v_dual_mul_f32 v11, v140, v157
	s_delay_alu instid0(VALU_DEP_1) | instskip(NEXT) | instid1(VALU_DEP_1)
	v_fmac_f32_e32 v11, v141, v156
	v_add_f32_e32 v9, v9, v11
	v_mul_f32_e32 v11, v158, v163
	s_delay_alu instid0(VALU_DEP_1) | instskip(NEXT) | instid1(VALU_DEP_1)
	v_fmac_f32_e32 v11, v159, v162
	;; [unrolled: 7-line block ×13, first 2 shown]
	v_dual_add_f32 v9, v9, v11 :: v_dual_mul_f32 v11, v248, v253
	s_delay_alu instid0(VALU_DEP_1) | instskip(NEXT) | instid1(VALU_DEP_1)
	v_fmac_f32_e32 v11, v249, v252
	v_add_f32_e32 v9, v9, v11
	s_set_vgpr_msb 4                        ;  msbs: dst=0 src0=0 src1=1 src2=0
	v_mul_f32_e32 v11, v254, v3 /*v259*/
	s_delay_alu instid0(VALU_DEP_1) | instskip(SKIP_1) | instid1(VALU_DEP_1)
	v_fmac_f32_e32 v11, v255, v2 /*v258*/
	s_set_vgpr_msb 0                        ;  msbs: dst=0 src0=0 src1=0 src2=0
	v_add_f32_e32 v9, v9, v11
	s_set_vgpr_msb 5                        ;  msbs: dst=0 src0=1 src1=1 src2=0
	v_mul_f32_e32 v11, v0 /*v256*/, v5 /*v261*/
	s_delay_alu instid0(VALU_DEP_1) | instskip(SKIP_1) | instid1(VALU_DEP_1)
	v_fmac_f32_e32 v11, v1 /*v257*/, v4 /*v260*/
	s_set_vgpr_msb 0                        ;  msbs: dst=0 src0=0 src1=0 src2=0
	v_add_f32_e32 v9, v9, v11
	s_set_vgpr_msb 5                        ;  msbs: dst=0 src0=1 src1=1 src2=0
	v_mul_f32_e32 v11, v6 /*v262*/, v11 /*v267*/
	s_delay_alu instid0(VALU_DEP_1) | instskip(SKIP_1) | instid1(VALU_DEP_1)
	v_fmac_f32_e32 v11, v7 /*v263*/, v10 /*v266*/
	;; [unrolled: 6-line block ×3, first 2 shown]
	s_set_vgpr_msb 0                        ;  msbs: dst=0 src0=0 src1=0 src2=0
	v_add_f32_e32 v9, v9, v11
	s_wait_dscnt 0x3
	s_set_vgpr_msb 5                        ;  msbs: dst=0 src0=1 src1=1 src2=0
	v_mul_f32_e32 v11, v14 /*v270*/, v19 /*v275*/
	s_delay_alu instid0(VALU_DEP_1) | instskip(SKIP_1) | instid1(VALU_DEP_1)
	v_fmac_f32_e32 v11, v15 /*v271*/, v18 /*v274*/
	s_set_vgpr_msb 0                        ;  msbs: dst=0 src0=0 src1=0 src2=0
	v_add_f32_e32 v9, v9, v11
	s_set_vgpr_msb 5                        ;  msbs: dst=0 src0=1 src1=1 src2=0
	v_mul_f32_e32 v11, v16 /*v272*/, v21 /*v277*/
	s_delay_alu instid0(VALU_DEP_1) | instskip(SKIP_1) | instid1(VALU_DEP_1)
	v_fmac_f32_e32 v11, v17 /*v273*/, v20 /*v276*/
	s_set_vgpr_msb 0                        ;  msbs: dst=0 src0=0 src1=0 src2=0
	v_add_f32_e32 v9, v9, v11
	s_wait_dscnt 0x2
	s_set_vgpr_msb 5                        ;  msbs: dst=0 src0=1 src1=1 src2=0
	v_mul_f32_e32 v11, v22 /*v278*/, v27 /*v283*/
	s_delay_alu instid0(VALU_DEP_1) | instskip(SKIP_1) | instid1(VALU_DEP_1)
	v_fmac_f32_e32 v11, v23 /*v279*/, v26 /*v282*/
	s_set_vgpr_msb 0                        ;  msbs: dst=0 src0=0 src1=0 src2=0
	v_add_f32_e32 v9, v9, v11
	s_set_vgpr_msb 5                        ;  msbs: dst=0 src0=1 src1=1 src2=0
	v_mul_f32_e32 v11, v24 /*v280*/, v29 /*v285*/
	s_delay_alu instid0(VALU_DEP_1) | instskip(SKIP_1) | instid1(VALU_DEP_1)
	v_fmac_f32_e32 v11, v25 /*v281*/, v28 /*v284*/
	;; [unrolled: 13-line block ×4, first 2 shown]
	s_set_vgpr_msb 64                       ;  msbs: dst=1 src0=0 src1=0 src2=0
	v_add_f32_e32 v71 /*v327*/, v9, v11
	s_set_vgpr_msb 0                        ;  msbs: dst=0 src0=0 src1=0 src2=0
	v_dual_mul_f32 v9, v127, v143 :: v_dual_mul_f32 v11, v129, v145
	s_delay_alu instid0(VALU_DEP_1) | instskip(NEXT) | instid1(VALU_DEP_1)
	v_dual_fma_f32 v9, v126, v142, -v9 :: v_dual_fma_f32 v11, v128, v144, -v11
	v_add_f32_e32 v9, 0, v9
	s_delay_alu instid0(VALU_DEP_1) | instskip(SKIP_1) | instid1(VALU_DEP_1)
	v_add_f32_e32 v9, v9, v11
	v_mul_f32_e32 v11, v131, v147
	v_fma_f32 v11, v130, v146, -v11
	s_delay_alu instid0(VALU_DEP_1) | instskip(SKIP_1) | instid1(VALU_DEP_1)
	v_add_f32_e32 v9, v9, v11
	v_mul_f32_e32 v11, v133, v149
	v_fma_f32 v11, v132, v148, -v11
	;; [unrolled: 4-line block ×6, first 2 shown]
	ds_load_b128 v[126:129], v7 offset:928
	ds_load_b128 v[130:133], v7 offset:944
	;; [unrolled: 1-line block ×4, first 2 shown]
	v_add_f32_e32 v9, v9, v11
	v_mul_f32_e32 v11, v159, v163
	s_delay_alu instid0(VALU_DEP_1) | instskip(NEXT) | instid1(VALU_DEP_1)
	v_fma_f32 v11, v158, v162, -v11
	v_add_f32_e32 v9, v9, v11
	v_mul_f32_e32 v11, v161, v165
	s_wait_loadcnt_dscnt 0x303
	s_set_vgpr_msb 4                        ;  msbs: dst=0 src0=0 src1=1 src2=0
	v_pk_mul_f32 v[144:145], v[126:127], v[54:55] /*v[310:311]*/ op_sel:[1,1] op_sel_hi:[0,1]
	s_set_vgpr_msb 0                        ;  msbs: dst=0 src0=0 src1=0 src2=0
	v_fma_f32 v11, v160, v164, -v11
	s_set_vgpr_msb 4                        ;  msbs: dst=0 src0=0 src1=1 src2=0
	s_delay_alu instid0(VALU_DEP_2)
	v_pk_fma_f32 v[146:147], v[126:127], v[54:55] /*v[310:311]*/, v[144:145] neg_lo:[0,0,1] neg_hi:[0,0,1]
	v_pk_fma_f32 v[126:127], v[126:127], v[54:55] /*v[310:311]*/, v[144:145] op_sel_hi:[1,0,1]
	s_set_vgpr_msb 1                        ;  msbs: dst=0 src0=1 src1=0 src2=0
	v_mov_b32_e32 v144, v57 /*v313*/
	s_set_vgpr_msb 0                        ;  msbs: dst=0 src0=0 src1=0 src2=0
	v_add_f32_e32 v9, v9, v11
	v_mul_f32_e32 v11, v167, v171
	s_delay_alu instid0(VALU_DEP_1) | instskip(NEXT) | instid1(VALU_DEP_1)
	v_dual_mov_b32 v147, v127 :: v_dual_fma_f32 v11, v166, v170, -v11
	v_add_f32_e32 v9, v9, v11
	v_mul_f32_e32 v11, v169, v173
	s_delay_alu instid0(VALU_DEP_1) | instskip(NEXT) | instid1(VALU_DEP_1)
	v_fma_f32 v11, v168, v172, -v11
	v_add_f32_e32 v9, v9, v11
	v_mul_f32_e32 v11, v175, v179
	s_delay_alu instid0(VALU_DEP_1) | instskip(NEXT) | instid1(VALU_DEP_1)
	v_fma_f32 v11, v174, v178, -v11
	;; [unrolled: 4-line block ×21, first 2 shown]
	v_add_f32_e32 v9, v9, v11
	s_set_vgpr_msb 4                        ;  msbs: dst=0 src0=0 src1=1 src2=0
	v_mul_f32_e32 v11, v255, v3 /*v259*/
	s_delay_alu instid0(VALU_DEP_1) | instskip(SKIP_1) | instid1(VALU_DEP_1)
	v_fma_f32 v11, v254, v2 /*v258*/, -v11
	s_set_vgpr_msb 0                        ;  msbs: dst=0 src0=0 src1=0 src2=0
	v_add_f32_e32 v9, v9, v11
	s_set_vgpr_msb 5                        ;  msbs: dst=0 src0=1 src1=1 src2=0
	v_mul_f32_e32 v11, v1 /*v257*/, v5 /*v261*/
	s_delay_alu instid0(VALU_DEP_1) | instskip(SKIP_1) | instid1(VALU_DEP_1)
	v_fma_f32 v11, v0 /*v256*/, v4 /*v260*/, -v11
	s_set_vgpr_msb 0                        ;  msbs: dst=0 src0=0 src1=0 src2=0
	v_add_f32_e32 v9, v9, v11
	s_set_vgpr_msb 5                        ;  msbs: dst=0 src0=1 src1=1 src2=0
	v_mul_f32_e32 v11, v7 /*v263*/, v11 /*v267*/
	s_delay_alu instid0(VALU_DEP_1) | instskip(SKIP_1) | instid1(VALU_DEP_1)
	v_fma_f32 v11, v6 /*v262*/, v10 /*v266*/, -v11
	;; [unrolled: 6-line block ×11, first 2 shown]
	s_set_vgpr_msb 64                       ;  msbs: dst=1 src0=0 src1=0 src2=0
	v_add_f32_e32 v70 /*v326*/, v9, v11
	s_set_vgpr_msb 5                        ;  msbs: dst=0 src0=1 src1=1 src2=0
	v_mul_f32_e32 v9, v47 /*v303*/, v51 /*v307*/
	s_set_vgpr_msb 0x45                     ;  msbs: dst=1 src0=1 src1=1 src2=0
	s_delay_alu instid0(VALU_DEP_1) | instskip(SKIP_3) | instid1(VALU_DEP_1)
	v_fma_f32 v72 /*v328*/, v46 /*v302*/, v50 /*v306*/, -v9
	s_set_vgpr_msb 5                        ;  msbs: dst=0 src0=1 src1=1 src2=0
	v_mul_f32_e32 v9, v49 /*v305*/, v53 /*v309*/
	s_set_vgpr_msb 0x45                     ;  msbs: dst=1 src0=1 src1=1 src2=0
	v_fma_f32 v74 /*v330*/, v48 /*v304*/, v52 /*v308*/, -v9
	s_set_vgpr_msb 5                        ;  msbs: dst=0 src0=1 src1=1 src2=0
	v_pk_add_f32 v[142:143], v[70:71] /*v[326:327]*/, v[72:73] /*v[328:329]*/
	s_set_vgpr_msb 4                        ;  msbs: dst=0 src0=0 src1=1 src2=0
	s_delay_alu instid0(VALU_DEP_1) | instskip(SKIP_1) | instid1(VALU_DEP_1)
	v_pk_add_f32 v[142:143], v[142:143], v[74:75] /*v[330:331]*/
	s_set_vgpr_msb 0                        ;  msbs: dst=0 src0=0 src1=0 src2=0
	v_pk_add_f32 v[126:127], v[142:143], v[146:147]
	v_dual_mov_b32 v142, v129 :: v_dual_mov_b32 v143, v128
	s_delay_alu instid0(VALU_DEP_1) | instskip(SKIP_1) | instid1(VALU_DEP_1)
	v_pk_mul_f32 v[142:143], v[142:143], v[144:145] op_sel_hi:[1,0]
	s_set_vgpr_msb 4                        ;  msbs: dst=0 src0=0 src1=1 src2=0
	v_pk_fma_f32 v[144:145], v[128:129], v[56:57] /*v[312:313]*/, v[142:143] neg_lo:[0,0,1] neg_hi:[0,0,1]
	v_pk_fma_f32 v[128:129], v[128:129], v[56:57] /*v[312:313]*/, v[142:143] op_sel_hi:[1,0,1]
	s_delay_alu instid0(VALU_DEP_1) | instskip(SKIP_3) | instid1(VALU_DEP_2)
	v_mov_b32_e32 v145, v129
	s_wait_loadcnt_dscnt 0x202
	v_pk_mul_f32 v[128:129], v[130:131], v[58:59] /*v[314:315]*/ op_sel:[1,1] op_sel_hi:[0,1]
	s_set_vgpr_msb 0                        ;  msbs: dst=0 src0=0 src1=0 src2=0
	v_pk_add_f32 v[126:127], v[126:127], v[144:145]
	s_set_vgpr_msb 4                        ;  msbs: dst=0 src0=0 src1=1 src2=0
	s_delay_alu instid0(VALU_DEP_2)
	v_pk_fma_f32 v[142:143], v[130:131], v[58:59] /*v[314:315]*/, v[128:129] neg_lo:[0,0,1] neg_hi:[0,0,1]
	v_pk_fma_f32 v[128:129], v[130:131], v[58:59] /*v[314:315]*/, v[128:129] op_sel_hi:[1,0,1]
	v_mov_b32_e32 v128, v133
	s_set_vgpr_msb 1                        ;  msbs: dst=0 src0=1 src1=0 src2=0
	v_mov_b32_e32 v130, v61 /*v317*/
	s_set_vgpr_msb 0                        ;  msbs: dst=0 src0=0 src1=0 src2=0
	v_dual_mov_b32 v143, v129 :: v_dual_mov_b32 v129, v132
	s_delay_alu instid0(VALU_DEP_1) | instskip(NEXT) | instid1(VALU_DEP_2)
	v_pk_add_f32 v[126:127], v[126:127], v[142:143]
	v_pk_mul_f32 v[128:129], v[128:129], v[130:131] op_sel_hi:[1,0]
	s_set_vgpr_msb 4                        ;  msbs: dst=0 src0=0 src1=1 src2=0
	s_delay_alu instid0(VALU_DEP_1) | instskip(SKIP_1) | instid1(VALU_DEP_1)
	v_pk_fma_f32 v[130:131], v[132:133], v[60:61] /*v[316:317]*/, v[128:129] neg_lo:[0,0,1] neg_hi:[0,0,1]
	v_pk_fma_f32 v[128:129], v[132:133], v[60:61] /*v[316:317]*/, v[128:129] op_sel_hi:[1,0,1]
	v_mov_b32_e32 v131, v129
	s_wait_loadcnt_dscnt 0x101
	v_pk_mul_f32 v[128:129], v[134:135], v[62:63] /*v[318:319]*/ op_sel:[1,1] op_sel_hi:[0,1]
	s_set_vgpr_msb 0                        ;  msbs: dst=0 src0=0 src1=0 src2=0
	s_delay_alu instid0(VALU_DEP_2) | instskip(SKIP_1) | instid1(VALU_DEP_2)
	v_pk_add_f32 v[126:127], v[126:127], v[130:131]
	s_set_vgpr_msb 4                        ;  msbs: dst=0 src0=0 src1=1 src2=0
	v_pk_fma_f32 v[130:131], v[134:135], v[62:63] /*v[318:319]*/, v[128:129] neg_lo:[0,0,1] neg_hi:[0,0,1]
	v_pk_fma_f32 v[128:129], v[134:135], v[62:63] /*v[318:319]*/, v[128:129] op_sel_hi:[1,0,1]
	s_delay_alu instid0(VALU_DEP_1) | instskip(SKIP_2) | instid1(VALU_DEP_2)
	v_dual_mov_b32 v128, v137 :: v_dual_mov_b32 v131, v129
	v_mov_b32_e32 v129, v136
	s_set_vgpr_msb 0                        ;  msbs: dst=0 src0=0 src1=0 src2=0
	v_pk_add_f32 v[126:127], v[126:127], v[130:131]
	s_set_vgpr_msb 1                        ;  msbs: dst=0 src0=1 src1=0 src2=0
	v_mov_b32_e32 v130, v65 /*v321*/
	s_set_vgpr_msb 0                        ;  msbs: dst=0 src0=0 src1=0 src2=0
	s_delay_alu instid0(VALU_DEP_1) | instskip(SKIP_1) | instid1(VALU_DEP_1)
	v_pk_mul_f32 v[128:129], v[128:129], v[130:131] op_sel_hi:[1,0]
	s_set_vgpr_msb 4                        ;  msbs: dst=0 src0=0 src1=1 src2=0
	v_pk_fma_f32 v[130:131], v[136:137], v[64:65] /*v[320:321]*/, v[128:129] neg_lo:[0,0,1] neg_hi:[0,0,1]
	v_pk_fma_f32 v[128:129], v[136:137], v[64:65] /*v[320:321]*/, v[128:129] op_sel_hi:[1,0,1]
	s_delay_alu instid0(VALU_DEP_1) | instskip(SKIP_3) | instid1(VALU_DEP_2)
	v_mov_b32_e32 v131, v129
	s_wait_loadcnt_dscnt 0x0
	v_pk_mul_f32 v[128:129], v[138:139], v[66:67] /*v[322:323]*/ op_sel:[1,1] op_sel_hi:[0,1]
	s_set_vgpr_msb 0                        ;  msbs: dst=0 src0=0 src1=0 src2=0
	v_pk_add_f32 v[126:127], v[126:127], v[130:131]
	s_set_vgpr_msb 4                        ;  msbs: dst=0 src0=0 src1=1 src2=0
	s_delay_alu instid0(VALU_DEP_2) | instskip(SKIP_1) | instid1(VALU_DEP_1)
	v_pk_fma_f32 v[130:131], v[138:139], v[66:67] /*v[322:323]*/, v[128:129] neg_lo:[0,0,1] neg_hi:[0,0,1]
	v_pk_fma_f32 v[128:129], v[138:139], v[66:67] /*v[322:323]*/, v[128:129] op_sel_hi:[1,0,1]
	v_dual_mov_b32 v128, v141 :: v_dual_mov_b32 v131, v129
	v_mov_b32_e32 v129, v140
	s_set_vgpr_msb 0                        ;  msbs: dst=0 src0=0 src1=0 src2=0
	s_delay_alu instid0(VALU_DEP_2) | instskip(SKIP_3) | instid1(VALU_DEP_1)
	v_pk_add_f32 v[126:127], v[126:127], v[130:131]
	s_set_vgpr_msb 1                        ;  msbs: dst=0 src0=1 src1=0 src2=0
	v_mov_b32_e32 v130, v69 /*v325*/
	s_set_vgpr_msb 0                        ;  msbs: dst=0 src0=0 src1=0 src2=0
	v_pk_mul_f32 v[128:129], v[128:129], v[130:131] op_sel_hi:[1,0]
	s_set_vgpr_msb 4                        ;  msbs: dst=0 src0=0 src1=1 src2=0
	s_delay_alu instid0(VALU_DEP_1) | instskip(SKIP_1) | instid1(VALU_DEP_1)
	v_pk_fma_f32 v[130:131], v[140:141], v[68:69] /*v[324:325]*/, v[128:129] neg_lo:[0,0,1] neg_hi:[0,0,1]
	v_pk_fma_f32 v[128:129], v[140:141], v[68:69] /*v[324:325]*/, v[128:129] op_sel_hi:[1,0,1]
	v_mov_b32_e32 v131, v129
	scratch_load_b64 v[128:129], off, off offset:56
	s_set_vgpr_msb 0                        ;  msbs: dst=0 src0=0 src1=0 src2=0
	v_pk_add_f32 v[126:127], v[126:127], v[130:131]
	s_wait_loadcnt 0x0
	s_delay_alu instid0(VALU_DEP_1)
	v_pk_add_f32 v[126:127], v[128:129], v[126:127] neg_lo:[0,1] neg_hi:[0,1]
	scratch_store_b64 off, v[126:127], off offset:56
	s_wait_xcnt 0x0
	v_cmpx_lt_u32_e32 6, v0
	s_cbranch_execz .LBB125_373
; %bb.372:
	scratch_load_b64 v[126:127], off, off offset:48
	v_mov_b64_e32 v[128:129], 0
	scratch_store_b64 off, v[128:129], off offset:48
	s_wait_loadcnt 0x0
	ds_store_b64 v1, v[126:127]
.LBB125_373:
	s_wait_xcnt 0x0
	s_or_b32 exec_lo, exec_lo, s0
	s_wait_storecnt_dscnt 0x0
	s_barrier_signal -1
	s_barrier_wait -1
	s_clause 0xf
	scratch_load_b128 v[130:133], off, off offset:56
	scratch_load_b128 v[138:141], off, off offset:72
	;; [unrolled: 1-line block ×16, first 2 shown]
	v_mov_b32_e32 v7, 0
	s_set_vgpr_msb 64                       ;  msbs: dst=1 src0=0 src1=0 src2=0
	s_clause 0x3
	scratch_load_b128 v[2:5] /*v[258:261]*/, off, off offset:312
	scratch_load_b128 v[10:13] /*v[266:269]*/, off, off offset:328
	;; [unrolled: 1-line block ×4, first 2 shown]
	s_set_vgpr_msb 0                        ;  msbs: dst=0 src0=0 src1=0 src2=0
	ds_load_2addr_b64 v[126:129], v7 offset0:69 offset1:70
	ds_load_2addr_b64 v[134:137], v7 offset0:71 offset1:72
	s_set_vgpr_msb 64                       ;  msbs: dst=1 src0=0 src1=0 src2=0
	s_clause 0x3
	scratch_load_b128 v[34:37] /*v[290:293]*/, off, off offset:376
	scratch_load_b128 v[42:45] /*v[298:301]*/, off, off offset:392
	;; [unrolled: 1-line block ×4, first 2 shown]
	s_mov_b32 s0, exec_lo
	s_wait_loadcnt_dscnt 0x1701
	s_set_vgpr_msb 0                        ;  msbs: dst=0 src0=0 src1=0 src2=0
	v_dual_mul_f32 v9, v126, v131 :: v_dual_mul_f32 v11, v128, v133
	ds_load_2addr_b64 v[142:145], v7 offset0:73 offset1:74
	ds_load_2addr_b64 v[150:153], v7 offset0:75 offset1:76
	;; [unrolled: 1-line block ×4, first 2 shown]
	v_dual_fmac_f32 v9, v127, v130 :: v_dual_fmac_f32 v11, v129, v132
	ds_load_2addr_b64 v[174:177], v7 offset0:81 offset1:82
	ds_load_2addr_b64 v[182:185], v7 offset0:83 offset1:84
	;; [unrolled: 1-line block ×4, first 2 shown]
	v_add_f32_e32 v9, 0, v9
	ds_load_2addr_b64 v[206:209], v7 offset0:89 offset1:90
	ds_load_2addr_b64 v[214:217], v7 offset0:91 offset1:92
	;; [unrolled: 1-line block ×4, first 2 shown]
	v_add_f32_e32 v9, v9, v11
	s_wait_loadcnt_dscnt 0x160c
	v_mul_f32_e32 v11, v134, v139
	ds_load_2addr_b64 v[238:241], v7 offset0:97 offset1:98
	ds_load_2addr_b64 v[246:249], v7 offset0:99 offset1:100
	;; [unrolled: 1-line block ×3, first 2 shown]
	s_set_vgpr_msb 64                       ;  msbs: dst=1 src0=0 src1=0 src2=0
	ds_load_2addr_b64 v[6:9] /*v[262:265]*/, v7 offset0:103 offset1:104
	s_set_vgpr_msb 0                        ;  msbs: dst=0 src0=0 src1=0 src2=0
	v_fmac_f32_e32 v11, v135, v138
	s_set_vgpr_msb 64                       ;  msbs: dst=1 src0=0 src1=0 src2=0
	ds_load_2addr_b64 v[46:49] /*v[302:305]*/, v7 offset0:113 offset1:114
	ds_load_2addr_b64 v[54:57] /*v[310:313]*/, v7 offset0:115 offset1:116
	;; [unrolled: 1-line block ×4, first 2 shown]
	s_set_vgpr_msb 0                        ;  msbs: dst=0 src0=0 src1=0 src2=0
	v_dual_add_f32 v9, v9, v11 :: v_dual_mul_f32 v11, v136, v141
	s_set_vgpr_msb 64                       ;  msbs: dst=1 src0=0 src1=0 src2=0
	ds_load_2addr_b64 v[30:33] /*v[286:289]*/, v7 offset0:109 offset1:110
	ds_load_2addr_b64 v[38:41] /*v[294:297]*/, v7 offset0:111 offset1:112
	s_clause 0x3
	scratch_load_b128 v[62:65] /*v[318:321]*/, off, off offset:440
	scratch_load_b128 v[66:69] /*v[322:325]*/, off, off offset:456
	;; [unrolled: 1-line block ×3, first 2 shown]
	scratch_load_b64 v[80:81] /*v[336:337]*/, off, off offset:488
	s_set_vgpr_msb 0                        ;  msbs: dst=0 src0=0 src1=0 src2=0
	v_fmac_f32_e32 v11, v137, v140
	s_delay_alu instid0(VALU_DEP_1)
	v_add_f32_e32 v9, v9, v11
	s_wait_loadcnt_dscnt 0x1915
	v_mul_f32_e32 v11, v142, v147
	s_wait_loadcnt_dscnt 0x404
	s_set_vgpr_msb 0x45                     ;  msbs: dst=1 src0=1 src1=1 src2=0
	v_dual_mul_f32 v77 /*v333*/, v48 /*v304*/, v53 /*v309*/ :: v_dual_mul_f32 v79 /*v335*/, v54 /*v310*/, v59 /*v315*/
	s_set_vgpr_msb 0                        ;  msbs: dst=0 src0=0 src1=0 src2=0
	v_fmac_f32_e32 v11, v143, v146
	s_set_vgpr_msb 0x45                     ;  msbs: dst=1 src0=1 src1=1 src2=0
	s_delay_alu instid0(VALU_DEP_2) | instskip(SKIP_1) | instid1(VALU_DEP_2)
	v_dual_fmac_f32 v77 /*v333*/, v49 /*v305*/, v52 /*v308*/ :: v_dual_fmac_f32 v79 /*v335*/, v55 /*v311*/, v58 /*v314*/
	s_set_vgpr_msb 0                        ;  msbs: dst=0 src0=0 src1=0 src2=0
	v_dual_add_f32 v9, v9, v11 :: v_dual_mul_f32 v11, v144, v149
	s_delay_alu instid0(VALU_DEP_1) | instskip(NEXT) | instid1(VALU_DEP_1)
	v_fmac_f32_e32 v11, v145, v148
	v_add_f32_e32 v9, v9, v11
	v_mul_f32_e32 v11, v150, v155
	s_delay_alu instid0(VALU_DEP_1) | instskip(NEXT) | instid1(VALU_DEP_1)
	v_fmac_f32_e32 v11, v151, v154
	v_dual_add_f32 v9, v9, v11 :: v_dual_mul_f32 v11, v152, v157
	s_delay_alu instid0(VALU_DEP_1) | instskip(NEXT) | instid1(VALU_DEP_1)
	v_fmac_f32_e32 v11, v153, v156
	v_add_f32_e32 v9, v9, v11
	v_mul_f32_e32 v11, v158, v163
	s_delay_alu instid0(VALU_DEP_1) | instskip(NEXT) | instid1(VALU_DEP_1)
	v_fmac_f32_e32 v11, v159, v162
	;; [unrolled: 7-line block ×13, first 2 shown]
	v_dual_add_f32 v9, v9, v11 :: v_dual_mul_f32 v11, v248, v253
	s_delay_alu instid0(VALU_DEP_1) | instskip(NEXT) | instid1(VALU_DEP_1)
	v_fmac_f32_e32 v11, v249, v252
	v_add_f32_e32 v9, v9, v11
	s_set_vgpr_msb 4                        ;  msbs: dst=0 src0=0 src1=1 src2=0
	v_mul_f32_e32 v11, v254, v3 /*v259*/
	s_delay_alu instid0(VALU_DEP_1) | instskip(SKIP_1) | instid1(VALU_DEP_1)
	v_fmac_f32_e32 v11, v255, v2 /*v258*/
	s_set_vgpr_msb 0                        ;  msbs: dst=0 src0=0 src1=0 src2=0
	v_add_f32_e32 v9, v9, v11
	s_set_vgpr_msb 5                        ;  msbs: dst=0 src0=1 src1=1 src2=0
	v_mul_f32_e32 v11, v0 /*v256*/, v5 /*v261*/
	s_delay_alu instid0(VALU_DEP_1) | instskip(SKIP_1) | instid1(VALU_DEP_1)
	v_fmac_f32_e32 v11, v1 /*v257*/, v4 /*v260*/
	s_set_vgpr_msb 0                        ;  msbs: dst=0 src0=0 src1=0 src2=0
	v_add_f32_e32 v9, v9, v11
	s_set_vgpr_msb 5                        ;  msbs: dst=0 src0=1 src1=1 src2=0
	v_mul_f32_e32 v11, v6 /*v262*/, v11 /*v267*/
	s_delay_alu instid0(VALU_DEP_1) | instskip(SKIP_1) | instid1(VALU_DEP_1)
	v_fmac_f32_e32 v11, v7 /*v263*/, v10 /*v266*/
	;; [unrolled: 6-line block ×3, first 2 shown]
	s_set_vgpr_msb 0                        ;  msbs: dst=0 src0=0 src1=0 src2=0
	v_add_f32_e32 v9, v9, v11
	s_wait_dscnt 0x3
	s_set_vgpr_msb 5                        ;  msbs: dst=0 src0=1 src1=1 src2=0
	v_mul_f32_e32 v11, v14 /*v270*/, v19 /*v275*/
	s_delay_alu instid0(VALU_DEP_1) | instskip(SKIP_1) | instid1(VALU_DEP_1)
	v_fmac_f32_e32 v11, v15 /*v271*/, v18 /*v274*/
	s_set_vgpr_msb 0                        ;  msbs: dst=0 src0=0 src1=0 src2=0
	v_add_f32_e32 v9, v9, v11
	s_set_vgpr_msb 5                        ;  msbs: dst=0 src0=1 src1=1 src2=0
	v_mul_f32_e32 v11, v16 /*v272*/, v21 /*v277*/
	s_delay_alu instid0(VALU_DEP_1) | instskip(SKIP_1) | instid1(VALU_DEP_1)
	v_fmac_f32_e32 v11, v17 /*v273*/, v20 /*v276*/
	s_set_vgpr_msb 0                        ;  msbs: dst=0 src0=0 src1=0 src2=0
	v_add_f32_e32 v9, v9, v11
	s_wait_dscnt 0x2
	s_set_vgpr_msb 5                        ;  msbs: dst=0 src0=1 src1=1 src2=0
	v_mul_f32_e32 v11, v22 /*v278*/, v27 /*v283*/
	s_delay_alu instid0(VALU_DEP_1) | instskip(SKIP_1) | instid1(VALU_DEP_1)
	v_fmac_f32_e32 v11, v23 /*v279*/, v26 /*v282*/
	s_set_vgpr_msb 0                        ;  msbs: dst=0 src0=0 src1=0 src2=0
	v_add_f32_e32 v9, v9, v11
	s_set_vgpr_msb 5                        ;  msbs: dst=0 src0=1 src1=1 src2=0
	v_mul_f32_e32 v11, v24 /*v280*/, v29 /*v285*/
	s_delay_alu instid0(VALU_DEP_1) | instskip(SKIP_1) | instid1(VALU_DEP_1)
	v_fmac_f32_e32 v11, v25 /*v281*/, v28 /*v284*/
	;; [unrolled: 13-line block ×4, first 2 shown]
	s_set_vgpr_msb 0                        ;  msbs: dst=0 src0=0 src1=0 src2=0
	v_add_f32_e32 v9, v9, v11
	s_set_vgpr_msb 5                        ;  msbs: dst=0 src0=1 src1=1 src2=0
	v_mul_f32_e32 v11, v46 /*v302*/, v51 /*v307*/
	s_delay_alu instid0(VALU_DEP_1) | instskip(SKIP_1) | instid1(VALU_DEP_1)
	v_fmac_f32_e32 v11, v47 /*v303*/, v50 /*v306*/
	s_set_vgpr_msb 64                       ;  msbs: dst=1 src0=0 src1=0 src2=0
	v_add_f32_e32 v75 /*v331*/, v9, v11
	s_set_vgpr_msb 0                        ;  msbs: dst=0 src0=0 src1=0 src2=0
	v_dual_mul_f32 v9, v127, v131 :: v_dual_mul_f32 v11, v129, v133
	s_delay_alu instid0(VALU_DEP_1) | instskip(NEXT) | instid1(VALU_DEP_1)
	v_dual_fma_f32 v9, v126, v130, -v9 :: v_dual_fma_f32 v11, v128, v132, -v11
	v_add_f32_e32 v9, 0, v9
	s_delay_alu instid0(VALU_DEP_1) | instskip(SKIP_1) | instid1(VALU_DEP_1)
	v_add_f32_e32 v9, v9, v11
	v_mul_f32_e32 v11, v135, v139
	v_fma_f32 v11, v134, v138, -v11
	s_delay_alu instid0(VALU_DEP_1) | instskip(SKIP_1) | instid1(VALU_DEP_1)
	v_add_f32_e32 v9, v9, v11
	v_mul_f32_e32 v11, v137, v141
	v_fma_f32 v11, v136, v140, -v11
	ds_load_2addr_b64 v[126:129], v7 offset0:117 offset1:118
	ds_load_2addr_b64 v[130:133], v7 offset0:119 offset1:120
	;; [unrolled: 1-line block ×3, first 2 shown]
	ds_load_b64 v[138:139], v7 offset:984
	v_add_f32_e32 v9, v9, v11
	v_mul_f32_e32 v11, v143, v147
	s_set_vgpr_msb 1                        ;  msbs: dst=0 src0=1 src1=0 src2=0
	v_mov_b32_e32 v143, v56 /*v312*/
	s_set_vgpr_msb 0                        ;  msbs: dst=0 src0=0 src1=0 src2=0
	s_delay_alu instid0(VALU_DEP_2) | instskip(SKIP_3) | instid1(VALU_DEP_2)
	v_fma_f32 v11, v142, v146, -v11
	s_set_vgpr_msb 1                        ;  msbs: dst=0 src0=1 src1=0 src2=0
	v_mov_b32_e32 v142, v57 /*v313*/
	s_set_vgpr_msb 0                        ;  msbs: dst=0 src0=0 src1=0 src2=0
	v_add_f32_e32 v9, v9, v11
	v_mul_f32_e32 v11, v145, v149
	s_delay_alu instid0(VALU_DEP_1) | instskip(SKIP_3) | instid1(VALU_DEP_2)
	v_fma_f32 v11, v144, v148, -v11
	s_set_vgpr_msb 1                        ;  msbs: dst=0 src0=1 src1=0 src2=0
	v_mov_b32_e32 v144, v61 /*v317*/
	s_set_vgpr_msb 0                        ;  msbs: dst=0 src0=0 src1=0 src2=0
	v_add_f32_e32 v9, v9, v11
	v_mul_f32_e32 v11, v151, v155
	s_delay_alu instid0(VALU_DEP_3) | instskip(NEXT) | instid1(VALU_DEP_2)
	v_pk_mul_f32 v[142:143], v[142:143], v[144:145] op_sel_hi:[1,0]
	v_fma_f32 v11, v150, v154, -v11
	s_set_vgpr_msb 5                        ;  msbs: dst=0 src0=1 src1=1 src2=0
	s_delay_alu instid0(VALU_DEP_2) | instskip(SKIP_3) | instid1(VALU_DEP_2)
	v_pk_fma_f32 v[144:145], v[56:57] /*v[312:313]*/, v[60:61] /*v[316:317]*/, v[142:143] neg_lo:[0,0,1] neg_hi:[0,0,1]
	v_pk_fma_f32 v[142:143], v[56:57] /*v[312:313]*/, v[60:61] /*v[316:317]*/, v[142:143] op_sel_hi:[1,0,1]
	s_set_vgpr_msb 0                        ;  msbs: dst=0 src0=0 src1=0 src2=0
	v_add_f32_e32 v9, v9, v11
	v_dual_mul_f32 v11, v153, v157 :: v_dual_mov_b32 v145, v143
	s_wait_loadcnt_dscnt 0x303
	s_set_vgpr_msb 4                        ;  msbs: dst=0 src0=0 src1=1 src2=0
	v_pk_mul_f32 v[142:143], v[126:127], v[62:63] /*v[318:319]*/ op_sel:[1,1] op_sel_hi:[0,1]
	s_set_vgpr_msb 0                        ;  msbs: dst=0 src0=0 src1=0 src2=0
	v_fma_f32 v11, v152, v156, -v11
	s_delay_alu instid0(VALU_DEP_1) | instskip(SKIP_1) | instid1(VALU_DEP_1)
	v_add_f32_e32 v9, v9, v11
	v_mul_f32_e32 v11, v159, v163
	v_fma_f32 v11, v158, v162, -v11
	s_delay_alu instid0(VALU_DEP_1) | instskip(SKIP_1) | instid1(VALU_DEP_1)
	v_add_f32_e32 v9, v9, v11
	v_mul_f32_e32 v11, v161, v165
	v_fma_f32 v11, v160, v164, -v11
	s_delay_alu instid0(VALU_DEP_1) | instskip(SKIP_1) | instid1(VALU_DEP_1)
	v_add_f32_e32 v9, v9, v11
	v_mul_f32_e32 v11, v167, v171
	v_fma_f32 v11, v166, v170, -v11
	s_delay_alu instid0(VALU_DEP_1) | instskip(SKIP_1) | instid1(VALU_DEP_1)
	v_add_f32_e32 v9, v9, v11
	v_mul_f32_e32 v11, v169, v173
	v_fma_f32 v11, v168, v172, -v11
	s_delay_alu instid0(VALU_DEP_1) | instskip(SKIP_1) | instid1(VALU_DEP_1)
	v_add_f32_e32 v9, v9, v11
	v_mul_f32_e32 v11, v175, v179
	v_fma_f32 v11, v174, v178, -v11
	s_delay_alu instid0(VALU_DEP_1) | instskip(SKIP_1) | instid1(VALU_DEP_1)
	v_add_f32_e32 v9, v9, v11
	v_mul_f32_e32 v11, v177, v181
	v_fma_f32 v11, v176, v180, -v11
	s_delay_alu instid0(VALU_DEP_1) | instskip(SKIP_1) | instid1(VALU_DEP_1)
	v_add_f32_e32 v9, v9, v11
	v_mul_f32_e32 v11, v183, v187
	v_fma_f32 v11, v182, v186, -v11
	s_delay_alu instid0(VALU_DEP_1) | instskip(SKIP_1) | instid1(VALU_DEP_1)
	v_add_f32_e32 v9, v9, v11
	v_mul_f32_e32 v11, v185, v189
	v_fma_f32 v11, v184, v188, -v11
	s_delay_alu instid0(VALU_DEP_1) | instskip(SKIP_1) | instid1(VALU_DEP_1)
	v_add_f32_e32 v9, v9, v11
	v_mul_f32_e32 v11, v191, v195
	v_fma_f32 v11, v190, v194, -v11
	s_delay_alu instid0(VALU_DEP_1) | instskip(SKIP_1) | instid1(VALU_DEP_1)
	v_add_f32_e32 v9, v9, v11
	v_mul_f32_e32 v11, v193, v197
	v_fma_f32 v11, v192, v196, -v11
	s_delay_alu instid0(VALU_DEP_1) | instskip(SKIP_1) | instid1(VALU_DEP_1)
	v_add_f32_e32 v9, v9, v11
	v_mul_f32_e32 v11, v199, v203
	v_fma_f32 v11, v198, v202, -v11
	s_delay_alu instid0(VALU_DEP_1) | instskip(SKIP_1) | instid1(VALU_DEP_1)
	v_add_f32_e32 v9, v9, v11
	v_mul_f32_e32 v11, v201, v205
	v_fma_f32 v11, v200, v204, -v11
	s_delay_alu instid0(VALU_DEP_1) | instskip(SKIP_1) | instid1(VALU_DEP_1)
	v_add_f32_e32 v9, v9, v11
	v_mul_f32_e32 v11, v207, v211
	v_fma_f32 v11, v206, v210, -v11
	s_delay_alu instid0(VALU_DEP_1) | instskip(SKIP_1) | instid1(VALU_DEP_1)
	v_add_f32_e32 v9, v9, v11
	v_mul_f32_e32 v11, v209, v213
	v_fma_f32 v11, v208, v212, -v11
	s_delay_alu instid0(VALU_DEP_1) | instskip(SKIP_1) | instid1(VALU_DEP_1)
	v_add_f32_e32 v9, v9, v11
	v_mul_f32_e32 v11, v215, v219
	v_fma_f32 v11, v214, v218, -v11
	s_delay_alu instid0(VALU_DEP_1) | instskip(SKIP_1) | instid1(VALU_DEP_1)
	v_add_f32_e32 v9, v9, v11
	v_mul_f32_e32 v11, v217, v221
	v_fma_f32 v11, v216, v220, -v11
	s_delay_alu instid0(VALU_DEP_1) | instskip(SKIP_1) | instid1(VALU_DEP_1)
	v_add_f32_e32 v9, v9, v11
	v_mul_f32_e32 v11, v223, v227
	v_fma_f32 v11, v222, v226, -v11
	s_delay_alu instid0(VALU_DEP_1) | instskip(SKIP_1) | instid1(VALU_DEP_1)
	v_add_f32_e32 v9, v9, v11
	v_mul_f32_e32 v11, v225, v229
	v_fma_f32 v11, v224, v228, -v11
	s_delay_alu instid0(VALU_DEP_1) | instskip(SKIP_1) | instid1(VALU_DEP_1)
	v_add_f32_e32 v9, v9, v11
	v_mul_f32_e32 v11, v231, v235
	v_fma_f32 v11, v230, v234, -v11
	s_delay_alu instid0(VALU_DEP_1) | instskip(SKIP_1) | instid1(VALU_DEP_1)
	v_add_f32_e32 v9, v9, v11
	v_mul_f32_e32 v11, v233, v237
	v_fma_f32 v11, v232, v236, -v11
	s_delay_alu instid0(VALU_DEP_1) | instskip(SKIP_1) | instid1(VALU_DEP_1)
	v_add_f32_e32 v9, v9, v11
	v_mul_f32_e32 v11, v239, v243
	v_fma_f32 v11, v238, v242, -v11
	s_delay_alu instid0(VALU_DEP_1) | instskip(SKIP_1) | instid1(VALU_DEP_1)
	v_add_f32_e32 v9, v9, v11
	v_mul_f32_e32 v11, v241, v245
	v_fma_f32 v11, v240, v244, -v11
	s_delay_alu instid0(VALU_DEP_1) | instskip(SKIP_1) | instid1(VALU_DEP_1)
	v_add_f32_e32 v9, v9, v11
	v_mul_f32_e32 v11, v247, v251
	v_fma_f32 v11, v246, v250, -v11
	s_delay_alu instid0(VALU_DEP_1) | instskip(SKIP_1) | instid1(VALU_DEP_1)
	v_add_f32_e32 v9, v9, v11
	v_mul_f32_e32 v11, v249, v253
	v_fma_f32 v11, v248, v252, -v11
	s_delay_alu instid0(VALU_DEP_1) | instskip(SKIP_2) | instid1(VALU_DEP_1)
	v_add_f32_e32 v9, v9, v11
	s_set_vgpr_msb 4                        ;  msbs: dst=0 src0=0 src1=1 src2=0
	v_mul_f32_e32 v11, v255, v3 /*v259*/
	v_fma_f32 v11, v254, v2 /*v258*/, -v11
	s_set_vgpr_msb 0                        ;  msbs: dst=0 src0=0 src1=0 src2=0
	s_delay_alu instid0(VALU_DEP_1) | instskip(SKIP_2) | instid1(VALU_DEP_1)
	v_add_f32_e32 v9, v9, v11
	s_set_vgpr_msb 5                        ;  msbs: dst=0 src0=1 src1=1 src2=0
	v_mul_f32_e32 v11, v1 /*v257*/, v5 /*v261*/
	v_fma_f32 v11, v0 /*v256*/, v4 /*v260*/, -v11
	s_set_vgpr_msb 0                        ;  msbs: dst=0 src0=0 src1=0 src2=0
	s_delay_alu instid0(VALU_DEP_1) | instskip(SKIP_2) | instid1(VALU_DEP_1)
	v_add_f32_e32 v9, v9, v11
	s_set_vgpr_msb 5                        ;  msbs: dst=0 src0=1 src1=1 src2=0
	v_mul_f32_e32 v11, v7 /*v263*/, v11 /*v267*/
	v_fma_f32 v11, v6 /*v262*/, v10 /*v266*/, -v11
	;; [unrolled: 6-line block ×12, first 2 shown]
	s_set_vgpr_msb 64                       ;  msbs: dst=1 src0=0 src1=0 src2=0
	s_delay_alu instid0(VALU_DEP_1) | instskip(SKIP_3) | instid1(VALU_DEP_1)
	v_add_f32_e32 v74 /*v330*/, v9, v11
	s_set_vgpr_msb 5                        ;  msbs: dst=0 src0=1 src1=1 src2=0
	v_mul_f32_e32 v9, v49 /*v305*/, v53 /*v309*/
	s_set_vgpr_msb 0x45                     ;  msbs: dst=1 src0=1 src1=1 src2=0
	v_fma_f32 v76 /*v332*/, v48 /*v304*/, v52 /*v308*/, -v9
	s_set_vgpr_msb 5                        ;  msbs: dst=0 src0=1 src1=1 src2=0
	v_mul_f32_e32 v9, v55 /*v311*/, v59 /*v315*/
	s_set_vgpr_msb 0x45                     ;  msbs: dst=1 src0=1 src1=1 src2=0
	s_delay_alu instid0(VALU_DEP_1) | instskip(SKIP_3) | instid1(VALU_DEP_1)
	v_fma_f32 v78 /*v334*/, v54 /*v310*/, v58 /*v314*/, -v9
	s_set_vgpr_msb 5                        ;  msbs: dst=0 src0=1 src1=1 src2=0
	v_pk_add_f32 v[140:141], v[74:75] /*v[330:331]*/, v[76:77] /*v[332:333]*/
	s_set_vgpr_msb 4                        ;  msbs: dst=0 src0=0 src1=1 src2=0
	v_pk_add_f32 v[140:141], v[140:141], v[78:79] /*v[334:335]*/
	s_set_vgpr_msb 0                        ;  msbs: dst=0 src0=0 src1=0 src2=0
	s_delay_alu instid0(VALU_DEP_1)
	v_pk_add_f32 v[140:141], v[140:141], v[144:145]
	s_set_vgpr_msb 4                        ;  msbs: dst=0 src0=0 src1=1 src2=0
	v_pk_fma_f32 v[144:145], v[126:127], v[62:63] /*v[318:319]*/, v[142:143] neg_lo:[0,0,1] neg_hi:[0,0,1]
	v_pk_fma_f32 v[126:127], v[126:127], v[62:63] /*v[318:319]*/, v[142:143] op_sel_hi:[1,0,1]
	s_set_vgpr_msb 1                        ;  msbs: dst=0 src0=1 src1=0 src2=0
	v_mov_b32_e32 v142, v65 /*v321*/
	s_set_vgpr_msb 0                        ;  msbs: dst=0 src0=0 src1=0 src2=0
	s_delay_alu instid0(VALU_DEP_2) | instskip(NEXT) | instid1(VALU_DEP_1)
	v_mov_b32_e32 v145, v127
	v_pk_add_f32 v[126:127], v[140:141], v[144:145]
	v_dual_mov_b32 v140, v129 :: v_dual_mov_b32 v141, v128
	s_delay_alu instid0(VALU_DEP_1) | instskip(SKIP_1) | instid1(VALU_DEP_1)
	v_pk_mul_f32 v[140:141], v[140:141], v[142:143] op_sel_hi:[1,0]
	s_set_vgpr_msb 4                        ;  msbs: dst=0 src0=0 src1=1 src2=0
	v_pk_fma_f32 v[142:143], v[128:129], v[64:65] /*v[320:321]*/, v[140:141] neg_lo:[0,0,1] neg_hi:[0,0,1]
	v_pk_fma_f32 v[128:129], v[128:129], v[64:65] /*v[320:321]*/, v[140:141] op_sel_hi:[1,0,1]
	s_delay_alu instid0(VALU_DEP_1) | instskip(SKIP_3) | instid1(VALU_DEP_2)
	v_mov_b32_e32 v143, v129
	s_wait_loadcnt_dscnt 0x202
	v_pk_mul_f32 v[128:129], v[130:131], v[66:67] /*v[322:323]*/ op_sel:[1,1] op_sel_hi:[0,1]
	s_set_vgpr_msb 0                        ;  msbs: dst=0 src0=0 src1=0 src2=0
	v_pk_add_f32 v[126:127], v[126:127], v[142:143]
	s_set_vgpr_msb 4                        ;  msbs: dst=0 src0=0 src1=1 src2=0
	s_delay_alu instid0(VALU_DEP_2)
	v_pk_fma_f32 v[140:141], v[130:131], v[66:67] /*v[322:323]*/, v[128:129] neg_lo:[0,0,1] neg_hi:[0,0,1]
	v_pk_fma_f32 v[128:129], v[130:131], v[66:67] /*v[322:323]*/, v[128:129] op_sel_hi:[1,0,1]
	v_mov_b32_e32 v128, v133
	s_set_vgpr_msb 1                        ;  msbs: dst=0 src0=1 src1=0 src2=0
	v_mov_b32_e32 v130, v69 /*v325*/
	s_set_vgpr_msb 0                        ;  msbs: dst=0 src0=0 src1=0 src2=0
	v_dual_mov_b32 v141, v129 :: v_dual_mov_b32 v129, v132
	s_delay_alu instid0(VALU_DEP_1) | instskip(NEXT) | instid1(VALU_DEP_2)
	v_pk_add_f32 v[126:127], v[126:127], v[140:141]
	v_pk_mul_f32 v[128:129], v[128:129], v[130:131] op_sel_hi:[1,0]
	s_set_vgpr_msb 4                        ;  msbs: dst=0 src0=0 src1=1 src2=0
	s_delay_alu instid0(VALU_DEP_1) | instskip(SKIP_1) | instid1(VALU_DEP_1)
	v_pk_fma_f32 v[130:131], v[132:133], v[68:69] /*v[324:325]*/, v[128:129] neg_lo:[0,0,1] neg_hi:[0,0,1]
	v_pk_fma_f32 v[128:129], v[132:133], v[68:69] /*v[324:325]*/, v[128:129] op_sel_hi:[1,0,1]
	v_mov_b32_e32 v131, v129
	s_wait_loadcnt_dscnt 0x101
	v_pk_mul_f32 v[128:129], v[134:135], v[70:71] /*v[326:327]*/ op_sel:[1,1] op_sel_hi:[0,1]
	s_set_vgpr_msb 0                        ;  msbs: dst=0 src0=0 src1=0 src2=0
	s_delay_alu instid0(VALU_DEP_2) | instskip(SKIP_1) | instid1(VALU_DEP_2)
	v_pk_add_f32 v[126:127], v[126:127], v[130:131]
	s_set_vgpr_msb 4                        ;  msbs: dst=0 src0=0 src1=1 src2=0
	v_pk_fma_f32 v[130:131], v[134:135], v[70:71] /*v[326:327]*/, v[128:129] neg_lo:[0,0,1] neg_hi:[0,0,1]
	v_pk_fma_f32 v[128:129], v[134:135], v[70:71] /*v[326:327]*/, v[128:129] op_sel_hi:[1,0,1]
	s_delay_alu instid0(VALU_DEP_1) | instskip(SKIP_2) | instid1(VALU_DEP_2)
	v_dual_mov_b32 v128, v137 :: v_dual_mov_b32 v131, v129
	v_mov_b32_e32 v129, v136
	s_set_vgpr_msb 0                        ;  msbs: dst=0 src0=0 src1=0 src2=0
	v_pk_add_f32 v[126:127], v[126:127], v[130:131]
	s_set_vgpr_msb 1                        ;  msbs: dst=0 src0=1 src1=0 src2=0
	v_mov_b32_e32 v130, v73 /*v329*/
	s_set_vgpr_msb 0                        ;  msbs: dst=0 src0=0 src1=0 src2=0
	s_delay_alu instid0(VALU_DEP_1) | instskip(SKIP_1) | instid1(VALU_DEP_1)
	v_pk_mul_f32 v[128:129], v[128:129], v[130:131] op_sel_hi:[1,0]
	s_set_vgpr_msb 4                        ;  msbs: dst=0 src0=0 src1=1 src2=0
	v_pk_fma_f32 v[130:131], v[136:137], v[72:73] /*v[328:329]*/, v[128:129] neg_lo:[0,0,1] neg_hi:[0,0,1]
	v_pk_fma_f32 v[128:129], v[136:137], v[72:73] /*v[328:329]*/, v[128:129] op_sel_hi:[1,0,1]
	s_delay_alu instid0(VALU_DEP_1) | instskip(SKIP_3) | instid1(VALU_DEP_2)
	v_mov_b32_e32 v131, v129
	s_wait_loadcnt_dscnt 0x0
	v_pk_mul_f32 v[128:129], v[138:139], v[80:81] /*v[336:337]*/ op_sel:[1,1] op_sel_hi:[0,1]
	s_set_vgpr_msb 0                        ;  msbs: dst=0 src0=0 src1=0 src2=0
	v_pk_add_f32 v[126:127], v[126:127], v[130:131]
	s_set_vgpr_msb 4                        ;  msbs: dst=0 src0=0 src1=1 src2=0
	s_delay_alu instid0(VALU_DEP_2) | instskip(SKIP_1) | instid1(VALU_DEP_1)
	v_pk_fma_f32 v[130:131], v[138:139], v[80:81] /*v[336:337]*/, v[128:129] neg_lo:[0,0,1] neg_hi:[0,0,1]
	v_pk_fma_f32 v[128:129], v[138:139], v[80:81] /*v[336:337]*/, v[128:129] op_sel_hi:[1,0,1]
	v_mov_b32_e32 v131, v129
	scratch_load_b64 v[128:129], off, off offset:48
	s_set_vgpr_msb 0                        ;  msbs: dst=0 src0=0 src1=0 src2=0
	v_pk_add_f32 v[126:127], v[126:127], v[130:131]
	s_wait_loadcnt 0x0
	s_delay_alu instid0(VALU_DEP_1)
	v_pk_add_f32 v[126:127], v[128:129], v[126:127] neg_lo:[0,1] neg_hi:[0,1]
	scratch_store_b64 off, v[126:127], off offset:48
	s_wait_xcnt 0x0
	v_cmpx_lt_u32_e32 5, v0
	s_cbranch_execz .LBB125_375
; %bb.374:
	scratch_load_b64 v[126:127], off, off offset:40
	v_mov_b64_e32 v[128:129], 0
	scratch_store_b64 off, v[128:129], off offset:40
	s_wait_loadcnt 0x0
	ds_store_b64 v1, v[126:127]
.LBB125_375:
	s_wait_xcnt 0x0
	s_or_b32 exec_lo, exec_lo, s0
	s_wait_storecnt_dscnt 0x0
	s_barrier_signal -1
	s_barrier_wait -1
	ds_load_b128 v[126:129], v7 offset:544
	ds_load_b128 v[130:133], v7 offset:560
	;; [unrolled: 1-line block ×4, first 2 shown]
	s_clause 0x14
	scratch_load_b128 v[142:145], off, off offset:48
	scratch_load_b128 v[146:149], off, off offset:64
	;; [unrolled: 1-line block ×16, first 2 shown]
	s_set_vgpr_msb 64                       ;  msbs: dst=1 src0=0 src1=0 src2=0
	scratch_load_b128 v[2:5] /*v[258:261]*/, off, off offset:304
	scratch_load_b128 v[10:13] /*v[266:269]*/, off, off offset:320
	;; [unrolled: 1-line block ×4, first 2 shown]
	s_set_vgpr_msb 0                        ;  msbs: dst=0 src0=0 src1=0 src2=0
	ds_load_b128 v[158:161], v7 offset:608
	ds_load_b128 v[166:169], v7 offset:624
	s_set_vgpr_msb 64                       ;  msbs: dst=1 src0=0 src1=0 src2=0
	s_clause 0x1
	scratch_load_b128 v[34:37] /*v[290:293]*/, off, off offset:368
	scratch_load_b128 v[42:45] /*v[298:301]*/, off, off offset:384
	s_set_vgpr_msb 0                        ;  msbs: dst=0 src0=0 src1=0 src2=0
	ds_load_b128 v[174:177], v7 offset:640
	ds_load_b128 v[182:185], v7 offset:656
	s_set_vgpr_msb 64                       ;  msbs: dst=1 src0=0 src1=0 src2=0
	s_clause 0x1
	scratch_load_b128 v[50:53] /*v[306:309]*/, off, off offset:400
	scratch_load_b128 v[58:61] /*v[314:317]*/, off, off offset:416
	s_set_vgpr_msb 0                        ;  msbs: dst=0 src0=0 src1=0 src2=0
	ds_load_b128 v[190:193], v7 offset:672
	ds_load_b128 v[198:201], v7 offset:688
	;; [unrolled: 1-line block ×9, first 2 shown]
	s_set_vgpr_msb 64                       ;  msbs: dst=1 src0=0 src1=0 src2=0
	ds_load_b128 v[6:9] /*v[262:265]*/, v7 offset:816
	ds_load_b128 v[46:49] /*v[302:305]*/, v7 offset:896
	;; [unrolled: 1-line block ×7, first 2 shown]
	s_clause 0x3
	scratch_load_b128 v[62:65] /*v[318:321]*/, off, off offset:432
	scratch_load_b128 v[66:69] /*v[322:325]*/, off, off offset:448
	;; [unrolled: 1-line block ×4, first 2 shown]
	s_mov_b32 s0, exec_lo
	s_wait_loadcnt_dscnt 0x1b17
	s_set_vgpr_msb 0                        ;  msbs: dst=0 src0=0 src1=0 src2=0
	v_dual_mul_f32 v9, v126, v143 :: v_dual_mul_f32 v11, v128, v145
	s_delay_alu instid0(VALU_DEP_1) | instskip(NEXT) | instid1(VALU_DEP_1)
	v_dual_fmac_f32 v9, v127, v142 :: v_dual_fmac_f32 v11, v129, v144
	v_add_f32_e32 v9, 0, v9
	s_delay_alu instid0(VALU_DEP_1) | instskip(SKIP_2) | instid1(VALU_DEP_1)
	v_add_f32_e32 v9, v9, v11
	s_wait_loadcnt_dscnt 0x1a16
	v_mul_f32_e32 v11, v130, v147
	v_fmac_f32_e32 v11, v131, v146
	s_delay_alu instid0(VALU_DEP_1)
	v_dual_add_f32 v9, v9, v11 :: v_dual_mul_f32 v11, v132, v149
	s_wait_loadcnt_dscnt 0x404
	s_set_vgpr_msb 0x45                     ;  msbs: dst=1 src0=1 src1=1 src2=0
	v_dual_mul_f32 v81 /*v337*/, v54 /*v310*/, v59 /*v315*/ :: v_dual_mul_f32 v83 /*v339*/, v56 /*v312*/, v61 /*v317*/
	s_set_vgpr_msb 0                        ;  msbs: dst=0 src0=0 src1=0 src2=0
	v_fmac_f32_e32 v11, v133, v148
	s_set_vgpr_msb 0x45                     ;  msbs: dst=1 src0=1 src1=1 src2=0
	s_delay_alu instid0(VALU_DEP_2) | instskip(SKIP_1) | instid1(VALU_DEP_2)
	v_dual_fmac_f32 v81 /*v337*/, v55 /*v311*/, v58 /*v314*/ :: v_dual_fmac_f32 v83 /*v339*/, v57 /*v313*/, v60 /*v316*/
	s_set_vgpr_msb 0                        ;  msbs: dst=0 src0=0 src1=0 src2=0
	v_add_f32_e32 v9, v9, v11
	v_mul_f32_e32 v11, v134, v151
	s_delay_alu instid0(VALU_DEP_1) | instskip(NEXT) | instid1(VALU_DEP_1)
	v_fmac_f32_e32 v11, v135, v150
	v_dual_add_f32 v9, v9, v11 :: v_dual_mul_f32 v11, v136, v153
	s_delay_alu instid0(VALU_DEP_1) | instskip(NEXT) | instid1(VALU_DEP_1)
	v_fmac_f32_e32 v11, v137, v152
	v_add_f32_e32 v9, v9, v11
	v_mul_f32_e32 v11, v138, v155
	s_delay_alu instid0(VALU_DEP_1) | instskip(NEXT) | instid1(VALU_DEP_1)
	v_fmac_f32_e32 v11, v139, v154
	v_dual_add_f32 v9, v9, v11 :: v_dual_mul_f32 v11, v140, v157
	s_delay_alu instid0(VALU_DEP_1) | instskip(NEXT) | instid1(VALU_DEP_1)
	v_fmac_f32_e32 v11, v141, v156
	;; [unrolled: 7-line block ×14, first 2 shown]
	v_add_f32_e32 v9, v9, v11
	s_set_vgpr_msb 4                        ;  msbs: dst=0 src0=0 src1=1 src2=0
	v_mul_f32_e32 v11, v254, v3 /*v259*/
	s_delay_alu instid0(VALU_DEP_1) | instskip(SKIP_1) | instid1(VALU_DEP_1)
	v_fmac_f32_e32 v11, v255, v2 /*v258*/
	s_set_vgpr_msb 0                        ;  msbs: dst=0 src0=0 src1=0 src2=0
	v_add_f32_e32 v9, v9, v11
	s_set_vgpr_msb 5                        ;  msbs: dst=0 src0=1 src1=1 src2=0
	v_mul_f32_e32 v11, v0 /*v256*/, v5 /*v261*/
	s_delay_alu instid0(VALU_DEP_1) | instskip(SKIP_1) | instid1(VALU_DEP_1)
	v_fmac_f32_e32 v11, v1 /*v257*/, v4 /*v260*/
	s_set_vgpr_msb 0                        ;  msbs: dst=0 src0=0 src1=0 src2=0
	v_add_f32_e32 v9, v9, v11
	s_set_vgpr_msb 5                        ;  msbs: dst=0 src0=1 src1=1 src2=0
	v_mul_f32_e32 v11, v6 /*v262*/, v11 /*v267*/
	s_delay_alu instid0(VALU_DEP_1) | instskip(SKIP_1) | instid1(VALU_DEP_1)
	v_fmac_f32_e32 v11, v7 /*v263*/, v10 /*v266*/
	;; [unrolled: 6-line block ×3, first 2 shown]
	s_set_vgpr_msb 0                        ;  msbs: dst=0 src0=0 src1=0 src2=0
	v_add_f32_e32 v9, v9, v11
	s_wait_dscnt 0x3
	s_set_vgpr_msb 5                        ;  msbs: dst=0 src0=1 src1=1 src2=0
	v_mul_f32_e32 v11, v14 /*v270*/, v19 /*v275*/
	s_delay_alu instid0(VALU_DEP_1) | instskip(SKIP_1) | instid1(VALU_DEP_1)
	v_fmac_f32_e32 v11, v15 /*v271*/, v18 /*v274*/
	s_set_vgpr_msb 0                        ;  msbs: dst=0 src0=0 src1=0 src2=0
	v_add_f32_e32 v9, v9, v11
	s_set_vgpr_msb 5                        ;  msbs: dst=0 src0=1 src1=1 src2=0
	v_mul_f32_e32 v11, v16 /*v272*/, v21 /*v277*/
	s_delay_alu instid0(VALU_DEP_1) | instskip(SKIP_1) | instid1(VALU_DEP_1)
	v_fmac_f32_e32 v11, v17 /*v273*/, v20 /*v276*/
	s_set_vgpr_msb 0                        ;  msbs: dst=0 src0=0 src1=0 src2=0
	v_add_f32_e32 v9, v9, v11
	s_wait_dscnt 0x2
	s_set_vgpr_msb 5                        ;  msbs: dst=0 src0=1 src1=1 src2=0
	v_mul_f32_e32 v11, v22 /*v278*/, v27 /*v283*/
	s_delay_alu instid0(VALU_DEP_1) | instskip(SKIP_1) | instid1(VALU_DEP_1)
	v_fmac_f32_e32 v11, v23 /*v279*/, v26 /*v282*/
	s_set_vgpr_msb 0                        ;  msbs: dst=0 src0=0 src1=0 src2=0
	v_add_f32_e32 v9, v9, v11
	s_set_vgpr_msb 5                        ;  msbs: dst=0 src0=1 src1=1 src2=0
	v_mul_f32_e32 v11, v24 /*v280*/, v29 /*v285*/
	s_delay_alu instid0(VALU_DEP_1) | instskip(SKIP_1) | instid1(VALU_DEP_1)
	v_fmac_f32_e32 v11, v25 /*v281*/, v28 /*v284*/
	;; [unrolled: 13-line block ×4, first 2 shown]
	s_set_vgpr_msb 0                        ;  msbs: dst=0 src0=0 src1=0 src2=0
	v_add_f32_e32 v9, v9, v11
	s_set_vgpr_msb 5                        ;  msbs: dst=0 src0=1 src1=1 src2=0
	v_mul_f32_e32 v11, v46 /*v302*/, v51 /*v307*/
	s_delay_alu instid0(VALU_DEP_1) | instskip(SKIP_1) | instid1(VALU_DEP_1)
	v_fmac_f32_e32 v11, v47 /*v303*/, v50 /*v306*/
	s_set_vgpr_msb 0                        ;  msbs: dst=0 src0=0 src1=0 src2=0
	v_add_f32_e32 v9, v9, v11
	s_set_vgpr_msb 5                        ;  msbs: dst=0 src0=1 src1=1 src2=0
	v_mul_f32_e32 v11, v48 /*v304*/, v53 /*v309*/
	s_delay_alu instid0(VALU_DEP_1) | instskip(SKIP_1) | instid1(VALU_DEP_1)
	v_fmac_f32_e32 v11, v49 /*v305*/, v52 /*v308*/
	s_set_vgpr_msb 64                       ;  msbs: dst=1 src0=0 src1=0 src2=0
	v_add_f32_e32 v79 /*v335*/, v9, v11
	s_set_vgpr_msb 0                        ;  msbs: dst=0 src0=0 src1=0 src2=0
	v_dual_mul_f32 v9, v127, v143 :: v_dual_mul_f32 v11, v129, v145
	s_delay_alu instid0(VALU_DEP_1) | instskip(NEXT) | instid1(VALU_DEP_1)
	v_dual_fma_f32 v9, v126, v142, -v9 :: v_dual_fma_f32 v11, v128, v144, -v11
	v_add_f32_e32 v9, 0, v9
	s_delay_alu instid0(VALU_DEP_1) | instskip(SKIP_1) | instid1(VALU_DEP_1)
	v_add_f32_e32 v9, v9, v11
	v_mul_f32_e32 v11, v131, v147
	v_fma_f32 v11, v130, v146, -v11
	s_delay_alu instid0(VALU_DEP_1) | instskip(SKIP_1) | instid1(VALU_DEP_1)
	v_add_f32_e32 v9, v9, v11
	v_mul_f32_e32 v11, v133, v149
	v_fma_f32 v11, v132, v148, -v11
	;; [unrolled: 4-line block ×6, first 2 shown]
	ds_load_b128 v[126:129], v7 offset:928
	ds_load_b128 v[130:133], v7 offset:944
	;; [unrolled: 1-line block ×4, first 2 shown]
	v_add_f32_e32 v9, v9, v11
	v_mul_f32_e32 v11, v159, v163
	s_delay_alu instid0(VALU_DEP_1) | instskip(NEXT) | instid1(VALU_DEP_1)
	v_fma_f32 v11, v158, v162, -v11
	v_add_f32_e32 v9, v9, v11
	v_mul_f32_e32 v11, v161, v165
	s_wait_loadcnt_dscnt 0x303
	s_set_vgpr_msb 4                        ;  msbs: dst=0 src0=0 src1=1 src2=0
	v_pk_mul_f32 v[144:145], v[126:127], v[62:63] /*v[318:319]*/ op_sel:[1,1] op_sel_hi:[0,1]
	s_set_vgpr_msb 0                        ;  msbs: dst=0 src0=0 src1=0 src2=0
	v_fma_f32 v11, v160, v164, -v11
	s_set_vgpr_msb 4                        ;  msbs: dst=0 src0=0 src1=1 src2=0
	s_delay_alu instid0(VALU_DEP_2)
	v_pk_fma_f32 v[146:147], v[126:127], v[62:63] /*v[318:319]*/, v[144:145] neg_lo:[0,0,1] neg_hi:[0,0,1]
	v_pk_fma_f32 v[126:127], v[126:127], v[62:63] /*v[318:319]*/, v[144:145] op_sel_hi:[1,0,1]
	s_set_vgpr_msb 1                        ;  msbs: dst=0 src0=1 src1=0 src2=0
	v_mov_b32_e32 v144, v65 /*v321*/
	s_set_vgpr_msb 0                        ;  msbs: dst=0 src0=0 src1=0 src2=0
	v_add_f32_e32 v9, v9, v11
	v_mul_f32_e32 v11, v167, v171
	s_delay_alu instid0(VALU_DEP_1) | instskip(NEXT) | instid1(VALU_DEP_1)
	v_dual_mov_b32 v147, v127 :: v_dual_fma_f32 v11, v166, v170, -v11
	v_add_f32_e32 v9, v9, v11
	v_mul_f32_e32 v11, v169, v173
	s_delay_alu instid0(VALU_DEP_1) | instskip(NEXT) | instid1(VALU_DEP_1)
	v_fma_f32 v11, v168, v172, -v11
	v_add_f32_e32 v9, v9, v11
	v_mul_f32_e32 v11, v175, v179
	s_delay_alu instid0(VALU_DEP_1) | instskip(NEXT) | instid1(VALU_DEP_1)
	v_fma_f32 v11, v174, v178, -v11
	;; [unrolled: 4-line block ×21, first 2 shown]
	v_add_f32_e32 v9, v9, v11
	s_set_vgpr_msb 4                        ;  msbs: dst=0 src0=0 src1=1 src2=0
	v_mul_f32_e32 v11, v255, v3 /*v259*/
	s_delay_alu instid0(VALU_DEP_1) | instskip(SKIP_1) | instid1(VALU_DEP_1)
	v_fma_f32 v11, v254, v2 /*v258*/, -v11
	s_set_vgpr_msb 0                        ;  msbs: dst=0 src0=0 src1=0 src2=0
	v_add_f32_e32 v9, v9, v11
	s_set_vgpr_msb 5                        ;  msbs: dst=0 src0=1 src1=1 src2=0
	v_mul_f32_e32 v11, v1 /*v257*/, v5 /*v261*/
	s_delay_alu instid0(VALU_DEP_1) | instskip(SKIP_1) | instid1(VALU_DEP_1)
	v_fma_f32 v11, v0 /*v256*/, v4 /*v260*/, -v11
	s_set_vgpr_msb 0                        ;  msbs: dst=0 src0=0 src1=0 src2=0
	v_add_f32_e32 v9, v9, v11
	s_set_vgpr_msb 5                        ;  msbs: dst=0 src0=1 src1=1 src2=0
	v_mul_f32_e32 v11, v7 /*v263*/, v11 /*v267*/
	s_delay_alu instid0(VALU_DEP_1) | instskip(SKIP_1) | instid1(VALU_DEP_1)
	v_fma_f32 v11, v6 /*v262*/, v10 /*v266*/, -v11
	;; [unrolled: 6-line block ×13, first 2 shown]
	s_set_vgpr_msb 64                       ;  msbs: dst=1 src0=0 src1=0 src2=0
	v_add_f32_e32 v78 /*v334*/, v9, v11
	s_set_vgpr_msb 5                        ;  msbs: dst=0 src0=1 src1=1 src2=0
	v_mul_f32_e32 v9, v55 /*v311*/, v59 /*v315*/
	s_set_vgpr_msb 0x45                     ;  msbs: dst=1 src0=1 src1=1 src2=0
	s_delay_alu instid0(VALU_DEP_1) | instskip(SKIP_3) | instid1(VALU_DEP_1)
	v_fma_f32 v80 /*v336*/, v54 /*v310*/, v58 /*v314*/, -v9
	s_set_vgpr_msb 5                        ;  msbs: dst=0 src0=1 src1=1 src2=0
	v_mul_f32_e32 v9, v57 /*v313*/, v61 /*v317*/
	s_set_vgpr_msb 0x45                     ;  msbs: dst=1 src0=1 src1=1 src2=0
	v_fma_f32 v82 /*v338*/, v56 /*v312*/, v60 /*v316*/, -v9
	s_set_vgpr_msb 5                        ;  msbs: dst=0 src0=1 src1=1 src2=0
	v_pk_add_f32 v[142:143], v[78:79] /*v[334:335]*/, v[80:81] /*v[336:337]*/
	s_set_vgpr_msb 4                        ;  msbs: dst=0 src0=0 src1=1 src2=0
	s_delay_alu instid0(VALU_DEP_1) | instskip(SKIP_1) | instid1(VALU_DEP_1)
	v_pk_add_f32 v[142:143], v[142:143], v[82:83] /*v[338:339]*/
	s_set_vgpr_msb 0                        ;  msbs: dst=0 src0=0 src1=0 src2=0
	v_pk_add_f32 v[126:127], v[142:143], v[146:147]
	v_dual_mov_b32 v142, v129 :: v_dual_mov_b32 v143, v128
	s_delay_alu instid0(VALU_DEP_1) | instskip(SKIP_1) | instid1(VALU_DEP_1)
	v_pk_mul_f32 v[142:143], v[142:143], v[144:145] op_sel_hi:[1,0]
	s_set_vgpr_msb 4                        ;  msbs: dst=0 src0=0 src1=1 src2=0
	v_pk_fma_f32 v[144:145], v[128:129], v[64:65] /*v[320:321]*/, v[142:143] neg_lo:[0,0,1] neg_hi:[0,0,1]
	v_pk_fma_f32 v[128:129], v[128:129], v[64:65] /*v[320:321]*/, v[142:143] op_sel_hi:[1,0,1]
	s_delay_alu instid0(VALU_DEP_1) | instskip(SKIP_3) | instid1(VALU_DEP_2)
	v_mov_b32_e32 v145, v129
	s_wait_loadcnt_dscnt 0x202
	v_pk_mul_f32 v[128:129], v[130:131], v[66:67] /*v[322:323]*/ op_sel:[1,1] op_sel_hi:[0,1]
	s_set_vgpr_msb 0                        ;  msbs: dst=0 src0=0 src1=0 src2=0
	v_pk_add_f32 v[126:127], v[126:127], v[144:145]
	s_set_vgpr_msb 4                        ;  msbs: dst=0 src0=0 src1=1 src2=0
	s_delay_alu instid0(VALU_DEP_2)
	v_pk_fma_f32 v[142:143], v[130:131], v[66:67] /*v[322:323]*/, v[128:129] neg_lo:[0,0,1] neg_hi:[0,0,1]
	v_pk_fma_f32 v[128:129], v[130:131], v[66:67] /*v[322:323]*/, v[128:129] op_sel_hi:[1,0,1]
	v_mov_b32_e32 v128, v133
	s_set_vgpr_msb 1                        ;  msbs: dst=0 src0=1 src1=0 src2=0
	v_mov_b32_e32 v130, v69 /*v325*/
	s_set_vgpr_msb 0                        ;  msbs: dst=0 src0=0 src1=0 src2=0
	v_dual_mov_b32 v143, v129 :: v_dual_mov_b32 v129, v132
	s_delay_alu instid0(VALU_DEP_1) | instskip(NEXT) | instid1(VALU_DEP_2)
	v_pk_add_f32 v[126:127], v[126:127], v[142:143]
	v_pk_mul_f32 v[128:129], v[128:129], v[130:131] op_sel_hi:[1,0]
	s_set_vgpr_msb 4                        ;  msbs: dst=0 src0=0 src1=1 src2=0
	s_delay_alu instid0(VALU_DEP_1) | instskip(SKIP_1) | instid1(VALU_DEP_1)
	v_pk_fma_f32 v[130:131], v[132:133], v[68:69] /*v[324:325]*/, v[128:129] neg_lo:[0,0,1] neg_hi:[0,0,1]
	v_pk_fma_f32 v[128:129], v[132:133], v[68:69] /*v[324:325]*/, v[128:129] op_sel_hi:[1,0,1]
	v_mov_b32_e32 v131, v129
	s_wait_loadcnt_dscnt 0x101
	v_pk_mul_f32 v[128:129], v[134:135], v[70:71] /*v[326:327]*/ op_sel:[1,1] op_sel_hi:[0,1]
	s_set_vgpr_msb 0                        ;  msbs: dst=0 src0=0 src1=0 src2=0
	s_delay_alu instid0(VALU_DEP_2) | instskip(SKIP_1) | instid1(VALU_DEP_2)
	v_pk_add_f32 v[126:127], v[126:127], v[130:131]
	s_set_vgpr_msb 4                        ;  msbs: dst=0 src0=0 src1=1 src2=0
	v_pk_fma_f32 v[130:131], v[134:135], v[70:71] /*v[326:327]*/, v[128:129] neg_lo:[0,0,1] neg_hi:[0,0,1]
	v_pk_fma_f32 v[128:129], v[134:135], v[70:71] /*v[326:327]*/, v[128:129] op_sel_hi:[1,0,1]
	s_delay_alu instid0(VALU_DEP_1) | instskip(SKIP_2) | instid1(VALU_DEP_2)
	v_dual_mov_b32 v128, v137 :: v_dual_mov_b32 v131, v129
	v_mov_b32_e32 v129, v136
	s_set_vgpr_msb 0                        ;  msbs: dst=0 src0=0 src1=0 src2=0
	v_pk_add_f32 v[126:127], v[126:127], v[130:131]
	s_set_vgpr_msb 1                        ;  msbs: dst=0 src0=1 src1=0 src2=0
	v_mov_b32_e32 v130, v73 /*v329*/
	s_set_vgpr_msb 0                        ;  msbs: dst=0 src0=0 src1=0 src2=0
	s_delay_alu instid0(VALU_DEP_1) | instskip(SKIP_1) | instid1(VALU_DEP_1)
	v_pk_mul_f32 v[128:129], v[128:129], v[130:131] op_sel_hi:[1,0]
	s_set_vgpr_msb 4                        ;  msbs: dst=0 src0=0 src1=1 src2=0
	v_pk_fma_f32 v[130:131], v[136:137], v[72:73] /*v[328:329]*/, v[128:129] neg_lo:[0,0,1] neg_hi:[0,0,1]
	v_pk_fma_f32 v[128:129], v[136:137], v[72:73] /*v[328:329]*/, v[128:129] op_sel_hi:[1,0,1]
	s_delay_alu instid0(VALU_DEP_1) | instskip(SKIP_3) | instid1(VALU_DEP_2)
	v_mov_b32_e32 v131, v129
	s_wait_loadcnt_dscnt 0x0
	v_pk_mul_f32 v[128:129], v[138:139], v[74:75] /*v[330:331]*/ op_sel:[1,1] op_sel_hi:[0,1]
	s_set_vgpr_msb 0                        ;  msbs: dst=0 src0=0 src1=0 src2=0
	v_pk_add_f32 v[126:127], v[126:127], v[130:131]
	s_set_vgpr_msb 4                        ;  msbs: dst=0 src0=0 src1=1 src2=0
	s_delay_alu instid0(VALU_DEP_2) | instskip(SKIP_1) | instid1(VALU_DEP_1)
	v_pk_fma_f32 v[130:131], v[138:139], v[74:75] /*v[330:331]*/, v[128:129] neg_lo:[0,0,1] neg_hi:[0,0,1]
	v_pk_fma_f32 v[128:129], v[138:139], v[74:75] /*v[330:331]*/, v[128:129] op_sel_hi:[1,0,1]
	v_dual_mov_b32 v128, v141 :: v_dual_mov_b32 v131, v129
	v_mov_b32_e32 v129, v140
	s_set_vgpr_msb 0                        ;  msbs: dst=0 src0=0 src1=0 src2=0
	s_delay_alu instid0(VALU_DEP_2) | instskip(SKIP_3) | instid1(VALU_DEP_1)
	v_pk_add_f32 v[126:127], v[126:127], v[130:131]
	s_set_vgpr_msb 1                        ;  msbs: dst=0 src0=1 src1=0 src2=0
	v_mov_b32_e32 v130, v77 /*v333*/
	s_set_vgpr_msb 0                        ;  msbs: dst=0 src0=0 src1=0 src2=0
	v_pk_mul_f32 v[128:129], v[128:129], v[130:131] op_sel_hi:[1,0]
	s_set_vgpr_msb 4                        ;  msbs: dst=0 src0=0 src1=1 src2=0
	s_delay_alu instid0(VALU_DEP_1) | instskip(SKIP_1) | instid1(VALU_DEP_1)
	v_pk_fma_f32 v[130:131], v[140:141], v[76:77] /*v[332:333]*/, v[128:129] neg_lo:[0,0,1] neg_hi:[0,0,1]
	v_pk_fma_f32 v[128:129], v[140:141], v[76:77] /*v[332:333]*/, v[128:129] op_sel_hi:[1,0,1]
	v_mov_b32_e32 v131, v129
	scratch_load_b64 v[128:129], off, off offset:40
	s_set_vgpr_msb 0                        ;  msbs: dst=0 src0=0 src1=0 src2=0
	v_pk_add_f32 v[126:127], v[126:127], v[130:131]
	s_wait_loadcnt 0x0
	s_delay_alu instid0(VALU_DEP_1)
	v_pk_add_f32 v[126:127], v[128:129], v[126:127] neg_lo:[0,1] neg_hi:[0,1]
	scratch_store_b64 off, v[126:127], off offset:40
	s_wait_xcnt 0x0
	v_cmpx_lt_u32_e32 4, v0
	s_cbranch_execz .LBB125_377
; %bb.376:
	scratch_load_b64 v[126:127], off, off offset:32
	v_mov_b64_e32 v[128:129], 0
	scratch_store_b64 off, v[128:129], off offset:32
	s_wait_loadcnt 0x0
	ds_store_b64 v1, v[126:127]
.LBB125_377:
	s_wait_xcnt 0x0
	s_or_b32 exec_lo, exec_lo, s0
	s_wait_storecnt_dscnt 0x0
	s_barrier_signal -1
	s_barrier_wait -1
	s_clause 0xf
	scratch_load_b128 v[130:133], off, off offset:40
	scratch_load_b128 v[138:141], off, off offset:56
	;; [unrolled: 1-line block ×16, first 2 shown]
	v_mov_b32_e32 v7, 0
	s_set_vgpr_msb 64                       ;  msbs: dst=1 src0=0 src1=0 src2=0
	s_clause 0x3
	scratch_load_b128 v[2:5] /*v[258:261]*/, off, off offset:296
	scratch_load_b128 v[10:13] /*v[266:269]*/, off, off offset:312
	;; [unrolled: 1-line block ×4, first 2 shown]
	s_set_vgpr_msb 0                        ;  msbs: dst=0 src0=0 src1=0 src2=0
	ds_load_2addr_b64 v[126:129], v7 offset0:67 offset1:68
	ds_load_2addr_b64 v[134:137], v7 offset0:69 offset1:70
	s_set_vgpr_msb 64                       ;  msbs: dst=1 src0=0 src1=0 src2=0
	s_clause 0x4
	scratch_load_b128 v[34:37] /*v[290:293]*/, off, off offset:360
	scratch_load_b128 v[42:45] /*v[298:301]*/, off, off offset:376
	;; [unrolled: 1-line block ×5, first 2 shown]
	s_mov_b32 s0, exec_lo
	s_wait_loadcnt_dscnt 0x1801
	s_set_vgpr_msb 0                        ;  msbs: dst=0 src0=0 src1=0 src2=0
	v_dual_mul_f32 v9, v126, v131 :: v_dual_mul_f32 v11, v128, v133
	ds_load_2addr_b64 v[142:145], v7 offset0:71 offset1:72
	ds_load_2addr_b64 v[150:153], v7 offset0:73 offset1:74
	;; [unrolled: 1-line block ×4, first 2 shown]
	v_dual_fmac_f32 v9, v127, v130 :: v_dual_fmac_f32 v11, v129, v132
	ds_load_2addr_b64 v[174:177], v7 offset0:79 offset1:80
	ds_load_2addr_b64 v[182:185], v7 offset0:81 offset1:82
	ds_load_2addr_b64 v[190:193], v7 offset0:83 offset1:84
	ds_load_2addr_b64 v[198:201], v7 offset0:85 offset1:86
	v_add_f32_e32 v9, 0, v9
	ds_load_2addr_b64 v[206:209], v7 offset0:87 offset1:88
	ds_load_2addr_b64 v[214:217], v7 offset0:89 offset1:90
	;; [unrolled: 1-line block ×4, first 2 shown]
	v_add_f32_e32 v9, v9, v11
	s_wait_loadcnt_dscnt 0x170c
	v_mul_f32_e32 v11, v134, v139
	ds_load_2addr_b64 v[238:241], v7 offset0:95 offset1:96
	ds_load_2addr_b64 v[246:249], v7 offset0:97 offset1:98
	;; [unrolled: 1-line block ×3, first 2 shown]
	s_set_vgpr_msb 64                       ;  msbs: dst=1 src0=0 src1=0 src2=0
	ds_load_2addr_b64 v[6:9] /*v[262:265]*/, v7 offset0:101 offset1:102
	s_set_vgpr_msb 0                        ;  msbs: dst=0 src0=0 src1=0 src2=0
	v_fmac_f32_e32 v11, v135, v138
	s_set_vgpr_msb 64                       ;  msbs: dst=1 src0=0 src1=0 src2=0
	ds_load_2addr_b64 v[62:65] /*v[318:321]*/, v7 offset0:115 offset1:116
	ds_load_2addr_b64 v[14:17] /*v[270:273]*/, v7 offset0:103 offset1:104
	;; [unrolled: 1-line block ×5, first 2 shown]
	s_set_vgpr_msb 0                        ;  msbs: dst=0 src0=0 src1=0 src2=0
	v_dual_add_f32 v9, v9, v11 :: v_dual_mul_f32 v11, v136, v141
	s_set_vgpr_msb 64                       ;  msbs: dst=1 src0=0 src1=0 src2=0
	ds_load_2addr_b64 v[30:33] /*v[286:289]*/, v7 offset0:107 offset1:108
	ds_load_2addr_b64 v[38:41] /*v[294:297]*/, v7 offset0:109 offset1:110
	s_clause 0x3
	scratch_load_b128 v[70:73] /*v[326:329]*/, off, off offset:440
	scratch_load_b128 v[74:77] /*v[330:333]*/, off, off offset:456
	scratch_load_b128 v[78:81] /*v[334:337]*/, off, off offset:472
	scratch_load_b64 v[88:89] /*v[344:345]*/, off, off offset:488
	s_set_vgpr_msb 0                        ;  msbs: dst=0 src0=0 src1=0 src2=0
	v_fmac_f32_e32 v11, v137, v140
	s_delay_alu instid0(VALU_DEP_1)
	v_add_f32_e32 v9, v9, v11
	s_wait_loadcnt_dscnt 0x1a16
	v_mul_f32_e32 v11, v142, v147
	s_wait_loadcnt_dscnt 0x406
	s_set_vgpr_msb 0x45                     ;  msbs: dst=1 src0=1 src1=1 src2=0
	v_mul_f32_e32 v87 /*v343*/, v62 /*v318*/, v67 /*v323*/
	s_set_vgpr_msb 0                        ;  msbs: dst=0 src0=0 src1=0 src2=0
	v_fmac_f32_e32 v11, v143, v146
	s_wait_dscnt 0x2
	s_set_vgpr_msb 0x45                     ;  msbs: dst=1 src0=1 src1=1 src2=0
	v_dual_mul_f32 v85 /*v341*/, v56 /*v312*/, v61 /*v317*/ :: v_dual_fmac_f32 v87 /*v343*/, v63 /*v319*/, v66 /*v322*/
	s_set_vgpr_msb 0                        ;  msbs: dst=0 src0=0 src1=0 src2=0
	v_dual_add_f32 v9, v9, v11 :: v_dual_mul_f32 v11, v144, v149
	s_set_vgpr_msb 0x45                     ;  msbs: dst=1 src0=1 src1=1 src2=0
	s_delay_alu instid0(VALU_DEP_2) | instskip(SKIP_1) | instid1(VALU_DEP_2)
	v_fmac_f32_e32 v85 /*v341*/, v57 /*v313*/, v60 /*v316*/
	s_set_vgpr_msb 0                        ;  msbs: dst=0 src0=0 src1=0 src2=0
	v_fmac_f32_e32 v11, v145, v148
	s_delay_alu instid0(VALU_DEP_1) | instskip(SKIP_1) | instid1(VALU_DEP_1)
	v_add_f32_e32 v9, v9, v11
	v_mul_f32_e32 v11, v150, v155
	v_fmac_f32_e32 v11, v151, v154
	s_delay_alu instid0(VALU_DEP_1) | instskip(NEXT) | instid1(VALU_DEP_1)
	v_dual_add_f32 v9, v9, v11 :: v_dual_mul_f32 v11, v152, v157
	v_fmac_f32_e32 v11, v153, v156
	s_delay_alu instid0(VALU_DEP_1) | instskip(SKIP_1) | instid1(VALU_DEP_1)
	v_add_f32_e32 v9, v9, v11
	v_mul_f32_e32 v11, v158, v163
	v_fmac_f32_e32 v11, v159, v162
	s_delay_alu instid0(VALU_DEP_1) | instskip(NEXT) | instid1(VALU_DEP_1)
	v_dual_add_f32 v9, v9, v11 :: v_dual_mul_f32 v11, v160, v165
	;; [unrolled: 7-line block ×13, first 2 shown]
	v_fmac_f32_e32 v11, v249, v252
	s_delay_alu instid0(VALU_DEP_1) | instskip(SKIP_2) | instid1(VALU_DEP_1)
	v_add_f32_e32 v9, v9, v11
	s_set_vgpr_msb 4                        ;  msbs: dst=0 src0=0 src1=1 src2=0
	v_mul_f32_e32 v11, v254, v3 /*v259*/
	v_fmac_f32_e32 v11, v255, v2 /*v258*/
	s_set_vgpr_msb 0                        ;  msbs: dst=0 src0=0 src1=0 src2=0
	s_delay_alu instid0(VALU_DEP_1) | instskip(SKIP_2) | instid1(VALU_DEP_1)
	v_add_f32_e32 v9, v9, v11
	s_set_vgpr_msb 5                        ;  msbs: dst=0 src0=1 src1=1 src2=0
	v_mul_f32_e32 v11, v0 /*v256*/, v5 /*v261*/
	v_fmac_f32_e32 v11, v1 /*v257*/, v4 /*v260*/
	s_set_vgpr_msb 0                        ;  msbs: dst=0 src0=0 src1=0 src2=0
	s_delay_alu instid0(VALU_DEP_1) | instskip(SKIP_2) | instid1(VALU_DEP_1)
	v_add_f32_e32 v9, v9, v11
	s_set_vgpr_msb 5                        ;  msbs: dst=0 src0=1 src1=1 src2=0
	v_mul_f32_e32 v11, v6 /*v262*/, v11 /*v267*/
	v_fmac_f32_e32 v11, v7 /*v263*/, v10 /*v266*/
	;; [unrolled: 6-line block ×7, first 2 shown]
	s_set_vgpr_msb 0                        ;  msbs: dst=0 src0=0 src1=0 src2=0
	s_delay_alu instid0(VALU_DEP_1) | instskip(SKIP_3) | instid1(VALU_DEP_1)
	v_add_f32_e32 v9, v9, v11
	s_wait_dscnt 0x1
	s_set_vgpr_msb 5                        ;  msbs: dst=0 src0=1 src1=1 src2=0
	v_mul_f32_e32 v11, v30 /*v286*/, v35 /*v291*/
	v_fmac_f32_e32 v11, v31 /*v287*/, v34 /*v290*/
	s_set_vgpr_msb 0                        ;  msbs: dst=0 src0=0 src1=0 src2=0
	s_delay_alu instid0(VALU_DEP_1) | instskip(SKIP_2) | instid1(VALU_DEP_1)
	v_add_f32_e32 v9, v9, v11
	s_set_vgpr_msb 5                        ;  msbs: dst=0 src0=1 src1=1 src2=0
	v_mul_f32_e32 v11, v32 /*v288*/, v37 /*v293*/
	v_fmac_f32_e32 v11, v33 /*v289*/, v36 /*v292*/
	s_set_vgpr_msb 0                        ;  msbs: dst=0 src0=0 src1=0 src2=0
	s_delay_alu instid0(VALU_DEP_1) | instskip(SKIP_3) | instid1(VALU_DEP_1)
	v_add_f32_e32 v9, v9, v11
	s_wait_dscnt 0x0
	s_set_vgpr_msb 5                        ;  msbs: dst=0 src0=1 src1=1 src2=0
	v_mul_f32_e32 v11, v38 /*v294*/, v43 /*v299*/
	v_fmac_f32_e32 v11, v39 /*v295*/, v42 /*v298*/
	s_set_vgpr_msb 0                        ;  msbs: dst=0 src0=0 src1=0 src2=0
	s_delay_alu instid0(VALU_DEP_1) | instskip(SKIP_2) | instid1(VALU_DEP_1)
	v_add_f32_e32 v9, v9, v11
	s_set_vgpr_msb 5                        ;  msbs: dst=0 src0=1 src1=1 src2=0
	v_mul_f32_e32 v11, v40 /*v296*/, v45 /*v301*/
	v_fmac_f32_e32 v11, v41 /*v297*/, v44 /*v300*/
	s_set_vgpr_msb 0                        ;  msbs: dst=0 src0=0 src1=0 src2=0
	s_delay_alu instid0(VALU_DEP_1) | instskip(SKIP_2) | instid1(VALU_DEP_1)
	v_add_f32_e32 v9, v9, v11
	;; [unrolled: 6-line block ×4, first 2 shown]
	s_set_vgpr_msb 5                        ;  msbs: dst=0 src0=1 src1=1 src2=0
	v_mul_f32_e32 v11, v54 /*v310*/, v59 /*v315*/
	v_fmac_f32_e32 v11, v55 /*v311*/, v58 /*v314*/
	s_set_vgpr_msb 64                       ;  msbs: dst=1 src0=0 src1=0 src2=0
	s_delay_alu instid0(VALU_DEP_1) | instskip(SKIP_2) | instid1(VALU_DEP_1)
	v_add_f32_e32 v83 /*v339*/, v9, v11
	s_set_vgpr_msb 0                        ;  msbs: dst=0 src0=0 src1=0 src2=0
	v_dual_mul_f32 v9, v127, v131 :: v_dual_mul_f32 v11, v129, v133
	v_dual_fma_f32 v9, v126, v130, -v9 :: v_dual_fma_f32 v11, v128, v132, -v11
	s_delay_alu instid0(VALU_DEP_1) | instskip(NEXT) | instid1(VALU_DEP_1)
	v_add_f32_e32 v9, 0, v9
	v_add_f32_e32 v9, v9, v11
	v_mul_f32_e32 v11, v135, v139
	s_delay_alu instid0(VALU_DEP_1) | instskip(NEXT) | instid1(VALU_DEP_1)
	v_fma_f32 v11, v134, v138, -v11
	v_add_f32_e32 v9, v9, v11
	v_mul_f32_e32 v11, v137, v141
	s_delay_alu instid0(VALU_DEP_1)
	v_fma_f32 v11, v136, v140, -v11
	ds_load_2addr_b64 v[126:129], v7 offset0:117 offset1:118
	ds_load_2addr_b64 v[130:133], v7 offset0:119 offset1:120
	;; [unrolled: 1-line block ×3, first 2 shown]
	ds_load_b64 v[138:139], v7 offset:984
	v_add_f32_e32 v9, v9, v11
	v_mul_f32_e32 v11, v143, v147
	s_set_vgpr_msb 1                        ;  msbs: dst=0 src0=1 src1=0 src2=0
	v_mov_b32_e32 v143, v64 /*v320*/
	s_set_vgpr_msb 0                        ;  msbs: dst=0 src0=0 src1=0 src2=0
	s_delay_alu instid0(VALU_DEP_2) | instskip(SKIP_3) | instid1(VALU_DEP_2)
	v_fma_f32 v11, v142, v146, -v11
	s_set_vgpr_msb 1                        ;  msbs: dst=0 src0=1 src1=0 src2=0
	v_mov_b32_e32 v142, v65 /*v321*/
	s_set_vgpr_msb 0                        ;  msbs: dst=0 src0=0 src1=0 src2=0
	v_add_f32_e32 v9, v9, v11
	v_mul_f32_e32 v11, v145, v149
	s_delay_alu instid0(VALU_DEP_1) | instskip(SKIP_3) | instid1(VALU_DEP_2)
	v_fma_f32 v11, v144, v148, -v11
	s_set_vgpr_msb 1                        ;  msbs: dst=0 src0=1 src1=0 src2=0
	v_mov_b32_e32 v144, v69 /*v325*/
	s_set_vgpr_msb 0                        ;  msbs: dst=0 src0=0 src1=0 src2=0
	v_add_f32_e32 v9, v9, v11
	v_mul_f32_e32 v11, v151, v155
	s_delay_alu instid0(VALU_DEP_3) | instskip(NEXT) | instid1(VALU_DEP_2)
	v_pk_mul_f32 v[142:143], v[142:143], v[144:145] op_sel_hi:[1,0]
	v_fma_f32 v11, v150, v154, -v11
	s_set_vgpr_msb 5                        ;  msbs: dst=0 src0=1 src1=1 src2=0
	s_delay_alu instid0(VALU_DEP_2) | instskip(SKIP_3) | instid1(VALU_DEP_2)
	v_pk_fma_f32 v[144:145], v[64:65] /*v[320:321]*/, v[68:69] /*v[324:325]*/, v[142:143] neg_lo:[0,0,1] neg_hi:[0,0,1]
	v_pk_fma_f32 v[142:143], v[64:65] /*v[320:321]*/, v[68:69] /*v[324:325]*/, v[142:143] op_sel_hi:[1,0,1]
	s_set_vgpr_msb 0                        ;  msbs: dst=0 src0=0 src1=0 src2=0
	v_add_f32_e32 v9, v9, v11
	v_dual_mul_f32 v11, v153, v157 :: v_dual_mov_b32 v145, v143
	s_wait_loadcnt_dscnt 0x303
	s_set_vgpr_msb 4                        ;  msbs: dst=0 src0=0 src1=1 src2=0
	v_pk_mul_f32 v[142:143], v[126:127], v[70:71] /*v[326:327]*/ op_sel:[1,1] op_sel_hi:[0,1]
	s_set_vgpr_msb 0                        ;  msbs: dst=0 src0=0 src1=0 src2=0
	v_fma_f32 v11, v152, v156, -v11
	s_delay_alu instid0(VALU_DEP_1) | instskip(SKIP_1) | instid1(VALU_DEP_1)
	v_add_f32_e32 v9, v9, v11
	v_mul_f32_e32 v11, v159, v163
	v_fma_f32 v11, v158, v162, -v11
	s_delay_alu instid0(VALU_DEP_1) | instskip(SKIP_1) | instid1(VALU_DEP_1)
	v_add_f32_e32 v9, v9, v11
	v_mul_f32_e32 v11, v161, v165
	;; [unrolled: 4-line block ×24, first 2 shown]
	v_fma_f32 v11, v248, v252, -v11
	s_delay_alu instid0(VALU_DEP_1) | instskip(SKIP_2) | instid1(VALU_DEP_1)
	v_add_f32_e32 v9, v9, v11
	s_set_vgpr_msb 4                        ;  msbs: dst=0 src0=0 src1=1 src2=0
	v_mul_f32_e32 v11, v255, v3 /*v259*/
	v_fma_f32 v11, v254, v2 /*v258*/, -v11
	s_set_vgpr_msb 0                        ;  msbs: dst=0 src0=0 src1=0 src2=0
	s_delay_alu instid0(VALU_DEP_1) | instskip(SKIP_2) | instid1(VALU_DEP_1)
	v_add_f32_e32 v9, v9, v11
	s_set_vgpr_msb 5                        ;  msbs: dst=0 src0=1 src1=1 src2=0
	v_mul_f32_e32 v11, v1 /*v257*/, v5 /*v261*/
	v_fma_f32 v11, v0 /*v256*/, v4 /*v260*/, -v11
	s_set_vgpr_msb 0                        ;  msbs: dst=0 src0=0 src1=0 src2=0
	s_delay_alu instid0(VALU_DEP_1) | instskip(SKIP_2) | instid1(VALU_DEP_1)
	v_add_f32_e32 v9, v9, v11
	s_set_vgpr_msb 5                        ;  msbs: dst=0 src0=1 src1=1 src2=0
	v_mul_f32_e32 v11, v7 /*v263*/, v11 /*v267*/
	v_fma_f32 v11, v6 /*v262*/, v10 /*v266*/, -v11
	s_set_vgpr_msb 0                        ;  msbs: dst=0 src0=0 src1=0 src2=0
	s_delay_alu instid0(VALU_DEP_1) | instskip(SKIP_2) | instid1(VALU_DEP_1)
	v_add_f32_e32 v9, v9, v11
	s_set_vgpr_msb 5                        ;  msbs: dst=0 src0=1 src1=1 src2=0
	v_mul_f32_e32 v11, v9 /*v265*/, v13 /*v269*/
	v_fma_f32 v11, v8 /*v264*/, v12 /*v268*/, -v11
	s_set_vgpr_msb 0                        ;  msbs: dst=0 src0=0 src1=0 src2=0
	s_delay_alu instid0(VALU_DEP_1) | instskip(SKIP_2) | instid1(VALU_DEP_1)
	v_add_f32_e32 v9, v9, v11
	s_set_vgpr_msb 5                        ;  msbs: dst=0 src0=1 src1=1 src2=0
	v_mul_f32_e32 v11, v15 /*v271*/, v19 /*v275*/
	v_fma_f32 v11, v14 /*v270*/, v18 /*v274*/, -v11
	s_set_vgpr_msb 0                        ;  msbs: dst=0 src0=0 src1=0 src2=0
	s_delay_alu instid0(VALU_DEP_1) | instskip(SKIP_2) | instid1(VALU_DEP_1)
	v_add_f32_e32 v9, v9, v11
	s_set_vgpr_msb 5                        ;  msbs: dst=0 src0=1 src1=1 src2=0
	v_mul_f32_e32 v11, v17 /*v273*/, v21 /*v277*/
	v_fma_f32 v11, v16 /*v272*/, v20 /*v276*/, -v11
	s_set_vgpr_msb 0                        ;  msbs: dst=0 src0=0 src1=0 src2=0
	s_delay_alu instid0(VALU_DEP_1) | instskip(SKIP_2) | instid1(VALU_DEP_1)
	v_add_f32_e32 v9, v9, v11
	s_set_vgpr_msb 5                        ;  msbs: dst=0 src0=1 src1=1 src2=0
	v_mul_f32_e32 v11, v23 /*v279*/, v27 /*v283*/
	v_fma_f32 v11, v22 /*v278*/, v26 /*v282*/, -v11
	s_set_vgpr_msb 0                        ;  msbs: dst=0 src0=0 src1=0 src2=0
	s_delay_alu instid0(VALU_DEP_1) | instskip(SKIP_2) | instid1(VALU_DEP_1)
	v_add_f32_e32 v9, v9, v11
	s_set_vgpr_msb 5                        ;  msbs: dst=0 src0=1 src1=1 src2=0
	v_mul_f32_e32 v11, v25 /*v281*/, v29 /*v285*/
	v_fma_f32 v11, v24 /*v280*/, v28 /*v284*/, -v11
	s_set_vgpr_msb 0                        ;  msbs: dst=0 src0=0 src1=0 src2=0
	s_delay_alu instid0(VALU_DEP_1) | instskip(SKIP_2) | instid1(VALU_DEP_1)
	v_add_f32_e32 v9, v9, v11
	s_set_vgpr_msb 5                        ;  msbs: dst=0 src0=1 src1=1 src2=0
	v_mul_f32_e32 v11, v31 /*v287*/, v35 /*v291*/
	v_fma_f32 v11, v30 /*v286*/, v34 /*v290*/, -v11
	s_set_vgpr_msb 0                        ;  msbs: dst=0 src0=0 src1=0 src2=0
	s_delay_alu instid0(VALU_DEP_1) | instskip(SKIP_2) | instid1(VALU_DEP_1)
	v_add_f32_e32 v9, v9, v11
	s_set_vgpr_msb 5                        ;  msbs: dst=0 src0=1 src1=1 src2=0
	v_mul_f32_e32 v11, v33 /*v289*/, v37 /*v293*/
	v_fma_f32 v11, v32 /*v288*/, v36 /*v292*/, -v11
	s_set_vgpr_msb 0                        ;  msbs: dst=0 src0=0 src1=0 src2=0
	s_delay_alu instid0(VALU_DEP_1) | instskip(SKIP_2) | instid1(VALU_DEP_1)
	v_add_f32_e32 v9, v9, v11
	s_set_vgpr_msb 5                        ;  msbs: dst=0 src0=1 src1=1 src2=0
	v_mul_f32_e32 v11, v39 /*v295*/, v43 /*v299*/
	v_fma_f32 v11, v38 /*v294*/, v42 /*v298*/, -v11
	s_set_vgpr_msb 0                        ;  msbs: dst=0 src0=0 src1=0 src2=0
	s_delay_alu instid0(VALU_DEP_1) | instskip(SKIP_2) | instid1(VALU_DEP_1)
	v_add_f32_e32 v9, v9, v11
	s_set_vgpr_msb 5                        ;  msbs: dst=0 src0=1 src1=1 src2=0
	v_mul_f32_e32 v11, v41 /*v297*/, v45 /*v301*/
	v_fma_f32 v11, v40 /*v296*/, v44 /*v300*/, -v11
	s_set_vgpr_msb 0                        ;  msbs: dst=0 src0=0 src1=0 src2=0
	s_delay_alu instid0(VALU_DEP_1) | instskip(SKIP_2) | instid1(VALU_DEP_1)
	v_add_f32_e32 v9, v9, v11
	s_set_vgpr_msb 5                        ;  msbs: dst=0 src0=1 src1=1 src2=0
	v_mul_f32_e32 v11, v47 /*v303*/, v51 /*v307*/
	v_fma_f32 v11, v46 /*v302*/, v50 /*v306*/, -v11
	s_set_vgpr_msb 0                        ;  msbs: dst=0 src0=0 src1=0 src2=0
	s_delay_alu instid0(VALU_DEP_1) | instskip(SKIP_2) | instid1(VALU_DEP_1)
	v_add_f32_e32 v9, v9, v11
	s_set_vgpr_msb 5                        ;  msbs: dst=0 src0=1 src1=1 src2=0
	v_mul_f32_e32 v11, v49 /*v305*/, v53 /*v309*/
	v_fma_f32 v11, v48 /*v304*/, v52 /*v308*/, -v11
	s_set_vgpr_msb 0                        ;  msbs: dst=0 src0=0 src1=0 src2=0
	s_delay_alu instid0(VALU_DEP_1) | instskip(SKIP_2) | instid1(VALU_DEP_1)
	v_add_f32_e32 v9, v9, v11
	s_set_vgpr_msb 5                        ;  msbs: dst=0 src0=1 src1=1 src2=0
	v_mul_f32_e32 v11, v55 /*v311*/, v59 /*v315*/
	v_fma_f32 v11, v54 /*v310*/, v58 /*v314*/, -v11
	s_set_vgpr_msb 64                       ;  msbs: dst=1 src0=0 src1=0 src2=0
	s_delay_alu instid0(VALU_DEP_1) | instskip(SKIP_3) | instid1(VALU_DEP_1)
	v_add_f32_e32 v82 /*v338*/, v9, v11
	s_set_vgpr_msb 5                        ;  msbs: dst=0 src0=1 src1=1 src2=0
	v_mul_f32_e32 v9, v57 /*v313*/, v61 /*v317*/
	s_set_vgpr_msb 0x45                     ;  msbs: dst=1 src0=1 src1=1 src2=0
	v_fma_f32 v84 /*v340*/, v56 /*v312*/, v60 /*v316*/, -v9
	s_set_vgpr_msb 5                        ;  msbs: dst=0 src0=1 src1=1 src2=0
	v_mul_f32_e32 v9, v63 /*v319*/, v67 /*v323*/
	s_set_vgpr_msb 0x45                     ;  msbs: dst=1 src0=1 src1=1 src2=0
	s_delay_alu instid0(VALU_DEP_1) | instskip(SKIP_3) | instid1(VALU_DEP_1)
	v_fma_f32 v86 /*v342*/, v62 /*v318*/, v66 /*v322*/, -v9
	s_set_vgpr_msb 5                        ;  msbs: dst=0 src0=1 src1=1 src2=0
	v_pk_add_f32 v[140:141], v[82:83] /*v[338:339]*/, v[84:85] /*v[340:341]*/
	s_set_vgpr_msb 4                        ;  msbs: dst=0 src0=0 src1=1 src2=0
	v_pk_add_f32 v[140:141], v[140:141], v[86:87] /*v[342:343]*/
	s_set_vgpr_msb 0                        ;  msbs: dst=0 src0=0 src1=0 src2=0
	s_delay_alu instid0(VALU_DEP_1)
	v_pk_add_f32 v[140:141], v[140:141], v[144:145]
	s_set_vgpr_msb 4                        ;  msbs: dst=0 src0=0 src1=1 src2=0
	v_pk_fma_f32 v[144:145], v[126:127], v[70:71] /*v[326:327]*/, v[142:143] neg_lo:[0,0,1] neg_hi:[0,0,1]
	v_pk_fma_f32 v[126:127], v[126:127], v[70:71] /*v[326:327]*/, v[142:143] op_sel_hi:[1,0,1]
	s_set_vgpr_msb 1                        ;  msbs: dst=0 src0=1 src1=0 src2=0
	v_mov_b32_e32 v142, v73 /*v329*/
	s_set_vgpr_msb 0                        ;  msbs: dst=0 src0=0 src1=0 src2=0
	s_delay_alu instid0(VALU_DEP_2) | instskip(NEXT) | instid1(VALU_DEP_1)
	v_mov_b32_e32 v145, v127
	v_pk_add_f32 v[126:127], v[140:141], v[144:145]
	v_dual_mov_b32 v140, v129 :: v_dual_mov_b32 v141, v128
	s_delay_alu instid0(VALU_DEP_1) | instskip(SKIP_1) | instid1(VALU_DEP_1)
	v_pk_mul_f32 v[140:141], v[140:141], v[142:143] op_sel_hi:[1,0]
	s_set_vgpr_msb 4                        ;  msbs: dst=0 src0=0 src1=1 src2=0
	v_pk_fma_f32 v[142:143], v[128:129], v[72:73] /*v[328:329]*/, v[140:141] neg_lo:[0,0,1] neg_hi:[0,0,1]
	v_pk_fma_f32 v[128:129], v[128:129], v[72:73] /*v[328:329]*/, v[140:141] op_sel_hi:[1,0,1]
	s_delay_alu instid0(VALU_DEP_1) | instskip(SKIP_3) | instid1(VALU_DEP_2)
	v_mov_b32_e32 v143, v129
	s_wait_loadcnt_dscnt 0x202
	v_pk_mul_f32 v[128:129], v[130:131], v[74:75] /*v[330:331]*/ op_sel:[1,1] op_sel_hi:[0,1]
	s_set_vgpr_msb 0                        ;  msbs: dst=0 src0=0 src1=0 src2=0
	v_pk_add_f32 v[126:127], v[126:127], v[142:143]
	s_set_vgpr_msb 4                        ;  msbs: dst=0 src0=0 src1=1 src2=0
	s_delay_alu instid0(VALU_DEP_2)
	v_pk_fma_f32 v[140:141], v[130:131], v[74:75] /*v[330:331]*/, v[128:129] neg_lo:[0,0,1] neg_hi:[0,0,1]
	v_pk_fma_f32 v[128:129], v[130:131], v[74:75] /*v[330:331]*/, v[128:129] op_sel_hi:[1,0,1]
	v_mov_b32_e32 v128, v133
	s_set_vgpr_msb 1                        ;  msbs: dst=0 src0=1 src1=0 src2=0
	v_mov_b32_e32 v130, v77 /*v333*/
	s_set_vgpr_msb 0                        ;  msbs: dst=0 src0=0 src1=0 src2=0
	v_dual_mov_b32 v141, v129 :: v_dual_mov_b32 v129, v132
	s_delay_alu instid0(VALU_DEP_1) | instskip(NEXT) | instid1(VALU_DEP_2)
	v_pk_add_f32 v[126:127], v[126:127], v[140:141]
	v_pk_mul_f32 v[128:129], v[128:129], v[130:131] op_sel_hi:[1,0]
	s_set_vgpr_msb 4                        ;  msbs: dst=0 src0=0 src1=1 src2=0
	s_delay_alu instid0(VALU_DEP_1) | instskip(SKIP_1) | instid1(VALU_DEP_1)
	v_pk_fma_f32 v[130:131], v[132:133], v[76:77] /*v[332:333]*/, v[128:129] neg_lo:[0,0,1] neg_hi:[0,0,1]
	v_pk_fma_f32 v[128:129], v[132:133], v[76:77] /*v[332:333]*/, v[128:129] op_sel_hi:[1,0,1]
	v_mov_b32_e32 v131, v129
	s_wait_loadcnt_dscnt 0x101
	v_pk_mul_f32 v[128:129], v[134:135], v[78:79] /*v[334:335]*/ op_sel:[1,1] op_sel_hi:[0,1]
	s_set_vgpr_msb 0                        ;  msbs: dst=0 src0=0 src1=0 src2=0
	s_delay_alu instid0(VALU_DEP_2) | instskip(SKIP_1) | instid1(VALU_DEP_2)
	v_pk_add_f32 v[126:127], v[126:127], v[130:131]
	s_set_vgpr_msb 4                        ;  msbs: dst=0 src0=0 src1=1 src2=0
	v_pk_fma_f32 v[130:131], v[134:135], v[78:79] /*v[334:335]*/, v[128:129] neg_lo:[0,0,1] neg_hi:[0,0,1]
	v_pk_fma_f32 v[128:129], v[134:135], v[78:79] /*v[334:335]*/, v[128:129] op_sel_hi:[1,0,1]
	s_delay_alu instid0(VALU_DEP_1) | instskip(SKIP_2) | instid1(VALU_DEP_2)
	v_dual_mov_b32 v128, v137 :: v_dual_mov_b32 v131, v129
	v_mov_b32_e32 v129, v136
	s_set_vgpr_msb 0                        ;  msbs: dst=0 src0=0 src1=0 src2=0
	v_pk_add_f32 v[126:127], v[126:127], v[130:131]
	s_set_vgpr_msb 1                        ;  msbs: dst=0 src0=1 src1=0 src2=0
	v_mov_b32_e32 v130, v81 /*v337*/
	s_set_vgpr_msb 0                        ;  msbs: dst=0 src0=0 src1=0 src2=0
	s_delay_alu instid0(VALU_DEP_1) | instskip(SKIP_1) | instid1(VALU_DEP_1)
	v_pk_mul_f32 v[128:129], v[128:129], v[130:131] op_sel_hi:[1,0]
	s_set_vgpr_msb 4                        ;  msbs: dst=0 src0=0 src1=1 src2=0
	v_pk_fma_f32 v[130:131], v[136:137], v[80:81] /*v[336:337]*/, v[128:129] neg_lo:[0,0,1] neg_hi:[0,0,1]
	v_pk_fma_f32 v[128:129], v[136:137], v[80:81] /*v[336:337]*/, v[128:129] op_sel_hi:[1,0,1]
	s_delay_alu instid0(VALU_DEP_1) | instskip(SKIP_3) | instid1(VALU_DEP_2)
	v_mov_b32_e32 v131, v129
	s_wait_loadcnt_dscnt 0x0
	v_pk_mul_f32 v[128:129], v[138:139], v[88:89] /*v[344:345]*/ op_sel:[1,1] op_sel_hi:[0,1]
	s_set_vgpr_msb 0                        ;  msbs: dst=0 src0=0 src1=0 src2=0
	v_pk_add_f32 v[126:127], v[126:127], v[130:131]
	s_set_vgpr_msb 4                        ;  msbs: dst=0 src0=0 src1=1 src2=0
	s_delay_alu instid0(VALU_DEP_2) | instskip(SKIP_1) | instid1(VALU_DEP_1)
	v_pk_fma_f32 v[130:131], v[138:139], v[88:89] /*v[344:345]*/, v[128:129] neg_lo:[0,0,1] neg_hi:[0,0,1]
	v_pk_fma_f32 v[128:129], v[138:139], v[88:89] /*v[344:345]*/, v[128:129] op_sel_hi:[1,0,1]
	v_mov_b32_e32 v131, v129
	scratch_load_b64 v[128:129], off, off offset:32
	s_set_vgpr_msb 0                        ;  msbs: dst=0 src0=0 src1=0 src2=0
	v_pk_add_f32 v[126:127], v[126:127], v[130:131]
	s_wait_loadcnt 0x0
	s_delay_alu instid0(VALU_DEP_1)
	v_pk_add_f32 v[126:127], v[128:129], v[126:127] neg_lo:[0,1] neg_hi:[0,1]
	scratch_store_b64 off, v[126:127], off offset:32
	s_wait_xcnt 0x0
	v_cmpx_lt_u32_e32 3, v0
	s_cbranch_execz .LBB125_379
; %bb.378:
	scratch_load_b64 v[126:127], off, off offset:24
	v_mov_b64_e32 v[128:129], 0
	scratch_store_b64 off, v[128:129], off offset:24
	s_wait_loadcnt 0x0
	ds_store_b64 v1, v[126:127]
.LBB125_379:
	s_wait_xcnt 0x0
	s_or_b32 exec_lo, exec_lo, s0
	s_wait_storecnt_dscnt 0x0
	s_barrier_signal -1
	s_barrier_wait -1
	ds_load_b128 v[126:129], v7 offset:528
	ds_load_b128 v[130:133], v7 offset:544
	;; [unrolled: 1-line block ×4, first 2 shown]
	s_clause 0x14
	scratch_load_b128 v[142:145], off, off offset:32
	scratch_load_b128 v[146:149], off, off offset:48
	;; [unrolled: 1-line block ×16, first 2 shown]
	s_set_vgpr_msb 64                       ;  msbs: dst=1 src0=0 src1=0 src2=0
	scratch_load_b128 v[2:5] /*v[258:261]*/, off, off offset:288
	scratch_load_b128 v[10:13] /*v[266:269]*/, off, off offset:304
	;; [unrolled: 1-line block ×4, first 2 shown]
	s_set_vgpr_msb 0                        ;  msbs: dst=0 src0=0 src1=0 src2=0
	ds_load_b128 v[158:161], v7 offset:592
	ds_load_b128 v[166:169], v7 offset:608
	s_set_vgpr_msb 64                       ;  msbs: dst=1 src0=0 src1=0 src2=0
	s_clause 0x1
	scratch_load_b128 v[34:37] /*v[290:293]*/, off, off offset:352
	scratch_load_b128 v[42:45] /*v[298:301]*/, off, off offset:368
	s_set_vgpr_msb 0                        ;  msbs: dst=0 src0=0 src1=0 src2=0
	ds_load_b128 v[174:177], v7 offset:624
	ds_load_b128 v[182:185], v7 offset:640
	s_set_vgpr_msb 64                       ;  msbs: dst=1 src0=0 src1=0 src2=0
	s_clause 0x1
	scratch_load_b128 v[50:53] /*v[306:309]*/, off, off offset:384
	scratch_load_b128 v[58:61] /*v[314:317]*/, off, off offset:400
	s_set_vgpr_msb 0                        ;  msbs: dst=0 src0=0 src1=0 src2=0
	ds_load_b128 v[190:193], v7 offset:656
	ds_load_b128 v[198:201], v7 offset:672
	;; [unrolled: 1-line block ×9, first 2 shown]
	s_set_vgpr_msb 64                       ;  msbs: dst=1 src0=0 src1=0 src2=0
	ds_load_b128 v[6:9] /*v[262:265]*/, v7 offset:800
	ds_load_b128 v[62:65] /*v[318:321]*/, v7 offset:912
	scratch_load_b128 v[66:69] /*v[322:325]*/, off, off offset:416
	ds_load_b128 v[14:17] /*v[270:273]*/, v7 offset:816
	ds_load_b128 v[22:25] /*v[278:281]*/, v7 offset:832
	;; [unrolled: 1-line block ×6, first 2 shown]
	s_clause 0x3
	scratch_load_b128 v[70:73] /*v[326:329]*/, off, off offset:432
	scratch_load_b128 v[74:77] /*v[330:333]*/, off, off offset:448
	;; [unrolled: 1-line block ×4, first 2 shown]
	s_mov_b32 s0, exec_lo
	s_wait_loadcnt_dscnt 0x1c18
	s_set_vgpr_msb 0                        ;  msbs: dst=0 src0=0 src1=0 src2=0
	v_dual_mul_f32 v9, v126, v143 :: v_dual_mul_f32 v11, v128, v145
	s_delay_alu instid0(VALU_DEP_1) | instskip(NEXT) | instid1(VALU_DEP_1)
	v_dual_fmac_f32 v9, v127, v142 :: v_dual_fmac_f32 v11, v129, v144
	v_add_f32_e32 v9, 0, v9
	s_delay_alu instid0(VALU_DEP_1) | instskip(SKIP_2) | instid1(VALU_DEP_1)
	v_add_f32_e32 v9, v9, v11
	s_wait_loadcnt_dscnt 0x1b17
	v_mul_f32_e32 v11, v130, v147
	v_fmac_f32_e32 v11, v131, v146
	s_delay_alu instid0(VALU_DEP_1) | instskip(NEXT) | instid1(VALU_DEP_1)
	v_dual_add_f32 v9, v9, v11 :: v_dual_mul_f32 v11, v132, v149
	v_fmac_f32_e32 v11, v133, v148
	s_delay_alu instid0(VALU_DEP_1)
	v_add_f32_e32 v9, v9, v11
	s_wait_loadcnt_dscnt 0x1a16
	v_mul_f32_e32 v11, v134, v151
	s_wait_loadcnt_dscnt 0x406
	s_set_vgpr_msb 0x45                     ;  msbs: dst=1 src0=1 src1=1 src2=0
	v_dual_mul_f32 v89 /*v345*/, v62 /*v318*/, v67 /*v323*/ :: v_dual_mul_f32 v91 /*v347*/, v64 /*v320*/, v69 /*v325*/
	s_set_vgpr_msb 0                        ;  msbs: dst=0 src0=0 src1=0 src2=0
	v_fmac_f32_e32 v11, v135, v150
	s_set_vgpr_msb 0x45                     ;  msbs: dst=1 src0=1 src1=1 src2=0
	s_delay_alu instid0(VALU_DEP_2) | instskip(SKIP_1) | instid1(VALU_DEP_2)
	v_dual_fmac_f32 v89 /*v345*/, v63 /*v319*/, v66 /*v322*/ :: v_dual_fmac_f32 v91 /*v347*/, v65 /*v321*/, v68 /*v324*/
	s_set_vgpr_msb 0                        ;  msbs: dst=0 src0=0 src1=0 src2=0
	v_dual_add_f32 v9, v9, v11 :: v_dual_mul_f32 v11, v136, v153
	s_delay_alu instid0(VALU_DEP_1) | instskip(NEXT) | instid1(VALU_DEP_1)
	v_fmac_f32_e32 v11, v137, v152
	v_add_f32_e32 v9, v9, v11
	v_mul_f32_e32 v11, v138, v155
	s_delay_alu instid0(VALU_DEP_1) | instskip(NEXT) | instid1(VALU_DEP_1)
	v_fmac_f32_e32 v11, v139, v154
	v_dual_add_f32 v9, v9, v11 :: v_dual_mul_f32 v11, v140, v157
	s_delay_alu instid0(VALU_DEP_1) | instskip(NEXT) | instid1(VALU_DEP_1)
	v_fmac_f32_e32 v11, v141, v156
	v_add_f32_e32 v9, v9, v11
	v_mul_f32_e32 v11, v158, v163
	s_delay_alu instid0(VALU_DEP_1) | instskip(NEXT) | instid1(VALU_DEP_1)
	v_fmac_f32_e32 v11, v159, v162
	v_dual_add_f32 v9, v9, v11 :: v_dual_mul_f32 v11, v160, v165
	s_delay_alu instid0(VALU_DEP_1) | instskip(NEXT) | instid1(VALU_DEP_1)
	v_fmac_f32_e32 v11, v161, v164
	v_add_f32_e32 v9, v9, v11
	v_mul_f32_e32 v11, v166, v171
	s_delay_alu instid0(VALU_DEP_1) | instskip(NEXT) | instid1(VALU_DEP_1)
	v_fmac_f32_e32 v11, v167, v170
	v_dual_add_f32 v9, v9, v11 :: v_dual_mul_f32 v11, v168, v173
	s_delay_alu instid0(VALU_DEP_1) | instskip(NEXT) | instid1(VALU_DEP_1)
	v_fmac_f32_e32 v11, v169, v172
	v_add_f32_e32 v9, v9, v11
	v_mul_f32_e32 v11, v174, v179
	s_delay_alu instid0(VALU_DEP_1) | instskip(NEXT) | instid1(VALU_DEP_1)
	v_fmac_f32_e32 v11, v175, v178
	v_dual_add_f32 v9, v9, v11 :: v_dual_mul_f32 v11, v176, v181
	s_delay_alu instid0(VALU_DEP_1) | instskip(NEXT) | instid1(VALU_DEP_1)
	v_fmac_f32_e32 v11, v177, v180
	v_add_f32_e32 v9, v9, v11
	v_mul_f32_e32 v11, v182, v187
	s_delay_alu instid0(VALU_DEP_1) | instskip(NEXT) | instid1(VALU_DEP_1)
	v_fmac_f32_e32 v11, v183, v186
	v_dual_add_f32 v9, v9, v11 :: v_dual_mul_f32 v11, v184, v189
	s_delay_alu instid0(VALU_DEP_1) | instskip(NEXT) | instid1(VALU_DEP_1)
	v_fmac_f32_e32 v11, v185, v188
	v_add_f32_e32 v9, v9, v11
	v_mul_f32_e32 v11, v190, v195
	s_delay_alu instid0(VALU_DEP_1) | instskip(NEXT) | instid1(VALU_DEP_1)
	v_fmac_f32_e32 v11, v191, v194
	v_dual_add_f32 v9, v9, v11 :: v_dual_mul_f32 v11, v192, v197
	s_delay_alu instid0(VALU_DEP_1) | instskip(NEXT) | instid1(VALU_DEP_1)
	v_fmac_f32_e32 v11, v193, v196
	v_add_f32_e32 v9, v9, v11
	v_mul_f32_e32 v11, v198, v203
	s_delay_alu instid0(VALU_DEP_1) | instskip(NEXT) | instid1(VALU_DEP_1)
	v_fmac_f32_e32 v11, v199, v202
	v_dual_add_f32 v9, v9, v11 :: v_dual_mul_f32 v11, v200, v205
	s_delay_alu instid0(VALU_DEP_1) | instskip(NEXT) | instid1(VALU_DEP_1)
	v_fmac_f32_e32 v11, v201, v204
	v_add_f32_e32 v9, v9, v11
	v_mul_f32_e32 v11, v206, v211
	s_delay_alu instid0(VALU_DEP_1) | instskip(NEXT) | instid1(VALU_DEP_1)
	v_fmac_f32_e32 v11, v207, v210
	v_dual_add_f32 v9, v9, v11 :: v_dual_mul_f32 v11, v208, v213
	s_delay_alu instid0(VALU_DEP_1) | instskip(NEXT) | instid1(VALU_DEP_1)
	v_fmac_f32_e32 v11, v209, v212
	v_add_f32_e32 v9, v9, v11
	v_mul_f32_e32 v11, v214, v219
	s_delay_alu instid0(VALU_DEP_1) | instskip(NEXT) | instid1(VALU_DEP_1)
	v_fmac_f32_e32 v11, v215, v218
	v_dual_add_f32 v9, v9, v11 :: v_dual_mul_f32 v11, v216, v221
	s_delay_alu instid0(VALU_DEP_1) | instskip(NEXT) | instid1(VALU_DEP_1)
	v_fmac_f32_e32 v11, v217, v220
	v_add_f32_e32 v9, v9, v11
	v_mul_f32_e32 v11, v222, v227
	s_delay_alu instid0(VALU_DEP_1) | instskip(NEXT) | instid1(VALU_DEP_1)
	v_fmac_f32_e32 v11, v223, v226
	v_dual_add_f32 v9, v9, v11 :: v_dual_mul_f32 v11, v224, v229
	s_delay_alu instid0(VALU_DEP_1) | instskip(NEXT) | instid1(VALU_DEP_1)
	v_fmac_f32_e32 v11, v225, v228
	v_add_f32_e32 v9, v9, v11
	v_mul_f32_e32 v11, v230, v235
	s_delay_alu instid0(VALU_DEP_1) | instskip(NEXT) | instid1(VALU_DEP_1)
	v_fmac_f32_e32 v11, v231, v234
	v_dual_add_f32 v9, v9, v11 :: v_dual_mul_f32 v11, v232, v237
	s_delay_alu instid0(VALU_DEP_1) | instskip(NEXT) | instid1(VALU_DEP_1)
	v_fmac_f32_e32 v11, v233, v236
	v_add_f32_e32 v9, v9, v11
	v_mul_f32_e32 v11, v238, v243
	s_delay_alu instid0(VALU_DEP_1) | instskip(NEXT) | instid1(VALU_DEP_1)
	v_fmac_f32_e32 v11, v239, v242
	v_dual_add_f32 v9, v9, v11 :: v_dual_mul_f32 v11, v240, v245
	s_delay_alu instid0(VALU_DEP_1) | instskip(NEXT) | instid1(VALU_DEP_1)
	v_fmac_f32_e32 v11, v241, v244
	v_add_f32_e32 v9, v9, v11
	v_mul_f32_e32 v11, v246, v251
	s_delay_alu instid0(VALU_DEP_1) | instskip(NEXT) | instid1(VALU_DEP_1)
	v_fmac_f32_e32 v11, v247, v250
	v_dual_add_f32 v9, v9, v11 :: v_dual_mul_f32 v11, v248, v253
	s_delay_alu instid0(VALU_DEP_1) | instskip(NEXT) | instid1(VALU_DEP_1)
	v_fmac_f32_e32 v11, v249, v252
	v_add_f32_e32 v9, v9, v11
	s_set_vgpr_msb 4                        ;  msbs: dst=0 src0=0 src1=1 src2=0
	v_mul_f32_e32 v11, v254, v3 /*v259*/
	s_delay_alu instid0(VALU_DEP_1) | instskip(SKIP_1) | instid1(VALU_DEP_1)
	v_fmac_f32_e32 v11, v255, v2 /*v258*/
	s_set_vgpr_msb 0                        ;  msbs: dst=0 src0=0 src1=0 src2=0
	v_add_f32_e32 v9, v9, v11
	s_set_vgpr_msb 5                        ;  msbs: dst=0 src0=1 src1=1 src2=0
	v_mul_f32_e32 v11, v0 /*v256*/, v5 /*v261*/
	s_delay_alu instid0(VALU_DEP_1) | instskip(SKIP_1) | instid1(VALU_DEP_1)
	v_fmac_f32_e32 v11, v1 /*v257*/, v4 /*v260*/
	s_set_vgpr_msb 0                        ;  msbs: dst=0 src0=0 src1=0 src2=0
	v_add_f32_e32 v9, v9, v11
	s_set_vgpr_msb 5                        ;  msbs: dst=0 src0=1 src1=1 src2=0
	v_mul_f32_e32 v11, v6 /*v262*/, v11 /*v267*/
	s_delay_alu instid0(VALU_DEP_1) | instskip(SKIP_1) | instid1(VALU_DEP_1)
	v_fmac_f32_e32 v11, v7 /*v263*/, v10 /*v266*/
	;; [unrolled: 6-line block ×3, first 2 shown]
	s_set_vgpr_msb 0                        ;  msbs: dst=0 src0=0 src1=0 src2=0
	v_add_f32_e32 v9, v9, v11
	s_wait_dscnt 0x5
	s_set_vgpr_msb 5                        ;  msbs: dst=0 src0=1 src1=1 src2=0
	v_mul_f32_e32 v11, v14 /*v270*/, v19 /*v275*/
	s_delay_alu instid0(VALU_DEP_1) | instskip(SKIP_1) | instid1(VALU_DEP_1)
	v_fmac_f32_e32 v11, v15 /*v271*/, v18 /*v274*/
	s_set_vgpr_msb 0                        ;  msbs: dst=0 src0=0 src1=0 src2=0
	v_add_f32_e32 v9, v9, v11
	s_set_vgpr_msb 5                        ;  msbs: dst=0 src0=1 src1=1 src2=0
	v_mul_f32_e32 v11, v16 /*v272*/, v21 /*v277*/
	s_delay_alu instid0(VALU_DEP_1) | instskip(SKIP_1) | instid1(VALU_DEP_1)
	v_fmac_f32_e32 v11, v17 /*v273*/, v20 /*v276*/
	s_set_vgpr_msb 0                        ;  msbs: dst=0 src0=0 src1=0 src2=0
	v_add_f32_e32 v9, v9, v11
	s_wait_dscnt 0x4
	s_set_vgpr_msb 5                        ;  msbs: dst=0 src0=1 src1=1 src2=0
	v_mul_f32_e32 v11, v22 /*v278*/, v27 /*v283*/
	s_delay_alu instid0(VALU_DEP_1) | instskip(SKIP_1) | instid1(VALU_DEP_1)
	v_fmac_f32_e32 v11, v23 /*v279*/, v26 /*v282*/
	s_set_vgpr_msb 0                        ;  msbs: dst=0 src0=0 src1=0 src2=0
	v_add_f32_e32 v9, v9, v11
	s_set_vgpr_msb 5                        ;  msbs: dst=0 src0=1 src1=1 src2=0
	v_mul_f32_e32 v11, v24 /*v280*/, v29 /*v285*/
	s_delay_alu instid0(VALU_DEP_1) | instskip(SKIP_1) | instid1(VALU_DEP_1)
	v_fmac_f32_e32 v11, v25 /*v281*/, v28 /*v284*/
	s_set_vgpr_msb 0                        ;  msbs: dst=0 src0=0 src1=0 src2=0
	v_add_f32_e32 v9, v9, v11
	s_wait_dscnt 0x3
	s_set_vgpr_msb 5                        ;  msbs: dst=0 src0=1 src1=1 src2=0
	v_mul_f32_e32 v11, v30 /*v286*/, v35 /*v291*/
	s_delay_alu instid0(VALU_DEP_1) | instskip(SKIP_1) | instid1(VALU_DEP_1)
	v_fmac_f32_e32 v11, v31 /*v287*/, v34 /*v290*/
	s_set_vgpr_msb 0                        ;  msbs: dst=0 src0=0 src1=0 src2=0
	v_add_f32_e32 v9, v9, v11
	s_set_vgpr_msb 5                        ;  msbs: dst=0 src0=1 src1=1 src2=0
	v_mul_f32_e32 v11, v32 /*v288*/, v37 /*v293*/
	s_delay_alu instid0(VALU_DEP_1) | instskip(SKIP_1) | instid1(VALU_DEP_1)
	v_fmac_f32_e32 v11, v33 /*v289*/, v36 /*v292*/
	s_set_vgpr_msb 0                        ;  msbs: dst=0 src0=0 src1=0 src2=0
	v_add_f32_e32 v9, v9, v11
	s_wait_dscnt 0x2
	s_set_vgpr_msb 5                        ;  msbs: dst=0 src0=1 src1=1 src2=0
	v_mul_f32_e32 v11, v38 /*v294*/, v43 /*v299*/
	s_delay_alu instid0(VALU_DEP_1) | instskip(SKIP_1) | instid1(VALU_DEP_1)
	v_fmac_f32_e32 v11, v39 /*v295*/, v42 /*v298*/
	s_set_vgpr_msb 0                        ;  msbs: dst=0 src0=0 src1=0 src2=0
	v_add_f32_e32 v9, v9, v11
	s_set_vgpr_msb 5                        ;  msbs: dst=0 src0=1 src1=1 src2=0
	v_mul_f32_e32 v11, v40 /*v296*/, v45 /*v301*/
	s_delay_alu instid0(VALU_DEP_1) | instskip(SKIP_1) | instid1(VALU_DEP_1)
	v_fmac_f32_e32 v11, v41 /*v297*/, v44 /*v300*/
	s_set_vgpr_msb 0                        ;  msbs: dst=0 src0=0 src1=0 src2=0
	v_add_f32_e32 v9, v9, v11
	s_wait_dscnt 0x1
	s_set_vgpr_msb 5                        ;  msbs: dst=0 src0=1 src1=1 src2=0
	v_mul_f32_e32 v11, v46 /*v302*/, v51 /*v307*/
	s_delay_alu instid0(VALU_DEP_1) | instskip(SKIP_1) | instid1(VALU_DEP_1)
	v_fmac_f32_e32 v11, v47 /*v303*/, v50 /*v306*/
	s_set_vgpr_msb 0                        ;  msbs: dst=0 src0=0 src1=0 src2=0
	v_add_f32_e32 v9, v9, v11
	s_set_vgpr_msb 5                        ;  msbs: dst=0 src0=1 src1=1 src2=0
	v_mul_f32_e32 v11, v48 /*v304*/, v53 /*v309*/
	s_delay_alu instid0(VALU_DEP_1) | instskip(SKIP_1) | instid1(VALU_DEP_1)
	v_fmac_f32_e32 v11, v49 /*v305*/, v52 /*v308*/
	s_set_vgpr_msb 0                        ;  msbs: dst=0 src0=0 src1=0 src2=0
	v_add_f32_e32 v9, v9, v11
	s_wait_dscnt 0x0
	s_set_vgpr_msb 5                        ;  msbs: dst=0 src0=1 src1=1 src2=0
	v_mul_f32_e32 v11, v54 /*v310*/, v59 /*v315*/
	s_delay_alu instid0(VALU_DEP_1) | instskip(SKIP_1) | instid1(VALU_DEP_1)
	v_fmac_f32_e32 v11, v55 /*v311*/, v58 /*v314*/
	s_set_vgpr_msb 0                        ;  msbs: dst=0 src0=0 src1=0 src2=0
	v_add_f32_e32 v9, v9, v11
	s_set_vgpr_msb 5                        ;  msbs: dst=0 src0=1 src1=1 src2=0
	v_mul_f32_e32 v11, v56 /*v312*/, v61 /*v317*/
	s_delay_alu instid0(VALU_DEP_1) | instskip(SKIP_1) | instid1(VALU_DEP_1)
	v_fmac_f32_e32 v11, v57 /*v313*/, v60 /*v316*/
	s_set_vgpr_msb 64                       ;  msbs: dst=1 src0=0 src1=0 src2=0
	v_add_f32_e32 v87 /*v343*/, v9, v11
	s_set_vgpr_msb 0                        ;  msbs: dst=0 src0=0 src1=0 src2=0
	v_dual_mul_f32 v9, v127, v143 :: v_dual_mul_f32 v11, v129, v145
	s_delay_alu instid0(VALU_DEP_1) | instskip(NEXT) | instid1(VALU_DEP_1)
	v_dual_fma_f32 v9, v126, v142, -v9 :: v_dual_fma_f32 v11, v128, v144, -v11
	v_add_f32_e32 v9, 0, v9
	s_delay_alu instid0(VALU_DEP_1) | instskip(SKIP_1) | instid1(VALU_DEP_1)
	v_add_f32_e32 v9, v9, v11
	v_mul_f32_e32 v11, v131, v147
	v_fma_f32 v11, v130, v146, -v11
	s_delay_alu instid0(VALU_DEP_1) | instskip(SKIP_1) | instid1(VALU_DEP_1)
	v_add_f32_e32 v9, v9, v11
	v_mul_f32_e32 v11, v133, v149
	v_fma_f32 v11, v132, v148, -v11
	;; [unrolled: 4-line block ×6, first 2 shown]
	ds_load_b128 v[126:129], v7 offset:928
	ds_load_b128 v[130:133], v7 offset:944
	;; [unrolled: 1-line block ×4, first 2 shown]
	v_add_f32_e32 v9, v9, v11
	v_mul_f32_e32 v11, v159, v163
	s_delay_alu instid0(VALU_DEP_1) | instskip(NEXT) | instid1(VALU_DEP_1)
	v_fma_f32 v11, v158, v162, -v11
	v_add_f32_e32 v9, v9, v11
	v_mul_f32_e32 v11, v161, v165
	s_wait_loadcnt_dscnt 0x303
	s_set_vgpr_msb 4                        ;  msbs: dst=0 src0=0 src1=1 src2=0
	v_pk_mul_f32 v[144:145], v[126:127], v[70:71] /*v[326:327]*/ op_sel:[1,1] op_sel_hi:[0,1]
	s_set_vgpr_msb 0                        ;  msbs: dst=0 src0=0 src1=0 src2=0
	v_fma_f32 v11, v160, v164, -v11
	s_set_vgpr_msb 4                        ;  msbs: dst=0 src0=0 src1=1 src2=0
	s_delay_alu instid0(VALU_DEP_2)
	v_pk_fma_f32 v[146:147], v[126:127], v[70:71] /*v[326:327]*/, v[144:145] neg_lo:[0,0,1] neg_hi:[0,0,1]
	v_pk_fma_f32 v[126:127], v[126:127], v[70:71] /*v[326:327]*/, v[144:145] op_sel_hi:[1,0,1]
	s_set_vgpr_msb 1                        ;  msbs: dst=0 src0=1 src1=0 src2=0
	v_mov_b32_e32 v144, v73 /*v329*/
	s_set_vgpr_msb 0                        ;  msbs: dst=0 src0=0 src1=0 src2=0
	v_add_f32_e32 v9, v9, v11
	v_mul_f32_e32 v11, v167, v171
	s_delay_alu instid0(VALU_DEP_1) | instskip(NEXT) | instid1(VALU_DEP_1)
	v_dual_mov_b32 v147, v127 :: v_dual_fma_f32 v11, v166, v170, -v11
	v_add_f32_e32 v9, v9, v11
	v_mul_f32_e32 v11, v169, v173
	s_delay_alu instid0(VALU_DEP_1) | instskip(NEXT) | instid1(VALU_DEP_1)
	v_fma_f32 v11, v168, v172, -v11
	v_add_f32_e32 v9, v9, v11
	v_mul_f32_e32 v11, v175, v179
	s_delay_alu instid0(VALU_DEP_1) | instskip(NEXT) | instid1(VALU_DEP_1)
	v_fma_f32 v11, v174, v178, -v11
	;; [unrolled: 4-line block ×21, first 2 shown]
	v_add_f32_e32 v9, v9, v11
	s_set_vgpr_msb 4                        ;  msbs: dst=0 src0=0 src1=1 src2=0
	v_mul_f32_e32 v11, v255, v3 /*v259*/
	s_delay_alu instid0(VALU_DEP_1) | instskip(SKIP_1) | instid1(VALU_DEP_1)
	v_fma_f32 v11, v254, v2 /*v258*/, -v11
	s_set_vgpr_msb 0                        ;  msbs: dst=0 src0=0 src1=0 src2=0
	v_add_f32_e32 v9, v9, v11
	s_set_vgpr_msb 5                        ;  msbs: dst=0 src0=1 src1=1 src2=0
	v_mul_f32_e32 v11, v1 /*v257*/, v5 /*v261*/
	s_delay_alu instid0(VALU_DEP_1) | instskip(SKIP_1) | instid1(VALU_DEP_1)
	v_fma_f32 v11, v0 /*v256*/, v4 /*v260*/, -v11
	s_set_vgpr_msb 0                        ;  msbs: dst=0 src0=0 src1=0 src2=0
	v_add_f32_e32 v9, v9, v11
	s_set_vgpr_msb 5                        ;  msbs: dst=0 src0=1 src1=1 src2=0
	v_mul_f32_e32 v11, v7 /*v263*/, v11 /*v267*/
	s_delay_alu instid0(VALU_DEP_1) | instskip(SKIP_1) | instid1(VALU_DEP_1)
	v_fma_f32 v11, v6 /*v262*/, v10 /*v266*/, -v11
	;; [unrolled: 6-line block ×15, first 2 shown]
	s_set_vgpr_msb 64                       ;  msbs: dst=1 src0=0 src1=0 src2=0
	v_add_f32_e32 v86 /*v342*/, v9, v11
	s_set_vgpr_msb 5                        ;  msbs: dst=0 src0=1 src1=1 src2=0
	v_mul_f32_e32 v9, v63 /*v319*/, v67 /*v323*/
	s_set_vgpr_msb 0x45                     ;  msbs: dst=1 src0=1 src1=1 src2=0
	s_delay_alu instid0(VALU_DEP_1) | instskip(SKIP_3) | instid1(VALU_DEP_1)
	v_fma_f32 v88 /*v344*/, v62 /*v318*/, v66 /*v322*/, -v9
	s_set_vgpr_msb 5                        ;  msbs: dst=0 src0=1 src1=1 src2=0
	v_mul_f32_e32 v9, v65 /*v321*/, v69 /*v325*/
	s_set_vgpr_msb 0x45                     ;  msbs: dst=1 src0=1 src1=1 src2=0
	v_fma_f32 v90 /*v346*/, v64 /*v320*/, v68 /*v324*/, -v9
	s_set_vgpr_msb 5                        ;  msbs: dst=0 src0=1 src1=1 src2=0
	v_pk_add_f32 v[142:143], v[86:87] /*v[342:343]*/, v[88:89] /*v[344:345]*/
	s_set_vgpr_msb 4                        ;  msbs: dst=0 src0=0 src1=1 src2=0
	s_delay_alu instid0(VALU_DEP_1) | instskip(SKIP_1) | instid1(VALU_DEP_1)
	v_pk_add_f32 v[142:143], v[142:143], v[90:91] /*v[346:347]*/
	s_set_vgpr_msb 0                        ;  msbs: dst=0 src0=0 src1=0 src2=0
	v_pk_add_f32 v[126:127], v[142:143], v[146:147]
	v_dual_mov_b32 v142, v129 :: v_dual_mov_b32 v143, v128
	s_delay_alu instid0(VALU_DEP_1) | instskip(SKIP_1) | instid1(VALU_DEP_1)
	v_pk_mul_f32 v[142:143], v[142:143], v[144:145] op_sel_hi:[1,0]
	s_set_vgpr_msb 4                        ;  msbs: dst=0 src0=0 src1=1 src2=0
	v_pk_fma_f32 v[144:145], v[128:129], v[72:73] /*v[328:329]*/, v[142:143] neg_lo:[0,0,1] neg_hi:[0,0,1]
	v_pk_fma_f32 v[128:129], v[128:129], v[72:73] /*v[328:329]*/, v[142:143] op_sel_hi:[1,0,1]
	s_delay_alu instid0(VALU_DEP_1) | instskip(SKIP_3) | instid1(VALU_DEP_2)
	v_mov_b32_e32 v145, v129
	s_wait_loadcnt_dscnt 0x202
	v_pk_mul_f32 v[128:129], v[130:131], v[74:75] /*v[330:331]*/ op_sel:[1,1] op_sel_hi:[0,1]
	s_set_vgpr_msb 0                        ;  msbs: dst=0 src0=0 src1=0 src2=0
	v_pk_add_f32 v[126:127], v[126:127], v[144:145]
	s_set_vgpr_msb 4                        ;  msbs: dst=0 src0=0 src1=1 src2=0
	s_delay_alu instid0(VALU_DEP_2)
	v_pk_fma_f32 v[142:143], v[130:131], v[74:75] /*v[330:331]*/, v[128:129] neg_lo:[0,0,1] neg_hi:[0,0,1]
	v_pk_fma_f32 v[128:129], v[130:131], v[74:75] /*v[330:331]*/, v[128:129] op_sel_hi:[1,0,1]
	v_mov_b32_e32 v128, v133
	s_set_vgpr_msb 1                        ;  msbs: dst=0 src0=1 src1=0 src2=0
	v_mov_b32_e32 v130, v77 /*v333*/
	s_set_vgpr_msb 0                        ;  msbs: dst=0 src0=0 src1=0 src2=0
	v_dual_mov_b32 v143, v129 :: v_dual_mov_b32 v129, v132
	s_delay_alu instid0(VALU_DEP_1) | instskip(NEXT) | instid1(VALU_DEP_2)
	v_pk_add_f32 v[126:127], v[126:127], v[142:143]
	v_pk_mul_f32 v[128:129], v[128:129], v[130:131] op_sel_hi:[1,0]
	s_set_vgpr_msb 4                        ;  msbs: dst=0 src0=0 src1=1 src2=0
	s_delay_alu instid0(VALU_DEP_1) | instskip(SKIP_1) | instid1(VALU_DEP_1)
	v_pk_fma_f32 v[130:131], v[132:133], v[76:77] /*v[332:333]*/, v[128:129] neg_lo:[0,0,1] neg_hi:[0,0,1]
	v_pk_fma_f32 v[128:129], v[132:133], v[76:77] /*v[332:333]*/, v[128:129] op_sel_hi:[1,0,1]
	v_mov_b32_e32 v131, v129
	s_wait_loadcnt_dscnt 0x101
	v_pk_mul_f32 v[128:129], v[134:135], v[78:79] /*v[334:335]*/ op_sel:[1,1] op_sel_hi:[0,1]
	s_set_vgpr_msb 0                        ;  msbs: dst=0 src0=0 src1=0 src2=0
	s_delay_alu instid0(VALU_DEP_2) | instskip(SKIP_1) | instid1(VALU_DEP_2)
	v_pk_add_f32 v[126:127], v[126:127], v[130:131]
	s_set_vgpr_msb 4                        ;  msbs: dst=0 src0=0 src1=1 src2=0
	v_pk_fma_f32 v[130:131], v[134:135], v[78:79] /*v[334:335]*/, v[128:129] neg_lo:[0,0,1] neg_hi:[0,0,1]
	v_pk_fma_f32 v[128:129], v[134:135], v[78:79] /*v[334:335]*/, v[128:129] op_sel_hi:[1,0,1]
	s_delay_alu instid0(VALU_DEP_1) | instskip(SKIP_2) | instid1(VALU_DEP_2)
	v_dual_mov_b32 v128, v137 :: v_dual_mov_b32 v131, v129
	v_mov_b32_e32 v129, v136
	s_set_vgpr_msb 0                        ;  msbs: dst=0 src0=0 src1=0 src2=0
	v_pk_add_f32 v[126:127], v[126:127], v[130:131]
	s_set_vgpr_msb 1                        ;  msbs: dst=0 src0=1 src1=0 src2=0
	v_mov_b32_e32 v130, v81 /*v337*/
	s_set_vgpr_msb 0                        ;  msbs: dst=0 src0=0 src1=0 src2=0
	s_delay_alu instid0(VALU_DEP_1) | instskip(SKIP_1) | instid1(VALU_DEP_1)
	v_pk_mul_f32 v[128:129], v[128:129], v[130:131] op_sel_hi:[1,0]
	s_set_vgpr_msb 4                        ;  msbs: dst=0 src0=0 src1=1 src2=0
	v_pk_fma_f32 v[130:131], v[136:137], v[80:81] /*v[336:337]*/, v[128:129] neg_lo:[0,0,1] neg_hi:[0,0,1]
	v_pk_fma_f32 v[128:129], v[136:137], v[80:81] /*v[336:337]*/, v[128:129] op_sel_hi:[1,0,1]
	s_delay_alu instid0(VALU_DEP_1) | instskip(SKIP_3) | instid1(VALU_DEP_2)
	v_mov_b32_e32 v131, v129
	s_wait_loadcnt_dscnt 0x0
	v_pk_mul_f32 v[128:129], v[138:139], v[82:83] /*v[338:339]*/ op_sel:[1,1] op_sel_hi:[0,1]
	s_set_vgpr_msb 0                        ;  msbs: dst=0 src0=0 src1=0 src2=0
	v_pk_add_f32 v[126:127], v[126:127], v[130:131]
	s_set_vgpr_msb 4                        ;  msbs: dst=0 src0=0 src1=1 src2=0
	s_delay_alu instid0(VALU_DEP_2) | instskip(SKIP_1) | instid1(VALU_DEP_1)
	v_pk_fma_f32 v[130:131], v[138:139], v[82:83] /*v[338:339]*/, v[128:129] neg_lo:[0,0,1] neg_hi:[0,0,1]
	v_pk_fma_f32 v[128:129], v[138:139], v[82:83] /*v[338:339]*/, v[128:129] op_sel_hi:[1,0,1]
	v_dual_mov_b32 v128, v141 :: v_dual_mov_b32 v131, v129
	v_mov_b32_e32 v129, v140
	s_set_vgpr_msb 0                        ;  msbs: dst=0 src0=0 src1=0 src2=0
	s_delay_alu instid0(VALU_DEP_2) | instskip(SKIP_3) | instid1(VALU_DEP_1)
	v_pk_add_f32 v[126:127], v[126:127], v[130:131]
	s_set_vgpr_msb 1                        ;  msbs: dst=0 src0=1 src1=0 src2=0
	v_mov_b32_e32 v130, v85 /*v341*/
	s_set_vgpr_msb 0                        ;  msbs: dst=0 src0=0 src1=0 src2=0
	v_pk_mul_f32 v[128:129], v[128:129], v[130:131] op_sel_hi:[1,0]
	s_set_vgpr_msb 4                        ;  msbs: dst=0 src0=0 src1=1 src2=0
	s_delay_alu instid0(VALU_DEP_1) | instskip(SKIP_1) | instid1(VALU_DEP_1)
	v_pk_fma_f32 v[130:131], v[140:141], v[84:85] /*v[340:341]*/, v[128:129] neg_lo:[0,0,1] neg_hi:[0,0,1]
	v_pk_fma_f32 v[128:129], v[140:141], v[84:85] /*v[340:341]*/, v[128:129] op_sel_hi:[1,0,1]
	v_mov_b32_e32 v131, v129
	scratch_load_b64 v[128:129], off, off offset:24
	s_set_vgpr_msb 0                        ;  msbs: dst=0 src0=0 src1=0 src2=0
	v_pk_add_f32 v[126:127], v[126:127], v[130:131]
	s_wait_loadcnt 0x0
	s_delay_alu instid0(VALU_DEP_1)
	v_pk_add_f32 v[126:127], v[128:129], v[126:127] neg_lo:[0,1] neg_hi:[0,1]
	scratch_store_b64 off, v[126:127], off offset:24
	s_wait_xcnt 0x0
	v_cmpx_lt_u32_e32 2, v0
	s_cbranch_execz .LBB125_381
; %bb.380:
	scratch_load_b64 v[126:127], off, off offset:16
	v_mov_b64_e32 v[128:129], 0
	scratch_store_b64 off, v[128:129], off offset:16
	s_wait_loadcnt 0x0
	ds_store_b64 v1, v[126:127]
.LBB125_381:
	s_wait_xcnt 0x0
	s_or_b32 exec_lo, exec_lo, s0
	s_wait_storecnt_dscnt 0x0
	s_barrier_signal -1
	s_barrier_wait -1
	s_clause 0xf
	scratch_load_b128 v[130:133], off, off offset:24
	scratch_load_b128 v[138:141], off, off offset:40
	;; [unrolled: 1-line block ×16, first 2 shown]
	v_mov_b32_e32 v105, 0
	s_set_vgpr_msb 64                       ;  msbs: dst=1 src0=0 src1=0 src2=0
	s_clause 0x3
	scratch_load_b128 v[2:5] /*v[258:261]*/, off, off offset:280
	scratch_load_b128 v[10:13] /*v[266:269]*/, off, off offset:296
	;; [unrolled: 1-line block ×4, first 2 shown]
	s_set_vgpr_msb 0                        ;  msbs: dst=0 src0=0 src1=0 src2=0
	ds_load_2addr_b64 v[126:129], v105 offset0:65 offset1:66
	ds_load_2addr_b64 v[134:137], v105 offset0:67 offset1:68
	s_set_vgpr_msb 64                       ;  msbs: dst=1 src0=0 src1=0 src2=0
	s_clause 0x5
	scratch_load_b128 v[34:37] /*v[290:293]*/, off, off offset:344
	scratch_load_b128 v[42:45] /*v[298:301]*/, off, off offset:360
	;; [unrolled: 1-line block ×6, first 2 shown]
	s_mov_b32 s0, exec_lo
	s_wait_loadcnt_dscnt 0x1901
	s_set_vgpr_msb 0                        ;  msbs: dst=0 src0=0 src1=0 src2=0
	v_dual_mul_f32 v7, v126, v131 :: v_dual_mul_f32 v9, v128, v133
	ds_load_2addr_b64 v[142:145], v105 offset0:69 offset1:70
	ds_load_2addr_b64 v[150:153], v105 offset0:71 offset1:72
	;; [unrolled: 1-line block ×4, first 2 shown]
	v_dual_fmac_f32 v7, v127, v130 :: v_dual_fmac_f32 v9, v129, v132
	ds_load_2addr_b64 v[174:177], v105 offset0:77 offset1:78
	ds_load_2addr_b64 v[182:185], v105 offset0:79 offset1:80
	ds_load_2addr_b64 v[190:193], v105 offset0:81 offset1:82
	ds_load_2addr_b64 v[198:201], v105 offset0:83 offset1:84
	v_add_f32_e32 v7, 0, v7
	ds_load_2addr_b64 v[206:209], v105 offset0:85 offset1:86
	ds_load_2addr_b64 v[214:217], v105 offset0:87 offset1:88
	;; [unrolled: 1-line block ×4, first 2 shown]
	s_wait_loadcnt_dscnt 0x180c
	v_dual_add_f32 v7, v7, v9 :: v_dual_mul_f32 v9, v134, v139
	ds_load_2addr_b64 v[238:241], v105 offset0:93 offset1:94
	ds_load_2addr_b64 v[246:249], v105 offset0:95 offset1:96
	;; [unrolled: 1-line block ×3, first 2 shown]
	s_set_vgpr_msb 64                       ;  msbs: dst=1 src0=0 src1=0 src2=0
	ds_load_2addr_b64 v[6:9] /*v[262:265]*/, v105 offset0:99 offset1:100
	s_set_vgpr_msb 0                        ;  msbs: dst=0 src0=0 src1=0 src2=0
	v_fmac_f32_e32 v9, v135, v138
	s_set_vgpr_msb 64                       ;  msbs: dst=1 src0=0 src1=0 src2=0
	ds_load_2addr_b64 v[62:65] /*v[318:321]*/, v105 offset0:113 offset1:114
	ds_load_2addr_b64 v[70:73] /*v[326:329]*/, v105 offset0:115 offset1:116
	;; [unrolled: 1-line block ×4, first 2 shown]
	s_set_vgpr_msb 0                        ;  msbs: dst=0 src0=0 src1=0 src2=0
	v_add_f32_e32 v7, v7, v9
	v_mul_f32_e32 v9, v136, v141
	s_set_vgpr_msb 64                       ;  msbs: dst=1 src0=0 src1=0 src2=0
	ds_load_2addr_b64 v[30:33] /*v[286:289]*/, v105 offset0:105 offset1:106
	ds_load_2addr_b64 v[38:41] /*v[294:297]*/, v105 offset0:107 offset1:108
	;; [unrolled: 1-line block ×4, first 2 shown]
	s_set_vgpr_msb 0                        ;  msbs: dst=0 src0=0 src1=0 src2=0
	v_fmac_f32_e32 v9, v137, v140
	s_set_vgpr_msb 64                       ;  msbs: dst=1 src0=0 src1=0 src2=0
	s_clause 0x3
	scratch_load_b128 v[78:81] /*v[334:337]*/, off, off offset:440
	scratch_load_b128 v[82:85] /*v[338:341]*/, off, off offset:456
	;; [unrolled: 1-line block ×3, first 2 shown]
	scratch_load_b64 v[96:97] /*v[352:353]*/, off, off offset:488
	s_wait_loadcnt_dscnt 0x1b17
	s_set_vgpr_msb 0                        ;  msbs: dst=0 src0=0 src1=0 src2=0
	v_dual_add_f32 v7, v7, v9 :: v_dual_mul_f32 v9, v142, v147
	s_wait_loadcnt_dscnt 0x406
	s_set_vgpr_msb 0x45                     ;  msbs: dst=1 src0=1 src1=1 src2=0
	v_dual_mul_f32 v93 /*v349*/, v64 /*v320*/, v69 /*v325*/ :: v_dual_mul_f32 v95 /*v351*/, v70 /*v326*/, v75 /*v331*/
	s_set_vgpr_msb 0                        ;  msbs: dst=0 src0=0 src1=0 src2=0
	v_fmac_f32_e32 v9, v143, v146
	s_set_vgpr_msb 0x45                     ;  msbs: dst=1 src0=1 src1=1 src2=0
	s_delay_alu instid0(VALU_DEP_2) | instskip(SKIP_1) | instid1(VALU_DEP_2)
	v_dual_fmac_f32 v93 /*v349*/, v65 /*v321*/, v68 /*v324*/ :: v_dual_fmac_f32 v95 /*v351*/, v71 /*v327*/, v74 /*v330*/
	s_set_vgpr_msb 0                        ;  msbs: dst=0 src0=0 src1=0 src2=0
	v_add_f32_e32 v7, v7, v9
	v_mul_f32_e32 v9, v144, v149
	s_delay_alu instid0(VALU_DEP_1) | instskip(NEXT) | instid1(VALU_DEP_1)
	v_fmac_f32_e32 v9, v145, v148
	v_dual_add_f32 v7, v7, v9 :: v_dual_mul_f32 v9, v150, v155
	s_delay_alu instid0(VALU_DEP_1) | instskip(NEXT) | instid1(VALU_DEP_1)
	v_fmac_f32_e32 v9, v151, v154
	v_add_f32_e32 v7, v7, v9
	v_mul_f32_e32 v9, v152, v157
	s_delay_alu instid0(VALU_DEP_1) | instskip(NEXT) | instid1(VALU_DEP_1)
	v_fmac_f32_e32 v9, v153, v156
	v_dual_add_f32 v7, v7, v9 :: v_dual_mul_f32 v9, v158, v163
	s_delay_alu instid0(VALU_DEP_1) | instskip(NEXT) | instid1(VALU_DEP_1)
	v_fmac_f32_e32 v9, v159, v162
	;; [unrolled: 7-line block ×13, first 2 shown]
	v_add_f32_e32 v7, v7, v9
	v_mul_f32_e32 v9, v248, v253
	s_delay_alu instid0(VALU_DEP_1) | instskip(NEXT) | instid1(VALU_DEP_1)
	v_fmac_f32_e32 v9, v249, v252
	v_add_f32_e32 v7, v7, v9
	s_set_vgpr_msb 4                        ;  msbs: dst=0 src0=0 src1=1 src2=0
	v_mul_f32_e32 v9, v254, v3 /*v259*/
	s_delay_alu instid0(VALU_DEP_1) | instskip(SKIP_1) | instid1(VALU_DEP_1)
	v_fmac_f32_e32 v9, v255, v2 /*v258*/
	s_set_vgpr_msb 0                        ;  msbs: dst=0 src0=0 src1=0 src2=0
	v_add_f32_e32 v7, v7, v9
	s_set_vgpr_msb 5                        ;  msbs: dst=0 src0=1 src1=1 src2=0
	v_mul_f32_e32 v9, v0 /*v256*/, v5 /*v261*/
	s_delay_alu instid0(VALU_DEP_1) | instskip(SKIP_1) | instid1(VALU_DEP_1)
	v_fmac_f32_e32 v9, v1 /*v257*/, v4 /*v260*/
	s_set_vgpr_msb 0                        ;  msbs: dst=0 src0=0 src1=0 src2=0
	v_add_f32_e32 v7, v7, v9
	s_set_vgpr_msb 5                        ;  msbs: dst=0 src0=1 src1=1 src2=0
	v_mul_f32_e32 v9, v6 /*v262*/, v11 /*v267*/
	s_delay_alu instid0(VALU_DEP_1) | instskip(SKIP_1) | instid1(VALU_DEP_1)
	v_fmac_f32_e32 v9, v7 /*v263*/, v10 /*v266*/
	;; [unrolled: 6-line block ×3, first 2 shown]
	s_set_vgpr_msb 0                        ;  msbs: dst=0 src0=0 src1=0 src2=0
	v_add_f32_e32 v7, v7, v9
	s_wait_dscnt 0x5
	s_set_vgpr_msb 5                        ;  msbs: dst=0 src0=1 src1=1 src2=0
	v_mul_f32_e32 v9, v14 /*v270*/, v19 /*v275*/
	s_delay_alu instid0(VALU_DEP_1) | instskip(SKIP_1) | instid1(VALU_DEP_1)
	v_fmac_f32_e32 v9, v15 /*v271*/, v18 /*v274*/
	s_set_vgpr_msb 0                        ;  msbs: dst=0 src0=0 src1=0 src2=0
	v_add_f32_e32 v7, v7, v9
	s_set_vgpr_msb 5                        ;  msbs: dst=0 src0=1 src1=1 src2=0
	v_mul_f32_e32 v9, v16 /*v272*/, v21 /*v277*/
	s_delay_alu instid0(VALU_DEP_1) | instskip(SKIP_1) | instid1(VALU_DEP_1)
	v_fmac_f32_e32 v9, v17 /*v273*/, v20 /*v276*/
	s_set_vgpr_msb 0                        ;  msbs: dst=0 src0=0 src1=0 src2=0
	v_add_f32_e32 v7, v7, v9
	s_wait_dscnt 0x4
	s_set_vgpr_msb 5                        ;  msbs: dst=0 src0=1 src1=1 src2=0
	v_mul_f32_e32 v9, v22 /*v278*/, v27 /*v283*/
	s_delay_alu instid0(VALU_DEP_1) | instskip(SKIP_1) | instid1(VALU_DEP_1)
	v_fmac_f32_e32 v9, v23 /*v279*/, v26 /*v282*/
	s_set_vgpr_msb 0                        ;  msbs: dst=0 src0=0 src1=0 src2=0
	v_add_f32_e32 v7, v7, v9
	s_set_vgpr_msb 5                        ;  msbs: dst=0 src0=1 src1=1 src2=0
	v_mul_f32_e32 v9, v24 /*v280*/, v29 /*v285*/
	s_delay_alu instid0(VALU_DEP_1) | instskip(SKIP_1) | instid1(VALU_DEP_1)
	v_fmac_f32_e32 v9, v25 /*v281*/, v28 /*v284*/
	;; [unrolled: 13-line block ×6, first 2 shown]
	s_set_vgpr_msb 0                        ;  msbs: dst=0 src0=0 src1=0 src2=0
	v_add_f32_e32 v7, v7, v9
	s_set_vgpr_msb 5                        ;  msbs: dst=0 src0=1 src1=1 src2=0
	v_mul_f32_e32 v9, v62 /*v318*/, v67 /*v323*/
	s_delay_alu instid0(VALU_DEP_1) | instskip(SKIP_1) | instid1(VALU_DEP_1)
	v_fmac_f32_e32 v9, v63 /*v319*/, v66 /*v322*/
	s_set_vgpr_msb 64                       ;  msbs: dst=1 src0=0 src1=0 src2=0
	v_add_f32_e32 v91 /*v347*/, v7, v9
	s_set_vgpr_msb 0                        ;  msbs: dst=0 src0=0 src1=0 src2=0
	v_dual_mul_f32 v7, v127, v131 :: v_dual_mul_f32 v9, v129, v133
	s_delay_alu instid0(VALU_DEP_1) | instskip(NEXT) | instid1(VALU_DEP_1)
	v_dual_fma_f32 v7, v126, v130, -v7 :: v_dual_fma_f32 v9, v128, v132, -v9
	v_add_f32_e32 v7, 0, v7
	s_delay_alu instid0(VALU_DEP_1) | instskip(SKIP_1) | instid1(VALU_DEP_1)
	v_add_f32_e32 v7, v7, v9
	v_mul_f32_e32 v9, v135, v139
	v_fma_f32 v9, v134, v138, -v9
	s_delay_alu instid0(VALU_DEP_1) | instskip(SKIP_1) | instid1(VALU_DEP_1)
	v_add_f32_e32 v7, v7, v9
	v_mul_f32_e32 v9, v137, v141
	v_fma_f32 v9, v136, v140, -v9
	ds_load_2addr_b64 v[126:129], v105 offset0:117 offset1:118
	ds_load_2addr_b64 v[130:133], v105 offset0:119 offset1:120
	;; [unrolled: 1-line block ×3, first 2 shown]
	ds_load_b64 v[138:139], v105 offset:984
	v_add_f32_e32 v7, v7, v9
	v_mul_f32_e32 v9, v143, v147
	s_set_vgpr_msb 1                        ;  msbs: dst=0 src0=1 src1=0 src2=0
	v_mov_b32_e32 v143, v72 /*v328*/
	s_set_vgpr_msb 0                        ;  msbs: dst=0 src0=0 src1=0 src2=0
	s_delay_alu instid0(VALU_DEP_2) | instskip(SKIP_3) | instid1(VALU_DEP_2)
	v_fma_f32 v9, v142, v146, -v9
	s_set_vgpr_msb 1                        ;  msbs: dst=0 src0=1 src1=0 src2=0
	v_mov_b32_e32 v142, v73 /*v329*/
	s_set_vgpr_msb 0                        ;  msbs: dst=0 src0=0 src1=0 src2=0
	v_add_f32_e32 v7, v7, v9
	v_mul_f32_e32 v9, v145, v149
	s_delay_alu instid0(VALU_DEP_1) | instskip(SKIP_3) | instid1(VALU_DEP_2)
	v_fma_f32 v9, v144, v148, -v9
	s_set_vgpr_msb 1                        ;  msbs: dst=0 src0=1 src1=0 src2=0
	v_mov_b32_e32 v144, v77 /*v333*/
	s_set_vgpr_msb 0                        ;  msbs: dst=0 src0=0 src1=0 src2=0
	v_add_f32_e32 v7, v7, v9
	v_mul_f32_e32 v9, v151, v155
	s_delay_alu instid0(VALU_DEP_3) | instskip(NEXT) | instid1(VALU_DEP_2)
	v_pk_mul_f32 v[142:143], v[142:143], v[144:145] op_sel_hi:[1,0]
	v_fma_f32 v9, v150, v154, -v9
	s_set_vgpr_msb 5                        ;  msbs: dst=0 src0=1 src1=1 src2=0
	s_delay_alu instid0(VALU_DEP_2) | instskip(SKIP_3) | instid1(VALU_DEP_2)
	v_pk_fma_f32 v[144:145], v[72:73] /*v[328:329]*/, v[76:77] /*v[332:333]*/, v[142:143] neg_lo:[0,0,1] neg_hi:[0,0,1]
	v_pk_fma_f32 v[142:143], v[72:73] /*v[328:329]*/, v[76:77] /*v[332:333]*/, v[142:143] op_sel_hi:[1,0,1]
	s_set_vgpr_msb 0                        ;  msbs: dst=0 src0=0 src1=0 src2=0
	v_add_f32_e32 v7, v7, v9
	v_dual_mul_f32 v9, v153, v157 :: v_dual_mov_b32 v145, v143
	s_wait_loadcnt_dscnt 0x303
	s_set_vgpr_msb 4                        ;  msbs: dst=0 src0=0 src1=1 src2=0
	v_pk_mul_f32 v[142:143], v[126:127], v[78:79] /*v[334:335]*/ op_sel:[1,1] op_sel_hi:[0,1]
	s_set_vgpr_msb 0                        ;  msbs: dst=0 src0=0 src1=0 src2=0
	v_fma_f32 v9, v152, v156, -v9
	s_delay_alu instid0(VALU_DEP_1) | instskip(SKIP_1) | instid1(VALU_DEP_1)
	v_add_f32_e32 v7, v7, v9
	v_mul_f32_e32 v9, v159, v163
	v_fma_f32 v9, v158, v162, -v9
	s_delay_alu instid0(VALU_DEP_1) | instskip(SKIP_1) | instid1(VALU_DEP_1)
	v_add_f32_e32 v7, v7, v9
	v_mul_f32_e32 v9, v161, v165
	;; [unrolled: 4-line block ×24, first 2 shown]
	v_fma_f32 v9, v248, v252, -v9
	s_delay_alu instid0(VALU_DEP_1) | instskip(SKIP_2) | instid1(VALU_DEP_1)
	v_add_f32_e32 v7, v7, v9
	s_set_vgpr_msb 4                        ;  msbs: dst=0 src0=0 src1=1 src2=0
	v_mul_f32_e32 v9, v255, v3 /*v259*/
	v_fma_f32 v9, v254, v2 /*v258*/, -v9
	s_set_vgpr_msb 0                        ;  msbs: dst=0 src0=0 src1=0 src2=0
	s_delay_alu instid0(VALU_DEP_1) | instskip(SKIP_2) | instid1(VALU_DEP_1)
	v_add_f32_e32 v7, v7, v9
	s_set_vgpr_msb 5                        ;  msbs: dst=0 src0=1 src1=1 src2=0
	v_mul_f32_e32 v9, v1 /*v257*/, v5 /*v261*/
	v_fma_f32 v9, v0 /*v256*/, v4 /*v260*/, -v9
	s_set_vgpr_msb 0                        ;  msbs: dst=0 src0=0 src1=0 src2=0
	s_delay_alu instid0(VALU_DEP_1) | instskip(SKIP_2) | instid1(VALU_DEP_1)
	v_add_f32_e32 v7, v7, v9
	s_set_vgpr_msb 5                        ;  msbs: dst=0 src0=1 src1=1 src2=0
	v_mul_f32_e32 v9, v7 /*v263*/, v11 /*v267*/
	v_fma_f32 v9, v6 /*v262*/, v10 /*v266*/, -v9
	;; [unrolled: 6-line block ×16, first 2 shown]
	s_set_vgpr_msb 64                       ;  msbs: dst=1 src0=0 src1=0 src2=0
	s_delay_alu instid0(VALU_DEP_1) | instskip(SKIP_3) | instid1(VALU_DEP_1)
	v_add_f32_e32 v90 /*v346*/, v7, v9
	s_set_vgpr_msb 5                        ;  msbs: dst=0 src0=1 src1=1 src2=0
	v_mul_f32_e32 v7, v65 /*v321*/, v69 /*v325*/
	s_set_vgpr_msb 0x45                     ;  msbs: dst=1 src0=1 src1=1 src2=0
	v_fma_f32 v92 /*v348*/, v64 /*v320*/, v68 /*v324*/, -v7
	s_set_vgpr_msb 5                        ;  msbs: dst=0 src0=1 src1=1 src2=0
	v_mul_f32_e32 v7, v71 /*v327*/, v75 /*v331*/
	s_set_vgpr_msb 0x45                     ;  msbs: dst=1 src0=1 src1=1 src2=0
	s_delay_alu instid0(VALU_DEP_1) | instskip(SKIP_3) | instid1(VALU_DEP_1)
	v_fma_f32 v94 /*v350*/, v70 /*v326*/, v74 /*v330*/, -v7
	s_set_vgpr_msb 5                        ;  msbs: dst=0 src0=1 src1=1 src2=0
	v_pk_add_f32 v[140:141], v[90:91] /*v[346:347]*/, v[92:93] /*v[348:349]*/
	s_set_vgpr_msb 4                        ;  msbs: dst=0 src0=0 src1=1 src2=0
	v_pk_add_f32 v[140:141], v[140:141], v[94:95] /*v[350:351]*/
	s_set_vgpr_msb 0                        ;  msbs: dst=0 src0=0 src1=0 src2=0
	s_delay_alu instid0(VALU_DEP_1)
	v_pk_add_f32 v[140:141], v[140:141], v[144:145]
	s_set_vgpr_msb 4                        ;  msbs: dst=0 src0=0 src1=1 src2=0
	v_pk_fma_f32 v[144:145], v[126:127], v[78:79] /*v[334:335]*/, v[142:143] neg_lo:[0,0,1] neg_hi:[0,0,1]
	v_pk_fma_f32 v[126:127], v[126:127], v[78:79] /*v[334:335]*/, v[142:143] op_sel_hi:[1,0,1]
	s_set_vgpr_msb 1                        ;  msbs: dst=0 src0=1 src1=0 src2=0
	v_mov_b32_e32 v142, v81 /*v337*/
	s_set_vgpr_msb 0                        ;  msbs: dst=0 src0=0 src1=0 src2=0
	s_delay_alu instid0(VALU_DEP_2) | instskip(NEXT) | instid1(VALU_DEP_1)
	v_mov_b32_e32 v145, v127
	v_pk_add_f32 v[126:127], v[140:141], v[144:145]
	v_dual_mov_b32 v140, v129 :: v_dual_mov_b32 v141, v128
	s_delay_alu instid0(VALU_DEP_1) | instskip(SKIP_1) | instid1(VALU_DEP_1)
	v_pk_mul_f32 v[140:141], v[140:141], v[142:143] op_sel_hi:[1,0]
	s_set_vgpr_msb 4                        ;  msbs: dst=0 src0=0 src1=1 src2=0
	v_pk_fma_f32 v[142:143], v[128:129], v[80:81] /*v[336:337]*/, v[140:141] neg_lo:[0,0,1] neg_hi:[0,0,1]
	v_pk_fma_f32 v[128:129], v[128:129], v[80:81] /*v[336:337]*/, v[140:141] op_sel_hi:[1,0,1]
	s_delay_alu instid0(VALU_DEP_1) | instskip(SKIP_3) | instid1(VALU_DEP_2)
	v_mov_b32_e32 v143, v129
	s_wait_loadcnt_dscnt 0x202
	v_pk_mul_f32 v[128:129], v[130:131], v[82:83] /*v[338:339]*/ op_sel:[1,1] op_sel_hi:[0,1]
	s_set_vgpr_msb 0                        ;  msbs: dst=0 src0=0 src1=0 src2=0
	v_pk_add_f32 v[126:127], v[126:127], v[142:143]
	s_set_vgpr_msb 4                        ;  msbs: dst=0 src0=0 src1=1 src2=0
	s_delay_alu instid0(VALU_DEP_2)
	v_pk_fma_f32 v[140:141], v[130:131], v[82:83] /*v[338:339]*/, v[128:129] neg_lo:[0,0,1] neg_hi:[0,0,1]
	v_pk_fma_f32 v[128:129], v[130:131], v[82:83] /*v[338:339]*/, v[128:129] op_sel_hi:[1,0,1]
	v_mov_b32_e32 v128, v133
	s_set_vgpr_msb 1                        ;  msbs: dst=0 src0=1 src1=0 src2=0
	v_mov_b32_e32 v130, v85 /*v341*/
	s_set_vgpr_msb 0                        ;  msbs: dst=0 src0=0 src1=0 src2=0
	v_dual_mov_b32 v141, v129 :: v_dual_mov_b32 v129, v132
	s_delay_alu instid0(VALU_DEP_1) | instskip(NEXT) | instid1(VALU_DEP_2)
	v_pk_add_f32 v[126:127], v[126:127], v[140:141]
	v_pk_mul_f32 v[128:129], v[128:129], v[130:131] op_sel_hi:[1,0]
	s_set_vgpr_msb 4                        ;  msbs: dst=0 src0=0 src1=1 src2=0
	s_delay_alu instid0(VALU_DEP_1) | instskip(SKIP_1) | instid1(VALU_DEP_1)
	v_pk_fma_f32 v[130:131], v[132:133], v[84:85] /*v[340:341]*/, v[128:129] neg_lo:[0,0,1] neg_hi:[0,0,1]
	v_pk_fma_f32 v[128:129], v[132:133], v[84:85] /*v[340:341]*/, v[128:129] op_sel_hi:[1,0,1]
	v_mov_b32_e32 v131, v129
	s_wait_loadcnt_dscnt 0x101
	v_pk_mul_f32 v[128:129], v[134:135], v[86:87] /*v[342:343]*/ op_sel:[1,1] op_sel_hi:[0,1]
	s_set_vgpr_msb 0                        ;  msbs: dst=0 src0=0 src1=0 src2=0
	s_delay_alu instid0(VALU_DEP_2) | instskip(SKIP_1) | instid1(VALU_DEP_2)
	v_pk_add_f32 v[126:127], v[126:127], v[130:131]
	s_set_vgpr_msb 4                        ;  msbs: dst=0 src0=0 src1=1 src2=0
	v_pk_fma_f32 v[130:131], v[134:135], v[86:87] /*v[342:343]*/, v[128:129] neg_lo:[0,0,1] neg_hi:[0,0,1]
	v_pk_fma_f32 v[128:129], v[134:135], v[86:87] /*v[342:343]*/, v[128:129] op_sel_hi:[1,0,1]
	s_delay_alu instid0(VALU_DEP_1) | instskip(SKIP_2) | instid1(VALU_DEP_2)
	v_dual_mov_b32 v128, v137 :: v_dual_mov_b32 v131, v129
	v_mov_b32_e32 v129, v136
	s_set_vgpr_msb 0                        ;  msbs: dst=0 src0=0 src1=0 src2=0
	v_pk_add_f32 v[126:127], v[126:127], v[130:131]
	s_set_vgpr_msb 1                        ;  msbs: dst=0 src0=1 src1=0 src2=0
	v_mov_b32_e32 v130, v89 /*v345*/
	s_set_vgpr_msb 0                        ;  msbs: dst=0 src0=0 src1=0 src2=0
	s_delay_alu instid0(VALU_DEP_1) | instskip(SKIP_1) | instid1(VALU_DEP_1)
	v_pk_mul_f32 v[128:129], v[128:129], v[130:131] op_sel_hi:[1,0]
	s_set_vgpr_msb 4                        ;  msbs: dst=0 src0=0 src1=1 src2=0
	v_pk_fma_f32 v[130:131], v[136:137], v[88:89] /*v[344:345]*/, v[128:129] neg_lo:[0,0,1] neg_hi:[0,0,1]
	v_pk_fma_f32 v[128:129], v[136:137], v[88:89] /*v[344:345]*/, v[128:129] op_sel_hi:[1,0,1]
	s_delay_alu instid0(VALU_DEP_1) | instskip(SKIP_3) | instid1(VALU_DEP_2)
	v_mov_b32_e32 v131, v129
	s_wait_loadcnt_dscnt 0x0
	v_pk_mul_f32 v[128:129], v[138:139], v[96:97] /*v[352:353]*/ op_sel:[1,1] op_sel_hi:[0,1]
	s_set_vgpr_msb 0                        ;  msbs: dst=0 src0=0 src1=0 src2=0
	v_pk_add_f32 v[126:127], v[126:127], v[130:131]
	s_set_vgpr_msb 4                        ;  msbs: dst=0 src0=0 src1=1 src2=0
	s_delay_alu instid0(VALU_DEP_2) | instskip(SKIP_1) | instid1(VALU_DEP_1)
	v_pk_fma_f32 v[130:131], v[138:139], v[96:97] /*v[352:353]*/, v[128:129] neg_lo:[0,0,1] neg_hi:[0,0,1]
	v_pk_fma_f32 v[128:129], v[138:139], v[96:97] /*v[352:353]*/, v[128:129] op_sel_hi:[1,0,1]
	v_mov_b32_e32 v131, v129
	scratch_load_b64 v[128:129], off, off offset:16
	s_set_vgpr_msb 0                        ;  msbs: dst=0 src0=0 src1=0 src2=0
	v_pk_add_f32 v[126:127], v[126:127], v[130:131]
	s_wait_loadcnt 0x0
	s_delay_alu instid0(VALU_DEP_1)
	v_pk_add_f32 v[126:127], v[128:129], v[126:127] neg_lo:[0,1] neg_hi:[0,1]
	scratch_store_b64 off, v[126:127], off offset:16
	s_wait_xcnt 0x0
	v_cmpx_lt_u32_e32 1, v0
	s_cbranch_execz .LBB125_383
; %bb.382:
	scratch_load_b64 v[126:127], off, off offset:8
	v_mov_b64_e32 v[128:129], 0
	scratch_store_b64 off, v[128:129], off offset:8
	s_wait_loadcnt 0x0
	ds_store_b64 v1, v[126:127]
.LBB125_383:
	s_wait_xcnt 0x0
	s_or_b32 exec_lo, exec_lo, s0
	s_wait_storecnt_dscnt 0x0
	s_barrier_signal -1
	s_barrier_wait -1
	s_clause 0x19
	scratch_load_b128 v[126:129], off, off offset:16
	scratch_load_b128 v[130:133], off, off offset:32
	;; [unrolled: 1-line block ×26, first 2 shown]
	ds_load_b128 v[230:233], v105 offset:512
	ds_load_b128 v[234:237], v105 offset:528
	;; [unrolled: 1-line block ×7, first 2 shown]
	s_set_vgpr_msb 64                       ;  msbs: dst=1 src0=0 src1=0 src2=0
	ds_load_b128 v[2:5] /*v[258:261]*/, v105 offset:624
	ds_load_b128 v[6:9] /*v[262:265]*/, v105 offset:640
	;; [unrolled: 1-line block ×5, first 2 shown]
	s_set_vgpr_msb 0                        ;  msbs: dst=0 src0=0 src1=0 src2=0
	v_ashrrev_i32_e32 v103, 31, v102
	s_set_vgpr_msb 64                       ;  msbs: dst=1 src0=0 src1=0 src2=0
	scratch_load_b128 v[22:25] /*v[278:281]*/, off, off offset:432
	ds_load_b128 v[26:29] /*v[282:285]*/, v105 offset:704
	ds_load_b128 v[30:33] /*v[286:289]*/, v105 offset:720
	;; [unrolled: 1-line block ×10, first 2 shown]
	scratch_load_b128 v[66:69] /*v[322:325]*/, off, off offset:448
	ds_load_b128 v[70:73] /*v[326:329]*/, v105 offset:800
	ds_load_b128 v[74:77] /*v[330:333]*/, v105 offset:816
	;; [unrolled: 1-line block ×4, first 2 shown]
	s_clause 0x1
	scratch_load_b64 v[110:111] /*v[366:367]*/, off, off offset:8
	scratch_load_b128 v[86:89] /*v[342:345]*/, off, off offset:464
	ds_load_b128 v[90:93] /*v[346:349]*/, v105 offset:864
	ds_load_b128 v[94:97] /*v[350:353]*/, v105 offset:880
	scratch_load_b128 v[98:101] /*v[354:357]*/, off, off offset:480
	ds_load_b128 v[102:105] /*v[358:361]*/, v105 offset:896
	ds_load_b128 v[106:109] /*v[362:365]*/, v105 offset:912
	s_set_vgpr_msb 0                        ;  msbs: dst=0 src0=0 src1=0 src2=0
	v_dual_ashrrev_i32 v7, 31, v6 :: v_dual_ashrrev_i32 v9, 31, v8
	v_dual_ashrrev_i32 v11, 31, v10 :: v_dual_ashrrev_i32 v13, 31, v12
	;; [unrolled: 1-line block ×3, first 2 shown]
	s_wait_dscnt 0xf
	s_set_vgpr_msb 0x41                     ;  msbs: dst=1 src0=1 src1=0 src2=0
	v_dual_mov_b32 v112 /*v368*/, v37 /*v293*/ :: v_dual_mov_b32 v113 /*v369*/, v36 /*v292*/
	s_wait_dscnt 0xe
	v_dual_mov_b32 v114 /*v370*/, v41 /*v297*/ :: v_dual_mov_b32 v115 /*v371*/, v40 /*v296*/
	s_wait_dscnt 0xb
	;; [unrolled: 2-line block ×3, first 2 shown]
	v_dual_mov_b32 v118 /*v374*/, v57 /*v313*/ :: v_dual_mov_b32 v119 /*v375*/, v56 /*v312*/
	s_set_vgpr_msb 0                        ;  msbs: dst=0 src0=0 src1=0 src2=0
	v_dual_ashrrev_i32 v19, 31, v18 :: v_dual_ashrrev_i32 v21, 31, v20
	v_dual_ashrrev_i32 v23, 31, v22 :: v_dual_ashrrev_i32 v25, 31, v24
	;; [unrolled: 1-line block ×21, first 2 shown]
	s_mov_b32 s0, exec_lo
	s_wait_loadcnt 0x1e
	v_dual_mul_f32 v105, v230, v127 :: v_dual_mul_f32 v107, v232, v129
	v_dual_mul_f32 v109, v231, v127 :: v_dual_mul_f32 v111, v233, v129
	s_wait_loadcnt 0x1d
	s_delay_alu instid0(VALU_DEP_2)
	v_dual_mul_f32 v113, v234, v131 :: v_dual_fmac_f32 v105, v231, v126
	s_wait_loadcnt 0x1c
	v_dual_fmac_f32 v107, v233, v128 :: v_dual_mul_f32 v119, v240, v137
	v_mul_f32_e32 v121, v235, v131
	s_wait_loadcnt 0x18
	s_set_vgpr_msb 64                       ;  msbs: dst=1 src0=0 src1=0 src2=0
	v_dual_mul_f32 v120 /*v376*/, v252, v149 :: v_dual_mul_f32 v121 /*v377*/, v254, v151
	s_set_vgpr_msb 0                        ;  msbs: dst=0 src0=0 src1=0 src2=0
	v_dual_mul_f32 v151, v255, v151 :: v_dual_fma_f32 v109, v230, v126, -v109
	v_dual_fma_f32 v111, v232, v128, -v111 :: v_dual_add_f32 v105, 0, v105
	v_dual_mul_f32 v115, v236, v133 :: v_dual_mul_f32 v117, v238, v135
	v_dual_mul_f32 v123, v237, v133 :: v_dual_mul_f32 v125, v239, v135
	s_delay_alu instid0(VALU_DEP_4) | instskip(NEXT) | instid1(VALU_DEP_4)
	v_dual_add_f32 v109, 0, v109 :: v_dual_fmac_f32 v113, v235, v130
	v_dual_fma_f32 v121, v234, v130, -v121 :: v_dual_add_f32 v105, v105, v107
	v_dual_mul_f32 v127, v241, v137 :: v_dual_mul_f32 v129, v242, v139
	s_delay_alu instid0(VALU_DEP_3) | instskip(SKIP_1) | instid1(VALU_DEP_4)
	v_dual_add_f32 v107, v109, v111 :: v_dual_fma_f32 v111, v236, v132, -v123
	v_fmac_f32_e32 v115, v237, v132
	v_dual_add_f32 v105, v105, v113 :: v_dual_fmac_f32 v117, v239, v134
	s_delay_alu instid0(VALU_DEP_3) | instskip(SKIP_1) | instid1(VALU_DEP_3)
	v_dual_add_f32 v107, v107, v121 :: v_dual_fma_f32 v121, v238, v134, -v125
	v_fmac_f32_e32 v119, v241, v136
	v_dual_add_f32 v105, v105, v115 :: v_dual_fma_f32 v115, v240, v136, -v127
	s_delay_alu instid0(VALU_DEP_3) | instskip(NEXT) | instid1(VALU_DEP_2)
	v_dual_add_f32 v107, v107, v111 :: v_dual_mul_f32 v131, v244, v141
	v_dual_mul_f32 v133, v243, v139 :: v_dual_add_f32 v105, v105, v117
	v_dual_mul_f32 v135, v245, v141 :: v_dual_mul_f32 v137, v246, v143
	s_delay_alu instid0(VALU_DEP_2) | instskip(NEXT) | instid1(VALU_DEP_3)
	v_dual_add_f32 v107, v107, v121 :: v_dual_fma_f32 v121, v242, v138, -v133
	v_dual_fmac_f32 v129, v243, v138 :: v_dual_add_f32 v105, v105, v119
	s_delay_alu instid0(VALU_DEP_2) | instskip(NEXT) | instid1(VALU_DEP_4)
	v_dual_fmac_f32 v131, v245, v140 :: v_dual_add_f32 v107, v107, v115
	v_fma_f32 v119, v244, v140, -v135
	v_dual_mul_f32 v139, v248, v145 :: v_dual_mul_f32 v141, v250, v147
	s_delay_alu instid0(VALU_DEP_4) | instskip(SKIP_2) | instid1(VALU_DEP_3)
	v_dual_add_f32 v105, v105, v129 :: v_dual_mul_f32 v143, v247, v143
	v_mul_f32_e32 v145, v249, v145
	v_add_f32_e32 v107, v107, v121
	v_dual_fmac_f32 v137, v247, v142 :: v_dual_add_f32 v105, v105, v131
	s_delay_alu instid0(VALU_DEP_4) | instskip(NEXT) | instid1(VALU_DEP_3)
	v_fma_f32 v123, v246, v142, -v143
	v_dual_fmac_f32 v139, v249, v144 :: v_dual_add_f32 v107, v107, v119
	s_delay_alu instid0(VALU_DEP_3) | instskip(SKIP_1) | instid1(VALU_DEP_3)
	v_dual_fma_f32 v125, v248, v144, -v145 :: v_dual_add_f32 v105, v105, v137
	v_dual_mul_f32 v147, v251, v147 :: v_dual_mul_f32 v149, v253, v149
	v_add_f32_e32 v107, v107, v123
	s_delay_alu instid0(VALU_DEP_3) | instskip(NEXT) | instid1(VALU_DEP_3)
	v_dual_fmac_f32 v141, v251, v146 :: v_dual_add_f32 v105, v105, v139
	v_fma_f32 v127, v250, v146, -v147
	s_set_vgpr_msb 64                       ;  msbs: dst=1 src0=0 src1=0 src2=0
	v_dual_fmac_f32 v120 /*v376*/, v253, v148 :: v_dual_fmac_f32 v121 /*v377*/, v255, v150
	s_set_vgpr_msb 0                        ;  msbs: dst=0 src0=0 src1=0 src2=0
	v_dual_add_f32 v107, v107, v125 :: v_dual_fma_f32 v129, v252, v148, -v149
	v_add_f32_e32 v105, v105, v141
	s_wait_loadcnt 0x17
	s_set_vgpr_msb 0x41                     ;  msbs: dst=1 src0=1 src1=0 src2=0
	v_dual_mul_f32 v122 /*v378*/, v0 /*v256*/, v153 :: v_dual_mul_f32 v123 /*v379*/, v2 /*v258*/, v155
	s_set_vgpr_msb 0                        ;  msbs: dst=0 src0=0 src1=0 src2=0
	v_add_f32_e32 v107, v107, v127
	s_wait_loadcnt_dscnt 0xc07
	s_set_vgpr_msb 0x41                     ;  msbs: dst=1 src0=1 src1=0 src2=0
	v_mul_f32_e32 v146 /*v402*/, v72 /*v328*/, v201
	s_set_vgpr_msb 4                        ;  msbs: dst=0 src0=0 src1=1 src2=0
	v_add_f32_e32 v105, v105, v120 /*v376*/
	s_set_vgpr_msb 0x41                     ;  msbs: dst=1 src0=1 src1=0 src2=0
	v_dual_fmac_f32 v122 /*v378*/, v1 /*v257*/, v152 :: v_dual_mul_f32 v124 /*v380*/, v4 /*v260*/, v157
	v_dual_mul_f32 v125 /*v381*/, v6 /*v262*/, v159 :: v_dual_fmac_f32 v123 /*v379*/, v3 /*v259*/, v154
	s_set_vgpr_msb 4                        ;  msbs: dst=0 src0=0 src1=1 src2=0
	v_add_f32_e32 v105, v105, v121 /*v377*/
	s_set_vgpr_msb 0x41                     ;  msbs: dst=1 src0=1 src1=0 src2=0
	v_dual_mul_f32 v126 /*v382*/, v8 /*v264*/, v161 :: v_dual_mul_f32 v127 /*v383*/, v10 /*v266*/, v163
	v_dual_fmac_f32 v124 /*v380*/, v5 /*v261*/, v156 :: v_dual_fmac_f32 v125 /*v381*/, v7 /*v263*/, v158
	s_set_vgpr_msb 4                        ;  msbs: dst=0 src0=0 src1=1 src2=0
	v_add_f32_e32 v105, v105, v122 /*v378*/
	s_set_vgpr_msb 0x41                     ;  msbs: dst=1 src0=1 src1=0 src2=0
	v_dual_fmac_f32 v126 /*v382*/, v9 /*v265*/, v160 :: v_dual_mul_f32 v128 /*v384*/, v12 /*v268*/, v165
	v_dual_mul_f32 v129 /*v385*/, v14 /*v270*/, v167 :: v_dual_fmac_f32 v127 /*v383*/, v11 /*v267*/, v162
	s_set_vgpr_msb 4                        ;  msbs: dst=0 src0=0 src1=1 src2=0
	v_add_f32_e32 v105, v105, v123 /*v379*/
	s_set_vgpr_msb 0x41                     ;  msbs: dst=1 src0=1 src1=0 src2=0
	v_dual_mul_f32 v130 /*v386*/, v16 /*v272*/, v169 :: v_dual_mul_f32 v131 /*v387*/, v18 /*v274*/, v171
	v_dual_fmac_f32 v128 /*v384*/, v13 /*v269*/, v164 :: v_dual_fmac_f32 v129 /*v385*/, v15 /*v271*/, v166
	;; [unrolled: 10-line block ×5, first 2 shown]
	s_set_vgpr_msb 4                        ;  msbs: dst=0 src0=0 src1=1 src2=0
	v_add_f32_e32 v105, v105, v130 /*v386*/
	s_set_vgpr_msb 0x41                     ;  msbs: dst=1 src0=1 src1=0 src2=0
	v_dual_fmac_f32 v142 /*v398*/, v61 /*v317*/, v192 :: v_dual_mul_f32 v144 /*v400*/, v64 /*v320*/, v197
	v_dual_mul_f32 v145 /*v401*/, v70 /*v326*/, v199 :: v_dual_fmac_f32 v143 /*v399*/, v63 /*v319*/, v194
	s_set_vgpr_msb 4                        ;  msbs: dst=0 src0=0 src1=1 src2=0
	v_add_f32_e32 v105, v105, v131 /*v387*/
	s_wait_loadcnt_dscnt 0xb06
	s_set_vgpr_msb 1                        ;  msbs: dst=0 src0=1 src1=0 src2=0
	v_dual_mul_f32 v165, v13 /*v269*/, v165 :: v_dual_mul_f32 v126, v74 /*v330*/, v203
	s_set_vgpr_msb 0x41                     ;  msbs: dst=1 src0=1 src1=0 src2=0
	v_dual_fmac_f32 v144 /*v400*/, v65 /*v321*/, v196 :: v_dual_fmac_f32 v145 /*v401*/, v71 /*v327*/, v198
	v_fmac_f32_e32 v146 /*v402*/, v73 /*v329*/, v200
	s_set_vgpr_msb 4                        ;  msbs: dst=0 src0=0 src1=1 src2=0
	v_add_f32_e32 v105, v105, v132 /*v388*/
	s_wait_loadcnt_dscnt 0xa05
	s_set_vgpr_msb 1                        ;  msbs: dst=0 src0=1 src1=0 src2=0
	v_dual_mul_f32 v128, v76 /*v332*/, v205 :: v_dual_mul_f32 v109, v78 /*v334*/, v207
	v_dual_fmac_f32 v126, v75 /*v331*/, v202 :: v_dual_mul_f32 v153, v1 /*v257*/, v153
	v_mul_f32_e32 v155, v3 /*v259*/, v155
	s_set_vgpr_msb 4                        ;  msbs: dst=0 src0=0 src1=1 src2=0
	v_add_f32_e32 v105, v105, v133 /*v389*/
	s_set_vgpr_msb 0                        ;  msbs: dst=0 src0=0 src1=0 src2=0
	v_dual_fma_f32 v130, v254, v150, -v151 :: v_dual_add_f32 v107, v107, v129
	s_set_vgpr_msb 1                        ;  msbs: dst=0 src0=1 src1=0 src2=0
	v_dual_fmac_f32 v128, v77 /*v333*/, v204 :: v_dual_fmac_f32 v109, v79 /*v335*/, v206
	s_set_vgpr_msb 4                        ;  msbs: dst=0 src0=0 src1=1 src2=0
	v_add_f32_e32 v105, v105, v134 /*v390*/
	s_wait_loadcnt_dscnt 0x904
	s_set_vgpr_msb 1                        ;  msbs: dst=0 src0=1 src1=0 src2=0
	v_dual_mul_f32 v113, v80 /*v336*/, v209 :: v_dual_mul_f32 v111, v82 /*v338*/, v211
	v_dual_fma_f32 v131, v0 /*v256*/, v152, -v153 :: v_dual_mul_f32 v157, v5 /*v261*/, v157
	v_mul_f32_e32 v159, v7 /*v263*/, v159
	s_set_vgpr_msb 4                        ;  msbs: dst=0 src0=0 src1=1 src2=0
	v_add_f32_e32 v105, v105, v135 /*v391*/
	s_wait_loadcnt_dscnt 0x803
	s_set_vgpr_msb 1                        ;  msbs: dst=0 src0=1 src1=0 src2=0
	v_dual_mul_f32 v117, v84 /*v340*/, v213 :: v_dual_mul_f32 v115, v90 /*v346*/, v215
	v_dual_fma_f32 v132, v4 /*v260*/, v156, -v157 :: v_dual_fmac_f32 v111, v83 /*v339*/, v210
	s_set_vgpr_msb 4                        ;  msbs: dst=0 src0=0 src1=1 src2=0
	v_add_f32_e32 v105, v105, v136 /*v392*/
	s_set_vgpr_msb 1                        ;  msbs: dst=0 src0=1 src1=0 src2=0
	v_dual_mul_f32 v161, v9 /*v265*/, v161 :: v_dual_mul_f32 v163, v11 /*v267*/, v163
	v_dual_fma_f32 v134, v6 /*v262*/, v158, -v159 :: v_dual_mul_f32 v121, v92 /*v348*/, v217
	s_wait_loadcnt_dscnt 0x702
	v_mul_f32_e32 v119, v94 /*v350*/, v219
	s_set_vgpr_msb 4                        ;  msbs: dst=0 src0=0 src1=1 src2=0
	v_add_f32_e32 v105, v105, v137 /*v393*/
	s_set_vgpr_msb 1                        ;  msbs: dst=0 src0=1 src1=0 src2=0
	v_dual_fma_f32 v135, v8 /*v264*/, v160, -v161 :: v_dual_fmac_f32 v115, v91 /*v347*/, v214
	v_dual_fma_f32 v136, v10 /*v266*/, v162, -v163 :: v_dual_mul_f32 v123, v96 /*v352*/, v221
	s_wait_loadcnt_dscnt 0x601
	v_mul_f32_e32 v125, v102 /*v358*/, v223
	s_set_vgpr_msb 4                        ;  msbs: dst=0 src0=0 src1=1 src2=0
	v_add_f32_e32 v105, v105, v138 /*v394*/
	s_wait_loadcnt_dscnt 0x500
	s_set_vgpr_msb 1                        ;  msbs: dst=0 src0=1 src1=0 src2=0
	v_mul_f32_e32 v129, v108 /*v364*/, v229
	v_fma_f32 v137, v12 /*v268*/, v164, -v165
	v_dual_fmac_f32 v123, v97 /*v353*/, v220 :: v_dual_mul_f32 v133, v104 /*v360*/, v225
	v_mul_f32_e32 v127, v106 /*v362*/, v227
	s_set_vgpr_msb 4                        ;  msbs: dst=0 src0=0 src1=1 src2=0
	v_add_f32_e32 v105, v105, v139 /*v395*/
	s_set_vgpr_msb 1                        ;  msbs: dst=0 src0=1 src1=0 src2=0
	v_fmac_f32_e32 v125, v103 /*v359*/, v222
	v_fmac_f32_e32 v113, v81 /*v337*/, v208
	v_dual_fmac_f32 v133, v105 /*v361*/, v224 :: v_dual_fmac_f32 v127, v107 /*v363*/, v226
	s_set_vgpr_msb 4                        ;  msbs: dst=0 src0=0 src1=1 src2=0
	v_add_f32_e32 v105, v105, v140 /*v396*/
	s_set_vgpr_msb 1                        ;  msbs: dst=0 src0=1 src1=0 src2=0
	v_fmac_f32_e32 v117, v85 /*v341*/, v212
	v_fmac_f32_e32 v121, v93 /*v349*/, v216
	s_set_vgpr_msb 4                        ;  msbs: dst=0 src0=0 src1=1 src2=0
	v_add_f32_e32 v105, v105, v141 /*v397*/
	s_delay_alu instid0(VALU_DEP_1) | instskip(NEXT) | instid1(VALU_DEP_1)
	v_add_f32_e32 v105, v105, v142 /*v398*/
	v_add_f32_e32 v105, v105, v143 /*v399*/
	s_delay_alu instid0(VALU_DEP_1) | instskip(NEXT) | instid1(VALU_DEP_1)
	v_add_f32_e32 v105, v105, v144 /*v400*/
	v_add_f32_e32 v105, v105, v145 /*v401*/
	s_delay_alu instid0(VALU_DEP_1) | instskip(SKIP_1) | instid1(VALU_DEP_1)
	v_add_f32_e32 v105, v105, v146 /*v402*/
	s_set_vgpr_msb 0                        ;  msbs: dst=0 src0=0 src1=0 src2=0
	v_add_f32_e32 v105, v105, v126
	v_add_f32_e32 v107, v107, v130
	s_set_vgpr_msb 1                        ;  msbs: dst=0 src0=1 src1=0 src2=0
	v_fma_f32 v130, v2 /*v258*/, v154, -v155
	s_set_vgpr_msb 0                        ;  msbs: dst=0 src0=0 src1=0 src2=0
	s_delay_alu instid0(VALU_DEP_2)
	v_dual_add_f32 v105, v105, v128 :: v_dual_add_f32 v107, v107, v131
	s_set_vgpr_msb 1                        ;  msbs: dst=0 src0=1 src1=0 src2=0
	v_mul_f32_e32 v128, v95 /*v351*/, v219
	v_mul_f32_e32 v131, v15 /*v271*/, v167
	v_fmac_f32_e32 v119, v95 /*v351*/, v218
	s_set_vgpr_msb 0                        ;  msbs: dst=0 src0=0 src1=0 src2=0
	v_dual_add_f32 v105, v105, v109 :: v_dual_add_f32 v107, v107, v130
	s_set_vgpr_msb 1                        ;  msbs: dst=0 src0=1 src1=0 src2=0
	v_dual_mul_f32 v130, v17 /*v273*/, v169 :: v_dual_fma_f32 v128, v94 /*v350*/, v218, -v128
	v_fma_f32 v131, v14 /*v270*/, v166, -v131
	s_set_vgpr_msb 0                        ;  msbs: dst=0 src0=0 src1=0 src2=0
	v_dual_add_f32 v105, v105, v113 :: v_dual_add_f32 v107, v107, v132
	s_set_vgpr_msb 1                        ;  msbs: dst=0 src0=1 src1=0 src2=0
	v_mul_f32_e32 v113, v103 /*v359*/, v223
	v_dual_mul_f32 v132, v19 /*v275*/, v171 :: v_dual_fma_f32 v130, v16 /*v272*/, v168, -v130
	s_set_vgpr_msb 0                        ;  msbs: dst=0 src0=0 src1=0 src2=0
	v_dual_add_f32 v105, v105, v111 :: v_dual_add_f32 v107, v107, v134
	s_set_vgpr_msb 1                        ;  msbs: dst=0 src0=1 src1=0 src2=0
	s_delay_alu instid0(VALU_DEP_2)
	v_dual_mul_f32 v134, v21 /*v277*/, v173 :: v_dual_fma_f32 v132, v18 /*v274*/, v170, -v132
	v_mul_f32_e32 v109, v97 /*v353*/, v221
	s_set_vgpr_msb 0                        ;  msbs: dst=0 src0=0 src1=0 src2=0
	v_add_f32_e32 v105, v105, v117
	s_set_vgpr_msb 1                        ;  msbs: dst=0 src0=1 src1=0 src2=0
	v_dual_mul_f32 v117, v107 /*v363*/, v227 :: v_dual_fma_f32 v134, v20 /*v276*/, v172, -v134
	v_dual_mul_f32 v111, v105 /*v361*/, v225 :: v_dual_fma_f32 v109, v96 /*v352*/, v220, -v109
	s_set_vgpr_msb 0                        ;  msbs: dst=0 src0=0 src1=0 src2=0
	v_add_f32_e32 v105, v105, v115
	v_add_f32_e32 v107, v107, v135
	s_set_vgpr_msb 1                        ;  msbs: dst=0 src0=1 src1=0 src2=0
	v_dual_mul_f32 v135, v27 /*v283*/, v175 :: v_dual_mul_f32 v115, v109 /*v365*/, v229
	v_fma_f32 v113, v102 /*v358*/, v222, -v113
	s_set_vgpr_msb 0                        ;  msbs: dst=0 src0=0 src1=0 src2=0
	v_dual_add_f32 v105, v105, v121 :: v_dual_add_f32 v107, v107, v136
	s_set_vgpr_msb 1                        ;  msbs: dst=0 src0=1 src1=0 src2=0
	v_dual_mul_f32 v136, v29 /*v285*/, v177 :: v_dual_fma_f32 v135, v26 /*v282*/, v174, -v135
	s_set_vgpr_msb 0                        ;  msbs: dst=0 src0=0 src1=0 src2=0
	s_delay_alu instid0(VALU_DEP_2)
	v_dual_ashrrev_i32 v121, 31, v120 :: v_dual_add_f32 v105, v105, v119
	v_add_f32_e32 v107, v107, v137
	s_set_vgpr_msb 1                        ;  msbs: dst=0 src0=1 src1=0 src2=0
	v_dual_mul_f32 v137, v31 /*v287*/, v179 :: v_dual_fma_f32 v136, v28 /*v284*/, v176, -v136
	s_set_vgpr_msb 0                        ;  msbs: dst=0 src0=0 src1=0 src2=0
	v_dual_ashrrev_i32 v119, 31, v118 :: v_dual_add_f32 v105, v105, v123
	v_add_f32_e32 v107, v107, v131
	s_set_vgpr_msb 1                        ;  msbs: dst=0 src0=1 src1=0 src2=0
	v_dual_mul_f32 v131, v33 /*v289*/, v181 :: v_dual_fma_f32 v137, v30 /*v286*/, v178, -v137
	s_set_vgpr_msb 0                        ;  msbs: dst=0 src0=0 src1=0 src2=0
	;; [unrolled: 5-line block ×3, first 2 shown]
	v_dual_ashrrev_i32 v125, 31, v124 :: v_dual_add_f32 v139, v105, v133
	v_add_f32_e32 v107, v107, v132
	s_set_vgpr_msb 1                        ;  msbs: dst=0 src0=1 src1=0 src2=0
	v_dual_mul_f32 v132, v45 /*v301*/, v185 :: v_dual_fma_f32 v130, v42 /*v298*/, v182, -v130
	v_ashrrev_i32_e32 v105, 31, v104
	v_fmac_f32_e32 v129, v109 /*v365*/, v228
	s_set_vgpr_msb 0                        ;  msbs: dst=0 src0=0 src1=0 src2=0
	v_add_f32_e32 v107, v107, v134
	s_set_vgpr_msb 1                        ;  msbs: dst=0 src0=1 src1=0 src2=0
	v_dual_mul_f32 v134, v47 /*v303*/, v187 :: v_dual_fma_f32 v132, v44 /*v300*/, v184, -v132
	s_set_vgpr_msb 0                        ;  msbs: dst=0 src0=0 src1=0 src2=0
	s_delay_alu instid0(VALU_DEP_2) | instskip(SKIP_1) | instid1(VALU_DEP_2)
	v_add_f32_e32 v107, v107, v135
	s_set_vgpr_msb 1                        ;  msbs: dst=0 src0=1 src1=0 src2=0
	v_dual_mul_f32 v135, v49 /*v305*/, v189 :: v_dual_fma_f32 v134, v46 /*v302*/, v186, -v134
	s_set_vgpr_msb 0                        ;  msbs: dst=0 src0=0 src1=0 src2=0
	s_delay_alu instid0(VALU_DEP_2) | instskip(SKIP_1) | instid1(VALU_DEP_2)
	;; [unrolled: 5-line block ×10, first 2 shown]
	v_add_f32_e32 v107, v107, v137
	s_set_vgpr_msb 1                        ;  msbs: dst=0 src0=1 src1=0 src2=0
	v_dual_mul_f32 v137, v79 /*v335*/, v207 :: v_dual_fma_f32 v136, v76 /*v332*/, v204, -v136
	v_mul_f32_e32 v126, v93 /*v349*/, v217
	s_set_vgpr_msb 0                        ;  msbs: dst=0 src0=0 src1=0 src2=0
	v_add_f32_e32 v107, v107, v131
	s_set_vgpr_msb 1                        ;  msbs: dst=0 src0=1 src1=0 src2=0
	v_mul_f32_e32 v131, v81 /*v337*/, v209
	s_set_vgpr_msb 0                        ;  msbs: dst=0 src0=0 src1=0 src2=0
	s_delay_alu instid0(VALU_DEP_2) | instskip(SKIP_1) | instid1(VALU_DEP_2)
	v_add_f32_e32 v107, v107, v130
	s_set_vgpr_msb 1                        ;  msbs: dst=0 src0=1 src1=0 src2=0
	v_dual_mul_f32 v130, v83 /*v339*/, v211 :: v_dual_fma_f32 v131, v80 /*v336*/, v208, -v131
	s_set_vgpr_msb 0                        ;  msbs: dst=0 src0=0 src1=0 src2=0
	s_delay_alu instid0(VALU_DEP_2) | instskip(SKIP_1) | instid1(VALU_DEP_2)
	v_add_f32_e32 v107, v107, v132
	s_set_vgpr_msb 1                        ;  msbs: dst=0 src0=1 src1=0 src2=0
	v_dual_mul_f32 v132, v85 /*v341*/, v213 :: v_dual_fma_f32 v130, v82 /*v338*/, v210, -v130
	s_set_vgpr_msb 0                        ;  msbs: dst=0 src0=0 src1=0 src2=0
	s_delay_alu instid0(VALU_DEP_2) | instskip(SKIP_3) | instid1(VALU_DEP_2)
	v_add_f32_e32 v107, v107, v134
	s_set_vgpr_msb 1                        ;  msbs: dst=0 src0=1 src1=0 src2=0
	v_mul_f32_e32 v134, v91 /*v347*/, v215
	s_set_vgpr_msb 0                        ;  msbs: dst=0 src0=0 src1=0 src2=0
	v_add_f32_e32 v107, v107, v135
	s_set_vgpr_msb 1                        ;  msbs: dst=0 src0=1 src1=0 src2=0
	v_dual_fma_f32 v135, v78 /*v334*/, v206, -v137 :: v_dual_fma_f32 v126, v92 /*v348*/, v216, -v126
	s_set_vgpr_msb 0                        ;  msbs: dst=0 src0=0 src1=0 src2=0
	s_delay_alu instid0(VALU_DEP_2)
	v_add_f32_e32 v107, v107, v136
	s_wait_loadcnt 0x3
	s_set_vgpr_msb 1                        ;  msbs: dst=0 src0=1 src1=0 src2=0
	v_mov_b32_e32 v136, v69 /*v325*/
	s_set_vgpr_msb 0                        ;  msbs: dst=0 src0=0 src1=0 src2=0
	v_add_f32_e32 v107, v107, v135
	s_delay_alu instid0(VALU_DEP_1) | instskip(SKIP_3) | instid1(VALU_DEP_2)
	v_add_f32_e32 v107, v107, v131
	s_set_vgpr_msb 1                        ;  msbs: dst=0 src0=1 src1=0 src2=0
	v_dual_fma_f32 v131, v84 /*v340*/, v212, -v132 :: v_dual_mov_b32 v132, v25 /*v281*/
	s_set_vgpr_msb 0                        ;  msbs: dst=0 src0=0 src1=0 src2=0
	v_add_f32_e32 v107, v107, v130
	s_set_vgpr_msb 1                        ;  msbs: dst=0 src0=1 src1=0 src2=0
	v_fma_f32 v130, v90 /*v346*/, v214, -v134
	v_pk_mul_f32 v[132:133], v[112:113] /*v[368:369]*/, v[132:133] op_sel_hi:[1,0]
	s_set_vgpr_msb 5                        ;  msbs: dst=0 src0=1 src1=1 src2=0
	v_pk_mul_f32 v[134:135], v[38:39] /*v[294:295]*/, v[66:67] /*v[322:323]*/ op_sel:[1,1] op_sel_hi:[0,1]
	s_set_vgpr_msb 0                        ;  msbs: dst=0 src0=0 src1=0 src2=0
	v_add_f32_e32 v107, v107, v131
	s_delay_alu instid0(VALU_DEP_1) | instskip(SKIP_3) | instid1(VALU_DEP_2)
	v_add_f32_e32 v107, v107, v130
	s_set_vgpr_msb 5                        ;  msbs: dst=0 src0=1 src1=1 src2=0
	v_pk_mul_f32 v[130:131], v[34:35] /*v[290:291]*/, v[22:23] /*v[278:279]*/ op_sel:[1,1] op_sel_hi:[0,1]
	s_set_vgpr_msb 0                        ;  msbs: dst=0 src0=0 src1=0 src2=0
	v_add_f32_e32 v107, v107, v126
	s_set_vgpr_msb 1                        ;  msbs: dst=0 src0=1 src1=0 src2=0
	v_fma_f32 v126, v106 /*v362*/, v226, -v117
	s_set_vgpr_msb 5                        ;  msbs: dst=0 src0=1 src1=1 src2=0
	v_pk_fma_f32 v[140:141], v[34:35] /*v[290:291]*/, v[22:23] /*v[278:279]*/, v[130:131] op_sel_hi:[1,0,1]
	v_pk_fma_f32 v[130:131], v[34:35] /*v[290:291]*/, v[22:23] /*v[278:279]*/, v[130:131] neg_lo:[0,0,1] neg_hi:[0,0,1]
	s_set_vgpr_msb 1                        ;  msbs: dst=0 src0=1 src1=0 src2=0
	v_pk_mul_f32 v[136:137], v[114:115] /*v[370:371]*/, v[136:137] op_sel_hi:[1,0]
	s_set_vgpr_msb 0                        ;  msbs: dst=0 src0=0 src1=0 src2=0
	v_add_f32_e32 v107, v107, v128
	s_set_vgpr_msb 1                        ;  msbs: dst=0 src0=1 src1=0 src2=0
	v_fma_f32 v128, v108 /*v364*/, v228, -v115
	s_set_vgpr_msb 0                        ;  msbs: dst=0 src0=0 src1=0 src2=0
	v_mov_b32_e32 v131, v141
	s_set_vgpr_msb 5                        ;  msbs: dst=0 src0=1 src1=1 src2=0
	v_pk_fma_f32 v[140:141], v[36:37] /*v[292:293]*/, v[24:25] /*v[280:281]*/, v[132:133] op_sel_hi:[1,0,1]
	v_pk_fma_f32 v[132:133], v[36:37] /*v[292:293]*/, v[24:25] /*v[280:281]*/, v[132:133] neg_lo:[0,0,1] neg_hi:[0,0,1]
	s_set_vgpr_msb 0                        ;  msbs: dst=0 src0=0 src1=0 src2=0
	v_add_f32_e32 v107, v107, v109
	s_set_vgpr_msb 1                        ;  msbs: dst=0 src0=1 src1=0 src2=0
	v_dual_fma_f32 v109, v104 /*v360*/, v224, -v111 :: v_dual_ashrrev_i32 v111, 31, v110
	s_set_vgpr_msb 0                        ;  msbs: dst=0 src0=0 src1=0 src2=0
	v_dual_mov_b32 v133, v141 :: v_dual_ashrrev_i32 v115, 31, v114
	v_dual_add_f32 v107, v107, v113 :: v_dual_ashrrev_i32 v113, 31, v112
	s_delay_alu instid0(VALU_DEP_1) | instskip(SKIP_1) | instid1(VALU_DEP_2)
	v_dual_add_f32 v138, v107, v109 :: v_dual_ashrrev_i32 v117, 31, v116
	v_dual_ashrrev_i32 v107, 31, v106 :: v_dual_ashrrev_i32 v109, 31, v108
	v_pk_add_f32 v[126:127], v[138:139], v[126:127]
	s_wait_loadcnt 0x1
	s_set_vgpr_msb 5                        ;  msbs: dst=0 src0=1 src1=1 src2=0
	v_pk_mul_f32 v[138:139], v[50:51] /*v[306:307]*/, v[86:87] /*v[342:343]*/ op_sel:[1,1] op_sel_hi:[0,1]
	s_set_vgpr_msb 0                        ;  msbs: dst=0 src0=0 src1=0 src2=0
	v_pk_add_f32 v[126:127], v[126:127], v[128:129]
	s_set_vgpr_msb 5                        ;  msbs: dst=0 src0=1 src1=1 src2=0
	v_pk_fma_f32 v[128:129], v[38:39] /*v[294:295]*/, v[66:67] /*v[322:323]*/, v[134:135] op_sel_hi:[1,0,1]
	v_mov_b32_e32 v128, v89 /*v345*/
	s_set_vgpr_msb 0                        ;  msbs: dst=0 src0=0 src1=0 src2=0
	v_pk_add_f32 v[126:127], v[126:127], v[130:131]
	s_set_vgpr_msb 5                        ;  msbs: dst=0 src0=1 src1=1 src2=0
	v_pk_fma_f32 v[130:131], v[38:39] /*v[294:295]*/, v[66:67] /*v[322:323]*/, v[134:135] neg_lo:[0,0,1] neg_hi:[0,0,1]
	s_set_vgpr_msb 0                        ;  msbs: dst=0 src0=0 src1=0 src2=0
	v_mov_b32_e32 v131, v129
	s_set_vgpr_msb 5                        ;  msbs: dst=0 src0=1 src1=1 src2=0
	v_pk_fma_f32 v[134:135], v[40:41] /*v[296:297]*/, v[68:69] /*v[324:325]*/, v[136:137] op_sel_hi:[1,0,1]
	s_set_vgpr_msb 1                        ;  msbs: dst=0 src0=1 src1=0 src2=0
	v_pk_mul_f32 v[128:129], v[116:117] /*v[372:373]*/, v[128:129] op_sel_hi:[1,0]
	s_set_vgpr_msb 0                        ;  msbs: dst=0 src0=0 src1=0 src2=0
	v_pk_add_f32 v[126:127], v[126:127], v[132:133]
	s_set_vgpr_msb 5                        ;  msbs: dst=0 src0=1 src1=1 src2=0
	v_pk_fma_f32 v[132:133], v[50:51] /*v[306:307]*/, v[86:87] /*v[342:343]*/, v[138:139] op_sel_hi:[1,0,1]
	v_pk_fma_f32 v[136:137], v[40:41] /*v[296:297]*/, v[68:69] /*v[324:325]*/, v[136:137] neg_lo:[0,0,1] neg_hi:[0,0,1]
	s_set_vgpr_msb 0                        ;  msbs: dst=0 src0=0 src1=0 src2=0
	v_mov_b32_e32 v137, v135
	s_set_vgpr_msb 5                        ;  msbs: dst=0 src0=1 src1=1 src2=0
	v_pk_fma_f32 v[134:135], v[50:51] /*v[306:307]*/, v[86:87] /*v[342:343]*/, v[138:139] neg_lo:[0,0,1] neg_hi:[0,0,1]
	s_set_vgpr_msb 0                        ;  msbs: dst=0 src0=0 src1=0 src2=0
	v_pk_add_f32 v[126:127], v[126:127], v[130:131]
	v_mov_b32_e32 v135, v133
	s_set_vgpr_msb 5                        ;  msbs: dst=0 src0=1 src1=1 src2=0
	v_pk_fma_f32 v[132:133], v[52:53] /*v[308:309]*/, v[88:89] /*v[344:345]*/, v[128:129] op_sel_hi:[1,0,1]
	s_wait_loadcnt 0x0
	v_pk_mul_f32 v[130:131], v[54:55] /*v[310:311]*/, v[98:99] /*v[354:355]*/ op_sel:[1,1] op_sel_hi:[0,1]
	v_mov_b32_e32 v132, v101 /*v357*/
	s_set_vgpr_msb 0                        ;  msbs: dst=0 src0=0 src1=0 src2=0
	v_pk_add_f32 v[126:127], v[126:127], v[136:137]
	s_set_vgpr_msb 5                        ;  msbs: dst=0 src0=1 src1=1 src2=0
	v_pk_fma_f32 v[128:129], v[52:53] /*v[308:309]*/, v[88:89] /*v[344:345]*/, v[128:129] neg_lo:[0,0,1] neg_hi:[0,0,1]
	s_set_vgpr_msb 0                        ;  msbs: dst=0 src0=0 src1=0 src2=0
	v_mov_b32_e32 v129, v133
	s_set_vgpr_msb 5                        ;  msbs: dst=0 src0=1 src1=1 src2=0
	v_pk_fma_f32 v[136:137], v[54:55] /*v[310:311]*/, v[98:99] /*v[354:355]*/, v[130:131] op_sel_hi:[1,0,1]
	s_set_vgpr_msb 1                        ;  msbs: dst=0 src0=1 src1=0 src2=0
	v_pk_mul_f32 v[132:133], v[118:119] /*v[374:375]*/, v[132:133] op_sel_hi:[1,0]
	s_set_vgpr_msb 0                        ;  msbs: dst=0 src0=0 src1=0 src2=0
	v_pk_add_f32 v[126:127], v[126:127], v[134:135]
	s_set_vgpr_msb 5                        ;  msbs: dst=0 src0=1 src1=1 src2=0
	v_pk_fma_f32 v[130:131], v[54:55] /*v[310:311]*/, v[98:99] /*v[354:355]*/, v[130:131] neg_lo:[0,0,1] neg_hi:[0,0,1]
	s_set_vgpr_msb 0                        ;  msbs: dst=0 src0=0 src1=0 src2=0
	v_mov_b32_e32 v131, v137
	v_pk_add_f32 v[126:127], v[126:127], v[128:129]
	s_set_vgpr_msb 5                        ;  msbs: dst=0 src0=1 src1=1 src2=0
	v_pk_fma_f32 v[128:129], v[56:57] /*v[312:313]*/, v[100:101] /*v[356:357]*/, v[132:133] op_sel_hi:[1,0,1]
	v_pk_fma_f32 v[132:133], v[56:57] /*v[312:313]*/, v[100:101] /*v[356:357]*/, v[132:133] neg_lo:[0,0,1] neg_hi:[0,0,1]
	s_set_vgpr_msb 0                        ;  msbs: dst=0 src0=0 src1=0 src2=0
	v_pk_add_f32 v[126:127], v[126:127], v[130:131]
	s_delay_alu instid0(VALU_DEP_3) | instskip(NEXT) | instid1(VALU_DEP_1)
	v_mov_b32_e32 v133, v129
	v_pk_add_f32 v[126:127], v[126:127], v[132:133]
	s_set_vgpr_msb 1                        ;  msbs: dst=0 src0=1 src1=0 src2=0
	s_delay_alu instid0(VALU_DEP_1)
	v_pk_add_f32 v[126:127], v[110:111] /*v[366:367]*/, v[126:127] neg_lo:[0,1] neg_hi:[0,1]
	scratch_store_b64 off, v[126:127], off offset:8
	s_wait_xcnt 0x0
	v_cmpx_ne_u32_e32 0, v0
	s_set_vgpr_msb 0                        ;  msbs: dst=0 src0=0 src1=0 src2=0
	s_cbranch_execz .LBB125_385
; %bb.384:
	scratch_load_b64 v[126:127], off, off
	v_mov_b64_e32 v[128:129], 0
	scratch_store_b64 off, v[128:129], off
	s_wait_loadcnt 0x0
	ds_store_b64 v1, v[126:127]
.LBB125_385:
	s_wait_xcnt 0x0
	s_or_b32 exec_lo, exec_lo, s0
	s_wait_storecnt_dscnt 0x0
	s_barrier_signal -1
	s_barrier_wait -1
	s_clause 0x20
	scratch_load_b128 v[126:129], off, off offset:8
	scratch_load_b128 v[130:133], off, off offset:24
	;; [unrolled: 1-line block ×30, first 2 shown]
	s_set_vgpr_msb 64                       ;  msbs: dst=1 src0=0 src1=0 src2=0
	scratch_load_b64 v[110:111] /*v[366:367]*/, off, off offset:488
	scratch_load_b64 v[112:113] /*v[368:369]*/, off, off
	s_set_vgpr_msb 0                        ;  msbs: dst=0 src0=0 src1=0 src2=0
	v_mov_b32_e32 v0, 0
	ds_load_2addr_b64 v[246:249], v0 offset0:63 offset1:64
	ds_load_2addr_b64 v[250:253], v0 offset0:65 offset1:66
	;; [unrolled: 1-line block ×3, first 2 shown]
	s_set_vgpr_msb 64                       ;  msbs: dst=1 src0=0 src1=0 src2=0
	ds_load_2addr_b64 v[2:5] /*v[258:261]*/, v0 offset0:69 offset1:70
	ds_load_2addr_b64 v[6:9] /*v[262:265]*/, v0 offset0:71 offset1:72
	ds_load_2addr_b64 v[10:13] /*v[266:269]*/, v0 offset0:73 offset1:74
	ds_load_2addr_b64 v[14:17] /*v[270:273]*/, v0 offset0:75 offset1:76
	ds_load_2addr_b64 v[18:21] /*v[274:277]*/, v0 offset0:77 offset1:78
	ds_load_2addr_b64 v[22:25] /*v[278:281]*/, v0 offset0:79 offset1:80
	ds_load_2addr_b64 v[26:29] /*v[282:285]*/, v0 offset0:81 offset1:82
	ds_load_2addr_b64 v[30:33] /*v[286:289]*/, v0 offset0:115 offset1:116
	ds_load_2addr_b64 v[34:37] /*v[290:293]*/, v0 offset0:83 offset1:84
	ds_load_2addr_b64 v[38:41] /*v[294:297]*/, v0 offset0:85 offset1:86
	ds_load_2addr_b64 v[42:45] /*v[298:301]*/, v0 offset0:117 offset1:118
	ds_load_2addr_b64 v[46:49] /*v[302:305]*/, v0 offset0:119 offset1:120
	ds_load_2addr_b64 v[50:53] /*v[306:309]*/, v0 offset0:87 offset1:88
	ds_load_2addr_b64 v[54:57] /*v[310:313]*/, v0 offset0:89 offset1:90
	ds_load_2addr_b64 v[58:61] /*v[314:317]*/, v0 offset0:121 offset1:122
	ds_load_2addr_b64 v[62:65] /*v[318:321]*/, v0 offset0:91 offset1:92
	ds_load_2addr_b64 v[66:69] /*v[322:325]*/, v0 offset0:93 offset1:94
	ds_load_2addr_b64 v[70:73] /*v[326:329]*/, v0 offset0:95 offset1:96
	ds_load_2addr_b64 v[74:77] /*v[330:333]*/, v0 offset0:97 offset1:98
	ds_load_2addr_b64 v[78:81] /*v[334:337]*/, v0 offset0:99 offset1:100
	ds_load_2addr_b64 v[82:85] /*v[338:341]*/, v0 offset0:101 offset1:102
	ds_load_2addr_b64 v[86:89] /*v[342:345]*/, v0 offset0:103 offset1:104
	ds_load_2addr_b64 v[90:93] /*v[346:349]*/, v0 offset0:105 offset1:106
	ds_load_2addr_b64 v[94:97] /*v[350:353]*/, v0 offset0:107 offset1:108
	ds_load_2addr_b64 v[98:101] /*v[354:357]*/, v0 offset0:109 offset1:110
	ds_load_2addr_b64 v[102:105] /*v[358:361]*/, v0 offset0:111 offset1:112
	ds_load_2addr_b64 v[106:109] /*v[362:365]*/, v0 offset0:113 offset1:114
	ds_load_b64 v[114:115] /*v[370:371]*/, v0 offset:984
	s_wait_dscnt 0x14
	s_set_vgpr_msb 0x41                     ;  msbs: dst=1 src0=1 src1=0 src2=0
	v_dual_mov_b32 v116 /*v372*/, v33 /*v289*/ :: v_dual_mov_b32 v117 /*v373*/, v32 /*v288*/
	s_wait_dscnt 0x11
	v_dual_mov_b32 v118 /*v374*/, v45 /*v301*/ :: v_dual_mov_b32 v119 /*v375*/, v44 /*v300*/
	s_wait_dscnt 0x10
	;; [unrolled: 2-line block ×3, first 2 shown]
	v_dual_mov_b32 v122 /*v378*/, v61 /*v317*/ :: v_dual_mov_b32 v123 /*v379*/, v60 /*v316*/
	s_and_b32 vcc_lo, exec_lo, s12
	s_wait_loadcnt 0x1f
	s_set_vgpr_msb 0                        ;  msbs: dst=0 src0=0 src1=0 src2=0
	v_dual_mul_f32 v1, v246, v127 :: v_dual_mul_f32 v127, v247, v127
	s_wait_loadcnt 0x1e
	s_set_vgpr_msb 64                       ;  msbs: dst=1 src0=0 src1=0 src2=0
	v_dual_mul_f32 v124 /*v380*/, v248, v129 :: v_dual_mul_f32 v126 /*v382*/, v250, v131
	s_wait_loadcnt 0x1d
	v_dual_mul_f32 v128 /*v384*/, v252, v133 :: v_dual_mul_f32 v129 /*v385*/, v254, v135
	s_set_vgpr_msb 0                        ;  msbs: dst=0 src0=0 src1=0 src2=0
	v_dual_mul_f32 v129, v249, v129 :: v_dual_mul_f32 v135, v255, v135
	v_dual_fmac_f32 v1, v247, v126 :: v_dual_fma_f32 v126, v246, v126, -v127
	v_dual_mul_f32 v131, v251, v131 :: v_dual_mul_f32 v133, v253, v133
	s_set_vgpr_msb 64                       ;  msbs: dst=1 src0=0 src1=0 src2=0
	v_dual_fmac_f32 v124 /*v380*/, v249, v128 :: v_dual_fmac_f32 v126 /*v382*/, v251, v130
	s_set_vgpr_msb 0                        ;  msbs: dst=0 src0=0 src1=0 src2=0
	v_dual_add_f32 v126, 0, v126 :: v_dual_fma_f32 v128, v248, v128, -v129
	v_dual_add_f32 v1, 0, v1 :: v_dual_fma_f32 v130, v250, v130, -v131
	v_fma_f32 v131, v252, v132, -v133
	s_set_vgpr_msb 64                       ;  msbs: dst=1 src0=0 src1=0 src2=0
	v_dual_fmac_f32 v128 /*v384*/, v253, v132 :: v_dual_fmac_f32 v129 /*v385*/, v255, v134
	s_set_vgpr_msb 4                        ;  msbs: dst=0 src0=0 src1=1 src2=0
	v_add_f32_e32 v1, v1, v124 /*v380*/
	s_set_vgpr_msb 0                        ;  msbs: dst=0 src0=0 src1=0 src2=0
	v_add_f32_e32 v126, v126, v128
	s_wait_loadcnt 0x1c
	s_set_vgpr_msb 0x41                     ;  msbs: dst=1 src0=1 src1=0 src2=0
	v_dual_mul_f32 v130 /*v386*/, v0 /*v256*/, v137 :: v_dual_mul_f32 v131 /*v387*/, v2 /*v258*/, v139
	s_set_vgpr_msb 1                        ;  msbs: dst=0 src0=1 src1=0 src2=0
	v_dual_mul_f32 v137, v1 /*v257*/, v137 :: v_dual_mul_f32 v139, v3 /*v259*/, v139
	s_set_vgpr_msb 4                        ;  msbs: dst=0 src0=0 src1=1 src2=0
	v_add_f32_e32 v1, v1, v126 /*v382*/
	s_set_vgpr_msb 0                        ;  msbs: dst=0 src0=0 src1=0 src2=0
	v_add_f32_e32 v126, v126, v130
	v_fma_f32 v132, v254, v134, -v135
	s_set_vgpr_msb 0x41                     ;  msbs: dst=1 src0=1 src1=0 src2=0
	v_dual_fmac_f32 v130 /*v386*/, v1 /*v257*/, v136 :: v_dual_fmac_f32 v131 /*v387*/, v3 /*v259*/, v138
	s_set_vgpr_msb 4                        ;  msbs: dst=0 src0=0 src1=1 src2=0
	v_add_f32_e32 v1, v1, v128 /*v384*/
	s_set_vgpr_msb 0                        ;  msbs: dst=0 src0=0 src1=0 src2=0
	v_add_f32_e32 v126, v126, v131
	s_wait_loadcnt 0x1a
	s_set_vgpr_msb 1                        ;  msbs: dst=0 src0=1 src1=0 src2=0
	v_dual_mul_f32 v131, v13 /*v269*/, v149 :: v_dual_fma_f32 v133, v0 /*v256*/, v136, -v137
	s_set_vgpr_msb 0x41                     ;  msbs: dst=1 src0=1 src1=0 src2=0
	v_dual_mul_f32 v132 /*v388*/, v4 /*v260*/, v141 :: v_dual_mul_f32 v133 /*v389*/, v6 /*v262*/, v143
	s_set_vgpr_msb 4                        ;  msbs: dst=0 src0=0 src1=1 src2=0
	v_add_f32_e32 v1, v1, v129 /*v385*/
	s_set_vgpr_msb 0                        ;  msbs: dst=0 src0=0 src1=0 src2=0
	v_add_f32_e32 v126, v126, v132
	s_set_vgpr_msb 1                        ;  msbs: dst=0 src0=1 src1=0 src2=0
	v_dual_mul_f32 v127, v5 /*v261*/, v141 :: v_dual_mul_f32 v129, v7 /*v263*/, v143
	s_wait_loadcnt 0x19
	v_dual_mul_f32 v132, v15 /*v271*/, v151 :: v_dual_fma_f32 v134, v2 /*v258*/, v138, -v139
	s_set_vgpr_msb 4                        ;  msbs: dst=0 src0=0 src1=1 src2=0
	v_add_f32_e32 v1, v1, v130 /*v386*/
	s_set_vgpr_msb 0                        ;  msbs: dst=0 src0=0 src1=0 src2=0
	v_add_f32_e32 v126, v126, v133
	s_set_vgpr_msb 1                        ;  msbs: dst=0 src0=1 src1=0 src2=0
	v_dual_mul_f32 v133, v17 /*v273*/, v153 :: v_dual_fma_f32 v127, v4 /*v260*/, v140, -v127
	s_set_vgpr_msb 0x41                     ;  msbs: dst=1 src0=1 src1=0 src2=0
	v_dual_fmac_f32 v132 /*v388*/, v5 /*v261*/, v140 :: v_dual_fmac_f32 v133 /*v389*/, v7 /*v263*/, v142
	s_set_vgpr_msb 4                        ;  msbs: dst=0 src0=0 src1=1 src2=0
	v_add_f32_e32 v1, v1, v131 /*v387*/
	s_set_vgpr_msb 0                        ;  msbs: dst=0 src0=0 src1=0 src2=0
	v_add_f32_e32 v126, v126, v134
	s_set_vgpr_msb 0x41                     ;  msbs: dst=1 src0=1 src1=0 src2=0
	v_dual_mul_f32 v134 /*v390*/, v8 /*v264*/, v145 :: v_dual_mul_f32 v135 /*v391*/, v10 /*v266*/, v147
	s_set_vgpr_msb 1                        ;  msbs: dst=0 src0=1 src1=0 src2=0
	v_dual_mul_f32 v128, v9 /*v265*/, v145 :: v_dual_mul_f32 v130, v11 /*v267*/, v147
	s_wait_loadcnt 0x18
	v_dual_mul_f32 v134, v19 /*v275*/, v155 :: v_dual_fma_f32 v129, v6 /*v262*/, v142, -v129
	s_set_vgpr_msb 4                        ;  msbs: dst=0 src0=0 src1=1 src2=0
	v_add_f32_e32 v1, v1, v132 /*v388*/
	s_set_vgpr_msb 0                        ;  msbs: dst=0 src0=0 src1=0 src2=0
	v_add_f32_e32 v126, v126, v127
	s_set_vgpr_msb 1                        ;  msbs: dst=0 src0=1 src1=0 src2=0
	v_dual_mul_f32 v127, v21 /*v277*/, v157 :: v_dual_fma_f32 v128, v8 /*v264*/, v144, -v128
	s_set_vgpr_msb 0x41                     ;  msbs: dst=1 src0=1 src1=0 src2=0
	v_dual_fmac_f32 v134 /*v390*/, v9 /*v265*/, v144 :: v_dual_fmac_f32 v135 /*v391*/, v11 /*v267*/, v146
	s_set_vgpr_msb 4                        ;  msbs: dst=0 src0=0 src1=1 src2=0
	v_add_f32_e32 v1, v1, v133 /*v389*/
	s_set_vgpr_msb 0                        ;  msbs: dst=0 src0=0 src1=0 src2=0
	v_add_f32_e32 v126, v126, v129
	s_set_vgpr_msb 0x41                     ;  msbs: dst=1 src0=1 src1=0 src2=0
	v_dual_mul_f32 v136 /*v392*/, v12 /*v268*/, v149 :: v_dual_mul_f32 v137 /*v393*/, v14 /*v270*/, v151
	s_wait_loadcnt 0x17
	s_set_vgpr_msb 1                        ;  msbs: dst=0 src0=1 src1=0 src2=0
	v_dual_mul_f32 v129, v23 /*v279*/, v159 :: v_dual_fma_f32 v130, v10 /*v266*/, v146, -v130
	s_set_vgpr_msb 4                        ;  msbs: dst=0 src0=0 src1=1 src2=0
	v_add_f32_e32 v1, v1, v134 /*v390*/
	s_set_vgpr_msb 0                        ;  msbs: dst=0 src0=0 src1=0 src2=0
	v_add_f32_e32 v126, v126, v128
	s_set_vgpr_msb 1                        ;  msbs: dst=0 src0=1 src1=0 src2=0
	v_dual_mul_f32 v128, v25 /*v281*/, v161 :: v_dual_fma_f32 v131, v12 /*v268*/, v148, -v131
	s_set_vgpr_msb 0x41                     ;  msbs: dst=1 src0=1 src1=0 src2=0
	v_dual_fmac_f32 v136 /*v392*/, v13 /*v269*/, v148 :: v_dual_fmac_f32 v137 /*v393*/, v15 /*v271*/, v150
	s_set_vgpr_msb 4                        ;  msbs: dst=0 src0=0 src1=1 src2=0
	v_add_f32_e32 v1, v1, v135 /*v391*/
	s_set_vgpr_msb 0                        ;  msbs: dst=0 src0=0 src1=0 src2=0
	v_add_f32_e32 v126, v126, v130
	s_set_vgpr_msb 0x41                     ;  msbs: dst=1 src0=1 src1=0 src2=0
	v_dual_mul_f32 v138 /*v394*/, v16 /*v272*/, v153 :: v_dual_mul_f32 v139 /*v395*/, v18 /*v274*/, v155
	s_wait_loadcnt 0x16
	s_set_vgpr_msb 1                        ;  msbs: dst=0 src0=1 src1=0 src2=0
	v_dual_mul_f32 v130, v27 /*v283*/, v163 :: v_dual_fma_f32 v132, v14 /*v270*/, v150, -v132
	s_set_vgpr_msb 4                        ;  msbs: dst=0 src0=0 src1=1 src2=0
	v_add_f32_e32 v1, v1, v136 /*v392*/
	s_set_vgpr_msb 0                        ;  msbs: dst=0 src0=0 src1=0 src2=0
	v_add_f32_e32 v126, v126, v131
	s_set_vgpr_msb 1                        ;  msbs: dst=0 src0=1 src1=0 src2=0
	v_dual_mul_f32 v131, v29 /*v285*/, v165 :: v_dual_fma_f32 v133, v16 /*v272*/, v152, -v133
	s_set_vgpr_msb 0x41                     ;  msbs: dst=1 src0=1 src1=0 src2=0
	v_dual_fmac_f32 v138 /*v394*/, v17 /*v273*/, v152 :: v_dual_fmac_f32 v139 /*v395*/, v19 /*v275*/, v154
	s_set_vgpr_msb 4                        ;  msbs: dst=0 src0=0 src1=1 src2=0
	v_add_f32_e32 v1, v1, v137 /*v393*/
	s_set_vgpr_msb 0                        ;  msbs: dst=0 src0=0 src1=0 src2=0
	v_add_f32_e32 v126, v126, v132
	s_set_vgpr_msb 0x41                     ;  msbs: dst=1 src0=1 src1=0 src2=0
	v_dual_mul_f32 v140 /*v396*/, v20 /*v276*/, v157 :: v_dual_mul_f32 v141 /*v397*/, v22 /*v278*/, v159
	s_wait_loadcnt 0x15
	s_set_vgpr_msb 1                        ;  msbs: dst=0 src0=1 src1=0 src2=0
	v_dual_mul_f32 v132, v35 /*v291*/, v167 :: v_dual_fma_f32 v134, v18 /*v274*/, v154, -v134
	s_set_vgpr_msb 4                        ;  msbs: dst=0 src0=0 src1=1 src2=0
	v_add_f32_e32 v1, v1, v138 /*v394*/
	s_set_vgpr_msb 0                        ;  msbs: dst=0 src0=0 src1=0 src2=0
	v_add_f32_e32 v126, v126, v133
	s_set_vgpr_msb 1                        ;  msbs: dst=0 src0=1 src1=0 src2=0
	v_dual_mul_f32 v133, v37 /*v293*/, v169 :: v_dual_fma_f32 v127, v20 /*v276*/, v156, -v127
	s_set_vgpr_msb 0x41                     ;  msbs: dst=1 src0=1 src1=0 src2=0
	v_dual_fmac_f32 v140 /*v396*/, v21 /*v277*/, v156 :: v_dual_fmac_f32 v141 /*v397*/, v23 /*v279*/, v158
	s_set_vgpr_msb 4                        ;  msbs: dst=0 src0=0 src1=1 src2=0
	v_add_f32_e32 v1, v1, v139 /*v395*/
	s_set_vgpr_msb 0                        ;  msbs: dst=0 src0=0 src1=0 src2=0
	v_add_f32_e32 v126, v126, v134
	s_set_vgpr_msb 0x41                     ;  msbs: dst=1 src0=1 src1=0 src2=0
	v_dual_mul_f32 v142 /*v398*/, v24 /*v280*/, v161 :: v_dual_mul_f32 v143 /*v399*/, v26 /*v282*/, v163
	s_wait_loadcnt 0x14
	s_set_vgpr_msb 1                        ;  msbs: dst=0 src0=1 src1=0 src2=0
	v_dual_mul_f32 v134, v39 /*v295*/, v171 :: v_dual_fma_f32 v129, v22 /*v278*/, v158, -v129
	s_set_vgpr_msb 4                        ;  msbs: dst=0 src0=0 src1=1 src2=0
	v_add_f32_e32 v1, v1, v140 /*v396*/
	s_set_vgpr_msb 0                        ;  msbs: dst=0 src0=0 src1=0 src2=0
	v_add_f32_e32 v126, v126, v127
	s_set_vgpr_msb 1                        ;  msbs: dst=0 src0=1 src1=0 src2=0
	v_dual_mul_f32 v127, v41 /*v297*/, v173 :: v_dual_fma_f32 v128, v24 /*v280*/, v160, -v128
	s_set_vgpr_msb 0x41                     ;  msbs: dst=1 src0=1 src1=0 src2=0
	v_dual_fmac_f32 v142 /*v398*/, v25 /*v281*/, v160 :: v_dual_fmac_f32 v143 /*v399*/, v27 /*v283*/, v162
	s_set_vgpr_msb 4                        ;  msbs: dst=0 src0=0 src1=1 src2=0
	v_add_f32_e32 v1, v1, v141 /*v397*/
	s_set_vgpr_msb 0                        ;  msbs: dst=0 src0=0 src1=0 src2=0
	v_add_f32_e32 v126, v126, v129
	s_set_vgpr_msb 0x41                     ;  msbs: dst=1 src0=1 src1=0 src2=0
	v_dual_mul_f32 v144 /*v400*/, v28 /*v284*/, v165 :: v_dual_mul_f32 v145 /*v401*/, v34 /*v290*/, v167
	s_wait_loadcnt 0x13
	s_set_vgpr_msb 1                        ;  msbs: dst=0 src0=1 src1=0 src2=0
	v_dual_mul_f32 v129, v51 /*v307*/, v175 :: v_dual_fma_f32 v130, v26 /*v282*/, v162, -v130
	s_set_vgpr_msb 4                        ;  msbs: dst=0 src0=0 src1=1 src2=0
	v_add_f32_e32 v1, v1, v142 /*v398*/
	s_set_vgpr_msb 0                        ;  msbs: dst=0 src0=0 src1=0 src2=0
	v_add_f32_e32 v126, v126, v128
	s_set_vgpr_msb 1                        ;  msbs: dst=0 src0=1 src1=0 src2=0
	v_dual_mul_f32 v128, v53 /*v309*/, v177 :: v_dual_fma_f32 v131, v28 /*v284*/, v164, -v131
	s_set_vgpr_msb 0x41                     ;  msbs: dst=1 src0=1 src1=0 src2=0
	v_dual_fmac_f32 v144 /*v400*/, v29 /*v285*/, v164 :: v_dual_fmac_f32 v145 /*v401*/, v35 /*v291*/, v166
	s_set_vgpr_msb 4                        ;  msbs: dst=0 src0=0 src1=1 src2=0
	v_add_f32_e32 v1, v1, v143 /*v399*/
	s_set_vgpr_msb 0                        ;  msbs: dst=0 src0=0 src1=0 src2=0
	v_add_f32_e32 v126, v126, v130
	s_set_vgpr_msb 0x41                     ;  msbs: dst=1 src0=1 src1=0 src2=0
	v_dual_mul_f32 v146 /*v402*/, v36 /*v292*/, v169 :: v_dual_mul_f32 v147 /*v403*/, v38 /*v294*/, v171
	s_wait_loadcnt 0x12
	s_set_vgpr_msb 1                        ;  msbs: dst=0 src0=1 src1=0 src2=0
	v_dual_mul_f32 v130, v55 /*v311*/, v179 :: v_dual_fma_f32 v132, v34 /*v290*/, v166, -v132
	s_set_vgpr_msb 4                        ;  msbs: dst=0 src0=0 src1=1 src2=0
	v_add_f32_e32 v1, v1, v144 /*v400*/
	s_set_vgpr_msb 0                        ;  msbs: dst=0 src0=0 src1=0 src2=0
	v_add_f32_e32 v126, v126, v131
	s_set_vgpr_msb 1                        ;  msbs: dst=0 src0=1 src1=0 src2=0
	v_dual_mul_f32 v131, v57 /*v313*/, v181 :: v_dual_fma_f32 v133, v36 /*v292*/, v168, -v133
	s_set_vgpr_msb 0x41                     ;  msbs: dst=1 src0=1 src1=0 src2=0
	v_dual_fmac_f32 v146 /*v402*/, v37 /*v293*/, v168 :: v_dual_fmac_f32 v147 /*v403*/, v39 /*v295*/, v170
	s_set_vgpr_msb 4                        ;  msbs: dst=0 src0=0 src1=1 src2=0
	v_add_f32_e32 v1, v1, v145 /*v401*/
	s_set_vgpr_msb 0                        ;  msbs: dst=0 src0=0 src1=0 src2=0
	v_add_f32_e32 v126, v126, v132
	s_set_vgpr_msb 0x41                     ;  msbs: dst=1 src0=1 src1=0 src2=0
	v_dual_mul_f32 v148 /*v404*/, v40 /*v296*/, v173 :: v_dual_mul_f32 v149 /*v405*/, v50 /*v306*/, v175
	s_wait_loadcnt_dscnt 0x110c
	s_set_vgpr_msb 1                        ;  msbs: dst=0 src0=1 src1=0 src2=0
	v_dual_mul_f32 v132, v63 /*v319*/, v183 :: v_dual_fma_f32 v134, v38 /*v294*/, v170, -v134
	s_set_vgpr_msb 4                        ;  msbs: dst=0 src0=0 src1=1 src2=0
	v_add_f32_e32 v1, v1, v146 /*v402*/
	s_set_vgpr_msb 0                        ;  msbs: dst=0 src0=0 src1=0 src2=0
	v_add_f32_e32 v126, v126, v133
	s_set_vgpr_msb 1                        ;  msbs: dst=0 src0=1 src1=0 src2=0
	v_dual_mul_f32 v133, v65 /*v321*/, v185 :: v_dual_fma_f32 v127, v40 /*v296*/, v172, -v127
	s_set_vgpr_msb 0x41                     ;  msbs: dst=1 src0=1 src1=0 src2=0
	v_dual_fmac_f32 v148 /*v404*/, v41 /*v297*/, v172 :: v_dual_fmac_f32 v149 /*v405*/, v51 /*v307*/, v174
	s_set_vgpr_msb 4                        ;  msbs: dst=0 src0=0 src1=1 src2=0
	v_add_f32_e32 v1, v1, v147 /*v403*/
	s_set_vgpr_msb 0                        ;  msbs: dst=0 src0=0 src1=0 src2=0
	v_add_f32_e32 v126, v126, v134
	s_set_vgpr_msb 0x41                     ;  msbs: dst=1 src0=1 src1=0 src2=0
	v_dual_mul_f32 v150 /*v406*/, v52 /*v308*/, v177 :: v_dual_mul_f32 v151 /*v407*/, v54 /*v310*/, v179
	s_wait_loadcnt_dscnt 0x100b
	s_set_vgpr_msb 1                        ;  msbs: dst=0 src0=1 src1=0 src2=0
	;; [unrolled: 17-line block ×12, first 2 shown]
	v_dual_mul_f32 v131, v107 /*v363*/, v227 :: v_dual_fma_f32 v129, v94 /*v350*/, v214, -v132
	s_set_vgpr_msb 4                        ;  msbs: dst=0 src0=0 src1=1 src2=0
	v_add_f32_e32 v1, v1, v168 /*v424*/
	s_set_vgpr_msb 0                        ;  msbs: dst=0 src0=0 src1=0 src2=0
	v_add_f32_e32 v126, v126, v128
	s_set_vgpr_msb 1                        ;  msbs: dst=0 src0=1 src1=0 src2=0
	v_dual_mul_f32 v137, v109 /*v365*/, v229 :: v_dual_fma_f32 v128, v96 /*v352*/, v216, -v133
	s_set_vgpr_msb 0x41                     ;  msbs: dst=1 src0=1 src1=0 src2=0
	v_dual_fmac_f32 v170 /*v426*/, v97 /*v353*/, v216 :: v_dual_fmac_f32 v171 /*v427*/, v99 /*v355*/, v218
	s_set_vgpr_msb 4                        ;  msbs: dst=0 src0=0 src1=1 src2=0
	v_add_f32_e32 v1, v1, v169 /*v425*/
	s_set_vgpr_msb 0                        ;  msbs: dst=0 src0=0 src1=0 src2=0
	v_add_f32_e32 v126, v126, v129
	s_set_vgpr_msb 0x41                     ;  msbs: dst=1 src0=1 src1=0 src2=0
	v_dual_mul_f32 v172 /*v428*/, v100 /*v356*/, v221 :: v_dual_mul_f32 v173 /*v429*/, v102 /*v358*/, v223
	s_wait_loadcnt 0x5
	s_set_vgpr_msb 1                        ;  msbs: dst=0 src0=1 src1=0 src2=0
	v_dual_mul_f32 v138, v31 /*v287*/, v231 :: v_dual_fma_f32 v129, v98 /*v354*/, v218, -v134
	s_set_vgpr_msb 4                        ;  msbs: dst=0 src0=0 src1=1 src2=0
	v_add_f32_e32 v1, v1, v170 /*v426*/
	s_set_vgpr_msb 0                        ;  msbs: dst=0 src0=0 src1=0 src2=0
	v_add_f32_e32 v128, v126, v128
	s_set_vgpr_msb 0x41                     ;  msbs: dst=1 src0=1 src1=0 src2=0
	v_dual_fmac_f32 v172 /*v428*/, v101 /*v357*/, v220 :: v_dual_fmac_f32 v173 /*v429*/, v103 /*v359*/, v222
	s_set_vgpr_msb 1                        ;  msbs: dst=0 src0=1 src1=0 src2=0
	v_fma_f32 v127, v100 /*v356*/, v220, -v127
	s_set_vgpr_msb 4                        ;  msbs: dst=0 src0=0 src1=1 src2=0
	v_add_f32_e32 v1, v1, v171 /*v427*/
	s_set_vgpr_msb 0                        ;  msbs: dst=0 src0=0 src1=0 src2=0
	v_add_f32_e32 v130, v128, v129
	s_set_vgpr_msb 0x41                     ;  msbs: dst=1 src0=1 src1=0 src2=0
	v_dual_mul_f32 v174 /*v430*/, v104 /*v360*/, v225 :: v_dual_mul_f32 v175 /*v431*/, v106 /*v362*/, v227
	s_set_vgpr_msb 1                        ;  msbs: dst=0 src0=1 src1=0 src2=0
	v_dual_fma_f32 v132, v102 /*v358*/, v222, -v135 :: v_dual_fma_f32 v134, v104 /*v360*/, v224, -v136
	s_set_vgpr_msb 4                        ;  msbs: dst=0 src0=0 src1=1 src2=0
	v_add_f32_e32 v1, v1, v172 /*v428*/
	s_set_vgpr_msb 0                        ;  msbs: dst=0 src0=0 src1=0 src2=0
	v_add_f32_e32 v127, v130, v127
	s_set_vgpr_msb 0x41                     ;  msbs: dst=1 src0=1 src1=0 src2=0
	v_dual_fmac_f32 v174 /*v430*/, v105 /*v361*/, v224 :: v_dual_fmac_f32 v175 /*v431*/, v107 /*v363*/, v226
	v_dual_mul_f32 v125 /*v381*/, v108 /*v364*/, v229 :: v_dual_mul_f32 v127 /*v383*/, v30 /*v286*/, v231
	s_set_vgpr_msb 4                        ;  msbs: dst=0 src0=0 src1=1 src2=0
	v_add_f32_e32 v1, v1, v173 /*v429*/
	s_set_vgpr_msb 0                        ;  msbs: dst=0 src0=0 src1=0 src2=0
	v_dual_add_f32 v127, v127, v132 :: v_dual_mov_b32 v126, v233
	s_set_vgpr_msb 1                        ;  msbs: dst=0 src0=1 src1=0 src2=0
	v_fma_f32 v131, v106 /*v362*/, v226, -v131
	s_set_vgpr_msb 0x41                     ;  msbs: dst=1 src0=1 src1=0 src2=0
	v_dual_fmac_f32 v125 /*v381*/, v109 /*v365*/, v228 :: v_dual_fmac_f32 v127 /*v383*/, v31 /*v287*/, v230
	s_set_vgpr_msb 4                        ;  msbs: dst=0 src0=0 src1=1 src2=0
	v_add_f32_e32 v1, v1, v174 /*v430*/
	s_set_vgpr_msb 0                        ;  msbs: dst=0 src0=0 src1=0 src2=0
	v_add_f32_e32 v134, v127, v134
	s_set_vgpr_msb 0x41                     ;  msbs: dst=1 src0=1 src1=0 src2=0
	v_dual_fma_f32 v124 /*v380*/, v108 /*v364*/, v228, -v137 :: v_dual_fma_f32 v126 /*v382*/, v30 /*v286*/, v230, -v138
	s_set_vgpr_msb 1                        ;  msbs: dst=0 src0=1 src1=0 src2=0
	v_pk_mul_f32 v[126:127], v[116:117] /*v[372:373]*/, v[126:127] op_sel_hi:[1,0]
	s_set_vgpr_msb 4                        ;  msbs: dst=0 src0=0 src1=1 src2=0
	v_add_f32_e32 v135, v1, v175 /*v431*/
	s_set_vgpr_msb 0                        ;  msbs: dst=0 src0=0 src1=0 src2=0
	v_add_f32_e32 v134, v134, v131
	s_wait_loadcnt 0x4
	s_set_vgpr_msb 1                        ;  msbs: dst=0 src0=1 src1=0 src2=0
	v_pk_mul_f32 v[128:129], v[42:43] /*v[298:299]*/, v[234:235] op_sel:[1,1] op_sel_hi:[0,1]
	s_set_vgpr_msb 0                        ;  msbs: dst=0 src0=0 src1=0 src2=0
	v_mov_b32_e32 v130, v237
	s_set_vgpr_msb 1                        ;  msbs: dst=0 src0=1 src1=0 src2=0
	v_pk_fma_f32 v[138:139], v[32:33] /*v[288:289]*/, v[232:233], v[126:127] op_sel_hi:[1,0,1]
	v_pk_fma_f32 v[126:127], v[32:33] /*v[288:289]*/, v[232:233], v[126:127] neg_lo:[0,0,1] neg_hi:[0,0,1]
	s_set_vgpr_msb 4                        ;  msbs: dst=0 src0=0 src1=1 src2=0
	v_pk_add_f32 v[134:135], v[134:135], v[124:125] /*v[380:381]*/
	s_set_vgpr_msb 1                        ;  msbs: dst=0 src0=1 src1=0 src2=0
	v_pk_fma_f32 v[140:141], v[42:43] /*v[298:299]*/, v[234:235], v[128:129] op_sel_hi:[1,0,1]
	v_pk_mul_f32 v[130:131], v[118:119] /*v[374:375]*/, v[130:131] op_sel_hi:[1,0]
	s_set_vgpr_msb 0                        ;  msbs: dst=0 src0=0 src1=0 src2=0
	v_mov_b32_e32 v127, v139
	s_set_vgpr_msb 1                        ;  msbs: dst=0 src0=1 src1=0 src2=0
	v_pk_fma_f32 v[128:129], v[42:43] /*v[298:299]*/, v[234:235], v[128:129] neg_lo:[0,0,1] neg_hi:[0,0,1]
	s_set_vgpr_msb 4                        ;  msbs: dst=0 src0=0 src1=1 src2=0
	v_pk_add_f32 v[134:135], v[134:135], v[126:127] /*v[382:383]*/
	s_wait_loadcnt 0x3
	s_set_vgpr_msb 1                        ;  msbs: dst=0 src0=1 src1=0 src2=0
	v_pk_mul_f32 v[132:133], v[46:47] /*v[302:303]*/, v[238:239] op_sel:[1,1] op_sel_hi:[0,1]
	s_set_vgpr_msb 0                        ;  msbs: dst=0 src0=0 src1=0 src2=0
	v_dual_mov_b32 v136, v241 :: v_dual_mov_b32 v129, v141
	s_set_vgpr_msb 1                        ;  msbs: dst=0 src0=1 src1=0 src2=0
	v_pk_fma_f32 v[140:141], v[44:45] /*v[300:301]*/, v[236:237], v[130:131] op_sel_hi:[1,0,1]
	s_set_vgpr_msb 0                        ;  msbs: dst=0 src0=0 src1=0 src2=0
	v_pk_add_f32 v[126:127], v[134:135], v[126:127]
	s_set_vgpr_msb 1                        ;  msbs: dst=0 src0=1 src1=0 src2=0
	v_pk_fma_f32 v[130:131], v[44:45] /*v[300:301]*/, v[236:237], v[130:131] neg_lo:[0,0,1] neg_hi:[0,0,1]
	v_pk_fma_f32 v[134:135], v[46:47] /*v[302:303]*/, v[238:239], v[132:133] op_sel_hi:[1,0,1]
	v_pk_mul_f32 v[136:137], v[120:121] /*v[376:377]*/, v[136:137] op_sel_hi:[1,0]
	s_set_vgpr_msb 0                        ;  msbs: dst=0 src0=0 src1=0 src2=0
	v_mov_b32_e32 v131, v141
	v_pk_add_f32 v[126:127], v[126:127], v[128:129]
	s_set_vgpr_msb 1                        ;  msbs: dst=0 src0=1 src1=0 src2=0
	v_pk_fma_f32 v[132:133], v[46:47] /*v[302:303]*/, v[238:239], v[132:133] neg_lo:[0,0,1] neg_hi:[0,0,1]
	s_wait_loadcnt 0x2
	v_pk_mul_f32 v[138:139], v[58:59] /*v[314:315]*/, v[242:243] op_sel:[1,1] op_sel_hi:[0,1]
	s_set_vgpr_msb 0                        ;  msbs: dst=0 src0=0 src1=0 src2=0
	v_dual_mov_b32 v128, v245 :: v_dual_mov_b32 v133, v135
	s_set_vgpr_msb 1                        ;  msbs: dst=0 src0=1 src1=0 src2=0
	v_pk_fma_f32 v[134:135], v[48:49] /*v[304:305]*/, v[240:241], v[136:137] op_sel_hi:[1,0,1]
	s_set_vgpr_msb 0                        ;  msbs: dst=0 src0=0 src1=0 src2=0
	v_pk_add_f32 v[126:127], v[126:127], v[130:131]
	s_set_vgpr_msb 1                        ;  msbs: dst=0 src0=1 src1=0 src2=0
	v_pk_fma_f32 v[136:137], v[48:49] /*v[304:305]*/, v[240:241], v[136:137] neg_lo:[0,0,1] neg_hi:[0,0,1]
	v_pk_fma_f32 v[130:131], v[58:59] /*v[314:315]*/, v[242:243], v[138:139] op_sel_hi:[1,0,1]
	v_pk_mul_f32 v[128:129], v[122:123] /*v[378:379]*/, v[128:129] op_sel_hi:[1,0]
	s_set_vgpr_msb 0                        ;  msbs: dst=0 src0=0 src1=0 src2=0
	v_mov_b32_e32 v137, v135
	v_pk_add_f32 v[126:127], v[126:127], v[132:133]
	s_set_vgpr_msb 1                        ;  msbs: dst=0 src0=1 src1=0 src2=0
	v_pk_fma_f32 v[134:135], v[58:59] /*v[314:315]*/, v[242:243], v[138:139] neg_lo:[0,0,1] neg_hi:[0,0,1]
	s_wait_loadcnt_dscnt 0x100
	s_set_vgpr_msb 5                        ;  msbs: dst=0 src0=1 src1=1 src2=0
	v_pk_mul_f32 v[132:133], v[114:115] /*v[370:371]*/, v[110:111] /*v[366:367]*/ op_sel:[1,1] op_sel_hi:[0,1]
	s_set_vgpr_msb 0                        ;  msbs: dst=0 src0=0 src1=0 src2=0
	v_mov_b32_e32 v135, v131
	s_set_vgpr_msb 1                        ;  msbs: dst=0 src0=1 src1=0 src2=0
	v_pk_fma_f32 v[130:131], v[60:61] /*v[316:317]*/, v[244:245], v[128:129] op_sel_hi:[1,0,1]
	s_set_vgpr_msb 0                        ;  msbs: dst=0 src0=0 src1=0 src2=0
	v_pk_add_f32 v[126:127], v[126:127], v[136:137]
	s_set_vgpr_msb 1                        ;  msbs: dst=0 src0=1 src1=0 src2=0
	v_pk_fma_f32 v[128:129], v[60:61] /*v[316:317]*/, v[244:245], v[128:129] neg_lo:[0,0,1] neg_hi:[0,0,1]
	s_set_vgpr_msb 5                        ;  msbs: dst=0 src0=1 src1=1 src2=0
	v_pk_fma_f32 v[136:137], v[114:115] /*v[370:371]*/, v[110:111] /*v[366:367]*/, v[132:133] op_sel_hi:[1,0,1]
	s_set_vgpr_msb 0                        ;  msbs: dst=0 src0=0 src1=0 src2=0
	v_mov_b32_e32 v129, v131
	v_pk_add_f32 v[126:127], v[126:127], v[134:135]
	s_set_vgpr_msb 5                        ;  msbs: dst=0 src0=1 src1=1 src2=0
	v_pk_fma_f32 v[130:131], v[114:115] /*v[370:371]*/, v[110:111] /*v[366:367]*/, v[132:133] neg_lo:[0,0,1] neg_hi:[0,0,1]
	s_set_vgpr_msb 0                        ;  msbs: dst=0 src0=0 src1=0 src2=0
	v_mov_b32_e32 v131, v137
	v_pk_add_f32 v[126:127], v[126:127], v[128:129]
	s_delay_alu instid0(VALU_DEP_1) | instskip(SKIP_2) | instid1(VALU_DEP_1)
	v_pk_add_f32 v[126:127], v[126:127], v[130:131]
	s_wait_loadcnt 0x0
	s_set_vgpr_msb 1                        ;  msbs: dst=0 src0=1 src1=0 src2=0
	v_pk_add_f32 v[136:137], v[112:113] /*v[368:369]*/, v[126:127] neg_lo:[0,1] neg_hi:[0,1]
	scratch_store_b64 off, v[136:137], off
	s_set_vgpr_msb 0                        ;  msbs: dst=0 src0=0 src1=0 src2=0
	s_cbranch_vccz .LBB125_508
; %bb.386:
	global_load_b32 v0, v0, s[8:9] offset:240
	s_wait_loadcnt 0x0
	v_cmp_ne_u32_e32 vcc_lo, 61, v0
	s_cbranch_vccz .LBB125_388
; %bb.387:
	s_wait_xcnt 0x0
	v_lshlrev_b32_e32 v0, 3, v0
	s_delay_alu instid0(VALU_DEP_1)
	v_mov_b32_e32 v128, v0
	scratch_load_b64 v[0:1], v128, off offset:-8
	scratch_load_b64 v[126:127], off, off offset:480
	s_wait_loadcnt 0x1
	scratch_store_b64 off, v[0:1], off offset:480
	s_wait_loadcnt 0x0
	scratch_store_b64 v128, v[126:127], off offset:-8
.LBB125_388:
	s_wait_xcnt 0x0
	v_mov_b32_e32 v0, 0
	global_load_b32 v1, v0, s[8:9] offset:236
	s_wait_loadcnt 0x0
	v_cmp_eq_u32_e32 vcc_lo, 60, v1
	s_cbranch_vccnz .LBB125_390
; %bb.389:
	v_lshlrev_b32_e32 v1, 3, v1
	scratch_load_b64 v[126:127], v1, off offset:-8
	scratch_load_b64 v[128:129], off, off offset:472
	s_wait_loadcnt 0x1
	scratch_store_b64 off, v[126:127], off offset:472
	s_wait_loadcnt 0x0
	scratch_store_b64 v1, v[128:129], off offset:-8
.LBB125_390:
	global_load_b32 v0, v0, s[8:9] offset:232
	s_wait_loadcnt 0x0
	v_cmp_eq_u32_e32 vcc_lo, 59, v0
	s_cbranch_vccnz .LBB125_392
; %bb.391:
	s_wait_xcnt 0x0
	v_lshlrev_b32_e32 v0, 3, v0
	s_delay_alu instid0(VALU_DEP_1)
	v_mov_b32_e32 v128, v0
	scratch_load_b64 v[0:1], v128, off offset:-8
	scratch_load_b64 v[126:127], off, off offset:464
	s_wait_loadcnt 0x1
	scratch_store_b64 off, v[0:1], off offset:464
	s_wait_loadcnt 0x0
	scratch_store_b64 v128, v[126:127], off offset:-8
.LBB125_392:
	s_wait_xcnt 0x0
	v_mov_b32_e32 v0, 0
	global_load_b32 v1, v0, s[8:9] offset:228
	s_wait_loadcnt 0x0
	v_cmp_eq_u32_e32 vcc_lo, 58, v1
	s_cbranch_vccnz .LBB125_394
; %bb.393:
	v_lshlrev_b32_e32 v1, 3, v1
	scratch_load_b64 v[126:127], v1, off offset:-8
	scratch_load_b64 v[128:129], off, off offset:456
	s_wait_loadcnt 0x1
	scratch_store_b64 off, v[126:127], off offset:456
	s_wait_loadcnt 0x0
	scratch_store_b64 v1, v[128:129], off offset:-8
.LBB125_394:
	global_load_b32 v0, v0, s[8:9] offset:224
	s_wait_loadcnt 0x0
	v_cmp_eq_u32_e32 vcc_lo, 57, v0
	s_cbranch_vccnz .LBB125_396
; %bb.395:
	s_wait_xcnt 0x0
	v_lshlrev_b32_e32 v0, 3, v0
	s_delay_alu instid0(VALU_DEP_1)
	v_mov_b32_e32 v128, v0
	scratch_load_b64 v[0:1], v128, off offset:-8
	scratch_load_b64 v[126:127], off, off offset:448
	s_wait_loadcnt 0x1
	scratch_store_b64 off, v[0:1], off offset:448
	s_wait_loadcnt 0x0
	scratch_store_b64 v128, v[126:127], off offset:-8
.LBB125_396:
	s_wait_xcnt 0x0
	v_mov_b32_e32 v0, 0
	global_load_b32 v1, v0, s[8:9] offset:220
	s_wait_loadcnt 0x0
	v_cmp_eq_u32_e32 vcc_lo, 56, v1
	s_cbranch_vccnz .LBB125_398
; %bb.397:
	v_lshlrev_b32_e32 v1, 3, v1
	scratch_load_b64 v[126:127], v1, off offset:-8
	scratch_load_b64 v[128:129], off, off offset:440
	s_wait_loadcnt 0x1
	scratch_store_b64 off, v[126:127], off offset:440
	s_wait_loadcnt 0x0
	scratch_store_b64 v1, v[128:129], off offset:-8
.LBB125_398:
	global_load_b32 v0, v0, s[8:9] offset:216
	s_wait_loadcnt 0x0
	v_cmp_eq_u32_e32 vcc_lo, 55, v0
	s_cbranch_vccnz .LBB125_400
; %bb.399:
	s_wait_xcnt 0x0
	v_lshlrev_b32_e32 v0, 3, v0
	s_delay_alu instid0(VALU_DEP_1)
	v_mov_b32_e32 v128, v0
	scratch_load_b64 v[0:1], v128, off offset:-8
	scratch_load_b64 v[126:127], off, off offset:432
	s_wait_loadcnt 0x1
	scratch_store_b64 off, v[0:1], off offset:432
	s_wait_loadcnt 0x0
	scratch_store_b64 v128, v[126:127], off offset:-8
.LBB125_400:
	s_wait_xcnt 0x0
	v_mov_b32_e32 v0, 0
	global_load_b32 v1, v0, s[8:9] offset:212
	s_wait_loadcnt 0x0
	v_cmp_eq_u32_e32 vcc_lo, 54, v1
	s_cbranch_vccnz .LBB125_402
; %bb.401:
	v_lshlrev_b32_e32 v1, 3, v1
	scratch_load_b64 v[126:127], v1, off offset:-8
	scratch_load_b64 v[128:129], off, off offset:424
	s_wait_loadcnt 0x1
	scratch_store_b64 off, v[126:127], off offset:424
	s_wait_loadcnt 0x0
	scratch_store_b64 v1, v[128:129], off offset:-8
.LBB125_402:
	global_load_b32 v0, v0, s[8:9] offset:208
	s_wait_loadcnt 0x0
	v_cmp_eq_u32_e32 vcc_lo, 53, v0
	s_cbranch_vccnz .LBB125_404
; %bb.403:
	s_wait_xcnt 0x0
	v_lshlrev_b32_e32 v0, 3, v0
	s_delay_alu instid0(VALU_DEP_1)
	v_mov_b32_e32 v128, v0
	scratch_load_b64 v[0:1], v128, off offset:-8
	scratch_load_b64 v[126:127], off, off offset:416
	s_wait_loadcnt 0x1
	scratch_store_b64 off, v[0:1], off offset:416
	s_wait_loadcnt 0x0
	scratch_store_b64 v128, v[126:127], off offset:-8
.LBB125_404:
	s_wait_xcnt 0x0
	v_mov_b32_e32 v0, 0
	global_load_b32 v1, v0, s[8:9] offset:204
	s_wait_loadcnt 0x0
	v_cmp_eq_u32_e32 vcc_lo, 52, v1
	s_cbranch_vccnz .LBB125_406
; %bb.405:
	v_lshlrev_b32_e32 v1, 3, v1
	scratch_load_b64 v[126:127], v1, off offset:-8
	scratch_load_b64 v[128:129], off, off offset:408
	s_wait_loadcnt 0x1
	scratch_store_b64 off, v[126:127], off offset:408
	s_wait_loadcnt 0x0
	scratch_store_b64 v1, v[128:129], off offset:-8
.LBB125_406:
	global_load_b32 v0, v0, s[8:9] offset:200
	s_wait_loadcnt 0x0
	v_cmp_eq_u32_e32 vcc_lo, 51, v0
	s_cbranch_vccnz .LBB125_408
; %bb.407:
	s_wait_xcnt 0x0
	v_lshlrev_b32_e32 v0, 3, v0
	s_delay_alu instid0(VALU_DEP_1)
	v_mov_b32_e32 v128, v0
	scratch_load_b64 v[0:1], v128, off offset:-8
	scratch_load_b64 v[126:127], off, off offset:400
	s_wait_loadcnt 0x1
	scratch_store_b64 off, v[0:1], off offset:400
	s_wait_loadcnt 0x0
	scratch_store_b64 v128, v[126:127], off offset:-8
.LBB125_408:
	s_wait_xcnt 0x0
	v_mov_b32_e32 v0, 0
	global_load_b32 v1, v0, s[8:9] offset:196
	s_wait_loadcnt 0x0
	v_cmp_eq_u32_e32 vcc_lo, 50, v1
	s_cbranch_vccnz .LBB125_410
; %bb.409:
	v_lshlrev_b32_e32 v1, 3, v1
	scratch_load_b64 v[126:127], v1, off offset:-8
	scratch_load_b64 v[128:129], off, off offset:392
	s_wait_loadcnt 0x1
	scratch_store_b64 off, v[126:127], off offset:392
	s_wait_loadcnt 0x0
	scratch_store_b64 v1, v[128:129], off offset:-8
.LBB125_410:
	global_load_b32 v0, v0, s[8:9] offset:192
	s_wait_loadcnt 0x0
	v_cmp_eq_u32_e32 vcc_lo, 49, v0
	s_cbranch_vccnz .LBB125_412
; %bb.411:
	s_wait_xcnt 0x0
	v_lshlrev_b32_e32 v0, 3, v0
	s_delay_alu instid0(VALU_DEP_1)
	v_mov_b32_e32 v128, v0
	scratch_load_b64 v[0:1], v128, off offset:-8
	scratch_load_b64 v[126:127], off, off offset:384
	s_wait_loadcnt 0x1
	scratch_store_b64 off, v[0:1], off offset:384
	s_wait_loadcnt 0x0
	scratch_store_b64 v128, v[126:127], off offset:-8
.LBB125_412:
	s_wait_xcnt 0x0
	v_mov_b32_e32 v0, 0
	global_load_b32 v1, v0, s[8:9] offset:188
	s_wait_loadcnt 0x0
	v_cmp_eq_u32_e32 vcc_lo, 48, v1
	s_cbranch_vccnz .LBB125_414
; %bb.413:
	v_lshlrev_b32_e32 v1, 3, v1
	scratch_load_b64 v[126:127], v1, off offset:-8
	scratch_load_b64 v[128:129], off, off offset:376
	s_wait_loadcnt 0x1
	scratch_store_b64 off, v[126:127], off offset:376
	s_wait_loadcnt 0x0
	scratch_store_b64 v1, v[128:129], off offset:-8
.LBB125_414:
	global_load_b32 v0, v0, s[8:9] offset:184
	s_wait_loadcnt 0x0
	v_cmp_eq_u32_e32 vcc_lo, 47, v0
	s_cbranch_vccnz .LBB125_416
; %bb.415:
	s_wait_xcnt 0x0
	v_lshlrev_b32_e32 v0, 3, v0
	s_delay_alu instid0(VALU_DEP_1)
	v_mov_b32_e32 v128, v0
	scratch_load_b64 v[0:1], v128, off offset:-8
	scratch_load_b64 v[126:127], off, off offset:368
	s_wait_loadcnt 0x1
	scratch_store_b64 off, v[0:1], off offset:368
	s_wait_loadcnt 0x0
	scratch_store_b64 v128, v[126:127], off offset:-8
.LBB125_416:
	s_wait_xcnt 0x0
	v_mov_b32_e32 v0, 0
	global_load_b32 v1, v0, s[8:9] offset:180
	s_wait_loadcnt 0x0
	v_cmp_eq_u32_e32 vcc_lo, 46, v1
	s_cbranch_vccnz .LBB125_418
; %bb.417:
	v_lshlrev_b32_e32 v1, 3, v1
	scratch_load_b64 v[126:127], v1, off offset:-8
	scratch_load_b64 v[128:129], off, off offset:360
	s_wait_loadcnt 0x1
	scratch_store_b64 off, v[126:127], off offset:360
	s_wait_loadcnt 0x0
	scratch_store_b64 v1, v[128:129], off offset:-8
.LBB125_418:
	global_load_b32 v0, v0, s[8:9] offset:176
	s_wait_loadcnt 0x0
	v_cmp_eq_u32_e32 vcc_lo, 45, v0
	s_cbranch_vccnz .LBB125_420
; %bb.419:
	s_wait_xcnt 0x0
	v_lshlrev_b32_e32 v0, 3, v0
	s_delay_alu instid0(VALU_DEP_1)
	v_mov_b32_e32 v128, v0
	scratch_load_b64 v[0:1], v128, off offset:-8
	scratch_load_b64 v[126:127], off, off offset:352
	s_wait_loadcnt 0x1
	scratch_store_b64 off, v[0:1], off offset:352
	s_wait_loadcnt 0x0
	scratch_store_b64 v128, v[126:127], off offset:-8
.LBB125_420:
	s_wait_xcnt 0x0
	v_mov_b32_e32 v0, 0
	global_load_b32 v1, v0, s[8:9] offset:172
	s_wait_loadcnt 0x0
	v_cmp_eq_u32_e32 vcc_lo, 44, v1
	s_cbranch_vccnz .LBB125_422
; %bb.421:
	v_lshlrev_b32_e32 v1, 3, v1
	scratch_load_b64 v[126:127], v1, off offset:-8
	scratch_load_b64 v[128:129], off, off offset:344
	s_wait_loadcnt 0x1
	scratch_store_b64 off, v[126:127], off offset:344
	s_wait_loadcnt 0x0
	scratch_store_b64 v1, v[128:129], off offset:-8
.LBB125_422:
	global_load_b32 v0, v0, s[8:9] offset:168
	s_wait_loadcnt 0x0
	v_cmp_eq_u32_e32 vcc_lo, 43, v0
	s_cbranch_vccnz .LBB125_424
; %bb.423:
	s_wait_xcnt 0x0
	v_lshlrev_b32_e32 v0, 3, v0
	s_delay_alu instid0(VALU_DEP_1)
	v_mov_b32_e32 v128, v0
	scratch_load_b64 v[0:1], v128, off offset:-8
	scratch_load_b64 v[126:127], off, off offset:336
	s_wait_loadcnt 0x1
	scratch_store_b64 off, v[0:1], off offset:336
	s_wait_loadcnt 0x0
	scratch_store_b64 v128, v[126:127], off offset:-8
.LBB125_424:
	s_wait_xcnt 0x0
	v_mov_b32_e32 v0, 0
	global_load_b32 v1, v0, s[8:9] offset:164
	s_wait_loadcnt 0x0
	v_cmp_eq_u32_e32 vcc_lo, 42, v1
	s_cbranch_vccnz .LBB125_426
; %bb.425:
	v_lshlrev_b32_e32 v1, 3, v1
	scratch_load_b64 v[126:127], v1, off offset:-8
	scratch_load_b64 v[128:129], off, off offset:328
	s_wait_loadcnt 0x1
	scratch_store_b64 off, v[126:127], off offset:328
	s_wait_loadcnt 0x0
	scratch_store_b64 v1, v[128:129], off offset:-8
.LBB125_426:
	global_load_b32 v0, v0, s[8:9] offset:160
	s_wait_loadcnt 0x0
	v_cmp_eq_u32_e32 vcc_lo, 41, v0
	s_cbranch_vccnz .LBB125_428
; %bb.427:
	s_wait_xcnt 0x0
	v_lshlrev_b32_e32 v0, 3, v0
	s_delay_alu instid0(VALU_DEP_1)
	v_mov_b32_e32 v128, v0
	scratch_load_b64 v[0:1], v128, off offset:-8
	scratch_load_b64 v[126:127], off, off offset:320
	s_wait_loadcnt 0x1
	scratch_store_b64 off, v[0:1], off offset:320
	s_wait_loadcnt 0x0
	scratch_store_b64 v128, v[126:127], off offset:-8
.LBB125_428:
	s_wait_xcnt 0x0
	v_mov_b32_e32 v0, 0
	global_load_b32 v1, v0, s[8:9] offset:156
	s_wait_loadcnt 0x0
	v_cmp_eq_u32_e32 vcc_lo, 40, v1
	s_cbranch_vccnz .LBB125_430
; %bb.429:
	v_lshlrev_b32_e32 v1, 3, v1
	scratch_load_b64 v[126:127], v1, off offset:-8
	scratch_load_b64 v[128:129], off, off offset:312
	s_wait_loadcnt 0x1
	scratch_store_b64 off, v[126:127], off offset:312
	s_wait_loadcnt 0x0
	scratch_store_b64 v1, v[128:129], off offset:-8
.LBB125_430:
	global_load_b32 v0, v0, s[8:9] offset:152
	s_wait_loadcnt 0x0
	v_cmp_eq_u32_e32 vcc_lo, 39, v0
	s_cbranch_vccnz .LBB125_432
; %bb.431:
	s_wait_xcnt 0x0
	v_lshlrev_b32_e32 v0, 3, v0
	s_delay_alu instid0(VALU_DEP_1)
	v_mov_b32_e32 v128, v0
	scratch_load_b64 v[0:1], v128, off offset:-8
	scratch_load_b64 v[126:127], off, off offset:304
	s_wait_loadcnt 0x1
	scratch_store_b64 off, v[0:1], off offset:304
	s_wait_loadcnt 0x0
	scratch_store_b64 v128, v[126:127], off offset:-8
.LBB125_432:
	s_wait_xcnt 0x0
	v_mov_b32_e32 v0, 0
	global_load_b32 v1, v0, s[8:9] offset:148
	s_wait_loadcnt 0x0
	v_cmp_eq_u32_e32 vcc_lo, 38, v1
	s_cbranch_vccnz .LBB125_434
; %bb.433:
	v_lshlrev_b32_e32 v1, 3, v1
	scratch_load_b64 v[126:127], v1, off offset:-8
	scratch_load_b64 v[128:129], off, off offset:296
	s_wait_loadcnt 0x1
	scratch_store_b64 off, v[126:127], off offset:296
	s_wait_loadcnt 0x0
	scratch_store_b64 v1, v[128:129], off offset:-8
.LBB125_434:
	global_load_b32 v0, v0, s[8:9] offset:144
	s_wait_loadcnt 0x0
	v_cmp_eq_u32_e32 vcc_lo, 37, v0
	s_cbranch_vccnz .LBB125_436
; %bb.435:
	s_wait_xcnt 0x0
	v_lshlrev_b32_e32 v0, 3, v0
	s_delay_alu instid0(VALU_DEP_1)
	v_mov_b32_e32 v128, v0
	scratch_load_b64 v[0:1], v128, off offset:-8
	scratch_load_b64 v[126:127], off, off offset:288
	s_wait_loadcnt 0x1
	scratch_store_b64 off, v[0:1], off offset:288
	s_wait_loadcnt 0x0
	scratch_store_b64 v128, v[126:127], off offset:-8
.LBB125_436:
	s_wait_xcnt 0x0
	v_mov_b32_e32 v0, 0
	global_load_b32 v1, v0, s[8:9] offset:140
	s_wait_loadcnt 0x0
	v_cmp_eq_u32_e32 vcc_lo, 36, v1
	s_cbranch_vccnz .LBB125_438
; %bb.437:
	v_lshlrev_b32_e32 v1, 3, v1
	scratch_load_b64 v[126:127], v1, off offset:-8
	scratch_load_b64 v[128:129], off, off offset:280
	s_wait_loadcnt 0x1
	scratch_store_b64 off, v[126:127], off offset:280
	s_wait_loadcnt 0x0
	scratch_store_b64 v1, v[128:129], off offset:-8
.LBB125_438:
	global_load_b32 v0, v0, s[8:9] offset:136
	s_wait_loadcnt 0x0
	v_cmp_eq_u32_e32 vcc_lo, 35, v0
	s_cbranch_vccnz .LBB125_440
; %bb.439:
	s_wait_xcnt 0x0
	v_lshlrev_b32_e32 v0, 3, v0
	s_delay_alu instid0(VALU_DEP_1)
	v_mov_b32_e32 v128, v0
	scratch_load_b64 v[0:1], v128, off offset:-8
	scratch_load_b64 v[126:127], off, off offset:272
	s_wait_loadcnt 0x1
	scratch_store_b64 off, v[0:1], off offset:272
	s_wait_loadcnt 0x0
	scratch_store_b64 v128, v[126:127], off offset:-8
.LBB125_440:
	s_wait_xcnt 0x0
	v_mov_b32_e32 v0, 0
	global_load_b32 v1, v0, s[8:9] offset:132
	s_wait_loadcnt 0x0
	v_cmp_eq_u32_e32 vcc_lo, 34, v1
	s_cbranch_vccnz .LBB125_442
; %bb.441:
	v_lshlrev_b32_e32 v1, 3, v1
	scratch_load_b64 v[126:127], v1, off offset:-8
	scratch_load_b64 v[128:129], off, off offset:264
	s_wait_loadcnt 0x1
	scratch_store_b64 off, v[126:127], off offset:264
	s_wait_loadcnt 0x0
	scratch_store_b64 v1, v[128:129], off offset:-8
.LBB125_442:
	global_load_b32 v0, v0, s[8:9] offset:128
	s_wait_loadcnt 0x0
	v_cmp_eq_u32_e32 vcc_lo, 33, v0
	s_cbranch_vccnz .LBB125_444
; %bb.443:
	s_wait_xcnt 0x0
	v_lshlrev_b32_e32 v0, 3, v0
	s_delay_alu instid0(VALU_DEP_1)
	v_mov_b32_e32 v128, v0
	scratch_load_b64 v[0:1], v128, off offset:-8
	scratch_load_b64 v[126:127], off, off offset:256
	s_wait_loadcnt 0x1
	scratch_store_b64 off, v[0:1], off offset:256
	s_wait_loadcnt 0x0
	scratch_store_b64 v128, v[126:127], off offset:-8
.LBB125_444:
	s_wait_xcnt 0x0
	v_mov_b32_e32 v0, 0
	global_load_b32 v1, v0, s[8:9] offset:124
	s_wait_loadcnt 0x0
	v_cmp_eq_u32_e32 vcc_lo, 32, v1
	s_cbranch_vccnz .LBB125_446
; %bb.445:
	v_lshlrev_b32_e32 v1, 3, v1
	scratch_load_b64 v[126:127], v1, off offset:-8
	scratch_load_b64 v[128:129], off, off offset:248
	s_wait_loadcnt 0x1
	scratch_store_b64 off, v[126:127], off offset:248
	s_wait_loadcnt 0x0
	scratch_store_b64 v1, v[128:129], off offset:-8
.LBB125_446:
	global_load_b32 v0, v0, s[8:9] offset:120
	s_wait_loadcnt 0x0
	v_cmp_eq_u32_e32 vcc_lo, 31, v0
	s_cbranch_vccnz .LBB125_448
; %bb.447:
	s_wait_xcnt 0x0
	v_lshlrev_b32_e32 v0, 3, v0
	s_delay_alu instid0(VALU_DEP_1)
	v_mov_b32_e32 v128, v0
	scratch_load_b64 v[0:1], v128, off offset:-8
	scratch_load_b64 v[126:127], off, off offset:240
	s_wait_loadcnt 0x1
	scratch_store_b64 off, v[0:1], off offset:240
	s_wait_loadcnt 0x0
	scratch_store_b64 v128, v[126:127], off offset:-8
.LBB125_448:
	s_wait_xcnt 0x0
	v_mov_b32_e32 v0, 0
	global_load_b32 v1, v0, s[8:9] offset:116
	s_wait_loadcnt 0x0
	v_cmp_eq_u32_e32 vcc_lo, 30, v1
	s_cbranch_vccnz .LBB125_450
; %bb.449:
	v_lshlrev_b32_e32 v1, 3, v1
	scratch_load_b64 v[126:127], v1, off offset:-8
	scratch_load_b64 v[128:129], off, off offset:232
	s_wait_loadcnt 0x1
	scratch_store_b64 off, v[126:127], off offset:232
	s_wait_loadcnt 0x0
	scratch_store_b64 v1, v[128:129], off offset:-8
.LBB125_450:
	global_load_b32 v0, v0, s[8:9] offset:112
	s_wait_loadcnt 0x0
	v_cmp_eq_u32_e32 vcc_lo, 29, v0
	s_cbranch_vccnz .LBB125_452
; %bb.451:
	s_wait_xcnt 0x0
	v_lshlrev_b32_e32 v0, 3, v0
	s_delay_alu instid0(VALU_DEP_1)
	v_mov_b32_e32 v128, v0
	scratch_load_b64 v[0:1], v128, off offset:-8
	scratch_load_b64 v[126:127], off, off offset:224
	s_wait_loadcnt 0x1
	scratch_store_b64 off, v[0:1], off offset:224
	s_wait_loadcnt 0x0
	scratch_store_b64 v128, v[126:127], off offset:-8
.LBB125_452:
	s_wait_xcnt 0x0
	v_mov_b32_e32 v0, 0
	global_load_b32 v1, v0, s[8:9] offset:108
	s_wait_loadcnt 0x0
	v_cmp_eq_u32_e32 vcc_lo, 28, v1
	s_cbranch_vccnz .LBB125_454
; %bb.453:
	v_lshlrev_b32_e32 v1, 3, v1
	scratch_load_b64 v[126:127], v1, off offset:-8
	scratch_load_b64 v[128:129], off, off offset:216
	s_wait_loadcnt 0x1
	scratch_store_b64 off, v[126:127], off offset:216
	s_wait_loadcnt 0x0
	scratch_store_b64 v1, v[128:129], off offset:-8
.LBB125_454:
	global_load_b32 v0, v0, s[8:9] offset:104
	s_wait_loadcnt 0x0
	v_cmp_eq_u32_e32 vcc_lo, 27, v0
	s_cbranch_vccnz .LBB125_456
; %bb.455:
	s_wait_xcnt 0x0
	v_lshlrev_b32_e32 v0, 3, v0
	s_delay_alu instid0(VALU_DEP_1)
	v_mov_b32_e32 v128, v0
	scratch_load_b64 v[0:1], v128, off offset:-8
	scratch_load_b64 v[126:127], off, off offset:208
	s_wait_loadcnt 0x1
	scratch_store_b64 off, v[0:1], off offset:208
	s_wait_loadcnt 0x0
	scratch_store_b64 v128, v[126:127], off offset:-8
.LBB125_456:
	s_wait_xcnt 0x0
	v_mov_b32_e32 v0, 0
	global_load_b32 v1, v0, s[8:9] offset:100
	s_wait_loadcnt 0x0
	v_cmp_eq_u32_e32 vcc_lo, 26, v1
	s_cbranch_vccnz .LBB125_458
; %bb.457:
	v_lshlrev_b32_e32 v1, 3, v1
	scratch_load_b64 v[126:127], v1, off offset:-8
	scratch_load_b64 v[128:129], off, off offset:200
	s_wait_loadcnt 0x1
	scratch_store_b64 off, v[126:127], off offset:200
	s_wait_loadcnt 0x0
	scratch_store_b64 v1, v[128:129], off offset:-8
.LBB125_458:
	global_load_b32 v0, v0, s[8:9] offset:96
	s_wait_loadcnt 0x0
	v_cmp_eq_u32_e32 vcc_lo, 25, v0
	s_cbranch_vccnz .LBB125_460
; %bb.459:
	s_wait_xcnt 0x0
	v_lshlrev_b32_e32 v0, 3, v0
	s_delay_alu instid0(VALU_DEP_1)
	v_mov_b32_e32 v128, v0
	scratch_load_b64 v[0:1], v128, off offset:-8
	scratch_load_b64 v[126:127], off, off offset:192
	s_wait_loadcnt 0x1
	scratch_store_b64 off, v[0:1], off offset:192
	s_wait_loadcnt 0x0
	scratch_store_b64 v128, v[126:127], off offset:-8
.LBB125_460:
	s_wait_xcnt 0x0
	v_mov_b32_e32 v0, 0
	global_load_b32 v1, v0, s[8:9] offset:92
	s_wait_loadcnt 0x0
	v_cmp_eq_u32_e32 vcc_lo, 24, v1
	s_cbranch_vccnz .LBB125_462
; %bb.461:
	v_lshlrev_b32_e32 v1, 3, v1
	scratch_load_b64 v[126:127], v1, off offset:-8
	scratch_load_b64 v[128:129], off, off offset:184
	s_wait_loadcnt 0x1
	scratch_store_b64 off, v[126:127], off offset:184
	s_wait_loadcnt 0x0
	scratch_store_b64 v1, v[128:129], off offset:-8
.LBB125_462:
	global_load_b32 v0, v0, s[8:9] offset:88
	s_wait_loadcnt 0x0
	v_cmp_eq_u32_e32 vcc_lo, 23, v0
	s_cbranch_vccnz .LBB125_464
; %bb.463:
	s_wait_xcnt 0x0
	v_lshlrev_b32_e32 v0, 3, v0
	s_delay_alu instid0(VALU_DEP_1)
	v_mov_b32_e32 v128, v0
	scratch_load_b64 v[0:1], v128, off offset:-8
	scratch_load_b64 v[126:127], off, off offset:176
	s_wait_loadcnt 0x1
	scratch_store_b64 off, v[0:1], off offset:176
	s_wait_loadcnt 0x0
	scratch_store_b64 v128, v[126:127], off offset:-8
.LBB125_464:
	s_wait_xcnt 0x0
	v_mov_b32_e32 v0, 0
	global_load_b32 v1, v0, s[8:9] offset:84
	s_wait_loadcnt 0x0
	v_cmp_eq_u32_e32 vcc_lo, 22, v1
	s_cbranch_vccnz .LBB125_466
; %bb.465:
	v_lshlrev_b32_e32 v1, 3, v1
	scratch_load_b64 v[126:127], v1, off offset:-8
	scratch_load_b64 v[128:129], off, off offset:168
	s_wait_loadcnt 0x1
	scratch_store_b64 off, v[126:127], off offset:168
	s_wait_loadcnt 0x0
	scratch_store_b64 v1, v[128:129], off offset:-8
.LBB125_466:
	global_load_b32 v0, v0, s[8:9] offset:80
	s_wait_loadcnt 0x0
	v_cmp_eq_u32_e32 vcc_lo, 21, v0
	s_cbranch_vccnz .LBB125_468
; %bb.467:
	s_wait_xcnt 0x0
	v_lshlrev_b32_e32 v0, 3, v0
	s_delay_alu instid0(VALU_DEP_1)
	v_mov_b32_e32 v128, v0
	scratch_load_b64 v[0:1], v128, off offset:-8
	scratch_load_b64 v[126:127], off, off offset:160
	s_wait_loadcnt 0x1
	scratch_store_b64 off, v[0:1], off offset:160
	s_wait_loadcnt 0x0
	scratch_store_b64 v128, v[126:127], off offset:-8
.LBB125_468:
	s_wait_xcnt 0x0
	v_mov_b32_e32 v0, 0
	global_load_b32 v1, v0, s[8:9] offset:76
	s_wait_loadcnt 0x0
	v_cmp_eq_u32_e32 vcc_lo, 20, v1
	s_cbranch_vccnz .LBB125_470
; %bb.469:
	v_lshlrev_b32_e32 v1, 3, v1
	scratch_load_b64 v[126:127], v1, off offset:-8
	scratch_load_b64 v[128:129], off, off offset:152
	s_wait_loadcnt 0x1
	scratch_store_b64 off, v[126:127], off offset:152
	s_wait_loadcnt 0x0
	scratch_store_b64 v1, v[128:129], off offset:-8
.LBB125_470:
	global_load_b32 v0, v0, s[8:9] offset:72
	s_wait_loadcnt 0x0
	v_cmp_eq_u32_e32 vcc_lo, 19, v0
	s_cbranch_vccnz .LBB125_472
; %bb.471:
	s_wait_xcnt 0x0
	v_lshlrev_b32_e32 v0, 3, v0
	s_delay_alu instid0(VALU_DEP_1)
	v_mov_b32_e32 v128, v0
	scratch_load_b64 v[0:1], v128, off offset:-8
	scratch_load_b64 v[126:127], off, off offset:144
	s_wait_loadcnt 0x1
	scratch_store_b64 off, v[0:1], off offset:144
	s_wait_loadcnt 0x0
	scratch_store_b64 v128, v[126:127], off offset:-8
.LBB125_472:
	s_wait_xcnt 0x0
	v_mov_b32_e32 v0, 0
	global_load_b32 v1, v0, s[8:9] offset:68
	s_wait_loadcnt 0x0
	v_cmp_eq_u32_e32 vcc_lo, 18, v1
	s_cbranch_vccnz .LBB125_474
; %bb.473:
	v_lshlrev_b32_e32 v1, 3, v1
	scratch_load_b64 v[126:127], v1, off offset:-8
	scratch_load_b64 v[128:129], off, off offset:136
	s_wait_loadcnt 0x1
	scratch_store_b64 off, v[126:127], off offset:136
	s_wait_loadcnt 0x0
	scratch_store_b64 v1, v[128:129], off offset:-8
.LBB125_474:
	global_load_b32 v0, v0, s[8:9] offset:64
	s_wait_loadcnt 0x0
	v_cmp_eq_u32_e32 vcc_lo, 17, v0
	s_cbranch_vccnz .LBB125_476
; %bb.475:
	s_wait_xcnt 0x0
	v_lshlrev_b32_e32 v0, 3, v0
	s_delay_alu instid0(VALU_DEP_1)
	v_mov_b32_e32 v128, v0
	scratch_load_b64 v[0:1], v128, off offset:-8
	scratch_load_b64 v[126:127], off, off offset:128
	s_wait_loadcnt 0x1
	scratch_store_b64 off, v[0:1], off offset:128
	s_wait_loadcnt 0x0
	scratch_store_b64 v128, v[126:127], off offset:-8
.LBB125_476:
	s_wait_xcnt 0x0
	v_mov_b32_e32 v0, 0
	global_load_b32 v1, v0, s[8:9] offset:60
	s_wait_loadcnt 0x0
	v_cmp_eq_u32_e32 vcc_lo, 16, v1
	s_cbranch_vccnz .LBB125_478
; %bb.477:
	v_lshlrev_b32_e32 v1, 3, v1
	scratch_load_b64 v[126:127], v1, off offset:-8
	scratch_load_b64 v[128:129], off, off offset:120
	s_wait_loadcnt 0x1
	scratch_store_b64 off, v[126:127], off offset:120
	s_wait_loadcnt 0x0
	scratch_store_b64 v1, v[128:129], off offset:-8
.LBB125_478:
	global_load_b32 v0, v0, s[8:9] offset:56
	s_wait_loadcnt 0x0
	v_cmp_eq_u32_e32 vcc_lo, 15, v0
	s_cbranch_vccnz .LBB125_480
; %bb.479:
	s_wait_xcnt 0x0
	v_lshlrev_b32_e32 v0, 3, v0
	s_delay_alu instid0(VALU_DEP_1)
	v_mov_b32_e32 v128, v0
	scratch_load_b64 v[0:1], v128, off offset:-8
	scratch_load_b64 v[126:127], off, off offset:112
	s_wait_loadcnt 0x1
	scratch_store_b64 off, v[0:1], off offset:112
	s_wait_loadcnt 0x0
	scratch_store_b64 v128, v[126:127], off offset:-8
.LBB125_480:
	s_wait_xcnt 0x0
	v_mov_b32_e32 v0, 0
	global_load_b32 v1, v0, s[8:9] offset:52
	s_wait_loadcnt 0x0
	v_cmp_eq_u32_e32 vcc_lo, 14, v1
	s_cbranch_vccnz .LBB125_482
; %bb.481:
	v_lshlrev_b32_e32 v1, 3, v1
	scratch_load_b64 v[126:127], v1, off offset:-8
	scratch_load_b64 v[128:129], off, off offset:104
	s_wait_loadcnt 0x1
	scratch_store_b64 off, v[126:127], off offset:104
	s_wait_loadcnt 0x0
	scratch_store_b64 v1, v[128:129], off offset:-8
.LBB125_482:
	global_load_b32 v0, v0, s[8:9] offset:48
	s_wait_loadcnt 0x0
	v_cmp_eq_u32_e32 vcc_lo, 13, v0
	s_cbranch_vccnz .LBB125_484
; %bb.483:
	s_wait_xcnt 0x0
	v_lshlrev_b32_e32 v0, 3, v0
	s_delay_alu instid0(VALU_DEP_1)
	v_mov_b32_e32 v128, v0
	scratch_load_b64 v[0:1], v128, off offset:-8
	scratch_load_b64 v[126:127], off, off offset:96
	s_wait_loadcnt 0x1
	scratch_store_b64 off, v[0:1], off offset:96
	s_wait_loadcnt 0x0
	scratch_store_b64 v128, v[126:127], off offset:-8
.LBB125_484:
	s_wait_xcnt 0x0
	v_mov_b32_e32 v0, 0
	global_load_b32 v1, v0, s[8:9] offset:44
	s_wait_loadcnt 0x0
	v_cmp_eq_u32_e32 vcc_lo, 12, v1
	s_cbranch_vccnz .LBB125_486
; %bb.485:
	v_lshlrev_b32_e32 v1, 3, v1
	scratch_load_b64 v[126:127], v1, off offset:-8
	scratch_load_b64 v[128:129], off, off offset:88
	s_wait_loadcnt 0x1
	scratch_store_b64 off, v[126:127], off offset:88
	s_wait_loadcnt 0x0
	scratch_store_b64 v1, v[128:129], off offset:-8
.LBB125_486:
	global_load_b32 v0, v0, s[8:9] offset:40
	s_wait_loadcnt 0x0
	v_cmp_eq_u32_e32 vcc_lo, 11, v0
	s_cbranch_vccnz .LBB125_488
; %bb.487:
	s_wait_xcnt 0x0
	v_lshlrev_b32_e32 v0, 3, v0
	s_delay_alu instid0(VALU_DEP_1)
	v_mov_b32_e32 v128, v0
	scratch_load_b64 v[0:1], v128, off offset:-8
	scratch_load_b64 v[126:127], off, off offset:80
	s_wait_loadcnt 0x1
	scratch_store_b64 off, v[0:1], off offset:80
	s_wait_loadcnt 0x0
	scratch_store_b64 v128, v[126:127], off offset:-8
.LBB125_488:
	s_wait_xcnt 0x0
	v_mov_b32_e32 v0, 0
	global_load_b32 v1, v0, s[8:9] offset:36
	s_wait_loadcnt 0x0
	v_cmp_eq_u32_e32 vcc_lo, 10, v1
	s_cbranch_vccnz .LBB125_490
; %bb.489:
	v_lshlrev_b32_e32 v1, 3, v1
	scratch_load_b64 v[126:127], v1, off offset:-8
	scratch_load_b64 v[128:129], off, off offset:72
	s_wait_loadcnt 0x1
	scratch_store_b64 off, v[126:127], off offset:72
	s_wait_loadcnt 0x0
	scratch_store_b64 v1, v[128:129], off offset:-8
.LBB125_490:
	global_load_b32 v0, v0, s[8:9] offset:32
	s_wait_loadcnt 0x0
	v_cmp_eq_u32_e32 vcc_lo, 9, v0
	s_cbranch_vccnz .LBB125_492
; %bb.491:
	s_wait_xcnt 0x0
	v_lshlrev_b32_e32 v0, 3, v0
	s_delay_alu instid0(VALU_DEP_1)
	v_mov_b32_e32 v128, v0
	scratch_load_b64 v[0:1], v128, off offset:-8
	scratch_load_b64 v[126:127], off, off offset:64
	s_wait_loadcnt 0x1
	scratch_store_b64 off, v[0:1], off offset:64
	s_wait_loadcnt 0x0
	scratch_store_b64 v128, v[126:127], off offset:-8
.LBB125_492:
	s_wait_xcnt 0x0
	v_mov_b32_e32 v0, 0
	global_load_b32 v1, v0, s[8:9] offset:28
	s_wait_loadcnt 0x0
	v_cmp_eq_u32_e32 vcc_lo, 8, v1
	s_cbranch_vccnz .LBB125_494
; %bb.493:
	v_lshlrev_b32_e32 v1, 3, v1
	scratch_load_b64 v[126:127], v1, off offset:-8
	scratch_load_b64 v[128:129], off, off offset:56
	s_wait_loadcnt 0x1
	scratch_store_b64 off, v[126:127], off offset:56
	s_wait_loadcnt 0x0
	scratch_store_b64 v1, v[128:129], off offset:-8
.LBB125_494:
	global_load_b32 v0, v0, s[8:9] offset:24
	s_wait_loadcnt 0x0
	v_cmp_eq_u32_e32 vcc_lo, 7, v0
	s_cbranch_vccnz .LBB125_496
; %bb.495:
	s_wait_xcnt 0x0
	v_lshlrev_b32_e32 v0, 3, v0
	s_delay_alu instid0(VALU_DEP_1)
	v_mov_b32_e32 v128, v0
	scratch_load_b64 v[0:1], v128, off offset:-8
	scratch_load_b64 v[126:127], off, off offset:48
	s_wait_loadcnt 0x1
	scratch_store_b64 off, v[0:1], off offset:48
	s_wait_loadcnt 0x0
	scratch_store_b64 v128, v[126:127], off offset:-8
.LBB125_496:
	s_wait_xcnt 0x0
	v_mov_b32_e32 v0, 0
	global_load_b32 v1, v0, s[8:9] offset:20
	s_wait_loadcnt 0x0
	v_cmp_eq_u32_e32 vcc_lo, 6, v1
	s_cbranch_vccnz .LBB125_498
; %bb.497:
	v_lshlrev_b32_e32 v1, 3, v1
	scratch_load_b64 v[126:127], v1, off offset:-8
	scratch_load_b64 v[128:129], off, off offset:40
	s_wait_loadcnt 0x1
	scratch_store_b64 off, v[126:127], off offset:40
	s_wait_loadcnt 0x0
	scratch_store_b64 v1, v[128:129], off offset:-8
.LBB125_498:
	global_load_b32 v0, v0, s[8:9] offset:16
	s_wait_loadcnt 0x0
	v_cmp_eq_u32_e32 vcc_lo, 5, v0
	s_cbranch_vccnz .LBB125_500
; %bb.499:
	s_wait_xcnt 0x0
	v_lshlrev_b32_e32 v0, 3, v0
	s_delay_alu instid0(VALU_DEP_1)
	v_mov_b32_e32 v128, v0
	scratch_load_b64 v[0:1], v128, off offset:-8
	scratch_load_b64 v[126:127], off, off offset:32
	s_wait_loadcnt 0x1
	scratch_store_b64 off, v[0:1], off offset:32
	s_wait_loadcnt 0x0
	scratch_store_b64 v128, v[126:127], off offset:-8
.LBB125_500:
	s_wait_xcnt 0x0
	v_mov_b32_e32 v0, 0
	global_load_b32 v1, v0, s[8:9] offset:12
	s_wait_loadcnt 0x0
	v_cmp_eq_u32_e32 vcc_lo, 4, v1
	s_cbranch_vccnz .LBB125_502
; %bb.501:
	v_lshlrev_b32_e32 v1, 3, v1
	scratch_load_b64 v[126:127], v1, off offset:-8
	scratch_load_b64 v[128:129], off, off offset:24
	s_wait_loadcnt 0x1
	scratch_store_b64 off, v[126:127], off offset:24
	s_wait_loadcnt 0x0
	scratch_store_b64 v1, v[128:129], off offset:-8
.LBB125_502:
	global_load_b32 v0, v0, s[8:9] offset:8
	s_wait_loadcnt 0x0
	v_cmp_eq_u32_e32 vcc_lo, 3, v0
	s_cbranch_vccnz .LBB125_504
; %bb.503:
	s_wait_xcnt 0x0
	v_lshlrev_b32_e32 v0, 3, v0
	s_delay_alu instid0(VALU_DEP_1)
	v_mov_b32_e32 v128, v0
	scratch_load_b64 v[0:1], v128, off offset:-8
	scratch_load_b64 v[126:127], off, off offset:16
	s_wait_loadcnt 0x1
	scratch_store_b64 off, v[0:1], off offset:16
	s_wait_loadcnt 0x0
	scratch_store_b64 v128, v[126:127], off offset:-8
.LBB125_504:
	s_wait_xcnt 0x0
	v_mov_b32_e32 v0, 0
	global_load_b32 v1, v0, s[8:9] offset:4
	s_wait_loadcnt 0x0
	v_cmp_eq_u32_e32 vcc_lo, 2, v1
	s_cbranch_vccnz .LBB125_506
; %bb.505:
	v_lshlrev_b32_e32 v1, 3, v1
	scratch_load_b64 v[126:127], v1, off offset:-8
	scratch_load_b64 v[128:129], off, off offset:8
	s_wait_loadcnt 0x1
	scratch_store_b64 off, v[126:127], off offset:8
	s_wait_loadcnt 0x0
	scratch_store_b64 v1, v[128:129], off offset:-8
.LBB125_506:
	global_load_b32 v0, v0, s[8:9]
	scratch_load_b64 v[136:137], off, off
	s_wait_loadcnt 0x1
	v_cmp_eq_u32_e32 vcc_lo, 1, v0
	s_cbranch_vccnz .LBB125_508
; %bb.507:
	s_wait_xcnt 0x1
	v_lshlrev_b32_e32 v0, 3, v0
	s_delay_alu instid0(VALU_DEP_1)
	v_mov_b32_e32 v126, v0
	scratch_load_b64 v[0:1], v126, off offset:-8
	s_wait_loadcnt 0x0
	scratch_store_b64 off, v[0:1], off
	scratch_store_b64 v126, v[136:137], off offset:-8
	scratch_load_b64 v[136:137], off, off
.LBB125_508:
	s_wait_loadcnt 0x0
	flat_store_b64 v[2:3], v[136:137]
	scratch_load_b64 v[2:3], off, off offset:8
	v_lshl_add_u64 v[184:185], v[6:7], 3, s[2:3]
	v_lshl_add_u64 v[182:183], v[8:9], 3, s[2:3]
	;; [unrolled: 1-line block ×60, first 2 shown]
	s_wait_loadcnt 0x0
	flat_store_b64 v[4:5], v[2:3]
	scratch_load_b64 v[2:3], off, off offset:16
	s_wait_loadcnt 0x0
	flat_store_b64 v[184:185], v[2:3]
	scratch_load_b64 v[2:3], off, off offset:24
	s_wait_loadcnt 0x0
	flat_store_b64 v[182:183], v[2:3]
	scratch_load_b64 v[2:3], off, off offset:32
	s_wait_loadcnt 0x0
	flat_store_b64 v[180:181], v[2:3]
	scratch_load_b64 v[2:3], off, off offset:40
	s_wait_loadcnt 0x0
	flat_store_b64 v[178:179], v[2:3]
	scratch_load_b64 v[2:3], off, off offset:48
	s_wait_loadcnt 0x0
	flat_store_b64 v[176:177], v[2:3]
	scratch_load_b64 v[2:3], off, off offset:56
	s_wait_loadcnt 0x0
	flat_store_b64 v[174:175], v[2:3]
	scratch_load_b64 v[2:3], off, off offset:64
	s_wait_loadcnt 0x0
	flat_store_b64 v[172:173], v[2:3]
	scratch_load_b64 v[2:3], off, off offset:72
	s_wait_loadcnt 0x0
	flat_store_b64 v[170:171], v[2:3]
	scratch_load_b64 v[2:3], off, off offset:80
	s_wait_loadcnt 0x0
	flat_store_b64 v[168:169], v[2:3]
	scratch_load_b64 v[2:3], off, off offset:88
	s_wait_loadcnt 0x0
	flat_store_b64 v[166:167], v[2:3]
	scratch_load_b64 v[2:3], off, off offset:96
	s_wait_loadcnt 0x0
	flat_store_b64 v[164:165], v[2:3]
	scratch_load_b64 v[2:3], off, off offset:104
	s_wait_loadcnt 0x0
	flat_store_b64 v[162:163], v[2:3]
	scratch_load_b64 v[2:3], off, off offset:112
	s_wait_loadcnt 0x0
	flat_store_b64 v[160:161], v[2:3]
	scratch_load_b64 v[2:3], off, off offset:120
	s_wait_loadcnt 0x0
	flat_store_b64 v[158:159], v[2:3]
	scratch_load_b64 v[2:3], off, off offset:128
	s_wait_loadcnt 0x0
	flat_store_b64 v[156:157], v[2:3]
	scratch_load_b64 v[2:3], off, off offset:136
	s_wait_loadcnt 0x0
	flat_store_b64 v[154:155], v[2:3]
	scratch_load_b64 v[2:3], off, off offset:144
	s_wait_loadcnt 0x0
	flat_store_b64 v[152:153], v[2:3]
	scratch_load_b64 v[2:3], off, off offset:152
	s_wait_loadcnt 0x0
	flat_store_b64 v[150:151], v[2:3]
	scratch_load_b64 v[2:3], off, off offset:160
	s_wait_loadcnt 0x0
	flat_store_b64 v[148:149], v[2:3]
	scratch_load_b64 v[2:3], off, off offset:168
	s_wait_loadcnt 0x0
	flat_store_b64 v[146:147], v[2:3]
	scratch_load_b64 v[2:3], off, off offset:176
	s_wait_loadcnt 0x0
	flat_store_b64 v[144:145], v[2:3]
	scratch_load_b64 v[2:3], off, off offset:184
	s_wait_loadcnt 0x0
	flat_store_b64 v[142:143], v[2:3]
	scratch_load_b64 v[2:3], off, off offset:192
	s_wait_loadcnt 0x0
	flat_store_b64 v[140:141], v[2:3]
	scratch_load_b64 v[2:3], off, off offset:200
	s_wait_loadcnt 0x0
	flat_store_b64 v[138:139], v[2:3]
	scratch_load_b64 v[2:3], off, off offset:208
	s_wait_loadcnt 0x0
	flat_store_b64 v[134:135], v[2:3]
	scratch_load_b64 v[2:3], off, off offset:216
	s_wait_loadcnt 0x0
	flat_store_b64 v[132:133], v[2:3]
	scratch_load_b64 v[2:3], off, off offset:224
	s_wait_loadcnt 0x0
	flat_store_b64 v[130:131], v[2:3]
	scratch_load_b64 v[2:3], off, off offset:232
	s_wait_loadcnt 0x0
	flat_store_b64 v[128:129], v[2:3]
	scratch_load_b64 v[2:3], off, off offset:240
	s_wait_loadcnt 0x0
	flat_store_b64 v[126:127], v[2:3]
	scratch_load_b64 v[2:3], off, off offset:248
	s_wait_loadcnt 0x0
	flat_store_b64 v[64:65], v[2:3]
	scratch_load_b64 v[2:3], off, off offset:256
	s_wait_loadcnt 0x0
	flat_store_b64 v[62:63], v[2:3]
	scratch_load_b64 v[2:3], off, off offset:264
	s_wait_loadcnt 0x0
	flat_store_b64 v[60:61], v[2:3]
	scratch_load_b64 v[2:3], off, off offset:272
	s_wait_loadcnt 0x0
	flat_store_b64 v[58:59], v[2:3]
	scratch_load_b64 v[2:3], off, off offset:280
	s_wait_loadcnt 0x0
	flat_store_b64 v[56:57], v[2:3]
	scratch_load_b64 v[2:3], off, off offset:288
	s_wait_loadcnt 0x0
	flat_store_b64 v[54:55], v[2:3]
	scratch_load_b64 v[2:3], off, off offset:296
	s_wait_loadcnt 0x0
	flat_store_b64 v[52:53], v[2:3]
	scratch_load_b64 v[2:3], off, off offset:304
	s_wait_loadcnt 0x0
	flat_store_b64 v[50:51], v[2:3]
	scratch_load_b64 v[2:3], off, off offset:312
	s_wait_loadcnt 0x0
	flat_store_b64 v[48:49], v[2:3]
	scratch_load_b64 v[2:3], off, off offset:320
	s_wait_loadcnt 0x0
	flat_store_b64 v[46:47], v[2:3]
	scratch_load_b64 v[2:3], off, off offset:328
	s_wait_loadcnt 0x0
	flat_store_b64 v[44:45], v[2:3]
	scratch_load_b64 v[2:3], off, off offset:336
	s_wait_loadcnt 0x0
	flat_store_b64 v[42:43], v[2:3]
	scratch_load_b64 v[2:3], off, off offset:344
	s_wait_loadcnt 0x0
	flat_store_b64 v[40:41], v[2:3]
	scratch_load_b64 v[2:3], off, off offset:352
	s_wait_loadcnt 0x0
	flat_store_b64 v[38:39], v[2:3]
	scratch_load_b64 v[2:3], off, off offset:360
	s_wait_loadcnt 0x0
	flat_store_b64 v[36:37], v[2:3]
	scratch_load_b64 v[2:3], off, off offset:368
	s_wait_loadcnt 0x0
	flat_store_b64 v[34:35], v[2:3]
	scratch_load_b64 v[2:3], off, off offset:376
	s_wait_loadcnt 0x0
	flat_store_b64 v[32:33], v[2:3]
	scratch_load_b64 v[2:3], off, off offset:384
	s_wait_loadcnt 0x0
	flat_store_b64 v[30:31], v[2:3]
	scratch_load_b64 v[2:3], off, off offset:392
	s_wait_loadcnt 0x0
	flat_store_b64 v[28:29], v[2:3]
	scratch_load_b64 v[2:3], off, off offset:400
	s_wait_loadcnt 0x0
	flat_store_b64 v[26:27], v[2:3]
	scratch_load_b64 v[2:3], off, off offset:408
	s_wait_loadcnt 0x0
	flat_store_b64 v[24:25], v[2:3]
	scratch_load_b64 v[2:3], off, off offset:416
	s_wait_loadcnt 0x0
	flat_store_b64 v[22:23], v[2:3]
	scratch_load_b64 v[2:3], off, off offset:424
	s_wait_loadcnt 0x0
	flat_store_b64 v[20:21], v[2:3]
	scratch_load_b64 v[2:3], off, off offset:432
	s_wait_loadcnt 0x0
	flat_store_b64 v[18:19], v[2:3]
	scratch_load_b64 v[2:3], off, off offset:440
	s_wait_loadcnt 0x0
	flat_store_b64 v[16:17], v[2:3]
	scratch_load_b64 v[2:3], off, off offset:448
	s_wait_loadcnt 0x0
	flat_store_b64 v[14:15], v[2:3]
	scratch_load_b64 v[2:3], off, off offset:456
	s_wait_loadcnt 0x0
	flat_store_b64 v[12:13], v[2:3]
	scratch_load_b64 v[2:3], off, off offset:464
	s_wait_loadcnt 0x0
	flat_store_b64 v[10:11], v[2:3]
	scratch_load_b64 v[2:3], off, off offset:472
	s_wait_loadcnt 0x0
	flat_store_b64 v[8:9], v[2:3]
	scratch_load_b64 v[2:3], off, off offset:480
	s_wait_loadcnt 0x0
	flat_store_b64 v[6:7], v[2:3]
	scratch_load_b64 v[2:3], off, off offset:488
	s_wait_loadcnt 0x0
	flat_store_b64 v[0:1], v[2:3]
	s_sendmsg sendmsg(MSG_DEALLOC_VGPRS)
	s_endpgm
	.section	.rodata,"a",@progbits
	.p2align	6, 0x0
	.amdhsa_kernel _ZN9rocsolver6v33100L18getri_kernel_smallILi62E19rocblas_complex_numIfEPKPS3_EEvT1_iilPiilS8_bb
		.amdhsa_group_segment_fixed_size 996
		.amdhsa_private_segment_fixed_size 512
		.amdhsa_kernarg_size 60
		.amdhsa_user_sgpr_count 2
		.amdhsa_user_sgpr_dispatch_ptr 0
		.amdhsa_user_sgpr_queue_ptr 0
		.amdhsa_user_sgpr_kernarg_segment_ptr 1
		.amdhsa_user_sgpr_dispatch_id 0
		.amdhsa_user_sgpr_kernarg_preload_length 0
		.amdhsa_user_sgpr_kernarg_preload_offset 0
		.amdhsa_user_sgpr_private_segment_size 0
		.amdhsa_wavefront_size32 1
		.amdhsa_uses_dynamic_stack 0
		.amdhsa_enable_private_segment 1
		.amdhsa_system_sgpr_workgroup_id_x 1
		.amdhsa_system_sgpr_workgroup_id_y 0
		.amdhsa_system_sgpr_workgroup_id_z 0
		.amdhsa_system_sgpr_workgroup_info 0
		.amdhsa_system_vgpr_workitem_id 0
		.amdhsa_next_free_vgpr 432
		.amdhsa_next_free_sgpr 19
		.amdhsa_named_barrier_count 0
		.amdhsa_reserve_vcc 1
		.amdhsa_float_round_mode_32 0
		.amdhsa_float_round_mode_16_64 0
		.amdhsa_float_denorm_mode_32 3
		.amdhsa_float_denorm_mode_16_64 3
		.amdhsa_fp16_overflow 0
		.amdhsa_memory_ordered 1
		.amdhsa_forward_progress 1
		.amdhsa_inst_pref_size 255
		.amdhsa_round_robin_scheduling 0
		.amdhsa_exception_fp_ieee_invalid_op 0
		.amdhsa_exception_fp_denorm_src 0
		.amdhsa_exception_fp_ieee_div_zero 0
		.amdhsa_exception_fp_ieee_overflow 0
		.amdhsa_exception_fp_ieee_underflow 0
		.amdhsa_exception_fp_ieee_inexact 0
		.amdhsa_exception_int_div_zero 0
	.end_amdhsa_kernel
	.section	.text._ZN9rocsolver6v33100L18getri_kernel_smallILi62E19rocblas_complex_numIfEPKPS3_EEvT1_iilPiilS8_bb,"axG",@progbits,_ZN9rocsolver6v33100L18getri_kernel_smallILi62E19rocblas_complex_numIfEPKPS3_EEvT1_iilPiilS8_bb,comdat
.Lfunc_end125:
	.size	_ZN9rocsolver6v33100L18getri_kernel_smallILi62E19rocblas_complex_numIfEPKPS3_EEvT1_iilPiilS8_bb, .Lfunc_end125-_ZN9rocsolver6v33100L18getri_kernel_smallILi62E19rocblas_complex_numIfEPKPS3_EEvT1_iilPiilS8_bb
                                        ; -- End function
	.set _ZN9rocsolver6v33100L18getri_kernel_smallILi62E19rocblas_complex_numIfEPKPS3_EEvT1_iilPiilS8_bb.num_vgpr, 432
	.set _ZN9rocsolver6v33100L18getri_kernel_smallILi62E19rocblas_complex_numIfEPKPS3_EEvT1_iilPiilS8_bb.num_agpr, 0
	.set _ZN9rocsolver6v33100L18getri_kernel_smallILi62E19rocblas_complex_numIfEPKPS3_EEvT1_iilPiilS8_bb.numbered_sgpr, 19
	.set _ZN9rocsolver6v33100L18getri_kernel_smallILi62E19rocblas_complex_numIfEPKPS3_EEvT1_iilPiilS8_bb.num_named_barrier, 0
	.set _ZN9rocsolver6v33100L18getri_kernel_smallILi62E19rocblas_complex_numIfEPKPS3_EEvT1_iilPiilS8_bb.private_seg_size, 512
	.set _ZN9rocsolver6v33100L18getri_kernel_smallILi62E19rocblas_complex_numIfEPKPS3_EEvT1_iilPiilS8_bb.uses_vcc, 1
	.set _ZN9rocsolver6v33100L18getri_kernel_smallILi62E19rocblas_complex_numIfEPKPS3_EEvT1_iilPiilS8_bb.uses_flat_scratch, 1
	.set _ZN9rocsolver6v33100L18getri_kernel_smallILi62E19rocblas_complex_numIfEPKPS3_EEvT1_iilPiilS8_bb.has_dyn_sized_stack, 0
	.set _ZN9rocsolver6v33100L18getri_kernel_smallILi62E19rocblas_complex_numIfEPKPS3_EEvT1_iilPiilS8_bb.has_recursion, 0
	.set _ZN9rocsolver6v33100L18getri_kernel_smallILi62E19rocblas_complex_numIfEPKPS3_EEvT1_iilPiilS8_bb.has_indirect_call, 0
	.section	.AMDGPU.csdata,"",@progbits
; Kernel info:
; codeLenInByte = 140320
; TotalNumSgprs: 21
; NumVgprs: 432
; ScratchSize: 512
; MemoryBound: 0
; FloatMode: 240
; IeeeMode: 1
; LDSByteSize: 996 bytes/workgroup (compile time only)
; SGPRBlocks: 0
; VGPRBlocks: 26
; NumSGPRsForWavesPerEU: 21
; NumVGPRsForWavesPerEU: 432
; NamedBarCnt: 0
; Occupancy: 2
; WaveLimiterHint : 1
; COMPUTE_PGM_RSRC2:SCRATCH_EN: 1
; COMPUTE_PGM_RSRC2:USER_SGPR: 2
; COMPUTE_PGM_RSRC2:TRAP_HANDLER: 0
; COMPUTE_PGM_RSRC2:TGID_X_EN: 1
; COMPUTE_PGM_RSRC2:TGID_Y_EN: 0
; COMPUTE_PGM_RSRC2:TGID_Z_EN: 0
; COMPUTE_PGM_RSRC2:TIDIG_COMP_CNT: 0
	.section	.text._ZN9rocsolver6v33100L18getri_kernel_smallILi63E19rocblas_complex_numIfEPKPS3_EEvT1_iilPiilS8_bb,"axG",@progbits,_ZN9rocsolver6v33100L18getri_kernel_smallILi63E19rocblas_complex_numIfEPKPS3_EEvT1_iilPiilS8_bb,comdat
	.globl	_ZN9rocsolver6v33100L18getri_kernel_smallILi63E19rocblas_complex_numIfEPKPS3_EEvT1_iilPiilS8_bb ; -- Begin function _ZN9rocsolver6v33100L18getri_kernel_smallILi63E19rocblas_complex_numIfEPKPS3_EEvT1_iilPiilS8_bb
	.p2align	8
	.type	_ZN9rocsolver6v33100L18getri_kernel_smallILi63E19rocblas_complex_numIfEPKPS3_EEvT1_iilPiilS8_bb,@function
_ZN9rocsolver6v33100L18getri_kernel_smallILi63E19rocblas_complex_numIfEPKPS3_EEvT1_iilPiilS8_bb: ; @_ZN9rocsolver6v33100L18getri_kernel_smallILi63E19rocblas_complex_numIfEPKPS3_EEvT1_iilPiilS8_bb
; %bb.0:
	s_mov_b32 s2, exec_lo
	v_cmpx_gt_u32_e32 63, v0
	s_cbranch_execz .LBB126_266
; %bb.1:
	s_clause 0x1
	s_load_b32 s13, s[0:1], 0x38
	s_load_b64 s[2:3], s[0:1], 0x0
	s_getreg_b32 s6, hwreg(HW_REG_IB_STS2, 6, 4)
	s_wait_kmcnt 0x0
	s_bitcmp1_b32 s13, 8
	s_cselect_b32 s12, -1, 0
	s_bfe_u32 s4, ttmp6, 0x4000c
	s_and_b32 s5, ttmp6, 15
	s_add_co_i32 s4, s4, 1
	s_delay_alu instid0(SALU_CYCLE_1) | instskip(NEXT) | instid1(SALU_CYCLE_1)
	s_mul_i32 s4, ttmp9, s4
	s_add_co_i32 s5, s5, s4
	s_cmp_eq_u32 s6, 0
	s_cselect_b32 s10, ttmp9, s5
	s_load_b128 s[4:7], s[0:1], 0x28
	s_ashr_i32 s11, s10, 31
	s_delay_alu instid0(SALU_CYCLE_1) | instskip(NEXT) | instid1(SALU_CYCLE_1)
	s_lshl_b64 s[8:9], s[10:11], 3
	s_add_nc_u64 s[2:3], s[2:3], s[8:9]
	s_bfe_u32 s8, s13, 0x10008
	s_load_b64 s[2:3], s[2:3], 0x0
	s_cmp_eq_u32 s8, 0
                                        ; implicit-def: $sgpr8_sgpr9
	s_cbranch_scc1 .LBB126_3
; %bb.2:
	s_load_b96 s[16:18], s[0:1], 0x18
	s_wait_kmcnt 0x0
	s_mul_u64 s[4:5], s[4:5], s[10:11]
	s_delay_alu instid0(SALU_CYCLE_1) | instskip(SKIP_4) | instid1(SALU_CYCLE_1)
	s_lshl_b64 s[4:5], s[4:5], 2
	s_ashr_i32 s9, s18, 31
	s_mov_b32 s8, s18
	s_add_nc_u64 s[4:5], s[16:17], s[4:5]
	s_lshl_b64 s[8:9], s[8:9], 2
	s_add_nc_u64 s[8:9], s[4:5], s[8:9]
.LBB126_3:
	s_wait_kmcnt 0x0
	s_clause 0x1
	s_load_b64 s[4:5], s[0:1], 0x8
	s_load_b32 s13, s[0:1], 0x38
	v_dual_mov_b32 v129, 0 :: v_dual_lshlrev_b32 v128, 3, v0
	s_wait_kmcnt 0x0
	s_ashr_i32 s1, s4, 31
	s_mov_b32 s0, s4
	s_delay_alu instid0(SALU_CYCLE_1) | instskip(NEXT) | instid1(SALU_CYCLE_1)
	s_lshl_b64 s[0:1], s[0:1], 3
	s_add_nc_u64 s[2:3], s[2:3], s[0:1]
	s_ashr_i32 s1, s5, 31
	flat_load_b64 v[6:7], v0, s[2:3] scale_offset
	v_add_nc_u64_e32 v[2:3], s[2:3], v[128:129]
	s_mov_b32 s0, s5
	s_bitcmp0_b32 s13, 0
	s_delay_alu instid0(VALU_DEP_1)
	v_lshl_add_u64 v[4:5], s[0:1], 3, v[2:3]
	s_mov_b32 s1, -1
	s_wait_loadcnt_dscnt 0x0
	scratch_store_b64 off, v[6:7], off
	flat_load_b64 v[8:9], v[4:5]
	s_wait_xcnt 0x1
	v_add3_u32 v6, s5, s5, v0
	s_wait_loadcnt_dscnt 0x0
	scratch_store_b64 off, v[8:9], off offset:8
	flat_load_b64 v[10:11], v6, s[2:3] scale_offset
	s_wait_xcnt 0x1
	v_add_nc_u32_e32 v8, s5, v6
	s_wait_loadcnt_dscnt 0x0
	scratch_store_b64 off, v[10:11], off offset:16
	flat_load_b64 v[12:13], v8, s[2:3] scale_offset
	s_wait_xcnt 0x1
	v_add_nc_u32_e32 v10, s5, v8
	;; [unrolled: 5-line block ×60, first 2 shown]
	s_wait_loadcnt_dscnt 0x0
	scratch_store_b64 off, v[130:131], off offset:488
	flat_load_b64 v[130:131], v126, s[2:3] scale_offset
	s_wait_loadcnt_dscnt 0x0
	scratch_store_b64 off, v[130:131], off offset:496
	s_cbranch_scc1 .LBB126_264
; %bb.4:
	v_cmp_eq_u32_e64 s0, 0, v0
	s_wait_xcnt 0x0
	s_and_saveexec_b32 s1, s0
; %bb.5:
	v_mov_b32_e32 v1, 0
	ds_store_b32 v1, v1 offset:504
; %bb.6:
	s_or_b32 exec_lo, exec_lo, s1
	s_wait_storecnt_dscnt 0x0
	s_barrier_signal -1
	s_barrier_wait -1
	scratch_load_b64 v[130:131], v0, off scale_offset
	s_wait_loadcnt 0x0
	v_cmp_eq_f32_e32 vcc_lo, 0, v130
	v_cmp_eq_f32_e64 s1, 0, v131
	s_and_b32 s1, vcc_lo, s1
	s_delay_alu instid0(SALU_CYCLE_1)
	s_and_saveexec_b32 s4, s1
	s_cbranch_execz .LBB126_10
; %bb.7:
	v_mov_b32_e32 v1, 0
	s_mov_b32 s5, 0
	ds_load_b32 v7, v1 offset:504
	s_wait_dscnt 0x0
	v_readfirstlane_b32 s1, v7
	v_add_nc_u32_e32 v7, 1, v0
	s_cmp_eq_u32 s1, 0
	s_delay_alu instid0(VALU_DEP_1) | instskip(SKIP_1) | instid1(SALU_CYCLE_1)
	v_cmp_gt_i32_e32 vcc_lo, s1, v7
	s_cselect_b32 s13, -1, 0
	s_or_b32 s13, s13, vcc_lo
	s_delay_alu instid0(SALU_CYCLE_1)
	s_and_b32 exec_lo, exec_lo, s13
	s_cbranch_execz .LBB126_10
; %bb.8:
	v_mov_b32_e32 v9, s1
.LBB126_9:                              ; =>This Inner Loop Header: Depth=1
	ds_cmpstore_rtn_b32 v9, v1, v7, v9 offset:504
	s_wait_dscnt 0x0
	v_cmp_ne_u32_e32 vcc_lo, 0, v9
	v_cmp_le_i32_e64 s1, v9, v7
	s_and_b32 s1, vcc_lo, s1
	s_delay_alu instid0(SALU_CYCLE_1) | instskip(NEXT) | instid1(SALU_CYCLE_1)
	s_and_b32 s1, exec_lo, s1
	s_or_b32 s5, s1, s5
	s_delay_alu instid0(SALU_CYCLE_1)
	s_and_not1_b32 exec_lo, exec_lo, s5
	s_cbranch_execnz .LBB126_9
.LBB126_10:
	s_or_b32 exec_lo, exec_lo, s4
	v_mov_b32_e32 v1, 0
	s_barrier_signal -1
	s_barrier_wait -1
	ds_load_b32 v7, v1 offset:504
	s_and_saveexec_b32 s1, s0
	s_cbranch_execz .LBB126_12
; %bb.11:
	s_lshl_b64 s[4:5], s[10:11], 2
	s_delay_alu instid0(SALU_CYCLE_1)
	s_add_nc_u64 s[4:5], s[6:7], s[4:5]
	s_wait_dscnt 0x0
	global_store_b32 v1, v7, s[4:5]
.LBB126_12:
	s_wait_xcnt 0x0
	s_or_b32 exec_lo, exec_lo, s1
	s_wait_dscnt 0x0
	v_cmp_ne_u32_e32 vcc_lo, 0, v7
	s_mov_b32 s1, 0
	s_cbranch_vccnz .LBB126_264
; %bb.13:
	v_lshl_add_u32 v7, v0, 3, 0
                                        ; implicit-def: $vgpr133
                                        ; implicit-def: $vgpr134
	scratch_load_b64 v[130:131], v7, off
	s_wait_loadcnt 0x0
	v_cmp_ngt_f32_e64 s1, |v130|, |v131|
	s_wait_xcnt 0x0
	s_and_saveexec_b32 s4, s1
	s_delay_alu instid0(SALU_CYCLE_1)
	s_xor_b32 s1, exec_lo, s4
	s_cbranch_execz .LBB126_15
; %bb.14:
	v_div_scale_f32 v1, null, v131, v131, v130
	v_div_scale_f32 v13, vcc_lo, v130, v131, v130
	s_delay_alu instid0(VALU_DEP_2) | instskip(SKIP_1) | instid1(TRANS32_DEP_1)
	v_rcp_f32_e32 v9, v1
	v_nop
	v_fma_f32 v11, -v1, v9, 1.0
	s_delay_alu instid0(VALU_DEP_1) | instskip(NEXT) | instid1(VALU_DEP_1)
	v_fmac_f32_e32 v9, v11, v9
	v_mul_f32_e32 v11, v13, v9
	s_delay_alu instid0(VALU_DEP_1) | instskip(NEXT) | instid1(VALU_DEP_1)
	v_fma_f32 v15, -v1, v11, v13
	v_fmac_f32_e32 v11, v15, v9
	s_delay_alu instid0(VALU_DEP_1) | instskip(NEXT) | instid1(VALU_DEP_1)
	v_fma_f32 v1, -v1, v11, v13
	v_div_fmas_f32 v1, v1, v9, v11
	s_delay_alu instid0(VALU_DEP_1) | instskip(NEXT) | instid1(VALU_DEP_1)
	v_div_fixup_f32 v1, v1, v131, v130
	v_fmac_f32_e32 v131, v130, v1
	s_delay_alu instid0(VALU_DEP_1) | instskip(NEXT) | instid1(VALU_DEP_1)
	v_div_scale_f32 v9, null, v131, v131, -1.0
	v_rcp_f32_e32 v11, v9
	v_nop
	s_delay_alu instid0(TRANS32_DEP_1) | instskip(NEXT) | instid1(VALU_DEP_1)
	v_fma_f32 v13, -v9, v11, 1.0
	v_fmac_f32_e32 v11, v13, v11
	v_div_scale_f32 v13, vcc_lo, -1.0, v131, -1.0
	s_delay_alu instid0(VALU_DEP_1) | instskip(NEXT) | instid1(VALU_DEP_1)
	v_mul_f32_e32 v15, v13, v11
	v_fma_f32 v17, -v9, v15, v13
	s_delay_alu instid0(VALU_DEP_1) | instskip(NEXT) | instid1(VALU_DEP_1)
	v_fmac_f32_e32 v15, v17, v11
	v_fma_f32 v9, -v9, v15, v13
	s_delay_alu instid0(VALU_DEP_1) | instskip(NEXT) | instid1(VALU_DEP_1)
	v_div_fmas_f32 v9, v9, v11, v15
	v_div_fixup_f32 v133, v9, v131, -1.0
                                        ; implicit-def: $vgpr130_vgpr131
	s_delay_alu instid0(VALU_DEP_1) | instskip(NEXT) | instid1(VALU_DEP_1)
	v_mul_f32_e32 v134, v1, v133
	v_xor_b32_e32 v132, 0x80000000, v134
.LBB126_15:
	s_and_not1_saveexec_b32 s1, s1
	s_cbranch_execz .LBB126_17
; %bb.16:
	v_div_scale_f32 v1, null, v130, v130, v131
	v_div_scale_f32 v13, vcc_lo, v131, v130, v131
	s_delay_alu instid0(VALU_DEP_2) | instskip(SKIP_1) | instid1(TRANS32_DEP_1)
	v_rcp_f32_e32 v9, v1
	v_nop
	v_fma_f32 v11, -v1, v9, 1.0
	s_delay_alu instid0(VALU_DEP_1) | instskip(NEXT) | instid1(VALU_DEP_1)
	v_fmac_f32_e32 v9, v11, v9
	v_mul_f32_e32 v11, v13, v9
	s_delay_alu instid0(VALU_DEP_1) | instskip(NEXT) | instid1(VALU_DEP_1)
	v_fma_f32 v15, -v1, v11, v13
	v_fmac_f32_e32 v11, v15, v9
	s_delay_alu instid0(VALU_DEP_1) | instskip(NEXT) | instid1(VALU_DEP_1)
	v_fma_f32 v1, -v1, v11, v13
	v_div_fmas_f32 v1, v1, v9, v11
	s_delay_alu instid0(VALU_DEP_1) | instskip(NEXT) | instid1(VALU_DEP_1)
	v_div_fixup_f32 v1, v1, v130, v131
	v_fmac_f32_e32 v130, v131, v1
	s_delay_alu instid0(VALU_DEP_1) | instskip(SKIP_1) | instid1(VALU_DEP_2)
	v_div_scale_f32 v9, null, v130, v130, 1.0
	v_div_scale_f32 v15, vcc_lo, 1.0, v130, 1.0
	v_rcp_f32_e32 v11, v9
	v_nop
	s_delay_alu instid0(TRANS32_DEP_1) | instskip(NEXT) | instid1(VALU_DEP_1)
	v_fma_f32 v13, -v9, v11, 1.0
	v_fmac_f32_e32 v11, v13, v11
	s_delay_alu instid0(VALU_DEP_1) | instskip(NEXT) | instid1(VALU_DEP_1)
	v_mul_f32_e32 v13, v15, v11
	v_fma_f32 v17, -v9, v13, v15
	s_delay_alu instid0(VALU_DEP_1) | instskip(NEXT) | instid1(VALU_DEP_1)
	v_fmac_f32_e32 v13, v17, v11
	v_fma_f32 v9, -v9, v13, v15
	s_delay_alu instid0(VALU_DEP_1) | instskip(NEXT) | instid1(VALU_DEP_1)
	v_div_fmas_f32 v9, v9, v11, v13
	v_div_fixup_f32 v132, v9, v130, 1.0
	s_delay_alu instid0(VALU_DEP_1)
	v_xor_b32_e32 v134, 0x80000000, v132
	v_mul_f32_e64 v133, v1, -v132
.LBB126_17:
	s_or_b32 exec_lo, exec_lo, s1
	scratch_store_b64 v7, v[132:133], off
	scratch_load_b64 v[130:131], off, off offset:8
	v_xor_b32_e32 v135, 0x80000000, v133
	v_or_b32_e32 v1, 0x200, v128
	s_wait_loadcnt 0x0
	ds_store_2addr_stride64_b64 v128, v[134:135], v[130:131] offset1:1
	s_wait_storecnt_dscnt 0x0
	s_barrier_signal -1
	s_barrier_wait -1
	s_wait_xcnt 0x0
	s_and_saveexec_b32 s1, s0
	s_cbranch_execz .LBB126_19
; %bb.18:
	scratch_load_b64 v[130:131], v7, off
	ds_load_b64 v[132:133], v1
	s_wait_loadcnt_dscnt 0x0
	v_pk_mul_f32 v[136:137], v[132:133], v[130:131] op_sel:[1,1] op_sel_hi:[0,1]
	s_delay_alu instid0(VALU_DEP_1) | instskip(SKIP_2) | instid1(VALU_DEP_3)
	v_pk_fma_f32 v[138:139], v[132:133], v[130:131], v[136:137] op_sel_hi:[1,0,1]
	v_mov_b32_e32 v9, 0
	v_pk_fma_f32 v[130:131], v[132:133], v[130:131], v[136:137] neg_lo:[0,0,1] neg_hi:[0,0,1]
	v_mov_b32_e32 v131, v139
	ds_load_b64 v[134:135], v9 offset:8
	v_pk_add_f32 v[130:131], v[130:131], 0 op_sel_hi:[1,0]
	s_wait_dscnt 0x0
	s_delay_alu instid0(VALU_DEP_1) | instskip(NEXT) | instid1(VALU_DEP_1)
	v_pk_mul_f32 v[132:133], v[130:131], v[134:135] op_sel:[1,1] op_sel_hi:[0,1]
	v_pk_fma_f32 v[136:137], v[130:131], v[134:135], v[132:133] op_sel_hi:[1,0,1]
	v_pk_fma_f32 v[130:131], v[130:131], v[134:135], v[132:133] neg_lo:[0,0,1] neg_hi:[0,0,1]
	s_delay_alu instid0(VALU_DEP_2)
	v_mov_b32_e32 v131, v137
	scratch_store_b64 off, v[130:131], off offset:8
.LBB126_19:
	s_wait_xcnt 0x0
	s_or_b32 exec_lo, exec_lo, s1
	s_wait_storecnt 0x0
	s_barrier_signal -1
	s_barrier_wait -1
	scratch_load_b64 v[130:131], off, off offset:16
	s_mov_b32 s1, exec_lo
	s_wait_loadcnt 0x0
	ds_store_b64 v1, v[130:131]
	s_wait_dscnt 0x0
	s_barrier_signal -1
	s_barrier_wait -1
	v_cmpx_gt_u32_e32 2, v0
	s_cbranch_execz .LBB126_23
; %bb.20:
	scratch_load_b64 v[130:131], v7, off
	ds_load_b64 v[132:133], v1
	s_wait_loadcnt_dscnt 0x0
	v_pk_mul_f32 v[134:135], v[132:133], v[130:131] op_sel:[1,1] op_sel_hi:[0,1]
	s_delay_alu instid0(VALU_DEP_1) | instskip(SKIP_1) | instid1(VALU_DEP_2)
	v_pk_fma_f32 v[136:137], v[132:133], v[130:131], v[134:135] op_sel_hi:[1,0,1]
	v_pk_fma_f32 v[130:131], v[132:133], v[130:131], v[134:135] neg_lo:[0,0,1] neg_hi:[0,0,1]
	v_mov_b32_e32 v131, v137
	s_delay_alu instid0(VALU_DEP_1)
	v_pk_add_f32 v[130:131], v[130:131], 0 op_sel_hi:[1,0]
	s_and_saveexec_b32 s4, s0
	s_cbranch_execz .LBB126_22
; %bb.21:
	scratch_load_b64 v[132:133], off, off offset:8
	v_mov_b32_e32 v7, 0
	ds_load_b64 v[134:135], v7 offset:520
	s_wait_loadcnt_dscnt 0x0
	v_pk_mul_f32 v[136:137], v[134:135], v[132:133] op_sel:[1,1] op_sel_hi:[0,1]
	s_delay_alu instid0(VALU_DEP_1) | instskip(SKIP_1) | instid1(VALU_DEP_2)
	v_pk_fma_f32 v[138:139], v[134:135], v[132:133], v[136:137] op_sel_hi:[1,0,1]
	v_pk_fma_f32 v[132:133], v[134:135], v[132:133], v[136:137] neg_lo:[0,0,1] neg_hi:[0,0,1]
	v_mov_b32_e32 v133, v139
	s_delay_alu instid0(VALU_DEP_1)
	v_pk_add_f32 v[130:131], v[130:131], v[132:133]
.LBB126_22:
	s_or_b32 exec_lo, exec_lo, s4
	v_mov_b32_e32 v7, 0
	ds_load_b64 v[132:133], v7 offset:16
	s_wait_dscnt 0x0
	v_pk_mul_f32 v[134:135], v[130:131], v[132:133] op_sel:[1,1] op_sel_hi:[0,1]
	s_delay_alu instid0(VALU_DEP_1) | instskip(SKIP_1) | instid1(VALU_DEP_2)
	v_pk_fma_f32 v[136:137], v[130:131], v[132:133], v[134:135] op_sel_hi:[1,0,1]
	v_pk_fma_f32 v[130:131], v[130:131], v[132:133], v[134:135] neg_lo:[0,0,1] neg_hi:[0,0,1]
	v_mov_b32_e32 v131, v137
	scratch_store_b64 off, v[130:131], off offset:16
.LBB126_23:
	s_wait_xcnt 0x0
	s_or_b32 exec_lo, exec_lo, s1
	s_wait_storecnt 0x0
	s_barrier_signal -1
	s_barrier_wait -1
	scratch_load_b64 v[130:131], off, off offset:24
	v_add_nc_u32_e32 v7, -1, v0
	s_mov_b32 s0, exec_lo
	s_wait_loadcnt 0x0
	ds_store_b64 v1, v[130:131]
	s_wait_dscnt 0x0
	s_barrier_signal -1
	s_barrier_wait -1
	v_cmpx_gt_u32_e32 3, v0
	s_cbranch_execz .LBB126_27
; %bb.24:
	v_dual_mov_b32 v130, 0 :: v_dual_add_nc_u32 v9, -1, v0
	v_or_b32_e32 v11, 0x200, v128
	v_mov_b32_e32 v13, v128
	s_mov_b32 s1, 0
	s_delay_alu instid0(VALU_DEP_3)
	v_mov_b32_e32 v131, v130
.LBB126_25:                             ; =>This Inner Loop Header: Depth=1
	scratch_load_b64 v[132:133], v13, off
	ds_load_b64 v[134:135], v11
	s_wait_xcnt 0x0
	v_dual_add_nc_u32 v11, 8, v11 :: v_dual_add_nc_u32 v13, 8, v13
	s_wait_loadcnt_dscnt 0x0
	v_pk_mul_f32 v[136:137], v[134:135], v[132:133] op_sel:[1,1] op_sel_hi:[0,1]
	s_delay_alu instid0(VALU_DEP_1) | instskip(SKIP_2) | instid1(VALU_DEP_3)
	v_pk_fma_f32 v[138:139], v[134:135], v[132:133], v[136:137] op_sel_hi:[1,0,1]
	v_add_nc_u32_e32 v9, 1, v9
	v_pk_fma_f32 v[132:133], v[134:135], v[132:133], v[136:137] neg_lo:[0,0,1] neg_hi:[0,0,1]
	v_mov_b32_e32 v133, v139
	s_delay_alu instid0(VALU_DEP_3) | instskip(NEXT) | instid1(VALU_DEP_2)
	v_cmp_lt_u32_e32 vcc_lo, 1, v9
	v_pk_add_f32 v[130:131], v[130:131], v[132:133]
	s_or_b32 s1, vcc_lo, s1
	s_delay_alu instid0(SALU_CYCLE_1)
	s_and_not1_b32 exec_lo, exec_lo, s1
	s_cbranch_execnz .LBB126_25
; %bb.26:
	s_or_b32 exec_lo, exec_lo, s1
	v_mov_b32_e32 v9, 0
	ds_load_b64 v[132:133], v9 offset:24
	s_wait_dscnt 0x0
	v_pk_mul_f32 v[134:135], v[130:131], v[132:133] op_sel:[1,1] op_sel_hi:[0,1]
	s_delay_alu instid0(VALU_DEP_1) | instskip(SKIP_1) | instid1(VALU_DEP_2)
	v_pk_fma_f32 v[136:137], v[130:131], v[132:133], v[134:135] op_sel_hi:[1,0,1]
	v_pk_fma_f32 v[130:131], v[130:131], v[132:133], v[134:135] neg_lo:[0,0,1] neg_hi:[0,0,1]
	v_mov_b32_e32 v131, v137
	scratch_store_b64 off, v[130:131], off offset:24
.LBB126_27:
	s_wait_xcnt 0x0
	s_or_b32 exec_lo, exec_lo, s0
	s_wait_storecnt 0x0
	s_barrier_signal -1
	s_barrier_wait -1
	scratch_load_b64 v[130:131], off, off offset:32
	s_mov_b32 s0, exec_lo
	s_wait_loadcnt 0x0
	ds_store_b64 v1, v[130:131]
	s_wait_dscnt 0x0
	s_barrier_signal -1
	s_barrier_wait -1
	v_cmpx_gt_u32_e32 4, v0
	s_cbranch_execz .LBB126_31
; %bb.28:
	v_dual_mov_b32 v130, 0 :: v_dual_add_nc_u32 v9, -1, v0
	v_or_b32_e32 v11, 0x200, v128
	v_mov_b32_e32 v13, v128
	s_mov_b32 s1, 0
	s_delay_alu instid0(VALU_DEP_3)
	v_mov_b32_e32 v131, v130
.LBB126_29:                             ; =>This Inner Loop Header: Depth=1
	scratch_load_b64 v[132:133], v13, off
	ds_load_b64 v[134:135], v11
	s_wait_xcnt 0x0
	v_dual_add_nc_u32 v11, 8, v11 :: v_dual_add_nc_u32 v13, 8, v13
	s_wait_loadcnt_dscnt 0x0
	v_pk_mul_f32 v[136:137], v[134:135], v[132:133] op_sel:[1,1] op_sel_hi:[0,1]
	s_delay_alu instid0(VALU_DEP_1) | instskip(SKIP_2) | instid1(VALU_DEP_3)
	v_pk_fma_f32 v[138:139], v[134:135], v[132:133], v[136:137] op_sel_hi:[1,0,1]
	v_add_nc_u32_e32 v9, 1, v9
	v_pk_fma_f32 v[132:133], v[134:135], v[132:133], v[136:137] neg_lo:[0,0,1] neg_hi:[0,0,1]
	v_mov_b32_e32 v133, v139
	s_delay_alu instid0(VALU_DEP_3) | instskip(NEXT) | instid1(VALU_DEP_2)
	v_cmp_lt_u32_e32 vcc_lo, 2, v9
	v_pk_add_f32 v[130:131], v[130:131], v[132:133]
	s_or_b32 s1, vcc_lo, s1
	s_delay_alu instid0(SALU_CYCLE_1)
	s_and_not1_b32 exec_lo, exec_lo, s1
	s_cbranch_execnz .LBB126_29
; %bb.30:
	s_or_b32 exec_lo, exec_lo, s1
	v_mov_b32_e32 v9, 0
	ds_load_b64 v[132:133], v9 offset:32
	s_wait_dscnt 0x0
	v_pk_mul_f32 v[134:135], v[130:131], v[132:133] op_sel:[1,1] op_sel_hi:[0,1]
	s_delay_alu instid0(VALU_DEP_1) | instskip(SKIP_1) | instid1(VALU_DEP_2)
	v_pk_fma_f32 v[136:137], v[130:131], v[132:133], v[134:135] op_sel_hi:[1,0,1]
	v_pk_fma_f32 v[130:131], v[130:131], v[132:133], v[134:135] neg_lo:[0,0,1] neg_hi:[0,0,1]
	v_mov_b32_e32 v131, v137
	scratch_store_b64 off, v[130:131], off offset:32
.LBB126_31:
	s_wait_xcnt 0x0
	s_or_b32 exec_lo, exec_lo, s0
	s_wait_storecnt 0x0
	s_barrier_signal -1
	s_barrier_wait -1
	scratch_load_b64 v[130:131], off, off offset:40
	;; [unrolled: 52-line block ×19, first 2 shown]
	s_mov_b32 s0, exec_lo
	s_wait_loadcnt 0x0
	ds_store_b64 v1, v[130:131]
	s_wait_dscnt 0x0
	s_barrier_signal -1
	s_barrier_wait -1
	v_cmpx_gt_u32_e32 22, v0
	s_cbranch_execz .LBB126_103
; %bb.100:
	v_dual_mov_b32 v130, 0 :: v_dual_add_nc_u32 v9, -1, v0
	v_or_b32_e32 v11, 0x200, v128
	v_mov_b32_e32 v13, v128
	s_mov_b32 s1, 0
	s_delay_alu instid0(VALU_DEP_3)
	v_mov_b32_e32 v131, v130
.LBB126_101:                            ; =>This Inner Loop Header: Depth=1
	scratch_load_b64 v[132:133], v13, off
	ds_load_b64 v[134:135], v11
	s_wait_xcnt 0x0
	v_dual_add_nc_u32 v11, 8, v11 :: v_dual_add_nc_u32 v13, 8, v13
	s_wait_loadcnt_dscnt 0x0
	v_pk_mul_f32 v[136:137], v[134:135], v[132:133] op_sel:[1,1] op_sel_hi:[0,1]
	s_delay_alu instid0(VALU_DEP_1) | instskip(SKIP_2) | instid1(VALU_DEP_3)
	v_pk_fma_f32 v[138:139], v[134:135], v[132:133], v[136:137] op_sel_hi:[1,0,1]
	v_add_nc_u32_e32 v9, 1, v9
	v_pk_fma_f32 v[132:133], v[134:135], v[132:133], v[136:137] neg_lo:[0,0,1] neg_hi:[0,0,1]
	v_mov_b32_e32 v133, v139
	s_delay_alu instid0(VALU_DEP_3) | instskip(NEXT) | instid1(VALU_DEP_2)
	v_cmp_lt_u32_e32 vcc_lo, 20, v9
	v_pk_add_f32 v[130:131], v[130:131], v[132:133]
	s_or_b32 s1, vcc_lo, s1
	s_delay_alu instid0(SALU_CYCLE_1)
	s_and_not1_b32 exec_lo, exec_lo, s1
	s_cbranch_execnz .LBB126_101
; %bb.102:
	s_or_b32 exec_lo, exec_lo, s1
	v_mov_b32_e32 v9, 0
	ds_load_b64 v[132:133], v9 offset:176
	s_wait_dscnt 0x0
	v_pk_mul_f32 v[134:135], v[130:131], v[132:133] op_sel:[1,1] op_sel_hi:[0,1]
	s_delay_alu instid0(VALU_DEP_1) | instskip(SKIP_1) | instid1(VALU_DEP_2)
	v_pk_fma_f32 v[136:137], v[130:131], v[132:133], v[134:135] op_sel_hi:[1,0,1]
	v_pk_fma_f32 v[130:131], v[130:131], v[132:133], v[134:135] neg_lo:[0,0,1] neg_hi:[0,0,1]
	v_mov_b32_e32 v131, v137
	scratch_store_b64 off, v[130:131], off offset:176
.LBB126_103:
	s_wait_xcnt 0x0
	s_or_b32 exec_lo, exec_lo, s0
	s_wait_storecnt 0x0
	s_barrier_signal -1
	s_barrier_wait -1
	scratch_load_b64 v[130:131], off, off offset:184
	s_mov_b32 s0, exec_lo
	s_wait_loadcnt 0x0
	ds_store_b64 v1, v[130:131]
	s_wait_dscnt 0x0
	s_barrier_signal -1
	s_barrier_wait -1
	v_cmpx_gt_u32_e32 23, v0
	s_cbranch_execz .LBB126_107
; %bb.104:
	v_dual_mov_b32 v130, 0 :: v_dual_add_nc_u32 v9, -1, v0
	v_or_b32_e32 v11, 0x200, v128
	v_mov_b32_e32 v13, v128
	s_mov_b32 s1, 0
	s_delay_alu instid0(VALU_DEP_3)
	v_mov_b32_e32 v131, v130
.LBB126_105:                            ; =>This Inner Loop Header: Depth=1
	scratch_load_b64 v[132:133], v13, off
	ds_load_b64 v[134:135], v11
	s_wait_xcnt 0x0
	v_dual_add_nc_u32 v11, 8, v11 :: v_dual_add_nc_u32 v13, 8, v13
	s_wait_loadcnt_dscnt 0x0
	v_pk_mul_f32 v[136:137], v[134:135], v[132:133] op_sel:[1,1] op_sel_hi:[0,1]
	s_delay_alu instid0(VALU_DEP_1) | instskip(SKIP_2) | instid1(VALU_DEP_3)
	v_pk_fma_f32 v[138:139], v[134:135], v[132:133], v[136:137] op_sel_hi:[1,0,1]
	v_add_nc_u32_e32 v9, 1, v9
	v_pk_fma_f32 v[132:133], v[134:135], v[132:133], v[136:137] neg_lo:[0,0,1] neg_hi:[0,0,1]
	v_mov_b32_e32 v133, v139
	s_delay_alu instid0(VALU_DEP_3) | instskip(NEXT) | instid1(VALU_DEP_2)
	v_cmp_lt_u32_e32 vcc_lo, 21, v9
	v_pk_add_f32 v[130:131], v[130:131], v[132:133]
	s_or_b32 s1, vcc_lo, s1
	s_delay_alu instid0(SALU_CYCLE_1)
	s_and_not1_b32 exec_lo, exec_lo, s1
	s_cbranch_execnz .LBB126_105
; %bb.106:
	s_or_b32 exec_lo, exec_lo, s1
	v_mov_b32_e32 v9, 0
	ds_load_b64 v[132:133], v9 offset:184
	s_wait_dscnt 0x0
	v_pk_mul_f32 v[134:135], v[130:131], v[132:133] op_sel:[1,1] op_sel_hi:[0,1]
	s_delay_alu instid0(VALU_DEP_1) | instskip(SKIP_1) | instid1(VALU_DEP_2)
	v_pk_fma_f32 v[136:137], v[130:131], v[132:133], v[134:135] op_sel_hi:[1,0,1]
	v_pk_fma_f32 v[130:131], v[130:131], v[132:133], v[134:135] neg_lo:[0,0,1] neg_hi:[0,0,1]
	v_mov_b32_e32 v131, v137
	scratch_store_b64 off, v[130:131], off offset:184
.LBB126_107:
	s_wait_xcnt 0x0
	s_or_b32 exec_lo, exec_lo, s0
	s_wait_storecnt 0x0
	s_barrier_signal -1
	s_barrier_wait -1
	scratch_load_b64 v[130:131], off, off offset:192
	;; [unrolled: 52-line block ×40, first 2 shown]
	s_mov_b32 s0, exec_lo
	s_wait_loadcnt 0x0
	ds_store_b64 v1, v[130:131]
	s_wait_dscnt 0x0
	s_barrier_signal -1
	s_barrier_wait -1
	v_cmpx_ne_u32_e32 62, v0
	s_cbranch_execz .LBB126_263
; %bb.260:
	v_dual_mov_b32 v130, 0 :: v_dual_mov_b32 v9, v128
	s_mov_b32 s1, 0
	s_delay_alu instid0(VALU_DEP_1)
	v_mov_b32_e32 v131, v130
.LBB126_261:                            ; =>This Inner Loop Header: Depth=1
	scratch_load_b64 v[128:129], v9, off
	ds_load_b64 v[132:133], v1
	v_add_nc_u32_e32 v1, 8, v1
	s_wait_xcnt 0x0
	v_add_nc_u32_e32 v9, 8, v9
	s_wait_loadcnt_dscnt 0x0
	v_pk_mul_f32 v[134:135], v[132:133], v[128:129] op_sel:[1,1] op_sel_hi:[0,1]
	s_delay_alu instid0(VALU_DEP_1) | instskip(SKIP_2) | instid1(VALU_DEP_3)
	v_pk_fma_f32 v[136:137], v[132:133], v[128:129], v[134:135] op_sel_hi:[1,0,1]
	v_add_nc_u32_e32 v7, 1, v7
	v_pk_fma_f32 v[128:129], v[132:133], v[128:129], v[134:135] neg_lo:[0,0,1] neg_hi:[0,0,1]
	v_mov_b32_e32 v129, v137
	s_delay_alu instid0(VALU_DEP_3) | instskip(NEXT) | instid1(VALU_DEP_2)
	v_cmp_lt_u32_e32 vcc_lo, 60, v7
	v_pk_add_f32 v[130:131], v[130:131], v[128:129]
	s_or_b32 s1, vcc_lo, s1
	s_delay_alu instid0(SALU_CYCLE_1)
	s_and_not1_b32 exec_lo, exec_lo, s1
	s_cbranch_execnz .LBB126_261
; %bb.262:
	s_or_b32 exec_lo, exec_lo, s1
	v_mov_b32_e32 v1, 0
	ds_load_b64 v[128:129], v1 offset:496
	s_wait_dscnt 0x0
	v_pk_mul_f32 v[132:133], v[130:131], v[128:129] op_sel:[1,1] op_sel_hi:[0,1]
	s_delay_alu instid0(VALU_DEP_1) | instskip(SKIP_1) | instid1(VALU_DEP_2)
	v_pk_fma_f32 v[134:135], v[130:131], v[128:129], v[132:133] op_sel_hi:[1,0,1]
	v_pk_fma_f32 v[128:129], v[130:131], v[128:129], v[132:133] neg_lo:[0,0,1] neg_hi:[0,0,1]
	v_mov_b32_e32 v129, v135
	scratch_store_b64 off, v[128:129], off offset:496
.LBB126_263:
	s_wait_xcnt 0x0
	s_or_b32 exec_lo, exec_lo, s0
	s_mov_b32 s1, -1
	s_wait_storecnt 0x0
	s_barrier_signal -1
	s_barrier_wait -1
.LBB126_264:
	s_and_b32 vcc_lo, exec_lo, s1
	s_cbranch_vccz .LBB126_266
; %bb.265:
	v_mov_b32_e32 v1, 0
	s_lshl_b64 s[0:1], s[10:11], 2
	s_delay_alu instid0(SALU_CYCLE_1)
	s_add_nc_u64 s[0:1], s[6:7], s[0:1]
	global_load_b32 v1, v1, s[0:1]
	s_wait_loadcnt 0x0
	v_cmp_ne_u32_e32 vcc_lo, 0, v1
	s_cbranch_vccz .LBB126_267
.LBB126_266:
	s_sendmsg sendmsg(MSG_DEALLOC_VGPRS)
	s_endpgm
.LBB126_267:
	s_wait_xcnt 0x0
	v_lshl_or_b32 v1, v0, 3, 0x200
	s_mov_b32 s0, exec_lo
	v_cmpx_eq_u32_e32 62, v0
	s_cbranch_execz .LBB126_269
; %bb.268:
	scratch_load_b64 v[128:129], off, off offset:488
	v_mov_b64_e32 v[130:131], 0
	scratch_store_b64 off, v[130:131], off offset:488
	s_wait_loadcnt 0x0
	ds_store_b64 v1, v[128:129]
.LBB126_269:
	s_wait_xcnt 0x0
	s_or_b32 exec_lo, exec_lo, s0
	s_wait_storecnt_dscnt 0x0
	s_barrier_signal -1
	s_barrier_wait -1
	s_clause 0x1
	scratch_load_b64 v[128:129], off, off offset:496
	scratch_load_b64 v[130:131], off, off offset:488
	v_mov_b32_e32 v7, 0
	s_mov_b32 s0, exec_lo
	ds_load_b64 v[132:133], v7 offset:1008
	s_wait_loadcnt_dscnt 0x100
	v_pk_mul_f32 v[134:135], v[132:133], v[128:129] op_sel:[1,1] op_sel_hi:[0,1]
	s_delay_alu instid0(VALU_DEP_1) | instskip(SKIP_1) | instid1(VALU_DEP_2)
	v_pk_fma_f32 v[136:137], v[132:133], v[128:129], v[134:135] op_sel_hi:[1,0,1]
	v_pk_fma_f32 v[128:129], v[132:133], v[128:129], v[134:135] neg_lo:[0,0,1] neg_hi:[0,0,1]
	v_mov_b32_e32 v129, v137
	s_delay_alu instid0(VALU_DEP_1) | instskip(SKIP_1) | instid1(VALU_DEP_1)
	v_pk_add_f32 v[128:129], v[128:129], 0 op_sel_hi:[1,0]
	s_wait_loadcnt 0x0
	v_pk_add_f32 v[128:129], v[130:131], v[128:129] neg_lo:[0,1] neg_hi:[0,1]
	scratch_store_b64 off, v[128:129], off offset:488
	s_wait_xcnt 0x0
	v_cmpx_lt_u32_e32 60, v0
	s_cbranch_execz .LBB126_271
; %bb.270:
	scratch_load_b64 v[128:129], off, off offset:480
	v_mov_b64_e32 v[130:131], 0
	scratch_store_b64 off, v[130:131], off offset:480
	s_wait_loadcnt 0x0
	ds_store_b64 v1, v[128:129]
.LBB126_271:
	s_wait_xcnt 0x0
	s_or_b32 exec_lo, exec_lo, s0
	s_wait_storecnt_dscnt 0x0
	s_barrier_signal -1
	s_barrier_wait -1
	s_clause 0x1
	scratch_load_b128 v[128:131], off, off offset:488
	scratch_load_b64 v[136:137], off, off offset:480
	ds_load_2addr_b64 v[132:135], v7 offset0:125 offset1:126
	s_mov_b32 s0, exec_lo
	s_wait_dscnt 0x0
	v_dual_mov_b32 v138, v135 :: v_dual_mov_b32 v139, v134
	s_wait_loadcnt 0x1
	v_pk_mul_f32 v[140:141], v[132:133], v[128:129] op_sel:[1,1] op_sel_hi:[0,1]
	s_delay_alu instid0(VALU_DEP_1) | instskip(SKIP_2) | instid1(VALU_DEP_3)
	v_pk_fma_f32 v[144:145], v[132:133], v[128:129], v[140:141] op_sel_hi:[1,0,1]
	v_mov_b32_e32 v142, v131
	v_pk_fma_f32 v[128:129], v[132:133], v[128:129], v[140:141] neg_lo:[0,0,1] neg_hi:[0,0,1]
	v_mov_b32_e32 v129, v145
	s_delay_alu instid0(VALU_DEP_3) | instskip(NEXT) | instid1(VALU_DEP_2)
	v_pk_mul_f32 v[138:139], v[138:139], v[142:143] op_sel_hi:[1,0]
	v_pk_add_f32 v[128:129], v[128:129], 0 op_sel_hi:[1,0]
	s_delay_alu instid0(VALU_DEP_2) | instskip(SKIP_1) | instid1(VALU_DEP_2)
	v_pk_fma_f32 v[132:133], v[134:135], v[130:131], v[138:139] op_sel_hi:[1,0,1]
	v_pk_fma_f32 v[130:131], v[134:135], v[130:131], v[138:139] neg_lo:[0,0,1] neg_hi:[0,0,1]
	v_mov_b32_e32 v131, v133
	s_delay_alu instid0(VALU_DEP_1) | instskip(SKIP_1) | instid1(VALU_DEP_1)
	v_pk_add_f32 v[128:129], v[128:129], v[130:131]
	s_wait_loadcnt 0x0
	v_pk_add_f32 v[128:129], v[136:137], v[128:129] neg_lo:[0,1] neg_hi:[0,1]
	scratch_store_b64 off, v[128:129], off offset:480
	s_wait_xcnt 0x0
	v_cmpx_lt_u32_e32 59, v0
	s_cbranch_execz .LBB126_273
; %bb.272:
	scratch_load_b64 v[128:129], off, off offset:472
	v_mov_b64_e32 v[130:131], 0
	scratch_store_b64 off, v[130:131], off offset:472
	s_wait_loadcnt 0x0
	ds_store_b64 v1, v[128:129]
.LBB126_273:
	s_wait_xcnt 0x0
	s_or_b32 exec_lo, exec_lo, s0
	s_wait_storecnt_dscnt 0x0
	s_barrier_signal -1
	s_barrier_wait -1
	s_clause 0x2
	scratch_load_b128 v[128:131], off, off offset:480
	scratch_load_b64 v[136:137], off, off offset:496
	scratch_load_b64 v[138:139], off, off offset:472
	v_mov_b32_e32 v7, 0
	ds_load_b128 v[132:135], v7 offset:992
	ds_load_b64 v[140:141], v7 offset:1008
	s_mov_b32 s0, exec_lo
	s_wait_dscnt 0x1
	v_dual_mov_b32 v142, v135 :: v_dual_mov_b32 v143, v134
	s_wait_loadcnt 0x2
	v_mov_b32_e32 v146, v131
	v_pk_mul_f32 v[144:145], v[132:133], v[128:129] op_sel:[1,1] op_sel_hi:[0,1]
	s_delay_alu instid0(VALU_DEP_2) | instskip(NEXT) | instid1(VALU_DEP_2)
	v_pk_mul_f32 v[142:143], v[142:143], v[146:147] op_sel_hi:[1,0]
	v_pk_fma_f32 v[148:149], v[132:133], v[128:129], v[144:145] op_sel_hi:[1,0,1]
	v_pk_fma_f32 v[128:129], v[132:133], v[128:129], v[144:145] neg_lo:[0,0,1] neg_hi:[0,0,1]
	s_wait_loadcnt_dscnt 0x100
	v_pk_mul_f32 v[144:145], v[140:141], v[136:137] op_sel:[1,1] op_sel_hi:[0,1]
	v_pk_fma_f32 v[132:133], v[134:135], v[130:131], v[142:143] op_sel_hi:[1,0,1]
	v_mov_b32_e32 v129, v149
	v_pk_fma_f32 v[130:131], v[134:135], v[130:131], v[142:143] neg_lo:[0,0,1] neg_hi:[0,0,1]
	s_delay_alu instid0(VALU_DEP_4) | instskip(NEXT) | instid1(VALU_DEP_4)
	v_pk_fma_f32 v[134:135], v[140:141], v[136:137], v[144:145] neg_lo:[0,0,1] neg_hi:[0,0,1]
	v_mov_b32_e32 v131, v133
	s_delay_alu instid0(VALU_DEP_4) | instskip(SKIP_1) | instid1(VALU_DEP_2)
	v_pk_add_f32 v[128:129], v[128:129], 0 op_sel_hi:[1,0]
	v_pk_fma_f32 v[132:133], v[140:141], v[136:137], v[144:145] op_sel_hi:[1,0,1]
	v_pk_add_f32 v[128:129], v[128:129], v[130:131]
	s_delay_alu instid0(VALU_DEP_2) | instskip(NEXT) | instid1(VALU_DEP_1)
	v_mov_b32_e32 v135, v133
	v_pk_add_f32 v[128:129], v[128:129], v[134:135]
	s_wait_loadcnt 0x0
	s_delay_alu instid0(VALU_DEP_1)
	v_pk_add_f32 v[128:129], v[138:139], v[128:129] neg_lo:[0,1] neg_hi:[0,1]
	scratch_store_b64 off, v[128:129], off offset:472
	s_wait_xcnt 0x0
	v_cmpx_lt_u32_e32 58, v0
	s_cbranch_execz .LBB126_275
; %bb.274:
	scratch_load_b64 v[128:129], off, off offset:464
	v_mov_b64_e32 v[130:131], 0
	scratch_store_b64 off, v[130:131], off offset:464
	s_wait_loadcnt 0x0
	ds_store_b64 v1, v[128:129]
.LBB126_275:
	s_wait_xcnt 0x0
	s_or_b32 exec_lo, exec_lo, s0
	s_wait_storecnt_dscnt 0x0
	s_barrier_signal -1
	s_barrier_wait -1
	s_clause 0x2
	scratch_load_b128 v[128:131], off, off offset:472
	scratch_load_b128 v[132:135], off, off offset:488
	scratch_load_b64 v[144:145], off, off offset:464
	ds_load_2addr_b64 v[136:139], v7 offset0:123 offset1:124
	ds_load_2addr_b64 v[140:143], v7 offset0:125 offset1:126
	s_mov_b32 s0, exec_lo
	s_wait_dscnt 0x1
	v_dual_mov_b32 v146, v139 :: v_dual_mov_b32 v147, v138
	s_wait_loadcnt_dscnt 0x200
	v_dual_mov_b32 v152, v143 :: v_dual_mov_b32 v150, v131
	v_pk_mul_f32 v[148:149], v[136:137], v[128:129] op_sel:[1,1] op_sel_hi:[0,1]
	s_delay_alu instid0(VALU_DEP_2) | instskip(NEXT) | instid1(VALU_DEP_2)
	v_pk_mul_f32 v[146:147], v[146:147], v[150:151] op_sel_hi:[1,0]
	v_pk_fma_f32 v[154:155], v[136:137], v[128:129], v[148:149] op_sel_hi:[1,0,1]
	v_pk_fma_f32 v[128:129], v[136:137], v[128:129], v[148:149] neg_lo:[0,0,1] neg_hi:[0,0,1]
	v_mov_b32_e32 v153, v142
	s_wait_loadcnt 0x1
	v_pk_mul_f32 v[150:151], v[140:141], v[132:133] op_sel:[1,1] op_sel_hi:[0,1]
	v_pk_fma_f32 v[136:137], v[138:139], v[130:131], v[146:147] op_sel_hi:[1,0,1]
	v_dual_mov_b32 v129, v155 :: v_dual_mov_b32 v136, v135
	v_pk_fma_f32 v[130:131], v[138:139], v[130:131], v[146:147] neg_lo:[0,0,1] neg_hi:[0,0,1]
	s_delay_alu instid0(VALU_DEP_4) | instskip(NEXT) | instid1(VALU_DEP_4)
	v_pk_fma_f32 v[148:149], v[140:141], v[132:133], v[150:151] op_sel_hi:[1,0,1]
	v_mov_b32_e32 v131, v137
	s_delay_alu instid0(VALU_DEP_4) | instskip(SKIP_2) | instid1(VALU_DEP_3)
	v_pk_add_f32 v[128:129], v[128:129], 0 op_sel_hi:[1,0]
	v_pk_mul_f32 v[136:137], v[152:153], v[136:137] op_sel_hi:[1,0]
	v_pk_fma_f32 v[132:133], v[140:141], v[132:133], v[150:151] neg_lo:[0,0,1] neg_hi:[0,0,1]
	v_pk_add_f32 v[128:129], v[128:129], v[130:131]
	s_delay_alu instid0(VALU_DEP_3) | instskip(SKIP_2) | instid1(VALU_DEP_3)
	v_pk_fma_f32 v[130:131], v[142:143], v[134:135], v[136:137] op_sel_hi:[1,0,1]
	v_mov_b32_e32 v133, v149
	v_pk_fma_f32 v[134:135], v[142:143], v[134:135], v[136:137] neg_lo:[0,0,1] neg_hi:[0,0,1]
	v_mov_b32_e32 v135, v131
	s_delay_alu instid0(VALU_DEP_3) | instskip(NEXT) | instid1(VALU_DEP_1)
	v_pk_add_f32 v[128:129], v[128:129], v[132:133]
	v_pk_add_f32 v[128:129], v[128:129], v[134:135]
	s_wait_loadcnt 0x0
	s_delay_alu instid0(VALU_DEP_1)
	v_pk_add_f32 v[128:129], v[144:145], v[128:129] neg_lo:[0,1] neg_hi:[0,1]
	scratch_store_b64 off, v[128:129], off offset:464
	s_wait_xcnt 0x0
	v_cmpx_lt_u32_e32 57, v0
	s_cbranch_execz .LBB126_277
; %bb.276:
	scratch_load_b64 v[128:129], off, off offset:456
	v_mov_b64_e32 v[130:131], 0
	scratch_store_b64 off, v[130:131], off offset:456
	s_wait_loadcnt 0x0
	ds_store_b64 v1, v[128:129]
.LBB126_277:
	s_wait_xcnt 0x0
	s_or_b32 exec_lo, exec_lo, s0
	s_wait_storecnt_dscnt 0x0
	s_barrier_signal -1
	s_barrier_wait -1
	s_clause 0x3
	scratch_load_b128 v[128:131], off, off offset:464
	scratch_load_b128 v[132:135], off, off offset:480
	scratch_load_b64 v[144:145], off, off offset:496
	scratch_load_b64 v[146:147], off, off offset:456
	v_mov_b32_e32 v7, 0
	ds_load_b128 v[136:139], v7 offset:976
	ds_load_b128 v[140:143], v7 offset:992
	s_mov_b32 s0, exec_lo
	s_wait_dscnt 0x1
	v_dual_mov_b32 v148, v139 :: v_dual_mov_b32 v149, v138
	ds_load_b64 v[154:155], v7 offset:1008
	s_wait_dscnt 0x1
	v_dual_mov_b32 v156, v143 :: v_dual_mov_b32 v157, v142
	s_wait_loadcnt 0x3
	v_pk_mul_f32 v[150:151], v[136:137], v[128:129] op_sel:[1,1] op_sel_hi:[0,1]
	v_mov_b32_e32 v152, v131
	s_delay_alu instid0(VALU_DEP_2) | instskip(NEXT) | instid1(VALU_DEP_2)
	v_pk_fma_f32 v[158:159], v[136:137], v[128:129], v[150:151] op_sel_hi:[1,0,1]
	v_pk_mul_f32 v[148:149], v[148:149], v[152:153] op_sel_hi:[1,0]
	v_pk_fma_f32 v[128:129], v[136:137], v[128:129], v[150:151] neg_lo:[0,0,1] neg_hi:[0,0,1]
	s_wait_loadcnt 0x2
	v_pk_mul_f32 v[152:153], v[140:141], v[132:133] op_sel:[1,1] op_sel_hi:[0,1]
	v_dual_mov_b32 v158, v135 :: v_dual_mov_b32 v129, v159
	v_pk_fma_f32 v[136:137], v[138:139], v[130:131], v[148:149] op_sel_hi:[1,0,1]
	v_pk_fma_f32 v[130:131], v[138:139], v[130:131], v[148:149] neg_lo:[0,0,1] neg_hi:[0,0,1]
	s_delay_alu instid0(VALU_DEP_4) | instskip(NEXT) | instid1(VALU_DEP_4)
	v_pk_fma_f32 v[150:151], v[140:141], v[132:133], v[152:153] op_sel_hi:[1,0,1]
	v_pk_mul_f32 v[156:157], v[156:157], v[158:159] op_sel_hi:[1,0]
	v_pk_add_f32 v[128:129], v[128:129], 0 op_sel_hi:[1,0]
	v_mov_b32_e32 v131, v137
	v_pk_fma_f32 v[132:133], v[140:141], v[132:133], v[152:153] neg_lo:[0,0,1] neg_hi:[0,0,1]
	v_mov_b32_e32 v133, v151
	v_pk_fma_f32 v[136:137], v[142:143], v[134:135], v[156:157] op_sel_hi:[1,0,1]
	v_pk_fma_f32 v[134:135], v[142:143], v[134:135], v[156:157] neg_lo:[0,0,1] neg_hi:[0,0,1]
	v_pk_add_f32 v[128:129], v[128:129], v[130:131]
	s_wait_loadcnt_dscnt 0x100
	v_pk_mul_f32 v[130:131], v[154:155], v[144:145] op_sel:[1,1] op_sel_hi:[0,1]
	s_delay_alu instid0(VALU_DEP_2) | instskip(NEXT) | instid1(VALU_DEP_2)
	v_pk_add_f32 v[128:129], v[128:129], v[132:133]
	v_pk_fma_f32 v[132:133], v[154:155], v[144:145], v[130:131] op_sel_hi:[1,0,1]
	v_mov_b32_e32 v135, v137
	v_pk_fma_f32 v[130:131], v[154:155], v[144:145], v[130:131] neg_lo:[0,0,1] neg_hi:[0,0,1]
	s_delay_alu instid0(VALU_DEP_3) | instskip(NEXT) | instid1(VALU_DEP_3)
	v_mov_b32_e32 v131, v133
	v_pk_add_f32 v[128:129], v[128:129], v[134:135]
	s_delay_alu instid0(VALU_DEP_1) | instskip(SKIP_1) | instid1(VALU_DEP_1)
	v_pk_add_f32 v[128:129], v[128:129], v[130:131]
	s_wait_loadcnt 0x0
	v_pk_add_f32 v[128:129], v[146:147], v[128:129] neg_lo:[0,1] neg_hi:[0,1]
	scratch_store_b64 off, v[128:129], off offset:456
	s_wait_xcnt 0x0
	v_cmpx_lt_u32_e32 56, v0
	s_cbranch_execz .LBB126_279
; %bb.278:
	scratch_load_b64 v[128:129], off, off offset:448
	v_mov_b64_e32 v[130:131], 0
	scratch_store_b64 off, v[130:131], off offset:448
	s_wait_loadcnt 0x0
	ds_store_b64 v1, v[128:129]
.LBB126_279:
	s_wait_xcnt 0x0
	s_or_b32 exec_lo, exec_lo, s0
	s_wait_storecnt_dscnt 0x0
	s_barrier_signal -1
	s_barrier_wait -1
	s_clause 0x3
	scratch_load_b128 v[128:131], off, off offset:456
	scratch_load_b128 v[132:135], off, off offset:472
	;; [unrolled: 1-line block ×3, first 2 shown]
	scratch_load_b64 v[152:153], off, off offset:448
	ds_load_2addr_b64 v[140:143], v7 offset0:121 offset1:122
	ds_load_2addr_b64 v[144:147], v7 offset0:123 offset1:124
	;; [unrolled: 1-line block ×3, first 2 shown]
	s_mov_b32 s0, exec_lo
	s_wait_dscnt 0x2
	v_dual_mov_b32 v154, v143 :: v_dual_mov_b32 v155, v142
	s_wait_dscnt 0x1
	v_dual_mov_b32 v156, v147 :: v_dual_mov_b32 v157, v146
	;; [unrolled: 2-line block ×3, first 2 shown]
	s_wait_loadcnt 0x3
	v_pk_mul_f32 v[158:159], v[140:141], v[128:129] op_sel:[1,1] op_sel_hi:[0,1]
	v_mov_b32_e32 v160, v131
	s_delay_alu instid0(VALU_DEP_2) | instskip(NEXT) | instid1(VALU_DEP_2)
	v_pk_fma_f32 v[164:165], v[140:141], v[128:129], v[158:159] op_sel_hi:[1,0,1]
	v_pk_mul_f32 v[154:155], v[154:155], v[160:161] op_sel_hi:[1,0]
	v_pk_fma_f32 v[128:129], v[140:141], v[128:129], v[158:159] neg_lo:[0,0,1] neg_hi:[0,0,1]
	s_wait_loadcnt 0x2
	v_pk_mul_f32 v[160:161], v[144:145], v[132:133] op_sel:[1,1] op_sel_hi:[0,1]
	v_mov_b32_e32 v164, v135
	v_pk_fma_f32 v[140:141], v[142:143], v[130:131], v[154:155] op_sel_hi:[1,0,1]
	v_mov_b32_e32 v129, v165
	v_pk_fma_f32 v[130:131], v[142:143], v[130:131], v[154:155] neg_lo:[0,0,1] neg_hi:[0,0,1]
	v_pk_fma_f32 v[158:159], v[144:145], v[132:133], v[160:161] op_sel_hi:[1,0,1]
	v_pk_mul_f32 v[156:157], v[156:157], v[164:165] op_sel_hi:[1,0]
	v_mov_b32_e32 v131, v141
	v_pk_add_f32 v[128:129], v[128:129], 0 op_sel_hi:[1,0]
	v_pk_fma_f32 v[132:133], v[144:145], v[132:133], v[160:161] neg_lo:[0,0,1] neg_hi:[0,0,1]
	s_wait_loadcnt 0x1
	v_pk_mul_f32 v[140:141], v[148:149], v[136:137] op_sel:[1,1] op_sel_hi:[0,1]
	v_mov_b32_e32 v133, v159
	v_pk_fma_f32 v[142:143], v[146:147], v[134:135], v[156:157] op_sel_hi:[1,0,1]
	v_pk_add_f32 v[128:129], v[128:129], v[130:131]
	v_mov_b32_e32 v130, v139
	v_pk_fma_f32 v[134:135], v[146:147], v[134:135], v[156:157] neg_lo:[0,0,1] neg_hi:[0,0,1]
	v_pk_fma_f32 v[144:145], v[148:149], v[136:137], v[140:141] op_sel_hi:[1,0,1]
	v_mov_b32_e32 v135, v143
	v_pk_add_f32 v[128:129], v[128:129], v[132:133]
	v_pk_mul_f32 v[130:131], v[162:163], v[130:131] op_sel_hi:[1,0]
	v_pk_fma_f32 v[132:133], v[148:149], v[136:137], v[140:141] neg_lo:[0,0,1] neg_hi:[0,0,1]
	v_mov_b32_e32 v133, v145
	s_delay_alu instid0(VALU_DEP_4) | instskip(NEXT) | instid1(VALU_DEP_4)
	v_pk_add_f32 v[128:129], v[128:129], v[134:135]
	v_pk_fma_f32 v[134:135], v[150:151], v[138:139], v[130:131] op_sel_hi:[1,0,1]
	v_pk_fma_f32 v[130:131], v[150:151], v[138:139], v[130:131] neg_lo:[0,0,1] neg_hi:[0,0,1]
	s_delay_alu instid0(VALU_DEP_3) | instskip(NEXT) | instid1(VALU_DEP_3)
	v_pk_add_f32 v[128:129], v[128:129], v[132:133]
	v_mov_b32_e32 v131, v135
	s_delay_alu instid0(VALU_DEP_1) | instskip(SKIP_1) | instid1(VALU_DEP_1)
	v_pk_add_f32 v[128:129], v[128:129], v[130:131]
	s_wait_loadcnt 0x0
	v_pk_add_f32 v[128:129], v[152:153], v[128:129] neg_lo:[0,1] neg_hi:[0,1]
	scratch_store_b64 off, v[128:129], off offset:448
	s_wait_xcnt 0x0
	v_cmpx_lt_u32_e32 55, v0
	s_cbranch_execz .LBB126_281
; %bb.280:
	scratch_load_b64 v[128:129], off, off offset:440
	v_mov_b64_e32 v[130:131], 0
	scratch_store_b64 off, v[130:131], off offset:440
	s_wait_loadcnt 0x0
	ds_store_b64 v1, v[128:129]
.LBB126_281:
	s_wait_xcnt 0x0
	s_or_b32 exec_lo, exec_lo, s0
	s_wait_storecnt_dscnt 0x0
	s_barrier_signal -1
	s_barrier_wait -1
	s_clause 0x4
	scratch_load_b128 v[128:131], off, off offset:448
	scratch_load_b128 v[132:135], off, off offset:464
	;; [unrolled: 1-line block ×3, first 2 shown]
	scratch_load_b64 v[152:153], off, off offset:496
	scratch_load_b64 v[154:155], off, off offset:440
	v_mov_b32_e32 v7, 0
	ds_load_b128 v[140:143], v7 offset:960
	ds_load_b128 v[144:147], v7 offset:976
	;; [unrolled: 1-line block ×3, first 2 shown]
	ds_load_b64 v[156:157], v7 offset:1008
	s_mov_b32 s0, exec_lo
	s_wait_dscnt 0x3
	v_dual_mov_b32 v158, v143 :: v_dual_mov_b32 v159, v142
	s_wait_dscnt 0x2
	v_dual_mov_b32 v160, v147 :: v_dual_mov_b32 v161, v146
	;; [unrolled: 2-line block ×3, first 2 shown]
	s_wait_loadcnt 0x4
	v_pk_mul_f32 v[162:163], v[140:141], v[128:129] op_sel:[1,1] op_sel_hi:[0,1]
	v_mov_b32_e32 v164, v131
	s_wait_loadcnt 0x3
	v_pk_mul_f32 v[168:169], v[144:145], v[132:133] op_sel:[1,1] op_sel_hi:[0,1]
	s_wait_loadcnt 0x2
	v_pk_mul_f32 v[172:173], v[148:149], v[136:137] op_sel:[1,1] op_sel_hi:[0,1]
	v_pk_fma_f32 v[170:171], v[140:141], v[128:129], v[162:163] op_sel_hi:[1,0,1]
	v_pk_mul_f32 v[158:159], v[158:159], v[164:165] op_sel_hi:[1,0]
	v_pk_fma_f32 v[128:129], v[140:141], v[128:129], v[162:163] neg_lo:[0,0,1] neg_hi:[0,0,1]
	v_mov_b32_e32 v164, v135
	v_pk_fma_f32 v[162:163], v[144:145], v[132:133], v[168:169] op_sel_hi:[1,0,1]
	v_mov_b32_e32 v129, v171
	v_pk_fma_f32 v[140:141], v[142:143], v[130:131], v[158:159] op_sel_hi:[1,0,1]
	v_pk_fma_f32 v[130:131], v[142:143], v[130:131], v[158:159] neg_lo:[0,0,1] neg_hi:[0,0,1]
	v_pk_mul_f32 v[160:161], v[160:161], v[164:165] op_sel_hi:[1,0]
	v_pk_fma_f32 v[132:133], v[144:145], v[132:133], v[168:169] neg_lo:[0,0,1] neg_hi:[0,0,1]
	v_pk_add_f32 v[128:129], v[128:129], 0 op_sel_hi:[1,0]
	v_dual_mov_b32 v131, v141 :: v_dual_mov_b32 v140, v139
	s_delay_alu instid0(VALU_DEP_4) | instskip(SKIP_2) | instid1(VALU_DEP_4)
	v_pk_fma_f32 v[142:143], v[146:147], v[134:135], v[160:161] op_sel_hi:[1,0,1]
	v_mov_b32_e32 v133, v163
	v_pk_fma_f32 v[134:135], v[146:147], v[134:135], v[160:161] neg_lo:[0,0,1] neg_hi:[0,0,1]
	v_pk_add_f32 v[128:129], v[128:129], v[130:131]
	v_pk_fma_f32 v[130:131], v[148:149], v[136:137], v[172:173] op_sel_hi:[1,0,1]
	v_pk_mul_f32 v[140:141], v[166:167], v[140:141] op_sel_hi:[1,0]
	v_mov_b32_e32 v135, v143
	s_delay_alu instid0(VALU_DEP_4)
	v_pk_add_f32 v[128:129], v[128:129], v[132:133]
	v_pk_fma_f32 v[132:133], v[148:149], v[136:137], v[172:173] neg_lo:[0,0,1] neg_hi:[0,0,1]
	v_mov_b32_e32 v133, v131
	v_pk_fma_f32 v[130:131], v[150:151], v[138:139], v[140:141] op_sel_hi:[1,0,1]
	v_pk_fma_f32 v[136:137], v[150:151], v[138:139], v[140:141] neg_lo:[0,0,1] neg_hi:[0,0,1]
	v_pk_add_f32 v[128:129], v[128:129], v[134:135]
	s_wait_loadcnt_dscnt 0x100
	v_pk_mul_f32 v[134:135], v[156:157], v[152:153] op_sel:[1,1] op_sel_hi:[0,1]
	v_mov_b32_e32 v137, v131
	s_delay_alu instid0(VALU_DEP_3) | instskip(NEXT) | instid1(VALU_DEP_3)
	v_pk_add_f32 v[128:129], v[128:129], v[132:133]
	v_pk_fma_f32 v[130:131], v[156:157], v[152:153], v[134:135] op_sel_hi:[1,0,1]
	v_pk_fma_f32 v[132:133], v[156:157], v[152:153], v[134:135] neg_lo:[0,0,1] neg_hi:[0,0,1]
	s_delay_alu instid0(VALU_DEP_3) | instskip(NEXT) | instid1(VALU_DEP_3)
	v_pk_add_f32 v[128:129], v[128:129], v[136:137]
	v_mov_b32_e32 v133, v131
	s_delay_alu instid0(VALU_DEP_1) | instskip(SKIP_1) | instid1(VALU_DEP_1)
	v_pk_add_f32 v[128:129], v[128:129], v[132:133]
	s_wait_loadcnt 0x0
	v_pk_add_f32 v[128:129], v[154:155], v[128:129] neg_lo:[0,1] neg_hi:[0,1]
	scratch_store_b64 off, v[128:129], off offset:440
	s_wait_xcnt 0x0
	v_cmpx_lt_u32_e32 54, v0
	s_cbranch_execz .LBB126_283
; %bb.282:
	scratch_load_b64 v[128:129], off, off offset:432
	v_mov_b64_e32 v[130:131], 0
	scratch_store_b64 off, v[130:131], off offset:432
	s_wait_loadcnt 0x0
	ds_store_b64 v1, v[128:129]
.LBB126_283:
	s_wait_xcnt 0x0
	s_or_b32 exec_lo, exec_lo, s0
	s_wait_storecnt_dscnt 0x0
	s_barrier_signal -1
	s_barrier_wait -1
	s_clause 0x4
	scratch_load_b128 v[128:131], off, off offset:440
	scratch_load_b128 v[132:135], off, off offset:456
	scratch_load_b128 v[136:139], off, off offset:472
	scratch_load_b128 v[140:143], off, off offset:488
	scratch_load_b64 v[160:161], off, off offset:432
	ds_load_2addr_b64 v[144:147], v7 offset0:119 offset1:120
	ds_load_2addr_b64 v[148:151], v7 offset0:121 offset1:122
	;; [unrolled: 1-line block ×4, first 2 shown]
	s_mov_b32 s0, exec_lo
	s_wait_dscnt 0x3
	v_dual_mov_b32 v162, v147 :: v_dual_mov_b32 v163, v146
	s_wait_dscnt 0x2
	v_dual_mov_b32 v164, v151 :: v_dual_mov_b32 v165, v150
	;; [unrolled: 2-line block ×3, first 2 shown]
	v_dual_mov_b32 v167, v154 :: v_dual_mov_b32 v172, v159
	s_wait_loadcnt 0x4
	v_mov_b32_e32 v170, v131
	v_pk_mul_f32 v[168:169], v[144:145], v[128:129] op_sel:[1,1] op_sel_hi:[0,1]
	s_wait_loadcnt 0x3
	v_pk_mul_f32 v[174:175], v[148:149], v[132:133] op_sel:[1,1] op_sel_hi:[0,1]
	s_wait_loadcnt 0x2
	v_pk_mul_f32 v[178:179], v[152:153], v[136:137] op_sel:[1,1] op_sel_hi:[0,1]
	v_pk_mul_f32 v[162:163], v[162:163], v[170:171] op_sel_hi:[1,0]
	v_pk_fma_f32 v[176:177], v[144:145], v[128:129], v[168:169] op_sel_hi:[1,0,1]
	v_pk_fma_f32 v[128:129], v[144:145], v[128:129], v[168:169] neg_lo:[0,0,1] neg_hi:[0,0,1]
	v_mov_b32_e32 v170, v135
	v_pk_fma_f32 v[168:169], v[148:149], v[132:133], v[174:175] op_sel_hi:[1,0,1]
	v_pk_fma_f32 v[144:145], v[146:147], v[130:131], v[162:163] op_sel_hi:[1,0,1]
	v_mov_b32_e32 v129, v177
	v_pk_fma_f32 v[130:131], v[146:147], v[130:131], v[162:163] neg_lo:[0,0,1] neg_hi:[0,0,1]
	v_pk_mul_f32 v[164:165], v[164:165], v[170:171] op_sel_hi:[1,0]
	s_delay_alu instid0(VALU_DEP_4) | instskip(NEXT) | instid1(VALU_DEP_4)
	v_dual_mov_b32 v144, v139 :: v_dual_mov_b32 v131, v145
	v_pk_add_f32 v[128:129], v[128:129], 0 op_sel_hi:[1,0]
	v_pk_fma_f32 v[132:133], v[148:149], v[132:133], v[174:175] neg_lo:[0,0,1] neg_hi:[0,0,1]
	v_mov_b32_e32 v133, v169
	v_pk_fma_f32 v[146:147], v[150:151], v[134:135], v[164:165] op_sel_hi:[1,0,1]
	v_pk_mul_f32 v[144:145], v[166:167], v[144:145] op_sel_hi:[1,0]
	v_pk_add_f32 v[128:129], v[128:129], v[130:131]
	v_pk_fma_f32 v[130:131], v[152:153], v[136:137], v[178:179] op_sel_hi:[1,0,1]
	v_pk_fma_f32 v[134:135], v[150:151], v[134:135], v[164:165] neg_lo:[0,0,1] neg_hi:[0,0,1]
	v_mov_b32_e32 v135, v147
	v_pk_fma_f32 v[136:137], v[152:153], v[136:137], v[178:179] neg_lo:[0,0,1] neg_hi:[0,0,1]
	v_pk_add_f32 v[128:129], v[128:129], v[132:133]
	v_mov_b32_e32 v137, v131
	v_pk_fma_f32 v[130:131], v[154:155], v[138:139], v[144:145] op_sel_hi:[1,0,1]
	s_wait_loadcnt 0x1
	v_pk_mul_f32 v[132:133], v[156:157], v[140:141] op_sel:[1,1] op_sel_hi:[0,1]
	v_mov_b32_e32 v130, v143
	v_pk_add_f32 v[128:129], v[128:129], v[134:135]
	v_pk_fma_f32 v[138:139], v[154:155], v[138:139], v[144:145] neg_lo:[0,0,1] neg_hi:[0,0,1]
	v_mov_b32_e32 v139, v131
	v_pk_fma_f32 v[134:135], v[156:157], v[140:141], v[132:133] op_sel_hi:[1,0,1]
	v_pk_mul_f32 v[130:131], v[172:173], v[130:131] op_sel_hi:[1,0]
	v_pk_add_f32 v[128:129], v[128:129], v[136:137]
	v_pk_fma_f32 v[132:133], v[156:157], v[140:141], v[132:133] neg_lo:[0,0,1] neg_hi:[0,0,1]
	s_delay_alu instid0(VALU_DEP_4) | instskip(NEXT) | instid1(VALU_DEP_4)
	v_mov_b32_e32 v133, v135
	v_pk_fma_f32 v[134:135], v[158:159], v[142:143], v[130:131] op_sel_hi:[1,0,1]
	s_delay_alu instid0(VALU_DEP_4) | instskip(SKIP_1) | instid1(VALU_DEP_3)
	v_pk_add_f32 v[128:129], v[128:129], v[138:139]
	v_pk_fma_f32 v[130:131], v[158:159], v[142:143], v[130:131] neg_lo:[0,0,1] neg_hi:[0,0,1]
	v_mov_b32_e32 v131, v135
	s_delay_alu instid0(VALU_DEP_3) | instskip(NEXT) | instid1(VALU_DEP_1)
	v_pk_add_f32 v[128:129], v[128:129], v[132:133]
	v_pk_add_f32 v[128:129], v[128:129], v[130:131]
	s_wait_loadcnt 0x0
	s_delay_alu instid0(VALU_DEP_1)
	v_pk_add_f32 v[128:129], v[160:161], v[128:129] neg_lo:[0,1] neg_hi:[0,1]
	scratch_store_b64 off, v[128:129], off offset:432
	s_wait_xcnt 0x0
	v_cmpx_lt_u32_e32 53, v0
	s_cbranch_execz .LBB126_285
; %bb.284:
	scratch_load_b64 v[128:129], off, off offset:424
	v_mov_b64_e32 v[130:131], 0
	scratch_store_b64 off, v[130:131], off offset:424
	s_wait_loadcnt 0x0
	ds_store_b64 v1, v[128:129]
.LBB126_285:
	s_wait_xcnt 0x0
	s_or_b32 exec_lo, exec_lo, s0
	s_wait_storecnt_dscnt 0x0
	s_barrier_signal -1
	s_barrier_wait -1
	s_clause 0x5
	scratch_load_b128 v[128:131], off, off offset:432
	scratch_load_b128 v[132:135], off, off offset:448
	;; [unrolled: 1-line block ×4, first 2 shown]
	scratch_load_b64 v[160:161], off, off offset:496
	scratch_load_b64 v[162:163], off, off offset:424
	v_mov_b32_e32 v7, 0
	ds_load_b128 v[144:147], v7 offset:944
	ds_load_b128 v[148:151], v7 offset:960
	;; [unrolled: 1-line block ×4, first 2 shown]
	ds_load_b64 v[164:165], v7 offset:1008
	s_mov_b32 s0, exec_lo
	s_wait_dscnt 0x4
	v_dual_mov_b32 v166, v147 :: v_dual_mov_b32 v167, v146
	s_wait_dscnt 0x1
	v_dual_mov_b32 v168, v151 :: v_dual_mov_b32 v173, v158
	v_dual_mov_b32 v169, v150 :: v_dual_mov_b32 v170, v155
	;; [unrolled: 1-line block ×3, first 2 shown]
	s_wait_loadcnt 0x5
	v_dual_mov_b32 v174, v131 :: v_dual_mul_f32 v175, v144, v129
	v_mul_f32_e32 v9, v145, v129
	s_wait_loadcnt 0x4
	v_pk_mul_f32 v[176:177], v[148:149], v[132:133] op_sel:[1,1] op_sel_hi:[0,1]
	v_mov_b32_e32 v178, v135
	s_wait_loadcnt 0x3
	v_pk_mul_f32 v[180:181], v[152:153], v[136:137] op_sel:[1,1] op_sel_hi:[0,1]
	v_pk_mul_f32 v[166:167], v[166:167], v[174:175] op_sel_hi:[1,0]
	v_dual_fmac_f32 v175, v145, v128 :: v_dual_fma_f32 v174, v144, v128, -v9
	v_mov_b32_e32 v128, v139
	v_pk_fma_f32 v[182:183], v[148:149], v[132:133], v[176:177] op_sel_hi:[1,0,1]
	s_delay_alu instid0(VALU_DEP_4)
	v_pk_fma_f32 v[144:145], v[146:147], v[130:131], v[166:167] op_sel_hi:[1,0,1]
	v_pk_fma_f32 v[130:131], v[146:147], v[130:131], v[166:167] neg_lo:[0,0,1] neg_hi:[0,0,1]
	v_pk_mul_f32 v[168:169], v[168:169], v[178:179] op_sel_hi:[1,0]
	v_pk_add_f32 v[174:175], v[174:175], 0 op_sel_hi:[1,0]
	v_pk_fma_f32 v[132:133], v[148:149], v[132:133], v[176:177] neg_lo:[0,0,1] neg_hi:[0,0,1]
	v_dual_mov_b32 v131, v145 :: v_dual_mov_b32 v133, v183
	s_delay_alu instid0(VALU_DEP_4) | instskip(SKIP_2) | instid1(VALU_DEP_4)
	v_pk_fma_f32 v[146:147], v[150:151], v[134:135], v[168:169] op_sel_hi:[1,0,1]
	v_pk_fma_f32 v[134:135], v[150:151], v[134:135], v[168:169] neg_lo:[0,0,1] neg_hi:[0,0,1]
	v_pk_fma_f32 v[148:149], v[152:153], v[136:137], v[180:181] op_sel_hi:[1,0,1]
	v_pk_add_f32 v[130:131], v[174:175], v[130:131]
	v_pk_mul_f32 v[128:129], v[170:171], v[128:129] op_sel_hi:[1,0]
	v_mov_b32_e32 v135, v147
	v_pk_fma_f32 v[136:137], v[152:153], v[136:137], v[180:181] neg_lo:[0,0,1] neg_hi:[0,0,1]
	s_wait_loadcnt 0x2
	v_pk_mul_f32 v[144:145], v[156:157], v[140:141] op_sel:[1,1] op_sel_hi:[0,1]
	v_pk_add_f32 v[130:131], v[130:131], v[132:133]
	v_mov_b32_e32 v132, v143
	v_pk_fma_f32 v[146:147], v[154:155], v[138:139], v[128:129] op_sel_hi:[1,0,1]
	v_mov_b32_e32 v137, v149
	v_pk_fma_f32 v[128:129], v[154:155], v[138:139], v[128:129] neg_lo:[0,0,1] neg_hi:[0,0,1]
	v_pk_add_f32 v[130:131], v[130:131], v[134:135]
	v_pk_fma_f32 v[134:135], v[156:157], v[140:141], v[144:145] op_sel_hi:[1,0,1]
	v_pk_mul_f32 v[132:133], v[172:173], v[132:133] op_sel_hi:[1,0]
	v_mov_b32_e32 v129, v147
	s_delay_alu instid0(VALU_DEP_4)
	v_pk_add_f32 v[130:131], v[130:131], v[136:137]
	v_pk_fma_f32 v[136:137], v[156:157], v[140:141], v[144:145] neg_lo:[0,0,1] neg_hi:[0,0,1]
	v_mov_b32_e32 v137, v135
	v_pk_fma_f32 v[134:135], v[158:159], v[142:143], v[132:133] op_sel_hi:[1,0,1]
	v_pk_fma_f32 v[132:133], v[158:159], v[142:143], v[132:133] neg_lo:[0,0,1] neg_hi:[0,0,1]
	v_pk_add_f32 v[128:129], v[130:131], v[128:129]
	s_wait_loadcnt_dscnt 0x100
	v_pk_mul_f32 v[130:131], v[164:165], v[160:161] op_sel:[1,1] op_sel_hi:[0,1]
	v_mov_b32_e32 v133, v135
	s_delay_alu instid0(VALU_DEP_3) | instskip(NEXT) | instid1(VALU_DEP_3)
	v_pk_add_f32 v[128:129], v[128:129], v[136:137]
	v_pk_fma_f32 v[134:135], v[164:165], v[160:161], v[130:131] op_sel_hi:[1,0,1]
	v_pk_fma_f32 v[130:131], v[164:165], v[160:161], v[130:131] neg_lo:[0,0,1] neg_hi:[0,0,1]
	s_delay_alu instid0(VALU_DEP_3) | instskip(NEXT) | instid1(VALU_DEP_3)
	v_pk_add_f32 v[128:129], v[128:129], v[132:133]
	v_mov_b32_e32 v131, v135
	s_delay_alu instid0(VALU_DEP_1) | instskip(SKIP_1) | instid1(VALU_DEP_1)
	v_pk_add_f32 v[128:129], v[128:129], v[130:131]
	s_wait_loadcnt 0x0
	v_pk_add_f32 v[128:129], v[162:163], v[128:129] neg_lo:[0,1] neg_hi:[0,1]
	scratch_store_b64 off, v[128:129], off offset:424
	s_wait_xcnt 0x0
	v_cmpx_lt_u32_e32 52, v0
	s_cbranch_execz .LBB126_287
; %bb.286:
	scratch_load_b64 v[128:129], off, off offset:416
	v_mov_b64_e32 v[130:131], 0
	scratch_store_b64 off, v[130:131], off offset:416
	s_wait_loadcnt 0x0
	ds_store_b64 v1, v[128:129]
.LBB126_287:
	s_wait_xcnt 0x0
	s_or_b32 exec_lo, exec_lo, s0
	s_wait_storecnt_dscnt 0x0
	s_barrier_signal -1
	s_barrier_wait -1
	s_clause 0x5
	scratch_load_b128 v[128:131], off, off offset:424
	scratch_load_b128 v[132:135], off, off offset:440
	;; [unrolled: 1-line block ×5, first 2 shown]
	scratch_load_b64 v[168:169], off, off offset:416
	ds_load_2addr_b64 v[148:151], v7 offset0:119 offset1:120
	ds_load_2addr_b64 v[152:155], v7 offset0:121 offset1:122
	;; [unrolled: 1-line block ×5, first 2 shown]
	s_mov_b32 s0, exec_lo
	s_wait_dscnt 0x4
	v_dual_mov_b32 v170, v151 :: v_dual_mov_b32 v171, v150
	s_wait_dscnt 0x3
	v_dual_mov_b32 v172, v155 :: v_dual_mov_b32 v173, v154
	;; [unrolled: 2-line block ×4, first 2 shown]
	s_wait_loadcnt_dscnt 0x500
	v_dual_mul_f32 v179, v164, v129 :: v_dual_mul_f32 v181, v166, v131
	v_dual_mul_f32 v7, v165, v129 :: v_dual_mul_f32 v9, v167, v131
	s_wait_loadcnt 0x4
	v_pk_mul_f32 v[182:183], v[148:149], v[132:133] op_sel:[1,1] op_sel_hi:[0,1]
	s_wait_loadcnt 0x3
	v_dual_mov_b32 v184, v135 :: v_dual_mov_b32 v188, v139
	v_dual_fmac_f32 v179, v165, v128 :: v_dual_fmac_f32 v181, v167, v130
	v_dual_fma_f32 v178, v164, v128, -v7 :: v_dual_fma_f32 v180, v166, v130, -v9
	v_pk_fma_f32 v[128:129], v[148:149], v[132:133], v[182:183] op_sel_hi:[1,0,1]
	s_delay_alu instid0(VALU_DEP_4) | instskip(SKIP_1) | instid1(VALU_DEP_4)
	v_pk_mul_f32 v[130:131], v[170:171], v[184:185] op_sel_hi:[1,0]
	v_pk_fma_f32 v[132:133], v[148:149], v[132:133], v[182:183] neg_lo:[0,0,1] neg_hi:[0,0,1]
	v_pk_add_f32 v[164:165], v[178:179], 0 op_sel_hi:[1,0]
	v_pk_mul_f32 v[186:187], v[152:153], v[136:137] op_sel:[1,1] op_sel_hi:[0,1]
	v_mov_b32_e32 v133, v129
	v_pk_fma_f32 v[128:129], v[150:151], v[134:135], v[130:131] op_sel_hi:[1,0,1]
	v_pk_fma_f32 v[130:131], v[150:151], v[134:135], v[130:131] neg_lo:[0,0,1] neg_hi:[0,0,1]
	v_pk_add_f32 v[148:149], v[164:165], v[180:181]
	v_pk_fma_f32 v[164:165], v[152:153], v[136:137], v[186:187] op_sel_hi:[1,0,1]
	v_pk_mul_f32 v[170:171], v[172:173], v[188:189] op_sel_hi:[1,0]
	v_mov_b32_e32 v131, v129
	s_wait_loadcnt 0x2
	v_pk_mul_f32 v[166:167], v[156:157], v[140:141] op_sel:[1,1] op_sel_hi:[0,1]
	v_pk_add_f32 v[128:129], v[148:149], v[132:133]
	v_mov_b32_e32 v132, v143
	v_pk_fma_f32 v[134:135], v[152:153], v[136:137], v[186:187] neg_lo:[0,0,1] neg_hi:[0,0,1]
	v_mov_b32_e32 v135, v165
	v_pk_fma_f32 v[136:137], v[154:155], v[138:139], v[170:171] op_sel_hi:[1,0,1]
	v_pk_add_f32 v[128:129], v[128:129], v[130:131]
	v_pk_fma_f32 v[130:131], v[156:157], v[140:141], v[166:167] op_sel_hi:[1,0,1]
	v_pk_mul_f32 v[132:133], v[174:175], v[132:133] op_sel_hi:[1,0]
	v_pk_fma_f32 v[138:139], v[154:155], v[138:139], v[170:171] neg_lo:[0,0,1] neg_hi:[0,0,1]
	v_mov_b32_e32 v139, v137
	v_pk_add_f32 v[128:129], v[128:129], v[134:135]
	v_pk_fma_f32 v[136:137], v[156:157], v[140:141], v[166:167] neg_lo:[0,0,1] neg_hi:[0,0,1]
	v_mov_b32_e32 v137, v131
	v_pk_fma_f32 v[130:131], v[158:159], v[142:143], v[132:133] op_sel_hi:[1,0,1]
	s_wait_loadcnt 0x1
	v_pk_mul_f32 v[134:135], v[160:161], v[144:145] op_sel:[1,1] op_sel_hi:[0,1]
	v_pk_add_f32 v[128:129], v[128:129], v[138:139]
	v_mov_b32_e32 v130, v147
	v_pk_fma_f32 v[132:133], v[158:159], v[142:143], v[132:133] neg_lo:[0,0,1] neg_hi:[0,0,1]
	v_mov_b32_e32 v133, v131
	v_pk_fma_f32 v[138:139], v[160:161], v[144:145], v[134:135] op_sel_hi:[1,0,1]
	v_pk_add_f32 v[128:129], v[128:129], v[136:137]
	v_pk_mul_f32 v[130:131], v[176:177], v[130:131] op_sel_hi:[1,0]
	v_pk_fma_f32 v[134:135], v[160:161], v[144:145], v[134:135] neg_lo:[0,0,1] neg_hi:[0,0,1]
	s_delay_alu instid0(VALU_DEP_3) | instskip(NEXT) | instid1(VALU_DEP_3)
	v_pk_add_f32 v[128:129], v[128:129], v[132:133]
	v_pk_fma_f32 v[132:133], v[162:163], v[146:147], v[130:131] op_sel_hi:[1,0,1]
	v_mov_b32_e32 v135, v139
	v_pk_fma_f32 v[130:131], v[162:163], v[146:147], v[130:131] neg_lo:[0,0,1] neg_hi:[0,0,1]
	s_delay_alu instid0(VALU_DEP_3) | instskip(NEXT) | instid1(VALU_DEP_3)
	v_mov_b32_e32 v131, v133
	v_pk_add_f32 v[128:129], v[128:129], v[134:135]
	s_delay_alu instid0(VALU_DEP_1) | instskip(SKIP_1) | instid1(VALU_DEP_1)
	v_pk_add_f32 v[128:129], v[128:129], v[130:131]
	s_wait_loadcnt 0x0
	v_pk_add_f32 v[128:129], v[168:169], v[128:129] neg_lo:[0,1] neg_hi:[0,1]
	scratch_store_b64 off, v[128:129], off offset:416
	s_wait_xcnt 0x0
	v_cmpx_lt_u32_e32 51, v0
	s_cbranch_execz .LBB126_289
; %bb.288:
	scratch_load_b64 v[128:129], off, off offset:408
	v_mov_b64_e32 v[130:131], 0
	scratch_store_b64 off, v[130:131], off offset:408
	s_wait_loadcnt 0x0
	ds_store_b64 v1, v[128:129]
.LBB126_289:
	s_wait_xcnt 0x0
	s_or_b32 exec_lo, exec_lo, s0
	s_wait_storecnt_dscnt 0x0
	s_barrier_signal -1
	s_barrier_wait -1
	s_clause 0x6
	scratch_load_b128 v[128:131], off, off offset:416
	scratch_load_b128 v[132:135], off, off offset:432
	scratch_load_b128 v[136:139], off, off offset:448
	scratch_load_b128 v[140:143], off, off offset:464
	scratch_load_b128 v[144:147], off, off offset:480
	scratch_load_b64 v[168:169], off, off offset:496
	scratch_load_b64 v[170:171], off, off offset:408
	v_mov_b32_e32 v7, 0
	ds_load_b128 v[148:151], v7 offset:944
	ds_load_b128 v[152:155], v7 offset:960
	ds_load_b128 v[156:159], v7 offset:976
	ds_load_b128 v[160:163], v7 offset:992
	ds_load_b128 v[164:167], v7 offset:928
	ds_load_b64 v[172:173], v7 offset:1008
	s_mov_b32 s0, exec_lo
	s_wait_dscnt 0x5
	v_dual_mov_b32 v174, v151 :: v_dual_mov_b32 v175, v150
	s_wait_dscnt 0x2
	v_dual_mov_b32 v176, v155 :: v_dual_mov_b32 v181, v162
	v_dual_mov_b32 v177, v154 :: v_dual_mov_b32 v178, v159
	v_dual_mov_b32 v179, v158 :: v_dual_mov_b32 v180, v163
	s_wait_loadcnt_dscnt 0x601
	v_dual_mul_f32 v9, v164, v129 :: v_dual_mul_f32 v11, v165, v129
	v_dual_mul_f32 v13, v167, v131 :: v_dual_mul_f32 v183, v166, v131
	s_wait_loadcnt 0x5
	v_dual_mul_f32 v185, v148, v133 :: v_dual_mul_f32 v15, v149, v133
	s_wait_loadcnt 0x4
	v_dual_mov_b32 v184, v135 :: v_dual_mov_b32 v188, v139
	v_dual_fmac_f32 v9, v165, v128 :: v_dual_fma_f32 v11, v164, v128, -v11
	v_dual_fma_f32 v182, v166, v130, -v13 :: v_dual_fmac_f32 v183, v167, v130
	s_delay_alu instid0(VALU_DEP_3) | instskip(NEXT) | instid1(VALU_DEP_3)
	v_pk_mul_f32 v[128:129], v[174:175], v[184:185] op_sel_hi:[1,0]
	v_dual_add_f32 v131, 0, v9 :: v_dual_add_f32 v130, 0, v11
	s_wait_loadcnt 0x3
	v_mov_b32_e32 v164, v143
	v_pk_mul_f32 v[186:187], v[152:153], v[136:137] op_sel:[1,1] op_sel_hi:[0,1]
	v_dual_fmac_f32 v185, v149, v132 :: v_dual_fma_f32 v184, v148, v132, -v15
	v_pk_fma_f32 v[132:133], v[150:151], v[134:135], v[128:129] op_sel_hi:[1,0,1]
	v_pk_add_f32 v[130:131], v[130:131], v[182:183]
	v_pk_fma_f32 v[128:129], v[150:151], v[134:135], v[128:129] neg_lo:[0,0,1] neg_hi:[0,0,1]
	v_pk_fma_f32 v[148:149], v[152:153], v[136:137], v[186:187] op_sel_hi:[1,0,1]
	v_pk_mul_f32 v[166:167], v[176:177], v[188:189] op_sel_hi:[1,0]
	v_mov_b32_e32 v129, v133
	v_pk_add_f32 v[130:131], v[130:131], v[184:185]
	v_pk_fma_f32 v[134:135], v[152:153], v[136:137], v[186:187] neg_lo:[0,0,1] neg_hi:[0,0,1]
	v_pk_mul_f32 v[190:191], v[156:157], v[140:141] op_sel:[1,1] op_sel_hi:[0,1]
	v_mov_b32_e32 v135, v149
	v_pk_fma_f32 v[136:137], v[154:155], v[138:139], v[166:167] op_sel_hi:[1,0,1]
	v_pk_add_f32 v[128:129], v[130:131], v[128:129]
	v_pk_fma_f32 v[138:139], v[154:155], v[138:139], v[166:167] neg_lo:[0,0,1] neg_hi:[0,0,1]
	v_pk_fma_f32 v[130:131], v[156:157], v[140:141], v[190:191] op_sel_hi:[1,0,1]
	v_pk_mul_f32 v[148:149], v[178:179], v[164:165] op_sel_hi:[1,0]
	s_wait_loadcnt 0x2
	v_dual_mov_b32 v139, v137 :: v_dual_mov_b32 v130, v147
	v_pk_add_f32 v[128:129], v[128:129], v[134:135]
	v_pk_fma_f32 v[134:135], v[156:157], v[140:141], v[190:191] neg_lo:[0,0,1] neg_hi:[0,0,1]
	v_pk_mul_f32 v[132:133], v[160:161], v[144:145] op_sel:[1,1] op_sel_hi:[0,1]
	v_pk_fma_f32 v[136:137], v[158:159], v[142:143], v[148:149] op_sel_hi:[1,0,1]
	v_mov_b32_e32 v135, v131
	v_pk_add_f32 v[128:129], v[128:129], v[138:139]
	v_pk_fma_f32 v[140:141], v[158:159], v[142:143], v[148:149] neg_lo:[0,0,1] neg_hi:[0,0,1]
	v_pk_fma_f32 v[138:139], v[160:161], v[144:145], v[132:133] op_sel_hi:[1,0,1]
	v_pk_mul_f32 v[130:131], v[180:181], v[130:131] op_sel_hi:[1,0]
	v_mov_b32_e32 v141, v137
	v_pk_add_f32 v[128:129], v[128:129], v[134:135]
	v_pk_fma_f32 v[132:133], v[160:161], v[144:145], v[132:133] neg_lo:[0,0,1] neg_hi:[0,0,1]
	s_wait_loadcnt_dscnt 0x100
	v_pk_mul_f32 v[136:137], v[172:173], v[168:169] op_sel:[1,1] op_sel_hi:[0,1]
	v_pk_fma_f32 v[134:135], v[162:163], v[146:147], v[130:131] op_sel_hi:[1,0,1]
	v_mov_b32_e32 v133, v139
	v_pk_add_f32 v[128:129], v[128:129], v[140:141]
	v_pk_fma_f32 v[130:131], v[162:163], v[146:147], v[130:131] neg_lo:[0,0,1] neg_hi:[0,0,1]
	s_delay_alu instid0(VALU_DEP_4) | instskip(SKIP_1) | instid1(VALU_DEP_4)
	v_mov_b32_e32 v131, v135
	v_pk_fma_f32 v[134:135], v[172:173], v[168:169], v[136:137] neg_lo:[0,0,1] neg_hi:[0,0,1]
	v_pk_add_f32 v[128:129], v[128:129], v[132:133]
	v_pk_fma_f32 v[132:133], v[172:173], v[168:169], v[136:137] op_sel_hi:[1,0,1]
	s_delay_alu instid0(VALU_DEP_2) | instskip(NEXT) | instid1(VALU_DEP_2)
	v_pk_add_f32 v[128:129], v[128:129], v[130:131]
	v_mov_b32_e32 v135, v133
	s_delay_alu instid0(VALU_DEP_1) | instskip(SKIP_1) | instid1(VALU_DEP_1)
	v_pk_add_f32 v[128:129], v[128:129], v[134:135]
	s_wait_loadcnt 0x0
	v_pk_add_f32 v[128:129], v[170:171], v[128:129] neg_lo:[0,1] neg_hi:[0,1]
	scratch_store_b64 off, v[128:129], off offset:408
	s_wait_xcnt 0x0
	v_cmpx_lt_u32_e32 50, v0
	s_cbranch_execz .LBB126_291
; %bb.290:
	scratch_load_b64 v[128:129], off, off offset:400
	v_mov_b64_e32 v[130:131], 0
	scratch_store_b64 off, v[130:131], off offset:400
	s_wait_loadcnt 0x0
	ds_store_b64 v1, v[128:129]
.LBB126_291:
	s_wait_xcnt 0x0
	s_or_b32 exec_lo, exec_lo, s0
	s_wait_storecnt_dscnt 0x0
	s_barrier_signal -1
	s_barrier_wait -1
	s_clause 0x6
	scratch_load_b128 v[128:131], off, off offset:408
	scratch_load_b128 v[132:135], off, off offset:424
	;; [unrolled: 1-line block ×6, first 2 shown]
	scratch_load_b64 v[176:177], off, off offset:400
	ds_load_2addr_b64 v[152:155], v7 offset0:119 offset1:120
	ds_load_2addr_b64 v[156:159], v7 offset0:121 offset1:122
	;; [unrolled: 1-line block ×6, first 2 shown]
	s_mov_b32 s0, exec_lo
	s_wait_dscnt 0x5
	v_dual_mov_b32 v178, v155 :: v_dual_mov_b32 v179, v154
	s_wait_dscnt 0x4
	v_dual_mov_b32 v180, v159 :: v_dual_mov_b32 v181, v158
	s_wait_dscnt 0x3
	v_dual_mov_b32 v182, v163 :: v_dual_mov_b32 v183, v162
	s_wait_dscnt 0x2
	v_dual_mov_b32 v184, v167 :: v_dual_mov_b32 v185, v166
	s_wait_loadcnt_dscnt 0x601
	v_dual_mul_f32 v7, v168, v129 :: v_dual_mul_f32 v9, v170, v131
	v_dual_mul_f32 v11, v169, v129 :: v_dual_mul_f32 v13, v171, v131
	s_wait_loadcnt 0x4
	s_delay_alu instid0(VALU_DEP_2)
	v_dual_mov_b32 v192, v139 :: v_dual_fmac_f32 v7, v169, v128
	s_wait_dscnt 0x0
	v_dual_mul_f32 v187, v172, v133 :: v_dual_mul_f32 v189, v174, v135
	v_dual_fma_f32 v11, v168, v128, -v11 :: v_dual_fmac_f32 v9, v171, v130
	v_dual_mul_f32 v15, v173, v133 :: v_dual_mul_f32 v17, v175, v135
	v_dual_fma_f32 v13, v170, v130, -v13 :: v_dual_add_f32 v7, 0, v7
	s_wait_loadcnt 0x3
	s_delay_alu instid0(VALU_DEP_3) | instskip(SKIP_3) | instid1(VALU_DEP_4)
	v_dual_add_f32 v11, 0, v11 :: v_dual_mov_b32 v130, v143
	v_pk_mul_f32 v[190:191], v[152:153], v[136:137] op_sel:[1,1] op_sel_hi:[0,1]
	v_pk_mul_f32 v[128:129], v[156:157], v[140:141] op_sel:[1,1] op_sel_hi:[0,1]
	v_dual_fmac_f32 v187, v173, v132 :: v_dual_add_f32 v133, v7, v9
	v_dual_fma_f32 v186, v172, v132, -v15 :: v_dual_add_f32 v132, v11, v13
	v_fmac_f32_e32 v189, v175, v134
	v_fma_f32 v188, v174, v134, -v17
	v_pk_fma_f32 v[134:135], v[152:153], v[136:137], v[190:191] op_sel_hi:[1,0,1]
	v_pk_mul_f32 v[168:169], v[178:179], v[192:193] op_sel_hi:[1,0]
	v_pk_add_f32 v[132:133], v[132:133], v[186:187]
	v_pk_fma_f32 v[136:137], v[152:153], v[136:137], v[190:191] neg_lo:[0,0,1] neg_hi:[0,0,1]
	v_pk_fma_f32 v[152:153], v[156:157], v[140:141], v[128:129] op_sel_hi:[1,0,1]
	v_pk_fma_f32 v[128:129], v[156:157], v[140:141], v[128:129] neg_lo:[0,0,1] neg_hi:[0,0,1]
	v_mov_b32_e32 v137, v135
	v_pk_fma_f32 v[134:135], v[154:155], v[138:139], v[168:169] op_sel_hi:[1,0,1]
	v_pk_fma_f32 v[138:139], v[154:155], v[138:139], v[168:169] neg_lo:[0,0,1] neg_hi:[0,0,1]
	v_mov_b32_e32 v129, v153
	v_pk_add_f32 v[132:133], v[132:133], v[188:189]
	v_pk_mul_f32 v[130:131], v[180:181], v[130:131] op_sel_hi:[1,0]
	s_wait_loadcnt 0x2
	v_dual_mov_b32 v139, v135 :: v_dual_mov_b32 v134, v147
	v_pk_mul_f32 v[170:171], v[160:161], v[144:145] op_sel:[1,1] op_sel_hi:[0,1]
	v_pk_add_f32 v[132:133], v[132:133], v[136:137]
	v_pk_fma_f32 v[136:137], v[158:159], v[142:143], v[130:131] op_sel_hi:[1,0,1]
	v_pk_fma_f32 v[130:131], v[158:159], v[142:143], v[130:131] neg_lo:[0,0,1] neg_hi:[0,0,1]
	v_pk_mul_f32 v[134:135], v[182:183], v[134:135] op_sel_hi:[1,0]
	s_delay_alu instid0(VALU_DEP_4) | instskip(SKIP_3) | instid1(VALU_DEP_4)
	v_pk_add_f32 v[132:133], v[132:133], v[138:139]
	v_pk_fma_f32 v[138:139], v[160:161], v[144:145], v[170:171] op_sel_hi:[1,0,1]
	v_mov_b32_e32 v131, v137
	v_pk_fma_f32 v[136:137], v[160:161], v[144:145], v[170:171] neg_lo:[0,0,1] neg_hi:[0,0,1]
	v_pk_add_f32 v[128:129], v[132:133], v[128:129]
	s_wait_loadcnt 0x1
	v_pk_mul_f32 v[132:133], v[164:165], v[148:149] op_sel:[1,1] op_sel_hi:[0,1]
	v_mov_b32_e32 v137, v139
	v_pk_fma_f32 v[138:139], v[162:163], v[146:147], v[134:135] op_sel_hi:[1,0,1]
	v_pk_fma_f32 v[134:135], v[162:163], v[146:147], v[134:135] neg_lo:[0,0,1] neg_hi:[0,0,1]
	v_pk_add_f32 v[128:129], v[128:129], v[130:131]
	v_mov_b32_e32 v130, v151
	v_pk_fma_f32 v[140:141], v[164:165], v[148:149], v[132:133] op_sel_hi:[1,0,1]
	v_mov_b32_e32 v135, v139
	v_pk_fma_f32 v[132:133], v[164:165], v[148:149], v[132:133] neg_lo:[0,0,1] neg_hi:[0,0,1]
	v_pk_add_f32 v[128:129], v[128:129], v[136:137]
	v_pk_mul_f32 v[130:131], v[184:185], v[130:131] op_sel_hi:[1,0]
	s_delay_alu instid0(VALU_DEP_2) | instskip(NEXT) | instid1(VALU_DEP_2)
	v_pk_add_f32 v[128:129], v[128:129], v[134:135]
	v_pk_fma_f32 v[134:135], v[166:167], v[150:151], v[130:131] op_sel_hi:[1,0,1]
	v_mov_b32_e32 v133, v141
	v_pk_fma_f32 v[130:131], v[166:167], v[150:151], v[130:131] neg_lo:[0,0,1] neg_hi:[0,0,1]
	s_delay_alu instid0(VALU_DEP_3) | instskip(NEXT) | instid1(VALU_DEP_3)
	v_mov_b32_e32 v131, v135
	v_pk_add_f32 v[128:129], v[128:129], v[132:133]
	s_delay_alu instid0(VALU_DEP_1) | instskip(SKIP_1) | instid1(VALU_DEP_1)
	v_pk_add_f32 v[128:129], v[128:129], v[130:131]
	s_wait_loadcnt 0x0
	v_pk_add_f32 v[128:129], v[176:177], v[128:129] neg_lo:[0,1] neg_hi:[0,1]
	scratch_store_b64 off, v[128:129], off offset:400
	s_wait_xcnt 0x0
	v_cmpx_lt_u32_e32 49, v0
	s_cbranch_execz .LBB126_293
; %bb.292:
	scratch_load_b64 v[128:129], off, off offset:392
	v_mov_b64_e32 v[130:131], 0
	scratch_store_b64 off, v[130:131], off offset:392
	s_wait_loadcnt 0x0
	ds_store_b64 v1, v[128:129]
.LBB126_293:
	s_wait_xcnt 0x0
	s_or_b32 exec_lo, exec_lo, s0
	s_wait_storecnt_dscnt 0x0
	s_barrier_signal -1
	s_barrier_wait -1
	s_clause 0x7
	scratch_load_b128 v[128:131], off, off offset:400
	scratch_load_b128 v[132:135], off, off offset:416
	;; [unrolled: 1-line block ×6, first 2 shown]
	scratch_load_b64 v[176:177], off, off offset:496
	scratch_load_b64 v[178:179], off, off offset:392
	v_mov_b32_e32 v7, 0
	ds_load_b128 v[152:155], v7 offset:944
	ds_load_b128 v[156:159], v7 offset:960
	;; [unrolled: 1-line block ×6, first 2 shown]
	ds_load_b64 v[180:181], v7 offset:1008
	s_mov_b32 s0, exec_lo
	s_wait_dscnt 0x6
	v_dual_mov_b32 v182, v155 :: v_dual_mov_b32 v183, v154
	s_wait_dscnt 0x3
	v_dual_mov_b32 v184, v159 :: v_dual_mov_b32 v189, v166
	v_dual_mov_b32 v185, v158 :: v_dual_mov_b32 v186, v163
	;; [unrolled: 1-line block ×3, first 2 shown]
	s_wait_loadcnt_dscnt 0x702
	v_dual_mul_f32 v9, v168, v129 :: v_dual_mul_f32 v15, v169, v129
	v_dual_mul_f32 v17, v171, v131 :: v_dual_mul_f32 v11, v170, v131
	s_wait_loadcnt_dscnt 0x601
	s_delay_alu instid0(VALU_DEP_2) | instskip(NEXT) | instid1(VALU_DEP_3)
	v_dual_mul_f32 v13, v172, v133 :: v_dual_fmac_f32 v9, v169, v128
	v_dual_fma_f32 v15, v168, v128, -v15 :: v_dual_mul_f32 v19, v173, v133
	v_mul_f32_e32 v21, v175, v135
	s_wait_loadcnt 0x4
	v_dual_mov_b32 v128, v143 :: v_dual_fma_f32 v17, v170, v130, -v17
	v_dual_fmac_f32 v11, v171, v130 :: v_dual_add_f32 v9, 0, v9
	v_dual_add_f32 v15, 0, v15 :: v_dual_fmac_f32 v13, v173, v132
	v_dual_mul_f32 v191, v174, v135 :: v_dual_mul_f32 v193, v152, v137
	v_dual_mul_f32 v23, v153, v137 :: v_dual_mov_b32 v192, v139
	s_delay_alu instid0(VALU_DEP_4) | instskip(NEXT) | instid1(VALU_DEP_4)
	v_dual_fma_f32 v19, v172, v132, -v19 :: v_dual_add_f32 v9, v9, v11
	v_dual_add_f32 v11, v15, v17 :: v_dual_fma_f32 v190, v174, v134, -v21
	s_delay_alu instid0(VALU_DEP_4) | instskip(NEXT) | instid1(VALU_DEP_4)
	v_fmac_f32_e32 v191, v175, v134
	v_pk_mul_f32 v[132:133], v[182:183], v[192:193] op_sel_hi:[1,0]
	s_delay_alu instid0(VALU_DEP_3)
	v_dual_add_f32 v135, v9, v13 :: v_dual_add_f32 v134, v11, v19
	v_fmac_f32_e32 v193, v153, v136
	v_pk_mul_f32 v[194:195], v[156:157], v[140:141] op_sel:[1,1] op_sel_hi:[0,1]
	s_wait_loadcnt 0x3
	v_dual_mov_b32 v168, v147 :: v_dual_fma_f32 v192, v152, v136, -v23
	v_pk_fma_f32 v[136:137], v[154:155], v[138:139], v[132:133] op_sel_hi:[1,0,1]
	v_pk_add_f32 v[134:135], v[134:135], v[190:191]
	v_pk_fma_f32 v[132:133], v[154:155], v[138:139], v[132:133] neg_lo:[0,0,1] neg_hi:[0,0,1]
	v_pk_fma_f32 v[152:153], v[156:157], v[140:141], v[194:195] op_sel_hi:[1,0,1]
	v_pk_mul_f32 v[128:129], v[184:185], v[128:129] op_sel_hi:[1,0]
	v_mov_b32_e32 v133, v137
	v_pk_add_f32 v[134:135], v[134:135], v[192:193]
	v_pk_fma_f32 v[138:139], v[156:157], v[140:141], v[194:195] neg_lo:[0,0,1] neg_hi:[0,0,1]
	v_pk_mul_f32 v[130:131], v[160:161], v[144:145] op_sel:[1,1] op_sel_hi:[0,1]
	v_mov_b32_e32 v139, v153
	v_pk_fma_f32 v[140:141], v[158:159], v[142:143], v[128:129] op_sel_hi:[1,0,1]
	v_pk_add_f32 v[132:133], v[134:135], v[132:133]
	v_pk_fma_f32 v[128:129], v[158:159], v[142:143], v[128:129] neg_lo:[0,0,1] neg_hi:[0,0,1]
	v_pk_fma_f32 v[134:135], v[160:161], v[144:145], v[130:131] op_sel_hi:[1,0,1]
	v_pk_mul_f32 v[152:153], v[186:187], v[168:169] op_sel_hi:[1,0]
	s_wait_loadcnt 0x2
	v_dual_mov_b32 v129, v141 :: v_dual_mov_b32 v134, v151
	v_pk_add_f32 v[132:133], v[132:133], v[138:139]
	v_pk_fma_f32 v[130:131], v[160:161], v[144:145], v[130:131] neg_lo:[0,0,1] neg_hi:[0,0,1]
	v_pk_mul_f32 v[136:137], v[164:165], v[148:149] op_sel:[1,1] op_sel_hi:[0,1]
	v_pk_fma_f32 v[138:139], v[162:163], v[146:147], v[152:153] op_sel_hi:[1,0,1]
	v_mov_b32_e32 v131, v135
	v_pk_add_f32 v[128:129], v[132:133], v[128:129]
	v_pk_fma_f32 v[140:141], v[162:163], v[146:147], v[152:153] neg_lo:[0,0,1] neg_hi:[0,0,1]
	v_pk_fma_f32 v[132:133], v[164:165], v[148:149], v[136:137] op_sel_hi:[1,0,1]
	v_pk_mul_f32 v[134:135], v[188:189], v[134:135] op_sel_hi:[1,0]
	v_mov_b32_e32 v141, v139
	v_pk_add_f32 v[128:129], v[128:129], v[130:131]
	v_pk_fma_f32 v[130:131], v[164:165], v[148:149], v[136:137] neg_lo:[0,0,1] neg_hi:[0,0,1]
	v_mov_b32_e32 v131, v133
	v_pk_fma_f32 v[132:133], v[166:167], v[150:151], v[134:135] op_sel_hi:[1,0,1]
	s_wait_loadcnt_dscnt 0x100
	v_pk_mul_f32 v[136:137], v[180:181], v[176:177] op_sel:[1,1] op_sel_hi:[0,1]
	v_pk_add_f32 v[128:129], v[128:129], v[140:141]
	v_pk_fma_f32 v[134:135], v[166:167], v[150:151], v[134:135] neg_lo:[0,0,1] neg_hi:[0,0,1]
	v_mov_b32_e32 v135, v133
	s_delay_alu instid0(VALU_DEP_4) | instskip(NEXT) | instid1(VALU_DEP_4)
	v_pk_fma_f32 v[132:133], v[180:181], v[176:177], v[136:137] neg_lo:[0,0,1] neg_hi:[0,0,1]
	v_pk_add_f32 v[128:129], v[128:129], v[130:131]
	v_pk_fma_f32 v[130:131], v[180:181], v[176:177], v[136:137] op_sel_hi:[1,0,1]
	s_delay_alu instid0(VALU_DEP_2) | instskip(NEXT) | instid1(VALU_DEP_2)
	v_pk_add_f32 v[128:129], v[128:129], v[134:135]
	v_mov_b32_e32 v133, v131
	s_delay_alu instid0(VALU_DEP_1) | instskip(SKIP_1) | instid1(VALU_DEP_1)
	v_pk_add_f32 v[128:129], v[128:129], v[132:133]
	s_wait_loadcnt 0x0
	v_pk_add_f32 v[128:129], v[178:179], v[128:129] neg_lo:[0,1] neg_hi:[0,1]
	scratch_store_b64 off, v[128:129], off offset:392
	s_wait_xcnt 0x0
	v_cmpx_lt_u32_e32 48, v0
	s_cbranch_execz .LBB126_295
; %bb.294:
	scratch_load_b64 v[128:129], off, off offset:384
	v_mov_b64_e32 v[130:131], 0
	scratch_store_b64 off, v[130:131], off offset:384
	s_wait_loadcnt 0x0
	ds_store_b64 v1, v[128:129]
.LBB126_295:
	s_wait_xcnt 0x0
	s_or_b32 exec_lo, exec_lo, s0
	s_wait_storecnt_dscnt 0x0
	s_barrier_signal -1
	s_barrier_wait -1
	s_clause 0x7
	scratch_load_b128 v[128:131], off, off offset:392
	scratch_load_b128 v[132:135], off, off offset:408
	;; [unrolled: 1-line block ×7, first 2 shown]
	scratch_load_b64 v[184:185], off, off offset:384
	ds_load_2addr_b64 v[156:159], v7 offset0:119 offset1:120
	ds_load_2addr_b64 v[160:163], v7 offset0:121 offset1:122
	;; [unrolled: 1-line block ×7, first 2 shown]
	s_mov_b32 s0, exec_lo
	s_wait_dscnt 0x6
	v_dual_mov_b32 v186, v159 :: v_dual_mov_b32 v187, v158
	s_wait_dscnt 0x5
	v_dual_mov_b32 v188, v163 :: v_dual_mov_b32 v189, v162
	;; [unrolled: 2-line block ×4, first 2 shown]
	s_wait_loadcnt_dscnt 0x702
	v_dual_mul_f32 v7, v172, v129 :: v_dual_mul_f32 v9, v174, v131
	v_dual_mul_f32 v15, v173, v129 :: v_dual_mul_f32 v17, v175, v131
	s_wait_loadcnt_dscnt 0x601
	v_dual_mul_f32 v11, v176, v133 :: v_dual_mul_f32 v13, v178, v135
	s_delay_alu instid0(VALU_DEP_3) | instskip(NEXT) | instid1(VALU_DEP_3)
	v_dual_fmac_f32 v7, v173, v128 :: v_dual_fmac_f32 v9, v175, v130
	v_dual_fma_f32 v15, v172, v128, -v15 :: v_dual_fma_f32 v17, v174, v130, -v17
	v_dual_mul_f32 v19, v177, v133 :: v_dual_mul_f32 v21, v179, v135
	s_wait_loadcnt 0x4
	s_delay_alu instid0(VALU_DEP_3) | instskip(NEXT) | instid1(VALU_DEP_3)
	v_dual_add_f32 v7, 0, v7 :: v_dual_mov_b32 v130, v143
	v_dual_add_f32 v15, 0, v15 :: v_dual_fmac_f32 v11, v177, v132
	s_delay_alu instid0(VALU_DEP_2) | instskip(SKIP_2) | instid1(VALU_DEP_3)
	v_dual_fma_f32 v19, v176, v132, -v19 :: v_dual_add_f32 v7, v7, v9
	s_wait_dscnt 0x0
	v_dual_mul_f32 v195, v180, v137 :: v_dual_mul_f32 v197, v182, v139
	v_dual_add_f32 v9, v15, v17 :: v_dual_fma_f32 v15, v178, v134, -v21
	v_dual_mul_f32 v23, v181, v137 :: v_dual_mul_f32 v25, v183, v139
	s_delay_alu instid0(VALU_DEP_2) | instskip(NEXT) | instid1(VALU_DEP_4)
	v_dual_fmac_f32 v13, v179, v134 :: v_dual_add_f32 v9, v9, v19
	v_dual_add_f32 v7, v7, v11 :: v_dual_fmac_f32 v195, v181, v136
	v_pk_mul_f32 v[128:129], v[156:157], v[140:141] op_sel:[1,1] op_sel_hi:[0,1]
	s_wait_loadcnt 0x3
	v_pk_mul_f32 v[132:133], v[160:161], v[144:145] op_sel:[1,1] op_sel_hi:[0,1]
	v_dual_mov_b32 v134, v147 :: v_dual_fma_f32 v194, v180, v136, -v23
	v_dual_add_f32 v137, v7, v13 :: v_dual_add_f32 v136, v9, v15
	v_fmac_f32_e32 v197, v183, v138
	v_fma_f32 v196, v182, v138, -v25
	v_pk_fma_f32 v[138:139], v[156:157], v[140:141], v[128:129] op_sel_hi:[1,0,1]
	v_pk_mul_f32 v[130:131], v[186:187], v[130:131] op_sel_hi:[1,0]
	v_pk_add_f32 v[136:137], v[136:137], v[194:195]
	v_pk_fma_f32 v[128:129], v[156:157], v[140:141], v[128:129] neg_lo:[0,0,1] neg_hi:[0,0,1]
	v_pk_fma_f32 v[140:141], v[160:161], v[144:145], v[132:133] op_sel_hi:[1,0,1]
	v_pk_fma_f32 v[132:133], v[160:161], v[144:145], v[132:133] neg_lo:[0,0,1] neg_hi:[0,0,1]
	v_mov_b32_e32 v129, v139
	v_pk_fma_f32 v[138:139], v[158:159], v[142:143], v[130:131] op_sel_hi:[1,0,1]
	v_pk_fma_f32 v[130:131], v[158:159], v[142:143], v[130:131] neg_lo:[0,0,1] neg_hi:[0,0,1]
	v_mov_b32_e32 v133, v141
	v_pk_add_f32 v[136:137], v[136:137], v[196:197]
	v_pk_mul_f32 v[134:135], v[188:189], v[134:135] op_sel_hi:[1,0]
	v_mov_b32_e32 v131, v139
	s_wait_loadcnt 0x2
	v_pk_mul_f32 v[172:173], v[164:165], v[148:149] op_sel:[1,1] op_sel_hi:[0,1]
	v_pk_add_f32 v[128:129], v[136:137], v[128:129]
	v_mov_b32_e32 v136, v151
	v_pk_fma_f32 v[138:139], v[162:163], v[146:147], v[134:135] op_sel_hi:[1,0,1]
	v_pk_fma_f32 v[134:135], v[162:163], v[146:147], v[134:135] neg_lo:[0,0,1] neg_hi:[0,0,1]
	s_delay_alu instid0(VALU_DEP_4)
	v_pk_add_f32 v[128:129], v[128:129], v[130:131]
	v_pk_fma_f32 v[130:131], v[164:165], v[148:149], v[172:173] op_sel_hi:[1,0,1]
	v_pk_mul_f32 v[136:137], v[190:191], v[136:137] op_sel_hi:[1,0]
	v_mov_b32_e32 v135, v139
	v_pk_fma_f32 v[138:139], v[164:165], v[148:149], v[172:173] neg_lo:[0,0,1] neg_hi:[0,0,1]
	v_pk_add_f32 v[128:129], v[128:129], v[132:133]
	v_mov_b32_e32 v139, v131
	v_pk_fma_f32 v[130:131], v[166:167], v[150:151], v[136:137] op_sel_hi:[1,0,1]
	s_wait_loadcnt 0x1
	v_pk_mul_f32 v[132:133], v[168:169], v[152:153] op_sel:[1,1] op_sel_hi:[0,1]
	v_mov_b32_e32 v130, v155
	v_pk_add_f32 v[128:129], v[128:129], v[134:135]
	v_pk_fma_f32 v[136:137], v[166:167], v[150:151], v[136:137] neg_lo:[0,0,1] neg_hi:[0,0,1]
	v_mov_b32_e32 v137, v131
	v_pk_fma_f32 v[134:135], v[168:169], v[152:153], v[132:133] op_sel_hi:[1,0,1]
	v_pk_mul_f32 v[130:131], v[192:193], v[130:131] op_sel_hi:[1,0]
	v_pk_add_f32 v[128:129], v[128:129], v[138:139]
	v_pk_fma_f32 v[132:133], v[168:169], v[152:153], v[132:133] neg_lo:[0,0,1] neg_hi:[0,0,1]
	s_delay_alu instid0(VALU_DEP_4) | instskip(NEXT) | instid1(VALU_DEP_4)
	v_mov_b32_e32 v133, v135
	v_pk_fma_f32 v[134:135], v[170:171], v[154:155], v[130:131] op_sel_hi:[1,0,1]
	s_delay_alu instid0(VALU_DEP_4) | instskip(SKIP_1) | instid1(VALU_DEP_3)
	v_pk_add_f32 v[128:129], v[128:129], v[136:137]
	v_pk_fma_f32 v[130:131], v[170:171], v[154:155], v[130:131] neg_lo:[0,0,1] neg_hi:[0,0,1]
	v_mov_b32_e32 v131, v135
	s_delay_alu instid0(VALU_DEP_3) | instskip(NEXT) | instid1(VALU_DEP_1)
	v_pk_add_f32 v[128:129], v[128:129], v[132:133]
	v_pk_add_f32 v[128:129], v[128:129], v[130:131]
	s_wait_loadcnt 0x0
	s_delay_alu instid0(VALU_DEP_1)
	v_pk_add_f32 v[128:129], v[184:185], v[128:129] neg_lo:[0,1] neg_hi:[0,1]
	scratch_store_b64 off, v[128:129], off offset:384
	s_wait_xcnt 0x0
	v_cmpx_lt_u32_e32 47, v0
	s_cbranch_execz .LBB126_297
; %bb.296:
	scratch_load_b64 v[128:129], off, off offset:376
	v_mov_b64_e32 v[130:131], 0
	scratch_store_b64 off, v[130:131], off offset:376
	s_wait_loadcnt 0x0
	ds_store_b64 v1, v[128:129]
.LBB126_297:
	s_wait_xcnt 0x0
	s_or_b32 exec_lo, exec_lo, s0
	s_wait_storecnt_dscnt 0x0
	s_barrier_signal -1
	s_barrier_wait -1
	s_clause 0x8
	scratch_load_b128 v[128:131], off, off offset:384
	scratch_load_b128 v[132:135], off, off offset:400
	;; [unrolled: 1-line block ×7, first 2 shown]
	scratch_load_b64 v[184:185], off, off offset:496
	scratch_load_b64 v[186:187], off, off offset:376
	v_mov_b32_e32 v7, 0
	ds_load_b128 v[156:159], v7 offset:944
	ds_load_b128 v[160:163], v7 offset:960
	ds_load_b128 v[164:167], v7 offset:976
	ds_load_b128 v[168:171], v7 offset:992
	ds_load_b128 v[172:175], v7 offset:896
	ds_load_b128 v[176:179], v7 offset:912
	ds_load_b128 v[180:183], v7 offset:928
	ds_load_b64 v[188:189], v7 offset:1008
	s_mov_b32 s0, exec_lo
	s_wait_dscnt 0x7
	v_dual_mov_b32 v190, v159 :: v_dual_mov_b32 v191, v158
	s_wait_dscnt 0x4
	v_dual_mov_b32 v192, v163 :: v_dual_mov_b32 v197, v170
	v_dual_mov_b32 v193, v162 :: v_dual_mov_b32 v194, v167
	;; [unrolled: 1-line block ×3, first 2 shown]
	s_wait_loadcnt_dscnt 0x803
	v_dual_mul_f32 v9, v172, v129 :: v_dual_mul_f32 v19, v173, v129
	v_dual_mul_f32 v21, v175, v131 :: v_dual_mul_f32 v11, v174, v131
	s_wait_loadcnt_dscnt 0x702
	v_mul_f32_e32 v13, v176, v133
	s_wait_loadcnt 0x5
	v_dual_mul_f32 v31, v157, v141 :: v_dual_fma_f32 v19, v172, v128, -v19
	v_dual_fmac_f32 v9, v173, v128 :: v_dual_mov_b32 v128, v143
	v_dual_mul_f32 v23, v177, v133 :: v_dual_mul_f32 v25, v179, v135
	v_dual_fmac_f32 v11, v175, v130 :: v_dual_fma_f32 v21, v174, v130, -v21
	s_delay_alu instid0(VALU_DEP_3) | instskip(SKIP_3) | instid1(VALU_DEP_3)
	v_dual_add_f32 v9, 0, v9 :: v_dual_add_f32 v19, 0, v19
	s_wait_dscnt 0x1
	v_dual_mul_f32 v15, v178, v135 :: v_dual_mul_f32 v17, v180, v137
	v_dual_fmac_f32 v13, v177, v132 :: v_dual_fma_f32 v23, v176, v132, -v23
	v_dual_add_f32 v9, v9, v11 :: v_dual_add_f32 v11, v19, v21
	v_dual_mul_f32 v27, v181, v137 :: v_dual_mul_f32 v29, v183, v139
	s_wait_loadcnt 0x4
	v_dual_mov_b32 v132, v147 :: v_dual_fma_f32 v19, v178, v134, -v25
	s_delay_alu instid0(VALU_DEP_3) | instskip(SKIP_2) | instid1(VALU_DEP_3)
	v_dual_fmac_f32 v15, v179, v134 :: v_dual_add_f32 v9, v9, v13
	v_dual_add_f32 v11, v11, v23 :: v_dual_fmac_f32 v17, v181, v136
	v_dual_mul_f32 v199, v182, v139 :: v_dual_mul_f32 v201, v156, v141
	v_dual_fma_f32 v13, v180, v136, -v27 :: v_dual_add_f32 v9, v9, v15
	s_delay_alu instid0(VALU_DEP_3) | instskip(NEXT) | instid1(VALU_DEP_3)
	v_dual_add_f32 v11, v11, v19 :: v_dual_fma_f32 v198, v182, v138, -v29
	v_fmac_f32_e32 v199, v183, v138
	v_pk_mul_f32 v[128:129], v[190:191], v[128:129] op_sel_hi:[1,0]
	s_delay_alu instid0(VALU_DEP_4) | instskip(NEXT) | instid1(VALU_DEP_4)
	v_add_f32_e32 v137, v9, v17
	v_dual_add_f32 v136, v11, v13 :: v_dual_fmac_f32 v201, v157, v140
	v_pk_mul_f32 v[130:131], v[160:161], v[144:145] op_sel:[1,1] op_sel_hi:[0,1]
	s_wait_loadcnt 0x3
	v_dual_mov_b32 v138, v151 :: v_dual_fma_f32 v200, v156, v140, -v31
	v_pk_fma_f32 v[140:141], v[158:159], v[142:143], v[128:129] op_sel_hi:[1,0,1]
	v_pk_add_f32 v[136:137], v[136:137], v[198:199]
	v_pk_fma_f32 v[128:129], v[158:159], v[142:143], v[128:129] neg_lo:[0,0,1] neg_hi:[0,0,1]
	v_pk_fma_f32 v[156:157], v[160:161], v[144:145], v[130:131] op_sel_hi:[1,0,1]
	v_pk_mul_f32 v[132:133], v[192:193], v[132:133] op_sel_hi:[1,0]
	v_mov_b32_e32 v129, v141
	v_pk_add_f32 v[136:137], v[136:137], v[200:201]
	v_pk_fma_f32 v[130:131], v[160:161], v[144:145], v[130:131] neg_lo:[0,0,1] neg_hi:[0,0,1]
	v_pk_mul_f32 v[134:135], v[164:165], v[148:149] op_sel:[1,1] op_sel_hi:[0,1]
	v_mov_b32_e32 v131, v157
	v_pk_fma_f32 v[142:143], v[162:163], v[146:147], v[132:133] op_sel_hi:[1,0,1]
	v_pk_add_f32 v[128:129], v[136:137], v[128:129]
	v_pk_fma_f32 v[132:133], v[162:163], v[146:147], v[132:133] neg_lo:[0,0,1] neg_hi:[0,0,1]
	v_pk_fma_f32 v[136:137], v[164:165], v[148:149], v[134:135] op_sel_hi:[1,0,1]
	v_pk_mul_f32 v[138:139], v[194:195], v[138:139] op_sel_hi:[1,0]
	v_mov_b32_e32 v133, v143
	v_pk_add_f32 v[128:129], v[128:129], v[130:131]
	v_pk_fma_f32 v[134:135], v[164:165], v[148:149], v[134:135] neg_lo:[0,0,1] neg_hi:[0,0,1]
	s_wait_loadcnt 0x2
	v_pk_mul_f32 v[140:141], v[168:169], v[152:153] op_sel:[1,1] op_sel_hi:[0,1]
	v_dual_mov_b32 v130, v155 :: v_dual_mov_b32 v135, v137
	v_pk_fma_f32 v[136:137], v[166:167], v[150:151], v[138:139] op_sel_hi:[1,0,1]
	v_pk_add_f32 v[128:129], v[128:129], v[132:133]
	v_pk_fma_f32 v[138:139], v[166:167], v[150:151], v[138:139] neg_lo:[0,0,1] neg_hi:[0,0,1]
	v_pk_fma_f32 v[132:133], v[168:169], v[152:153], v[140:141] op_sel_hi:[1,0,1]
	v_pk_mul_f32 v[130:131], v[196:197], v[130:131] op_sel_hi:[1,0]
	v_mov_b32_e32 v139, v137
	v_pk_add_f32 v[128:129], v[128:129], v[134:135]
	v_pk_fma_f32 v[134:135], v[168:169], v[152:153], v[140:141] neg_lo:[0,0,1] neg_hi:[0,0,1]
	v_mov_b32_e32 v135, v133
	v_pk_fma_f32 v[132:133], v[170:171], v[154:155], v[130:131] op_sel_hi:[1,0,1]
	s_wait_loadcnt_dscnt 0x100
	v_pk_mul_f32 v[136:137], v[188:189], v[184:185] op_sel:[1,1] op_sel_hi:[0,1]
	v_pk_add_f32 v[128:129], v[128:129], v[138:139]
	v_pk_fma_f32 v[130:131], v[170:171], v[154:155], v[130:131] neg_lo:[0,0,1] neg_hi:[0,0,1]
	v_mov_b32_e32 v131, v133
	s_delay_alu instid0(VALU_DEP_4) | instskip(NEXT) | instid1(VALU_DEP_4)
	v_pk_fma_f32 v[132:133], v[188:189], v[184:185], v[136:137] op_sel_hi:[1,0,1]
	v_pk_add_f32 v[128:129], v[128:129], v[134:135]
	v_pk_fma_f32 v[134:135], v[188:189], v[184:185], v[136:137] neg_lo:[0,0,1] neg_hi:[0,0,1]
	s_delay_alu instid0(VALU_DEP_3) | instskip(NEXT) | instid1(VALU_DEP_3)
	v_mov_b32_e32 v135, v133
	v_pk_add_f32 v[128:129], v[128:129], v[130:131]
	s_delay_alu instid0(VALU_DEP_1) | instskip(SKIP_1) | instid1(VALU_DEP_1)
	v_pk_add_f32 v[128:129], v[128:129], v[134:135]
	s_wait_loadcnt 0x0
	v_pk_add_f32 v[128:129], v[186:187], v[128:129] neg_lo:[0,1] neg_hi:[0,1]
	scratch_store_b64 off, v[128:129], off offset:376
	s_wait_xcnt 0x0
	v_cmpx_lt_u32_e32 46, v0
	s_cbranch_execz .LBB126_299
; %bb.298:
	scratch_load_b64 v[128:129], off, off offset:368
	v_mov_b64_e32 v[130:131], 0
	scratch_store_b64 off, v[130:131], off offset:368
	s_wait_loadcnt 0x0
	ds_store_b64 v1, v[128:129]
.LBB126_299:
	s_wait_xcnt 0x0
	s_or_b32 exec_lo, exec_lo, s0
	s_wait_storecnt_dscnt 0x0
	s_barrier_signal -1
	s_barrier_wait -1
	s_clause 0x8
	scratch_load_b128 v[128:131], off, off offset:376
	scratch_load_b128 v[132:135], off, off offset:392
	;; [unrolled: 1-line block ×8, first 2 shown]
	scratch_load_b64 v[192:193], off, off offset:368
	ds_load_2addr_b64 v[160:163], v7 offset0:119 offset1:120
	ds_load_2addr_b64 v[164:167], v7 offset0:121 offset1:122
	;; [unrolled: 1-line block ×8, first 2 shown]
	s_mov_b32 s0, exec_lo
	s_wait_dscnt 0x7
	v_dual_mov_b32 v194, v163 :: v_dual_mov_b32 v195, v162
	s_wait_dscnt 0x6
	v_dual_mov_b32 v196, v167 :: v_dual_mov_b32 v197, v166
	;; [unrolled: 2-line block ×4, first 2 shown]
	s_wait_loadcnt_dscnt 0x803
	v_dual_mul_f32 v7, v176, v129 :: v_dual_mul_f32 v9, v178, v131
	v_dual_mul_f32 v19, v177, v129 :: v_dual_mul_f32 v21, v179, v131
	s_wait_loadcnt_dscnt 0x702
	v_dual_mul_f32 v11, v180, v133 :: v_dual_mul_f32 v13, v182, v135
	s_delay_alu instid0(VALU_DEP_3) | instskip(SKIP_3) | instid1(VALU_DEP_3)
	v_dual_fmac_f32 v7, v177, v128 :: v_dual_fmac_f32 v9, v179, v130
	s_wait_loadcnt_dscnt 0x500
	v_dual_fma_f32 v19, v176, v128, -v19 :: v_dual_mul_f32 v31, v189, v141
	v_dual_mul_f32 v23, v181, v133 :: v_dual_mul_f32 v25, v183, v135
	v_dual_fma_f32 v21, v178, v130, -v21 :: v_dual_add_f32 v7, 0, v7
	s_delay_alu instid0(VALU_DEP_3) | instskip(SKIP_1) | instid1(VALU_DEP_4)
	v_dual_add_f32 v19, 0, v19 :: v_dual_fmac_f32 v11, v181, v132
	v_dual_mul_f32 v15, v184, v137 :: v_dual_mul_f32 v17, v186, v139
	v_dual_mul_f32 v33, v191, v143 :: v_dual_fma_f32 v23, v180, v132, -v23
	s_delay_alu instid0(VALU_DEP_4) | instskip(NEXT) | instid1(VALU_DEP_3)
	v_add_f32_e32 v7, v7, v9
	v_dual_add_f32 v9, v19, v21 :: v_dual_fmac_f32 v15, v185, v136
	v_dual_mul_f32 v27, v185, v137 :: v_dual_mul_f32 v29, v187, v139
	s_delay_alu instid0(VALU_DEP_2) | instskip(NEXT) | instid1(VALU_DEP_4)
	v_dual_fmac_f32 v13, v183, v134 :: v_dual_add_f32 v9, v9, v23
	v_dual_fma_f32 v19, v182, v134, -v25 :: v_dual_add_f32 v7, v7, v11
	s_wait_loadcnt 0x4
	s_delay_alu instid0(VALU_DEP_3) | instskip(SKIP_1) | instid1(VALU_DEP_3)
	v_dual_fma_f32 v11, v184, v136, -v27 :: v_dual_mov_b32 v130, v147
	v_dual_mul_f32 v203, v188, v141 :: v_dual_mul_f32 v205, v190, v143
	v_dual_add_f32 v7, v7, v13 :: v_dual_fma_f32 v13, v186, v138, -v29
	v_dual_add_f32 v9, v9, v19 :: v_dual_fmac_f32 v17, v187, v138
	v_pk_mul_f32 v[128:129], v[160:161], v[144:145] op_sel:[1,1] op_sel_hi:[0,1]
	s_delay_alu instid0(VALU_DEP_3) | instskip(SKIP_1) | instid1(VALU_DEP_3)
	v_dual_add_f32 v7, v7, v15 :: v_dual_fmac_f32 v203, v189, v140
	s_wait_loadcnt 0x3
	v_dual_add_f32 v9, v9, v11 :: v_dual_mov_b32 v134, v151
	s_delay_alu instid0(VALU_DEP_2) | instskip(NEXT) | instid1(VALU_DEP_2)
	v_dual_fma_f32 v202, v188, v140, -v31 :: v_dual_add_f32 v137, v7, v17
	v_dual_fma_f32 v204, v190, v142, -v33 :: v_dual_add_f32 v136, v9, v13
	v_fmac_f32_e32 v205, v191, v142
	v_pk_fma_f32 v[138:139], v[160:161], v[144:145], v[128:129] op_sel_hi:[1,0,1]
	v_pk_mul_f32 v[130:131], v[194:195], v[130:131] op_sel_hi:[1,0]
	v_pk_fma_f32 v[128:129], v[160:161], v[144:145], v[128:129] neg_lo:[0,0,1] neg_hi:[0,0,1]
	v_pk_add_f32 v[136:137], v[136:137], v[202:203]
	v_pk_mul_f32 v[132:133], v[164:165], v[148:149] op_sel:[1,1] op_sel_hi:[0,1]
	v_mov_b32_e32 v129, v139
	v_pk_fma_f32 v[138:139], v[162:163], v[146:147], v[130:131] op_sel_hi:[1,0,1]
	v_pk_fma_f32 v[130:131], v[162:163], v[146:147], v[130:131] neg_lo:[0,0,1] neg_hi:[0,0,1]
	v_pk_add_f32 v[136:137], v[136:137], v[204:205]
	v_pk_fma_f32 v[142:143], v[164:165], v[148:149], v[132:133] op_sel_hi:[1,0,1]
	v_pk_mul_f32 v[134:135], v[196:197], v[134:135] op_sel_hi:[1,0]
	v_mov_b32_e32 v131, v139
	s_wait_loadcnt 0x2
	v_pk_mul_f32 v[140:141], v[168:169], v[152:153] op_sel:[1,1] op_sel_hi:[0,1]
	v_pk_add_f32 v[128:129], v[136:137], v[128:129]
	v_mov_b32_e32 v136, v155
	v_pk_fma_f32 v[132:133], v[164:165], v[148:149], v[132:133] neg_lo:[0,0,1] neg_hi:[0,0,1]
	v_mov_b32_e32 v133, v143
	v_pk_fma_f32 v[138:139], v[166:167], v[150:151], v[134:135] op_sel_hi:[1,0,1]
	v_pk_add_f32 v[128:129], v[128:129], v[130:131]
	v_pk_fma_f32 v[130:131], v[168:169], v[152:153], v[140:141] op_sel_hi:[1,0,1]
	v_pk_mul_f32 v[136:137], v[198:199], v[136:137] op_sel_hi:[1,0]
	v_pk_fma_f32 v[134:135], v[166:167], v[150:151], v[134:135] neg_lo:[0,0,1] neg_hi:[0,0,1]
	v_mov_b32_e32 v135, v139
	v_pk_add_f32 v[128:129], v[128:129], v[132:133]
	v_pk_fma_f32 v[138:139], v[168:169], v[152:153], v[140:141] neg_lo:[0,0,1] neg_hi:[0,0,1]
	v_mov_b32_e32 v139, v131
	v_pk_fma_f32 v[130:131], v[170:171], v[154:155], v[136:137] op_sel_hi:[1,0,1]
	s_wait_loadcnt 0x1
	v_pk_mul_f32 v[132:133], v[172:173], v[156:157] op_sel:[1,1] op_sel_hi:[0,1]
	v_pk_add_f32 v[128:129], v[128:129], v[134:135]
	v_mov_b32_e32 v130, v159
	v_pk_fma_f32 v[136:137], v[170:171], v[154:155], v[136:137] neg_lo:[0,0,1] neg_hi:[0,0,1]
	v_mov_b32_e32 v137, v131
	v_pk_fma_f32 v[134:135], v[172:173], v[156:157], v[132:133] op_sel_hi:[1,0,1]
	v_pk_add_f32 v[128:129], v[128:129], v[138:139]
	v_pk_mul_f32 v[130:131], v[200:201], v[130:131] op_sel_hi:[1,0]
	v_pk_fma_f32 v[132:133], v[172:173], v[156:157], v[132:133] neg_lo:[0,0,1] neg_hi:[0,0,1]
	s_delay_alu instid0(VALU_DEP_4) | instskip(NEXT) | instid1(VALU_DEP_4)
	v_mov_b32_e32 v133, v135
	v_pk_add_f32 v[128:129], v[128:129], v[136:137]
	s_delay_alu instid0(VALU_DEP_4) | instskip(SKIP_1) | instid1(VALU_DEP_2)
	v_pk_fma_f32 v[134:135], v[174:175], v[158:159], v[130:131] op_sel_hi:[1,0,1]
	v_pk_fma_f32 v[130:131], v[174:175], v[158:159], v[130:131] neg_lo:[0,0,1] neg_hi:[0,0,1]
	v_mov_b32_e32 v131, v135
	s_delay_alu instid0(VALU_DEP_4) | instskip(NEXT) | instid1(VALU_DEP_1)
	v_pk_add_f32 v[128:129], v[128:129], v[132:133]
	v_pk_add_f32 v[128:129], v[128:129], v[130:131]
	s_wait_loadcnt 0x0
	s_delay_alu instid0(VALU_DEP_1)
	v_pk_add_f32 v[128:129], v[192:193], v[128:129] neg_lo:[0,1] neg_hi:[0,1]
	scratch_store_b64 off, v[128:129], off offset:368
	s_wait_xcnt 0x0
	v_cmpx_lt_u32_e32 45, v0
	s_cbranch_execz .LBB126_301
; %bb.300:
	scratch_load_b64 v[128:129], off, off offset:360
	v_mov_b64_e32 v[130:131], 0
	scratch_store_b64 off, v[130:131], off offset:360
	s_wait_loadcnt 0x0
	ds_store_b64 v1, v[128:129]
.LBB126_301:
	s_wait_xcnt 0x0
	s_or_b32 exec_lo, exec_lo, s0
	s_wait_storecnt_dscnt 0x0
	s_barrier_signal -1
	s_barrier_wait -1
	s_clause 0x9
	scratch_load_b128 v[128:131], off, off offset:368
	scratch_load_b128 v[132:135], off, off offset:384
	;; [unrolled: 1-line block ×8, first 2 shown]
	scratch_load_b64 v[192:193], off, off offset:496
	scratch_load_b64 v[194:195], off, off offset:360
	v_mov_b32_e32 v7, 0
	ds_load_b128 v[160:163], v7 offset:944
	ds_load_b128 v[164:167], v7 offset:960
	ds_load_b128 v[168:171], v7 offset:976
	ds_load_b128 v[172:175], v7 offset:992
	ds_load_b128 v[176:179], v7 offset:880
	ds_load_b128 v[180:183], v7 offset:896
	ds_load_b128 v[184:187], v7 offset:912
	ds_load_b128 v[188:191], v7 offset:928
	ds_load_b64 v[196:197], v7 offset:1008
	s_mov_b32 s0, exec_lo
	s_wait_dscnt 0x8
	v_dual_mov_b32 v198, v163 :: v_dual_mov_b32 v199, v162
	s_wait_dscnt 0x5
	v_dual_mov_b32 v200, v167 :: v_dual_mov_b32 v205, v174
	v_dual_mov_b32 v201, v166 :: v_dual_mov_b32 v202, v171
	;; [unrolled: 1-line block ×3, first 2 shown]
	s_wait_loadcnt_dscnt 0x904
	v_dual_mul_f32 v9, v176, v129 :: v_dual_mul_f32 v23, v177, v129
	v_dual_mul_f32 v25, v179, v131 :: v_dual_mul_f32 v11, v178, v131
	s_wait_loadcnt_dscnt 0x803
	v_mul_f32_e32 v13, v180, v133
	s_wait_loadcnt_dscnt 0x601
	v_dual_mul_f32 v35, v189, v141 :: v_dual_fma_f32 v23, v176, v128, -v23
	v_dual_fmac_f32 v9, v177, v128 :: v_dual_mul_f32 v37, v191, v143
	v_dual_mul_f32 v27, v181, v133 :: v_dual_mul_f32 v29, v183, v135
	v_dual_fmac_f32 v11, v179, v130 :: v_dual_fma_f32 v25, v178, v130, -v25
	s_delay_alu instid0(VALU_DEP_3)
	v_dual_add_f32 v9, 0, v9 :: v_dual_add_f32 v23, 0, v23
	v_dual_mul_f32 v15, v182, v135 :: v_dual_mul_f32 v17, v184, v137
	s_wait_loadcnt 0x5
	v_dual_mul_f32 v39, v161, v145 :: v_dual_fma_f32 v27, v180, v132, -v27
	v_fmac_f32_e32 v13, v181, v132
	v_dual_add_f32 v9, v9, v11 :: v_dual_mov_b32 v128, v147
	v_add_f32_e32 v11, v23, v25
	v_dual_mul_f32 v31, v185, v137 :: v_dual_mul_f32 v33, v187, v139
	v_dual_fmac_f32 v15, v183, v134 :: v_dual_fma_f32 v23, v182, v134, -v29
	s_delay_alu instid0(VALU_DEP_3) | instskip(SKIP_1) | instid1(VALU_DEP_4)
	v_dual_add_f32 v9, v9, v13 :: v_dual_add_f32 v11, v11, v27
	v_dual_mul_f32 v19, v186, v139 :: v_dual_mul_f32 v21, v188, v141
	v_dual_fmac_f32 v17, v185, v136 :: v_dual_fma_f32 v13, v184, v136, -v31
	s_wait_loadcnt 0x4
	s_delay_alu instid0(VALU_DEP_3) | instskip(SKIP_1) | instid1(VALU_DEP_2)
	v_dual_add_f32 v9, v9, v15 :: v_dual_mov_b32 v132, v151
	v_dual_add_f32 v11, v11, v23 :: v_dual_fma_f32 v15, v186, v138, -v33
	v_dual_fmac_f32 v19, v187, v138 :: v_dual_add_f32 v9, v9, v17
	v_dual_mul_f32 v207, v190, v143 :: v_dual_mul_f32 v209, v160, v145
	s_delay_alu instid0(VALU_DEP_3) | instskip(NEXT) | instid1(VALU_DEP_3)
	v_dual_add_f32 v11, v11, v13 :: v_dual_fmac_f32 v21, v189, v140
	v_dual_fma_f32 v13, v188, v140, -v35 :: v_dual_add_f32 v9, v9, v19
	s_delay_alu instid0(VALU_DEP_3) | instskip(NEXT) | instid1(VALU_DEP_3)
	v_fmac_f32_e32 v207, v191, v142
	v_dual_add_f32 v11, v11, v15 :: v_dual_fma_f32 v206, v190, v142, -v37
	v_pk_mul_f32 v[128:129], v[198:199], v[128:129] op_sel_hi:[1,0]
	s_delay_alu instid0(VALU_DEP_4) | instskip(SKIP_1) | instid1(VALU_DEP_4)
	v_add_f32_e32 v137, v9, v21
	v_pk_mul_f32 v[130:131], v[164:165], v[148:149] op_sel:[1,1] op_sel_hi:[0,1]
	v_dual_add_f32 v136, v11, v13 :: v_dual_fmac_f32 v209, v161, v144
	s_wait_loadcnt 0x3
	v_dual_mov_b32 v138, v155 :: v_dual_fma_f32 v208, v160, v144, -v39
	v_pk_fma_f32 v[140:141], v[162:163], v[146:147], v[128:129] op_sel_hi:[1,0,1]
	s_delay_alu instid0(VALU_DEP_3)
	v_pk_add_f32 v[136:137], v[136:137], v[206:207]
	v_pk_fma_f32 v[128:129], v[162:163], v[146:147], v[128:129] neg_lo:[0,0,1] neg_hi:[0,0,1]
	v_pk_fma_f32 v[142:143], v[164:165], v[148:149], v[130:131] op_sel_hi:[1,0,1]
	v_pk_mul_f32 v[132:133], v[200:201], v[132:133] op_sel_hi:[1,0]
	v_mov_b32_e32 v129, v141
	v_pk_add_f32 v[136:137], v[136:137], v[208:209]
	v_pk_fma_f32 v[130:131], v[164:165], v[148:149], v[130:131] neg_lo:[0,0,1] neg_hi:[0,0,1]
	v_pk_mul_f32 v[134:135], v[168:169], v[152:153] op_sel:[1,1] op_sel_hi:[0,1]
	v_mov_b32_e32 v131, v143
	v_pk_fma_f32 v[142:143], v[166:167], v[150:151], v[132:133] op_sel_hi:[1,0,1]
	v_pk_add_f32 v[128:129], v[136:137], v[128:129]
	v_pk_fma_f32 v[132:133], v[166:167], v[150:151], v[132:133] neg_lo:[0,0,1] neg_hi:[0,0,1]
	v_pk_fma_f32 v[136:137], v[168:169], v[152:153], v[134:135] op_sel_hi:[1,0,1]
	v_pk_mul_f32 v[138:139], v[202:203], v[138:139] op_sel_hi:[1,0]
	v_mov_b32_e32 v133, v143
	v_pk_add_f32 v[128:129], v[128:129], v[130:131]
	v_pk_fma_f32 v[134:135], v[168:169], v[152:153], v[134:135] neg_lo:[0,0,1] neg_hi:[0,0,1]
	s_wait_loadcnt 0x2
	v_pk_mul_f32 v[140:141], v[172:173], v[156:157] op_sel:[1,1] op_sel_hi:[0,1]
	v_dual_mov_b32 v130, v159 :: v_dual_mov_b32 v135, v137
	v_pk_fma_f32 v[136:137], v[170:171], v[154:155], v[138:139] op_sel_hi:[1,0,1]
	v_pk_add_f32 v[128:129], v[128:129], v[132:133]
	v_pk_fma_f32 v[138:139], v[170:171], v[154:155], v[138:139] neg_lo:[0,0,1] neg_hi:[0,0,1]
	v_pk_fma_f32 v[132:133], v[172:173], v[156:157], v[140:141] op_sel_hi:[1,0,1]
	v_pk_mul_f32 v[130:131], v[204:205], v[130:131] op_sel_hi:[1,0]
	v_mov_b32_e32 v139, v137
	v_pk_add_f32 v[128:129], v[128:129], v[134:135]
	v_pk_fma_f32 v[134:135], v[172:173], v[156:157], v[140:141] neg_lo:[0,0,1] neg_hi:[0,0,1]
	v_mov_b32_e32 v135, v133
	v_pk_fma_f32 v[132:133], v[174:175], v[158:159], v[130:131] op_sel_hi:[1,0,1]
	s_wait_loadcnt_dscnt 0x100
	v_pk_mul_f32 v[136:137], v[196:197], v[192:193] op_sel:[1,1] op_sel_hi:[0,1]
	v_pk_add_f32 v[128:129], v[128:129], v[138:139]
	v_pk_fma_f32 v[130:131], v[174:175], v[158:159], v[130:131] neg_lo:[0,0,1] neg_hi:[0,0,1]
	v_mov_b32_e32 v131, v133
	s_delay_alu instid0(VALU_DEP_4) | instskip(NEXT) | instid1(VALU_DEP_4)
	v_pk_fma_f32 v[132:133], v[196:197], v[192:193], v[136:137] op_sel_hi:[1,0,1]
	v_pk_add_f32 v[128:129], v[128:129], v[134:135]
	v_pk_fma_f32 v[134:135], v[196:197], v[192:193], v[136:137] neg_lo:[0,0,1] neg_hi:[0,0,1]
	s_delay_alu instid0(VALU_DEP_3) | instskip(NEXT) | instid1(VALU_DEP_3)
	v_mov_b32_e32 v135, v133
	v_pk_add_f32 v[128:129], v[128:129], v[130:131]
	s_delay_alu instid0(VALU_DEP_1) | instskip(SKIP_1) | instid1(VALU_DEP_1)
	v_pk_add_f32 v[128:129], v[128:129], v[134:135]
	s_wait_loadcnt 0x0
	v_pk_add_f32 v[128:129], v[194:195], v[128:129] neg_lo:[0,1] neg_hi:[0,1]
	scratch_store_b64 off, v[128:129], off offset:360
	s_wait_xcnt 0x0
	v_cmpx_lt_u32_e32 44, v0
	s_cbranch_execz .LBB126_303
; %bb.302:
	scratch_load_b64 v[128:129], off, off offset:352
	v_mov_b64_e32 v[130:131], 0
	scratch_store_b64 off, v[130:131], off offset:352
	s_wait_loadcnt 0x0
	ds_store_b64 v1, v[128:129]
.LBB126_303:
	s_wait_xcnt 0x0
	s_or_b32 exec_lo, exec_lo, s0
	s_wait_storecnt_dscnt 0x0
	s_barrier_signal -1
	s_barrier_wait -1
	s_clause 0x9
	scratch_load_b128 v[128:131], off, off offset:360
	scratch_load_b128 v[132:135], off, off offset:376
	;; [unrolled: 1-line block ×9, first 2 shown]
	scratch_load_b64 v[200:201], off, off offset:352
	ds_load_2addr_b64 v[164:167], v7 offset0:119 offset1:120
	ds_load_2addr_b64 v[168:171], v7 offset0:121 offset1:122
	;; [unrolled: 1-line block ×9, first 2 shown]
	s_mov_b32 s0, exec_lo
	s_wait_dscnt 0x8
	v_dual_mov_b32 v202, v167 :: v_dual_mov_b32 v203, v166
	s_wait_dscnt 0x7
	v_dual_mov_b32 v204, v171 :: v_dual_mov_b32 v205, v170
	;; [unrolled: 2-line block ×4, first 2 shown]
	s_wait_loadcnt_dscnt 0x904
	v_dual_mul_f32 v7, v180, v129 :: v_dual_mul_f32 v9, v182, v131
	v_dual_mul_f32 v23, v181, v129 :: v_dual_mul_f32 v25, v183, v131
	s_wait_loadcnt_dscnt 0x803
	v_dual_mul_f32 v11, v184, v133 :: v_dual_mul_f32 v13, v186, v135
	s_delay_alu instid0(VALU_DEP_3) | instskip(SKIP_3) | instid1(VALU_DEP_3)
	v_dual_fmac_f32 v7, v181, v128 :: v_dual_fmac_f32 v9, v183, v130
	s_wait_loadcnt_dscnt 0x601
	v_dual_fma_f32 v23, v180, v128, -v23 :: v_dual_mul_f32 v35, v193, v141
	v_dual_mul_f32 v27, v185, v133 :: v_dual_mul_f32 v29, v187, v135
	v_dual_fma_f32 v25, v182, v130, -v25 :: v_dual_add_f32 v7, 0, v7
	s_delay_alu instid0(VALU_DEP_3) | instskip(SKIP_1) | instid1(VALU_DEP_4)
	v_dual_add_f32 v23, 0, v23 :: v_dual_fmac_f32 v11, v185, v132
	v_dual_mul_f32 v15, v188, v137 :: v_dual_mul_f32 v17, v190, v139
	v_dual_mul_f32 v37, v195, v143 :: v_dual_fma_f32 v27, v184, v132, -v27
	s_delay_alu instid0(VALU_DEP_4) | instskip(NEXT) | instid1(VALU_DEP_3)
	v_add_f32_e32 v7, v7, v9
	v_dual_add_f32 v9, v23, v25 :: v_dual_fmac_f32 v15, v189, v136
	v_dual_mul_f32 v31, v189, v137 :: v_dual_mul_f32 v33, v191, v139
	s_wait_loadcnt_dscnt 0x500
	v_dual_mul_f32 v23, v197, v145 :: v_dual_fmac_f32 v13, v187, v134
	v_dual_fma_f32 v25, v186, v134, -v29 :: v_dual_add_f32 v7, v7, v11
	s_delay_alu instid0(VALU_DEP_3) | instskip(SKIP_1) | instid1(VALU_DEP_3)
	v_dual_add_f32 v9, v9, v27 :: v_dual_fma_f32 v27, v188, v136, -v31
	v_dual_mul_f32 v19, v192, v141 :: v_dual_mul_f32 v21, v194, v143
	v_add_f32_e32 v7, v7, v13
	s_delay_alu instid0(VALU_DEP_3) | instskip(SKIP_1) | instid1(VALU_DEP_3)
	v_dual_mul_f32 v11, v199, v147 :: v_dual_add_f32 v9, v9, v25
	v_fmac_f32_e32 v17, v191, v138
	v_dual_fma_f32 v13, v190, v138, -v33 :: v_dual_add_f32 v7, v7, v15
	s_wait_loadcnt 0x4
	v_dual_mov_b32 v130, v151 :: v_dual_fmac_f32 v19, v193, v140
	v_dual_add_f32 v9, v9, v27 :: v_dual_fma_f32 v15, v192, v140, -v35
	s_delay_alu instid0(VALU_DEP_3) | instskip(SKIP_1) | instid1(VALU_DEP_3)
	v_add_f32_e32 v7, v7, v17
	v_dual_mul_f32 v211, v196, v145 :: v_dual_mul_f32 v213, v198, v147
	v_dual_add_f32 v9, v9, v13 :: v_dual_fmac_f32 v21, v195, v142
	s_delay_alu instid0(VALU_DEP_3) | instskip(SKIP_2) | instid1(VALU_DEP_3)
	v_dual_fma_f32 v13, v194, v142, -v37 :: v_dual_add_f32 v7, v7, v19
	v_pk_mul_f32 v[128:129], v[164:165], v[148:149] op_sel:[1,1] op_sel_hi:[0,1]
	s_wait_loadcnt 0x3
	v_dual_add_f32 v9, v9, v15 :: v_dual_mov_b32 v134, v155
	s_delay_alu instid0(VALU_DEP_3) | instskip(NEXT) | instid1(VALU_DEP_2)
	v_dual_fmac_f32 v211, v197, v144 :: v_dual_add_f32 v137, v7, v21
	v_dual_fma_f32 v210, v196, v144, -v23 :: v_dual_add_f32 v136, v9, v13
	v_dual_fmac_f32 v213, v199, v146 :: v_dual_fma_f32 v212, v198, v146, -v11
	v_pk_fma_f32 v[138:139], v[164:165], v[148:149], v[128:129] op_sel_hi:[1,0,1]
	v_pk_mul_f32 v[130:131], v[202:203], v[130:131] op_sel_hi:[1,0]
	s_delay_alu instid0(VALU_DEP_4)
	v_pk_add_f32 v[136:137], v[136:137], v[210:211]
	v_pk_fma_f32 v[128:129], v[164:165], v[148:149], v[128:129] neg_lo:[0,0,1] neg_hi:[0,0,1]
	v_pk_mul_f32 v[132:133], v[168:169], v[152:153] op_sel:[1,1] op_sel_hi:[0,1]
	v_mov_b32_e32 v129, v139
	v_pk_fma_f32 v[138:139], v[166:167], v[150:151], v[130:131] op_sel_hi:[1,0,1]
	v_pk_add_f32 v[136:137], v[136:137], v[212:213]
	v_pk_fma_f32 v[130:131], v[166:167], v[150:151], v[130:131] neg_lo:[0,0,1] neg_hi:[0,0,1]
	v_pk_fma_f32 v[142:143], v[168:169], v[152:153], v[132:133] op_sel_hi:[1,0,1]
	v_pk_mul_f32 v[134:135], v[204:205], v[134:135] op_sel_hi:[1,0]
	v_mov_b32_e32 v131, v139
	v_pk_add_f32 v[128:129], v[136:137], v[128:129]
	s_wait_loadcnt 0x2
	v_pk_mul_f32 v[140:141], v[172:173], v[156:157] op_sel:[1,1] op_sel_hi:[0,1]
	v_mov_b32_e32 v136, v159
	v_pk_fma_f32 v[132:133], v[168:169], v[152:153], v[132:133] neg_lo:[0,0,1] neg_hi:[0,0,1]
	v_mov_b32_e32 v133, v143
	v_pk_fma_f32 v[138:139], v[170:171], v[154:155], v[134:135] op_sel_hi:[1,0,1]
	v_pk_add_f32 v[128:129], v[128:129], v[130:131]
	v_pk_fma_f32 v[130:131], v[172:173], v[156:157], v[140:141] op_sel_hi:[1,0,1]
	v_pk_mul_f32 v[136:137], v[206:207], v[136:137] op_sel_hi:[1,0]
	v_pk_fma_f32 v[134:135], v[170:171], v[154:155], v[134:135] neg_lo:[0,0,1] neg_hi:[0,0,1]
	v_mov_b32_e32 v135, v139
	v_pk_add_f32 v[128:129], v[128:129], v[132:133]
	v_pk_fma_f32 v[138:139], v[172:173], v[156:157], v[140:141] neg_lo:[0,0,1] neg_hi:[0,0,1]
	v_mov_b32_e32 v139, v131
	v_pk_fma_f32 v[130:131], v[174:175], v[158:159], v[136:137] op_sel_hi:[1,0,1]
	s_wait_loadcnt 0x1
	v_pk_mul_f32 v[132:133], v[176:177], v[160:161] op_sel:[1,1] op_sel_hi:[0,1]
	v_pk_add_f32 v[128:129], v[128:129], v[134:135]
	v_mov_b32_e32 v130, v163
	v_pk_fma_f32 v[136:137], v[174:175], v[158:159], v[136:137] neg_lo:[0,0,1] neg_hi:[0,0,1]
	v_mov_b32_e32 v137, v131
	v_pk_fma_f32 v[134:135], v[176:177], v[160:161], v[132:133] op_sel_hi:[1,0,1]
	v_pk_add_f32 v[128:129], v[128:129], v[138:139]
	v_pk_mul_f32 v[130:131], v[208:209], v[130:131] op_sel_hi:[1,0]
	v_pk_fma_f32 v[132:133], v[176:177], v[160:161], v[132:133] neg_lo:[0,0,1] neg_hi:[0,0,1]
	s_delay_alu instid0(VALU_DEP_4) | instskip(NEXT) | instid1(VALU_DEP_4)
	v_mov_b32_e32 v133, v135
	v_pk_add_f32 v[128:129], v[128:129], v[136:137]
	s_delay_alu instid0(VALU_DEP_4) | instskip(SKIP_1) | instid1(VALU_DEP_2)
	v_pk_fma_f32 v[134:135], v[178:179], v[162:163], v[130:131] op_sel_hi:[1,0,1]
	v_pk_fma_f32 v[130:131], v[178:179], v[162:163], v[130:131] neg_lo:[0,0,1] neg_hi:[0,0,1]
	v_mov_b32_e32 v131, v135
	s_delay_alu instid0(VALU_DEP_4) | instskip(NEXT) | instid1(VALU_DEP_1)
	v_pk_add_f32 v[128:129], v[128:129], v[132:133]
	v_pk_add_f32 v[128:129], v[128:129], v[130:131]
	s_wait_loadcnt 0x0
	s_delay_alu instid0(VALU_DEP_1)
	v_pk_add_f32 v[128:129], v[200:201], v[128:129] neg_lo:[0,1] neg_hi:[0,1]
	scratch_store_b64 off, v[128:129], off offset:352
	s_wait_xcnt 0x0
	v_cmpx_lt_u32_e32 43, v0
	s_cbranch_execz .LBB126_305
; %bb.304:
	scratch_load_b64 v[128:129], off, off offset:344
	v_mov_b64_e32 v[130:131], 0
	scratch_store_b64 off, v[130:131], off offset:344
	s_wait_loadcnt 0x0
	ds_store_b64 v1, v[128:129]
.LBB126_305:
	s_wait_xcnt 0x0
	s_or_b32 exec_lo, exec_lo, s0
	s_wait_storecnt_dscnt 0x0
	s_barrier_signal -1
	s_barrier_wait -1
	s_clause 0xa
	scratch_load_b128 v[128:131], off, off offset:352
	scratch_load_b128 v[132:135], off, off offset:368
	;; [unrolled: 1-line block ×9, first 2 shown]
	scratch_load_b64 v[200:201], off, off offset:496
	scratch_load_b64 v[202:203], off, off offset:344
	v_mov_b32_e32 v7, 0
	ds_load_b128 v[164:167], v7 offset:944
	ds_load_b128 v[168:171], v7 offset:960
	;; [unrolled: 1-line block ×9, first 2 shown]
	ds_load_b64 v[204:205], v7 offset:1008
	s_mov_b32 s0, exec_lo
	s_wait_dscnt 0x9
	v_dual_mov_b32 v206, v167 :: v_dual_mov_b32 v207, v166
	s_wait_dscnt 0x6
	v_dual_mov_b32 v208, v171 :: v_dual_mov_b32 v213, v178
	v_dual_mov_b32 v209, v170 :: v_dual_mov_b32 v210, v175
	;; [unrolled: 1-line block ×3, first 2 shown]
	s_wait_loadcnt_dscnt 0xa05
	v_dual_mul_f32 v9, v180, v129 :: v_dual_mul_f32 v27, v181, v129
	v_dual_mul_f32 v29, v183, v131 :: v_dual_mul_f32 v11, v182, v131
	s_wait_loadcnt_dscnt 0x904
	v_mul_f32_e32 v13, v184, v133
	s_wait_loadcnt_dscnt 0x702
	v_dual_mul_f32 v39, v193, v141 :: v_dual_fma_f32 v27, v180, v128, -v27
	v_dual_fmac_f32 v9, v181, v128 :: v_dual_mul_f32 v41, v195, v143
	v_dual_mul_f32 v31, v185, v133 :: v_dual_mul_f32 v33, v187, v135
	v_dual_fmac_f32 v11, v183, v130 :: v_dual_fma_f32 v29, v182, v130, -v29
	s_delay_alu instid0(VALU_DEP_3) | instskip(SKIP_4) | instid1(VALU_DEP_3)
	v_dual_add_f32 v9, 0, v9 :: v_dual_add_f32 v27, 0, v27
	v_dual_mul_f32 v15, v186, v135 :: v_dual_mul_f32 v17, v188, v137
	s_wait_loadcnt_dscnt 0x601
	v_dual_mul_f32 v43, v197, v145 :: v_dual_fma_f32 v31, v184, v132, -v31
	v_fmac_f32_e32 v13, v185, v132
	v_dual_add_f32 v9, v9, v11 :: v_dual_fmac_f32 v15, v187, v134
	v_add_f32_e32 v11, v27, v29
	v_dual_mul_f32 v35, v189, v137 :: v_dual_mul_f32 v37, v191, v139
	v_dual_mul_f32 v27, v199, v147 :: v_dual_fma_f32 v29, v186, v134, -v33
	s_delay_alu instid0(VALU_DEP_3) | instskip(SKIP_3) | instid1(VALU_DEP_3)
	v_dual_add_f32 v9, v9, v13 :: v_dual_add_f32 v11, v11, v31
	v_dual_mul_f32 v19, v190, v139 :: v_dual_mul_f32 v21, v192, v141
	s_wait_loadcnt 0x5
	v_dual_mul_f32 v13, v165, v149 :: v_dual_fma_f32 v31, v188, v136, -v35
	v_dual_fmac_f32 v17, v189, v136 :: v_dual_add_f32 v11, v11, v29
	v_dual_add_f32 v9, v9, v15 :: v_dual_mov_b32 v128, v151
	v_dual_fmac_f32 v19, v191, v138 :: v_dual_fma_f32 v15, v190, v138, -v37
	s_delay_alu instid0(VALU_DEP_2) | instskip(SKIP_3) | instid1(VALU_DEP_3)
	v_dual_add_f32 v11, v11, v31 :: v_dual_add_f32 v9, v9, v17
	v_dual_mul_f32 v23, v194, v143 :: v_dual_mul_f32 v25, v196, v145
	v_dual_fmac_f32 v21, v193, v140 :: v_dual_fma_f32 v17, v192, v140, -v39
	s_wait_loadcnt 0x4
	v_dual_add_f32 v9, v9, v19 :: v_dual_mov_b32 v132, v155
	v_dual_add_f32 v11, v11, v15 :: v_dual_fma_f32 v15, v194, v142, -v41
	s_delay_alu instid0(VALU_DEP_2) | instskip(SKIP_1) | instid1(VALU_DEP_3)
	v_dual_fmac_f32 v23, v195, v142 :: v_dual_add_f32 v9, v9, v21
	v_dual_mul_f32 v215, v198, v147 :: v_dual_mul_f32 v217, v164, v149
	v_dual_add_f32 v11, v11, v17 :: v_dual_fmac_f32 v25, v197, v144
	s_delay_alu instid0(VALU_DEP_3) | instskip(NEXT) | instid1(VALU_DEP_3)
	v_dual_fma_f32 v17, v196, v144, -v43 :: v_dual_add_f32 v9, v9, v23
	v_fmac_f32_e32 v215, v199, v146
	s_delay_alu instid0(VALU_DEP_3) | instskip(SKIP_1) | instid1(VALU_DEP_4)
	v_dual_add_f32 v11, v11, v15 :: v_dual_fma_f32 v214, v198, v146, -v27
	v_pk_mul_f32 v[128:129], v[206:207], v[128:129] op_sel_hi:[1,0]
	v_add_f32_e32 v137, v9, v25
	v_pk_mul_f32 v[130:131], v[168:169], v[152:153] op_sel:[1,1] op_sel_hi:[0,1]
	s_delay_alu instid0(VALU_DEP_4) | instskip(SKIP_3) | instid1(VALU_DEP_3)
	v_dual_add_f32 v136, v11, v17 :: v_dual_fmac_f32 v217, v165, v148
	s_wait_loadcnt 0x3
	v_dual_mov_b32 v138, v159 :: v_dual_fma_f32 v216, v164, v148, -v13
	v_pk_fma_f32 v[140:141], v[166:167], v[150:151], v[128:129] op_sel_hi:[1,0,1]
	v_pk_add_f32 v[136:137], v[136:137], v[214:215]
	v_pk_fma_f32 v[128:129], v[166:167], v[150:151], v[128:129] neg_lo:[0,0,1] neg_hi:[0,0,1]
	v_pk_fma_f32 v[142:143], v[168:169], v[152:153], v[130:131] op_sel_hi:[1,0,1]
	v_pk_mul_f32 v[132:133], v[208:209], v[132:133] op_sel_hi:[1,0]
	v_mov_b32_e32 v129, v141
	v_pk_add_f32 v[136:137], v[136:137], v[216:217]
	v_pk_fma_f32 v[130:131], v[168:169], v[152:153], v[130:131] neg_lo:[0,0,1] neg_hi:[0,0,1]
	v_pk_mul_f32 v[134:135], v[172:173], v[156:157] op_sel:[1,1] op_sel_hi:[0,1]
	v_mov_b32_e32 v131, v143
	v_pk_fma_f32 v[142:143], v[170:171], v[154:155], v[132:133] op_sel_hi:[1,0,1]
	v_pk_add_f32 v[128:129], v[136:137], v[128:129]
	v_pk_fma_f32 v[132:133], v[170:171], v[154:155], v[132:133] neg_lo:[0,0,1] neg_hi:[0,0,1]
	v_pk_fma_f32 v[136:137], v[172:173], v[156:157], v[134:135] op_sel_hi:[1,0,1]
	v_pk_mul_f32 v[138:139], v[210:211], v[138:139] op_sel_hi:[1,0]
	v_mov_b32_e32 v133, v143
	v_pk_add_f32 v[128:129], v[128:129], v[130:131]
	v_pk_fma_f32 v[134:135], v[172:173], v[156:157], v[134:135] neg_lo:[0,0,1] neg_hi:[0,0,1]
	s_wait_loadcnt 0x2
	v_pk_mul_f32 v[140:141], v[176:177], v[160:161] op_sel:[1,1] op_sel_hi:[0,1]
	v_dual_mov_b32 v130, v163 :: v_dual_mov_b32 v135, v137
	v_pk_fma_f32 v[136:137], v[174:175], v[158:159], v[138:139] op_sel_hi:[1,0,1]
	v_pk_add_f32 v[128:129], v[128:129], v[132:133]
	v_pk_fma_f32 v[138:139], v[174:175], v[158:159], v[138:139] neg_lo:[0,0,1] neg_hi:[0,0,1]
	v_pk_fma_f32 v[132:133], v[176:177], v[160:161], v[140:141] op_sel_hi:[1,0,1]
	v_pk_mul_f32 v[130:131], v[212:213], v[130:131] op_sel_hi:[1,0]
	v_mov_b32_e32 v139, v137
	v_pk_add_f32 v[128:129], v[128:129], v[134:135]
	v_pk_fma_f32 v[134:135], v[176:177], v[160:161], v[140:141] neg_lo:[0,0,1] neg_hi:[0,0,1]
	v_mov_b32_e32 v135, v133
	v_pk_fma_f32 v[132:133], v[178:179], v[162:163], v[130:131] op_sel_hi:[1,0,1]
	s_wait_loadcnt_dscnt 0x100
	v_pk_mul_f32 v[136:137], v[204:205], v[200:201] op_sel:[1,1] op_sel_hi:[0,1]
	v_pk_add_f32 v[128:129], v[128:129], v[138:139]
	v_pk_fma_f32 v[130:131], v[178:179], v[162:163], v[130:131] neg_lo:[0,0,1] neg_hi:[0,0,1]
	v_mov_b32_e32 v131, v133
	s_delay_alu instid0(VALU_DEP_4) | instskip(NEXT) | instid1(VALU_DEP_4)
	v_pk_fma_f32 v[132:133], v[204:205], v[200:201], v[136:137] op_sel_hi:[1,0,1]
	v_pk_add_f32 v[128:129], v[128:129], v[134:135]
	v_pk_fma_f32 v[134:135], v[204:205], v[200:201], v[136:137] neg_lo:[0,0,1] neg_hi:[0,0,1]
	s_delay_alu instid0(VALU_DEP_3) | instskip(NEXT) | instid1(VALU_DEP_3)
	v_mov_b32_e32 v135, v133
	v_pk_add_f32 v[128:129], v[128:129], v[130:131]
	s_delay_alu instid0(VALU_DEP_1) | instskip(SKIP_1) | instid1(VALU_DEP_1)
	v_pk_add_f32 v[128:129], v[128:129], v[134:135]
	s_wait_loadcnt 0x0
	v_pk_add_f32 v[128:129], v[202:203], v[128:129] neg_lo:[0,1] neg_hi:[0,1]
	scratch_store_b64 off, v[128:129], off offset:344
	s_wait_xcnt 0x0
	v_cmpx_lt_u32_e32 42, v0
	s_cbranch_execz .LBB126_307
; %bb.306:
	scratch_load_b64 v[128:129], off, off offset:336
	v_mov_b64_e32 v[130:131], 0
	scratch_store_b64 off, v[130:131], off offset:336
	s_wait_loadcnt 0x0
	ds_store_b64 v1, v[128:129]
.LBB126_307:
	s_wait_xcnt 0x0
	s_or_b32 exec_lo, exec_lo, s0
	s_wait_storecnt_dscnt 0x0
	s_barrier_signal -1
	s_barrier_wait -1
	s_clause 0xa
	scratch_load_b128 v[128:131], off, off offset:344
	scratch_load_b128 v[132:135], off, off offset:360
	;; [unrolled: 1-line block ×10, first 2 shown]
	scratch_load_b64 v[208:209], off, off offset:336
	ds_load_2addr_b64 v[168:171], v7 offset0:119 offset1:120
	ds_load_2addr_b64 v[172:175], v7 offset0:121 offset1:122
	ds_load_2addr_b64 v[176:179], v7 offset0:123 offset1:124
	ds_load_2addr_b64 v[180:183], v7 offset0:125 offset1:126
	ds_load_2addr_b64 v[184:187], v7 offset0:107 offset1:108
	ds_load_2addr_b64 v[188:191], v7 offset0:109 offset1:110
	ds_load_2addr_b64 v[192:195], v7 offset0:111 offset1:112
	ds_load_2addr_b64 v[196:199], v7 offset0:113 offset1:114
	ds_load_2addr_b64 v[200:203], v7 offset0:115 offset1:116
	ds_load_2addr_b64 v[204:207], v7 offset0:117 offset1:118
	s_mov_b32 s0, exec_lo
	s_wait_dscnt 0x9
	v_dual_mov_b32 v210, v171 :: v_dual_mov_b32 v211, v170
	s_wait_dscnt 0x8
	v_dual_mov_b32 v212, v175 :: v_dual_mov_b32 v213, v174
	;; [unrolled: 2-line block ×4, first 2 shown]
	s_wait_loadcnt_dscnt 0xa05
	v_dual_mul_f32 v7, v184, v129 :: v_dual_mul_f32 v9, v186, v131
	v_dual_mul_f32 v27, v185, v129 :: v_dual_mul_f32 v29, v187, v131
	s_wait_loadcnt_dscnt 0x904
	v_dual_mul_f32 v11, v188, v133 :: v_dual_mul_f32 v13, v190, v135
	s_delay_alu instid0(VALU_DEP_3) | instskip(SKIP_3) | instid1(VALU_DEP_3)
	v_dual_fmac_f32 v7, v185, v128 :: v_dual_fmac_f32 v9, v187, v130
	s_wait_loadcnt_dscnt 0x702
	v_dual_fma_f32 v27, v184, v128, -v27 :: v_dual_mul_f32 v39, v197, v141
	v_dual_mul_f32 v31, v189, v133 :: v_dual_mul_f32 v33, v191, v135
	v_dual_fma_f32 v29, v186, v130, -v29 :: v_dual_add_f32 v7, 0, v7
	s_delay_alu instid0(VALU_DEP_3) | instskip(SKIP_1) | instid1(VALU_DEP_4)
	v_dual_add_f32 v27, 0, v27 :: v_dual_fmac_f32 v11, v189, v132
	v_dual_mul_f32 v15, v192, v137 :: v_dual_mul_f32 v17, v194, v139
	v_dual_mul_f32 v41, v199, v143 :: v_dual_fma_f32 v31, v188, v132, -v31
	s_delay_alu instid0(VALU_DEP_4) | instskip(NEXT) | instid1(VALU_DEP_3)
	v_add_f32_e32 v7, v7, v9
	v_dual_add_f32 v9, v27, v29 :: v_dual_fmac_f32 v15, v193, v136
	v_dual_mul_f32 v35, v193, v137 :: v_dual_mul_f32 v37, v195, v139
	s_wait_loadcnt_dscnt 0x601
	v_dual_mul_f32 v27, v201, v145 :: v_dual_fmac_f32 v13, v191, v134
	v_dual_fma_f32 v29, v190, v134, -v33 :: v_dual_add_f32 v7, v7, v11
	s_delay_alu instid0(VALU_DEP_3) | instskip(SKIP_1) | instid1(VALU_DEP_3)
	v_dual_add_f32 v9, v9, v31 :: v_dual_fma_f32 v31, v192, v136, -v35
	v_dual_mul_f32 v19, v196, v141 :: v_dual_mul_f32 v21, v198, v143
	v_add_f32_e32 v7, v7, v13
	s_delay_alu instid0(VALU_DEP_3) | instskip(SKIP_2) | instid1(VALU_DEP_3)
	v_dual_mul_f32 v11, v203, v147 :: v_dual_add_f32 v9, v9, v29
	s_wait_loadcnt_dscnt 0x500
	v_dual_mul_f32 v13, v205, v149 :: v_dual_fmac_f32 v17, v195, v138
	v_dual_fma_f32 v29, v194, v138, -v37 :: v_dual_add_f32 v7, v7, v15
	s_delay_alu instid0(VALU_DEP_3) | instskip(SKIP_1) | instid1(VALU_DEP_3)
	v_dual_add_f32 v9, v9, v31 :: v_dual_fma_f32 v31, v196, v140, -v39
	v_dual_mul_f32 v15, v207, v151 :: v_dual_fmac_f32 v19, v197, v140
	v_dual_add_f32 v7, v7, v17 :: v_dual_fma_f32 v17, v198, v142, -v41
	s_delay_alu instid0(VALU_DEP_3) | instskip(SKIP_1) | instid1(VALU_DEP_3)
	v_dual_add_f32 v9, v9, v29 :: v_dual_fmac_f32 v21, v199, v142
	v_dual_mul_f32 v23, v200, v145 :: v_dual_mul_f32 v25, v202, v147
	v_add_f32_e32 v7, v7, v19
	s_wait_loadcnt 0x4
	s_delay_alu instid0(VALU_DEP_3) | instskip(NEXT) | instid1(VALU_DEP_3)
	v_dual_add_f32 v9, v9, v31 :: v_dual_mov_b32 v130, v155
	v_fmac_f32_e32 v23, v201, v144
	s_delay_alu instid0(VALU_DEP_3) | instskip(NEXT) | instid1(VALU_DEP_3)
	v_dual_fma_f32 v19, v200, v144, -v27 :: v_dual_add_f32 v7, v7, v21
	v_dual_add_f32 v9, v9, v17 :: v_dual_fmac_f32 v25, v203, v146
	v_dual_mul_f32 v219, v204, v149 :: v_dual_mul_f32 v221, v206, v151
	s_delay_alu instid0(VALU_DEP_3) | instskip(SKIP_1) | instid1(VALU_DEP_3)
	v_dual_fma_f32 v11, v202, v146, -v11 :: v_dual_add_f32 v7, v7, v23
	s_wait_loadcnt 0x3
	v_dual_add_f32 v9, v9, v19 :: v_dual_mov_b32 v134, v159
	v_pk_mul_f32 v[128:129], v[168:169], v[152:153] op_sel:[1,1] op_sel_hi:[0,1]
	v_dual_fmac_f32 v219, v205, v148 :: v_dual_fma_f32 v218, v204, v148, -v13
	s_delay_alu instid0(VALU_DEP_3) | instskip(SKIP_1) | instid1(VALU_DEP_4)
	v_dual_add_f32 v137, v7, v25 :: v_dual_add_f32 v136, v9, v11
	v_dual_fmac_f32 v221, v207, v150 :: v_dual_fma_f32 v220, v206, v150, -v15
	v_pk_fma_f32 v[138:139], v[168:169], v[152:153], v[128:129] op_sel_hi:[1,0,1]
	v_pk_mul_f32 v[130:131], v[210:211], v[130:131] op_sel_hi:[1,0]
	s_delay_alu instid0(VALU_DEP_4)
	v_pk_add_f32 v[136:137], v[136:137], v[218:219]
	v_pk_fma_f32 v[128:129], v[168:169], v[152:153], v[128:129] neg_lo:[0,0,1] neg_hi:[0,0,1]
	v_pk_mul_f32 v[132:133], v[172:173], v[156:157] op_sel:[1,1] op_sel_hi:[0,1]
	v_mov_b32_e32 v129, v139
	v_pk_fma_f32 v[138:139], v[170:171], v[154:155], v[130:131] op_sel_hi:[1,0,1]
	v_pk_add_f32 v[136:137], v[136:137], v[220:221]
	v_pk_fma_f32 v[130:131], v[170:171], v[154:155], v[130:131] neg_lo:[0,0,1] neg_hi:[0,0,1]
	v_pk_fma_f32 v[142:143], v[172:173], v[156:157], v[132:133] op_sel_hi:[1,0,1]
	v_pk_mul_f32 v[134:135], v[212:213], v[134:135] op_sel_hi:[1,0]
	v_mov_b32_e32 v131, v139
	v_pk_add_f32 v[128:129], v[136:137], v[128:129]
	s_wait_loadcnt 0x2
	v_pk_mul_f32 v[140:141], v[176:177], v[160:161] op_sel:[1,1] op_sel_hi:[0,1]
	v_mov_b32_e32 v136, v163
	v_pk_fma_f32 v[132:133], v[172:173], v[156:157], v[132:133] neg_lo:[0,0,1] neg_hi:[0,0,1]
	v_mov_b32_e32 v133, v143
	v_pk_fma_f32 v[138:139], v[174:175], v[158:159], v[134:135] op_sel_hi:[1,0,1]
	v_pk_add_f32 v[128:129], v[128:129], v[130:131]
	v_pk_fma_f32 v[130:131], v[176:177], v[160:161], v[140:141] op_sel_hi:[1,0,1]
	v_pk_mul_f32 v[136:137], v[214:215], v[136:137] op_sel_hi:[1,0]
	v_pk_fma_f32 v[134:135], v[174:175], v[158:159], v[134:135] neg_lo:[0,0,1] neg_hi:[0,0,1]
	v_mov_b32_e32 v135, v139
	v_pk_add_f32 v[128:129], v[128:129], v[132:133]
	v_pk_fma_f32 v[138:139], v[176:177], v[160:161], v[140:141] neg_lo:[0,0,1] neg_hi:[0,0,1]
	v_mov_b32_e32 v139, v131
	v_pk_fma_f32 v[130:131], v[178:179], v[162:163], v[136:137] op_sel_hi:[1,0,1]
	s_wait_loadcnt 0x1
	v_pk_mul_f32 v[132:133], v[180:181], v[164:165] op_sel:[1,1] op_sel_hi:[0,1]
	v_pk_add_f32 v[128:129], v[128:129], v[134:135]
	v_mov_b32_e32 v130, v167
	v_pk_fma_f32 v[136:137], v[178:179], v[162:163], v[136:137] neg_lo:[0,0,1] neg_hi:[0,0,1]
	v_mov_b32_e32 v137, v131
	v_pk_fma_f32 v[134:135], v[180:181], v[164:165], v[132:133] op_sel_hi:[1,0,1]
	v_pk_add_f32 v[128:129], v[128:129], v[138:139]
	v_pk_mul_f32 v[130:131], v[216:217], v[130:131] op_sel_hi:[1,0]
	v_pk_fma_f32 v[132:133], v[180:181], v[164:165], v[132:133] neg_lo:[0,0,1] neg_hi:[0,0,1]
	s_delay_alu instid0(VALU_DEP_4) | instskip(NEXT) | instid1(VALU_DEP_4)
	v_mov_b32_e32 v133, v135
	v_pk_add_f32 v[128:129], v[128:129], v[136:137]
	s_delay_alu instid0(VALU_DEP_4) | instskip(SKIP_1) | instid1(VALU_DEP_2)
	v_pk_fma_f32 v[134:135], v[182:183], v[166:167], v[130:131] op_sel_hi:[1,0,1]
	v_pk_fma_f32 v[130:131], v[182:183], v[166:167], v[130:131] neg_lo:[0,0,1] neg_hi:[0,0,1]
	v_mov_b32_e32 v131, v135
	s_delay_alu instid0(VALU_DEP_4) | instskip(NEXT) | instid1(VALU_DEP_1)
	v_pk_add_f32 v[128:129], v[128:129], v[132:133]
	v_pk_add_f32 v[128:129], v[128:129], v[130:131]
	s_wait_loadcnt 0x0
	s_delay_alu instid0(VALU_DEP_1)
	v_pk_add_f32 v[128:129], v[208:209], v[128:129] neg_lo:[0,1] neg_hi:[0,1]
	scratch_store_b64 off, v[128:129], off offset:336
	s_wait_xcnt 0x0
	v_cmpx_lt_u32_e32 41, v0
	s_cbranch_execz .LBB126_309
; %bb.308:
	scratch_load_b64 v[128:129], off, off offset:328
	v_mov_b64_e32 v[130:131], 0
	scratch_store_b64 off, v[130:131], off offset:328
	s_wait_loadcnt 0x0
	ds_store_b64 v1, v[128:129]
.LBB126_309:
	s_wait_xcnt 0x0
	s_or_b32 exec_lo, exec_lo, s0
	s_wait_storecnt_dscnt 0x0
	s_barrier_signal -1
	s_barrier_wait -1
	s_clause 0xb
	scratch_load_b128 v[128:131], off, off offset:336
	scratch_load_b128 v[132:135], off, off offset:352
	;; [unrolled: 1-line block ×10, first 2 shown]
	scratch_load_b64 v[208:209], off, off offset:496
	scratch_load_b64 v[210:211], off, off offset:328
	v_mov_b32_e32 v7, 0
	ds_load_b128 v[168:171], v7 offset:944
	ds_load_b128 v[172:175], v7 offset:960
	;; [unrolled: 1-line block ×10, first 2 shown]
	ds_load_b64 v[212:213], v7 offset:1008
	s_mov_b32 s0, exec_lo
	s_wait_dscnt 0xa
	v_dual_mov_b32 v214, v171 :: v_dual_mov_b32 v215, v170
	s_wait_dscnt 0x7
	v_dual_mov_b32 v216, v175 :: v_dual_mov_b32 v221, v182
	v_dual_mov_b32 v217, v174 :: v_dual_mov_b32 v218, v179
	;; [unrolled: 1-line block ×3, first 2 shown]
	s_wait_loadcnt_dscnt 0xb06
	v_dual_mul_f32 v9, v184, v129 :: v_dual_mul_f32 v31, v185, v129
	v_dual_mul_f32 v33, v187, v131 :: v_dual_mul_f32 v11, v186, v131
	s_wait_loadcnt_dscnt 0xa05
	v_mul_f32_e32 v13, v188, v133
	s_wait_loadcnt_dscnt 0x803
	v_dual_mul_f32 v43, v197, v141 :: v_dual_fma_f32 v31, v184, v128, -v31
	v_dual_fmac_f32 v9, v185, v128 :: v_dual_mul_f32 v45, v199, v143
	v_dual_mul_f32 v35, v189, v133 :: v_dual_mul_f32 v37, v191, v135
	v_dual_fmac_f32 v11, v187, v130 :: v_dual_fma_f32 v33, v186, v130, -v33
	s_delay_alu instid0(VALU_DEP_3) | instskip(SKIP_4) | instid1(VALU_DEP_3)
	v_dual_add_f32 v9, 0, v9 :: v_dual_add_f32 v31, 0, v31
	v_dual_mul_f32 v15, v190, v135 :: v_dual_mul_f32 v17, v192, v137
	s_wait_loadcnt_dscnt 0x702
	v_dual_mul_f32 v47, v201, v145 :: v_dual_fma_f32 v35, v188, v132, -v35
	v_fmac_f32_e32 v13, v189, v132
	v_dual_add_f32 v9, v9, v11 :: v_dual_fmac_f32 v15, v191, v134
	v_add_f32_e32 v11, v31, v33
	v_dual_mul_f32 v39, v193, v137 :: v_dual_mul_f32 v41, v195, v139
	v_dual_mul_f32 v31, v203, v147 :: v_dual_fma_f32 v33, v190, v134, -v37
	s_delay_alu instid0(VALU_DEP_3) | instskip(SKIP_3) | instid1(VALU_DEP_3)
	v_dual_add_f32 v9, v9, v13 :: v_dual_add_f32 v11, v11, v35
	v_dual_mul_f32 v19, v194, v139 :: v_dual_mul_f32 v21, v196, v141
	s_wait_loadcnt_dscnt 0x601
	v_dual_mul_f32 v13, v205, v149 :: v_dual_fma_f32 v35, v192, v136, -v39
	v_dual_fmac_f32 v17, v193, v136 :: v_dual_add_f32 v11, v11, v33
	s_delay_alu instid0(VALU_DEP_3) | instskip(SKIP_1) | instid1(VALU_DEP_2)
	v_dual_add_f32 v9, v9, v15 :: v_dual_fmac_f32 v19, v195, v138
	v_dual_mul_f32 v15, v207, v151 :: v_dual_fma_f32 v33, v194, v138, -v41
	v_dual_add_f32 v11, v11, v35 :: v_dual_add_f32 v9, v9, v17
	v_dual_mul_f32 v23, v198, v143 :: v_dual_mul_f32 v25, v200, v145
	s_wait_loadcnt 0x5
	v_dual_mul_f32 v17, v169, v153 :: v_dual_fma_f32 v35, v196, v140, -v43
	s_delay_alu instid0(VALU_DEP_3) | instskip(SKIP_2) | instid1(VALU_DEP_2)
	v_dual_fmac_f32 v21, v197, v140 :: v_dual_add_f32 v11, v11, v33
	v_dual_add_f32 v9, v9, v19 :: v_dual_mov_b32 v128, v155
	v_dual_fmac_f32 v23, v199, v142 :: v_dual_fma_f32 v19, v198, v142, -v45
	v_dual_add_f32 v11, v11, v35 :: v_dual_add_f32 v9, v9, v21
	v_dual_mul_f32 v27, v202, v147 :: v_dual_mul_f32 v29, v204, v149
	v_dual_fmac_f32 v25, v201, v144 :: v_dual_fma_f32 v21, v200, v144, -v47
	s_wait_loadcnt 0x4
	s_delay_alu instid0(VALU_DEP_3) | instskip(SKIP_1) | instid1(VALU_DEP_2)
	v_dual_add_f32 v9, v9, v23 :: v_dual_mov_b32 v132, v159
	v_dual_add_f32 v11, v11, v19 :: v_dual_fma_f32 v19, v202, v146, -v31
	v_dual_fmac_f32 v27, v203, v146 :: v_dual_add_f32 v9, v9, v25
	v_dual_mul_f32 v223, v206, v151 :: v_dual_mul_f32 v225, v168, v153
	s_delay_alu instid0(VALU_DEP_3) | instskip(NEXT) | instid1(VALU_DEP_3)
	v_dual_add_f32 v11, v11, v21 :: v_dual_fmac_f32 v29, v205, v148
	v_dual_fma_f32 v13, v204, v148, -v13 :: v_dual_add_f32 v9, v9, v27
	s_delay_alu instid0(VALU_DEP_3) | instskip(NEXT) | instid1(VALU_DEP_3)
	v_fmac_f32_e32 v223, v207, v150
	v_dual_add_f32 v11, v11, v19 :: v_dual_fma_f32 v222, v206, v150, -v15
	v_pk_mul_f32 v[128:129], v[214:215], v[128:129] op_sel_hi:[1,0]
	s_delay_alu instid0(VALU_DEP_4) | instskip(SKIP_1) | instid1(VALU_DEP_4)
	v_add_f32_e32 v137, v9, v29
	v_pk_mul_f32 v[130:131], v[172:173], v[156:157] op_sel:[1,1] op_sel_hi:[0,1]
	v_dual_add_f32 v136, v11, v13 :: v_dual_fmac_f32 v225, v169, v152
	s_wait_loadcnt 0x3
	v_dual_mov_b32 v138, v163 :: v_dual_fma_f32 v224, v168, v152, -v17
	v_pk_fma_f32 v[140:141], v[170:171], v[154:155], v[128:129] op_sel_hi:[1,0,1]
	s_delay_alu instid0(VALU_DEP_3)
	v_pk_add_f32 v[136:137], v[136:137], v[222:223]
	v_pk_fma_f32 v[128:129], v[170:171], v[154:155], v[128:129] neg_lo:[0,0,1] neg_hi:[0,0,1]
	v_pk_fma_f32 v[142:143], v[172:173], v[156:157], v[130:131] op_sel_hi:[1,0,1]
	v_pk_mul_f32 v[132:133], v[216:217], v[132:133] op_sel_hi:[1,0]
	v_mov_b32_e32 v129, v141
	v_pk_add_f32 v[136:137], v[136:137], v[224:225]
	v_pk_fma_f32 v[130:131], v[172:173], v[156:157], v[130:131] neg_lo:[0,0,1] neg_hi:[0,0,1]
	v_pk_mul_f32 v[134:135], v[176:177], v[160:161] op_sel:[1,1] op_sel_hi:[0,1]
	v_mov_b32_e32 v131, v143
	v_pk_fma_f32 v[142:143], v[174:175], v[158:159], v[132:133] op_sel_hi:[1,0,1]
	v_pk_add_f32 v[128:129], v[136:137], v[128:129]
	v_pk_fma_f32 v[132:133], v[174:175], v[158:159], v[132:133] neg_lo:[0,0,1] neg_hi:[0,0,1]
	v_pk_fma_f32 v[136:137], v[176:177], v[160:161], v[134:135] op_sel_hi:[1,0,1]
	v_pk_mul_f32 v[138:139], v[218:219], v[138:139] op_sel_hi:[1,0]
	v_mov_b32_e32 v133, v143
	v_pk_add_f32 v[128:129], v[128:129], v[130:131]
	v_pk_fma_f32 v[134:135], v[176:177], v[160:161], v[134:135] neg_lo:[0,0,1] neg_hi:[0,0,1]
	s_wait_loadcnt 0x2
	v_pk_mul_f32 v[140:141], v[180:181], v[164:165] op_sel:[1,1] op_sel_hi:[0,1]
	v_dual_mov_b32 v130, v167 :: v_dual_mov_b32 v135, v137
	v_pk_fma_f32 v[136:137], v[178:179], v[162:163], v[138:139] op_sel_hi:[1,0,1]
	v_pk_add_f32 v[128:129], v[128:129], v[132:133]
	v_pk_fma_f32 v[138:139], v[178:179], v[162:163], v[138:139] neg_lo:[0,0,1] neg_hi:[0,0,1]
	v_pk_fma_f32 v[132:133], v[180:181], v[164:165], v[140:141] op_sel_hi:[1,0,1]
	v_pk_mul_f32 v[130:131], v[220:221], v[130:131] op_sel_hi:[1,0]
	v_mov_b32_e32 v139, v137
	v_pk_add_f32 v[128:129], v[128:129], v[134:135]
	v_pk_fma_f32 v[134:135], v[180:181], v[164:165], v[140:141] neg_lo:[0,0,1] neg_hi:[0,0,1]
	v_mov_b32_e32 v135, v133
	v_pk_fma_f32 v[132:133], v[182:183], v[166:167], v[130:131] op_sel_hi:[1,0,1]
	s_wait_loadcnt_dscnt 0x100
	v_pk_mul_f32 v[136:137], v[212:213], v[208:209] op_sel:[1,1] op_sel_hi:[0,1]
	v_pk_add_f32 v[128:129], v[128:129], v[138:139]
	v_pk_fma_f32 v[130:131], v[182:183], v[166:167], v[130:131] neg_lo:[0,0,1] neg_hi:[0,0,1]
	v_mov_b32_e32 v131, v133
	s_delay_alu instid0(VALU_DEP_4) | instskip(NEXT) | instid1(VALU_DEP_4)
	v_pk_fma_f32 v[132:133], v[212:213], v[208:209], v[136:137] op_sel_hi:[1,0,1]
	v_pk_add_f32 v[128:129], v[128:129], v[134:135]
	v_pk_fma_f32 v[134:135], v[212:213], v[208:209], v[136:137] neg_lo:[0,0,1] neg_hi:[0,0,1]
	s_delay_alu instid0(VALU_DEP_3) | instskip(NEXT) | instid1(VALU_DEP_3)
	v_mov_b32_e32 v135, v133
	v_pk_add_f32 v[128:129], v[128:129], v[130:131]
	s_delay_alu instid0(VALU_DEP_1) | instskip(SKIP_1) | instid1(VALU_DEP_1)
	v_pk_add_f32 v[128:129], v[128:129], v[134:135]
	s_wait_loadcnt 0x0
	v_pk_add_f32 v[128:129], v[210:211], v[128:129] neg_lo:[0,1] neg_hi:[0,1]
	scratch_store_b64 off, v[128:129], off offset:328
	s_wait_xcnt 0x0
	v_cmpx_lt_u32_e32 40, v0
	s_cbranch_execz .LBB126_311
; %bb.310:
	scratch_load_b64 v[128:129], off, off offset:320
	v_mov_b64_e32 v[130:131], 0
	scratch_store_b64 off, v[130:131], off offset:320
	s_wait_loadcnt 0x0
	ds_store_b64 v1, v[128:129]
.LBB126_311:
	s_wait_xcnt 0x0
	s_or_b32 exec_lo, exec_lo, s0
	s_wait_storecnt_dscnt 0x0
	s_barrier_signal -1
	s_barrier_wait -1
	s_clause 0xb
	scratch_load_b128 v[128:131], off, off offset:328
	scratch_load_b128 v[132:135], off, off offset:344
	scratch_load_b128 v[136:139], off, off offset:360
	scratch_load_b128 v[140:143], off, off offset:376
	scratch_load_b128 v[144:147], off, off offset:392
	scratch_load_b128 v[148:151], off, off offset:408
	scratch_load_b128 v[152:155], off, off offset:424
	scratch_load_b128 v[156:159], off, off offset:440
	scratch_load_b128 v[160:163], off, off offset:456
	scratch_load_b128 v[164:167], off, off offset:472
	scratch_load_b128 v[168:171], off, off offset:488
	scratch_load_b64 v[216:217], off, off offset:320
	ds_load_2addr_b64 v[172:175], v7 offset0:119 offset1:120
	ds_load_2addr_b64 v[176:179], v7 offset0:121 offset1:122
	;; [unrolled: 1-line block ×11, first 2 shown]
	s_mov_b32 s0, exec_lo
	s_wait_dscnt 0xa
	v_dual_mov_b32 v218, v175 :: v_dual_mov_b32 v219, v174
	s_wait_dscnt 0x9
	v_dual_mov_b32 v220, v179 :: v_dual_mov_b32 v221, v178
	;; [unrolled: 2-line block ×4, first 2 shown]
	s_wait_loadcnt_dscnt 0xb06
	v_dual_mul_f32 v7, v188, v129 :: v_dual_mul_f32 v9, v190, v131
	v_dual_mul_f32 v31, v189, v129 :: v_dual_mul_f32 v33, v191, v131
	s_wait_loadcnt_dscnt 0xa05
	v_dual_mul_f32 v11, v192, v133 :: v_dual_mul_f32 v13, v194, v135
	s_delay_alu instid0(VALU_DEP_3) | instskip(SKIP_3) | instid1(VALU_DEP_3)
	v_dual_fmac_f32 v7, v189, v128 :: v_dual_fmac_f32 v9, v191, v130
	s_wait_loadcnt_dscnt 0x803
	v_dual_fma_f32 v31, v188, v128, -v31 :: v_dual_mul_f32 v43, v201, v141
	v_dual_mul_f32 v35, v193, v133 :: v_dual_mul_f32 v37, v195, v135
	v_dual_fma_f32 v33, v190, v130, -v33 :: v_dual_add_f32 v7, 0, v7
	s_delay_alu instid0(VALU_DEP_3) | instskip(SKIP_1) | instid1(VALU_DEP_4)
	v_dual_add_f32 v31, 0, v31 :: v_dual_fmac_f32 v11, v193, v132
	v_dual_mul_f32 v15, v196, v137 :: v_dual_mul_f32 v17, v198, v139
	v_dual_mul_f32 v45, v203, v143 :: v_dual_fma_f32 v35, v192, v132, -v35
	s_delay_alu instid0(VALU_DEP_4) | instskip(NEXT) | instid1(VALU_DEP_3)
	v_add_f32_e32 v7, v7, v9
	v_dual_add_f32 v9, v31, v33 :: v_dual_fmac_f32 v15, v197, v136
	v_dual_mul_f32 v39, v197, v137 :: v_dual_mul_f32 v41, v199, v139
	s_wait_loadcnt_dscnt 0x702
	v_dual_mul_f32 v31, v205, v145 :: v_dual_fmac_f32 v13, v195, v134
	v_dual_fma_f32 v33, v194, v134, -v37 :: v_dual_add_f32 v7, v7, v11
	s_delay_alu instid0(VALU_DEP_3) | instskip(SKIP_1) | instid1(VALU_DEP_3)
	v_dual_add_f32 v9, v9, v35 :: v_dual_fma_f32 v35, v196, v136, -v39
	v_dual_mul_f32 v19, v200, v141 :: v_dual_mul_f32 v21, v202, v143
	v_add_f32_e32 v7, v7, v13
	s_delay_alu instid0(VALU_DEP_3) | instskip(SKIP_2) | instid1(VALU_DEP_3)
	v_dual_mul_f32 v11, v207, v147 :: v_dual_add_f32 v9, v9, v33
	s_wait_loadcnt_dscnt 0x601
	v_dual_mul_f32 v13, v209, v149 :: v_dual_fmac_f32 v17, v199, v138
	v_dual_fma_f32 v33, v198, v138, -v41 :: v_dual_add_f32 v7, v7, v15
	s_delay_alu instid0(VALU_DEP_3) | instskip(SKIP_1) | instid1(VALU_DEP_3)
	v_dual_add_f32 v9, v9, v35 :: v_dual_fma_f32 v35, v200, v140, -v43
	v_dual_mul_f32 v15, v211, v151 :: v_dual_fmac_f32 v19, v201, v140
	v_add_f32_e32 v7, v7, v17
	s_delay_alu instid0(VALU_DEP_3)
	v_dual_add_f32 v9, v9, v33 :: v_dual_fmac_f32 v21, v203, v142
	v_dual_mul_f32 v23, v204, v145 :: v_dual_mul_f32 v25, v206, v147
	s_wait_loadcnt_dscnt 0x500
	v_dual_fma_f32 v33, v202, v142, -v45 :: v_dual_mul_f32 v17, v213, v153
	v_add_f32_e32 v7, v7, v19
	v_dual_add_f32 v9, v9, v35 :: v_dual_fma_f32 v31, v204, v144, -v31
	v_dual_mul_f32 v19, v215, v155 :: v_dual_fmac_f32 v23, v205, v144
	s_delay_alu instid0(VALU_DEP_3) | instskip(NEXT) | instid1(VALU_DEP_3)
	v_dual_add_f32 v7, v7, v21 :: v_dual_fma_f32 v11, v206, v146, -v11
	v_dual_add_f32 v9, v9, v33 :: v_dual_fmac_f32 v25, v207, v146
	v_dual_mul_f32 v27, v208, v149 :: v_dual_mul_f32 v29, v210, v151
	s_delay_alu instid0(VALU_DEP_3) | instskip(SKIP_1) | instid1(VALU_DEP_3)
	v_add_f32_e32 v7, v7, v23
	s_wait_loadcnt 0x4
	v_dual_add_f32 v9, v9, v31 :: v_dual_mov_b32 v130, v159
	s_delay_alu instid0(VALU_DEP_3) | instskip(NEXT) | instid1(VALU_DEP_2)
	v_dual_fmac_f32 v27, v209, v148 :: v_dual_fma_f32 v13, v208, v148, -v13
	v_dual_add_f32 v7, v7, v25 :: v_dual_add_f32 v9, v9, v11
	v_dual_fmac_f32 v29, v211, v150 :: v_dual_mul_f32 v227, v212, v153
	v_mul_f32_e32 v229, v214, v155
	s_delay_alu instid0(VALU_DEP_3) | instskip(SKIP_4) | instid1(VALU_DEP_3)
	v_dual_fma_f32 v11, v210, v150, -v15 :: v_dual_add_f32 v7, v7, v27
	s_wait_loadcnt 0x3
	v_dual_add_f32 v9, v9, v13 :: v_dual_mov_b32 v134, v163
	v_pk_mul_f32 v[128:129], v[172:173], v[156:157] op_sel:[1,1] op_sel_hi:[0,1]
	v_dual_fmac_f32 v227, v213, v152 :: v_dual_fma_f32 v226, v212, v152, -v17
	v_dual_add_f32 v137, v7, v29 :: v_dual_add_f32 v136, v9, v11
	v_dual_fmac_f32 v229, v215, v154 :: v_dual_fma_f32 v228, v214, v154, -v19
	s_delay_alu instid0(VALU_DEP_4) | instskip(SKIP_1) | instid1(VALU_DEP_4)
	v_pk_fma_f32 v[138:139], v[172:173], v[156:157], v[128:129] op_sel_hi:[1,0,1]
	v_pk_mul_f32 v[130:131], v[218:219], v[130:131] op_sel_hi:[1,0]
	v_pk_add_f32 v[136:137], v[136:137], v[226:227]
	v_pk_fma_f32 v[128:129], v[172:173], v[156:157], v[128:129] neg_lo:[0,0,1] neg_hi:[0,0,1]
	v_pk_mul_f32 v[132:133], v[176:177], v[160:161] op_sel:[1,1] op_sel_hi:[0,1]
	v_mov_b32_e32 v129, v139
	v_pk_fma_f32 v[138:139], v[174:175], v[158:159], v[130:131] op_sel_hi:[1,0,1]
	v_pk_add_f32 v[136:137], v[136:137], v[228:229]
	v_pk_fma_f32 v[130:131], v[174:175], v[158:159], v[130:131] neg_lo:[0,0,1] neg_hi:[0,0,1]
	v_pk_fma_f32 v[142:143], v[176:177], v[160:161], v[132:133] op_sel_hi:[1,0,1]
	v_pk_mul_f32 v[134:135], v[220:221], v[134:135] op_sel_hi:[1,0]
	v_mov_b32_e32 v131, v139
	v_pk_add_f32 v[128:129], v[136:137], v[128:129]
	s_wait_loadcnt 0x2
	v_pk_mul_f32 v[140:141], v[180:181], v[164:165] op_sel:[1,1] op_sel_hi:[0,1]
	v_mov_b32_e32 v136, v167
	v_pk_fma_f32 v[132:133], v[176:177], v[160:161], v[132:133] neg_lo:[0,0,1] neg_hi:[0,0,1]
	v_mov_b32_e32 v133, v143
	v_pk_fma_f32 v[138:139], v[178:179], v[162:163], v[134:135] op_sel_hi:[1,0,1]
	v_pk_add_f32 v[128:129], v[128:129], v[130:131]
	v_pk_fma_f32 v[130:131], v[180:181], v[164:165], v[140:141] op_sel_hi:[1,0,1]
	v_pk_mul_f32 v[136:137], v[222:223], v[136:137] op_sel_hi:[1,0]
	v_pk_fma_f32 v[134:135], v[178:179], v[162:163], v[134:135] neg_lo:[0,0,1] neg_hi:[0,0,1]
	v_mov_b32_e32 v135, v139
	v_pk_add_f32 v[128:129], v[128:129], v[132:133]
	v_pk_fma_f32 v[138:139], v[180:181], v[164:165], v[140:141] neg_lo:[0,0,1] neg_hi:[0,0,1]
	v_mov_b32_e32 v139, v131
	v_pk_fma_f32 v[130:131], v[182:183], v[166:167], v[136:137] op_sel_hi:[1,0,1]
	s_wait_loadcnt 0x1
	v_pk_mul_f32 v[132:133], v[184:185], v[168:169] op_sel:[1,1] op_sel_hi:[0,1]
	v_pk_add_f32 v[128:129], v[128:129], v[134:135]
	v_mov_b32_e32 v130, v171
	v_pk_fma_f32 v[136:137], v[182:183], v[166:167], v[136:137] neg_lo:[0,0,1] neg_hi:[0,0,1]
	v_mov_b32_e32 v137, v131
	v_pk_fma_f32 v[134:135], v[184:185], v[168:169], v[132:133] op_sel_hi:[1,0,1]
	v_pk_add_f32 v[128:129], v[128:129], v[138:139]
	v_pk_mul_f32 v[130:131], v[224:225], v[130:131] op_sel_hi:[1,0]
	v_pk_fma_f32 v[132:133], v[184:185], v[168:169], v[132:133] neg_lo:[0,0,1] neg_hi:[0,0,1]
	s_delay_alu instid0(VALU_DEP_4) | instskip(NEXT) | instid1(VALU_DEP_4)
	v_mov_b32_e32 v133, v135
	v_pk_add_f32 v[128:129], v[128:129], v[136:137]
	s_delay_alu instid0(VALU_DEP_4) | instskip(SKIP_1) | instid1(VALU_DEP_2)
	v_pk_fma_f32 v[134:135], v[186:187], v[170:171], v[130:131] op_sel_hi:[1,0,1]
	v_pk_fma_f32 v[130:131], v[186:187], v[170:171], v[130:131] neg_lo:[0,0,1] neg_hi:[0,0,1]
	v_mov_b32_e32 v131, v135
	s_delay_alu instid0(VALU_DEP_4) | instskip(NEXT) | instid1(VALU_DEP_1)
	v_pk_add_f32 v[128:129], v[128:129], v[132:133]
	v_pk_add_f32 v[128:129], v[128:129], v[130:131]
	s_wait_loadcnt 0x0
	s_delay_alu instid0(VALU_DEP_1)
	v_pk_add_f32 v[128:129], v[216:217], v[128:129] neg_lo:[0,1] neg_hi:[0,1]
	scratch_store_b64 off, v[128:129], off offset:320
	s_wait_xcnt 0x0
	v_cmpx_lt_u32_e32 39, v0
	s_cbranch_execz .LBB126_313
; %bb.312:
	scratch_load_b64 v[128:129], off, off offset:312
	v_mov_b64_e32 v[130:131], 0
	scratch_store_b64 off, v[130:131], off offset:312
	s_wait_loadcnt 0x0
	ds_store_b64 v1, v[128:129]
.LBB126_313:
	s_wait_xcnt 0x0
	s_or_b32 exec_lo, exec_lo, s0
	s_wait_storecnt_dscnt 0x0
	s_barrier_signal -1
	s_barrier_wait -1
	s_clause 0xc
	scratch_load_b128 v[128:131], off, off offset:320
	scratch_load_b128 v[132:135], off, off offset:336
	;; [unrolled: 1-line block ×11, first 2 shown]
	scratch_load_b64 v[216:217], off, off offset:496
	scratch_load_b64 v[218:219], off, off offset:312
	v_mov_b32_e32 v7, 0
	ds_load_b128 v[172:175], v7 offset:944
	ds_load_b128 v[176:179], v7 offset:960
	;; [unrolled: 1-line block ×11, first 2 shown]
	ds_load_b64 v[220:221], v7 offset:1008
	s_mov_b32 s0, exec_lo
	s_wait_dscnt 0xb
	v_dual_mov_b32 v222, v175 :: v_dual_mov_b32 v223, v174
	s_wait_dscnt 0x8
	v_dual_mov_b32 v224, v179 :: v_dual_mov_b32 v229, v186
	v_dual_mov_b32 v225, v178 :: v_dual_mov_b32 v226, v183
	;; [unrolled: 1-line block ×3, first 2 shown]
	s_wait_loadcnt_dscnt 0xc07
	v_dual_mul_f32 v9, v188, v129 :: v_dual_mul_f32 v35, v189, v129
	v_dual_mul_f32 v37, v191, v131 :: v_dual_mul_f32 v11, v190, v131
	s_wait_loadcnt_dscnt 0xb06
	v_mul_f32_e32 v13, v192, v133
	s_wait_loadcnt_dscnt 0x904
	v_dual_mul_f32 v47, v201, v141 :: v_dual_fma_f32 v35, v188, v128, -v35
	v_dual_fmac_f32 v9, v189, v128 :: v_dual_mul_f32 v49, v203, v143
	v_dual_mul_f32 v39, v193, v133 :: v_dual_mul_f32 v41, v195, v135
	v_dual_fmac_f32 v11, v191, v130 :: v_dual_fma_f32 v37, v190, v130, -v37
	s_delay_alu instid0(VALU_DEP_3) | instskip(SKIP_4) | instid1(VALU_DEP_3)
	v_dual_add_f32 v9, 0, v9 :: v_dual_add_f32 v35, 0, v35
	v_dual_mul_f32 v15, v194, v135 :: v_dual_mul_f32 v17, v196, v137
	s_wait_loadcnt_dscnt 0x803
	v_dual_mul_f32 v51, v205, v145 :: v_dual_fma_f32 v39, v192, v132, -v39
	v_fmac_f32_e32 v13, v193, v132
	v_dual_add_f32 v9, v9, v11 :: v_dual_fmac_f32 v15, v195, v134
	v_add_f32_e32 v11, v35, v37
	v_dual_mul_f32 v43, v197, v137 :: v_dual_mul_f32 v45, v199, v139
	v_dual_mul_f32 v35, v207, v147 :: v_dual_fma_f32 v37, v194, v134, -v41
	s_delay_alu instid0(VALU_DEP_3) | instskip(SKIP_3) | instid1(VALU_DEP_3)
	v_dual_add_f32 v9, v9, v13 :: v_dual_add_f32 v11, v11, v39
	v_dual_mul_f32 v19, v198, v139 :: v_dual_mul_f32 v21, v200, v141
	s_wait_loadcnt_dscnt 0x701
	v_dual_mul_f32 v13, v213, v149 :: v_dual_fma_f32 v39, v196, v136, -v43
	v_dual_fmac_f32 v17, v197, v136 :: v_dual_add_f32 v11, v11, v37
	s_delay_alu instid0(VALU_DEP_3) | instskip(SKIP_1) | instid1(VALU_DEP_2)
	v_dual_add_f32 v9, v9, v15 :: v_dual_fmac_f32 v19, v199, v138
	v_dual_mul_f32 v15, v215, v151 :: v_dual_fma_f32 v37, v198, v138, -v45
	v_dual_add_f32 v11, v11, v39 :: v_dual_add_f32 v9, v9, v17
	v_dual_mul_f32 v23, v202, v143 :: v_dual_mul_f32 v25, v204, v145
	s_wait_loadcnt 0x6
	v_dual_mul_f32 v17, v209, v153 :: v_dual_fma_f32 v39, v200, v140, -v47
	s_delay_alu instid0(VALU_DEP_3) | instskip(NEXT) | instid1(VALU_DEP_3)
	v_dual_fmac_f32 v21, v201, v140 :: v_dual_add_f32 v11, v11, v37
	v_dual_add_f32 v9, v9, v19 :: v_dual_fmac_f32 v23, v203, v142
	v_dual_mul_f32 v19, v211, v155 :: v_dual_fma_f32 v37, v202, v142, -v49
	s_delay_alu instid0(VALU_DEP_2) | instskip(SKIP_3) | instid1(VALU_DEP_3)
	v_dual_add_f32 v11, v11, v39 :: v_dual_add_f32 v9, v9, v21
	v_dual_mul_f32 v27, v206, v147 :: v_dual_mul_f32 v29, v212, v149
	s_wait_loadcnt 0x5
	v_dual_mul_f32 v21, v173, v157 :: v_dual_fma_f32 v39, v204, v144, -v51
	v_dual_fmac_f32 v25, v205, v144 :: v_dual_add_f32 v11, v11, v37
	v_dual_add_f32 v9, v9, v23 :: v_dual_mov_b32 v128, v159
	v_fmac_f32_e32 v27, v207, v146
	s_delay_alu instid0(VALU_DEP_3) | instskip(NEXT) | instid1(VALU_DEP_3)
	v_dual_fma_f32 v23, v206, v146, -v35 :: v_dual_add_f32 v11, v11, v39
	v_dual_add_f32 v9, v9, v25 :: v_dual_mul_f32 v31, v214, v151
	v_dual_mul_f32 v33, v208, v153 :: v_dual_fmac_f32 v29, v213, v148
	s_delay_alu instid0(VALU_DEP_3) | instskip(SKIP_1) | instid1(VALU_DEP_3)
	v_dual_add_f32 v11, v11, v23 :: v_dual_fma_f32 v13, v212, v148, -v13
	s_wait_loadcnt 0x4
	v_dual_add_f32 v9, v9, v27 :: v_dual_mov_b32 v132, v163
	v_fma_f32 v15, v214, v150, -v15
	v_fmac_f32_e32 v31, v215, v150
	v_dual_add_f32 v11, v11, v13 :: v_dual_fmac_f32 v33, v209, v152
	s_delay_alu instid0(VALU_DEP_4) | instskip(SKIP_1) | instid1(VALU_DEP_3)
	v_dual_add_f32 v9, v9, v29 :: v_dual_mul_f32 v231, v210, v155
	v_mul_f32_e32 v233, v172, v157
	v_dual_fma_f32 v13, v208, v152, -v17 :: v_dual_add_f32 v11, v11, v15
	s_delay_alu instid0(VALU_DEP_3) | instskip(NEXT) | instid1(VALU_DEP_4)
	v_dual_fma_f32 v230, v210, v154, -v19 :: v_dual_add_f32 v9, v9, v31
	v_fmac_f32_e32 v231, v211, v154
	v_pk_mul_f32 v[128:129], v[222:223], v[128:129] op_sel_hi:[1,0]
	s_delay_alu instid0(VALU_DEP_4) | instskip(NEXT) | instid1(VALU_DEP_4)
	v_dual_add_f32 v136, v11, v13 :: v_dual_fmac_f32 v233, v173, v156
	v_add_f32_e32 v137, v9, v33
	v_pk_mul_f32 v[130:131], v[176:177], v[160:161] op_sel:[1,1] op_sel_hi:[0,1]
	s_wait_loadcnt 0x3
	v_dual_mov_b32 v138, v167 :: v_dual_fma_f32 v232, v172, v156, -v21
	v_pk_fma_f32 v[140:141], v[174:175], v[158:159], v[128:129] op_sel_hi:[1,0,1]
	v_pk_add_f32 v[136:137], v[136:137], v[230:231]
	v_pk_fma_f32 v[128:129], v[174:175], v[158:159], v[128:129] neg_lo:[0,0,1] neg_hi:[0,0,1]
	v_pk_fma_f32 v[142:143], v[176:177], v[160:161], v[130:131] op_sel_hi:[1,0,1]
	v_pk_mul_f32 v[132:133], v[224:225], v[132:133] op_sel_hi:[1,0]
	v_mov_b32_e32 v129, v141
	v_pk_add_f32 v[136:137], v[136:137], v[232:233]
	v_pk_fma_f32 v[130:131], v[176:177], v[160:161], v[130:131] neg_lo:[0,0,1] neg_hi:[0,0,1]
	v_pk_mul_f32 v[134:135], v[180:181], v[164:165] op_sel:[1,1] op_sel_hi:[0,1]
	v_mov_b32_e32 v131, v143
	v_pk_fma_f32 v[142:143], v[178:179], v[162:163], v[132:133] op_sel_hi:[1,0,1]
	v_pk_add_f32 v[128:129], v[136:137], v[128:129]
	v_pk_fma_f32 v[132:133], v[178:179], v[162:163], v[132:133] neg_lo:[0,0,1] neg_hi:[0,0,1]
	v_pk_fma_f32 v[136:137], v[180:181], v[164:165], v[134:135] op_sel_hi:[1,0,1]
	v_pk_mul_f32 v[138:139], v[226:227], v[138:139] op_sel_hi:[1,0]
	v_mov_b32_e32 v133, v143
	v_pk_add_f32 v[128:129], v[128:129], v[130:131]
	v_pk_fma_f32 v[134:135], v[180:181], v[164:165], v[134:135] neg_lo:[0,0,1] neg_hi:[0,0,1]
	s_wait_loadcnt 0x2
	v_pk_mul_f32 v[140:141], v[184:185], v[168:169] op_sel:[1,1] op_sel_hi:[0,1]
	v_dual_mov_b32 v130, v171 :: v_dual_mov_b32 v135, v137
	v_pk_fma_f32 v[136:137], v[182:183], v[166:167], v[138:139] op_sel_hi:[1,0,1]
	v_pk_add_f32 v[128:129], v[128:129], v[132:133]
	v_pk_fma_f32 v[138:139], v[182:183], v[166:167], v[138:139] neg_lo:[0,0,1] neg_hi:[0,0,1]
	v_pk_fma_f32 v[132:133], v[184:185], v[168:169], v[140:141] op_sel_hi:[1,0,1]
	v_pk_mul_f32 v[130:131], v[228:229], v[130:131] op_sel_hi:[1,0]
	v_mov_b32_e32 v139, v137
	v_pk_add_f32 v[128:129], v[128:129], v[134:135]
	v_pk_fma_f32 v[134:135], v[184:185], v[168:169], v[140:141] neg_lo:[0,0,1] neg_hi:[0,0,1]
	v_mov_b32_e32 v135, v133
	v_pk_fma_f32 v[132:133], v[186:187], v[170:171], v[130:131] op_sel_hi:[1,0,1]
	s_wait_loadcnt_dscnt 0x100
	v_pk_mul_f32 v[136:137], v[220:221], v[216:217] op_sel:[1,1] op_sel_hi:[0,1]
	v_pk_add_f32 v[128:129], v[128:129], v[138:139]
	v_pk_fma_f32 v[130:131], v[186:187], v[170:171], v[130:131] neg_lo:[0,0,1] neg_hi:[0,0,1]
	v_mov_b32_e32 v131, v133
	s_delay_alu instid0(VALU_DEP_4) | instskip(NEXT) | instid1(VALU_DEP_4)
	v_pk_fma_f32 v[132:133], v[220:221], v[216:217], v[136:137] op_sel_hi:[1,0,1]
	v_pk_add_f32 v[128:129], v[128:129], v[134:135]
	v_pk_fma_f32 v[134:135], v[220:221], v[216:217], v[136:137] neg_lo:[0,0,1] neg_hi:[0,0,1]
	s_delay_alu instid0(VALU_DEP_3) | instskip(NEXT) | instid1(VALU_DEP_3)
	v_mov_b32_e32 v135, v133
	v_pk_add_f32 v[128:129], v[128:129], v[130:131]
	s_delay_alu instid0(VALU_DEP_1) | instskip(SKIP_1) | instid1(VALU_DEP_1)
	v_pk_add_f32 v[128:129], v[128:129], v[134:135]
	s_wait_loadcnt 0x0
	v_pk_add_f32 v[128:129], v[218:219], v[128:129] neg_lo:[0,1] neg_hi:[0,1]
	scratch_store_b64 off, v[128:129], off offset:312
	s_wait_xcnt 0x0
	v_cmpx_lt_u32_e32 38, v0
	s_cbranch_execz .LBB126_315
; %bb.314:
	scratch_load_b64 v[128:129], off, off offset:304
	v_mov_b64_e32 v[130:131], 0
	scratch_store_b64 off, v[130:131], off offset:304
	s_wait_loadcnt 0x0
	ds_store_b64 v1, v[128:129]
.LBB126_315:
	s_wait_xcnt 0x0
	s_or_b32 exec_lo, exec_lo, s0
	s_wait_storecnt_dscnt 0x0
	s_barrier_signal -1
	s_barrier_wait -1
	s_clause 0xc
	scratch_load_b128 v[128:131], off, off offset:312
	scratch_load_b128 v[132:135], off, off offset:328
	scratch_load_b128 v[136:139], off, off offset:344
	scratch_load_b128 v[140:143], off, off offset:360
	scratch_load_b128 v[144:147], off, off offset:376
	scratch_load_b128 v[148:151], off, off offset:392
	scratch_load_b128 v[152:155], off, off offset:408
	scratch_load_b128 v[156:159], off, off offset:424
	scratch_load_b128 v[160:163], off, off offset:440
	scratch_load_b128 v[164:167], off, off offset:456
	scratch_load_b128 v[168:171], off, off offset:472
	scratch_load_b128 v[172:175], off, off offset:488
	scratch_load_b64 v[224:225], off, off offset:304
	ds_load_2addr_b64 v[176:179], v7 offset0:119 offset1:120
	ds_load_2addr_b64 v[180:183], v7 offset0:121 offset1:122
	;; [unrolled: 1-line block ×12, first 2 shown]
	s_mov_b32 s0, exec_lo
	s_wait_dscnt 0xb
	v_dual_mov_b32 v226, v179 :: v_dual_mov_b32 v227, v178
	s_wait_dscnt 0xa
	v_dual_mov_b32 v228, v183 :: v_dual_mov_b32 v229, v182
	;; [unrolled: 2-line block ×4, first 2 shown]
	s_wait_loadcnt_dscnt 0xc07
	v_dual_mul_f32 v7, v192, v129 :: v_dual_mul_f32 v9, v194, v131
	v_dual_mul_f32 v35, v193, v129 :: v_dual_mul_f32 v37, v195, v131
	s_wait_loadcnt_dscnt 0xb06
	v_dual_mul_f32 v11, v196, v133 :: v_dual_mul_f32 v13, v198, v135
	s_delay_alu instid0(VALU_DEP_3) | instskip(SKIP_3) | instid1(VALU_DEP_3)
	v_dual_fmac_f32 v7, v193, v128 :: v_dual_fmac_f32 v9, v195, v130
	s_wait_loadcnt_dscnt 0x904
	v_dual_fma_f32 v35, v192, v128, -v35 :: v_dual_mul_f32 v47, v205, v141
	v_dual_mul_f32 v39, v197, v133 :: v_dual_mul_f32 v41, v199, v135
	v_dual_fma_f32 v37, v194, v130, -v37 :: v_dual_add_f32 v7, 0, v7
	s_delay_alu instid0(VALU_DEP_3) | instskip(SKIP_1) | instid1(VALU_DEP_4)
	v_dual_add_f32 v35, 0, v35 :: v_dual_fmac_f32 v11, v197, v132
	v_dual_mul_f32 v15, v200, v137 :: v_dual_mul_f32 v17, v202, v139
	v_dual_mul_f32 v49, v207, v143 :: v_dual_fma_f32 v39, v196, v132, -v39
	s_delay_alu instid0(VALU_DEP_4) | instskip(NEXT) | instid1(VALU_DEP_3)
	v_add_f32_e32 v7, v7, v9
	v_dual_add_f32 v9, v35, v37 :: v_dual_fmac_f32 v15, v201, v136
	v_dual_mul_f32 v43, v201, v137 :: v_dual_mul_f32 v45, v203, v139
	s_wait_loadcnt_dscnt 0x803
	v_dual_mul_f32 v35, v209, v145 :: v_dual_fmac_f32 v13, v199, v134
	v_dual_fma_f32 v37, v198, v134, -v41 :: v_dual_add_f32 v7, v7, v11
	s_delay_alu instid0(VALU_DEP_3) | instskip(SKIP_1) | instid1(VALU_DEP_3)
	v_dual_add_f32 v9, v9, v39 :: v_dual_fma_f32 v39, v200, v136, -v43
	v_dual_mul_f32 v19, v204, v141 :: v_dual_mul_f32 v21, v206, v143
	v_add_f32_e32 v7, v7, v13
	s_delay_alu instid0(VALU_DEP_3) | instskip(SKIP_2) | instid1(VALU_DEP_3)
	v_dual_mul_f32 v11, v211, v147 :: v_dual_add_f32 v9, v9, v37
	s_wait_loadcnt_dscnt 0x702
	v_dual_mul_f32 v13, v213, v149 :: v_dual_fmac_f32 v17, v203, v138
	v_dual_fma_f32 v37, v202, v138, -v45 :: v_dual_add_f32 v7, v7, v15
	s_delay_alu instid0(VALU_DEP_3) | instskip(SKIP_1) | instid1(VALU_DEP_3)
	v_dual_add_f32 v9, v9, v39 :: v_dual_fma_f32 v39, v204, v140, -v47
	v_dual_mul_f32 v15, v215, v151 :: v_dual_fmac_f32 v19, v205, v140
	v_add_f32_e32 v7, v7, v17
	s_delay_alu instid0(VALU_DEP_3)
	v_dual_add_f32 v9, v9, v37 :: v_dual_fmac_f32 v21, v207, v142
	v_dual_mul_f32 v23, v208, v145 :: v_dual_mul_f32 v25, v210, v147
	s_wait_loadcnt_dscnt 0x601
	v_dual_fma_f32 v37, v206, v142, -v49 :: v_dual_mul_f32 v17, v217, v153
	v_add_f32_e32 v7, v7, v19
	v_dual_add_f32 v9, v9, v39 :: v_dual_fma_f32 v35, v208, v144, -v35
	v_dual_mul_f32 v19, v219, v155 :: v_dual_fmac_f32 v23, v209, v144
	s_delay_alu instid0(VALU_DEP_3) | instskip(NEXT) | instid1(VALU_DEP_3)
	v_dual_add_f32 v7, v7, v21 :: v_dual_fma_f32 v11, v210, v146, -v11
	v_dual_add_f32 v9, v9, v37 :: v_dual_fmac_f32 v25, v211, v146
	v_dual_mul_f32 v27, v212, v149 :: v_dual_mul_f32 v29, v214, v151
	s_wait_loadcnt_dscnt 0x500
	s_delay_alu instid0(VALU_DEP_3) | instskip(NEXT) | instid1(VALU_DEP_3)
	v_dual_mul_f32 v21, v221, v157 :: v_dual_add_f32 v7, v7, v23
	v_dual_add_f32 v9, v9, v35 :: v_dual_fma_f32 v13, v212, v148, -v13
	s_delay_alu instid0(VALU_DEP_3) | instskip(NEXT) | instid1(VALU_DEP_2)
	v_dual_mul_f32 v23, v223, v159 :: v_dual_fmac_f32 v27, v213, v148
	v_dual_add_f32 v7, v7, v25 :: v_dual_add_f32 v9, v9, v11
	v_dual_mul_f32 v31, v216, v153 :: v_dual_mul_f32 v33, v218, v155
	v_dual_fmac_f32 v29, v215, v150 :: v_dual_fma_f32 v11, v214, v150, -v15
	s_delay_alu instid0(VALU_DEP_3) | instskip(SKIP_1) | instid1(VALU_DEP_3)
	v_dual_add_f32 v7, v7, v27 :: v_dual_add_f32 v9, v9, v13
	s_wait_loadcnt 0x4
	v_dual_mov_b32 v130, v163 :: v_dual_fmac_f32 v31, v217, v152
	s_delay_alu instid0(VALU_DEP_2) | instskip(NEXT) | instid1(VALU_DEP_3)
	v_dual_fma_f32 v13, v216, v152, -v17 :: v_dual_add_f32 v7, v7, v29
	v_dual_add_f32 v9, v9, v11 :: v_dual_fmac_f32 v33, v219, v154
	v_dual_mul_f32 v235, v220, v157 :: v_dual_mul_f32 v237, v222, v159
	s_delay_alu instid0(VALU_DEP_3) | instskip(SKIP_1) | instid1(VALU_DEP_3)
	v_dual_fma_f32 v11, v218, v154, -v19 :: v_dual_add_f32 v7, v7, v31
	s_wait_loadcnt 0x3
	v_dual_add_f32 v9, v9, v13 :: v_dual_mov_b32 v134, v167
	v_pk_mul_f32 v[128:129], v[176:177], v[160:161] op_sel:[1,1] op_sel_hi:[0,1]
	v_dual_fmac_f32 v235, v221, v156 :: v_dual_fma_f32 v234, v220, v156, -v21
	s_delay_alu instid0(VALU_DEP_3) | instskip(SKIP_1) | instid1(VALU_DEP_4)
	v_dual_add_f32 v137, v7, v33 :: v_dual_add_f32 v136, v9, v11
	v_dual_fmac_f32 v237, v223, v158 :: v_dual_fma_f32 v236, v222, v158, -v23
	v_pk_fma_f32 v[138:139], v[176:177], v[160:161], v[128:129] op_sel_hi:[1,0,1]
	v_pk_mul_f32 v[130:131], v[226:227], v[130:131] op_sel_hi:[1,0]
	s_delay_alu instid0(VALU_DEP_4)
	v_pk_add_f32 v[136:137], v[136:137], v[234:235]
	v_pk_fma_f32 v[128:129], v[176:177], v[160:161], v[128:129] neg_lo:[0,0,1] neg_hi:[0,0,1]
	v_pk_mul_f32 v[132:133], v[180:181], v[164:165] op_sel:[1,1] op_sel_hi:[0,1]
	v_mov_b32_e32 v129, v139
	v_pk_fma_f32 v[138:139], v[178:179], v[162:163], v[130:131] op_sel_hi:[1,0,1]
	v_pk_add_f32 v[136:137], v[136:137], v[236:237]
	v_pk_fma_f32 v[130:131], v[178:179], v[162:163], v[130:131] neg_lo:[0,0,1] neg_hi:[0,0,1]
	v_pk_fma_f32 v[142:143], v[180:181], v[164:165], v[132:133] op_sel_hi:[1,0,1]
	v_pk_mul_f32 v[134:135], v[228:229], v[134:135] op_sel_hi:[1,0]
	v_mov_b32_e32 v131, v139
	v_pk_add_f32 v[128:129], v[136:137], v[128:129]
	s_wait_loadcnt 0x2
	v_pk_mul_f32 v[140:141], v[184:185], v[168:169] op_sel:[1,1] op_sel_hi:[0,1]
	v_mov_b32_e32 v136, v171
	v_pk_fma_f32 v[132:133], v[180:181], v[164:165], v[132:133] neg_lo:[0,0,1] neg_hi:[0,0,1]
	v_mov_b32_e32 v133, v143
	v_pk_fma_f32 v[138:139], v[182:183], v[166:167], v[134:135] op_sel_hi:[1,0,1]
	v_pk_add_f32 v[128:129], v[128:129], v[130:131]
	v_pk_fma_f32 v[130:131], v[184:185], v[168:169], v[140:141] op_sel_hi:[1,0,1]
	v_pk_mul_f32 v[136:137], v[230:231], v[136:137] op_sel_hi:[1,0]
	v_pk_fma_f32 v[134:135], v[182:183], v[166:167], v[134:135] neg_lo:[0,0,1] neg_hi:[0,0,1]
	v_mov_b32_e32 v135, v139
	v_pk_add_f32 v[128:129], v[128:129], v[132:133]
	v_pk_fma_f32 v[138:139], v[184:185], v[168:169], v[140:141] neg_lo:[0,0,1] neg_hi:[0,0,1]
	v_mov_b32_e32 v139, v131
	v_pk_fma_f32 v[130:131], v[186:187], v[170:171], v[136:137] op_sel_hi:[1,0,1]
	s_wait_loadcnt 0x1
	v_pk_mul_f32 v[132:133], v[188:189], v[172:173] op_sel:[1,1] op_sel_hi:[0,1]
	v_pk_add_f32 v[128:129], v[128:129], v[134:135]
	v_mov_b32_e32 v130, v175
	v_pk_fma_f32 v[136:137], v[186:187], v[170:171], v[136:137] neg_lo:[0,0,1] neg_hi:[0,0,1]
	v_mov_b32_e32 v137, v131
	v_pk_fma_f32 v[134:135], v[188:189], v[172:173], v[132:133] op_sel_hi:[1,0,1]
	v_pk_add_f32 v[128:129], v[128:129], v[138:139]
	v_pk_mul_f32 v[130:131], v[232:233], v[130:131] op_sel_hi:[1,0]
	v_pk_fma_f32 v[132:133], v[188:189], v[172:173], v[132:133] neg_lo:[0,0,1] neg_hi:[0,0,1]
	s_delay_alu instid0(VALU_DEP_4) | instskip(NEXT) | instid1(VALU_DEP_4)
	v_mov_b32_e32 v133, v135
	v_pk_add_f32 v[128:129], v[128:129], v[136:137]
	s_delay_alu instid0(VALU_DEP_4) | instskip(SKIP_1) | instid1(VALU_DEP_2)
	v_pk_fma_f32 v[134:135], v[190:191], v[174:175], v[130:131] op_sel_hi:[1,0,1]
	v_pk_fma_f32 v[130:131], v[190:191], v[174:175], v[130:131] neg_lo:[0,0,1] neg_hi:[0,0,1]
	v_mov_b32_e32 v131, v135
	s_delay_alu instid0(VALU_DEP_4) | instskip(NEXT) | instid1(VALU_DEP_1)
	v_pk_add_f32 v[128:129], v[128:129], v[132:133]
	v_pk_add_f32 v[128:129], v[128:129], v[130:131]
	s_wait_loadcnt 0x0
	s_delay_alu instid0(VALU_DEP_1)
	v_pk_add_f32 v[128:129], v[224:225], v[128:129] neg_lo:[0,1] neg_hi:[0,1]
	scratch_store_b64 off, v[128:129], off offset:304
	s_wait_xcnt 0x0
	v_cmpx_lt_u32_e32 37, v0
	s_cbranch_execz .LBB126_317
; %bb.316:
	scratch_load_b64 v[128:129], off, off offset:296
	v_mov_b64_e32 v[130:131], 0
	scratch_store_b64 off, v[130:131], off offset:296
	s_wait_loadcnt 0x0
	ds_store_b64 v1, v[128:129]
.LBB126_317:
	s_wait_xcnt 0x0
	s_or_b32 exec_lo, exec_lo, s0
	s_wait_storecnt_dscnt 0x0
	s_barrier_signal -1
	s_barrier_wait -1
	s_clause 0xd
	scratch_load_b128 v[128:131], off, off offset:304
	scratch_load_b128 v[132:135], off, off offset:320
	scratch_load_b128 v[136:139], off, off offset:336
	scratch_load_b128 v[140:143], off, off offset:352
	scratch_load_b128 v[144:147], off, off offset:368
	scratch_load_b128 v[148:151], off, off offset:384
	scratch_load_b128 v[152:155], off, off offset:400
	scratch_load_b128 v[156:159], off, off offset:416
	scratch_load_b128 v[160:163], off, off offset:432
	scratch_load_b128 v[164:167], off, off offset:448
	scratch_load_b128 v[168:171], off, off offset:464
	scratch_load_b128 v[172:175], off, off offset:480
	scratch_load_b64 v[224:225], off, off offset:496
	scratch_load_b64 v[226:227], off, off offset:296
	v_mov_b32_e32 v7, 0
	ds_load_b128 v[176:179], v7 offset:944
	ds_load_b128 v[180:183], v7 offset:960
	;; [unrolled: 1-line block ×12, first 2 shown]
	ds_load_b64 v[228:229], v7 offset:1008
	s_mov_b32 s0, exec_lo
	s_wait_dscnt 0xc
	v_dual_mov_b32 v230, v179 :: v_dual_mov_b32 v231, v178
	s_wait_dscnt 0x9
	v_dual_mov_b32 v232, v183 :: v_dual_mov_b32 v237, v190
	v_dual_mov_b32 v233, v182 :: v_dual_mov_b32 v234, v187
	v_dual_mov_b32 v235, v186 :: v_dual_mov_b32 v236, v191
	s_wait_loadcnt_dscnt 0xd08
	v_dual_mul_f32 v9, v192, v129 :: v_dual_mul_f32 v39, v193, v129
	v_dual_mul_f32 v41, v195, v131 :: v_dual_mul_f32 v11, v194, v131
	s_wait_loadcnt_dscnt 0xc07
	v_mul_f32_e32 v13, v196, v133
	s_wait_loadcnt_dscnt 0xa05
	v_dual_mul_f32 v51, v205, v141 :: v_dual_fma_f32 v39, v192, v128, -v39
	v_dual_fmac_f32 v9, v193, v128 :: v_dual_mul_f32 v53, v207, v143
	v_dual_mul_f32 v43, v197, v133 :: v_dual_mul_f32 v45, v199, v135
	v_dual_fmac_f32 v11, v195, v130 :: v_dual_fma_f32 v41, v194, v130, -v41
	s_delay_alu instid0(VALU_DEP_3) | instskip(SKIP_4) | instid1(VALU_DEP_3)
	v_dual_add_f32 v9, 0, v9 :: v_dual_add_f32 v39, 0, v39
	v_dual_mul_f32 v15, v198, v135 :: v_dual_mul_f32 v17, v200, v137
	s_wait_loadcnt_dscnt 0x904
	v_dual_mul_f32 v55, v209, v145 :: v_dual_fma_f32 v43, v196, v132, -v43
	v_fmac_f32_e32 v13, v197, v132
	v_dual_add_f32 v9, v9, v11 :: v_dual_fmac_f32 v15, v199, v134
	v_add_f32_e32 v11, v39, v41
	v_dual_mul_f32 v47, v201, v137 :: v_dual_mul_f32 v49, v203, v139
	v_dual_mul_f32 v39, v211, v147 :: v_dual_fma_f32 v41, v198, v134, -v45
	s_delay_alu instid0(VALU_DEP_3) | instskip(SKIP_3) | instid1(VALU_DEP_3)
	v_dual_add_f32 v9, v9, v13 :: v_dual_add_f32 v11, v11, v43
	v_dual_mul_f32 v19, v202, v139 :: v_dual_mul_f32 v21, v204, v141
	s_wait_loadcnt_dscnt 0x803
	v_dual_mul_f32 v13, v213, v149 :: v_dual_fma_f32 v43, v200, v136, -v47
	v_dual_fmac_f32 v17, v201, v136 :: v_dual_add_f32 v11, v11, v41
	s_delay_alu instid0(VALU_DEP_3) | instskip(SKIP_1) | instid1(VALU_DEP_2)
	v_dual_add_f32 v9, v9, v15 :: v_dual_fmac_f32 v19, v203, v138
	v_dual_mul_f32 v15, v215, v151 :: v_dual_fma_f32 v41, v202, v138, -v49
	v_dual_add_f32 v11, v11, v43 :: v_dual_add_f32 v9, v9, v17
	v_dual_mul_f32 v23, v206, v143 :: v_dual_mul_f32 v25, v208, v145
	s_wait_loadcnt_dscnt 0x702
	v_dual_mul_f32 v17, v217, v153 :: v_dual_fma_f32 v43, v204, v140, -v51
	s_delay_alu instid0(VALU_DEP_3) | instskip(NEXT) | instid1(VALU_DEP_3)
	v_dual_fmac_f32 v21, v205, v140 :: v_dual_add_f32 v11, v11, v41
	v_dual_add_f32 v9, v9, v19 :: v_dual_fmac_f32 v23, v207, v142
	v_dual_mul_f32 v19, v219, v155 :: v_dual_fma_f32 v41, v206, v142, -v53
	s_delay_alu instid0(VALU_DEP_2) | instskip(SKIP_3) | instid1(VALU_DEP_3)
	v_dual_add_f32 v11, v11, v43 :: v_dual_add_f32 v9, v9, v21
	v_dual_mul_f32 v27, v210, v147 :: v_dual_mul_f32 v29, v212, v149
	s_wait_loadcnt_dscnt 0x601
	v_dual_mul_f32 v21, v221, v157 :: v_dual_fma_f32 v43, v208, v144, -v55
	v_dual_fmac_f32 v25, v209, v144 :: v_dual_add_f32 v11, v11, v41
	s_delay_alu instid0(VALU_DEP_3) | instskip(SKIP_1) | instid1(VALU_DEP_2)
	v_dual_add_f32 v9, v9, v23 :: v_dual_fmac_f32 v27, v211, v146
	v_dual_mul_f32 v23, v223, v159 :: v_dual_fma_f32 v39, v210, v146, -v39
	v_dual_add_f32 v11, v11, v43 :: v_dual_add_f32 v9, v9, v25
	v_dual_mul_f32 v31, v214, v151 :: v_dual_mul_f32 v33, v216, v153
	s_wait_loadcnt 0x5
	v_dual_mul_f32 v25, v177, v161 :: v_dual_fma_f32 v13, v212, v148, -v13
	s_delay_alu instid0(VALU_DEP_3) | instskip(SKIP_2) | instid1(VALU_DEP_3)
	v_dual_fmac_f32 v29, v213, v148 :: v_dual_add_f32 v11, v11, v39
	v_dual_add_f32 v9, v9, v27 :: v_dual_mov_b32 v128, v163
	v_fmac_f32_e32 v31, v215, v150
	v_dual_fma_f32 v15, v214, v150, -v15 :: v_dual_add_f32 v11, v11, v13
	s_delay_alu instid0(VALU_DEP_3) | instskip(SKIP_1) | instid1(VALU_DEP_3)
	v_dual_add_f32 v9, v9, v29 :: v_dual_mul_f32 v35, v218, v155
	v_dual_mul_f32 v37, v220, v157 :: v_dual_fmac_f32 v33, v217, v152
	v_dual_add_f32 v11, v11, v15 :: v_dual_fma_f32 v13, v216, v152, -v17
	s_wait_loadcnt 0x4
	s_delay_alu instid0(VALU_DEP_3) | instskip(SKIP_3) | instid1(VALU_DEP_4)
	v_dual_add_f32 v9, v9, v31 :: v_dual_mov_b32 v132, v167
	v_fma_f32 v15, v218, v154, -v19
	v_fmac_f32_e32 v35, v219, v154
	v_dual_add_f32 v11, v11, v13 :: v_dual_fmac_f32 v37, v221, v156
	v_dual_add_f32 v9, v9, v33 :: v_dual_mul_f32 v239, v222, v159
	v_mul_f32_e32 v241, v176, v161
	s_delay_alu instid0(VALU_DEP_3) | instskip(NEXT) | instid1(VALU_DEP_3)
	v_dual_fma_f32 v13, v220, v156, -v21 :: v_dual_add_f32 v11, v11, v15
	v_dual_fma_f32 v238, v222, v158, -v23 :: v_dual_add_f32 v9, v9, v35
	s_delay_alu instid0(VALU_DEP_4) | instskip(SKIP_1) | instid1(VALU_DEP_4)
	v_fmac_f32_e32 v239, v223, v158
	v_pk_mul_f32 v[128:129], v[230:231], v[128:129] op_sel_hi:[1,0]
	v_dual_add_f32 v136, v11, v13 :: v_dual_fmac_f32 v241, v177, v160
	s_delay_alu instid0(VALU_DEP_4)
	v_add_f32_e32 v137, v9, v37
	v_pk_mul_f32 v[130:131], v[180:181], v[164:165] op_sel:[1,1] op_sel_hi:[0,1]
	s_wait_loadcnt 0x3
	v_dual_mov_b32 v138, v171 :: v_dual_fma_f32 v240, v176, v160, -v25
	v_pk_fma_f32 v[140:141], v[178:179], v[162:163], v[128:129] op_sel_hi:[1,0,1]
	v_pk_add_f32 v[136:137], v[136:137], v[238:239]
	v_pk_fma_f32 v[128:129], v[178:179], v[162:163], v[128:129] neg_lo:[0,0,1] neg_hi:[0,0,1]
	v_pk_fma_f32 v[142:143], v[180:181], v[164:165], v[130:131] op_sel_hi:[1,0,1]
	v_pk_mul_f32 v[132:133], v[232:233], v[132:133] op_sel_hi:[1,0]
	v_mov_b32_e32 v129, v141
	v_pk_add_f32 v[136:137], v[136:137], v[240:241]
	v_pk_fma_f32 v[130:131], v[180:181], v[164:165], v[130:131] neg_lo:[0,0,1] neg_hi:[0,0,1]
	v_pk_mul_f32 v[134:135], v[184:185], v[168:169] op_sel:[1,1] op_sel_hi:[0,1]
	v_mov_b32_e32 v131, v143
	v_pk_fma_f32 v[142:143], v[182:183], v[166:167], v[132:133] op_sel_hi:[1,0,1]
	v_pk_add_f32 v[128:129], v[136:137], v[128:129]
	v_pk_fma_f32 v[132:133], v[182:183], v[166:167], v[132:133] neg_lo:[0,0,1] neg_hi:[0,0,1]
	v_pk_fma_f32 v[136:137], v[184:185], v[168:169], v[134:135] op_sel_hi:[1,0,1]
	v_pk_mul_f32 v[138:139], v[234:235], v[138:139] op_sel_hi:[1,0]
	v_mov_b32_e32 v133, v143
	v_pk_add_f32 v[128:129], v[128:129], v[130:131]
	v_pk_fma_f32 v[134:135], v[184:185], v[168:169], v[134:135] neg_lo:[0,0,1] neg_hi:[0,0,1]
	s_wait_loadcnt 0x2
	v_pk_mul_f32 v[140:141], v[188:189], v[172:173] op_sel:[1,1] op_sel_hi:[0,1]
	v_dual_mov_b32 v130, v175 :: v_dual_mov_b32 v135, v137
	v_pk_fma_f32 v[136:137], v[186:187], v[170:171], v[138:139] op_sel_hi:[1,0,1]
	v_pk_add_f32 v[128:129], v[128:129], v[132:133]
	v_pk_fma_f32 v[138:139], v[186:187], v[170:171], v[138:139] neg_lo:[0,0,1] neg_hi:[0,0,1]
	v_pk_fma_f32 v[132:133], v[188:189], v[172:173], v[140:141] op_sel_hi:[1,0,1]
	v_pk_mul_f32 v[130:131], v[236:237], v[130:131] op_sel_hi:[1,0]
	v_mov_b32_e32 v139, v137
	v_pk_add_f32 v[128:129], v[128:129], v[134:135]
	v_pk_fma_f32 v[134:135], v[188:189], v[172:173], v[140:141] neg_lo:[0,0,1] neg_hi:[0,0,1]
	v_mov_b32_e32 v135, v133
	v_pk_fma_f32 v[132:133], v[190:191], v[174:175], v[130:131] op_sel_hi:[1,0,1]
	s_wait_loadcnt_dscnt 0x100
	v_pk_mul_f32 v[136:137], v[228:229], v[224:225] op_sel:[1,1] op_sel_hi:[0,1]
	v_pk_add_f32 v[128:129], v[128:129], v[138:139]
	v_pk_fma_f32 v[130:131], v[190:191], v[174:175], v[130:131] neg_lo:[0,0,1] neg_hi:[0,0,1]
	v_mov_b32_e32 v131, v133
	s_delay_alu instid0(VALU_DEP_4) | instskip(NEXT) | instid1(VALU_DEP_4)
	v_pk_fma_f32 v[132:133], v[228:229], v[224:225], v[136:137] op_sel_hi:[1,0,1]
	v_pk_add_f32 v[128:129], v[128:129], v[134:135]
	v_pk_fma_f32 v[134:135], v[228:229], v[224:225], v[136:137] neg_lo:[0,0,1] neg_hi:[0,0,1]
	s_delay_alu instid0(VALU_DEP_3) | instskip(NEXT) | instid1(VALU_DEP_3)
	v_mov_b32_e32 v135, v133
	v_pk_add_f32 v[128:129], v[128:129], v[130:131]
	s_delay_alu instid0(VALU_DEP_1) | instskip(SKIP_1) | instid1(VALU_DEP_1)
	v_pk_add_f32 v[128:129], v[128:129], v[134:135]
	s_wait_loadcnt 0x0
	v_pk_add_f32 v[128:129], v[226:227], v[128:129] neg_lo:[0,1] neg_hi:[0,1]
	scratch_store_b64 off, v[128:129], off offset:296
	s_wait_xcnt 0x0
	v_cmpx_lt_u32_e32 36, v0
	s_cbranch_execz .LBB126_319
; %bb.318:
	scratch_load_b64 v[128:129], off, off offset:288
	v_mov_b64_e32 v[130:131], 0
	scratch_store_b64 off, v[130:131], off offset:288
	s_wait_loadcnt 0x0
	ds_store_b64 v1, v[128:129]
.LBB126_319:
	s_wait_xcnt 0x0
	s_or_b32 exec_lo, exec_lo, s0
	s_wait_storecnt_dscnt 0x0
	s_barrier_signal -1
	s_barrier_wait -1
	s_clause 0xd
	scratch_load_b128 v[128:131], off, off offset:296
	scratch_load_b128 v[132:135], off, off offset:312
	;; [unrolled: 1-line block ×13, first 2 shown]
	scratch_load_b64 v[232:233], off, off offset:288
	ds_load_2addr_b64 v[180:183], v7 offset0:119 offset1:120
	ds_load_2addr_b64 v[184:187], v7 offset0:121 offset1:122
	;; [unrolled: 1-line block ×13, first 2 shown]
	s_mov_b32 s0, exec_lo
	s_wait_dscnt 0xc
	v_dual_mov_b32 v234, v183 :: v_dual_mov_b32 v235, v182
	s_wait_dscnt 0xb
	v_dual_mov_b32 v236, v187 :: v_dual_mov_b32 v237, v186
	;; [unrolled: 2-line block ×4, first 2 shown]
	s_wait_loadcnt_dscnt 0xd08
	v_dual_mul_f32 v7, v196, v129 :: v_dual_mul_f32 v9, v198, v131
	v_dual_mul_f32 v39, v197, v129 :: v_dual_mul_f32 v41, v199, v131
	s_wait_loadcnt_dscnt 0xc07
	v_dual_mul_f32 v11, v200, v133 :: v_dual_mul_f32 v13, v202, v135
	s_delay_alu instid0(VALU_DEP_3) | instskip(SKIP_3) | instid1(VALU_DEP_3)
	v_dual_fmac_f32 v7, v197, v128 :: v_dual_fmac_f32 v9, v199, v130
	s_wait_loadcnt_dscnt 0xa05
	v_dual_fma_f32 v39, v196, v128, -v39 :: v_dual_mul_f32 v51, v209, v141
	v_dual_mul_f32 v43, v201, v133 :: v_dual_mul_f32 v45, v203, v135
	v_dual_fma_f32 v41, v198, v130, -v41 :: v_dual_add_f32 v7, 0, v7
	s_delay_alu instid0(VALU_DEP_3) | instskip(SKIP_1) | instid1(VALU_DEP_4)
	v_dual_add_f32 v39, 0, v39 :: v_dual_fmac_f32 v11, v201, v132
	v_dual_mul_f32 v15, v204, v137 :: v_dual_mul_f32 v17, v206, v139
	v_dual_mul_f32 v53, v211, v143 :: v_dual_fma_f32 v43, v200, v132, -v43
	s_delay_alu instid0(VALU_DEP_4) | instskip(NEXT) | instid1(VALU_DEP_3)
	v_add_f32_e32 v7, v7, v9
	v_dual_add_f32 v9, v39, v41 :: v_dual_fmac_f32 v15, v205, v136
	v_dual_mul_f32 v47, v205, v137 :: v_dual_mul_f32 v49, v207, v139
	s_wait_loadcnt_dscnt 0x903
	v_dual_mul_f32 v39, v217, v145 :: v_dual_fmac_f32 v13, v203, v134
	v_dual_fma_f32 v41, v202, v134, -v45 :: v_dual_add_f32 v7, v7, v11
	s_delay_alu instid0(VALU_DEP_3) | instskip(SKIP_1) | instid1(VALU_DEP_3)
	v_dual_add_f32 v9, v9, v43 :: v_dual_fma_f32 v43, v204, v136, -v47
	v_dual_mul_f32 v19, v208, v141 :: v_dual_mul_f32 v21, v210, v143
	v_add_f32_e32 v7, v7, v13
	s_delay_alu instid0(VALU_DEP_3) | instskip(SKIP_2) | instid1(VALU_DEP_3)
	v_dual_mul_f32 v11, v219, v147 :: v_dual_add_f32 v9, v9, v41
	s_wait_loadcnt_dscnt 0x802
	v_dual_mul_f32 v13, v221, v149 :: v_dual_fmac_f32 v17, v207, v138
	v_dual_fma_f32 v41, v206, v138, -v49 :: v_dual_add_f32 v7, v7, v15
	s_delay_alu instid0(VALU_DEP_3) | instskip(SKIP_1) | instid1(VALU_DEP_3)
	v_dual_add_f32 v9, v9, v43 :: v_dual_fma_f32 v43, v208, v140, -v51
	v_dual_mul_f32 v15, v223, v151 :: v_dual_fmac_f32 v19, v209, v140
	v_add_f32_e32 v7, v7, v17
	s_delay_alu instid0(VALU_DEP_3)
	v_dual_add_f32 v9, v9, v41 :: v_dual_fmac_f32 v21, v211, v142
	v_dual_mul_f32 v23, v216, v145 :: v_dual_mul_f32 v25, v218, v147
	s_wait_loadcnt_dscnt 0x701
	v_dual_fma_f32 v41, v210, v142, -v53 :: v_dual_mul_f32 v17, v225, v153
	v_add_f32_e32 v7, v7, v19
	v_dual_add_f32 v9, v9, v43 :: v_dual_fma_f32 v39, v216, v144, -v39
	v_dual_mul_f32 v19, v227, v155 :: v_dual_fmac_f32 v23, v217, v144
	s_delay_alu instid0(VALU_DEP_3) | instskip(NEXT) | instid1(VALU_DEP_3)
	v_dual_add_f32 v7, v7, v21 :: v_dual_fma_f32 v11, v218, v146, -v11
	v_dual_add_f32 v9, v9, v41 :: v_dual_fmac_f32 v25, v219, v146
	v_dual_mul_f32 v27, v220, v149 :: v_dual_mul_f32 v29, v222, v151
	s_wait_loadcnt_dscnt 0x600
	s_delay_alu instid0(VALU_DEP_3) | instskip(NEXT) | instid1(VALU_DEP_3)
	v_dual_mul_f32 v21, v229, v157 :: v_dual_add_f32 v7, v7, v23
	v_dual_add_f32 v9, v9, v39 :: v_dual_fma_f32 v13, v220, v148, -v13
	s_delay_alu instid0(VALU_DEP_3) | instskip(NEXT) | instid1(VALU_DEP_2)
	v_dual_mul_f32 v23, v231, v159 :: v_dual_fmac_f32 v27, v221, v148
	v_dual_add_f32 v7, v7, v25 :: v_dual_add_f32 v9, v9, v11
	v_dual_mul_f32 v31, v224, v153 :: v_dual_mul_f32 v33, v226, v155
	s_wait_loadcnt 0x5
	v_dual_mul_f32 v11, v213, v161 :: v_dual_fmac_f32 v29, v223, v150
	s_delay_alu instid0(VALU_DEP_3) | instskip(SKIP_2) | instid1(VALU_DEP_2)
	v_dual_fma_f32 v15, v222, v150, -v15 :: v_dual_add_f32 v7, v7, v27
	v_dual_add_f32 v9, v9, v13 :: v_dual_mul_f32 v13, v215, v163
	v_dual_fmac_f32 v31, v225, v152 :: v_dual_fma_f32 v17, v224, v152, -v17
	v_dual_add_f32 v7, v7, v29 :: v_dual_add_f32 v9, v9, v15
	v_dual_mul_f32 v35, v228, v157 :: v_dual_mul_f32 v37, v230, v159
	v_dual_fmac_f32 v33, v227, v154 :: v_dual_fma_f32 v15, v226, v154, -v19
	s_delay_alu instid0(VALU_DEP_3) | instskip(SKIP_1) | instid1(VALU_DEP_3)
	v_dual_add_f32 v7, v7, v31 :: v_dual_add_f32 v9, v9, v17
	s_wait_loadcnt 0x4
	v_dual_mov_b32 v130, v167 :: v_dual_fmac_f32 v35, v229, v156
	s_delay_alu instid0(VALU_DEP_2) | instskip(NEXT) | instid1(VALU_DEP_3)
	v_dual_fma_f32 v17, v228, v156, -v21 :: v_dual_add_f32 v7, v7, v33
	v_dual_add_f32 v9, v9, v15 :: v_dual_fmac_f32 v37, v231, v158
	v_dual_mul_f32 v243, v212, v161 :: v_dual_mul_f32 v245, v214, v163
	s_delay_alu instid0(VALU_DEP_3) | instskip(SKIP_1) | instid1(VALU_DEP_3)
	v_dual_fma_f32 v15, v230, v158, -v23 :: v_dual_add_f32 v7, v7, v35
	s_wait_loadcnt 0x3
	v_dual_add_f32 v9, v9, v17 :: v_dual_mov_b32 v134, v171
	v_pk_mul_f32 v[128:129], v[180:181], v[164:165] op_sel:[1,1] op_sel_hi:[0,1]
	s_delay_alu instid0(VALU_DEP_3) | instskip(NEXT) | instid1(VALU_DEP_3)
	v_dual_fmac_f32 v243, v213, v160 :: v_dual_add_f32 v137, v7, v37
	v_dual_fma_f32 v242, v212, v160, -v11 :: v_dual_add_f32 v136, v9, v15
	v_fmac_f32_e32 v245, v215, v162
	s_delay_alu instid0(VALU_DEP_4)
	v_pk_fma_f32 v[138:139], v[180:181], v[164:165], v[128:129] op_sel_hi:[1,0,1]
	v_fma_f32 v244, v214, v162, -v13
	v_pk_mul_f32 v[130:131], v[234:235], v[130:131] op_sel_hi:[1,0]
	v_pk_add_f32 v[136:137], v[136:137], v[242:243]
	v_pk_fma_f32 v[128:129], v[180:181], v[164:165], v[128:129] neg_lo:[0,0,1] neg_hi:[0,0,1]
	v_pk_mul_f32 v[132:133], v[184:185], v[168:169] op_sel:[1,1] op_sel_hi:[0,1]
	v_mov_b32_e32 v129, v139
	v_pk_fma_f32 v[138:139], v[182:183], v[166:167], v[130:131] op_sel_hi:[1,0,1]
	v_pk_add_f32 v[136:137], v[136:137], v[244:245]
	v_pk_fma_f32 v[130:131], v[182:183], v[166:167], v[130:131] neg_lo:[0,0,1] neg_hi:[0,0,1]
	v_pk_fma_f32 v[142:143], v[184:185], v[168:169], v[132:133] op_sel_hi:[1,0,1]
	v_pk_mul_f32 v[134:135], v[236:237], v[134:135] op_sel_hi:[1,0]
	v_mov_b32_e32 v131, v139
	v_pk_add_f32 v[128:129], v[136:137], v[128:129]
	s_wait_loadcnt 0x2
	v_pk_mul_f32 v[140:141], v[188:189], v[172:173] op_sel:[1,1] op_sel_hi:[0,1]
	v_mov_b32_e32 v136, v175
	v_pk_fma_f32 v[132:133], v[184:185], v[168:169], v[132:133] neg_lo:[0,0,1] neg_hi:[0,0,1]
	v_pk_fma_f32 v[138:139], v[186:187], v[170:171], v[134:135] op_sel_hi:[1,0,1]
	v_mov_b32_e32 v133, v143
	v_pk_add_f32 v[128:129], v[128:129], v[130:131]
	v_pk_fma_f32 v[130:131], v[188:189], v[172:173], v[140:141] op_sel_hi:[1,0,1]
	v_pk_mul_f32 v[136:137], v[238:239], v[136:137] op_sel_hi:[1,0]
	v_pk_fma_f32 v[134:135], v[186:187], v[170:171], v[134:135] neg_lo:[0,0,1] neg_hi:[0,0,1]
	v_mov_b32_e32 v135, v139
	v_pk_add_f32 v[128:129], v[128:129], v[132:133]
	v_pk_fma_f32 v[138:139], v[188:189], v[172:173], v[140:141] neg_lo:[0,0,1] neg_hi:[0,0,1]
	v_mov_b32_e32 v139, v131
	v_pk_fma_f32 v[130:131], v[190:191], v[174:175], v[136:137] op_sel_hi:[1,0,1]
	s_wait_loadcnt 0x1
	v_pk_mul_f32 v[132:133], v[192:193], v[176:177] op_sel:[1,1] op_sel_hi:[0,1]
	v_pk_add_f32 v[128:129], v[128:129], v[134:135]
	v_mov_b32_e32 v130, v179
	v_pk_fma_f32 v[136:137], v[190:191], v[174:175], v[136:137] neg_lo:[0,0,1] neg_hi:[0,0,1]
	s_delay_alu instid0(VALU_DEP_4)
	v_pk_fma_f32 v[134:135], v[192:193], v[176:177], v[132:133] op_sel_hi:[1,0,1]
	v_mov_b32_e32 v137, v131
	v_pk_add_f32 v[128:129], v[128:129], v[138:139]
	v_pk_mul_f32 v[130:131], v[240:241], v[130:131] op_sel_hi:[1,0]
	v_pk_fma_f32 v[132:133], v[192:193], v[176:177], v[132:133] neg_lo:[0,0,1] neg_hi:[0,0,1]
	v_mov_b32_e32 v133, v135
	s_delay_alu instid0(VALU_DEP_4) | instskip(NEXT) | instid1(VALU_DEP_4)
	v_pk_add_f32 v[128:129], v[128:129], v[136:137]
	v_pk_fma_f32 v[134:135], v[194:195], v[178:179], v[130:131] op_sel_hi:[1,0,1]
	v_pk_fma_f32 v[130:131], v[194:195], v[178:179], v[130:131] neg_lo:[0,0,1] neg_hi:[0,0,1]
	s_delay_alu instid0(VALU_DEP_3) | instskip(NEXT) | instid1(VALU_DEP_3)
	v_pk_add_f32 v[128:129], v[128:129], v[132:133]
	v_mov_b32_e32 v131, v135
	s_delay_alu instid0(VALU_DEP_1) | instskip(SKIP_1) | instid1(VALU_DEP_1)
	v_pk_add_f32 v[128:129], v[128:129], v[130:131]
	s_wait_loadcnt 0x0
	v_pk_add_f32 v[128:129], v[232:233], v[128:129] neg_lo:[0,1] neg_hi:[0,1]
	scratch_store_b64 off, v[128:129], off offset:288
	s_wait_xcnt 0x0
	v_cmpx_lt_u32_e32 35, v0
	s_cbranch_execz .LBB126_321
; %bb.320:
	scratch_load_b64 v[128:129], off, off offset:280
	v_mov_b64_e32 v[130:131], 0
	scratch_store_b64 off, v[130:131], off offset:280
	s_wait_loadcnt 0x0
	ds_store_b64 v1, v[128:129]
.LBB126_321:
	s_wait_xcnt 0x0
	s_or_b32 exec_lo, exec_lo, s0
	s_wait_storecnt_dscnt 0x0
	s_barrier_signal -1
	s_barrier_wait -1
	s_clause 0xe
	scratch_load_b128 v[128:131], off, off offset:288
	scratch_load_b128 v[132:135], off, off offset:304
	;; [unrolled: 1-line block ×13, first 2 shown]
	scratch_load_b64 v[232:233], off, off offset:496
	scratch_load_b64 v[234:235], off, off offset:280
	v_mov_b32_e32 v7, 0
	ds_load_b128 v[180:183], v7 offset:944
	ds_load_b128 v[184:187], v7 offset:960
	;; [unrolled: 1-line block ×13, first 2 shown]
	ds_load_b64 v[236:237], v7 offset:1008
	s_mov_b32 s0, exec_lo
	s_wait_dscnt 0xd
	v_dual_mov_b32 v238, v183 :: v_dual_mov_b32 v239, v182
	s_wait_dscnt 0xa
	v_dual_mov_b32 v240, v187 :: v_dual_mov_b32 v245, v194
	v_dual_mov_b32 v241, v186 :: v_dual_mov_b32 v242, v191
	v_dual_mov_b32 v243, v190 :: v_dual_mov_b32 v244, v195
	s_wait_loadcnt_dscnt 0xe09
	v_dual_mul_f32 v9, v196, v129 :: v_dual_mul_f32 v43, v197, v129
	v_dual_mul_f32 v45, v199, v131 :: v_dual_mul_f32 v11, v198, v131
	s_wait_loadcnt_dscnt 0xd08
	v_mul_f32_e32 v13, v200, v133
	s_wait_loadcnt_dscnt 0xb05
	v_dual_mul_f32 v55, v213, v141 :: v_dual_fma_f32 v43, v196, v128, -v43
	v_dual_fmac_f32 v9, v197, v128 :: v_dual_mul_f32 v57, v215, v143
	v_dual_mul_f32 v47, v201, v133 :: v_dual_mul_f32 v49, v203, v135
	v_dual_fmac_f32 v11, v199, v130 :: v_dual_fma_f32 v45, v198, v130, -v45
	s_delay_alu instid0(VALU_DEP_3) | instskip(SKIP_4) | instid1(VALU_DEP_3)
	v_dual_add_f32 v9, 0, v9 :: v_dual_add_f32 v43, 0, v43
	v_dual_mul_f32 v15, v202, v135 :: v_dual_mul_f32 v17, v204, v137
	s_wait_loadcnt_dscnt 0xa04
	v_dual_mul_f32 v59, v217, v145 :: v_dual_fma_f32 v47, v200, v132, -v47
	v_fmac_f32_e32 v13, v201, v132
	v_dual_add_f32 v9, v9, v11 :: v_dual_fmac_f32 v15, v203, v134
	v_add_f32_e32 v11, v43, v45
	v_dual_mul_f32 v51, v205, v137 :: v_dual_mul_f32 v53, v207, v139
	v_dual_mul_f32 v43, v219, v147 :: v_dual_fma_f32 v45, v202, v134, -v49
	s_delay_alu instid0(VALU_DEP_3) | instskip(SKIP_3) | instid1(VALU_DEP_3)
	v_dual_add_f32 v9, v9, v13 :: v_dual_add_f32 v11, v11, v47
	v_dual_mul_f32 v19, v206, v139 :: v_dual_mul_f32 v21, v212, v141
	s_wait_loadcnt_dscnt 0x903
	v_dual_mul_f32 v13, v221, v149 :: v_dual_fma_f32 v47, v204, v136, -v51
	v_dual_fmac_f32 v17, v205, v136 :: v_dual_add_f32 v11, v11, v45
	s_delay_alu instid0(VALU_DEP_3) | instskip(SKIP_1) | instid1(VALU_DEP_2)
	v_dual_add_f32 v9, v9, v15 :: v_dual_fmac_f32 v19, v207, v138
	v_dual_mul_f32 v15, v223, v151 :: v_dual_fma_f32 v45, v206, v138, -v53
	v_dual_add_f32 v11, v11, v47 :: v_dual_add_f32 v9, v9, v17
	v_dual_mul_f32 v23, v214, v143 :: v_dual_mul_f32 v25, v216, v145
	s_wait_loadcnt_dscnt 0x802
	v_dual_mul_f32 v17, v225, v153 :: v_dual_fma_f32 v47, v212, v140, -v55
	s_delay_alu instid0(VALU_DEP_3) | instskip(NEXT) | instid1(VALU_DEP_3)
	v_dual_fmac_f32 v21, v213, v140 :: v_dual_add_f32 v11, v11, v45
	v_dual_add_f32 v9, v9, v19 :: v_dual_fmac_f32 v23, v215, v142
	v_dual_mul_f32 v19, v227, v155 :: v_dual_fma_f32 v45, v214, v142, -v57
	s_delay_alu instid0(VALU_DEP_2) | instskip(SKIP_3) | instid1(VALU_DEP_3)
	v_dual_add_f32 v11, v11, v47 :: v_dual_add_f32 v9, v9, v21
	v_dual_mul_f32 v27, v218, v147 :: v_dual_mul_f32 v29, v220, v149
	s_wait_loadcnt_dscnt 0x701
	v_dual_mul_f32 v21, v229, v157 :: v_dual_fma_f32 v47, v216, v144, -v59
	v_dual_fmac_f32 v25, v217, v144 :: v_dual_add_f32 v11, v11, v45
	s_delay_alu instid0(VALU_DEP_3) | instskip(SKIP_1) | instid1(VALU_DEP_2)
	v_dual_add_f32 v9, v9, v23 :: v_dual_fmac_f32 v27, v219, v146
	v_dual_mul_f32 v23, v231, v159 :: v_dual_fma_f32 v43, v218, v146, -v43
	v_dual_add_f32 v11, v11, v47 :: v_dual_add_f32 v9, v9, v25
	v_dual_mul_f32 v31, v222, v151 :: v_dual_mul_f32 v33, v224, v153
	s_wait_loadcnt 0x6
	v_dual_mul_f32 v25, v209, v161 :: v_dual_fma_f32 v13, v220, v148, -v13
	s_delay_alu instid0(VALU_DEP_3) | instskip(NEXT) | instid1(VALU_DEP_3)
	v_dual_fmac_f32 v29, v221, v148 :: v_dual_add_f32 v11, v11, v43
	v_dual_add_f32 v9, v9, v27 :: v_dual_fmac_f32 v31, v223, v150
	v_dual_mul_f32 v27, v211, v163 :: v_dual_fma_f32 v15, v222, v150, -v15
	s_delay_alu instid0(VALU_DEP_3) | instskip(NEXT) | instid1(VALU_DEP_3)
	v_dual_add_f32 v11, v11, v13 :: v_dual_fmac_f32 v33, v225, v152
	v_dual_add_f32 v9, v9, v29 :: v_dual_fma_f32 v17, v224, v152, -v17
	v_dual_mul_f32 v35, v226, v155 :: v_dual_mul_f32 v37, v228, v157
	s_wait_loadcnt 0x5
	s_delay_alu instid0(VALU_DEP_3) | instskip(NEXT) | instid1(VALU_DEP_3)
	v_dual_mul_f32 v13, v181, v165 :: v_dual_add_f32 v11, v11, v15
	v_dual_add_f32 v9, v9, v31 :: v_dual_mov_b32 v128, v167
	s_delay_alu instid0(VALU_DEP_3) | instskip(NEXT) | instid1(VALU_DEP_3)
	v_fmac_f32_e32 v35, v227, v154
	v_dual_fma_f32 v15, v226, v154, -v19 :: v_dual_add_f32 v11, v11, v17
	s_delay_alu instid0(VALU_DEP_3) | instskip(SKIP_1) | instid1(VALU_DEP_3)
	v_dual_add_f32 v9, v9, v33 :: v_dual_mul_f32 v39, v230, v159
	v_dual_mul_f32 v41, v208, v161 :: v_dual_fmac_f32 v37, v229, v156
	v_dual_add_f32 v11, v11, v15 :: v_dual_fma_f32 v17, v228, v156, -v21
	s_wait_loadcnt 0x4
	s_delay_alu instid0(VALU_DEP_3) | instskip(SKIP_3) | instid1(VALU_DEP_4)
	v_dual_add_f32 v9, v9, v35 :: v_dual_mov_b32 v132, v171
	v_fma_f32 v15, v230, v158, -v23
	v_fmac_f32_e32 v39, v231, v158
	v_dual_add_f32 v11, v11, v17 :: v_dual_fmac_f32 v41, v209, v160
	v_dual_add_f32 v9, v9, v37 :: v_dual_mul_f32 v247, v210, v163
	v_mul_f32_e32 v249, v180, v165
	s_delay_alu instid0(VALU_DEP_3) | instskip(NEXT) | instid1(VALU_DEP_3)
	v_dual_fma_f32 v17, v208, v160, -v25 :: v_dual_add_f32 v11, v11, v15
	v_dual_fma_f32 v246, v210, v162, -v27 :: v_dual_add_f32 v9, v9, v39
	s_delay_alu instid0(VALU_DEP_4) | instskip(SKIP_1) | instid1(VALU_DEP_4)
	v_fmac_f32_e32 v247, v211, v162
	v_pk_mul_f32 v[128:129], v[238:239], v[128:129] op_sel_hi:[1,0]
	v_dual_add_f32 v136, v11, v17 :: v_dual_fmac_f32 v249, v181, v164
	s_delay_alu instid0(VALU_DEP_4)
	v_add_f32_e32 v137, v9, v41
	v_pk_mul_f32 v[130:131], v[184:185], v[168:169] op_sel:[1,1] op_sel_hi:[0,1]
	s_wait_loadcnt 0x3
	v_dual_mov_b32 v138, v175 :: v_dual_fma_f32 v248, v180, v164, -v13
	v_pk_fma_f32 v[140:141], v[182:183], v[166:167], v[128:129] op_sel_hi:[1,0,1]
	v_pk_add_f32 v[136:137], v[136:137], v[246:247]
	v_pk_fma_f32 v[128:129], v[182:183], v[166:167], v[128:129] neg_lo:[0,0,1] neg_hi:[0,0,1]
	v_pk_fma_f32 v[142:143], v[184:185], v[168:169], v[130:131] op_sel_hi:[1,0,1]
	v_pk_mul_f32 v[132:133], v[240:241], v[132:133] op_sel_hi:[1,0]
	v_mov_b32_e32 v129, v141
	v_pk_add_f32 v[136:137], v[136:137], v[248:249]
	v_pk_fma_f32 v[130:131], v[184:185], v[168:169], v[130:131] neg_lo:[0,0,1] neg_hi:[0,0,1]
	v_pk_mul_f32 v[134:135], v[188:189], v[172:173] op_sel:[1,1] op_sel_hi:[0,1]
	v_mov_b32_e32 v131, v143
	v_pk_fma_f32 v[142:143], v[186:187], v[170:171], v[132:133] op_sel_hi:[1,0,1]
	v_pk_add_f32 v[128:129], v[136:137], v[128:129]
	v_pk_fma_f32 v[132:133], v[186:187], v[170:171], v[132:133] neg_lo:[0,0,1] neg_hi:[0,0,1]
	v_pk_fma_f32 v[136:137], v[188:189], v[172:173], v[134:135] op_sel_hi:[1,0,1]
	v_pk_mul_f32 v[138:139], v[242:243], v[138:139] op_sel_hi:[1,0]
	v_mov_b32_e32 v133, v143
	v_pk_add_f32 v[128:129], v[128:129], v[130:131]
	v_pk_fma_f32 v[134:135], v[188:189], v[172:173], v[134:135] neg_lo:[0,0,1] neg_hi:[0,0,1]
	s_wait_loadcnt 0x2
	v_pk_mul_f32 v[140:141], v[192:193], v[176:177] op_sel:[1,1] op_sel_hi:[0,1]
	v_dual_mov_b32 v130, v179 :: v_dual_mov_b32 v135, v137
	v_pk_fma_f32 v[136:137], v[190:191], v[174:175], v[138:139] op_sel_hi:[1,0,1]
	v_pk_add_f32 v[128:129], v[128:129], v[132:133]
	v_pk_fma_f32 v[138:139], v[190:191], v[174:175], v[138:139] neg_lo:[0,0,1] neg_hi:[0,0,1]
	v_pk_fma_f32 v[132:133], v[192:193], v[176:177], v[140:141] op_sel_hi:[1,0,1]
	v_pk_mul_f32 v[130:131], v[244:245], v[130:131] op_sel_hi:[1,0]
	v_mov_b32_e32 v139, v137
	v_pk_add_f32 v[128:129], v[128:129], v[134:135]
	v_pk_fma_f32 v[134:135], v[192:193], v[176:177], v[140:141] neg_lo:[0,0,1] neg_hi:[0,0,1]
	v_mov_b32_e32 v135, v133
	v_pk_fma_f32 v[132:133], v[194:195], v[178:179], v[130:131] op_sel_hi:[1,0,1]
	s_wait_loadcnt_dscnt 0x100
	v_pk_mul_f32 v[136:137], v[236:237], v[232:233] op_sel:[1,1] op_sel_hi:[0,1]
	v_pk_add_f32 v[128:129], v[128:129], v[138:139]
	v_pk_fma_f32 v[130:131], v[194:195], v[178:179], v[130:131] neg_lo:[0,0,1] neg_hi:[0,0,1]
	v_mov_b32_e32 v131, v133
	s_delay_alu instid0(VALU_DEP_4) | instskip(NEXT) | instid1(VALU_DEP_4)
	v_pk_fma_f32 v[132:133], v[236:237], v[232:233], v[136:137] op_sel_hi:[1,0,1]
	v_pk_add_f32 v[128:129], v[128:129], v[134:135]
	v_pk_fma_f32 v[134:135], v[236:237], v[232:233], v[136:137] neg_lo:[0,0,1] neg_hi:[0,0,1]
	s_delay_alu instid0(VALU_DEP_3) | instskip(NEXT) | instid1(VALU_DEP_3)
	v_mov_b32_e32 v135, v133
	v_pk_add_f32 v[128:129], v[128:129], v[130:131]
	s_delay_alu instid0(VALU_DEP_1) | instskip(SKIP_1) | instid1(VALU_DEP_1)
	v_pk_add_f32 v[128:129], v[128:129], v[134:135]
	s_wait_loadcnt 0x0
	v_pk_add_f32 v[128:129], v[234:235], v[128:129] neg_lo:[0,1] neg_hi:[0,1]
	scratch_store_b64 off, v[128:129], off offset:280
	s_wait_xcnt 0x0
	v_cmpx_lt_u32_e32 34, v0
	s_cbranch_execz .LBB126_323
; %bb.322:
	scratch_load_b64 v[128:129], off, off offset:272
	v_mov_b64_e32 v[130:131], 0
	scratch_store_b64 off, v[130:131], off offset:272
	s_wait_loadcnt 0x0
	ds_store_b64 v1, v[128:129]
.LBB126_323:
	s_wait_xcnt 0x0
	s_or_b32 exec_lo, exec_lo, s0
	s_wait_storecnt_dscnt 0x0
	s_barrier_signal -1
	s_barrier_wait -1
	s_clause 0xe
	scratch_load_b128 v[128:131], off, off offset:280
	scratch_load_b128 v[132:135], off, off offset:296
	;; [unrolled: 1-line block ×14, first 2 shown]
	scratch_load_b64 v[240:241], off, off offset:272
	ds_load_2addr_b64 v[184:187], v7 offset0:119 offset1:120
	ds_load_2addr_b64 v[188:191], v7 offset0:121 offset1:122
	;; [unrolled: 1-line block ×14, first 2 shown]
	s_mov_b32 s0, exec_lo
	s_wait_dscnt 0xd
	v_dual_mov_b32 v242, v187 :: v_dual_mov_b32 v243, v186
	s_wait_dscnt 0xc
	v_dual_mov_b32 v244, v191 :: v_dual_mov_b32 v245, v190
	;; [unrolled: 2-line block ×4, first 2 shown]
	s_wait_loadcnt_dscnt 0xe09
	v_dual_mul_f32 v7, v200, v129 :: v_dual_mul_f32 v9, v202, v131
	v_dual_mul_f32 v43, v201, v129 :: v_dual_mul_f32 v45, v203, v131
	s_wait_loadcnt_dscnt 0xd08
	v_dual_mul_f32 v11, v204, v133 :: v_dual_mul_f32 v13, v206, v135
	s_delay_alu instid0(VALU_DEP_3) | instskip(SKIP_3) | instid1(VALU_DEP_3)
	v_dual_fmac_f32 v7, v201, v128 :: v_dual_fmac_f32 v9, v203, v130
	s_wait_loadcnt_dscnt 0xb06
	v_dual_fma_f32 v43, v200, v128, -v43 :: v_dual_mul_f32 v55, v213, v141
	v_dual_mul_f32 v47, v205, v133 :: v_dual_mul_f32 v49, v207, v135
	v_dual_fma_f32 v45, v202, v130, -v45 :: v_dual_add_f32 v7, 0, v7
	s_delay_alu instid0(VALU_DEP_3) | instskip(SKIP_1) | instid1(VALU_DEP_4)
	v_dual_add_f32 v43, 0, v43 :: v_dual_fmac_f32 v11, v205, v132
	v_dual_mul_f32 v15, v208, v137 :: v_dual_mul_f32 v17, v210, v139
	v_dual_mul_f32 v57, v215, v143 :: v_dual_fma_f32 v47, v204, v132, -v47
	s_delay_alu instid0(VALU_DEP_4) | instskip(NEXT) | instid1(VALU_DEP_3)
	v_add_f32_e32 v7, v7, v9
	v_dual_add_f32 v9, v43, v45 :: v_dual_fmac_f32 v15, v209, v136
	v_dual_mul_f32 v51, v209, v137 :: v_dual_mul_f32 v53, v211, v139
	s_wait_loadcnt_dscnt 0xa05
	v_dual_mul_f32 v43, v217, v145 :: v_dual_fmac_f32 v13, v207, v134
	v_dual_fma_f32 v45, v206, v134, -v49 :: v_dual_add_f32 v7, v7, v11
	s_delay_alu instid0(VALU_DEP_3) | instskip(SKIP_1) | instid1(VALU_DEP_3)
	v_dual_add_f32 v9, v9, v47 :: v_dual_fma_f32 v47, v208, v136, -v51
	v_dual_mul_f32 v19, v212, v141 :: v_dual_mul_f32 v21, v214, v143
	v_add_f32_e32 v7, v7, v13
	s_delay_alu instid0(VALU_DEP_3) | instskip(SKIP_2) | instid1(VALU_DEP_3)
	v_dual_mul_f32 v11, v219, v147 :: v_dual_add_f32 v9, v9, v45
	s_wait_loadcnt_dscnt 0x904
	v_dual_mul_f32 v13, v221, v149 :: v_dual_fmac_f32 v17, v211, v138
	v_dual_fma_f32 v45, v210, v138, -v53 :: v_dual_add_f32 v7, v7, v15
	s_delay_alu instid0(VALU_DEP_3) | instskip(SKIP_1) | instid1(VALU_DEP_3)
	v_dual_add_f32 v9, v9, v47 :: v_dual_fma_f32 v47, v212, v140, -v55
	v_dual_mul_f32 v15, v223, v151 :: v_dual_fmac_f32 v19, v213, v140
	v_add_f32_e32 v7, v7, v17
	s_delay_alu instid0(VALU_DEP_3)
	v_dual_add_f32 v9, v9, v45 :: v_dual_fmac_f32 v21, v215, v142
	v_dual_mul_f32 v23, v216, v145 :: v_dual_mul_f32 v25, v218, v147
	s_wait_loadcnt_dscnt 0x803
	v_dual_fma_f32 v45, v214, v142, -v57 :: v_dual_mul_f32 v17, v225, v153
	v_add_f32_e32 v7, v7, v19
	v_dual_add_f32 v9, v9, v47 :: v_dual_fma_f32 v43, v216, v144, -v43
	v_dual_mul_f32 v19, v227, v155 :: v_dual_fmac_f32 v23, v217, v144
	s_delay_alu instid0(VALU_DEP_3) | instskip(NEXT) | instid1(VALU_DEP_3)
	v_dual_add_f32 v7, v7, v21 :: v_dual_fma_f32 v11, v218, v146, -v11
	v_dual_add_f32 v9, v9, v45 :: v_dual_fmac_f32 v25, v219, v146
	v_dual_mul_f32 v27, v220, v149 :: v_dual_mul_f32 v29, v222, v151
	s_wait_loadcnt_dscnt 0x702
	s_delay_alu instid0(VALU_DEP_3) | instskip(NEXT) | instid1(VALU_DEP_3)
	v_dual_mul_f32 v21, v229, v157 :: v_dual_add_f32 v7, v7, v23
	v_dual_add_f32 v9, v9, v43 :: v_dual_fma_f32 v13, v220, v148, -v13
	s_delay_alu instid0(VALU_DEP_3) | instskip(NEXT) | instid1(VALU_DEP_2)
	v_dual_mul_f32 v23, v231, v159 :: v_dual_fmac_f32 v27, v221, v148
	v_dual_add_f32 v7, v7, v25 :: v_dual_add_f32 v9, v9, v11
	v_dual_mul_f32 v31, v224, v153 :: v_dual_mul_f32 v33, v226, v155
	s_wait_loadcnt_dscnt 0x601
	v_dual_mul_f32 v11, v233, v161 :: v_dual_fmac_f32 v29, v223, v150
	s_delay_alu instid0(VALU_DEP_3) | instskip(SKIP_2) | instid1(VALU_DEP_2)
	v_dual_fma_f32 v15, v222, v150, -v15 :: v_dual_add_f32 v7, v7, v27
	v_dual_add_f32 v9, v9, v13 :: v_dual_mul_f32 v13, v235, v163
	v_dual_fmac_f32 v31, v225, v152 :: v_dual_fma_f32 v17, v224, v152, -v17
	v_dual_add_f32 v7, v7, v29 :: v_dual_add_f32 v9, v9, v15
	v_dual_mul_f32 v35, v228, v157 :: v_dual_mul_f32 v37, v230, v159
	s_wait_loadcnt_dscnt 0x500
	v_dual_mul_f32 v15, v237, v165 :: v_dual_fmac_f32 v33, v227, v154
	s_delay_alu instid0(VALU_DEP_3) | instskip(SKIP_2) | instid1(VALU_DEP_2)
	v_dual_fma_f32 v19, v226, v154, -v19 :: v_dual_add_f32 v7, v7, v31
	v_dual_add_f32 v9, v9, v17 :: v_dual_mul_f32 v17, v239, v167
	v_dual_fmac_f32 v35, v229, v156 :: v_dual_fma_f32 v21, v228, v156, -v21
	v_dual_add_f32 v7, v7, v33 :: v_dual_add_f32 v9, v9, v19
	v_dual_mul_f32 v39, v232, v161 :: v_dual_mul_f32 v41, v234, v163
	v_dual_fmac_f32 v37, v231, v158 :: v_dual_fma_f32 v19, v230, v158, -v23
	s_delay_alu instid0(VALU_DEP_3) | instskip(SKIP_1) | instid1(VALU_DEP_3)
	v_dual_add_f32 v7, v7, v35 :: v_dual_add_f32 v9, v9, v21
	s_wait_loadcnt 0x4
	v_dual_mov_b32 v130, v171 :: v_dual_fmac_f32 v39, v233, v160
	s_delay_alu instid0(VALU_DEP_2) | instskip(NEXT) | instid1(VALU_DEP_3)
	v_dual_fma_f32 v11, v232, v160, -v11 :: v_dual_add_f32 v7, v7, v37
	v_dual_add_f32 v9, v9, v19 :: v_dual_fmac_f32 v41, v235, v162
	v_dual_mul_f32 v251, v236, v165 :: v_dual_mul_f32 v253, v238, v167
	s_delay_alu instid0(VALU_DEP_3) | instskip(SKIP_1) | instid1(VALU_DEP_3)
	v_dual_fma_f32 v13, v234, v162, -v13 :: v_dual_add_f32 v7, v7, v39
	s_wait_loadcnt 0x3
	v_dual_add_f32 v9, v9, v11 :: v_dual_mov_b32 v134, v175
	v_pk_mul_f32 v[128:129], v[184:185], v[168:169] op_sel:[1,1] op_sel_hi:[0,1]
	s_delay_alu instid0(VALU_DEP_3) | instskip(NEXT) | instid1(VALU_DEP_3)
	v_dual_fmac_f32 v251, v237, v164 :: v_dual_add_f32 v137, v7, v41
	v_dual_fma_f32 v250, v236, v164, -v15 :: v_dual_add_f32 v136, v9, v13
	v_fmac_f32_e32 v253, v239, v166
	s_delay_alu instid0(VALU_DEP_4)
	v_pk_fma_f32 v[138:139], v[184:185], v[168:169], v[128:129] op_sel_hi:[1,0,1]
	v_fma_f32 v252, v238, v166, -v17
	v_pk_mul_f32 v[130:131], v[242:243], v[130:131] op_sel_hi:[1,0]
	v_pk_add_f32 v[136:137], v[136:137], v[250:251]
	v_pk_fma_f32 v[128:129], v[184:185], v[168:169], v[128:129] neg_lo:[0,0,1] neg_hi:[0,0,1]
	v_pk_mul_f32 v[132:133], v[188:189], v[172:173] op_sel:[1,1] op_sel_hi:[0,1]
	v_mov_b32_e32 v129, v139
	v_pk_fma_f32 v[138:139], v[186:187], v[170:171], v[130:131] op_sel_hi:[1,0,1]
	v_pk_add_f32 v[136:137], v[136:137], v[252:253]
	v_pk_fma_f32 v[130:131], v[186:187], v[170:171], v[130:131] neg_lo:[0,0,1] neg_hi:[0,0,1]
	v_pk_fma_f32 v[142:143], v[188:189], v[172:173], v[132:133] op_sel_hi:[1,0,1]
	v_pk_mul_f32 v[134:135], v[244:245], v[134:135] op_sel_hi:[1,0]
	v_mov_b32_e32 v131, v139
	v_pk_add_f32 v[128:129], v[136:137], v[128:129]
	s_wait_loadcnt 0x2
	v_pk_mul_f32 v[140:141], v[192:193], v[176:177] op_sel:[1,1] op_sel_hi:[0,1]
	v_mov_b32_e32 v136, v179
	v_pk_fma_f32 v[132:133], v[188:189], v[172:173], v[132:133] neg_lo:[0,0,1] neg_hi:[0,0,1]
	v_pk_fma_f32 v[138:139], v[190:191], v[174:175], v[134:135] op_sel_hi:[1,0,1]
	v_mov_b32_e32 v133, v143
	v_pk_add_f32 v[128:129], v[128:129], v[130:131]
	v_pk_fma_f32 v[130:131], v[192:193], v[176:177], v[140:141] op_sel_hi:[1,0,1]
	v_pk_mul_f32 v[136:137], v[246:247], v[136:137] op_sel_hi:[1,0]
	v_pk_fma_f32 v[134:135], v[190:191], v[174:175], v[134:135] neg_lo:[0,0,1] neg_hi:[0,0,1]
	v_mov_b32_e32 v135, v139
	v_pk_add_f32 v[128:129], v[128:129], v[132:133]
	v_pk_fma_f32 v[138:139], v[192:193], v[176:177], v[140:141] neg_lo:[0,0,1] neg_hi:[0,0,1]
	v_mov_b32_e32 v139, v131
	v_pk_fma_f32 v[130:131], v[194:195], v[178:179], v[136:137] op_sel_hi:[1,0,1]
	s_wait_loadcnt 0x1
	v_pk_mul_f32 v[132:133], v[196:197], v[180:181] op_sel:[1,1] op_sel_hi:[0,1]
	v_pk_add_f32 v[128:129], v[128:129], v[134:135]
	v_mov_b32_e32 v130, v183
	v_pk_fma_f32 v[136:137], v[194:195], v[178:179], v[136:137] neg_lo:[0,0,1] neg_hi:[0,0,1]
	s_delay_alu instid0(VALU_DEP_4)
	v_pk_fma_f32 v[134:135], v[196:197], v[180:181], v[132:133] op_sel_hi:[1,0,1]
	v_mov_b32_e32 v137, v131
	v_pk_add_f32 v[128:129], v[128:129], v[138:139]
	v_pk_mul_f32 v[130:131], v[248:249], v[130:131] op_sel_hi:[1,0]
	v_pk_fma_f32 v[132:133], v[196:197], v[180:181], v[132:133] neg_lo:[0,0,1] neg_hi:[0,0,1]
	v_mov_b32_e32 v133, v135
	s_delay_alu instid0(VALU_DEP_4) | instskip(NEXT) | instid1(VALU_DEP_4)
	v_pk_add_f32 v[128:129], v[128:129], v[136:137]
	v_pk_fma_f32 v[134:135], v[198:199], v[182:183], v[130:131] op_sel_hi:[1,0,1]
	v_pk_fma_f32 v[130:131], v[198:199], v[182:183], v[130:131] neg_lo:[0,0,1] neg_hi:[0,0,1]
	s_delay_alu instid0(VALU_DEP_3) | instskip(NEXT) | instid1(VALU_DEP_3)
	v_pk_add_f32 v[128:129], v[128:129], v[132:133]
	v_mov_b32_e32 v131, v135
	s_delay_alu instid0(VALU_DEP_1) | instskip(SKIP_1) | instid1(VALU_DEP_1)
	v_pk_add_f32 v[128:129], v[128:129], v[130:131]
	s_wait_loadcnt 0x0
	v_pk_add_f32 v[128:129], v[240:241], v[128:129] neg_lo:[0,1] neg_hi:[0,1]
	scratch_store_b64 off, v[128:129], off offset:272
	s_wait_xcnt 0x0
	v_cmpx_lt_u32_e32 33, v0
	s_cbranch_execz .LBB126_325
; %bb.324:
	scratch_load_b64 v[128:129], off, off offset:264
	v_mov_b64_e32 v[130:131], 0
	scratch_store_b64 off, v[130:131], off offset:264
	s_wait_loadcnt 0x0
	ds_store_b64 v1, v[128:129]
.LBB126_325:
	s_wait_xcnt 0x0
	s_or_b32 exec_lo, exec_lo, s0
	s_wait_storecnt_dscnt 0x0
	s_barrier_signal -1
	s_barrier_wait -1
	s_clause 0xf
	scratch_load_b128 v[128:131], off, off offset:272
	scratch_load_b128 v[132:135], off, off offset:288
	;; [unrolled: 1-line block ×14, first 2 shown]
	scratch_load_b64 v[240:241], off, off offset:496
	scratch_load_b64 v[242:243], off, off offset:264
	v_mov_b32_e32 v7, 0
	ds_load_b128 v[184:187], v7 offset:944
	ds_load_b128 v[188:191], v7 offset:960
	;; [unrolled: 1-line block ×14, first 2 shown]
	ds_load_b64 v[244:245], v7 offset:1008
	s_mov_b32 s0, exec_lo
	s_wait_dscnt 0xe
	v_dual_mov_b32 v246, v187 :: v_dual_mov_b32 v247, v186
	s_wait_dscnt 0xb
	v_dual_mov_b32 v248, v191 :: v_dual_mov_b32 v253, v198
	v_dual_mov_b32 v249, v190 :: v_dual_mov_b32 v250, v195
	;; [unrolled: 1-line block ×3, first 2 shown]
	s_wait_loadcnt_dscnt 0xf0a
	v_dual_mul_f32 v9, v200, v129 :: v_dual_mul_f32 v11, v202, v131
	s_wait_loadcnt_dscnt 0xe09
	v_dual_mul_f32 v13, v204, v133 :: v_dual_mul_f32 v49, v203, v131
	v_mul_f32_e32 v51, v205, v133
	s_delay_alu instid0(VALU_DEP_3) | instskip(SKIP_1) | instid1(VALU_DEP_3)
	v_dual_mul_f32 v47, v201, v129 :: v_dual_fmac_f32 v9, v201, v128
	s_wait_loadcnt_dscnt 0xc07
	v_dual_mul_f32 v61, v215, v143 :: v_dual_fma_f32 v49, v202, v130, -v49
	s_wait_loadcnt_dscnt 0x601
	s_delay_alu instid0(VALU_DEP_2) | instskip(SKIP_2) | instid1(VALU_DEP_3)
	v_dual_mul_f32 v255, v238, v167 :: v_dual_fma_f32 v47, v200, v128, -v47
	v_dual_fmac_f32 v11, v203, v130 :: v_dual_add_f32 v9, 0, v9
	v_dual_mul_f32 v15, v206, v135 :: v_dual_mul_f32 v17, v208, v137
	v_dual_add_f32 v47, 0, v47 :: v_dual_mul_f32 v63, v217, v145
	v_dual_mul_f32 v53, v207, v135 :: v_dual_mul_f32 v55, v209, v137
	v_dual_fmac_f32 v13, v205, v132 :: v_dual_fma_f32 v51, v204, v132, -v51
	s_delay_alu instid0(VALU_DEP_3) | instskip(NEXT) | instid1(VALU_DEP_3)
	v_dual_add_f32 v9, v9, v11 :: v_dual_add_f32 v11, v47, v49
	v_dual_mul_f32 v47, v219, v147 :: v_dual_fma_f32 v49, v206, v134, -v53
	s_delay_alu instid0(VALU_DEP_2) | instskip(NEXT) | instid1(VALU_DEP_3)
	v_dual_fmac_f32 v15, v207, v134 :: v_dual_add_f32 v9, v9, v13
	v_dual_add_f32 v11, v11, v51 :: v_dual_mul_f32 v13, v221, v149
	v_dual_mul_f32 v19, v210, v139 :: v_dual_mul_f32 v21, v212, v141
	v_dual_mul_f32 v57, v211, v139 :: v_dual_mul_f32 v59, v213, v141
	v_dual_fmac_f32 v17, v209, v136 :: v_dual_fma_f32 v51, v208, v136, -v55
	s_delay_alu instid0(VALU_DEP_4) | instskip(NEXT) | instid1(VALU_DEP_3)
	v_dual_add_f32 v9, v9, v15 :: v_dual_add_f32 v11, v11, v49
	v_dual_mul_f32 v15, v223, v151 :: v_dual_fma_f32 v49, v210, v138, -v57
	s_delay_alu instid0(VALU_DEP_2) | instskip(NEXT) | instid1(VALU_DEP_3)
	v_dual_fmac_f32 v19, v211, v138 :: v_dual_add_f32 v9, v9, v17
	v_dual_add_f32 v11, v11, v51 :: v_dual_mul_f32 v17, v225, v153
	v_dual_mul_f32 v23, v214, v143 :: v_dual_mul_f32 v25, v216, v145
	v_dual_fmac_f32 v21, v213, v140 :: v_dual_fma_f32 v51, v212, v140, -v59
	s_delay_alu instid0(VALU_DEP_3) | instskip(SKIP_1) | instid1(VALU_DEP_2)
	v_dual_add_f32 v9, v9, v19 :: v_dual_add_f32 v11, v11, v49
	v_dual_mul_f32 v19, v227, v155 :: v_dual_fma_f32 v49, v214, v142, -v61
	v_dual_fmac_f32 v23, v215, v142 :: v_dual_add_f32 v9, v9, v21
	s_delay_alu instid0(VALU_DEP_3) | instskip(SKIP_2) | instid1(VALU_DEP_3)
	v_dual_add_f32 v11, v11, v51 :: v_dual_mul_f32 v21, v229, v157
	v_dual_mul_f32 v27, v218, v147 :: v_dual_mul_f32 v29, v220, v149
	v_dual_fmac_f32 v25, v217, v144 :: v_dual_fma_f32 v51, v216, v144, -v63
	v_dual_add_f32 v9, v9, v23 :: v_dual_add_f32 v11, v11, v49
	v_dual_mul_f32 v23, v231, v159 :: v_dual_fma_f32 v47, v218, v146, -v47
	s_delay_alu instid0(VALU_DEP_2) | instskip(NEXT) | instid1(VALU_DEP_3)
	v_dual_fmac_f32 v27, v219, v146 :: v_dual_add_f32 v9, v9, v25
	v_dual_add_f32 v11, v11, v51 :: v_dual_mul_f32 v25, v233, v161
	v_dual_mul_f32 v31, v222, v151 :: v_dual_mul_f32 v33, v224, v153
	s_delay_alu instid0(VALU_DEP_2) | instskip(NEXT) | instid1(VALU_DEP_4)
	v_dual_fmac_f32 v29, v221, v148 :: v_dual_add_f32 v11, v11, v47
	v_dual_fma_f32 v13, v220, v148, -v13 :: v_dual_add_f32 v9, v9, v27
	v_dual_mul_f32 v27, v235, v163 :: v_dual_fma_f32 v15, v222, v150, -v15
	s_delay_alu instid0(VALU_DEP_4) | instskip(NEXT) | instid1(VALU_DEP_3)
	v_fmac_f32_e32 v31, v223, v150
	v_dual_add_f32 v11, v11, v13 :: v_dual_fmac_f32 v33, v225, v152
	s_delay_alu instid0(VALU_DEP_4) | instskip(SKIP_2) | instid1(VALU_DEP_3)
	v_dual_add_f32 v9, v9, v29 :: v_dual_mul_f32 v35, v226, v155
	v_mul_f32_e32 v37, v228, v157
	v_dual_mul_f32 v13, v237, v165 :: v_dual_fma_f32 v17, v224, v152, -v17
	v_dual_add_f32 v9, v9, v31 :: v_dual_fmac_f32 v35, v227, v154
	v_dual_add_f32 v11, v11, v15 :: v_dual_fma_f32 v19, v226, v154, -v19
	s_delay_alu instid0(VALU_DEP_2) | instskip(SKIP_1) | instid1(VALU_DEP_3)
	v_dual_mul_f32 v15, v239, v167 :: v_dual_add_f32 v9, v9, v33
	v_dual_mul_f32 v39, v230, v159 :: v_dual_mul_f32 v41, v232, v161
	v_dual_add_f32 v11, v11, v17 :: v_dual_fmac_f32 v37, v229, v156
	s_wait_loadcnt 0x5
	v_dual_mul_f32 v17, v185, v169 :: v_dual_fma_f32 v21, v228, v156, -v21
	v_dual_add_f32 v9, v9, v35 :: v_dual_mov_b32 v128, v171
	s_delay_alu instid0(VALU_DEP_3) | instskip(NEXT) | instid1(VALU_DEP_2)
	v_dual_add_f32 v11, v11, v19 :: v_dual_fma_f32 v19, v230, v158, -v23
	v_dual_fmac_f32 v39, v231, v158 :: v_dual_add_f32 v9, v9, v37
	v_dual_mul_f32 v43, v234, v163 :: v_dual_mul_f32 v45, v236, v165
	s_delay_alu instid0(VALU_DEP_3) | instskip(NEXT) | instid1(VALU_DEP_3)
	v_dual_add_f32 v11, v11, v21 :: v_dual_fmac_f32 v41, v233, v160
	v_dual_fma_f32 v21, v232, v160, -v25 :: v_dual_add_f32 v9, v9, v39
	s_wait_loadcnt 0x4
	v_mov_b32_e32 v132, v175
	s_delay_alu instid0(VALU_DEP_3) | instskip(SKIP_2) | instid1(VALU_DEP_3)
	v_dual_add_f32 v11, v11, v19 :: v_dual_fma_f32 v19, v234, v162, -v27
	v_dual_fmac_f32 v43, v235, v162 :: v_dual_fmac_f32 v45, v237, v164
	v_add_f32_e32 v9, v9, v41
	v_dual_add_f32 v11, v11, v21 :: v_dual_fma_f32 v13, v236, v164, -v13
	v_pk_mul_f32 v[128:129], v[246:247], v[128:129] op_sel_hi:[1,0]
	s_set_vgpr_msb 64                       ;  msbs: dst=1 src0=0 src1=0 src2=0
	v_dual_mul_f32 v1 /*v257*/, v184, v169 :: v_dual_fma_f32 v0 /*v256*/, v184, v168, -v17
	s_set_vgpr_msb 0                        ;  msbs: dst=0 src0=0 src1=0 src2=0
	v_dual_add_f32 v9, v9, v43 :: v_dual_fmac_f32 v255, v239, v166
	v_dual_add_f32 v11, v11, v19 :: v_dual_fma_f32 v254, v238, v166, -v15
	v_pk_fma_f32 v[140:141], v[186:187], v[170:171], v[128:129] op_sel_hi:[1,0,1]
	s_wait_loadcnt 0x3
	s_delay_alu instid0(VALU_DEP_3) | instskip(NEXT) | instid1(VALU_DEP_3)
	v_dual_add_f32 v137, v9, v45 :: v_dual_mov_b32 v138, v179
	v_add_f32_e32 v136, v11, v13
	v_pk_fma_f32 v[128:129], v[186:187], v[170:171], v[128:129] neg_lo:[0,0,1] neg_hi:[0,0,1]
	v_pk_mul_f32 v[130:131], v[188:189], v[172:173] op_sel:[1,1] op_sel_hi:[0,1]
	s_set_vgpr_msb 64                       ;  msbs: dst=1 src0=0 src1=0 src2=0
	v_fmac_f32_e32 v1 /*v257*/, v185, v168
	s_set_vgpr_msb 0                        ;  msbs: dst=0 src0=0 src1=0 src2=0
	v_mov_b32_e32 v129, v141
	v_pk_add_f32 v[136:137], v[136:137], v[254:255]
	v_pk_mul_f32 v[132:133], v[248:249], v[132:133] op_sel_hi:[1,0]
	v_pk_fma_f32 v[142:143], v[188:189], v[172:173], v[130:131] op_sel_hi:[1,0,1]
	v_pk_fma_f32 v[130:131], v[188:189], v[172:173], v[130:131] neg_lo:[0,0,1] neg_hi:[0,0,1]
	v_pk_mul_f32 v[134:135], v[192:193], v[176:177] op_sel:[1,1] op_sel_hi:[0,1]
	s_set_vgpr_msb 4                        ;  msbs: dst=0 src0=0 src1=1 src2=0
	v_pk_add_f32 v[136:137], v[136:137], v[0:1] /*v[256:257]*/
	s_set_vgpr_msb 0                        ;  msbs: dst=0 src0=0 src1=0 src2=0
	v_pk_mul_f32 v[138:139], v[250:251], v[138:139] op_sel_hi:[1,0]
	v_mov_b32_e32 v131, v143
	v_pk_fma_f32 v[142:143], v[190:191], v[174:175], v[132:133] op_sel_hi:[1,0,1]
	v_pk_fma_f32 v[132:133], v[190:191], v[174:175], v[132:133] neg_lo:[0,0,1] neg_hi:[0,0,1]
	v_pk_add_f32 v[128:129], v[136:137], v[128:129]
	v_pk_fma_f32 v[136:137], v[192:193], v[176:177], v[134:135] op_sel_hi:[1,0,1]
	v_pk_fma_f32 v[134:135], v[192:193], v[176:177], v[134:135] neg_lo:[0,0,1] neg_hi:[0,0,1]
	v_mov_b32_e32 v133, v143
	s_wait_loadcnt 0x2
	v_pk_mul_f32 v[140:141], v[196:197], v[180:181] op_sel:[1,1] op_sel_hi:[0,1]
	v_pk_add_f32 v[128:129], v[128:129], v[130:131]
	v_dual_mov_b32 v130, v183 :: v_dual_mov_b32 v135, v137
	v_pk_fma_f32 v[136:137], v[194:195], v[178:179], v[138:139] op_sel_hi:[1,0,1]
	v_pk_fma_f32 v[138:139], v[194:195], v[178:179], v[138:139] neg_lo:[0,0,1] neg_hi:[0,0,1]
	s_delay_alu instid0(VALU_DEP_4)
	v_pk_add_f32 v[128:129], v[128:129], v[132:133]
	v_pk_fma_f32 v[132:133], v[196:197], v[180:181], v[140:141] op_sel_hi:[1,0,1]
	v_pk_mul_f32 v[130:131], v[252:253], v[130:131] op_sel_hi:[1,0]
	v_mov_b32_e32 v139, v137
	s_wait_loadcnt_dscnt 0x100
	v_pk_mul_f32 v[136:137], v[244:245], v[240:241] op_sel:[1,1] op_sel_hi:[0,1]
	v_pk_add_f32 v[128:129], v[128:129], v[134:135]
	v_pk_fma_f32 v[134:135], v[196:197], v[180:181], v[140:141] neg_lo:[0,0,1] neg_hi:[0,0,1]
	v_mov_b32_e32 v135, v133
	v_pk_fma_f32 v[132:133], v[198:199], v[182:183], v[130:131] op_sel_hi:[1,0,1]
	v_pk_fma_f32 v[130:131], v[198:199], v[182:183], v[130:131] neg_lo:[0,0,1] neg_hi:[0,0,1]
	v_pk_add_f32 v[128:129], v[128:129], v[138:139]
	s_delay_alu instid0(VALU_DEP_3) | instskip(SKIP_1) | instid1(VALU_DEP_3)
	v_mov_b32_e32 v131, v133
	v_pk_fma_f32 v[132:133], v[244:245], v[240:241], v[136:137] op_sel_hi:[1,0,1]
	v_pk_add_f32 v[128:129], v[128:129], v[134:135]
	v_pk_fma_f32 v[134:135], v[244:245], v[240:241], v[136:137] neg_lo:[0,0,1] neg_hi:[0,0,1]
	s_delay_alu instid0(VALU_DEP_3) | instskip(NEXT) | instid1(VALU_DEP_3)
	v_mov_b32_e32 v135, v133
	v_pk_add_f32 v[128:129], v[128:129], v[130:131]
	s_delay_alu instid0(VALU_DEP_1) | instskip(SKIP_1) | instid1(VALU_DEP_1)
	v_pk_add_f32 v[128:129], v[128:129], v[134:135]
	s_wait_loadcnt 0x0
	v_pk_add_f32 v[128:129], v[242:243], v[128:129] neg_lo:[0,1] neg_hi:[0,1]
	scratch_store_b64 off, v[128:129], off offset:264
	s_wait_xcnt 0x0
	v_cmpx_lt_u32_e32 32, v0
	s_cbranch_execz .LBB126_327
; %bb.326:
	scratch_load_b64 v[128:129], off, off offset:256
	v_mov_b64_e32 v[130:131], 0
	scratch_store_b64 off, v[130:131], off offset:256
	s_wait_loadcnt 0x0
	ds_store_b64 v1, v[128:129]
.LBB126_327:
	s_wait_xcnt 0x0
	s_or_b32 exec_lo, exec_lo, s0
	s_wait_storecnt_dscnt 0x0
	s_barrier_signal -1
	s_barrier_wait -1
	s_clause 0xf
	scratch_load_b128 v[128:131], off, off offset:264
	scratch_load_b128 v[132:135], off, off offset:280
	;; [unrolled: 1-line block ×15, first 2 shown]
	scratch_load_b64 v[248:249], off, off offset:256
	ds_load_2addr_b64 v[188:191], v7 offset0:119 offset1:120
	ds_load_2addr_b64 v[192:195], v7 offset0:121 offset1:122
	;; [unrolled: 1-line block ×15, first 2 shown]
	s_mov_b32 s0, exec_lo
	s_wait_dscnt 0xe
	v_dual_mov_b32 v250, v191 :: v_dual_mov_b32 v251, v190
	s_wait_dscnt 0xd
	v_dual_mov_b32 v252, v195 :: v_dual_mov_b32 v253, v194
	;; [unrolled: 2-line block ×3, first 2 shown]
	s_wait_dscnt 0xb
	s_set_vgpr_msb 64                       ;  msbs: dst=1 src0=0 src1=0 src2=0
	v_dual_mov_b32 v0 /*v256*/, v203 :: v_dual_mov_b32 v1 /*v257*/, v202
	s_wait_loadcnt_dscnt 0xf0a
	s_set_vgpr_msb 0                        ;  msbs: dst=0 src0=0 src1=0 src2=0
	v_dual_mul_f32 v7, v204, v129 :: v_dual_mul_f32 v9, v206, v131
	v_dual_mul_f32 v47, v205, v129 :: v_dual_mul_f32 v49, v207, v131
	s_wait_loadcnt_dscnt 0xe09
	v_dual_mul_f32 v11, v208, v133 :: v_dual_mul_f32 v13, v210, v135
	s_delay_alu instid0(VALU_DEP_3) | instskip(SKIP_3) | instid1(VALU_DEP_3)
	v_dual_fmac_f32 v7, v205, v128 :: v_dual_fmac_f32 v9, v207, v130
	s_wait_loadcnt_dscnt 0xc06
	v_dual_fma_f32 v47, v204, v128, -v47 :: v_dual_mul_f32 v59, v221, v141
	v_dual_mul_f32 v51, v209, v133 :: v_dual_mul_f32 v53, v211, v135
	v_dual_fma_f32 v49, v206, v130, -v49 :: v_dual_add_f32 v7, 0, v7
	s_delay_alu instid0(VALU_DEP_3) | instskip(SKIP_1) | instid1(VALU_DEP_4)
	v_dual_add_f32 v47, 0, v47 :: v_dual_fmac_f32 v11, v209, v132
	v_dual_mul_f32 v15, v216, v137 :: v_dual_mul_f32 v17, v218, v139
	v_dual_mul_f32 v61, v223, v143 :: v_dual_fma_f32 v51, v208, v132, -v51
	s_delay_alu instid0(VALU_DEP_4) | instskip(NEXT) | instid1(VALU_DEP_3)
	v_add_f32_e32 v7, v7, v9
	v_dual_add_f32 v9, v47, v49 :: v_dual_fmac_f32 v15, v217, v136
	v_dual_mul_f32 v55, v217, v137 :: v_dual_mul_f32 v57, v219, v139
	s_wait_loadcnt_dscnt 0xb05
	v_dual_mul_f32 v47, v225, v145 :: v_dual_fmac_f32 v13, v211, v134
	v_dual_fma_f32 v49, v210, v134, -v53 :: v_dual_add_f32 v7, v7, v11
	s_delay_alu instid0(VALU_DEP_3) | instskip(SKIP_1) | instid1(VALU_DEP_3)
	v_dual_add_f32 v9, v9, v51 :: v_dual_fma_f32 v51, v216, v136, -v55
	v_dual_mul_f32 v19, v220, v141 :: v_dual_mul_f32 v21, v222, v143
	v_add_f32_e32 v7, v7, v13
	s_delay_alu instid0(VALU_DEP_3) | instskip(SKIP_2) | instid1(VALU_DEP_3)
	v_dual_mul_f32 v11, v227, v147 :: v_dual_add_f32 v9, v9, v49
	s_wait_loadcnt_dscnt 0xa04
	v_dual_mul_f32 v13, v229, v149 :: v_dual_fmac_f32 v17, v219, v138
	v_dual_fma_f32 v49, v218, v138, -v57 :: v_dual_add_f32 v7, v7, v15
	s_delay_alu instid0(VALU_DEP_3) | instskip(SKIP_1) | instid1(VALU_DEP_3)
	v_dual_add_f32 v9, v9, v51 :: v_dual_fma_f32 v51, v220, v140, -v59
	v_dual_mul_f32 v15, v231, v151 :: v_dual_fmac_f32 v19, v221, v140
	v_add_f32_e32 v7, v7, v17
	s_delay_alu instid0(VALU_DEP_3)
	v_dual_add_f32 v9, v9, v49 :: v_dual_fmac_f32 v21, v223, v142
	v_dual_mul_f32 v23, v224, v145 :: v_dual_mul_f32 v25, v226, v147
	s_wait_loadcnt_dscnt 0x903
	v_dual_fma_f32 v49, v222, v142, -v61 :: v_dual_mul_f32 v17, v233, v153
	v_add_f32_e32 v7, v7, v19
	v_dual_add_f32 v9, v9, v51 :: v_dual_fma_f32 v47, v224, v144, -v47
	v_dual_mul_f32 v19, v235, v155 :: v_dual_fmac_f32 v23, v225, v144
	s_delay_alu instid0(VALU_DEP_3) | instskip(NEXT) | instid1(VALU_DEP_3)
	v_dual_add_f32 v7, v7, v21 :: v_dual_fma_f32 v11, v226, v146, -v11
	v_dual_add_f32 v9, v9, v49 :: v_dual_fmac_f32 v25, v227, v146
	v_dual_mul_f32 v27, v228, v149 :: v_dual_mul_f32 v29, v230, v151
	s_wait_loadcnt_dscnt 0x802
	s_delay_alu instid0(VALU_DEP_3) | instskip(NEXT) | instid1(VALU_DEP_3)
	v_dual_mul_f32 v21, v237, v157 :: v_dual_add_f32 v7, v7, v23
	v_dual_add_f32 v9, v9, v47 :: v_dual_fma_f32 v13, v228, v148, -v13
	s_delay_alu instid0(VALU_DEP_3) | instskip(NEXT) | instid1(VALU_DEP_2)
	v_dual_mul_f32 v23, v239, v159 :: v_dual_fmac_f32 v27, v229, v148
	v_dual_add_f32 v7, v7, v25 :: v_dual_add_f32 v9, v9, v11
	v_dual_mul_f32 v31, v232, v153 :: v_dual_mul_f32 v33, v234, v155
	s_wait_loadcnt_dscnt 0x701
	v_dual_mul_f32 v11, v241, v161 :: v_dual_fmac_f32 v29, v231, v150
	s_delay_alu instid0(VALU_DEP_3) | instskip(SKIP_2) | instid1(VALU_DEP_2)
	v_dual_fma_f32 v15, v230, v150, -v15 :: v_dual_add_f32 v7, v7, v27
	v_dual_add_f32 v9, v9, v13 :: v_dual_mul_f32 v13, v243, v163
	v_dual_fmac_f32 v31, v233, v152 :: v_dual_fma_f32 v17, v232, v152, -v17
	v_dual_add_f32 v7, v7, v29 :: v_dual_add_f32 v9, v9, v15
	v_dual_mul_f32 v35, v236, v157 :: v_dual_mul_f32 v37, v238, v159
	s_wait_loadcnt_dscnt 0x600
	v_dual_mul_f32 v15, v245, v165 :: v_dual_fmac_f32 v33, v235, v154
	s_delay_alu instid0(VALU_DEP_3) | instskip(SKIP_2) | instid1(VALU_DEP_2)
	v_dual_fma_f32 v19, v234, v154, -v19 :: v_dual_add_f32 v7, v7, v31
	v_dual_add_f32 v9, v9, v17 :: v_dual_mul_f32 v17, v247, v167
	v_dual_fmac_f32 v35, v237, v156 :: v_dual_fma_f32 v21, v236, v156, -v21
	v_dual_add_f32 v7, v7, v33 :: v_dual_add_f32 v9, v9, v19
	v_dual_mul_f32 v39, v240, v161 :: v_dual_mul_f32 v41, v242, v163
	s_wait_loadcnt 0x5
	v_dual_mul_f32 v19, v213, v169 :: v_dual_fmac_f32 v37, v239, v158
	s_delay_alu instid0(VALU_DEP_3) | instskip(SKIP_2) | instid1(VALU_DEP_3)
	v_dual_fma_f32 v23, v238, v158, -v23 :: v_dual_add_f32 v7, v7, v35
	v_dual_add_f32 v9, v9, v21 :: v_dual_mul_f32 v21, v215, v171
	v_fmac_f32_e32 v39, v241, v160
	v_dual_fma_f32 v11, v240, v160, -v11 :: v_dual_add_f32 v7, v7, v37
	s_delay_alu instid0(VALU_DEP_3) | instskip(SKIP_1) | instid1(VALU_DEP_3)
	v_dual_add_f32 v9, v9, v23 :: v_dual_mul_f32 v43, v244, v165
	v_dual_mul_f32 v45, v246, v167 :: v_dual_fmac_f32 v41, v243, v162
	v_dual_fma_f32 v13, v242, v162, -v13 :: v_dual_add_f32 v7, v7, v39
	s_wait_loadcnt 0x4
	s_delay_alu instid0(VALU_DEP_3) | instskip(SKIP_1) | instid1(VALU_DEP_3)
	v_dual_add_f32 v9, v9, v11 :: v_dual_mov_b32 v130, v175
	v_fmac_f32_e32 v43, v245, v164
	v_dual_fma_f32 v11, v244, v164, -v15 :: v_dual_add_f32 v7, v7, v41
	s_delay_alu instid0(VALU_DEP_3)
	v_dual_add_f32 v9, v9, v13 :: v_dual_fmac_f32 v45, v247, v166
	s_set_vgpr_msb 64                       ;  msbs: dst=1 src0=0 src1=0 src2=0
	v_dual_mul_f32 v3 /*v259*/, v212, v169 :: v_dual_mul_f32 v5 /*v261*/, v214, v171
	s_set_vgpr_msb 0                        ;  msbs: dst=0 src0=0 src1=0 src2=0
	v_pk_mul_f32 v[128:129], v[188:189], v[172:173] op_sel:[1,1] op_sel_hi:[0,1]
	v_dual_fma_f32 v13, v246, v166, -v17 :: v_dual_add_f32 v7, v7, v43
	s_wait_loadcnt 0x3
	v_dual_add_f32 v9, v9, v11 :: v_dual_mov_b32 v134, v179
	s_set_vgpr_msb 64                       ;  msbs: dst=1 src0=0 src1=0 src2=0
	v_dual_fmac_f32 v3 /*v259*/, v213, v168 :: v_dual_fmac_f32 v5 /*v261*/, v215, v170
	v_dual_fma_f32 v2 /*v258*/, v212, v168, -v19 :: v_dual_fma_f32 v4 /*v260*/, v214, v170, -v21
	s_set_vgpr_msb 0                        ;  msbs: dst=0 src0=0 src1=0 src2=0
	v_add_f32_e32 v137, v7, v45
	v_pk_fma_f32 v[138:139], v[188:189], v[172:173], v[128:129] op_sel_hi:[1,0,1]
	v_add_f32_e32 v136, v9, v13
	v_pk_fma_f32 v[128:129], v[188:189], v[172:173], v[128:129] neg_lo:[0,0,1] neg_hi:[0,0,1]
	v_pk_mul_f32 v[130:131], v[250:251], v[130:131] op_sel_hi:[1,0]
	v_pk_mul_f32 v[132:133], v[192:193], v[176:177] op_sel:[1,1] op_sel_hi:[0,1]
	v_mov_b32_e32 v129, v139
	s_set_vgpr_msb 4                        ;  msbs: dst=0 src0=0 src1=1 src2=0
	v_pk_add_f32 v[136:137], v[136:137], v[2:3] /*v[258:259]*/
	s_set_vgpr_msb 0                        ;  msbs: dst=0 src0=0 src1=0 src2=0
	v_pk_mul_f32 v[134:135], v[252:253], v[134:135] op_sel_hi:[1,0]
	v_pk_fma_f32 v[138:139], v[190:191], v[174:175], v[130:131] op_sel_hi:[1,0,1]
	v_pk_fma_f32 v[130:131], v[190:191], v[174:175], v[130:131] neg_lo:[0,0,1] neg_hi:[0,0,1]
	v_pk_fma_f32 v[142:143], v[192:193], v[176:177], v[132:133] op_sel_hi:[1,0,1]
	s_set_vgpr_msb 4                        ;  msbs: dst=0 src0=0 src1=1 src2=0
	v_pk_add_f32 v[136:137], v[136:137], v[4:5] /*v[260:261]*/
	s_wait_loadcnt 0x2
	s_set_vgpr_msb 0                        ;  msbs: dst=0 src0=0 src1=0 src2=0
	v_pk_mul_f32 v[140:141], v[196:197], v[180:181] op_sel:[1,1] op_sel_hi:[0,1]
	v_mov_b32_e32 v131, v139
	v_pk_fma_f32 v[132:133], v[192:193], v[176:177], v[132:133] neg_lo:[0,0,1] neg_hi:[0,0,1]
	v_pk_fma_f32 v[138:139], v[194:195], v[178:179], v[134:135] op_sel_hi:[1,0,1]
	v_pk_add_f32 v[128:129], v[136:137], v[128:129]
	v_dual_mov_b32 v136, v183 :: v_dual_mov_b32 v133, v143
	v_pk_fma_f32 v[134:135], v[194:195], v[178:179], v[134:135] neg_lo:[0,0,1] neg_hi:[0,0,1]
	s_delay_alu instid0(VALU_DEP_4) | instskip(NEXT) | instid1(VALU_DEP_4)
	v_mov_b32_e32 v135, v139
	v_pk_add_f32 v[128:129], v[128:129], v[130:131]
	v_pk_fma_f32 v[130:131], v[196:197], v[180:181], v[140:141] op_sel_hi:[1,0,1]
	v_pk_mul_f32 v[136:137], v[254:255], v[136:137] op_sel_hi:[1,0]
	v_pk_fma_f32 v[138:139], v[196:197], v[180:181], v[140:141] neg_lo:[0,0,1] neg_hi:[0,0,1]
	s_delay_alu instid0(VALU_DEP_4) | instskip(NEXT) | instid1(VALU_DEP_4)
	v_pk_add_f32 v[128:129], v[128:129], v[132:133]
	v_mov_b32_e32 v139, v131
	s_delay_alu instid0(VALU_DEP_4)
	v_pk_fma_f32 v[130:131], v[198:199], v[182:183], v[136:137] op_sel_hi:[1,0,1]
	s_wait_loadcnt 0x1
	v_pk_mul_f32 v[132:133], v[200:201], v[184:185] op_sel:[1,1] op_sel_hi:[0,1]
	v_mov_b32_e32 v130, v187
	v_pk_add_f32 v[128:129], v[128:129], v[134:135]
	v_pk_fma_f32 v[136:137], v[198:199], v[182:183], v[136:137] neg_lo:[0,0,1] neg_hi:[0,0,1]
	s_delay_alu instid0(VALU_DEP_4) | instskip(SKIP_1) | instid1(VALU_DEP_4)
	v_pk_fma_f32 v[134:135], v[200:201], v[184:185], v[132:133] op_sel_hi:[1,0,1]
	v_mov_b32_e32 v137, v131
	v_pk_add_f32 v[128:129], v[128:129], v[138:139]
	s_set_vgpr_msb 1                        ;  msbs: dst=0 src0=1 src1=0 src2=0
	v_pk_mul_f32 v[130:131], v[0:1] /*v[256:257]*/, v[130:131] op_sel_hi:[1,0]
	s_set_vgpr_msb 0                        ;  msbs: dst=0 src0=0 src1=0 src2=0
	v_pk_fma_f32 v[132:133], v[200:201], v[184:185], v[132:133] neg_lo:[0,0,1] neg_hi:[0,0,1]
	v_mov_b32_e32 v133, v135
	v_pk_add_f32 v[128:129], v[128:129], v[136:137]
	v_pk_fma_f32 v[134:135], v[202:203], v[186:187], v[130:131] op_sel_hi:[1,0,1]
	v_pk_fma_f32 v[130:131], v[202:203], v[186:187], v[130:131] neg_lo:[0,0,1] neg_hi:[0,0,1]
	s_delay_alu instid0(VALU_DEP_3) | instskip(NEXT) | instid1(VALU_DEP_3)
	v_pk_add_f32 v[128:129], v[128:129], v[132:133]
	v_mov_b32_e32 v131, v135
	s_delay_alu instid0(VALU_DEP_1) | instskip(SKIP_1) | instid1(VALU_DEP_1)
	v_pk_add_f32 v[128:129], v[128:129], v[130:131]
	s_wait_loadcnt 0x0
	v_pk_add_f32 v[128:129], v[248:249], v[128:129] neg_lo:[0,1] neg_hi:[0,1]
	scratch_store_b64 off, v[128:129], off offset:256
	s_wait_xcnt 0x0
	v_cmpx_lt_u32_e32 31, v0
	s_cbranch_execz .LBB126_329
; %bb.328:
	scratch_load_b64 v[128:129], off, off offset:248
	v_mov_b64_e32 v[130:131], 0
	scratch_store_b64 off, v[130:131], off offset:248
	s_wait_loadcnt 0x0
	ds_store_b64 v1, v[128:129]
.LBB126_329:
	s_wait_xcnt 0x0
	s_or_b32 exec_lo, exec_lo, s0
	s_wait_storecnt_dscnt 0x0
	s_barrier_signal -1
	s_barrier_wait -1
	s_clause 0x10
	scratch_load_b128 v[128:131], off, off offset:256
	scratch_load_b128 v[132:135], off, off offset:272
	;; [unrolled: 1-line block ×15, first 2 shown]
	scratch_load_b64 v[248:249], off, off offset:496
	scratch_load_b64 v[250:251], off, off offset:248
	v_mov_b32_e32 v7, 0
	ds_load_b128 v[188:191], v7 offset:944
	ds_load_b128 v[192:195], v7 offset:960
	;; [unrolled: 1-line block ×15, first 2 shown]
	ds_load_b64 v[252:253], v7 offset:1008
	s_mov_b32 s0, exec_lo
	s_wait_dscnt 0xf
	v_dual_mov_b32 v255, v190 :: v_dual_mov_b32 v254, v191
	s_wait_dscnt 0xe
	s_set_vgpr_msb 64                       ;  msbs: dst=1 src0=0 src1=0 src2=0
	v_dual_mov_b32 v0 /*v256*/, v195 :: v_dual_mov_b32 v1 /*v257*/, v194
	s_wait_dscnt 0xd
	v_dual_mov_b32 v2 /*v258*/, v199 :: v_dual_mov_b32 v3 /*v259*/, v198
	s_wait_dscnt 0xc
	v_dual_mov_b32 v4 /*v260*/, v203 :: v_dual_mov_b32 v5 /*v261*/, v202
	s_wait_loadcnt_dscnt 0x100b
	s_set_vgpr_msb 0                        ;  msbs: dst=0 src0=0 src1=0 src2=0
	v_dual_mul_f32 v9, v204, v129 :: v_dual_mul_f32 v51, v205, v129
	v_dual_mul_f32 v53, v207, v131 :: v_dual_mul_f32 v11, v206, v131
	s_wait_loadcnt_dscnt 0xf09
	v_mul_f32_e32 v13, v212, v133
	s_wait_loadcnt_dscnt 0xd07
	v_dual_mul_f32 v63, v221, v141 :: v_dual_fma_f32 v51, v204, v128, -v51
	v_dual_fmac_f32 v9, v205, v128 :: v_dual_mul_f32 v65, v223, v143
	v_dual_mul_f32 v55, v213, v133 :: v_dual_mul_f32 v57, v215, v135
	v_dual_fmac_f32 v11, v207, v130 :: v_dual_fma_f32 v53, v206, v130, -v53
	s_delay_alu instid0(VALU_DEP_3) | instskip(SKIP_4) | instid1(VALU_DEP_3)
	v_dual_add_f32 v9, 0, v9 :: v_dual_add_f32 v51, 0, v51
	v_dual_mul_f32 v15, v214, v135 :: v_dual_mul_f32 v17, v216, v137
	s_wait_loadcnt_dscnt 0xc06
	v_dual_mul_f32 v67, v225, v145 :: v_dual_fma_f32 v55, v212, v132, -v55
	v_fmac_f32_e32 v13, v213, v132
	v_dual_add_f32 v9, v9, v11 :: v_dual_fmac_f32 v15, v215, v134
	v_add_f32_e32 v11, v51, v53
	v_dual_mul_f32 v59, v217, v137 :: v_dual_mul_f32 v61, v219, v139
	v_dual_mul_f32 v51, v227, v147 :: v_dual_fma_f32 v53, v214, v134, -v57
	s_delay_alu instid0(VALU_DEP_3) | instskip(SKIP_3) | instid1(VALU_DEP_3)
	v_dual_add_f32 v9, v9, v13 :: v_dual_add_f32 v11, v11, v55
	v_dual_mul_f32 v19, v218, v139 :: v_dual_mul_f32 v21, v220, v141
	s_wait_loadcnt_dscnt 0xb05
	v_dual_mul_f32 v13, v229, v149 :: v_dual_fma_f32 v55, v216, v136, -v59
	v_dual_fmac_f32 v17, v217, v136 :: v_dual_add_f32 v11, v11, v53
	s_delay_alu instid0(VALU_DEP_3) | instskip(SKIP_1) | instid1(VALU_DEP_2)
	v_dual_add_f32 v9, v9, v15 :: v_dual_fmac_f32 v19, v219, v138
	v_dual_mul_f32 v15, v231, v151 :: v_dual_fma_f32 v53, v218, v138, -v61
	v_dual_add_f32 v11, v11, v55 :: v_dual_add_f32 v9, v9, v17
	v_dual_mul_f32 v23, v222, v143 :: v_dual_mul_f32 v25, v224, v145
	s_wait_loadcnt_dscnt 0xa04
	v_dual_mul_f32 v17, v233, v153 :: v_dual_fma_f32 v55, v220, v140, -v63
	s_delay_alu instid0(VALU_DEP_3) | instskip(NEXT) | instid1(VALU_DEP_3)
	v_dual_fmac_f32 v21, v221, v140 :: v_dual_add_f32 v11, v11, v53
	v_dual_add_f32 v9, v9, v19 :: v_dual_fmac_f32 v23, v223, v142
	v_dual_mul_f32 v19, v235, v155 :: v_dual_fma_f32 v53, v222, v142, -v65
	s_delay_alu instid0(VALU_DEP_2) | instskip(SKIP_3) | instid1(VALU_DEP_3)
	v_dual_add_f32 v11, v11, v55 :: v_dual_add_f32 v9, v9, v21
	v_dual_mul_f32 v27, v226, v147 :: v_dual_mul_f32 v29, v228, v149
	s_wait_loadcnt_dscnt 0x903
	v_dual_mul_f32 v21, v237, v157 :: v_dual_fma_f32 v55, v224, v144, -v67
	v_dual_fmac_f32 v25, v225, v144 :: v_dual_add_f32 v11, v11, v53
	s_delay_alu instid0(VALU_DEP_3) | instskip(SKIP_1) | instid1(VALU_DEP_2)
	v_dual_add_f32 v9, v9, v23 :: v_dual_fmac_f32 v27, v227, v146
	v_dual_mul_f32 v23, v239, v159 :: v_dual_fma_f32 v51, v226, v146, -v51
	v_dual_add_f32 v11, v11, v55 :: v_dual_add_f32 v9, v9, v25
	v_dual_mul_f32 v31, v230, v151 :: v_dual_mul_f32 v33, v232, v153
	s_wait_loadcnt_dscnt 0x802
	v_dual_mul_f32 v25, v241, v161 :: v_dual_fma_f32 v13, v228, v148, -v13
	s_delay_alu instid0(VALU_DEP_3) | instskip(NEXT) | instid1(VALU_DEP_3)
	v_dual_fmac_f32 v29, v229, v148 :: v_dual_add_f32 v11, v11, v51
	v_dual_add_f32 v9, v9, v27 :: v_dual_fmac_f32 v31, v231, v150
	v_dual_mul_f32 v27, v243, v163 :: v_dual_fma_f32 v15, v230, v150, -v15
	s_delay_alu instid0(VALU_DEP_3) | instskip(NEXT) | instid1(VALU_DEP_3)
	v_dual_add_f32 v11, v11, v13 :: v_dual_fmac_f32 v33, v233, v152
	v_dual_add_f32 v9, v9, v29 :: v_dual_fma_f32 v17, v232, v152, -v17
	v_dual_mul_f32 v35, v234, v155 :: v_dual_mul_f32 v37, v236, v157
	s_wait_loadcnt_dscnt 0x701
	s_delay_alu instid0(VALU_DEP_3) | instskip(NEXT) | instid1(VALU_DEP_2)
	v_dual_mul_f32 v13, v245, v165 :: v_dual_add_f32 v11, v11, v15
	v_dual_add_f32 v9, v9, v31 :: v_dual_fmac_f32 v35, v235, v154
	v_dual_mul_f32 v15, v247, v167 :: v_dual_fma_f32 v19, v234, v154, -v19
	s_delay_alu instid0(VALU_DEP_3) | instskip(NEXT) | instid1(VALU_DEP_3)
	v_dual_add_f32 v11, v11, v17 :: v_dual_fmac_f32 v37, v237, v156
	v_dual_add_f32 v9, v9, v33 :: v_dual_fma_f32 v21, v236, v156, -v21
	v_dual_mul_f32 v39, v238, v159 :: v_dual_mul_f32 v41, v240, v161
	s_wait_loadcnt 0x6
	s_delay_alu instid0(VALU_DEP_3) | instskip(NEXT) | instid1(VALU_DEP_2)
	v_dual_mul_f32 v17, v209, v169 :: v_dual_add_f32 v11, v11, v19
	v_dual_add_f32 v9, v9, v35 :: v_dual_fmac_f32 v39, v239, v158
	v_dual_mul_f32 v19, v211, v171 :: v_dual_fma_f32 v23, v238, v158, -v23
	s_delay_alu instid0(VALU_DEP_3) | instskip(NEXT) | instid1(VALU_DEP_3)
	v_dual_add_f32 v11, v11, v21 :: v_dual_fmac_f32 v41, v241, v160
	v_dual_add_f32 v9, v9, v37 :: v_dual_fma_f32 v25, v240, v160, -v25
	v_dual_mul_f32 v43, v242, v163 :: v_dual_mul_f32 v45, v244, v165
	s_wait_loadcnt 0x5
	s_delay_alu instid0(VALU_DEP_3) | instskip(NEXT) | instid1(VALU_DEP_3)
	v_dual_mul_f32 v21, v189, v173 :: v_dual_add_f32 v11, v11, v23
	v_dual_add_f32 v9, v9, v39 :: v_dual_mov_b32 v128, v175
	s_delay_alu instid0(VALU_DEP_3) | instskip(NEXT) | instid1(VALU_DEP_3)
	v_fmac_f32_e32 v43, v243, v162
	v_dual_fma_f32 v23, v242, v162, -v27 :: v_dual_add_f32 v11, v11, v25
	s_delay_alu instid0(VALU_DEP_3) | instskip(SKIP_1) | instid1(VALU_DEP_3)
	v_dual_add_f32 v9, v9, v41 :: v_dual_mul_f32 v47, v246, v167
	v_dual_mul_f32 v49, v208, v169 :: v_dual_fmac_f32 v45, v245, v164
	v_dual_add_f32 v11, v11, v23 :: v_dual_fma_f32 v13, v244, v164, -v13
	s_wait_loadcnt 0x4
	s_delay_alu instid0(VALU_DEP_3) | instskip(SKIP_3) | instid1(VALU_DEP_4)
	v_dual_add_f32 v9, v9, v43 :: v_dual_mov_b32 v132, v179
	v_fma_f32 v15, v246, v166, -v15
	v_fmac_f32_e32 v47, v247, v166
	v_dual_add_f32 v11, v11, v13 :: v_dual_fmac_f32 v49, v209, v168
	v_add_f32_e32 v9, v9, v45
	s_set_vgpr_msb 64                       ;  msbs: dst=1 src0=0 src1=0 src2=0
	v_dual_mul_f32 v7 /*v263*/, v210, v171 :: v_dual_mul_f32 v9 /*v265*/, v188, v173
	s_set_vgpr_msb 0                        ;  msbs: dst=0 src0=0 src1=0 src2=0
	v_fma_f32 v13, v208, v168, -v17
	v_pk_mul_f32 v[128:129], v[254:255], v[128:129] op_sel_hi:[1,0]
	v_add_f32_e32 v9, v9, v47
	v_add_f32_e32 v11, v11, v15
	s_set_vgpr_msb 64                       ;  msbs: dst=1 src0=0 src1=0 src2=0
	v_dual_fmac_f32 v7 /*v263*/, v211, v170 :: v_dual_fmac_f32 v9 /*v265*/, v189, v172
	v_dual_fma_f32 v6 /*v262*/, v210, v170, -v19 :: v_dual_fma_f32 v8 /*v264*/, v188, v172, -v21
	s_set_vgpr_msb 0                        ;  msbs: dst=0 src0=0 src1=0 src2=0
	v_add_f32_e32 v137, v9, v49
	v_pk_fma_f32 v[140:141], v[190:191], v[174:175], v[128:129] op_sel_hi:[1,0,1]
	v_add_f32_e32 v136, v11, v13
	v_pk_fma_f32 v[128:129], v[190:191], v[174:175], v[128:129] neg_lo:[0,0,1] neg_hi:[0,0,1]
	v_pk_mul_f32 v[130:131], v[192:193], v[176:177] op_sel:[1,1] op_sel_hi:[0,1]
	s_set_vgpr_msb 1                        ;  msbs: dst=0 src0=1 src1=0 src2=0
	v_pk_mul_f32 v[132:133], v[0:1] /*v[256:257]*/, v[132:133] op_sel_hi:[1,0]
	s_set_vgpr_msb 4                        ;  msbs: dst=0 src0=0 src1=1 src2=0
	v_mov_b32_e32 v129, v141
	v_pk_add_f32 v[136:137], v[136:137], v[6:7] /*v[262:263]*/
	s_wait_loadcnt 0x3
	s_set_vgpr_msb 0                        ;  msbs: dst=0 src0=0 src1=0 src2=0
	v_pk_mul_f32 v[134:135], v[196:197], v[180:181] op_sel:[1,1] op_sel_hi:[0,1]
	v_pk_fma_f32 v[142:143], v[192:193], v[176:177], v[130:131] op_sel_hi:[1,0,1]
	v_pk_fma_f32 v[130:131], v[192:193], v[176:177], v[130:131] neg_lo:[0,0,1] neg_hi:[0,0,1]
	v_mov_b32_e32 v138, v183
	s_set_vgpr_msb 4                        ;  msbs: dst=0 src0=0 src1=1 src2=0
	v_pk_add_f32 v[136:137], v[136:137], v[8:9] /*v[264:265]*/
	s_wait_loadcnt 0x2
	s_set_vgpr_msb 0                        ;  msbs: dst=0 src0=0 src1=0 src2=0
	v_pk_mul_f32 v[140:141], v[200:201], v[184:185] op_sel:[1,1] op_sel_hi:[0,1]
	v_mov_b32_e32 v131, v143
	v_pk_fma_f32 v[142:143], v[194:195], v[178:179], v[132:133] op_sel_hi:[1,0,1]
	v_pk_fma_f32 v[132:133], v[194:195], v[178:179], v[132:133] neg_lo:[0,0,1] neg_hi:[0,0,1]
	v_pk_add_f32 v[128:129], v[136:137], v[128:129]
	v_pk_fma_f32 v[136:137], v[196:197], v[180:181], v[134:135] op_sel_hi:[1,0,1]
	s_set_vgpr_msb 1                        ;  msbs: dst=0 src0=1 src1=0 src2=0
	v_pk_mul_f32 v[138:139], v[2:3] /*v[258:259]*/, v[138:139] op_sel_hi:[1,0]
	s_set_vgpr_msb 0                        ;  msbs: dst=0 src0=0 src1=0 src2=0
	v_mov_b32_e32 v133, v143
	v_pk_fma_f32 v[134:135], v[196:197], v[180:181], v[134:135] neg_lo:[0,0,1] neg_hi:[0,0,1]
	v_pk_add_f32 v[128:129], v[128:129], v[130:131]
	v_dual_mov_b32 v130, v187 :: v_dual_mov_b32 v135, v137
	v_pk_fma_f32 v[136:137], v[198:199], v[182:183], v[138:139] op_sel_hi:[1,0,1]
	v_pk_fma_f32 v[138:139], v[198:199], v[182:183], v[138:139] neg_lo:[0,0,1] neg_hi:[0,0,1]
	s_delay_alu instid0(VALU_DEP_4)
	v_pk_add_f32 v[128:129], v[128:129], v[132:133]
	v_pk_fma_f32 v[132:133], v[200:201], v[184:185], v[140:141] op_sel_hi:[1,0,1]
	s_set_vgpr_msb 1                        ;  msbs: dst=0 src0=1 src1=0 src2=0
	v_pk_mul_f32 v[130:131], v[4:5] /*v[260:261]*/, v[130:131] op_sel_hi:[1,0]
	s_set_vgpr_msb 0                        ;  msbs: dst=0 src0=0 src1=0 src2=0
	v_mov_b32_e32 v139, v137
	s_wait_loadcnt_dscnt 0x100
	v_pk_mul_f32 v[136:137], v[252:253], v[248:249] op_sel:[1,1] op_sel_hi:[0,1]
	v_pk_add_f32 v[128:129], v[128:129], v[134:135]
	v_pk_fma_f32 v[134:135], v[200:201], v[184:185], v[140:141] neg_lo:[0,0,1] neg_hi:[0,0,1]
	v_mov_b32_e32 v135, v133
	v_pk_fma_f32 v[132:133], v[202:203], v[186:187], v[130:131] op_sel_hi:[1,0,1]
	v_pk_fma_f32 v[130:131], v[202:203], v[186:187], v[130:131] neg_lo:[0,0,1] neg_hi:[0,0,1]
	v_pk_add_f32 v[128:129], v[128:129], v[138:139]
	s_delay_alu instid0(VALU_DEP_3) | instskip(SKIP_1) | instid1(VALU_DEP_3)
	v_mov_b32_e32 v131, v133
	v_pk_fma_f32 v[132:133], v[252:253], v[248:249], v[136:137] op_sel_hi:[1,0,1]
	v_pk_add_f32 v[128:129], v[128:129], v[134:135]
	v_pk_fma_f32 v[134:135], v[252:253], v[248:249], v[136:137] neg_lo:[0,0,1] neg_hi:[0,0,1]
	s_delay_alu instid0(VALU_DEP_3) | instskip(NEXT) | instid1(VALU_DEP_3)
	v_mov_b32_e32 v135, v133
	v_pk_add_f32 v[128:129], v[128:129], v[130:131]
	s_delay_alu instid0(VALU_DEP_1) | instskip(SKIP_1) | instid1(VALU_DEP_1)
	v_pk_add_f32 v[128:129], v[128:129], v[134:135]
	s_wait_loadcnt 0x0
	v_pk_add_f32 v[128:129], v[250:251], v[128:129] neg_lo:[0,1] neg_hi:[0,1]
	scratch_store_b64 off, v[128:129], off offset:248
	s_wait_xcnt 0x0
	v_cmpx_lt_u32_e32 30, v0
	s_cbranch_execz .LBB126_331
; %bb.330:
	scratch_load_b64 v[128:129], off, off offset:240
	v_mov_b64_e32 v[130:131], 0
	scratch_store_b64 off, v[130:131], off offset:240
	s_wait_loadcnt 0x0
	ds_store_b64 v1, v[128:129]
.LBB126_331:
	s_wait_xcnt 0x0
	s_or_b32 exec_lo, exec_lo, s0
	s_wait_storecnt_dscnt 0x0
	s_barrier_signal -1
	s_barrier_wait -1
	s_clause 0x11
	scratch_load_b128 v[128:131], off, off offset:248
	scratch_load_b128 v[132:135], off, off offset:264
	;; [unrolled: 1-line block ×16, first 2 shown]
	s_set_vgpr_msb 64                       ;  msbs: dst=1 src0=0 src1=0 src2=0
	scratch_load_b64 v[0:1] /*v[256:257]*/, off, off offset:240
	s_set_vgpr_msb 0                        ;  msbs: dst=0 src0=0 src1=0 src2=0
	ds_load_2addr_b64 v[192:195], v7 offset0:119 offset1:120
	ds_load_2addr_b64 v[196:199], v7 offset0:121 offset1:122
	;; [unrolled: 1-line block ×16, first 2 shown]
	s_mov_b32 s0, exec_lo
	s_wait_dscnt 0xf
	s_set_vgpr_msb 64                       ;  msbs: dst=1 src0=0 src1=0 src2=0
	v_dual_mov_b32 v2 /*v258*/, v195 :: v_dual_mov_b32 v3 /*v259*/, v194
	s_wait_dscnt 0xe
	v_dual_mov_b32 v4 /*v260*/, v199 :: v_dual_mov_b32 v5 /*v261*/, v198
	s_wait_dscnt 0xd
	;; [unrolled: 2-line block ×3, first 2 shown]
	v_dual_mov_b32 v8 /*v264*/, v207 :: v_dual_mov_b32 v9 /*v265*/, v206
	s_wait_loadcnt_dscnt 0x100b
	s_set_vgpr_msb 0                        ;  msbs: dst=0 src0=0 src1=0 src2=0
	v_dual_mul_f32 v7, v208, v129 :: v_dual_mul_f32 v9, v210, v131
	v_dual_mul_f32 v51, v209, v129 :: v_dual_mul_f32 v53, v211, v131
	s_wait_loadcnt_dscnt 0xf0a
	v_dual_mul_f32 v11, v212, v133 :: v_dual_mul_f32 v13, v214, v135
	s_delay_alu instid0(VALU_DEP_3) | instskip(SKIP_3) | instid1(VALU_DEP_3)
	v_dual_fmac_f32 v7, v209, v128 :: v_dual_fmac_f32 v9, v211, v130
	s_wait_loadcnt_dscnt 0xd08
	v_dual_fma_f32 v51, v208, v128, -v51 :: v_dual_mul_f32 v63, v221, v141
	v_dual_mul_f32 v55, v213, v133 :: v_dual_mul_f32 v57, v215, v135
	v_dual_fma_f32 v53, v210, v130, -v53 :: v_dual_add_f32 v7, 0, v7
	s_delay_alu instid0(VALU_DEP_3) | instskip(SKIP_1) | instid1(VALU_DEP_4)
	v_dual_add_f32 v51, 0, v51 :: v_dual_fmac_f32 v11, v213, v132
	v_dual_mul_f32 v15, v216, v137 :: v_dual_mul_f32 v17, v218, v139
	v_dual_mul_f32 v65, v223, v143 :: v_dual_fma_f32 v55, v212, v132, -v55
	s_delay_alu instid0(VALU_DEP_4) | instskip(NEXT) | instid1(VALU_DEP_3)
	v_add_f32_e32 v7, v7, v9
	v_dual_add_f32 v9, v51, v53 :: v_dual_fmac_f32 v15, v217, v136
	v_dual_mul_f32 v59, v217, v137 :: v_dual_mul_f32 v61, v219, v139
	s_wait_loadcnt_dscnt 0xc07
	v_dual_mul_f32 v51, v225, v145 :: v_dual_fmac_f32 v13, v215, v134
	v_dual_fma_f32 v53, v214, v134, -v57 :: v_dual_add_f32 v7, v7, v11
	s_delay_alu instid0(VALU_DEP_3) | instskip(SKIP_1) | instid1(VALU_DEP_3)
	v_dual_add_f32 v9, v9, v55 :: v_dual_fma_f32 v55, v216, v136, -v59
	v_dual_mul_f32 v19, v220, v141 :: v_dual_mul_f32 v21, v222, v143
	v_add_f32_e32 v7, v7, v13
	s_delay_alu instid0(VALU_DEP_3) | instskip(SKIP_2) | instid1(VALU_DEP_3)
	v_dual_mul_f32 v11, v227, v147 :: v_dual_add_f32 v9, v9, v53
	s_wait_loadcnt_dscnt 0xb06
	v_dual_mul_f32 v13, v229, v149 :: v_dual_fmac_f32 v17, v219, v138
	v_dual_fma_f32 v53, v218, v138, -v61 :: v_dual_add_f32 v7, v7, v15
	s_delay_alu instid0(VALU_DEP_3) | instskip(SKIP_1) | instid1(VALU_DEP_3)
	v_dual_add_f32 v9, v9, v55 :: v_dual_fma_f32 v55, v220, v140, -v63
	v_dual_mul_f32 v15, v231, v151 :: v_dual_fmac_f32 v19, v221, v140
	v_add_f32_e32 v7, v7, v17
	s_delay_alu instid0(VALU_DEP_3)
	v_dual_add_f32 v9, v9, v53 :: v_dual_fmac_f32 v21, v223, v142
	v_dual_mul_f32 v23, v224, v145 :: v_dual_mul_f32 v25, v226, v147
	s_wait_loadcnt_dscnt 0xa05
	v_dual_fma_f32 v53, v222, v142, -v65 :: v_dual_mul_f32 v17, v233, v153
	v_add_f32_e32 v7, v7, v19
	v_dual_add_f32 v9, v9, v55 :: v_dual_fma_f32 v51, v224, v144, -v51
	v_dual_mul_f32 v19, v235, v155 :: v_dual_fmac_f32 v23, v225, v144
	s_delay_alu instid0(VALU_DEP_3) | instskip(NEXT) | instid1(VALU_DEP_3)
	v_dual_add_f32 v7, v7, v21 :: v_dual_fma_f32 v11, v226, v146, -v11
	v_dual_add_f32 v9, v9, v53 :: v_dual_fmac_f32 v25, v227, v146
	v_dual_mul_f32 v27, v228, v149 :: v_dual_mul_f32 v29, v230, v151
	s_wait_loadcnt_dscnt 0x904
	s_delay_alu instid0(VALU_DEP_3) | instskip(NEXT) | instid1(VALU_DEP_3)
	v_dual_mul_f32 v21, v237, v157 :: v_dual_add_f32 v7, v7, v23
	v_dual_add_f32 v9, v9, v51 :: v_dual_fma_f32 v13, v228, v148, -v13
	s_delay_alu instid0(VALU_DEP_3) | instskip(NEXT) | instid1(VALU_DEP_2)
	v_dual_mul_f32 v23, v239, v159 :: v_dual_fmac_f32 v27, v229, v148
	v_dual_add_f32 v7, v7, v25 :: v_dual_add_f32 v9, v9, v11
	v_dual_mul_f32 v31, v232, v153 :: v_dual_mul_f32 v33, v234, v155
	s_wait_loadcnt_dscnt 0x803
	v_dual_mul_f32 v11, v241, v161 :: v_dual_fmac_f32 v29, v231, v150
	s_delay_alu instid0(VALU_DEP_3) | instskip(SKIP_2) | instid1(VALU_DEP_2)
	v_dual_fma_f32 v15, v230, v150, -v15 :: v_dual_add_f32 v7, v7, v27
	v_dual_add_f32 v9, v9, v13 :: v_dual_mul_f32 v13, v243, v163
	v_dual_fmac_f32 v31, v233, v152 :: v_dual_fma_f32 v17, v232, v152, -v17
	v_dual_add_f32 v7, v7, v29 :: v_dual_add_f32 v9, v9, v15
	v_dual_mul_f32 v35, v236, v157 :: v_dual_mul_f32 v37, v238, v159
	s_wait_loadcnt_dscnt 0x702
	v_dual_mul_f32 v15, v245, v165 :: v_dual_fmac_f32 v33, v235, v154
	s_delay_alu instid0(VALU_DEP_3) | instskip(SKIP_2) | instid1(VALU_DEP_2)
	v_dual_fma_f32 v19, v234, v154, -v19 :: v_dual_add_f32 v7, v7, v31
	v_dual_add_f32 v9, v9, v17 :: v_dual_mul_f32 v17, v247, v167
	v_dual_fmac_f32 v35, v237, v156 :: v_dual_fma_f32 v21, v236, v156, -v21
	v_dual_add_f32 v7, v7, v33 :: v_dual_add_f32 v9, v9, v19
	v_dual_mul_f32 v39, v240, v161 :: v_dual_mul_f32 v41, v242, v163
	s_wait_loadcnt_dscnt 0x601
	v_dual_mul_f32 v19, v249, v169 :: v_dual_fmac_f32 v37, v239, v158
	s_delay_alu instid0(VALU_DEP_3) | instskip(SKIP_2) | instid1(VALU_DEP_3)
	v_dual_fma_f32 v23, v238, v158, -v23 :: v_dual_add_f32 v7, v7, v35
	v_dual_add_f32 v9, v9, v21 :: v_dual_mul_f32 v21, v251, v171
	v_fmac_f32_e32 v39, v241, v160
	v_dual_fma_f32 v11, v240, v160, -v11 :: v_dual_add_f32 v7, v7, v37
	s_delay_alu instid0(VALU_DEP_3)
	v_dual_add_f32 v9, v9, v23 :: v_dual_mul_f32 v43, v244, v165
	s_wait_loadcnt_dscnt 0x500
	v_dual_mul_f32 v45, v246, v167 :: v_dual_mul_f32 v23, v253, v173
	v_fmac_f32_e32 v41, v243, v162
	v_dual_fma_f32 v13, v242, v162, -v13 :: v_dual_add_f32 v7, v7, v39
	v_dual_add_f32 v9, v9, v11 :: v_dual_fma_f32 v15, v244, v164, -v15
	v_dual_mul_f32 v11, v255, v175 :: v_dual_fmac_f32 v43, v245, v164
	s_delay_alu instid0(VALU_DEP_3) | instskip(NEXT) | instid1(VALU_DEP_3)
	v_add_f32_e32 v7, v7, v41
	v_dual_add_f32 v9, v9, v13 :: v_dual_fmac_f32 v45, v247, v166
	v_dual_mul_f32 v47, v248, v169 :: v_dual_mul_f32 v49, v250, v171
	s_delay_alu instid0(VALU_DEP_3) | instskip(SKIP_1) | instid1(VALU_DEP_3)
	v_dual_fma_f32 v13, v246, v166, -v17 :: v_dual_add_f32 v7, v7, v43
	s_wait_loadcnt 0x4
	v_dual_add_f32 v9, v9, v15 :: v_dual_mov_b32 v130, v179
	s_delay_alu instid0(VALU_DEP_3) | instskip(NEXT) | instid1(VALU_DEP_3)
	v_fmac_f32_e32 v47, v249, v168
	v_dual_fma_f32 v15, v248, v168, -v19 :: v_dual_add_f32 v7, v7, v45
	s_delay_alu instid0(VALU_DEP_3)
	v_dual_add_f32 v9, v9, v13 :: v_dual_fmac_f32 v49, v251, v170
	s_set_vgpr_msb 64                       ;  msbs: dst=1 src0=0 src1=0 src2=0
	v_dual_mul_f32 v11 /*v267*/, v252, v173 :: v_dual_mul_f32 v13 /*v269*/, v254, v175
	s_set_vgpr_msb 0                        ;  msbs: dst=0 src0=0 src1=0 src2=0
	v_pk_mul_f32 v[128:129], v[192:193], v[176:177] op_sel:[1,1] op_sel_hi:[0,1]
	v_dual_fma_f32 v13, v250, v170, -v21 :: v_dual_add_f32 v7, v7, v47
	s_wait_loadcnt 0x3
	v_dual_add_f32 v9, v9, v15 :: v_dual_mov_b32 v134, v183
	s_set_vgpr_msb 64                       ;  msbs: dst=1 src0=0 src1=0 src2=0
	v_dual_fmac_f32 v11 /*v267*/, v253, v172 :: v_dual_fmac_f32 v13 /*v269*/, v255, v174
	v_fma_f32 v10 /*v266*/, v252, v172, -v23
	s_set_vgpr_msb 0                        ;  msbs: dst=0 src0=0 src1=0 src2=0
	v_add_f32_e32 v137, v7, v49
	v_pk_fma_f32 v[138:139], v[192:193], v[176:177], v[128:129] op_sel_hi:[1,0,1]
	v_add_f32_e32 v136, v9, v13
	v_pk_fma_f32 v[128:129], v[192:193], v[176:177], v[128:129] neg_lo:[0,0,1] neg_hi:[0,0,1]
	s_set_vgpr_msb 64                       ;  msbs: dst=1 src0=0 src1=0 src2=0
	v_fma_f32 v12 /*v268*/, v254, v174, -v11
	s_set_vgpr_msb 1                        ;  msbs: dst=0 src0=1 src1=0 src2=0
	v_pk_mul_f32 v[130:131], v[2:3] /*v[258:259]*/, v[130:131] op_sel_hi:[1,0]
	s_set_vgpr_msb 4                        ;  msbs: dst=0 src0=0 src1=1 src2=0
	v_mov_b32_e32 v129, v139
	v_pk_add_f32 v[136:137], v[136:137], v[10:11] /*v[266:267]*/
	s_set_vgpr_msb 0                        ;  msbs: dst=0 src0=0 src1=0 src2=0
	v_pk_mul_f32 v[132:133], v[196:197], v[180:181] op_sel:[1,1] op_sel_hi:[0,1]
	s_set_vgpr_msb 1                        ;  msbs: dst=0 src0=1 src1=0 src2=0
	v_pk_mul_f32 v[134:135], v[4:5] /*v[260:261]*/, v[134:135] op_sel_hi:[1,0]
	s_set_vgpr_msb 0                        ;  msbs: dst=0 src0=0 src1=0 src2=0
	v_pk_fma_f32 v[138:139], v[194:195], v[178:179], v[130:131] op_sel_hi:[1,0,1]
	v_pk_fma_f32 v[130:131], v[194:195], v[178:179], v[130:131] neg_lo:[0,0,1] neg_hi:[0,0,1]
	s_set_vgpr_msb 4                        ;  msbs: dst=0 src0=0 src1=1 src2=0
	v_pk_add_f32 v[136:137], v[136:137], v[12:13] /*v[268:269]*/
	s_set_vgpr_msb 0                        ;  msbs: dst=0 src0=0 src1=0 src2=0
	v_pk_fma_f32 v[142:143], v[196:197], v[180:181], v[132:133] op_sel_hi:[1,0,1]
	s_wait_loadcnt 0x2
	v_pk_mul_f32 v[140:141], v[200:201], v[184:185] op_sel:[1,1] op_sel_hi:[0,1]
	v_mov_b32_e32 v131, v139
	v_pk_fma_f32 v[132:133], v[196:197], v[180:181], v[132:133] neg_lo:[0,0,1] neg_hi:[0,0,1]
	v_pk_add_f32 v[128:129], v[136:137], v[128:129]
	v_mov_b32_e32 v136, v187
	v_pk_fma_f32 v[138:139], v[198:199], v[182:183], v[134:135] op_sel_hi:[1,0,1]
	v_mov_b32_e32 v133, v143
	v_pk_fma_f32 v[134:135], v[198:199], v[182:183], v[134:135] neg_lo:[0,0,1] neg_hi:[0,0,1]
	v_pk_add_f32 v[128:129], v[128:129], v[130:131]
	v_pk_fma_f32 v[130:131], v[200:201], v[184:185], v[140:141] op_sel_hi:[1,0,1]
	s_set_vgpr_msb 1                        ;  msbs: dst=0 src0=1 src1=0 src2=0
	v_pk_mul_f32 v[136:137], v[6:7] /*v[262:263]*/, v[136:137] op_sel_hi:[1,0]
	s_set_vgpr_msb 0                        ;  msbs: dst=0 src0=0 src1=0 src2=0
	v_mov_b32_e32 v135, v139
	v_pk_fma_f32 v[138:139], v[200:201], v[184:185], v[140:141] neg_lo:[0,0,1] neg_hi:[0,0,1]
	v_pk_add_f32 v[128:129], v[128:129], v[132:133]
	v_mov_b32_e32 v139, v131
	v_pk_fma_f32 v[130:131], v[202:203], v[186:187], v[136:137] op_sel_hi:[1,0,1]
	s_wait_loadcnt 0x1
	v_pk_mul_f32 v[132:133], v[204:205], v[188:189] op_sel:[1,1] op_sel_hi:[0,1]
	v_mov_b32_e32 v130, v191
	v_pk_add_f32 v[128:129], v[128:129], v[134:135]
	v_pk_fma_f32 v[136:137], v[202:203], v[186:187], v[136:137] neg_lo:[0,0,1] neg_hi:[0,0,1]
	s_delay_alu instid0(VALU_DEP_4) | instskip(SKIP_1) | instid1(VALU_DEP_4)
	v_pk_fma_f32 v[134:135], v[204:205], v[188:189], v[132:133] op_sel_hi:[1,0,1]
	v_mov_b32_e32 v137, v131
	v_pk_add_f32 v[128:129], v[128:129], v[138:139]
	s_set_vgpr_msb 1                        ;  msbs: dst=0 src0=1 src1=0 src2=0
	v_pk_mul_f32 v[130:131], v[8:9] /*v[264:265]*/, v[130:131] op_sel_hi:[1,0]
	s_set_vgpr_msb 0                        ;  msbs: dst=0 src0=0 src1=0 src2=0
	v_pk_fma_f32 v[132:133], v[204:205], v[188:189], v[132:133] neg_lo:[0,0,1] neg_hi:[0,0,1]
	v_mov_b32_e32 v133, v135
	v_pk_add_f32 v[128:129], v[128:129], v[136:137]
	v_pk_fma_f32 v[134:135], v[206:207], v[190:191], v[130:131] op_sel_hi:[1,0,1]
	v_pk_fma_f32 v[130:131], v[206:207], v[190:191], v[130:131] neg_lo:[0,0,1] neg_hi:[0,0,1]
	s_delay_alu instid0(VALU_DEP_3) | instskip(NEXT) | instid1(VALU_DEP_3)
	v_pk_add_f32 v[128:129], v[128:129], v[132:133]
	v_mov_b32_e32 v131, v135
	s_delay_alu instid0(VALU_DEP_1) | instskip(SKIP_2) | instid1(VALU_DEP_1)
	v_pk_add_f32 v[128:129], v[128:129], v[130:131]
	s_wait_loadcnt 0x0
	s_set_vgpr_msb 1                        ;  msbs: dst=0 src0=1 src1=0 src2=0
	v_pk_add_f32 v[128:129], v[0:1] /*v[256:257]*/, v[128:129] neg_lo:[0,1] neg_hi:[0,1]
	scratch_store_b64 off, v[128:129], off offset:240
	s_wait_xcnt 0x0
	v_cmpx_lt_u32_e32 29, v0
	s_set_vgpr_msb 0                        ;  msbs: dst=0 src0=0 src1=0 src2=0
	s_cbranch_execz .LBB126_333
; %bb.332:
	scratch_load_b64 v[128:129], off, off offset:232
	v_mov_b64_e32 v[130:131], 0
	scratch_store_b64 off, v[130:131], off offset:232
	s_wait_loadcnt 0x0
	ds_store_b64 v1, v[128:129]
.LBB126_333:
	s_wait_xcnt 0x0
	s_or_b32 exec_lo, exec_lo, s0
	s_wait_storecnt_dscnt 0x0
	s_barrier_signal -1
	s_barrier_wait -1
	s_clause 0x12
	scratch_load_b128 v[128:131], off, off offset:240
	scratch_load_b128 v[132:135], off, off offset:256
	;; [unrolled: 1-line block ×16, first 2 shown]
	s_set_vgpr_msb 64                       ;  msbs: dst=1 src0=0 src1=0 src2=0
	scratch_load_b64 v[0:1] /*v[256:257]*/, off, off offset:496
	scratch_load_b64 v[2:3] /*v[258:259]*/, off, off offset:232
	s_set_vgpr_msb 0                        ;  msbs: dst=0 src0=0 src1=0 src2=0
	v_mov_b32_e32 v7, 0
	ds_load_b128 v[192:195], v7 offset:944
	ds_load_b128 v[196:199], v7 offset:960
	;; [unrolled: 1-line block ×16, first 2 shown]
	s_set_vgpr_msb 64                       ;  msbs: dst=1 src0=0 src1=0 src2=0
	ds_load_b64 v[4:5] /*v[260:261]*/, v7 offset:1008
	s_mov_b32 s0, exec_lo
	s_wait_dscnt 0x10
	v_dual_mov_b32 v6 /*v262*/, v195 :: v_dual_mov_b32 v7 /*v263*/, v194
	s_wait_dscnt 0xf
	v_dual_mov_b32 v8 /*v264*/, v199 :: v_dual_mov_b32 v9 /*v265*/, v198
	;; [unrolled: 2-line block ×4, first 2 shown]
	s_wait_loadcnt_dscnt 0x110c
	s_set_vgpr_msb 0                        ;  msbs: dst=0 src0=0 src1=0 src2=0
	v_dual_mul_f32 v9, v208, v129 :: v_dual_mul_f32 v55, v209, v129
	v_dual_mul_f32 v57, v211, v131 :: v_dual_mul_f32 v11, v210, v131
	s_wait_loadcnt_dscnt 0x100b
	v_mul_f32_e32 v13, v212, v133
	s_wait_loadcnt_dscnt 0xe09
	v_dual_mul_f32 v67, v221, v141 :: v_dual_fma_f32 v55, v208, v128, -v55
	v_dual_fmac_f32 v9, v209, v128 :: v_dual_mul_f32 v69, v223, v143
	v_dual_mul_f32 v59, v213, v133 :: v_dual_mul_f32 v61, v215, v135
	v_dual_fmac_f32 v11, v211, v130 :: v_dual_fma_f32 v57, v210, v130, -v57
	s_delay_alu instid0(VALU_DEP_3) | instskip(SKIP_4) | instid1(VALU_DEP_3)
	v_dual_add_f32 v9, 0, v9 :: v_dual_add_f32 v55, 0, v55
	v_dual_mul_f32 v15, v214, v135 :: v_dual_mul_f32 v17, v216, v137
	s_wait_loadcnt_dscnt 0xd08
	v_dual_mul_f32 v71, v225, v145 :: v_dual_fma_f32 v59, v212, v132, -v59
	v_fmac_f32_e32 v13, v213, v132
	v_dual_add_f32 v9, v9, v11 :: v_dual_fmac_f32 v15, v215, v134
	v_add_f32_e32 v11, v55, v57
	v_dual_mul_f32 v63, v217, v137 :: v_dual_mul_f32 v65, v219, v139
	v_dual_mul_f32 v55, v227, v147 :: v_dual_fma_f32 v57, v214, v134, -v61
	s_delay_alu instid0(VALU_DEP_3) | instskip(SKIP_3) | instid1(VALU_DEP_3)
	v_dual_add_f32 v9, v9, v13 :: v_dual_add_f32 v11, v11, v59
	v_dual_mul_f32 v19, v218, v139 :: v_dual_mul_f32 v21, v220, v141
	s_wait_loadcnt_dscnt 0xc07
	v_dual_mul_f32 v13, v229, v149 :: v_dual_fma_f32 v59, v216, v136, -v63
	v_dual_fmac_f32 v17, v217, v136 :: v_dual_add_f32 v11, v11, v57
	s_delay_alu instid0(VALU_DEP_3) | instskip(SKIP_1) | instid1(VALU_DEP_2)
	v_dual_add_f32 v9, v9, v15 :: v_dual_fmac_f32 v19, v219, v138
	v_dual_mul_f32 v15, v231, v151 :: v_dual_fma_f32 v57, v218, v138, -v65
	v_dual_add_f32 v11, v11, v59 :: v_dual_add_f32 v9, v9, v17
	v_dual_mul_f32 v23, v222, v143 :: v_dual_mul_f32 v25, v224, v145
	s_wait_loadcnt_dscnt 0xb06
	v_dual_mul_f32 v17, v233, v153 :: v_dual_fma_f32 v59, v220, v140, -v67
	s_delay_alu instid0(VALU_DEP_3) | instskip(NEXT) | instid1(VALU_DEP_3)
	v_dual_fmac_f32 v21, v221, v140 :: v_dual_add_f32 v11, v11, v57
	v_dual_add_f32 v9, v9, v19 :: v_dual_fmac_f32 v23, v223, v142
	v_dual_mul_f32 v19, v235, v155 :: v_dual_fma_f32 v57, v222, v142, -v69
	s_delay_alu instid0(VALU_DEP_2) | instskip(SKIP_3) | instid1(VALU_DEP_3)
	v_dual_add_f32 v11, v11, v59 :: v_dual_add_f32 v9, v9, v21
	v_dual_mul_f32 v27, v226, v147 :: v_dual_mul_f32 v29, v228, v149
	s_wait_loadcnt_dscnt 0xa05
	v_dual_mul_f32 v21, v237, v157 :: v_dual_fma_f32 v59, v224, v144, -v71
	v_dual_fmac_f32 v25, v225, v144 :: v_dual_add_f32 v11, v11, v57
	s_delay_alu instid0(VALU_DEP_3) | instskip(SKIP_1) | instid1(VALU_DEP_2)
	v_dual_add_f32 v9, v9, v23 :: v_dual_fmac_f32 v27, v227, v146
	v_dual_mul_f32 v23, v239, v159 :: v_dual_fma_f32 v55, v226, v146, -v55
	v_dual_add_f32 v11, v11, v59 :: v_dual_add_f32 v9, v9, v25
	v_dual_mul_f32 v31, v230, v151 :: v_dual_mul_f32 v33, v232, v153
	s_wait_loadcnt_dscnt 0x904
	v_dual_mul_f32 v25, v241, v161 :: v_dual_fma_f32 v13, v228, v148, -v13
	s_delay_alu instid0(VALU_DEP_3) | instskip(NEXT) | instid1(VALU_DEP_3)
	v_dual_fmac_f32 v29, v229, v148 :: v_dual_add_f32 v11, v11, v55
	v_dual_add_f32 v9, v9, v27 :: v_dual_fmac_f32 v31, v231, v150
	v_dual_mul_f32 v27, v243, v163 :: v_dual_fma_f32 v15, v230, v150, -v15
	s_delay_alu instid0(VALU_DEP_3) | instskip(NEXT) | instid1(VALU_DEP_3)
	v_dual_add_f32 v11, v11, v13 :: v_dual_fmac_f32 v33, v233, v152
	v_dual_add_f32 v9, v9, v29 :: v_dual_fma_f32 v17, v232, v152, -v17
	v_dual_mul_f32 v35, v234, v155 :: v_dual_mul_f32 v37, v236, v157
	s_wait_loadcnt_dscnt 0x803
	s_delay_alu instid0(VALU_DEP_3) | instskip(NEXT) | instid1(VALU_DEP_2)
	v_dual_mul_f32 v13, v245, v165 :: v_dual_add_f32 v11, v11, v15
	v_dual_add_f32 v9, v9, v31 :: v_dual_fmac_f32 v35, v235, v154
	v_dual_mul_f32 v15, v247, v167 :: v_dual_fma_f32 v19, v234, v154, -v19
	s_delay_alu instid0(VALU_DEP_3) | instskip(NEXT) | instid1(VALU_DEP_3)
	v_dual_add_f32 v11, v11, v17 :: v_dual_fmac_f32 v37, v237, v156
	v_dual_add_f32 v9, v9, v33 :: v_dual_fma_f32 v21, v236, v156, -v21
	v_dual_mul_f32 v39, v238, v159 :: v_dual_mul_f32 v41, v240, v161
	s_wait_loadcnt_dscnt 0x702
	s_delay_alu instid0(VALU_DEP_3) | instskip(NEXT) | instid1(VALU_DEP_2)
	v_dual_mul_f32 v17, v249, v169 :: v_dual_add_f32 v11, v11, v19
	;; [unrolled: 9-line block ×3, first 2 shown]
	v_dual_add_f32 v9, v9, v39 :: v_dual_fmac_f32 v43, v243, v162
	v_dual_mul_f32 v23, v255, v175 :: v_dual_fma_f32 v27, v242, v162, -v27
	s_delay_alu instid0(VALU_DEP_3) | instskip(NEXT) | instid1(VALU_DEP_3)
	v_dual_add_f32 v11, v11, v25 :: v_dual_fmac_f32 v45, v245, v164
	v_dual_add_f32 v9, v9, v41 :: v_dual_fma_f32 v13, v244, v164, -v13
	v_dual_mul_f32 v47, v246, v167 :: v_dual_mul_f32 v49, v248, v169
	s_wait_loadcnt 0x5
	s_delay_alu instid0(VALU_DEP_3) | instskip(NEXT) | instid1(VALU_DEP_3)
	v_dual_mul_f32 v25, v193, v177 :: v_dual_add_f32 v11, v11, v27
	v_dual_add_f32 v9, v9, v43 :: v_dual_mov_b32 v128, v179
	s_delay_alu instid0(VALU_DEP_3) | instskip(NEXT) | instid1(VALU_DEP_3)
	v_fmac_f32_e32 v47, v247, v166
	v_dual_fma_f32 v15, v246, v166, -v15 :: v_dual_add_f32 v11, v11, v13
	s_delay_alu instid0(VALU_DEP_3) | instskip(SKIP_1) | instid1(VALU_DEP_3)
	v_dual_add_f32 v9, v9, v45 :: v_dual_mul_f32 v51, v250, v171
	v_dual_mul_f32 v53, v252, v173 :: v_dual_fmac_f32 v49, v249, v168
	v_dual_add_f32 v11, v11, v15 :: v_dual_fma_f32 v13, v248, v168, -v17
	s_wait_loadcnt 0x4
	s_delay_alu instid0(VALU_DEP_3) | instskip(SKIP_3) | instid1(VALU_DEP_4)
	v_dual_add_f32 v9, v9, v47 :: v_dual_mov_b32 v132, v183
	v_fma_f32 v15, v250, v170, -v19
	v_fmac_f32_e32 v51, v251, v170
	v_dual_add_f32 v11, v11, v13 :: v_dual_fmac_f32 v53, v253, v172
	v_add_f32_e32 v9, v9, v49
	s_set_vgpr_msb 64                       ;  msbs: dst=1 src0=0 src1=0 src2=0
	v_dual_mul_f32 v15 /*v271*/, v254, v175 :: v_dual_mul_f32 v17 /*v273*/, v192, v177
	s_set_vgpr_msb 0                        ;  msbs: dst=0 src0=0 src1=0 src2=0
	v_fma_f32 v13, v252, v172, -v21
	s_set_vgpr_msb 1                        ;  msbs: dst=0 src0=1 src1=0 src2=0
	v_pk_mul_f32 v[128:129], v[6:7] /*v[262:263]*/, v[128:129] op_sel_hi:[1,0]
	s_set_vgpr_msb 0                        ;  msbs: dst=0 src0=0 src1=0 src2=0
	v_add_f32_e32 v9, v9, v51
	v_add_f32_e32 v11, v11, v15
	s_set_vgpr_msb 64                       ;  msbs: dst=1 src0=0 src1=0 src2=0
	v_dual_fmac_f32 v15 /*v271*/, v255, v174 :: v_dual_fmac_f32 v17 /*v273*/, v193, v176
	v_dual_fma_f32 v14 /*v270*/, v254, v174, -v23 :: v_dual_fma_f32 v16 /*v272*/, v192, v176, -v25
	s_set_vgpr_msb 0                        ;  msbs: dst=0 src0=0 src1=0 src2=0
	v_add_f32_e32 v137, v9, v53
	v_pk_fma_f32 v[140:141], v[194:195], v[178:179], v[128:129] op_sel_hi:[1,0,1]
	v_add_f32_e32 v136, v11, v13
	v_pk_fma_f32 v[128:129], v[194:195], v[178:179], v[128:129] neg_lo:[0,0,1] neg_hi:[0,0,1]
	v_pk_mul_f32 v[130:131], v[196:197], v[180:181] op_sel:[1,1] op_sel_hi:[0,1]
	s_set_vgpr_msb 1                        ;  msbs: dst=0 src0=1 src1=0 src2=0
	v_pk_mul_f32 v[132:133], v[8:9] /*v[264:265]*/, v[132:133] op_sel_hi:[1,0]
	s_set_vgpr_msb 4                        ;  msbs: dst=0 src0=0 src1=1 src2=0
	v_mov_b32_e32 v129, v141
	v_pk_add_f32 v[136:137], v[136:137], v[14:15] /*v[270:271]*/
	s_wait_loadcnt 0x3
	s_set_vgpr_msb 0                        ;  msbs: dst=0 src0=0 src1=0 src2=0
	v_pk_mul_f32 v[134:135], v[200:201], v[184:185] op_sel:[1,1] op_sel_hi:[0,1]
	v_pk_fma_f32 v[142:143], v[196:197], v[180:181], v[130:131] op_sel_hi:[1,0,1]
	v_pk_fma_f32 v[130:131], v[196:197], v[180:181], v[130:131] neg_lo:[0,0,1] neg_hi:[0,0,1]
	v_mov_b32_e32 v138, v187
	s_set_vgpr_msb 4                        ;  msbs: dst=0 src0=0 src1=1 src2=0
	v_pk_add_f32 v[136:137], v[136:137], v[16:17] /*v[272:273]*/
	s_wait_loadcnt 0x2
	s_set_vgpr_msb 0                        ;  msbs: dst=0 src0=0 src1=0 src2=0
	v_pk_mul_f32 v[140:141], v[204:205], v[188:189] op_sel:[1,1] op_sel_hi:[0,1]
	v_mov_b32_e32 v131, v143
	v_pk_fma_f32 v[142:143], v[198:199], v[182:183], v[132:133] op_sel_hi:[1,0,1]
	v_pk_fma_f32 v[132:133], v[198:199], v[182:183], v[132:133] neg_lo:[0,0,1] neg_hi:[0,0,1]
	v_pk_add_f32 v[128:129], v[136:137], v[128:129]
	v_pk_fma_f32 v[136:137], v[200:201], v[184:185], v[134:135] op_sel_hi:[1,0,1]
	s_set_vgpr_msb 1                        ;  msbs: dst=0 src0=1 src1=0 src2=0
	v_pk_mul_f32 v[138:139], v[10:11] /*v[266:267]*/, v[138:139] op_sel_hi:[1,0]
	s_set_vgpr_msb 0                        ;  msbs: dst=0 src0=0 src1=0 src2=0
	v_mov_b32_e32 v133, v143
	v_pk_fma_f32 v[134:135], v[200:201], v[184:185], v[134:135] neg_lo:[0,0,1] neg_hi:[0,0,1]
	v_pk_add_f32 v[128:129], v[128:129], v[130:131]
	v_dual_mov_b32 v130, v191 :: v_dual_mov_b32 v135, v137
	v_pk_fma_f32 v[136:137], v[202:203], v[186:187], v[138:139] op_sel_hi:[1,0,1]
	v_pk_fma_f32 v[138:139], v[202:203], v[186:187], v[138:139] neg_lo:[0,0,1] neg_hi:[0,0,1]
	s_delay_alu instid0(VALU_DEP_4)
	v_pk_add_f32 v[128:129], v[128:129], v[132:133]
	v_pk_fma_f32 v[132:133], v[204:205], v[188:189], v[140:141] op_sel_hi:[1,0,1]
	s_set_vgpr_msb 1                        ;  msbs: dst=0 src0=1 src1=0 src2=0
	v_pk_mul_f32 v[130:131], v[12:13] /*v[268:269]*/, v[130:131] op_sel_hi:[1,0]
	s_set_vgpr_msb 0                        ;  msbs: dst=0 src0=0 src1=0 src2=0
	v_mov_b32_e32 v139, v137
	s_wait_loadcnt_dscnt 0x100
	s_set_vgpr_msb 5                        ;  msbs: dst=0 src0=1 src1=1 src2=0
	v_pk_mul_f32 v[136:137], v[4:5] /*v[260:261]*/, v[0:1] /*v[256:257]*/ op_sel:[1,1] op_sel_hi:[0,1]
	s_set_vgpr_msb 0                        ;  msbs: dst=0 src0=0 src1=0 src2=0
	v_pk_add_f32 v[128:129], v[128:129], v[134:135]
	v_pk_fma_f32 v[134:135], v[204:205], v[188:189], v[140:141] neg_lo:[0,0,1] neg_hi:[0,0,1]
	v_mov_b32_e32 v135, v133
	v_pk_fma_f32 v[132:133], v[206:207], v[190:191], v[130:131] op_sel_hi:[1,0,1]
	v_pk_fma_f32 v[130:131], v[206:207], v[190:191], v[130:131] neg_lo:[0,0,1] neg_hi:[0,0,1]
	v_pk_add_f32 v[128:129], v[128:129], v[138:139]
	s_delay_alu instid0(VALU_DEP_3)
	v_mov_b32_e32 v131, v133
	s_set_vgpr_msb 5                        ;  msbs: dst=0 src0=1 src1=1 src2=0
	v_pk_fma_f32 v[132:133], v[4:5] /*v[260:261]*/, v[0:1] /*v[256:257]*/, v[136:137] op_sel_hi:[1,0,1]
	s_set_vgpr_msb 0                        ;  msbs: dst=0 src0=0 src1=0 src2=0
	v_pk_add_f32 v[128:129], v[128:129], v[134:135]
	s_set_vgpr_msb 5                        ;  msbs: dst=0 src0=1 src1=1 src2=0
	v_pk_fma_f32 v[134:135], v[4:5] /*v[260:261]*/, v[0:1] /*v[256:257]*/, v[136:137] neg_lo:[0,0,1] neg_hi:[0,0,1]
	s_set_vgpr_msb 0                        ;  msbs: dst=0 src0=0 src1=0 src2=0
	v_mov_b32_e32 v135, v133
	v_pk_add_f32 v[128:129], v[128:129], v[130:131]
	s_delay_alu instid0(VALU_DEP_1) | instskip(SKIP_2) | instid1(VALU_DEP_1)
	v_pk_add_f32 v[128:129], v[128:129], v[134:135]
	s_wait_loadcnt 0x0
	s_set_vgpr_msb 1                        ;  msbs: dst=0 src0=1 src1=0 src2=0
	v_pk_add_f32 v[128:129], v[2:3] /*v[258:259]*/, v[128:129] neg_lo:[0,1] neg_hi:[0,1]
	scratch_store_b64 off, v[128:129], off offset:232
	s_wait_xcnt 0x0
	v_cmpx_lt_u32_e32 28, v0
	s_set_vgpr_msb 0                        ;  msbs: dst=0 src0=0 src1=0 src2=0
	s_cbranch_execz .LBB126_335
; %bb.334:
	scratch_load_b64 v[128:129], off, off offset:224
	v_mov_b64_e32 v[130:131], 0
	scratch_store_b64 off, v[130:131], off offset:224
	s_wait_loadcnt 0x0
	ds_store_b64 v1, v[128:129]
.LBB126_335:
	s_wait_xcnt 0x0
	s_or_b32 exec_lo, exec_lo, s0
	s_wait_storecnt_dscnt 0x0
	s_barrier_signal -1
	s_barrier_wait -1
	s_clause 0x12
	scratch_load_b128 v[128:131], off, off offset:232
	scratch_load_b128 v[132:135], off, off offset:248
	;; [unrolled: 1-line block ×17, first 2 shown]
	s_set_vgpr_msb 64                       ;  msbs: dst=1 src0=0 src1=0 src2=0
	scratch_load_b64 v[8:9] /*v[264:265]*/, off, off offset:224
	s_set_vgpr_msb 0                        ;  msbs: dst=0 src0=0 src1=0 src2=0
	ds_load_2addr_b64 v[196:199], v7 offset0:119 offset1:120
	ds_load_2addr_b64 v[200:203], v7 offset0:121 offset1:122
	;; [unrolled: 1-line block ×15, first 2 shown]
	s_set_vgpr_msb 64                       ;  msbs: dst=1 src0=0 src1=0 src2=0
	ds_load_2addr_b64 v[0:3] /*v[256:259]*/, v7 offset0:113 offset1:114
	ds_load_2addr_b64 v[4:7] /*v[260:263]*/, v7 offset0:115 offset1:116
	s_mov_b32 s0, exec_lo
	s_wait_dscnt 0x10
	v_dual_mov_b32 v10 /*v266*/, v199 :: v_dual_mov_b32 v11 /*v267*/, v198
	s_wait_dscnt 0xf
	v_dual_mov_b32 v12 /*v268*/, v203 :: v_dual_mov_b32 v13 /*v269*/, v202
	;; [unrolled: 2-line block ×4, first 2 shown]
	s_wait_loadcnt_dscnt 0x110b
	s_set_vgpr_msb 0                        ;  msbs: dst=0 src0=0 src1=0 src2=0
	v_dual_mul_f32 v7, v216, v129 :: v_dual_mul_f32 v9, v218, v131
	v_dual_mul_f32 v55, v217, v129 :: v_dual_mul_f32 v57, v219, v131
	s_wait_loadcnt_dscnt 0x100a
	v_dual_mul_f32 v11, v220, v133 :: v_dual_mul_f32 v13, v222, v135
	s_delay_alu instid0(VALU_DEP_3) | instskip(SKIP_3) | instid1(VALU_DEP_3)
	v_dual_fmac_f32 v7, v217, v128 :: v_dual_fmac_f32 v9, v219, v130
	s_wait_loadcnt_dscnt 0xe08
	v_dual_fma_f32 v55, v216, v128, -v55 :: v_dual_mul_f32 v67, v229, v141
	v_dual_mul_f32 v59, v221, v133 :: v_dual_mul_f32 v61, v223, v135
	v_dual_fma_f32 v57, v218, v130, -v57 :: v_dual_add_f32 v7, 0, v7
	s_delay_alu instid0(VALU_DEP_3) | instskip(SKIP_1) | instid1(VALU_DEP_4)
	v_dual_add_f32 v55, 0, v55 :: v_dual_fmac_f32 v11, v221, v132
	v_dual_mul_f32 v15, v224, v137 :: v_dual_mul_f32 v17, v226, v139
	v_dual_mul_f32 v69, v231, v143 :: v_dual_fma_f32 v59, v220, v132, -v59
	s_delay_alu instid0(VALU_DEP_4) | instskip(NEXT) | instid1(VALU_DEP_3)
	v_add_f32_e32 v7, v7, v9
	v_dual_add_f32 v9, v55, v57 :: v_dual_fmac_f32 v15, v225, v136
	v_dual_mul_f32 v63, v225, v137 :: v_dual_mul_f32 v65, v227, v139
	s_wait_loadcnt_dscnt 0xd07
	v_dual_mul_f32 v55, v233, v145 :: v_dual_fmac_f32 v13, v223, v134
	v_dual_fma_f32 v57, v222, v134, -v61 :: v_dual_add_f32 v7, v7, v11
	s_delay_alu instid0(VALU_DEP_3) | instskip(SKIP_1) | instid1(VALU_DEP_3)
	v_dual_add_f32 v9, v9, v59 :: v_dual_fma_f32 v59, v224, v136, -v63
	v_dual_mul_f32 v19, v228, v141 :: v_dual_mul_f32 v21, v230, v143
	v_add_f32_e32 v7, v7, v13
	s_delay_alu instid0(VALU_DEP_3) | instskip(SKIP_2) | instid1(VALU_DEP_3)
	v_dual_mul_f32 v11, v235, v147 :: v_dual_add_f32 v9, v9, v57
	s_wait_loadcnt_dscnt 0xc06
	v_dual_mul_f32 v13, v237, v149 :: v_dual_fmac_f32 v17, v227, v138
	v_dual_fma_f32 v57, v226, v138, -v65 :: v_dual_add_f32 v7, v7, v15
	s_delay_alu instid0(VALU_DEP_3) | instskip(SKIP_1) | instid1(VALU_DEP_3)
	v_dual_add_f32 v9, v9, v59 :: v_dual_fma_f32 v59, v228, v140, -v67
	v_dual_mul_f32 v15, v239, v151 :: v_dual_fmac_f32 v19, v229, v140
	v_add_f32_e32 v7, v7, v17
	s_delay_alu instid0(VALU_DEP_3)
	v_dual_add_f32 v9, v9, v57 :: v_dual_fmac_f32 v21, v231, v142
	v_dual_mul_f32 v23, v232, v145 :: v_dual_mul_f32 v25, v234, v147
	s_wait_loadcnt_dscnt 0xb05
	v_dual_fma_f32 v57, v230, v142, -v69 :: v_dual_mul_f32 v17, v241, v153
	v_add_f32_e32 v7, v7, v19
	v_dual_add_f32 v9, v9, v59 :: v_dual_fma_f32 v55, v232, v144, -v55
	v_dual_mul_f32 v19, v243, v155 :: v_dual_fmac_f32 v23, v233, v144
	s_delay_alu instid0(VALU_DEP_3) | instskip(NEXT) | instid1(VALU_DEP_3)
	v_dual_add_f32 v7, v7, v21 :: v_dual_fma_f32 v11, v234, v146, -v11
	v_dual_add_f32 v9, v9, v57 :: v_dual_fmac_f32 v25, v235, v146
	v_dual_mul_f32 v27, v236, v149 :: v_dual_mul_f32 v29, v238, v151
	s_wait_loadcnt_dscnt 0xa04
	s_delay_alu instid0(VALU_DEP_3) | instskip(NEXT) | instid1(VALU_DEP_3)
	v_dual_mul_f32 v21, v245, v157 :: v_dual_add_f32 v7, v7, v23
	v_dual_add_f32 v9, v9, v55 :: v_dual_fma_f32 v13, v236, v148, -v13
	s_delay_alu instid0(VALU_DEP_3) | instskip(NEXT) | instid1(VALU_DEP_2)
	v_dual_mul_f32 v23, v247, v159 :: v_dual_fmac_f32 v27, v237, v148
	v_dual_add_f32 v7, v7, v25 :: v_dual_add_f32 v9, v9, v11
	v_dual_mul_f32 v31, v240, v153 :: v_dual_mul_f32 v33, v242, v155
	s_wait_loadcnt_dscnt 0x903
	v_dual_mul_f32 v11, v249, v161 :: v_dual_fmac_f32 v29, v239, v150
	s_delay_alu instid0(VALU_DEP_3) | instskip(SKIP_2) | instid1(VALU_DEP_2)
	v_dual_fma_f32 v15, v238, v150, -v15 :: v_dual_add_f32 v7, v7, v27
	v_dual_add_f32 v9, v9, v13 :: v_dual_mul_f32 v13, v251, v163
	v_dual_fmac_f32 v31, v241, v152 :: v_dual_fma_f32 v17, v240, v152, -v17
	v_dual_add_f32 v7, v7, v29 :: v_dual_add_f32 v9, v9, v15
	v_dual_mul_f32 v35, v244, v157 :: v_dual_mul_f32 v37, v246, v159
	s_wait_loadcnt_dscnt 0x802
	v_dual_mul_f32 v15, v253, v165 :: v_dual_fmac_f32 v33, v243, v154
	s_delay_alu instid0(VALU_DEP_3) | instskip(SKIP_2) | instid1(VALU_DEP_2)
	v_dual_fma_f32 v19, v242, v154, -v19 :: v_dual_add_f32 v7, v7, v31
	v_dual_add_f32 v9, v9, v17 :: v_dual_mul_f32 v17, v255, v167
	v_dual_fmac_f32 v35, v245, v156 :: v_dual_fma_f32 v21, v244, v156, -v21
	v_dual_add_f32 v7, v7, v33 :: v_dual_add_f32 v9, v9, v19
	v_dual_mul_f32 v39, v248, v161 :: v_dual_mul_f32 v41, v250, v163
	v_dual_fmac_f32 v37, v247, v158 :: v_dual_fma_f32 v23, v246, v158, -v23
	s_delay_alu instid0(VALU_DEP_3) | instskip(NEXT) | instid1(VALU_DEP_3)
	v_dual_add_f32 v7, v7, v35 :: v_dual_add_f32 v9, v9, v21
	v_fmac_f32_e32 v39, v249, v160
	v_fma_f32 v11, v248, v160, -v11
	v_dual_mul_f32 v43, v252, v165 :: v_dual_mul_f32 v45, v254, v167
	s_delay_alu instid0(VALU_DEP_4)
	v_dual_add_f32 v7, v7, v37 :: v_dual_add_f32 v9, v9, v23
	v_fmac_f32_e32 v41, v251, v162
	v_fma_f32 v13, v250, v162, -v13
	s_wait_loadcnt_dscnt 0x701
	s_set_vgpr_msb 1                        ;  msbs: dst=0 src0=1 src1=0 src2=0
	v_dual_mul_f32 v47, v0 /*v256*/, v169 :: v_dual_mul_f32 v49, v2 /*v258*/, v171
	s_set_vgpr_msb 0                        ;  msbs: dst=0 src0=0 src1=0 src2=0
	v_add_f32_e32 v7, v7, v39
	v_add_f32_e32 v9, v9, v11
	v_fmac_f32_e32 v43, v253, v164
	v_fma_f32 v15, v252, v164, -v15
	s_set_vgpr_msb 1                        ;  msbs: dst=0 src0=1 src1=0 src2=0
	v_dual_mul_f32 v19, v1 /*v257*/, v169 :: v_dual_mul_f32 v21, v3 /*v259*/, v171
	s_set_vgpr_msb 0                        ;  msbs: dst=0 src0=0 src1=0 src2=0
	v_add_f32_e32 v7, v7, v41
	v_add_f32_e32 v9, v9, v13
	s_wait_loadcnt 0x5
	v_dual_mul_f32 v13, v213, v177 :: v_dual_fmac_f32 v45, v255, v166
	s_delay_alu instid0(VALU_DEP_3) | instskip(NEXT) | instid1(VALU_DEP_3)
	v_dual_fma_f32 v17, v254, v166, -v17 :: v_dual_add_f32 v7, v7, v43
	v_add_f32_e32 v9, v9, v15
	s_set_vgpr_msb 1                        ;  msbs: dst=0 src0=1 src1=0 src2=0
	v_dual_fmac_f32 v47, v1 /*v257*/, v168 :: v_dual_fmac_f32 v49, v3 /*v259*/, v170
	v_fma_f32 v19, v0 /*v256*/, v168, -v19
	s_set_vgpr_msb 0                        ;  msbs: dst=0 src0=0 src1=0 src2=0
	v_add_f32_e32 v7, v7, v45
	v_dual_mul_f32 v15, v215, v179 :: v_dual_add_f32 v9, v9, v17
	s_wait_dscnt 0x0
	s_set_vgpr_msb 1                        ;  msbs: dst=0 src0=1 src1=0 src2=0
	v_dual_mul_f32 v51, v4 /*v260*/, v173 :: v_dual_mul_f32 v53, v6 /*v262*/, v175
	v_dual_mul_f32 v23, v5 /*v261*/, v173 :: v_dual_mul_f32 v11, v7 /*v263*/, v175
	v_fma_f32 v17, v2 /*v258*/, v170, -v21
	s_wait_loadcnt 0x4
	s_set_vgpr_msb 0                        ;  msbs: dst=0 src0=0 src1=0 src2=0
	v_dual_add_f32 v9, v9, v19 :: v_dual_mov_b32 v130, v183
	v_add_f32_e32 v7, v7, v47
	s_set_vgpr_msb 1                        ;  msbs: dst=0 src0=1 src1=0 src2=0
	v_dual_fmac_f32 v51, v5 /*v261*/, v172 :: v_dual_fmac_f32 v53, v7 /*v263*/, v174
	v_fma_f32 v19, v4 /*v260*/, v172, -v23
	s_set_vgpr_msb 0                        ;  msbs: dst=0 src0=0 src1=0 src2=0
	v_add_f32_e32 v9, v9, v17
	v_add_f32_e32 v7, v7, v49
	s_set_vgpr_msb 64                       ;  msbs: dst=1 src0=0 src1=0 src2=0
	v_dual_mul_f32 v19 /*v275*/, v212, v177 :: v_dual_mul_f32 v21 /*v277*/, v214, v179
	s_set_vgpr_msb 1                        ;  msbs: dst=0 src0=1 src1=0 src2=0
	v_fma_f32 v11, v6 /*v262*/, v174, -v11
	s_set_vgpr_msb 0                        ;  msbs: dst=0 src0=0 src1=0 src2=0
	v_add_f32_e32 v9, v9, v19
	v_add_f32_e32 v7, v7, v51
	v_pk_mul_f32 v[128:129], v[196:197], v[180:181] op_sel:[1,1] op_sel_hi:[0,1]
	s_wait_loadcnt 0x3
	v_mov_b32_e32 v134, v187
	s_set_vgpr_msb 64                       ;  msbs: dst=1 src0=0 src1=0 src2=0
	v_dual_fmac_f32 v19 /*v275*/, v213, v176 :: v_dual_fmac_f32 v21 /*v277*/, v215, v178
	v_dual_fma_f32 v18 /*v274*/, v212, v176, -v13 :: v_dual_fma_f32 v20 /*v276*/, v214, v178, -v15
	s_set_vgpr_msb 0                        ;  msbs: dst=0 src0=0 src1=0 src2=0
	v_dual_add_f32 v137, v7, v53 :: v_dual_add_f32 v136, v9, v11
	v_pk_fma_f32 v[138:139], v[196:197], v[180:181], v[128:129] op_sel_hi:[1,0,1]
	s_set_vgpr_msb 1                        ;  msbs: dst=0 src0=1 src1=0 src2=0
	v_pk_mul_f32 v[130:131], v[10:11] /*v[266:267]*/, v[130:131] op_sel_hi:[1,0]
	s_set_vgpr_msb 0                        ;  msbs: dst=0 src0=0 src1=0 src2=0
	v_pk_fma_f32 v[128:129], v[196:197], v[180:181], v[128:129] neg_lo:[0,0,1] neg_hi:[0,0,1]
	v_pk_mul_f32 v[132:133], v[200:201], v[184:185] op_sel:[1,1] op_sel_hi:[0,1]
	s_set_vgpr_msb 4                        ;  msbs: dst=0 src0=0 src1=1 src2=0
	v_pk_add_f32 v[136:137], v[136:137], v[18:19] /*v[274:275]*/
	v_mov_b32_e32 v129, v139
	s_set_vgpr_msb 0                        ;  msbs: dst=0 src0=0 src1=0 src2=0
	v_pk_fma_f32 v[138:139], v[198:199], v[182:183], v[130:131] op_sel_hi:[1,0,1]
	v_pk_fma_f32 v[130:131], v[198:199], v[182:183], v[130:131] neg_lo:[0,0,1] neg_hi:[0,0,1]
	v_pk_fma_f32 v[142:143], v[200:201], v[184:185], v[132:133] op_sel_hi:[1,0,1]
	s_set_vgpr_msb 4                        ;  msbs: dst=0 src0=0 src1=1 src2=0
	v_pk_add_f32 v[136:137], v[136:137], v[20:21] /*v[276:277]*/
	s_set_vgpr_msb 1                        ;  msbs: dst=0 src0=1 src1=0 src2=0
	v_pk_mul_f32 v[134:135], v[12:13] /*v[268:269]*/, v[134:135] op_sel_hi:[1,0]
	s_set_vgpr_msb 0                        ;  msbs: dst=0 src0=0 src1=0 src2=0
	v_mov_b32_e32 v131, v139
	s_wait_loadcnt 0x2
	v_pk_mul_f32 v[140:141], v[204:205], v[188:189] op_sel:[1,1] op_sel_hi:[0,1]
	v_pk_fma_f32 v[132:133], v[200:201], v[184:185], v[132:133] neg_lo:[0,0,1] neg_hi:[0,0,1]
	v_pk_add_f32 v[128:129], v[136:137], v[128:129]
	v_dual_mov_b32 v136, v191 :: v_dual_mov_b32 v133, v143
	v_pk_fma_f32 v[138:139], v[202:203], v[186:187], v[134:135] op_sel_hi:[1,0,1]
	v_pk_fma_f32 v[134:135], v[202:203], v[186:187], v[134:135] neg_lo:[0,0,1] neg_hi:[0,0,1]
	s_delay_alu instid0(VALU_DEP_4)
	v_pk_add_f32 v[128:129], v[128:129], v[130:131]
	v_pk_fma_f32 v[130:131], v[204:205], v[188:189], v[140:141] op_sel_hi:[1,0,1]
	s_set_vgpr_msb 1                        ;  msbs: dst=0 src0=1 src1=0 src2=0
	v_pk_mul_f32 v[136:137], v[14:15] /*v[270:271]*/, v[136:137] op_sel_hi:[1,0]
	s_set_vgpr_msb 0                        ;  msbs: dst=0 src0=0 src1=0 src2=0
	v_mov_b32_e32 v135, v139
	v_pk_fma_f32 v[138:139], v[204:205], v[188:189], v[140:141] neg_lo:[0,0,1] neg_hi:[0,0,1]
	v_pk_add_f32 v[128:129], v[128:129], v[132:133]
	v_mov_b32_e32 v139, v131
	v_pk_fma_f32 v[130:131], v[206:207], v[190:191], v[136:137] op_sel_hi:[1,0,1]
	s_wait_loadcnt 0x1
	v_pk_mul_f32 v[132:133], v[208:209], v[192:193] op_sel:[1,1] op_sel_hi:[0,1]
	v_mov_b32_e32 v130, v195
	v_pk_add_f32 v[128:129], v[128:129], v[134:135]
	v_pk_fma_f32 v[136:137], v[206:207], v[190:191], v[136:137] neg_lo:[0,0,1] neg_hi:[0,0,1]
	v_mov_b32_e32 v137, v131
	v_pk_fma_f32 v[134:135], v[208:209], v[192:193], v[132:133] op_sel_hi:[1,0,1]
	s_set_vgpr_msb 1                        ;  msbs: dst=0 src0=1 src1=0 src2=0
	v_pk_mul_f32 v[130:131], v[16:17] /*v[272:273]*/, v[130:131] op_sel_hi:[1,0]
	s_set_vgpr_msb 0                        ;  msbs: dst=0 src0=0 src1=0 src2=0
	v_pk_add_f32 v[128:129], v[128:129], v[138:139]
	v_pk_fma_f32 v[132:133], v[208:209], v[192:193], v[132:133] neg_lo:[0,0,1] neg_hi:[0,0,1]
	v_mov_b32_e32 v133, v135
	v_pk_fma_f32 v[134:135], v[210:211], v[194:195], v[130:131] op_sel_hi:[1,0,1]
	s_delay_alu instid0(VALU_DEP_4) | instskip(SKIP_1) | instid1(VALU_DEP_3)
	v_pk_add_f32 v[128:129], v[128:129], v[136:137]
	v_pk_fma_f32 v[130:131], v[210:211], v[194:195], v[130:131] neg_lo:[0,0,1] neg_hi:[0,0,1]
	v_mov_b32_e32 v131, v135
	s_delay_alu instid0(VALU_DEP_3) | instskip(NEXT) | instid1(VALU_DEP_1)
	v_pk_add_f32 v[128:129], v[128:129], v[132:133]
	v_pk_add_f32 v[128:129], v[128:129], v[130:131]
	s_wait_loadcnt 0x0
	s_set_vgpr_msb 1                        ;  msbs: dst=0 src0=1 src1=0 src2=0
	s_delay_alu instid0(VALU_DEP_1)
	v_pk_add_f32 v[128:129], v[8:9] /*v[264:265]*/, v[128:129] neg_lo:[0,1] neg_hi:[0,1]
	scratch_store_b64 off, v[128:129], off offset:224
	s_wait_xcnt 0x0
	v_cmpx_lt_u32_e32 27, v0
	s_set_vgpr_msb 0                        ;  msbs: dst=0 src0=0 src1=0 src2=0
	s_cbranch_execz .LBB126_337
; %bb.336:
	scratch_load_b64 v[128:129], off, off offset:216
	v_mov_b64_e32 v[130:131], 0
	scratch_store_b64 off, v[130:131], off offset:216
	s_wait_loadcnt 0x0
	ds_store_b64 v1, v[128:129]
.LBB126_337:
	s_wait_xcnt 0x0
	s_or_b32 exec_lo, exec_lo, s0
	s_wait_storecnt_dscnt 0x0
	s_barrier_signal -1
	s_barrier_wait -1
	s_clause 0x13
	scratch_load_b128 v[128:131], off, off offset:224
	scratch_load_b128 v[132:135], off, off offset:240
	;; [unrolled: 1-line block ×17, first 2 shown]
	s_set_vgpr_msb 64                       ;  msbs: dst=1 src0=0 src1=0 src2=0
	scratch_load_b64 v[8:9] /*v[264:265]*/, off, off offset:496
	scratch_load_b64 v[10:11] /*v[266:267]*/, off, off offset:216
	s_set_vgpr_msb 0                        ;  msbs: dst=0 src0=0 src1=0 src2=0
	v_mov_b32_e32 v7, 0
	ds_load_b128 v[196:199], v7 offset:944
	ds_load_b128 v[200:203], v7 offset:960
	;; [unrolled: 1-line block ×15, first 2 shown]
	s_set_vgpr_msb 64                       ;  msbs: dst=1 src0=0 src1=0 src2=0
	ds_load_b128 v[0:3] /*v[256:259]*/, v7 offset:896
	ds_load_b128 v[4:7] /*v[260:263]*/, v7 offset:912
	ds_load_b64 v[12:13] /*v[268:269]*/, v7 offset:1008
	s_mov_b32 s0, exec_lo
	s_wait_dscnt 0x11
	v_dual_mov_b32 v14 /*v270*/, v199 :: v_dual_mov_b32 v15 /*v271*/, v198
	s_wait_dscnt 0x10
	v_dual_mov_b32 v16 /*v272*/, v203 :: v_dual_mov_b32 v17 /*v273*/, v202
	;; [unrolled: 2-line block ×4, first 2 shown]
	s_wait_loadcnt_dscnt 0x120c
	s_set_vgpr_msb 0                        ;  msbs: dst=0 src0=0 src1=0 src2=0
	v_dual_mul_f32 v9, v216, v129 :: v_dual_mul_f32 v59, v217, v129
	v_dual_mul_f32 v61, v219, v131 :: v_dual_mul_f32 v11, v218, v131
	s_wait_loadcnt_dscnt 0x110b
	v_mul_f32_e32 v13, v220, v133
	s_wait_loadcnt_dscnt 0xf09
	v_dual_mul_f32 v71, v229, v141 :: v_dual_fma_f32 v59, v216, v128, -v59
	v_dual_fmac_f32 v9, v217, v128 :: v_dual_mul_f32 v73, v231, v143
	v_dual_mul_f32 v63, v221, v133 :: v_dual_mul_f32 v65, v223, v135
	v_dual_fmac_f32 v11, v219, v130 :: v_dual_fma_f32 v61, v218, v130, -v61
	s_delay_alu instid0(VALU_DEP_3) | instskip(SKIP_4) | instid1(VALU_DEP_3)
	v_dual_add_f32 v9, 0, v9 :: v_dual_add_f32 v59, 0, v59
	v_dual_mul_f32 v15, v222, v135 :: v_dual_mul_f32 v17, v224, v137
	s_wait_loadcnt_dscnt 0xe08
	v_dual_mul_f32 v75, v233, v145 :: v_dual_fma_f32 v63, v220, v132, -v63
	v_fmac_f32_e32 v13, v221, v132
	v_dual_add_f32 v9, v9, v11 :: v_dual_fmac_f32 v15, v223, v134
	v_add_f32_e32 v11, v59, v61
	v_dual_mul_f32 v67, v225, v137 :: v_dual_mul_f32 v69, v227, v139
	v_dual_mul_f32 v59, v235, v147 :: v_dual_fma_f32 v61, v222, v134, -v65
	s_delay_alu instid0(VALU_DEP_3) | instskip(SKIP_3) | instid1(VALU_DEP_3)
	v_dual_add_f32 v9, v9, v13 :: v_dual_add_f32 v11, v11, v63
	v_dual_mul_f32 v19, v226, v139 :: v_dual_mul_f32 v21, v228, v141
	s_wait_loadcnt_dscnt 0xd07
	v_dual_mul_f32 v13, v237, v149 :: v_dual_fma_f32 v63, v224, v136, -v67
	v_dual_fmac_f32 v17, v225, v136 :: v_dual_add_f32 v11, v11, v61
	s_delay_alu instid0(VALU_DEP_3) | instskip(SKIP_1) | instid1(VALU_DEP_2)
	v_dual_add_f32 v9, v9, v15 :: v_dual_fmac_f32 v19, v227, v138
	v_dual_mul_f32 v15, v239, v151 :: v_dual_fma_f32 v61, v226, v138, -v69
	v_dual_add_f32 v11, v11, v63 :: v_dual_add_f32 v9, v9, v17
	v_dual_mul_f32 v23, v230, v143 :: v_dual_mul_f32 v25, v232, v145
	s_wait_loadcnt_dscnt 0xc06
	v_dual_mul_f32 v17, v241, v153 :: v_dual_fma_f32 v63, v228, v140, -v71
	s_delay_alu instid0(VALU_DEP_3) | instskip(NEXT) | instid1(VALU_DEP_3)
	v_dual_fmac_f32 v21, v229, v140 :: v_dual_add_f32 v11, v11, v61
	v_dual_add_f32 v9, v9, v19 :: v_dual_fmac_f32 v23, v231, v142
	v_dual_mul_f32 v19, v243, v155 :: v_dual_fma_f32 v61, v230, v142, -v73
	s_delay_alu instid0(VALU_DEP_2) | instskip(SKIP_3) | instid1(VALU_DEP_3)
	v_dual_add_f32 v11, v11, v63 :: v_dual_add_f32 v9, v9, v21
	v_dual_mul_f32 v27, v234, v147 :: v_dual_mul_f32 v29, v236, v149
	s_wait_loadcnt_dscnt 0xb05
	v_dual_mul_f32 v21, v245, v157 :: v_dual_fma_f32 v63, v232, v144, -v75
	v_dual_fmac_f32 v25, v233, v144 :: v_dual_add_f32 v11, v11, v61
	s_delay_alu instid0(VALU_DEP_3) | instskip(SKIP_1) | instid1(VALU_DEP_2)
	v_dual_add_f32 v9, v9, v23 :: v_dual_fmac_f32 v27, v235, v146
	v_dual_mul_f32 v23, v247, v159 :: v_dual_fma_f32 v59, v234, v146, -v59
	v_dual_add_f32 v11, v11, v63 :: v_dual_add_f32 v9, v9, v25
	v_dual_mul_f32 v31, v238, v151 :: v_dual_mul_f32 v33, v240, v153
	s_wait_loadcnt_dscnt 0xa04
	v_dual_mul_f32 v25, v249, v161 :: v_dual_fma_f32 v13, v236, v148, -v13
	s_delay_alu instid0(VALU_DEP_3) | instskip(NEXT) | instid1(VALU_DEP_3)
	v_dual_fmac_f32 v29, v237, v148 :: v_dual_add_f32 v11, v11, v59
	v_dual_add_f32 v9, v9, v27 :: v_dual_fmac_f32 v31, v239, v150
	v_dual_mul_f32 v27, v251, v163 :: v_dual_fma_f32 v15, v238, v150, -v15
	s_delay_alu instid0(VALU_DEP_3) | instskip(NEXT) | instid1(VALU_DEP_3)
	v_dual_add_f32 v11, v11, v13 :: v_dual_fmac_f32 v33, v241, v152
	v_dual_add_f32 v9, v9, v29 :: v_dual_fma_f32 v17, v240, v152, -v17
	v_dual_mul_f32 v35, v242, v155 :: v_dual_mul_f32 v37, v244, v157
	s_wait_loadcnt_dscnt 0x903
	s_delay_alu instid0(VALU_DEP_3) | instskip(NEXT) | instid1(VALU_DEP_2)
	v_dual_mul_f32 v13, v253, v165 :: v_dual_add_f32 v11, v11, v15
	v_dual_add_f32 v9, v9, v31 :: v_dual_fmac_f32 v35, v243, v154
	v_dual_mul_f32 v15, v255, v167 :: v_dual_fma_f32 v19, v242, v154, -v19
	s_delay_alu instid0(VALU_DEP_3) | instskip(NEXT) | instid1(VALU_DEP_3)
	v_dual_add_f32 v11, v11, v17 :: v_dual_fmac_f32 v37, v245, v156
	v_dual_add_f32 v9, v9, v33 :: v_dual_fma_f32 v21, v244, v156, -v21
	v_dual_mul_f32 v39, v246, v159 :: v_dual_mul_f32 v41, v248, v161
	s_delay_alu instid0(VALU_DEP_3) | instskip(NEXT) | instid1(VALU_DEP_2)
	v_dual_add_f32 v11, v11, v19 :: v_dual_fma_f32 v23, v246, v158, -v23
	v_dual_add_f32 v9, v9, v35 :: v_dual_fmac_f32 v39, v247, v158
	v_dual_mul_f32 v43, v250, v163 :: v_dual_mul_f32 v45, v252, v165
	s_delay_alu instid0(VALU_DEP_3) | instskip(NEXT) | instid1(VALU_DEP_3)
	v_dual_add_f32 v11, v11, v21 :: v_dual_fmac_f32 v41, v249, v160
	v_dual_add_f32 v9, v9, v37 :: v_dual_fma_f32 v25, v248, v160, -v25
	s_delay_alu instid0(VALU_DEP_3) | instskip(NEXT) | instid1(VALU_DEP_3)
	v_fmac_f32_e32 v43, v251, v162
	v_dual_add_f32 v11, v11, v23 :: v_dual_fma_f32 v27, v250, v162, -v27
	s_delay_alu instid0(VALU_DEP_3) | instskip(SKIP_2) | instid1(VALU_DEP_3)
	v_add_f32_e32 v9, v9, v39
	s_wait_loadcnt 0x6
	v_dual_mul_f32 v47, v254, v167 :: v_dual_mul_f32 v57, v208, v177
	v_dual_add_f32 v11, v11, v25 :: v_dual_fmac_f32 v45, v253, v164
	s_delay_alu instid0(VALU_DEP_3) | instskip(NEXT) | instid1(VALU_DEP_2)
	v_dual_add_f32 v9, v9, v41 :: v_dual_fma_f32 v13, v252, v164, -v13
	v_dual_mul_f32 v25, v209, v177 :: v_dual_add_f32 v11, v11, v27
	s_wait_dscnt 0x2
	s_set_vgpr_msb 1                        ;  msbs: dst=0 src0=1 src1=0 src2=0
	v_dual_mul_f32 v49, v0 /*v256*/, v169 :: v_dual_mul_f32 v51, v2 /*v258*/, v171
	s_set_vgpr_msb 0                        ;  msbs: dst=0 src0=0 src1=0 src2=0
	v_dual_add_f32 v9, v9, v43 :: v_dual_fmac_f32 v47, v255, v166
	s_set_vgpr_msb 1                        ;  msbs: dst=0 src0=1 src1=0 src2=0
	v_dual_mul_f32 v17, v1 /*v257*/, v169 :: v_dual_mul_f32 v19, v3 /*v259*/, v171
	s_set_vgpr_msb 0                        ;  msbs: dst=0 src0=0 src1=0 src2=0
	v_dual_mul_f32 v27, v211, v179 :: v_dual_fma_f32 v15, v254, v166, -v15
	v_add_f32_e32 v11, v11, v13
	v_add_f32_e32 v9, v9, v45
	s_set_vgpr_msb 1                        ;  msbs: dst=0 src0=1 src1=0 src2=0
	v_dual_fmac_f32 v49, v1 /*v257*/, v168 :: v_dual_fmac_f32 v51, v3 /*v259*/, v170
	v_fma_f32 v17, v0 /*v256*/, v168, -v17
	s_set_vgpr_msb 0                        ;  msbs: dst=0 src0=0 src1=0 src2=0
	v_add_f32_e32 v11, v11, v15
	v_add_f32_e32 v9, v9, v47
	s_wait_dscnt 0x1
	s_set_vgpr_msb 1                        ;  msbs: dst=0 src0=1 src1=0 src2=0
	v_dual_mul_f32 v53, v4 /*v260*/, v173 :: v_dual_mul_f32 v55, v6 /*v262*/, v175
	v_dual_mul_f32 v21, v5 /*v261*/, v173 :: v_dual_mul_f32 v23, v7 /*v263*/, v175
	v_fma_f32 v15, v2 /*v258*/, v170, -v19
	s_set_vgpr_msb 0                        ;  msbs: dst=0 src0=0 src1=0 src2=0
	v_add_f32_e32 v11, v11, v17
	v_add_f32_e32 v9, v9, v49
	s_set_vgpr_msb 1                        ;  msbs: dst=0 src0=1 src1=0 src2=0
	v_dual_fmac_f32 v53, v5 /*v261*/, v172 :: v_dual_fmac_f32 v55, v7 /*v263*/, v174
	v_fma_f32 v17, v4 /*v260*/, v172, -v21
	s_set_vgpr_msb 0                        ;  msbs: dst=0 src0=0 src1=0 src2=0
	v_add_f32_e32 v11, v11, v15
	v_add_f32_e32 v9, v9, v51
	s_wait_loadcnt 0x5
	v_dual_mul_f32 v13, v197, v181 :: v_dual_mov_b32 v128, v183
	s_wait_loadcnt 0x4
	v_mov_b32_e32 v132, v187
	s_set_vgpr_msb 1                        ;  msbs: dst=0 src0=1 src1=0 src2=0
	v_fma_f32 v15, v6 /*v262*/, v174, -v23
	s_set_vgpr_msb 0                        ;  msbs: dst=0 src0=0 src1=0 src2=0
	v_add_f32_e32 v9, v9, v53
	v_dual_add_f32 v11, v11, v17 :: v_dual_fmac_f32 v57, v209, v176
	s_set_vgpr_msb 64                       ;  msbs: dst=1 src0=0 src1=0 src2=0
	v_dual_mul_f32 v23 /*v279*/, v210, v179 :: v_dual_mul_f32 v25 /*v281*/, v196, v181
	s_set_vgpr_msb 0                        ;  msbs: dst=0 src0=0 src1=0 src2=0
	v_dual_fma_f32 v17, v208, v176, -v25 :: v_dual_add_f32 v9, v9, v55
	v_add_f32_e32 v11, v11, v15
	s_set_vgpr_msb 1                        ;  msbs: dst=0 src0=1 src1=0 src2=0
	v_pk_mul_f32 v[128:129], v[14:15] /*v[270:271]*/, v[128:129] op_sel_hi:[1,0]
	s_set_vgpr_msb 64                       ;  msbs: dst=1 src0=0 src1=0 src2=0
	v_dual_fmac_f32 v23 /*v279*/, v211, v178 :: v_dual_fmac_f32 v25 /*v281*/, v197, v180
	v_dual_fma_f32 v22 /*v278*/, v210, v178, -v27 :: v_dual_fma_f32 v24 /*v280*/, v196, v180, -v13
	s_set_vgpr_msb 0                        ;  msbs: dst=0 src0=0 src1=0 src2=0
	v_add_f32_e32 v137, v9, v57
	v_pk_fma_f32 v[140:141], v[198:199], v[182:183], v[128:129] op_sel_hi:[1,0,1]
	v_add_f32_e32 v136, v11, v17
	v_pk_fma_f32 v[128:129], v[198:199], v[182:183], v[128:129] neg_lo:[0,0,1] neg_hi:[0,0,1]
	v_pk_mul_f32 v[130:131], v[200:201], v[184:185] op_sel:[1,1] op_sel_hi:[0,1]
	s_set_vgpr_msb 1                        ;  msbs: dst=0 src0=1 src1=0 src2=0
	v_pk_mul_f32 v[132:133], v[16:17] /*v[272:273]*/, v[132:133] op_sel_hi:[1,0]
	s_set_vgpr_msb 4                        ;  msbs: dst=0 src0=0 src1=1 src2=0
	v_mov_b32_e32 v129, v141
	v_pk_add_f32 v[136:137], v[136:137], v[22:23] /*v[278:279]*/
	s_wait_loadcnt 0x3
	s_set_vgpr_msb 0                        ;  msbs: dst=0 src0=0 src1=0 src2=0
	v_pk_mul_f32 v[134:135], v[204:205], v[188:189] op_sel:[1,1] op_sel_hi:[0,1]
	v_pk_fma_f32 v[142:143], v[200:201], v[184:185], v[130:131] op_sel_hi:[1,0,1]
	v_pk_fma_f32 v[130:131], v[200:201], v[184:185], v[130:131] neg_lo:[0,0,1] neg_hi:[0,0,1]
	v_mov_b32_e32 v138, v191
	s_set_vgpr_msb 4                        ;  msbs: dst=0 src0=0 src1=1 src2=0
	v_pk_add_f32 v[136:137], v[136:137], v[24:25] /*v[280:281]*/
	s_wait_loadcnt 0x2
	s_set_vgpr_msb 0                        ;  msbs: dst=0 src0=0 src1=0 src2=0
	v_pk_mul_f32 v[140:141], v[212:213], v[192:193] op_sel:[1,1] op_sel_hi:[0,1]
	v_mov_b32_e32 v131, v143
	v_pk_fma_f32 v[142:143], v[202:203], v[186:187], v[132:133] op_sel_hi:[1,0,1]
	v_pk_fma_f32 v[132:133], v[202:203], v[186:187], v[132:133] neg_lo:[0,0,1] neg_hi:[0,0,1]
	v_pk_add_f32 v[128:129], v[136:137], v[128:129]
	v_pk_fma_f32 v[136:137], v[204:205], v[188:189], v[134:135] op_sel_hi:[1,0,1]
	s_set_vgpr_msb 1                        ;  msbs: dst=0 src0=1 src1=0 src2=0
	v_pk_mul_f32 v[138:139], v[18:19] /*v[274:275]*/, v[138:139] op_sel_hi:[1,0]
	s_set_vgpr_msb 0                        ;  msbs: dst=0 src0=0 src1=0 src2=0
	v_mov_b32_e32 v133, v143
	v_pk_fma_f32 v[134:135], v[204:205], v[188:189], v[134:135] neg_lo:[0,0,1] neg_hi:[0,0,1]
	v_pk_add_f32 v[128:129], v[128:129], v[130:131]
	v_dual_mov_b32 v130, v195 :: v_dual_mov_b32 v135, v137
	v_pk_fma_f32 v[136:137], v[206:207], v[190:191], v[138:139] op_sel_hi:[1,0,1]
	v_pk_fma_f32 v[138:139], v[206:207], v[190:191], v[138:139] neg_lo:[0,0,1] neg_hi:[0,0,1]
	s_delay_alu instid0(VALU_DEP_4)
	v_pk_add_f32 v[128:129], v[128:129], v[132:133]
	v_pk_fma_f32 v[132:133], v[212:213], v[192:193], v[140:141] op_sel_hi:[1,0,1]
	s_set_vgpr_msb 1                        ;  msbs: dst=0 src0=1 src1=0 src2=0
	v_pk_mul_f32 v[130:131], v[20:21] /*v[276:277]*/, v[130:131] op_sel_hi:[1,0]
	s_set_vgpr_msb 0                        ;  msbs: dst=0 src0=0 src1=0 src2=0
	v_mov_b32_e32 v139, v137
	s_wait_loadcnt_dscnt 0x100
	s_set_vgpr_msb 5                        ;  msbs: dst=0 src0=1 src1=1 src2=0
	v_pk_mul_f32 v[136:137], v[12:13] /*v[268:269]*/, v[8:9] /*v[264:265]*/ op_sel:[1,1] op_sel_hi:[0,1]
	s_set_vgpr_msb 0                        ;  msbs: dst=0 src0=0 src1=0 src2=0
	v_pk_add_f32 v[128:129], v[128:129], v[134:135]
	v_pk_fma_f32 v[134:135], v[212:213], v[192:193], v[140:141] neg_lo:[0,0,1] neg_hi:[0,0,1]
	v_mov_b32_e32 v135, v133
	v_pk_fma_f32 v[132:133], v[214:215], v[194:195], v[130:131] op_sel_hi:[1,0,1]
	v_pk_fma_f32 v[130:131], v[214:215], v[194:195], v[130:131] neg_lo:[0,0,1] neg_hi:[0,0,1]
	v_pk_add_f32 v[128:129], v[128:129], v[138:139]
	s_delay_alu instid0(VALU_DEP_3)
	v_mov_b32_e32 v131, v133
	s_set_vgpr_msb 5                        ;  msbs: dst=0 src0=1 src1=1 src2=0
	v_pk_fma_f32 v[132:133], v[12:13] /*v[268:269]*/, v[8:9] /*v[264:265]*/, v[136:137] op_sel_hi:[1,0,1]
	s_set_vgpr_msb 0                        ;  msbs: dst=0 src0=0 src1=0 src2=0
	v_pk_add_f32 v[128:129], v[128:129], v[134:135]
	s_set_vgpr_msb 5                        ;  msbs: dst=0 src0=1 src1=1 src2=0
	v_pk_fma_f32 v[134:135], v[12:13] /*v[268:269]*/, v[8:9] /*v[264:265]*/, v[136:137] neg_lo:[0,0,1] neg_hi:[0,0,1]
	s_set_vgpr_msb 0                        ;  msbs: dst=0 src0=0 src1=0 src2=0
	v_mov_b32_e32 v135, v133
	v_pk_add_f32 v[128:129], v[128:129], v[130:131]
	s_delay_alu instid0(VALU_DEP_1) | instskip(SKIP_2) | instid1(VALU_DEP_1)
	v_pk_add_f32 v[128:129], v[128:129], v[134:135]
	s_wait_loadcnt 0x0
	s_set_vgpr_msb 1                        ;  msbs: dst=0 src0=1 src1=0 src2=0
	v_pk_add_f32 v[128:129], v[10:11] /*v[266:267]*/, v[128:129] neg_lo:[0,1] neg_hi:[0,1]
	scratch_store_b64 off, v[128:129], off offset:216
	s_wait_xcnt 0x0
	v_cmpx_lt_u32_e32 26, v0
	s_set_vgpr_msb 0                        ;  msbs: dst=0 src0=0 src1=0 src2=0
	s_cbranch_execz .LBB126_339
; %bb.338:
	scratch_load_b64 v[128:129], off, off offset:208
	v_mov_b64_e32 v[130:131], 0
	scratch_store_b64 off, v[130:131], off offset:208
	s_wait_loadcnt 0x0
	ds_store_b64 v1, v[128:129]
.LBB126_339:
	s_wait_xcnt 0x0
	s_or_b32 exec_lo, exec_lo, s0
	s_wait_storecnt_dscnt 0x0
	s_barrier_signal -1
	s_barrier_wait -1
	s_clause 0x13
	scratch_load_b128 v[128:131], off, off offset:216
	scratch_load_b128 v[132:135], off, off offset:232
	;; [unrolled: 1-line block ×18, first 2 shown]
	s_set_vgpr_msb 64                       ;  msbs: dst=1 src0=0 src1=0 src2=0
	scratch_load_b64 v[16:17] /*v[272:273]*/, off, off offset:208
	s_set_vgpr_msb 0                        ;  msbs: dst=0 src0=0 src1=0 src2=0
	ds_load_2addr_b64 v[200:203], v7 offset0:119 offset1:120
	ds_load_2addr_b64 v[204:207], v7 offset0:121 offset1:122
	;; [unrolled: 1-line block ×14, first 2 shown]
	s_set_vgpr_msb 64                       ;  msbs: dst=1 src0=0 src1=0 src2=0
	ds_load_2addr_b64 v[0:3] /*v[256:259]*/, v7 offset0:111 offset1:112
	ds_load_2addr_b64 v[4:7] /*v[260:263]*/, v7 offset0:113 offset1:114
	;; [unrolled: 1-line block ×4, first 2 shown]
	s_mov_b32 s0, exec_lo
	s_wait_dscnt 0x11
	v_dual_mov_b32 v18 /*v274*/, v203 :: v_dual_mov_b32 v19 /*v275*/, v202
	s_wait_dscnt 0x10
	v_dual_mov_b32 v20 /*v276*/, v207 :: v_dual_mov_b32 v21 /*v277*/, v206
	;; [unrolled: 2-line block ×4, first 2 shown]
	s_wait_loadcnt_dscnt 0x120d
	s_set_vgpr_msb 0                        ;  msbs: dst=0 src0=0 src1=0 src2=0
	v_dual_mul_f32 v7, v216, v129 :: v_dual_mul_f32 v9, v218, v131
	v_dual_mul_f32 v59, v217, v129 :: v_dual_mul_f32 v61, v219, v131
	s_wait_loadcnt_dscnt 0x110c
	v_dual_mul_f32 v11, v220, v133 :: v_dual_mul_f32 v13, v222, v135
	s_delay_alu instid0(VALU_DEP_3) | instskip(SKIP_3) | instid1(VALU_DEP_3)
	v_dual_fmac_f32 v7, v217, v128 :: v_dual_fmac_f32 v9, v219, v130
	s_wait_loadcnt_dscnt 0xf0a
	v_dual_fma_f32 v59, v216, v128, -v59 :: v_dual_mul_f32 v71, v229, v141
	v_dual_mul_f32 v63, v221, v133 :: v_dual_mul_f32 v65, v223, v135
	v_dual_fma_f32 v61, v218, v130, -v61 :: v_dual_add_f32 v7, 0, v7
	s_delay_alu instid0(VALU_DEP_3) | instskip(SKIP_1) | instid1(VALU_DEP_4)
	v_dual_add_f32 v59, 0, v59 :: v_dual_fmac_f32 v11, v221, v132
	v_dual_mul_f32 v15, v224, v137 :: v_dual_mul_f32 v17, v226, v139
	v_dual_mul_f32 v73, v231, v143 :: v_dual_fma_f32 v63, v220, v132, -v63
	s_delay_alu instid0(VALU_DEP_4) | instskip(NEXT) | instid1(VALU_DEP_3)
	v_add_f32_e32 v7, v7, v9
	v_dual_add_f32 v9, v59, v61 :: v_dual_fmac_f32 v15, v225, v136
	v_dual_mul_f32 v67, v225, v137 :: v_dual_mul_f32 v69, v227, v139
	s_wait_loadcnt_dscnt 0xe09
	v_dual_mul_f32 v59, v233, v145 :: v_dual_fmac_f32 v13, v223, v134
	v_dual_fma_f32 v61, v222, v134, -v65 :: v_dual_add_f32 v7, v7, v11
	s_delay_alu instid0(VALU_DEP_3) | instskip(SKIP_1) | instid1(VALU_DEP_3)
	v_dual_add_f32 v9, v9, v63 :: v_dual_fma_f32 v63, v224, v136, -v67
	v_dual_mul_f32 v19, v228, v141 :: v_dual_mul_f32 v21, v230, v143
	v_add_f32_e32 v7, v7, v13
	s_delay_alu instid0(VALU_DEP_3) | instskip(SKIP_2) | instid1(VALU_DEP_3)
	v_dual_mul_f32 v11, v235, v147 :: v_dual_add_f32 v9, v9, v61
	s_wait_loadcnt_dscnt 0xd08
	v_dual_mul_f32 v13, v237, v149 :: v_dual_fmac_f32 v17, v227, v138
	v_dual_fma_f32 v61, v226, v138, -v69 :: v_dual_add_f32 v7, v7, v15
	s_delay_alu instid0(VALU_DEP_3) | instskip(SKIP_1) | instid1(VALU_DEP_3)
	v_dual_add_f32 v9, v9, v63 :: v_dual_fma_f32 v63, v228, v140, -v71
	v_dual_mul_f32 v15, v239, v151 :: v_dual_fmac_f32 v19, v229, v140
	v_add_f32_e32 v7, v7, v17
	s_delay_alu instid0(VALU_DEP_3)
	v_dual_add_f32 v9, v9, v61 :: v_dual_fmac_f32 v21, v231, v142
	v_dual_mul_f32 v23, v232, v145 :: v_dual_mul_f32 v25, v234, v147
	s_wait_loadcnt_dscnt 0xc07
	v_dual_fma_f32 v61, v230, v142, -v73 :: v_dual_mul_f32 v17, v241, v153
	v_add_f32_e32 v7, v7, v19
	v_dual_add_f32 v9, v9, v63 :: v_dual_fma_f32 v59, v232, v144, -v59
	v_dual_mul_f32 v19, v243, v155 :: v_dual_fmac_f32 v23, v233, v144
	s_delay_alu instid0(VALU_DEP_3) | instskip(NEXT) | instid1(VALU_DEP_3)
	v_dual_add_f32 v7, v7, v21 :: v_dual_fma_f32 v11, v234, v146, -v11
	v_dual_add_f32 v9, v9, v61 :: v_dual_fmac_f32 v25, v235, v146
	v_dual_mul_f32 v27, v236, v149 :: v_dual_mul_f32 v29, v238, v151
	s_wait_loadcnt_dscnt 0xb06
	s_delay_alu instid0(VALU_DEP_3) | instskip(NEXT) | instid1(VALU_DEP_3)
	v_dual_mul_f32 v21, v245, v157 :: v_dual_add_f32 v7, v7, v23
	v_dual_add_f32 v9, v9, v59 :: v_dual_fma_f32 v13, v236, v148, -v13
	s_delay_alu instid0(VALU_DEP_3) | instskip(NEXT) | instid1(VALU_DEP_2)
	v_dual_mul_f32 v23, v247, v159 :: v_dual_fmac_f32 v27, v237, v148
	v_dual_add_f32 v7, v7, v25 :: v_dual_add_f32 v9, v9, v11
	v_dual_mul_f32 v31, v240, v153 :: v_dual_mul_f32 v33, v242, v155
	s_wait_loadcnt_dscnt 0xa05
	v_dual_mul_f32 v11, v249, v161 :: v_dual_fmac_f32 v29, v239, v150
	s_delay_alu instid0(VALU_DEP_3) | instskip(SKIP_2) | instid1(VALU_DEP_2)
	v_dual_fma_f32 v15, v238, v150, -v15 :: v_dual_add_f32 v7, v7, v27
	v_dual_add_f32 v9, v9, v13 :: v_dual_mul_f32 v13, v251, v163
	v_dual_fmac_f32 v31, v241, v152 :: v_dual_fma_f32 v17, v240, v152, -v17
	v_dual_add_f32 v7, v7, v29 :: v_dual_add_f32 v9, v9, v15
	v_dual_mul_f32 v35, v244, v157 :: v_dual_mul_f32 v37, v246, v159
	s_wait_loadcnt_dscnt 0x904
	v_dual_mul_f32 v15, v253, v165 :: v_dual_fmac_f32 v33, v243, v154
	s_delay_alu instid0(VALU_DEP_3) | instskip(SKIP_2) | instid1(VALU_DEP_2)
	v_dual_fma_f32 v19, v242, v154, -v19 :: v_dual_add_f32 v7, v7, v31
	v_dual_add_f32 v9, v9, v17 :: v_dual_mul_f32 v17, v255, v167
	v_dual_fmac_f32 v35, v245, v156 :: v_dual_fma_f32 v21, v244, v156, -v21
	v_dual_add_f32 v7, v7, v33 :: v_dual_add_f32 v9, v9, v19
	v_dual_fmac_f32 v37, v247, v158 :: v_dual_fma_f32 v23, v246, v158, -v23
	v_dual_mul_f32 v39, v248, v161 :: v_dual_mul_f32 v41, v250, v163
	s_delay_alu instid0(VALU_DEP_3) | instskip(SKIP_1) | instid1(VALU_DEP_3)
	v_dual_add_f32 v7, v7, v35 :: v_dual_add_f32 v9, v9, v21
	v_fma_f32 v11, v248, v160, -v11
	v_dual_fmac_f32 v39, v249, v160 :: v_dual_mul_f32 v43, v252, v165
	v_mul_f32_e32 v45, v254, v167
	s_delay_alu instid0(VALU_DEP_4)
	v_dual_add_f32 v9, v9, v23 :: v_dual_add_f32 v7, v7, v37
	v_fmac_f32_e32 v41, v251, v162
	v_fma_f32 v13, v250, v162, -v13
	s_wait_loadcnt_dscnt 0x803
	s_set_vgpr_msb 1                        ;  msbs: dst=0 src0=1 src1=0 src2=0
	v_dual_mul_f32 v47, v0 /*v256*/, v169 :: v_dual_mul_f32 v49, v2 /*v258*/, v171
	s_set_vgpr_msb 0                        ;  msbs: dst=0 src0=0 src1=0 src2=0
	v_add_f32_e32 v9, v9, v11
	v_dual_add_f32 v7, v7, v39 :: v_dual_fma_f32 v15, v252, v164, -v15
	s_set_vgpr_msb 1                        ;  msbs: dst=0 src0=1 src1=0 src2=0
	v_dual_mul_f32 v19, v1 /*v257*/, v169 :: v_dual_mul_f32 v21, v3 /*v259*/, v171
	s_set_vgpr_msb 0                        ;  msbs: dst=0 src0=0 src1=0 src2=0
	v_add_f32_e32 v9, v9, v13
	v_dual_fmac_f32 v43, v253, v164 :: v_dual_add_f32 v7, v7, v41
	v_fmac_f32_e32 v45, v255, v166
	s_delay_alu instid0(VALU_DEP_3)
	v_dual_fma_f32 v17, v254, v166, -v17 :: v_dual_add_f32 v9, v9, v15
	s_set_vgpr_msb 1                        ;  msbs: dst=0 src0=1 src1=0 src2=0
	v_dual_fmac_f32 v47, v1 /*v257*/, v168 :: v_dual_fmac_f32 v49, v3 /*v259*/, v170
	s_set_vgpr_msb 0                        ;  msbs: dst=0 src0=0 src1=0 src2=0
	v_add_f32_e32 v7, v7, v43
	s_set_vgpr_msb 1                        ;  msbs: dst=0 src0=1 src1=0 src2=0
	v_fma_f32 v19, v0 /*v256*/, v168, -v19
	s_set_vgpr_msb 0                        ;  msbs: dst=0 src0=0 src1=0 src2=0
	v_add_f32_e32 v9, v9, v17
	s_wait_loadcnt_dscnt 0x702
	s_set_vgpr_msb 1                        ;  msbs: dst=0 src0=1 src1=0 src2=0
	v_dual_mul_f32 v51, v4 /*v260*/, v173 :: v_dual_mul_f32 v53, v6 /*v262*/, v175
	v_dual_mul_f32 v23, v5 /*v261*/, v173 :: v_dual_mul_f32 v11, v7 /*v263*/, v175
	s_wait_loadcnt_dscnt 0x500
	v_mul_f32_e32 v17, v13 /*v269*/, v181
	s_set_vgpr_msb 0                        ;  msbs: dst=0 src0=0 src1=0 src2=0
	v_dual_add_f32 v7, v7, v45 :: v_dual_add_f32 v9, v9, v19
	s_set_vgpr_msb 1                        ;  msbs: dst=0 src0=1 src1=0 src2=0
	v_dual_fma_f32 v21, v2 /*v258*/, v170, -v21 :: v_dual_mul_f32 v19, v15 /*v271*/, v183
	v_dual_mul_f32 v55, v8 /*v264*/, v177 :: v_dual_mul_f32 v57, v10 /*v266*/, v179
	s_set_vgpr_msb 0                        ;  msbs: dst=0 src0=0 src1=0 src2=0
	v_add_f32_e32 v7, v7, v47
	s_set_vgpr_msb 1                        ;  msbs: dst=0 src0=1 src1=0 src2=0
	v_dual_fmac_f32 v51, v5 /*v261*/, v172 :: v_dual_fmac_f32 v53, v7 /*v263*/, v174
	v_dual_fma_f32 v23, v4 /*v260*/, v172, -v23 :: v_dual_fmac_f32 v57, v11 /*v267*/, v178
	s_set_vgpr_msb 0                        ;  msbs: dst=0 src0=0 src1=0 src2=0
	v_add_f32_e32 v9, v9, v21
	s_set_vgpr_msb 1                        ;  msbs: dst=0 src0=1 src1=0 src2=0
	v_dual_mul_f32 v13, v9 /*v265*/, v177 :: v_dual_mul_f32 v15, v11 /*v267*/, v179
	s_set_vgpr_msb 0                        ;  msbs: dst=0 src0=0 src1=0 src2=0
	v_add_f32_e32 v7, v7, v49
	s_set_vgpr_msb 1                        ;  msbs: dst=0 src0=1 src1=0 src2=0
	v_fma_f32 v11, v6 /*v262*/, v174, -v11
	s_set_vgpr_msb 0                        ;  msbs: dst=0 src0=0 src1=0 src2=0
	v_add_f32_e32 v9, v9, v23
	s_set_vgpr_msb 1                        ;  msbs: dst=0 src0=1 src1=0 src2=0
	v_fma_f32 v13, v8 /*v264*/, v176, -v13
	s_wait_loadcnt 0x4
	s_set_vgpr_msb 0                        ;  msbs: dst=0 src0=0 src1=0 src2=0
	v_mov_b32_e32 v130, v187
	v_add_f32_e32 v7, v7, v51
	s_set_vgpr_msb 1                        ;  msbs: dst=0 src0=1 src1=0 src2=0
	v_fmac_f32_e32 v55, v9 /*v265*/, v176
	s_set_vgpr_msb 0                        ;  msbs: dst=0 src0=0 src1=0 src2=0
	v_add_f32_e32 v9, v9, v11
	s_set_vgpr_msb 1                        ;  msbs: dst=0 src0=1 src1=0 src2=0
	v_fma_f32 v11, v10 /*v266*/, v178, -v15
	s_wait_loadcnt 0x3
	s_set_vgpr_msb 0                        ;  msbs: dst=0 src0=0 src1=0 src2=0
	v_mov_b32_e32 v134, v191
	s_set_vgpr_msb 0x41                     ;  msbs: dst=1 src0=1 src1=0 src2=0
	v_dual_mul_f32 v27 /*v283*/, v12 /*v268*/, v181 :: v_dual_mul_f32 v29 /*v285*/, v14 /*v270*/, v183
	s_set_vgpr_msb 0                        ;  msbs: dst=0 src0=0 src1=0 src2=0
	v_add_f32_e32 v9, v9, v13
	v_add_f32_e32 v7, v7, v53
	v_pk_mul_f32 v[128:129], v[200:201], v[184:185] op_sel:[1,1] op_sel_hi:[0,1]
	s_set_vgpr_msb 0x41                     ;  msbs: dst=1 src0=1 src1=0 src2=0
	v_dual_fmac_f32 v27 /*v283*/, v13 /*v269*/, v180 :: v_dual_fmac_f32 v29 /*v285*/, v15 /*v271*/, v182
	s_set_vgpr_msb 0                        ;  msbs: dst=0 src0=0 src1=0 src2=0
	v_add_f32_e32 v136, v9, v11
	v_add_f32_e32 v7, v7, v55
	s_set_vgpr_msb 0x41                     ;  msbs: dst=1 src0=1 src1=0 src2=0
	v_dual_fma_f32 v26 /*v282*/, v12 /*v268*/, v180, -v17 :: v_dual_fma_f32 v28 /*v284*/, v14 /*v270*/, v182, -v19
	s_set_vgpr_msb 0                        ;  msbs: dst=0 src0=0 src1=0 src2=0
	v_pk_fma_f32 v[138:139], v[200:201], v[184:185], v[128:129] op_sel_hi:[1,0,1]
	s_set_vgpr_msb 1                        ;  msbs: dst=0 src0=1 src1=0 src2=0
	v_pk_mul_f32 v[130:131], v[18:19] /*v[274:275]*/, v[130:131] op_sel_hi:[1,0]
	s_set_vgpr_msb 0                        ;  msbs: dst=0 src0=0 src1=0 src2=0
	v_add_f32_e32 v137, v7, v57
	v_pk_fma_f32 v[128:129], v[200:201], v[184:185], v[128:129] neg_lo:[0,0,1] neg_hi:[0,0,1]
	v_pk_mul_f32 v[132:133], v[204:205], v[188:189] op_sel:[1,1] op_sel_hi:[0,1]
	v_mov_b32_e32 v129, v139
	v_pk_fma_f32 v[138:139], v[202:203], v[186:187], v[130:131] op_sel_hi:[1,0,1]
	s_set_vgpr_msb 4                        ;  msbs: dst=0 src0=0 src1=1 src2=0
	v_pk_add_f32 v[136:137], v[136:137], v[26:27] /*v[282:283]*/
	s_set_vgpr_msb 0                        ;  msbs: dst=0 src0=0 src1=0 src2=0
	v_pk_fma_f32 v[130:131], v[202:203], v[186:187], v[130:131] neg_lo:[0,0,1] neg_hi:[0,0,1]
	v_pk_fma_f32 v[142:143], v[204:205], v[188:189], v[132:133] op_sel_hi:[1,0,1]
	s_set_vgpr_msb 1                        ;  msbs: dst=0 src0=1 src1=0 src2=0
	v_pk_mul_f32 v[134:135], v[20:21] /*v[276:277]*/, v[134:135] op_sel_hi:[1,0]
	s_set_vgpr_msb 4                        ;  msbs: dst=0 src0=0 src1=1 src2=0
	v_mov_b32_e32 v131, v139
	v_pk_add_f32 v[136:137], v[136:137], v[28:29] /*v[284:285]*/
	s_wait_loadcnt 0x2
	s_set_vgpr_msb 0                        ;  msbs: dst=0 src0=0 src1=0 src2=0
	v_pk_mul_f32 v[140:141], v[208:209], v[192:193] op_sel:[1,1] op_sel_hi:[0,1]
	v_pk_fma_f32 v[132:133], v[204:205], v[188:189], v[132:133] neg_lo:[0,0,1] neg_hi:[0,0,1]
	v_mov_b32_e32 v133, v143
	v_pk_fma_f32 v[138:139], v[206:207], v[190:191], v[134:135] op_sel_hi:[1,0,1]
	v_pk_add_f32 v[128:129], v[136:137], v[128:129]
	v_mov_b32_e32 v136, v195
	v_pk_fma_f32 v[134:135], v[206:207], v[190:191], v[134:135] neg_lo:[0,0,1] neg_hi:[0,0,1]
	s_delay_alu instid0(VALU_DEP_3)
	v_pk_add_f32 v[128:129], v[128:129], v[130:131]
	v_pk_fma_f32 v[130:131], v[208:209], v[192:193], v[140:141] op_sel_hi:[1,0,1]
	s_set_vgpr_msb 1                        ;  msbs: dst=0 src0=1 src1=0 src2=0
	v_pk_mul_f32 v[136:137], v[22:23] /*v[278:279]*/, v[136:137] op_sel_hi:[1,0]
	s_set_vgpr_msb 0                        ;  msbs: dst=0 src0=0 src1=0 src2=0
	v_mov_b32_e32 v135, v139
	v_pk_fma_f32 v[138:139], v[208:209], v[192:193], v[140:141] neg_lo:[0,0,1] neg_hi:[0,0,1]
	v_pk_add_f32 v[128:129], v[128:129], v[132:133]
	v_mov_b32_e32 v139, v131
	v_pk_fma_f32 v[130:131], v[210:211], v[194:195], v[136:137] op_sel_hi:[1,0,1]
	s_wait_loadcnt 0x1
	v_pk_mul_f32 v[132:133], v[212:213], v[196:197] op_sel:[1,1] op_sel_hi:[0,1]
	v_mov_b32_e32 v130, v199
	v_pk_add_f32 v[128:129], v[128:129], v[134:135]
	v_pk_fma_f32 v[136:137], v[210:211], v[194:195], v[136:137] neg_lo:[0,0,1] neg_hi:[0,0,1]
	v_mov_b32_e32 v137, v131
	v_pk_fma_f32 v[134:135], v[212:213], v[196:197], v[132:133] op_sel_hi:[1,0,1]
	s_set_vgpr_msb 1                        ;  msbs: dst=0 src0=1 src1=0 src2=0
	v_pk_mul_f32 v[130:131], v[24:25] /*v[280:281]*/, v[130:131] op_sel_hi:[1,0]
	s_set_vgpr_msb 0                        ;  msbs: dst=0 src0=0 src1=0 src2=0
	v_pk_add_f32 v[128:129], v[128:129], v[138:139]
	v_pk_fma_f32 v[132:133], v[212:213], v[196:197], v[132:133] neg_lo:[0,0,1] neg_hi:[0,0,1]
	v_mov_b32_e32 v133, v135
	v_pk_fma_f32 v[134:135], v[214:215], v[198:199], v[130:131] op_sel_hi:[1,0,1]
	s_delay_alu instid0(VALU_DEP_4) | instskip(SKIP_1) | instid1(VALU_DEP_3)
	v_pk_add_f32 v[128:129], v[128:129], v[136:137]
	v_pk_fma_f32 v[130:131], v[214:215], v[198:199], v[130:131] neg_lo:[0,0,1] neg_hi:[0,0,1]
	v_mov_b32_e32 v131, v135
	s_delay_alu instid0(VALU_DEP_3) | instskip(NEXT) | instid1(VALU_DEP_1)
	v_pk_add_f32 v[128:129], v[128:129], v[132:133]
	v_pk_add_f32 v[128:129], v[128:129], v[130:131]
	s_wait_loadcnt 0x0
	s_set_vgpr_msb 1                        ;  msbs: dst=0 src0=1 src1=0 src2=0
	s_delay_alu instid0(VALU_DEP_1)
	v_pk_add_f32 v[128:129], v[16:17] /*v[272:273]*/, v[128:129] neg_lo:[0,1] neg_hi:[0,1]
	scratch_store_b64 off, v[128:129], off offset:208
	s_wait_xcnt 0x0
	v_cmpx_lt_u32_e32 25, v0
	s_set_vgpr_msb 0                        ;  msbs: dst=0 src0=0 src1=0 src2=0
	s_cbranch_execz .LBB126_341
; %bb.340:
	scratch_load_b64 v[128:129], off, off offset:200
	v_mov_b64_e32 v[130:131], 0
	scratch_store_b64 off, v[130:131], off offset:200
	s_wait_loadcnt 0x0
	ds_store_b64 v1, v[128:129]
.LBB126_341:
	s_wait_xcnt 0x0
	s_or_b32 exec_lo, exec_lo, s0
	s_wait_storecnt_dscnt 0x0
	s_barrier_signal -1
	s_barrier_wait -1
	s_clause 0x14
	scratch_load_b128 v[128:131], off, off offset:208
	scratch_load_b128 v[132:135], off, off offset:224
	;; [unrolled: 1-line block ×18, first 2 shown]
	s_set_vgpr_msb 64                       ;  msbs: dst=1 src0=0 src1=0 src2=0
	scratch_load_b64 v[16:17] /*v[272:273]*/, off, off offset:496
	scratch_load_b64 v[18:19] /*v[274:275]*/, off, off offset:200
	s_set_vgpr_msb 0                        ;  msbs: dst=0 src0=0 src1=0 src2=0
	v_mov_b32_e32 v7, 0
	ds_load_b128 v[200:203], v7 offset:944
	ds_load_b128 v[204:207], v7 offset:960
	;; [unrolled: 1-line block ×14, first 2 shown]
	s_set_vgpr_msb 64                       ;  msbs: dst=1 src0=0 src1=0 src2=0
	ds_load_b128 v[0:3] /*v[256:259]*/, v7 offset:880
	ds_load_b128 v[4:7] /*v[260:263]*/, v7 offset:896
	;; [unrolled: 1-line block ×4, first 2 shown]
	ds_load_b64 v[20:21] /*v[276:277]*/, v7 offset:1008
	s_mov_b32 s0, exec_lo
	s_wait_dscnt 0x12
	v_dual_mov_b32 v22 /*v278*/, v203 :: v_dual_mov_b32 v23 /*v279*/, v202
	s_wait_dscnt 0x11
	v_dual_mov_b32 v24 /*v280*/, v207 :: v_dual_mov_b32 v25 /*v281*/, v206
	;; [unrolled: 2-line block ×4, first 2 shown]
	s_wait_loadcnt 0x13
	s_set_vgpr_msb 0                        ;  msbs: dst=0 src0=0 src1=0 src2=0
	v_dual_mul_f32 v9, v212, v129 :: v_dual_mul_f32 v11, v214, v131
	s_wait_loadcnt 0x12
	v_dual_mul_f32 v13, v216, v133 :: v_dual_mul_f32 v65, v215, v131
	v_mul_f32_e32 v67, v217, v133
	s_delay_alu instid0(VALU_DEP_3) | instskip(SKIP_1) | instid1(VALU_DEP_3)
	v_dual_mul_f32 v63, v213, v129 :: v_dual_fmac_f32 v9, v213, v128
	s_wait_loadcnt_dscnt 0x100b
	v_dual_mul_f32 v77, v231, v143 :: v_dual_fma_f32 v65, v214, v130, -v65
	s_wait_loadcnt_dscnt 0xa05
	s_delay_alu instid0(VALU_DEP_2)
	v_dual_mul_f32 v47, v254, v167 :: v_dual_fma_f32 v63, v212, v128, -v63
	v_dual_fmac_f32 v11, v215, v130 :: v_dual_add_f32 v9, 0, v9
	s_wait_loadcnt_dscnt 0x601
	s_set_vgpr_msb 1                        ;  msbs: dst=0 src0=1 src1=0 src2=0
	v_mul_f32_e32 v61, v12 /*v268*/, v181
	s_set_vgpr_msb 0                        ;  msbs: dst=0 src0=0 src1=0 src2=0
	v_dual_mul_f32 v15, v218, v135 :: v_dual_mul_f32 v17, v224, v137
	v_add_f32_e32 v63, 0, v63
	v_dual_mul_f32 v69, v219, v135 :: v_dual_mul_f32 v71, v225, v137
	v_dual_mul_f32 v79, v233, v145 :: v_dual_fma_f32 v67, v216, v132, -v67
	v_fmac_f32_e32 v13, v217, v132
	v_dual_add_f32 v9, v9, v11 :: v_dual_fmac_f32 v15, v219, v134
	v_add_f32_e32 v11, v63, v65
	v_dual_mul_f32 v63, v235, v147 :: v_dual_fma_f32 v65, v218, v134, -v69
	s_delay_alu instid0(VALU_DEP_3) | instskip(NEXT) | instid1(VALU_DEP_3)
	v_dual_add_f32 v9, v9, v13 :: v_dual_mul_f32 v19, v226, v139
	v_dual_mul_f32 v21, v228, v141 :: v_dual_add_f32 v11, v11, v67
	v_dual_mul_f32 v73, v227, v139 :: v_dual_mul_f32 v75, v229, v141
	v_dual_mul_f32 v13, v237, v149 :: v_dual_fma_f32 v67, v224, v136, -v71
	s_delay_alu instid0(VALU_DEP_3) | instskip(SKIP_1) | instid1(VALU_DEP_4)
	v_dual_fmac_f32 v17, v225, v136 :: v_dual_add_f32 v11, v11, v65
	v_dual_add_f32 v9, v9, v15 :: v_dual_fmac_f32 v19, v227, v138
	v_dual_mul_f32 v15, v239, v151 :: v_dual_fma_f32 v65, v226, v138, -v73
	s_delay_alu instid0(VALU_DEP_2) | instskip(SKIP_2) | instid1(VALU_DEP_3)
	v_dual_add_f32 v11, v11, v67 :: v_dual_add_f32 v9, v9, v17
	v_dual_mul_f32 v23, v230, v143 :: v_dual_mul_f32 v25, v232, v145
	v_dual_mul_f32 v17, v241, v153 :: v_dual_fma_f32 v67, v228, v140, -v75
	v_dual_fmac_f32 v21, v229, v140 :: v_dual_add_f32 v11, v11, v65
	s_delay_alu instid0(VALU_DEP_3) | instskip(SKIP_1) | instid1(VALU_DEP_2)
	v_dual_add_f32 v9, v9, v19 :: v_dual_fmac_f32 v23, v231, v142
	v_dual_mul_f32 v19, v243, v155 :: v_dual_fma_f32 v65, v230, v142, -v77
	v_dual_add_f32 v11, v11, v67 :: v_dual_add_f32 v9, v9, v21
	v_dual_mul_f32 v27, v234, v147 :: v_dual_mul_f32 v29, v236, v149
	v_dual_mul_f32 v21, v245, v157 :: v_dual_fma_f32 v67, v232, v144, -v79
	s_delay_alu instid0(VALU_DEP_3) | instskip(NEXT) | instid1(VALU_DEP_3)
	v_dual_fmac_f32 v25, v233, v144 :: v_dual_add_f32 v11, v11, v65
	v_dual_add_f32 v9, v9, v23 :: v_dual_fmac_f32 v27, v235, v146
	v_dual_mul_f32 v23, v247, v159 :: v_dual_fma_f32 v63, v234, v146, -v63
	s_delay_alu instid0(VALU_DEP_2) | instskip(SKIP_2) | instid1(VALU_DEP_3)
	v_dual_add_f32 v11, v11, v67 :: v_dual_add_f32 v9, v9, v25
	v_dual_mul_f32 v31, v238, v151 :: v_dual_mul_f32 v33, v240, v153
	v_dual_mul_f32 v25, v249, v161 :: v_dual_fma_f32 v13, v236, v148, -v13
	v_dual_fmac_f32 v29, v237, v148 :: v_dual_add_f32 v11, v11, v63
	s_delay_alu instid0(VALU_DEP_3) | instskip(SKIP_1) | instid1(VALU_DEP_3)
	v_dual_add_f32 v9, v9, v27 :: v_dual_fmac_f32 v31, v239, v150
	v_dual_mul_f32 v27, v251, v163 :: v_dual_fma_f32 v15, v238, v150, -v15
	v_dual_add_f32 v11, v11, v13 :: v_dual_fmac_f32 v33, v241, v152
	s_delay_alu instid0(VALU_DEP_3) | instskip(SKIP_1) | instid1(VALU_DEP_3)
	v_dual_add_f32 v9, v9, v29 :: v_dual_fma_f32 v17, v240, v152, -v17
	v_dual_mul_f32 v35, v242, v155 :: v_dual_mul_f32 v37, v244, v157
	v_dual_mul_f32 v13, v253, v165 :: v_dual_add_f32 v11, v11, v15
	s_delay_alu instid0(VALU_DEP_2) | instskip(SKIP_1) | instid1(VALU_DEP_3)
	v_dual_add_f32 v9, v9, v31 :: v_dual_fmac_f32 v35, v243, v154
	v_dual_mul_f32 v15, v255, v167 :: v_dual_fma_f32 v19, v242, v154, -v19
	v_dual_add_f32 v11, v11, v17 :: v_dual_fmac_f32 v37, v245, v156
	s_delay_alu instid0(VALU_DEP_3) | instskip(SKIP_1) | instid1(VALU_DEP_3)
	v_dual_add_f32 v9, v9, v33 :: v_dual_fma_f32 v21, v244, v156, -v21
	v_dual_mul_f32 v39, v246, v159 :: v_dual_mul_f32 v41, v248, v161
	v_dual_add_f32 v11, v11, v19 :: v_dual_fma_f32 v23, v246, v158, -v23
	s_delay_alu instid0(VALU_DEP_2) | instskip(SKIP_1) | instid1(VALU_DEP_3)
	v_dual_add_f32 v9, v9, v35 :: v_dual_fmac_f32 v39, v247, v158
	v_dual_mul_f32 v43, v250, v163 :: v_dual_mul_f32 v45, v252, v165
	v_dual_add_f32 v11, v11, v21 :: v_dual_fmac_f32 v41, v249, v160
	s_delay_alu instid0(VALU_DEP_3) | instskip(NEXT) | instid1(VALU_DEP_3)
	v_dual_add_f32 v9, v9, v37 :: v_dual_fma_f32 v25, v248, v160, -v25
	v_fmac_f32_e32 v43, v251, v162
	s_delay_alu instid0(VALU_DEP_3) | instskip(NEXT) | instid1(VALU_DEP_3)
	v_dual_add_f32 v11, v11, v23 :: v_dual_fma_f32 v27, v250, v162, -v27
	v_add_f32_e32 v9, v9, v39
	v_fmac_f32_e32 v45, v253, v164
	s_delay_alu instid0(VALU_DEP_3)
	v_dual_fma_f32 v13, v252, v164, -v13 :: v_dual_add_f32 v11, v11, v25
	s_set_vgpr_msb 1                        ;  msbs: dst=0 src0=1 src1=0 src2=0
	v_dual_mul_f32 v49, v0 /*v256*/, v169 :: v_dual_mul_f32 v51, v2 /*v258*/, v171
	s_set_vgpr_msb 0                        ;  msbs: dst=0 src0=0 src1=0 src2=0
	v_add_f32_e32 v9, v9, v41
	s_set_vgpr_msb 1                        ;  msbs: dst=0 src0=1 src1=0 src2=0
	v_dual_mul_f32 v17, v1 /*v257*/, v169 :: v_dual_mul_f32 v19, v3 /*v259*/, v171
	s_set_vgpr_msb 0                        ;  msbs: dst=0 src0=0 src1=0 src2=0
	v_dual_add_f32 v11, v11, v27 :: v_dual_fma_f32 v15, v254, v166, -v15
	v_dual_add_f32 v9, v9, v43 :: v_dual_fmac_f32 v47, v255, v166
	s_set_vgpr_msb 1                        ;  msbs: dst=0 src0=1 src1=0 src2=0
	v_dual_mul_f32 v53, v4 /*v260*/, v173 :: v_dual_mul_f32 v55, v6 /*v262*/, v175
	s_set_vgpr_msb 0                        ;  msbs: dst=0 src0=0 src1=0 src2=0
	v_add_f32_e32 v11, v11, v13
	v_add_f32_e32 v9, v9, v45
	s_set_vgpr_msb 1                        ;  msbs: dst=0 src0=1 src1=0 src2=0
	v_dual_mul_f32 v21, v5 /*v261*/, v173 :: v_dual_mul_f32 v23, v7 /*v263*/, v175
	v_dual_mul_f32 v13, v13 /*v269*/, v181 :: v_dual_fma_f32 v17, v0 /*v256*/, v168, -v17
	v_fmac_f32_e32 v49, v1 /*v257*/, v168
	s_set_vgpr_msb 0                        ;  msbs: dst=0 src0=0 src1=0 src2=0
	v_add_f32_e32 v11, v11, v15
	v_add_f32_e32 v9, v9, v47
	s_set_vgpr_msb 1                        ;  msbs: dst=0 src0=1 src1=0 src2=0
	v_mul_f32_e32 v15, v15 /*v271*/, v183
	v_dual_fmac_f32 v51, v3 /*v259*/, v170 :: v_dual_fmac_f32 v53, v5 /*v261*/, v172
	v_dual_fma_f32 v19, v2 /*v258*/, v170, -v19 :: v_dual_fma_f32 v21, v4 /*v260*/, v172, -v21
	s_set_vgpr_msb 0                        ;  msbs: dst=0 src0=0 src1=0 src2=0
	v_add_f32_e32 v11, v11, v17
	v_add_f32_e32 v9, v9, v49
	s_set_vgpr_msb 1                        ;  msbs: dst=0 src0=1 src1=0 src2=0
	v_dual_mul_f32 v57, v8 /*v264*/, v177 :: v_dual_mul_f32 v59, v10 /*v266*/, v179
	v_dual_mul_f32 v25, v9 /*v265*/, v177 :: v_dual_mul_f32 v27, v11 /*v267*/, v179
	s_set_vgpr_msb 0                        ;  msbs: dst=0 src0=0 src1=0 src2=0
	v_add_f32_e32 v11, v11, v19
	v_add_f32_e32 v9, v9, v51
	s_set_vgpr_msb 1                        ;  msbs: dst=0 src0=1 src1=0 src2=0
	v_dual_fmac_f32 v55, v7 /*v263*/, v174 :: v_dual_fmac_f32 v57, v9 /*v265*/, v176
	v_fma_f32 v19, v6 /*v262*/, v174, -v23
	s_set_vgpr_msb 0                        ;  msbs: dst=0 src0=0 src1=0 src2=0
	v_add_f32_e32 v11, v11, v21
	s_set_vgpr_msb 1                        ;  msbs: dst=0 src0=1 src1=0 src2=0
	v_fma_f32 v21, v8 /*v264*/, v176, -v25
	s_set_vgpr_msb 0                        ;  msbs: dst=0 src0=0 src1=0 src2=0
	v_add_f32_e32 v9, v9, v53
	s_wait_loadcnt 0x5
	v_dual_mul_f32 v17, v201, v185 :: v_dual_mov_b32 v128, v187
	v_add_f32_e32 v11, v11, v19
	s_set_vgpr_msb 1                        ;  msbs: dst=0 src0=1 src1=0 src2=0
	v_dual_fmac_f32 v59, v11 /*v267*/, v178 :: v_dual_fmac_f32 v61, v13 /*v269*/, v180
	s_wait_loadcnt 0x4
	s_set_vgpr_msb 0                        ;  msbs: dst=0 src0=0 src1=0 src2=0
	v_dual_add_f32 v9, v9, v55 :: v_dual_mov_b32 v132, v191
	s_set_vgpr_msb 1                        ;  msbs: dst=0 src0=1 src1=0 src2=0
	v_dual_fma_f32 v19, v10 /*v266*/, v178, -v27 :: v_dual_fma_f32 v13, v12 /*v268*/, v180, -v13
	s_set_vgpr_msb 0x41                     ;  msbs: dst=1 src0=1 src1=0 src2=0
	v_dual_mul_f32 v31 /*v287*/, v14 /*v270*/, v183 :: v_dual_fma_f32 v30 /*v286*/, v14 /*v270*/, v182, -v15
	s_set_vgpr_msb 0                        ;  msbs: dst=0 src0=0 src1=0 src2=0
	v_add_f32_e32 v9, v9, v57
	v_add_f32_e32 v11, v11, v21
	s_set_vgpr_msb 1                        ;  msbs: dst=0 src0=1 src1=0 src2=0
	v_pk_mul_f32 v[128:129], v[22:23] /*v[278:279]*/, v[128:129] op_sel_hi:[1,0]
	s_set_vgpr_msb 64                       ;  msbs: dst=1 src0=0 src1=0 src2=0
	v_dual_mul_f32 v33 /*v289*/, v200, v185 :: v_dual_fma_f32 v32 /*v288*/, v200, v184, -v17
	s_set_vgpr_msb 0                        ;  msbs: dst=0 src0=0 src1=0 src2=0
	v_add_f32_e32 v9, v9, v59
	v_add_f32_e32 v11, v11, v19
	s_set_vgpr_msb 0x41                     ;  msbs: dst=1 src0=1 src1=0 src2=0
	v_fmac_f32_e32 v31 /*v287*/, v15 /*v271*/, v182
	s_set_vgpr_msb 0                        ;  msbs: dst=0 src0=0 src1=0 src2=0
	v_pk_fma_f32 v[140:141], v[202:203], v[186:187], v[128:129] op_sel_hi:[1,0,1]
	v_pk_fma_f32 v[128:129], v[202:203], v[186:187], v[128:129] neg_lo:[0,0,1] neg_hi:[0,0,1]
	v_add_f32_e32 v137, v9, v61
	v_add_f32_e32 v136, v11, v13
	v_pk_mul_f32 v[130:131], v[204:205], v[188:189] op_sel:[1,1] op_sel_hi:[0,1]
	s_set_vgpr_msb 64                       ;  msbs: dst=1 src0=0 src1=0 src2=0
	v_fmac_f32_e32 v33 /*v289*/, v201, v184
	s_set_vgpr_msb 0                        ;  msbs: dst=0 src0=0 src1=0 src2=0
	v_mov_b32_e32 v129, v141
	s_set_vgpr_msb 1                        ;  msbs: dst=0 src0=1 src1=0 src2=0
	v_pk_mul_f32 v[132:133], v[24:25] /*v[280:281]*/, v[132:133] op_sel_hi:[1,0]
	s_set_vgpr_msb 4                        ;  msbs: dst=0 src0=0 src1=1 src2=0
	v_pk_add_f32 v[136:137], v[136:137], v[30:31] /*v[286:287]*/
	s_set_vgpr_msb 0                        ;  msbs: dst=0 src0=0 src1=0 src2=0
	v_pk_fma_f32 v[142:143], v[204:205], v[188:189], v[130:131] op_sel_hi:[1,0,1]
	v_pk_fma_f32 v[130:131], v[204:205], v[188:189], v[130:131] neg_lo:[0,0,1] neg_hi:[0,0,1]
	s_wait_loadcnt 0x3
	v_pk_mul_f32 v[134:135], v[208:209], v[192:193] op_sel:[1,1] op_sel_hi:[0,1]
	v_mov_b32_e32 v138, v195
	s_set_vgpr_msb 4                        ;  msbs: dst=0 src0=0 src1=1 src2=0
	v_pk_add_f32 v[136:137], v[136:137], v[32:33] /*v[288:289]*/
	v_mov_b32_e32 v131, v143
	s_set_vgpr_msb 0                        ;  msbs: dst=0 src0=0 src1=0 src2=0
	v_pk_fma_f32 v[142:143], v[206:207], v[190:191], v[132:133] op_sel_hi:[1,0,1]
	v_pk_fma_f32 v[132:133], v[206:207], v[190:191], v[132:133] neg_lo:[0,0,1] neg_hi:[0,0,1]
	s_set_vgpr_msb 1                        ;  msbs: dst=0 src0=1 src1=0 src2=0
	v_pk_mul_f32 v[138:139], v[26:27] /*v[282:283]*/, v[138:139] op_sel_hi:[1,0]
	s_set_vgpr_msb 0                        ;  msbs: dst=0 src0=0 src1=0 src2=0
	v_pk_add_f32 v[128:129], v[136:137], v[128:129]
	v_pk_fma_f32 v[136:137], v[208:209], v[192:193], v[134:135] op_sel_hi:[1,0,1]
	v_mov_b32_e32 v133, v143
	v_pk_fma_f32 v[134:135], v[208:209], v[192:193], v[134:135] neg_lo:[0,0,1] neg_hi:[0,0,1]
	s_wait_loadcnt 0x2
	v_pk_mul_f32 v[140:141], v[220:221], v[196:197] op_sel:[1,1] op_sel_hi:[0,1]
	v_pk_add_f32 v[128:129], v[128:129], v[130:131]
	v_dual_mov_b32 v130, v199 :: v_dual_mov_b32 v135, v137
	v_pk_fma_f32 v[136:137], v[210:211], v[194:195], v[138:139] op_sel_hi:[1,0,1]
	v_pk_fma_f32 v[138:139], v[210:211], v[194:195], v[138:139] neg_lo:[0,0,1] neg_hi:[0,0,1]
	s_delay_alu instid0(VALU_DEP_4)
	v_pk_add_f32 v[128:129], v[128:129], v[132:133]
	v_pk_fma_f32 v[132:133], v[220:221], v[196:197], v[140:141] op_sel_hi:[1,0,1]
	s_set_vgpr_msb 1                        ;  msbs: dst=0 src0=1 src1=0 src2=0
	v_pk_mul_f32 v[130:131], v[28:29] /*v[284:285]*/, v[130:131] op_sel_hi:[1,0]
	s_set_vgpr_msb 0                        ;  msbs: dst=0 src0=0 src1=0 src2=0
	v_mov_b32_e32 v139, v137
	s_wait_loadcnt_dscnt 0x100
	s_set_vgpr_msb 5                        ;  msbs: dst=0 src0=1 src1=1 src2=0
	v_pk_mul_f32 v[136:137], v[20:21] /*v[276:277]*/, v[16:17] /*v[272:273]*/ op_sel:[1,1] op_sel_hi:[0,1]
	s_set_vgpr_msb 0                        ;  msbs: dst=0 src0=0 src1=0 src2=0
	v_pk_add_f32 v[128:129], v[128:129], v[134:135]
	v_pk_fma_f32 v[134:135], v[220:221], v[196:197], v[140:141] neg_lo:[0,0,1] neg_hi:[0,0,1]
	v_mov_b32_e32 v135, v133
	v_pk_fma_f32 v[132:133], v[222:223], v[198:199], v[130:131] op_sel_hi:[1,0,1]
	v_pk_fma_f32 v[130:131], v[222:223], v[198:199], v[130:131] neg_lo:[0,0,1] neg_hi:[0,0,1]
	v_pk_add_f32 v[128:129], v[128:129], v[138:139]
	s_delay_alu instid0(VALU_DEP_3)
	v_mov_b32_e32 v131, v133
	s_set_vgpr_msb 5                        ;  msbs: dst=0 src0=1 src1=1 src2=0
	v_pk_fma_f32 v[132:133], v[20:21] /*v[276:277]*/, v[16:17] /*v[272:273]*/, v[136:137] op_sel_hi:[1,0,1]
	s_set_vgpr_msb 0                        ;  msbs: dst=0 src0=0 src1=0 src2=0
	v_pk_add_f32 v[128:129], v[128:129], v[134:135]
	s_set_vgpr_msb 5                        ;  msbs: dst=0 src0=1 src1=1 src2=0
	v_pk_fma_f32 v[134:135], v[20:21] /*v[276:277]*/, v[16:17] /*v[272:273]*/, v[136:137] neg_lo:[0,0,1] neg_hi:[0,0,1]
	s_set_vgpr_msb 0                        ;  msbs: dst=0 src0=0 src1=0 src2=0
	v_mov_b32_e32 v135, v133
	v_pk_add_f32 v[128:129], v[128:129], v[130:131]
	s_delay_alu instid0(VALU_DEP_1) | instskip(SKIP_2) | instid1(VALU_DEP_1)
	v_pk_add_f32 v[128:129], v[128:129], v[134:135]
	s_wait_loadcnt 0x0
	s_set_vgpr_msb 1                        ;  msbs: dst=0 src0=1 src1=0 src2=0
	v_pk_add_f32 v[128:129], v[18:19] /*v[274:275]*/, v[128:129] neg_lo:[0,1] neg_hi:[0,1]
	scratch_store_b64 off, v[128:129], off offset:200
	s_wait_xcnt 0x0
	v_cmpx_lt_u32_e32 24, v0
	s_set_vgpr_msb 0                        ;  msbs: dst=0 src0=0 src1=0 src2=0
	s_cbranch_execz .LBB126_343
; %bb.342:
	scratch_load_b64 v[128:129], off, off offset:192
	v_mov_b64_e32 v[130:131], 0
	scratch_store_b64 off, v[130:131], off offset:192
	s_wait_loadcnt 0x0
	ds_store_b64 v1, v[128:129]
.LBB126_343:
	s_wait_xcnt 0x0
	s_or_b32 exec_lo, exec_lo, s0
	s_wait_storecnt_dscnt 0x0
	s_barrier_signal -1
	s_barrier_wait -1
	s_clause 0xd
	scratch_load_b128 v[132:135], off, off offset:200
	scratch_load_b128 v[140:143], off, off offset:216
	;; [unrolled: 1-line block ×14, first 2 shown]
	ds_load_2addr_b64 v[128:131], v7 offset0:89 offset1:90
	ds_load_2addr_b64 v[136:139], v7 offset0:91 offset1:92
	;; [unrolled: 1-line block ×7, first 2 shown]
	scratch_load_b128 v[244:247], off, off offset:424
	ds_load_2addr_b64 v[176:179], v7 offset0:101 offset1:102
	ds_load_2addr_b64 v[184:187], v7 offset0:103 offset1:104
	;; [unrolled: 1-line block ×8, first 2 shown]
	s_clause 0x4
	scratch_load_b128 v[248:251], off, off offset:440
	scratch_load_b128 v[252:255], off, off offset:456
	s_set_vgpr_msb 64                       ;  msbs: dst=1 src0=0 src1=0 src2=0
	scratch_load_b128 v[0:3] /*v[256:259]*/, off, off offset:472
	scratch_load_b128 v[4:7] /*v[260:263]*/, off, off offset:488
	s_mov_b32 s0, exec_lo
	s_wait_loadcnt_dscnt 0x120e
	s_set_vgpr_msb 0                        ;  msbs: dst=0 src0=0 src1=0 src2=0
	v_dual_mul_f32 v9, v128, v133 :: v_dual_mul_f32 v11, v130, v135
	s_delay_alu instid0(VALU_DEP_1) | instskip(NEXT) | instid1(VALU_DEP_1)
	v_dual_fmac_f32 v9, v129, v132 :: v_dual_fmac_f32 v11, v131, v134
	v_add_f32_e32 v9, 0, v9
	s_wait_loadcnt_dscnt 0x110d
	s_delay_alu instid0(VALU_DEP_1) | instskip(NEXT) | instid1(VALU_DEP_1)
	v_dual_add_f32 v9, v9, v11 :: v_dual_mul_f32 v11, v136, v141
	v_fmac_f32_e32 v11, v137, v140
	s_wait_loadcnt_dscnt 0x408
	s_set_vgpr_msb 64                       ;  msbs: dst=1 src0=0 src1=0 src2=0
	v_dual_mul_f32 v11 /*v267*/, v240, v245 :: v_dual_mul_f32 v13 /*v269*/, v242, v247
	s_set_vgpr_msb 0                        ;  msbs: dst=0 src0=0 src1=0 src2=0
	v_add_f32_e32 v9, v9, v11
	v_mul_f32_e32 v11, v138, v143
	s_set_vgpr_msb 64                       ;  msbs: dst=1 src0=0 src1=0 src2=0
	v_fmac_f32_e32 v11 /*v267*/, v241, v244
	s_set_vgpr_msb 0                        ;  msbs: dst=0 src0=0 src1=0 src2=0
	s_delay_alu instid0(VALU_DEP_2) | instskip(NEXT) | instid1(VALU_DEP_1)
	v_fmac_f32_e32 v11, v139, v142
	v_dual_add_f32 v9, v9, v11 :: v_dual_mul_f32 v11, v144, v149
	s_delay_alu instid0(VALU_DEP_1) | instskip(NEXT) | instid1(VALU_DEP_1)
	v_fmac_f32_e32 v11, v145, v148
	v_add_f32_e32 v9, v9, v11
	v_mul_f32_e32 v11, v146, v151
	s_delay_alu instid0(VALU_DEP_1) | instskip(NEXT) | instid1(VALU_DEP_1)
	v_fmac_f32_e32 v11, v147, v150
	v_dual_add_f32 v9, v9, v11 :: v_dual_mul_f32 v11, v152, v157
	s_delay_alu instid0(VALU_DEP_1) | instskip(NEXT) | instid1(VALU_DEP_1)
	v_fmac_f32_e32 v11, v153, v156
	v_add_f32_e32 v9, v9, v11
	v_mul_f32_e32 v11, v154, v159
	s_delay_alu instid0(VALU_DEP_1) | instskip(NEXT) | instid1(VALU_DEP_1)
	;; [unrolled: 7-line block ×3, first 2 shown]
	v_fmac_f32_e32 v11, v163, v166
	v_dual_add_f32 v9, v9, v11 :: v_dual_mul_f32 v11, v168, v173
	s_delay_alu instid0(VALU_DEP_1) | instskip(NEXT) | instid1(VALU_DEP_1)
	v_fmac_f32_e32 v11, v169, v172
	v_add_f32_e32 v9, v9, v11
	v_mul_f32_e32 v11, v170, v175
	s_delay_alu instid0(VALU_DEP_1) | instskip(SKIP_1) | instid1(VALU_DEP_1)
	v_fmac_f32_e32 v11, v171, v174
	s_wait_dscnt 0x7
	v_dual_add_f32 v9, v9, v11 :: v_dual_mul_f32 v11, v176, v181
	s_delay_alu instid0(VALU_DEP_1) | instskip(NEXT) | instid1(VALU_DEP_1)
	v_fmac_f32_e32 v11, v177, v180
	v_add_f32_e32 v9, v9, v11
	v_mul_f32_e32 v11, v178, v183
	s_delay_alu instid0(VALU_DEP_1) | instskip(SKIP_1) | instid1(VALU_DEP_1)
	v_fmac_f32_e32 v11, v179, v182
	s_wait_dscnt 0x6
	;; [unrolled: 8-line block ×8, first 2 shown]
	v_dual_add_f32 v9, v9, v11 :: v_dual_mul_f32 v11, v232, v237
	s_delay_alu instid0(VALU_DEP_1) | instskip(NEXT) | instid1(VALU_DEP_1)
	v_fmac_f32_e32 v11, v233, v236
	v_add_f32_e32 v9, v9, v11
	v_mul_f32_e32 v11, v234, v239
	s_delay_alu instid0(VALU_DEP_1) | instskip(SKIP_1) | instid1(VALU_DEP_1)
	v_fmac_f32_e32 v11, v235, v238
	s_set_vgpr_msb 64                       ;  msbs: dst=1 src0=0 src1=0 src2=0
	v_add_f32_e32 v9 /*v265*/, v9, v11
	s_set_vgpr_msb 0                        ;  msbs: dst=0 src0=0 src1=0 src2=0
	v_dual_mul_f32 v9, v129, v133 :: v_dual_mul_f32 v11, v131, v135
	s_delay_alu instid0(VALU_DEP_1) | instskip(NEXT) | instid1(VALU_DEP_1)
	v_dual_fma_f32 v9, v128, v132, -v9 :: v_dual_fma_f32 v11, v130, v134, -v11
	v_add_f32_e32 v9, 0, v9
	s_delay_alu instid0(VALU_DEP_1) | instskip(SKIP_1) | instid1(VALU_DEP_1)
	v_add_f32_e32 v9, v9, v11
	v_mul_f32_e32 v11, v137, v141
	v_fma_f32 v11, v136, v140, -v11
	s_delay_alu instid0(VALU_DEP_1) | instskip(SKIP_1) | instid1(VALU_DEP_1)
	v_add_f32_e32 v9, v9, v11
	v_mul_f32_e32 v11, v139, v143
	v_fma_f32 v11, v138, v142, -v11
	ds_load_2addr_b64 v[128:131], v7 offset0:119 offset1:120
	ds_load_2addr_b64 v[132:135], v7 offset0:121 offset1:122
	ds_load_2addr_b64 v[136:139], v7 offset0:123 offset1:124
	ds_load_2addr_b64 v[140:143], v7 offset0:125 offset1:126
	v_add_f32_e32 v9, v9, v11
	v_mul_f32_e32 v11, v145, v149
	s_delay_alu instid0(VALU_DEP_1) | instskip(NEXT) | instid1(VALU_DEP_1)
	v_fma_f32 v11, v144, v148, -v11
	v_add_f32_e32 v9, v9, v11
	v_mul_f32_e32 v11, v147, v151
	s_delay_alu instid0(VALU_DEP_1) | instskip(SKIP_2) | instid1(VALU_DEP_2)
	v_fma_f32 v11, v146, v150, -v11
	s_wait_loadcnt_dscnt 0x303
	v_pk_mul_f32 v[146:147], v[128:129], v[248:249] op_sel:[1,1] op_sel_hi:[0,1]
	v_add_f32_e32 v9, v9, v11
	v_mul_f32_e32 v11, v153, v157
	s_delay_alu instid0(VALU_DEP_3) | instskip(SKIP_1) | instid1(VALU_DEP_3)
	v_pk_fma_f32 v[148:149], v[128:129], v[248:249], v[146:147] neg_lo:[0,0,1] neg_hi:[0,0,1]
	v_pk_fma_f32 v[128:129], v[128:129], v[248:249], v[146:147] op_sel_hi:[1,0,1]
	v_dual_mov_b32 v146, v251 :: v_dual_fma_f32 v11, v152, v156, -v11
	s_delay_alu instid0(VALU_DEP_2) | instskip(NEXT) | instid1(VALU_DEP_2)
	v_mov_b32_e32 v149, v129
	v_add_f32_e32 v9, v9, v11
	v_mul_f32_e32 v11, v155, v159
	s_delay_alu instid0(VALU_DEP_1) | instskip(NEXT) | instid1(VALU_DEP_1)
	v_fma_f32 v11, v154, v158, -v11
	v_add_f32_e32 v9, v9, v11
	v_mul_f32_e32 v11, v161, v165
	s_delay_alu instid0(VALU_DEP_1) | instskip(NEXT) | instid1(VALU_DEP_1)
	v_fma_f32 v11, v160, v164, -v11
	;; [unrolled: 4-line block ×20, first 2 shown]
	v_add_f32_e32 v9, v9, v11
	v_mul_f32_e32 v11, v235, v239
	s_delay_alu instid0(VALU_DEP_1) | instskip(SKIP_1) | instid1(VALU_DEP_1)
	v_fma_f32 v11, v234, v238, -v11
	s_set_vgpr_msb 64                       ;  msbs: dst=1 src0=0 src1=0 src2=0
	v_dual_fmac_f32 v13 /*v269*/, v243, v246 :: v_dual_add_f32 v8 /*v264*/, v9, v11
	s_set_vgpr_msb 0                        ;  msbs: dst=0 src0=0 src1=0 src2=0
	v_mul_f32_e32 v9, v241, v245
	s_set_vgpr_msb 64                       ;  msbs: dst=1 src0=0 src1=0 src2=0
	s_delay_alu instid0(VALU_DEP_1) | instskip(SKIP_3) | instid1(VALU_DEP_1)
	v_fma_f32 v10 /*v266*/, v240, v244, -v9
	s_set_vgpr_msb 0                        ;  msbs: dst=0 src0=0 src1=0 src2=0
	v_mul_f32_e32 v9, v243, v247
	s_set_vgpr_msb 64                       ;  msbs: dst=1 src0=0 src1=0 src2=0
	v_fma_f32 v12 /*v268*/, v242, v246, -v9
	s_set_vgpr_msb 5                        ;  msbs: dst=0 src0=1 src1=1 src2=0
	v_pk_add_f32 v[144:145], v[8:9] /*v[264:265]*/, v[10:11] /*v[266:267]*/
	s_set_vgpr_msb 4                        ;  msbs: dst=0 src0=0 src1=1 src2=0
	s_delay_alu instid0(VALU_DEP_1) | instskip(SKIP_1) | instid1(VALU_DEP_1)
	v_pk_add_f32 v[144:145], v[144:145], v[12:13] /*v[268:269]*/
	s_set_vgpr_msb 0                        ;  msbs: dst=0 src0=0 src1=0 src2=0
	v_pk_add_f32 v[128:129], v[144:145], v[148:149]
	v_dual_mov_b32 v144, v131 :: v_dual_mov_b32 v145, v130
	s_delay_alu instid0(VALU_DEP_1) | instskip(NEXT) | instid1(VALU_DEP_1)
	v_pk_mul_f32 v[144:145], v[144:145], v[146:147] op_sel_hi:[1,0]
	v_pk_fma_f32 v[146:147], v[130:131], v[250:251], v[144:145] neg_lo:[0,0,1] neg_hi:[0,0,1]
	v_pk_fma_f32 v[130:131], v[130:131], v[250:251], v[144:145] op_sel_hi:[1,0,1]
	s_delay_alu instid0(VALU_DEP_1) | instskip(SKIP_2) | instid1(VALU_DEP_2)
	v_mov_b32_e32 v147, v131
	s_wait_loadcnt_dscnt 0x202
	v_pk_mul_f32 v[130:131], v[132:133], v[252:253] op_sel:[1,1] op_sel_hi:[0,1]
	v_pk_add_f32 v[128:129], v[128:129], v[146:147]
	s_delay_alu instid0(VALU_DEP_2) | instskip(SKIP_2) | instid1(VALU_DEP_2)
	v_pk_fma_f32 v[144:145], v[132:133], v[252:253], v[130:131] neg_lo:[0,0,1] neg_hi:[0,0,1]
	v_pk_fma_f32 v[130:131], v[132:133], v[252:253], v[130:131] op_sel_hi:[1,0,1]
	v_dual_mov_b32 v130, v135 :: v_dual_mov_b32 v132, v255
	v_dual_mov_b32 v145, v131 :: v_dual_mov_b32 v131, v134
	s_delay_alu instid0(VALU_DEP_1) | instskip(NEXT) | instid1(VALU_DEP_2)
	v_pk_add_f32 v[128:129], v[128:129], v[144:145]
	v_pk_mul_f32 v[130:131], v[130:131], v[132:133] op_sel_hi:[1,0]
	s_delay_alu instid0(VALU_DEP_1) | instskip(SKIP_1) | instid1(VALU_DEP_1)
	v_pk_fma_f32 v[132:133], v[134:135], v[254:255], v[130:131] neg_lo:[0,0,1] neg_hi:[0,0,1]
	v_pk_fma_f32 v[130:131], v[134:135], v[254:255], v[130:131] op_sel_hi:[1,0,1]
	v_mov_b32_e32 v133, v131
	s_wait_loadcnt_dscnt 0x101
	s_set_vgpr_msb 4                        ;  msbs: dst=0 src0=0 src1=1 src2=0
	v_pk_mul_f32 v[130:131], v[136:137], v[0:1] /*v[256:257]*/ op_sel:[1,1] op_sel_hi:[0,1]
	s_set_vgpr_msb 0                        ;  msbs: dst=0 src0=0 src1=0 src2=0
	v_pk_add_f32 v[128:129], v[128:129], v[132:133]
	s_set_vgpr_msb 4                        ;  msbs: dst=0 src0=0 src1=1 src2=0
	s_delay_alu instid0(VALU_DEP_2) | instskip(SKIP_1) | instid1(VALU_DEP_1)
	v_pk_fma_f32 v[132:133], v[136:137], v[0:1] /*v[256:257]*/, v[130:131] neg_lo:[0,0,1] neg_hi:[0,0,1]
	v_pk_fma_f32 v[130:131], v[136:137], v[0:1] /*v[256:257]*/, v[130:131] op_sel_hi:[1,0,1]
	v_dual_mov_b32 v130, v139 :: v_dual_mov_b32 v133, v131
	v_mov_b32_e32 v131, v138
	s_set_vgpr_msb 0                        ;  msbs: dst=0 src0=0 src1=0 src2=0
	s_delay_alu instid0(VALU_DEP_2) | instskip(SKIP_3) | instid1(VALU_DEP_1)
	v_pk_add_f32 v[128:129], v[128:129], v[132:133]
	s_set_vgpr_msb 1                        ;  msbs: dst=0 src0=1 src1=0 src2=0
	v_mov_b32_e32 v132, v3 /*v259*/
	s_set_vgpr_msb 0                        ;  msbs: dst=0 src0=0 src1=0 src2=0
	v_pk_mul_f32 v[130:131], v[130:131], v[132:133] op_sel_hi:[1,0]
	s_set_vgpr_msb 4                        ;  msbs: dst=0 src0=0 src1=1 src2=0
	s_delay_alu instid0(VALU_DEP_1) | instskip(SKIP_1) | instid1(VALU_DEP_1)
	v_pk_fma_f32 v[132:133], v[138:139], v[2:3] /*v[258:259]*/, v[130:131] neg_lo:[0,0,1] neg_hi:[0,0,1]
	v_pk_fma_f32 v[130:131], v[138:139], v[2:3] /*v[258:259]*/, v[130:131] op_sel_hi:[1,0,1]
	v_mov_b32_e32 v133, v131
	s_wait_loadcnt_dscnt 0x0
	v_pk_mul_f32 v[130:131], v[140:141], v[4:5] /*v[260:261]*/ op_sel:[1,1] op_sel_hi:[0,1]
	s_set_vgpr_msb 0                        ;  msbs: dst=0 src0=0 src1=0 src2=0
	s_delay_alu instid0(VALU_DEP_2) | instskip(SKIP_1) | instid1(VALU_DEP_2)
	v_pk_add_f32 v[128:129], v[128:129], v[132:133]
	s_set_vgpr_msb 4                        ;  msbs: dst=0 src0=0 src1=1 src2=0
	v_pk_fma_f32 v[132:133], v[140:141], v[4:5] /*v[260:261]*/, v[130:131] neg_lo:[0,0,1] neg_hi:[0,0,1]
	v_pk_fma_f32 v[130:131], v[140:141], v[4:5] /*v[260:261]*/, v[130:131] op_sel_hi:[1,0,1]
	s_delay_alu instid0(VALU_DEP_1) | instskip(SKIP_2) | instid1(VALU_DEP_2)
	v_dual_mov_b32 v130, v143 :: v_dual_mov_b32 v133, v131
	v_mov_b32_e32 v131, v142
	s_set_vgpr_msb 0                        ;  msbs: dst=0 src0=0 src1=0 src2=0
	v_pk_add_f32 v[128:129], v[128:129], v[132:133]
	s_set_vgpr_msb 1                        ;  msbs: dst=0 src0=1 src1=0 src2=0
	v_mov_b32_e32 v132, v7 /*v263*/
	s_set_vgpr_msb 0                        ;  msbs: dst=0 src0=0 src1=0 src2=0
	s_delay_alu instid0(VALU_DEP_1) | instskip(SKIP_1) | instid1(VALU_DEP_1)
	v_pk_mul_f32 v[130:131], v[130:131], v[132:133] op_sel_hi:[1,0]
	s_set_vgpr_msb 4                        ;  msbs: dst=0 src0=0 src1=1 src2=0
	v_pk_fma_f32 v[132:133], v[142:143], v[6:7] /*v[262:263]*/, v[130:131] neg_lo:[0,0,1] neg_hi:[0,0,1]
	v_pk_fma_f32 v[130:131], v[142:143], v[6:7] /*v[262:263]*/, v[130:131] op_sel_hi:[1,0,1]
	s_delay_alu instid0(VALU_DEP_1) | instskip(SKIP_4) | instid1(VALU_DEP_1)
	v_mov_b32_e32 v133, v131
	scratch_load_b64 v[130:131], off, off offset:192
	s_set_vgpr_msb 0                        ;  msbs: dst=0 src0=0 src1=0 src2=0
	v_pk_add_f32 v[128:129], v[128:129], v[132:133]
	s_wait_loadcnt 0x0
	v_pk_add_f32 v[128:129], v[130:131], v[128:129] neg_lo:[0,1] neg_hi:[0,1]
	scratch_store_b64 off, v[128:129], off offset:192
	s_wait_xcnt 0x0
	v_cmpx_lt_u32_e32 23, v0
	s_cbranch_execz .LBB126_345
; %bb.344:
	scratch_load_b64 v[128:129], off, off offset:184
	v_mov_b64_e32 v[130:131], 0
	scratch_store_b64 off, v[130:131], off offset:184
	s_wait_loadcnt 0x0
	ds_store_b64 v1, v[128:129]
.LBB126_345:
	s_wait_xcnt 0x0
	s_or_b32 exec_lo, exec_lo, s0
	v_mov_b32_e32 v7, 0
	s_wait_storecnt_dscnt 0x0
	s_barrier_signal -1
	s_barrier_wait -1
	ds_load_b128 v[128:131], v7 offset:704
	ds_load_b128 v[132:135], v7 offset:720
	;; [unrolled: 1-line block ×4, first 2 shown]
	s_clause 0xf
	scratch_load_b128 v[144:147], off, off offset:192
	scratch_load_b128 v[148:151], off, off offset:208
	;; [unrolled: 1-line block ×16, first 2 shown]
	s_mov_b32 s0, exec_lo
	s_wait_loadcnt_dscnt 0xf03
	v_mul_f32_e32 v9, v128, v145
	ds_load_b128 v[240:243], v7 offset:928
	ds_load_b128 v[248:251], v7 offset:944
	;; [unrolled: 1-line block ×4, first 2 shown]
	v_dual_fmac_f32 v9, v129, v144 :: v_dual_mul_f32 v11, v130, v147
	ds_load_b128 v[176:179], v7 offset:800
	ds_load_b128 v[184:187], v7 offset:816
	;; [unrolled: 1-line block ×4, first 2 shown]
	v_dual_add_f32 v9, 0, v9 :: v_dual_fmac_f32 v11, v131, v146
	ds_load_b128 v[208:211], v7 offset:864
	ds_load_b128 v[216:219], v7 offset:880
	;; [unrolled: 1-line block ×4, first 2 shown]
	s_wait_loadcnt_dscnt 0xe0e
	v_dual_add_f32 v9, v9, v11 :: v_dual_mul_f32 v11, v132, v149
	s_set_vgpr_msb 64                       ;  msbs: dst=1 src0=0 src1=0 src2=0
	s_clause 0x3
	scratch_load_b128 v[0:3] /*v[256:259]*/, off, off offset:448
	scratch_load_b128 v[4:7] /*v[260:263]*/, off, off offset:464
	;; [unrolled: 1-line block ×3, first 2 shown]
	scratch_load_b64 v[18:19] /*v[274:275]*/, off, off offset:496
	s_wait_loadcnt_dscnt 0x40a
	v_dual_mul_f32 v15 /*v271*/, v242, v247 :: v_dual_mul_f32 v17 /*v273*/, v248, v253
	s_set_vgpr_msb 0                        ;  msbs: dst=0 src0=0 src1=0 src2=0
	v_fmac_f32_e32 v11, v133, v148
	s_set_vgpr_msb 64                       ;  msbs: dst=1 src0=0 src1=0 src2=0
	s_delay_alu instid0(VALU_DEP_2) | instskip(SKIP_1) | instid1(VALU_DEP_2)
	v_dual_fmac_f32 v15 /*v271*/, v243, v246 :: v_dual_fmac_f32 v17 /*v273*/, v249, v252
	s_set_vgpr_msb 0                        ;  msbs: dst=0 src0=0 src1=0 src2=0
	v_add_f32_e32 v9, v9, v11
	v_mul_f32_e32 v11, v134, v151
	s_delay_alu instid0(VALU_DEP_1) | instskip(NEXT) | instid1(VALU_DEP_1)
	v_fmac_f32_e32 v11, v135, v150
	v_dual_add_f32 v9, v9, v11 :: v_dual_mul_f32 v11, v136, v153
	s_delay_alu instid0(VALU_DEP_1) | instskip(NEXT) | instid1(VALU_DEP_1)
	v_fmac_f32_e32 v11, v137, v152
	v_add_f32_e32 v9, v9, v11
	v_mul_f32_e32 v11, v138, v155
	s_delay_alu instid0(VALU_DEP_1) | instskip(NEXT) | instid1(VALU_DEP_1)
	v_fmac_f32_e32 v11, v139, v154
	v_dual_add_f32 v9, v9, v11 :: v_dual_mul_f32 v11, v140, v157
	s_delay_alu instid0(VALU_DEP_1) | instskip(NEXT) | instid1(VALU_DEP_1)
	v_fmac_f32_e32 v11, v141, v156
	v_add_f32_e32 v9, v9, v11
	v_mul_f32_e32 v11, v142, v159
	s_delay_alu instid0(VALU_DEP_1) | instskip(SKIP_1) | instid1(VALU_DEP_1)
	v_fmac_f32_e32 v11, v143, v158
	s_wait_dscnt 0x9
	v_dual_add_f32 v9, v9, v11 :: v_dual_mul_f32 v11, v160, v165
	s_delay_alu instid0(VALU_DEP_1) | instskip(NEXT) | instid1(VALU_DEP_1)
	v_fmac_f32_e32 v11, v161, v164
	v_add_f32_e32 v9, v9, v11
	v_mul_f32_e32 v11, v162, v167
	s_delay_alu instid0(VALU_DEP_1) | instskip(SKIP_1) | instid1(VALU_DEP_1)
	v_fmac_f32_e32 v11, v163, v166
	s_wait_dscnt 0x8
	;; [unrolled: 8-line block ×10, first 2 shown]
	v_dual_add_f32 v9, v9, v11 :: v_dual_mul_f32 v11, v232, v237
	s_delay_alu instid0(VALU_DEP_1) | instskip(NEXT) | instid1(VALU_DEP_1)
	v_fmac_f32_e32 v11, v233, v236
	v_add_f32_e32 v9, v9, v11
	v_mul_f32_e32 v11, v234, v239
	s_delay_alu instid0(VALU_DEP_1) | instskip(NEXT) | instid1(VALU_DEP_1)
	v_fmac_f32_e32 v11, v235, v238
	v_dual_add_f32 v9, v9, v11 :: v_dual_mul_f32 v11, v240, v245
	s_delay_alu instid0(VALU_DEP_1) | instskip(SKIP_1) | instid1(VALU_DEP_1)
	v_fmac_f32_e32 v11, v241, v244
	s_set_vgpr_msb 64                       ;  msbs: dst=1 src0=0 src1=0 src2=0
	v_add_f32_e32 v13 /*v269*/, v9, v11
	s_set_vgpr_msb 0                        ;  msbs: dst=0 src0=0 src1=0 src2=0
	v_dual_mul_f32 v9, v129, v145 :: v_dual_mul_f32 v11, v131, v147
	s_delay_alu instid0(VALU_DEP_1) | instskip(NEXT) | instid1(VALU_DEP_2)
	v_dual_mov_b32 v145, v250 :: v_dual_fma_f32 v9, v128, v144, -v9
	v_dual_fma_f32 v11, v130, v146, -v11 :: v_dual_mov_b32 v144, v251
	s_delay_alu instid0(VALU_DEP_2) | instskip(NEXT) | instid1(VALU_DEP_1)
	v_dual_mov_b32 v146, v255 :: v_dual_add_f32 v9, 0, v9
	v_pk_mul_f32 v[144:145], v[144:145], v[146:147] op_sel_hi:[1,0]
	s_delay_alu instid0(VALU_DEP_2) | instskip(SKIP_1) | instid1(VALU_DEP_3)
	v_add_f32_e32 v9, v9, v11
	v_mul_f32_e32 v11, v133, v149
	v_pk_fma_f32 v[146:147], v[250:251], v[254:255], v[144:145] neg_lo:[0,0,1] neg_hi:[0,0,1]
	v_pk_fma_f32 v[144:145], v[250:251], v[254:255], v[144:145] op_sel_hi:[1,0,1]
	s_delay_alu instid0(VALU_DEP_1) | instskip(NEXT) | instid1(VALU_DEP_1)
	v_dual_fma_f32 v11, v132, v148, -v11 :: v_dual_mov_b32 v147, v145
	v_add_f32_e32 v9, v9, v11
	v_mul_f32_e32 v11, v135, v151
	s_delay_alu instid0(VALU_DEP_1) | instskip(NEXT) | instid1(VALU_DEP_1)
	v_fma_f32 v11, v134, v150, -v11
	v_add_f32_e32 v9, v9, v11
	v_mul_f32_e32 v11, v137, v153
	s_delay_alu instid0(VALU_DEP_1) | instskip(NEXT) | instid1(VALU_DEP_1)
	v_fma_f32 v11, v136, v152, -v11
	;; [unrolled: 4-line block ×3, first 2 shown]
	v_add_f32_e32 v9, v9, v11
	v_mul_f32_e32 v11, v141, v157
	s_delay_alu instid0(VALU_DEP_1)
	v_fma_f32 v11, v140, v156, -v11
	ds_load_b128 v[128:131], v7 offset:960
	ds_load_b128 v[132:135], v7 offset:976
	;; [unrolled: 1-line block ×3, first 2 shown]
	ds_load_b64 v[140:141], v7 offset:1008
	v_add_f32_e32 v9, v9, v11
	v_mul_f32_e32 v11, v143, v159
	s_delay_alu instid0(VALU_DEP_1) | instskip(NEXT) | instid1(VALU_DEP_1)
	v_fma_f32 v11, v142, v158, -v11
	v_add_f32_e32 v9, v9, v11
	v_mul_f32_e32 v11, v161, v165
	s_wait_loadcnt_dscnt 0x303
	s_set_vgpr_msb 4                        ;  msbs: dst=0 src0=0 src1=1 src2=0
	v_pk_mul_f32 v[144:145], v[128:129], v[0:1] /*v[256:257]*/ op_sel:[1,1] op_sel_hi:[0,1]
	s_set_vgpr_msb 0                        ;  msbs: dst=0 src0=0 src1=0 src2=0
	v_fma_f32 v11, v160, v164, -v11
	s_delay_alu instid0(VALU_DEP_1) | instskip(SKIP_1) | instid1(VALU_DEP_1)
	v_add_f32_e32 v9, v9, v11
	v_mul_f32_e32 v11, v163, v167
	v_fma_f32 v11, v162, v166, -v11
	s_delay_alu instid0(VALU_DEP_1) | instskip(SKIP_1) | instid1(VALU_DEP_1)
	v_add_f32_e32 v9, v9, v11
	v_mul_f32_e32 v11, v169, v173
	;; [unrolled: 4-line block ×20, first 2 shown]
	v_fma_f32 v11, v240, v244, -v11
	s_set_vgpr_msb 64                       ;  msbs: dst=1 src0=0 src1=0 src2=0
	s_delay_alu instid0(VALU_DEP_1) | instskip(SKIP_3) | instid1(VALU_DEP_1)
	v_add_f32_e32 v12 /*v268*/, v9, v11
	s_set_vgpr_msb 0                        ;  msbs: dst=0 src0=0 src1=0 src2=0
	v_mul_f32_e32 v9, v243, v247
	s_set_vgpr_msb 64                       ;  msbs: dst=1 src0=0 src1=0 src2=0
	v_fma_f32 v14 /*v270*/, v242, v246, -v9
	s_set_vgpr_msb 0                        ;  msbs: dst=0 src0=0 src1=0 src2=0
	v_mul_f32_e32 v9, v249, v253
	s_set_vgpr_msb 5                        ;  msbs: dst=0 src0=1 src1=1 src2=0
	s_delay_alu instid0(VALU_DEP_2) | instskip(SKIP_1) | instid1(VALU_DEP_2)
	v_pk_add_f32 v[142:143], v[12:13] /*v[268:269]*/, v[14:15] /*v[270:271]*/
	s_set_vgpr_msb 64                       ;  msbs: dst=1 src0=0 src1=0 src2=0
	v_fma_f32 v16 /*v272*/, v248, v252, -v9
	s_set_vgpr_msb 4                        ;  msbs: dst=0 src0=0 src1=1 src2=0
	s_delay_alu instid0(VALU_DEP_1) | instskip(SKIP_1) | instid1(VALU_DEP_1)
	v_pk_add_f32 v[142:143], v[142:143], v[16:17] /*v[272:273]*/
	s_set_vgpr_msb 0                        ;  msbs: dst=0 src0=0 src1=0 src2=0
	v_pk_add_f32 v[142:143], v[142:143], v[146:147]
	s_set_vgpr_msb 4                        ;  msbs: dst=0 src0=0 src1=1 src2=0
	v_pk_fma_f32 v[146:147], v[128:129], v[0:1] /*v[256:257]*/, v[144:145] neg_lo:[0,0,1] neg_hi:[0,0,1]
	v_pk_fma_f32 v[128:129], v[128:129], v[0:1] /*v[256:257]*/, v[144:145] op_sel_hi:[1,0,1]
	s_set_vgpr_msb 1                        ;  msbs: dst=0 src0=1 src1=0 src2=0
	v_mov_b32_e32 v144, v3 /*v259*/
	s_set_vgpr_msb 0                        ;  msbs: dst=0 src0=0 src1=0 src2=0
	s_delay_alu instid0(VALU_DEP_2) | instskip(NEXT) | instid1(VALU_DEP_1)
	v_mov_b32_e32 v147, v129
	v_pk_add_f32 v[128:129], v[142:143], v[146:147]
	v_dual_mov_b32 v142, v131 :: v_dual_mov_b32 v143, v130
	s_delay_alu instid0(VALU_DEP_1) | instskip(SKIP_1) | instid1(VALU_DEP_1)
	v_pk_mul_f32 v[142:143], v[142:143], v[144:145] op_sel_hi:[1,0]
	s_set_vgpr_msb 4                        ;  msbs: dst=0 src0=0 src1=1 src2=0
	v_pk_fma_f32 v[144:145], v[130:131], v[2:3] /*v[258:259]*/, v[142:143] neg_lo:[0,0,1] neg_hi:[0,0,1]
	v_pk_fma_f32 v[130:131], v[130:131], v[2:3] /*v[258:259]*/, v[142:143] op_sel_hi:[1,0,1]
	s_delay_alu instid0(VALU_DEP_1) | instskip(SKIP_3) | instid1(VALU_DEP_2)
	v_mov_b32_e32 v145, v131
	s_wait_loadcnt_dscnt 0x202
	v_pk_mul_f32 v[130:131], v[132:133], v[4:5] /*v[260:261]*/ op_sel:[1,1] op_sel_hi:[0,1]
	s_set_vgpr_msb 0                        ;  msbs: dst=0 src0=0 src1=0 src2=0
	v_pk_add_f32 v[128:129], v[128:129], v[144:145]
	s_set_vgpr_msb 4                        ;  msbs: dst=0 src0=0 src1=1 src2=0
	s_delay_alu instid0(VALU_DEP_2)
	v_pk_fma_f32 v[142:143], v[132:133], v[4:5] /*v[260:261]*/, v[130:131] neg_lo:[0,0,1] neg_hi:[0,0,1]
	v_pk_fma_f32 v[130:131], v[132:133], v[4:5] /*v[260:261]*/, v[130:131] op_sel_hi:[1,0,1]
	v_mov_b32_e32 v130, v135
	s_set_vgpr_msb 1                        ;  msbs: dst=0 src0=1 src1=0 src2=0
	v_mov_b32_e32 v132, v7 /*v263*/
	s_set_vgpr_msb 0                        ;  msbs: dst=0 src0=0 src1=0 src2=0
	v_dual_mov_b32 v143, v131 :: v_dual_mov_b32 v131, v134
	s_delay_alu instid0(VALU_DEP_1) | instskip(NEXT) | instid1(VALU_DEP_2)
	v_pk_add_f32 v[128:129], v[128:129], v[142:143]
	v_pk_mul_f32 v[130:131], v[130:131], v[132:133] op_sel_hi:[1,0]
	s_set_vgpr_msb 4                        ;  msbs: dst=0 src0=0 src1=1 src2=0
	s_delay_alu instid0(VALU_DEP_1) | instskip(SKIP_1) | instid1(VALU_DEP_1)
	v_pk_fma_f32 v[132:133], v[134:135], v[6:7] /*v[262:263]*/, v[130:131] neg_lo:[0,0,1] neg_hi:[0,0,1]
	v_pk_fma_f32 v[130:131], v[134:135], v[6:7] /*v[262:263]*/, v[130:131] op_sel_hi:[1,0,1]
	v_mov_b32_e32 v133, v131
	s_wait_loadcnt_dscnt 0x101
	v_pk_mul_f32 v[130:131], v[136:137], v[8:9] /*v[264:265]*/ op_sel:[1,1] op_sel_hi:[0,1]
	s_set_vgpr_msb 0                        ;  msbs: dst=0 src0=0 src1=0 src2=0
	s_delay_alu instid0(VALU_DEP_2) | instskip(SKIP_1) | instid1(VALU_DEP_2)
	v_pk_add_f32 v[128:129], v[128:129], v[132:133]
	s_set_vgpr_msb 4                        ;  msbs: dst=0 src0=0 src1=1 src2=0
	v_pk_fma_f32 v[132:133], v[136:137], v[8:9] /*v[264:265]*/, v[130:131] neg_lo:[0,0,1] neg_hi:[0,0,1]
	v_pk_fma_f32 v[130:131], v[136:137], v[8:9] /*v[264:265]*/, v[130:131] op_sel_hi:[1,0,1]
	s_delay_alu instid0(VALU_DEP_1) | instskip(SKIP_2) | instid1(VALU_DEP_2)
	v_dual_mov_b32 v130, v139 :: v_dual_mov_b32 v133, v131
	v_mov_b32_e32 v131, v138
	s_set_vgpr_msb 0                        ;  msbs: dst=0 src0=0 src1=0 src2=0
	v_pk_add_f32 v[128:129], v[128:129], v[132:133]
	s_set_vgpr_msb 1                        ;  msbs: dst=0 src0=1 src1=0 src2=0
	v_mov_b32_e32 v132, v11 /*v267*/
	s_set_vgpr_msb 0                        ;  msbs: dst=0 src0=0 src1=0 src2=0
	s_delay_alu instid0(VALU_DEP_1) | instskip(SKIP_1) | instid1(VALU_DEP_1)
	v_pk_mul_f32 v[130:131], v[130:131], v[132:133] op_sel_hi:[1,0]
	s_set_vgpr_msb 4                        ;  msbs: dst=0 src0=0 src1=1 src2=0
	v_pk_fma_f32 v[132:133], v[138:139], v[10:11] /*v[266:267]*/, v[130:131] neg_lo:[0,0,1] neg_hi:[0,0,1]
	v_pk_fma_f32 v[130:131], v[138:139], v[10:11] /*v[266:267]*/, v[130:131] op_sel_hi:[1,0,1]
	s_delay_alu instid0(VALU_DEP_1) | instskip(SKIP_3) | instid1(VALU_DEP_2)
	v_mov_b32_e32 v133, v131
	s_wait_loadcnt_dscnt 0x0
	v_pk_mul_f32 v[130:131], v[140:141], v[18:19] /*v[274:275]*/ op_sel:[1,1] op_sel_hi:[0,1]
	s_set_vgpr_msb 0                        ;  msbs: dst=0 src0=0 src1=0 src2=0
	v_pk_add_f32 v[128:129], v[128:129], v[132:133]
	s_set_vgpr_msb 4                        ;  msbs: dst=0 src0=0 src1=1 src2=0
	s_delay_alu instid0(VALU_DEP_2) | instskip(SKIP_1) | instid1(VALU_DEP_1)
	v_pk_fma_f32 v[132:133], v[140:141], v[18:19] /*v[274:275]*/, v[130:131] neg_lo:[0,0,1] neg_hi:[0,0,1]
	v_pk_fma_f32 v[130:131], v[140:141], v[18:19] /*v[274:275]*/, v[130:131] op_sel_hi:[1,0,1]
	v_mov_b32_e32 v133, v131
	scratch_load_b64 v[130:131], off, off offset:184
	s_set_vgpr_msb 0                        ;  msbs: dst=0 src0=0 src1=0 src2=0
	v_pk_add_f32 v[128:129], v[128:129], v[132:133]
	s_wait_loadcnt 0x0
	s_delay_alu instid0(VALU_DEP_1)
	v_pk_add_f32 v[128:129], v[130:131], v[128:129] neg_lo:[0,1] neg_hi:[0,1]
	scratch_store_b64 off, v[128:129], off offset:184
	s_wait_xcnt 0x0
	v_cmpx_lt_u32_e32 22, v0
	s_cbranch_execz .LBB126_347
; %bb.346:
	scratch_load_b64 v[128:129], off, off offset:176
	v_mov_b64_e32 v[130:131], 0
	scratch_store_b64 off, v[130:131], off offset:176
	s_wait_loadcnt 0x0
	ds_store_b64 v1, v[128:129]
.LBB126_347:
	s_wait_xcnt 0x0
	s_or_b32 exec_lo, exec_lo, s0
	s_wait_storecnt_dscnt 0x0
	s_barrier_signal -1
	s_barrier_wait -1
	s_clause 0xf
	scratch_load_b128 v[132:135], off, off offset:184
	scratch_load_b128 v[140:143], off, off offset:200
	scratch_load_b128 v[148:151], off, off offset:216
	scratch_load_b128 v[156:159], off, off offset:232
	scratch_load_b128 v[164:167], off, off offset:248
	scratch_load_b128 v[172:175], off, off offset:264
	scratch_load_b128 v[180:183], off, off offset:280
	scratch_load_b128 v[188:191], off, off offset:296
	scratch_load_b128 v[196:199], off, off offset:312
	scratch_load_b128 v[204:207], off, off offset:328
	scratch_load_b128 v[212:215], off, off offset:344
	scratch_load_b128 v[220:223], off, off offset:360
	scratch_load_b128 v[228:231], off, off offset:376
	scratch_load_b128 v[236:239], off, off offset:392
	scratch_load_b128 v[244:247], off, off offset:408
	scratch_load_b128 v[252:255], off, off offset:424
	ds_load_2addr_b64 v[128:131], v7 offset0:87 offset1:88
	ds_load_2addr_b64 v[136:139], v7 offset0:89 offset1:90
	;; [unrolled: 1-line block ×16, first 2 shown]
	s_set_vgpr_msb 64                       ;  msbs: dst=1 src0=0 src1=0 src2=0
	s_clause 0x3
	scratch_load_b128 v[0:3] /*v[256:259]*/, off, off offset:440
	scratch_load_b128 v[4:7] /*v[260:263]*/, off, off offset:456
	;; [unrolled: 1-line block ×4, first 2 shown]
	s_mov_b32 s0, exec_lo
	s_wait_loadcnt_dscnt 0x130f
	s_set_vgpr_msb 0                        ;  msbs: dst=0 src0=0 src1=0 src2=0
	v_dual_mul_f32 v9, v128, v133 :: v_dual_mul_f32 v11, v130, v135
	s_delay_alu instid0(VALU_DEP_1) | instskip(NEXT) | instid1(VALU_DEP_1)
	v_dual_fmac_f32 v9, v129, v132 :: v_dual_fmac_f32 v11, v131, v134
	v_add_f32_e32 v9, 0, v9
	s_wait_loadcnt_dscnt 0x120e
	s_delay_alu instid0(VALU_DEP_1)
	v_dual_add_f32 v9, v9, v11 :: v_dual_mul_f32 v11, v136, v141
	s_wait_loadcnt_dscnt 0x408
	s_set_vgpr_msb 64                       ;  msbs: dst=1 src0=0 src1=0 src2=0
	v_dual_mul_f32 v19 /*v275*/, v248, v253 :: v_dual_mul_f32 v21 /*v277*/, v250, v255
	s_set_vgpr_msb 0                        ;  msbs: dst=0 src0=0 src1=0 src2=0
	v_fmac_f32_e32 v11, v137, v140
	s_set_vgpr_msb 64                       ;  msbs: dst=1 src0=0 src1=0 src2=0
	s_delay_alu instid0(VALU_DEP_2) | instskip(SKIP_1) | instid1(VALU_DEP_2)
	v_fmac_f32_e32 v19 /*v275*/, v249, v252
	s_set_vgpr_msb 0                        ;  msbs: dst=0 src0=0 src1=0 src2=0
	v_add_f32_e32 v9, v9, v11
	v_mul_f32_e32 v11, v138, v143
	s_delay_alu instid0(VALU_DEP_1) | instskip(NEXT) | instid1(VALU_DEP_1)
	v_fmac_f32_e32 v11, v139, v142
	v_dual_add_f32 v9, v9, v11 :: v_dual_mul_f32 v11, v144, v149
	s_delay_alu instid0(VALU_DEP_1) | instskip(NEXT) | instid1(VALU_DEP_1)
	v_fmac_f32_e32 v11, v145, v148
	v_add_f32_e32 v9, v9, v11
	v_mul_f32_e32 v11, v146, v151
	s_delay_alu instid0(VALU_DEP_1) | instskip(NEXT) | instid1(VALU_DEP_1)
	v_fmac_f32_e32 v11, v147, v150
	v_dual_add_f32 v9, v9, v11 :: v_dual_mul_f32 v11, v152, v157
	s_delay_alu instid0(VALU_DEP_1) | instskip(NEXT) | instid1(VALU_DEP_1)
	v_fmac_f32_e32 v11, v153, v156
	;; [unrolled: 7-line block ×4, first 2 shown]
	v_add_f32_e32 v9, v9, v11
	v_mul_f32_e32 v11, v170, v175
	s_delay_alu instid0(VALU_DEP_1) | instskip(SKIP_1) | instid1(VALU_DEP_1)
	v_fmac_f32_e32 v11, v171, v174
	s_wait_dscnt 0x7
	v_dual_add_f32 v9, v9, v11 :: v_dual_mul_f32 v11, v176, v181
	s_delay_alu instid0(VALU_DEP_1) | instskip(NEXT) | instid1(VALU_DEP_1)
	v_fmac_f32_e32 v11, v177, v180
	v_add_f32_e32 v9, v9, v11
	v_mul_f32_e32 v11, v178, v183
	s_delay_alu instid0(VALU_DEP_1) | instskip(SKIP_1) | instid1(VALU_DEP_1)
	v_fmac_f32_e32 v11, v179, v182
	s_wait_dscnt 0x6
	v_dual_add_f32 v9, v9, v11 :: v_dual_mul_f32 v11, v184, v189
	s_delay_alu instid0(VALU_DEP_1) | instskip(NEXT) | instid1(VALU_DEP_1)
	v_fmac_f32_e32 v11, v185, v188
	;; [unrolled: 8-line block ×8, first 2 shown]
	v_add_f32_e32 v9, v9, v11
	v_mul_f32_e32 v11, v234, v239
	s_delay_alu instid0(VALU_DEP_1) | instskip(NEXT) | instid1(VALU_DEP_1)
	v_fmac_f32_e32 v11, v235, v238
	v_dual_add_f32 v9, v9, v11 :: v_dual_mul_f32 v11, v240, v245
	s_delay_alu instid0(VALU_DEP_1) | instskip(NEXT) | instid1(VALU_DEP_1)
	v_fmac_f32_e32 v11, v241, v244
	v_add_f32_e32 v9, v9, v11
	v_mul_f32_e32 v11, v242, v247
	s_delay_alu instid0(VALU_DEP_1) | instskip(SKIP_1) | instid1(VALU_DEP_1)
	v_fmac_f32_e32 v11, v243, v246
	s_set_vgpr_msb 64                       ;  msbs: dst=1 src0=0 src1=0 src2=0
	v_add_f32_e32 v17 /*v273*/, v9, v11
	s_set_vgpr_msb 0                        ;  msbs: dst=0 src0=0 src1=0 src2=0
	v_dual_mul_f32 v9, v129, v133 :: v_dual_mul_f32 v11, v131, v135
	s_delay_alu instid0(VALU_DEP_1) | instskip(NEXT) | instid1(VALU_DEP_1)
	v_dual_fma_f32 v9, v128, v132, -v9 :: v_dual_fma_f32 v11, v130, v134, -v11
	v_add_f32_e32 v9, 0, v9
	s_delay_alu instid0(VALU_DEP_1) | instskip(SKIP_1) | instid1(VALU_DEP_1)
	v_add_f32_e32 v9, v9, v11
	v_mul_f32_e32 v11, v137, v141
	v_fma_f32 v11, v136, v140, -v11
	s_delay_alu instid0(VALU_DEP_1) | instskip(SKIP_1) | instid1(VALU_DEP_1)
	v_add_f32_e32 v9, v9, v11
	v_mul_f32_e32 v11, v139, v143
	v_fma_f32 v11, v138, v142, -v11
	ds_load_2addr_b64 v[128:131], v7 offset0:119 offset1:120
	ds_load_2addr_b64 v[132:135], v7 offset0:121 offset1:122
	;; [unrolled: 1-line block ×4, first 2 shown]
	v_add_f32_e32 v9, v9, v11
	v_mul_f32_e32 v11, v145, v149
	s_delay_alu instid0(VALU_DEP_1) | instskip(NEXT) | instid1(VALU_DEP_1)
	v_fma_f32 v11, v144, v148, -v11
	v_add_f32_e32 v9, v9, v11
	v_mul_f32_e32 v11, v147, v151
	s_delay_alu instid0(VALU_DEP_1)
	v_fma_f32 v11, v146, v150, -v11
	s_wait_loadcnt_dscnt 0x303
	s_set_vgpr_msb 4                        ;  msbs: dst=0 src0=0 src1=1 src2=0
	v_pk_mul_f32 v[146:147], v[128:129], v[0:1] /*v[256:257]*/ op_sel:[1,1] op_sel_hi:[0,1]
	s_set_vgpr_msb 0                        ;  msbs: dst=0 src0=0 src1=0 src2=0
	v_add_f32_e32 v9, v9, v11
	v_mul_f32_e32 v11, v153, v157
	s_set_vgpr_msb 4                        ;  msbs: dst=0 src0=0 src1=1 src2=0
	v_pk_fma_f32 v[148:149], v[128:129], v[0:1] /*v[256:257]*/, v[146:147] neg_lo:[0,0,1] neg_hi:[0,0,1]
	v_pk_fma_f32 v[128:129], v[128:129], v[0:1] /*v[256:257]*/, v[146:147] op_sel_hi:[1,0,1]
	s_set_vgpr_msb 1                        ;  msbs: dst=0 src0=1 src1=0 src2=0
	v_mov_b32_e32 v146, v3 /*v259*/
	s_set_vgpr_msb 0                        ;  msbs: dst=0 src0=0 src1=0 src2=0
	s_delay_alu instid0(VALU_DEP_2) | instskip(NEXT) | instid1(VALU_DEP_1)
	v_dual_fma_f32 v11, v152, v156, -v11 :: v_dual_mov_b32 v149, v129
	v_add_f32_e32 v9, v9, v11
	v_mul_f32_e32 v11, v155, v159
	s_delay_alu instid0(VALU_DEP_1) | instskip(NEXT) | instid1(VALU_DEP_1)
	v_fma_f32 v11, v154, v158, -v11
	v_add_f32_e32 v9, v9, v11
	v_mul_f32_e32 v11, v161, v165
	s_delay_alu instid0(VALU_DEP_1) | instskip(NEXT) | instid1(VALU_DEP_1)
	v_fma_f32 v11, v160, v164, -v11
	;; [unrolled: 4-line block ×22, first 2 shown]
	v_add_f32_e32 v9, v9, v11
	v_mul_f32_e32 v11, v243, v247
	s_delay_alu instid0(VALU_DEP_1) | instskip(SKIP_1) | instid1(VALU_DEP_1)
	v_fma_f32 v11, v242, v246, -v11
	s_set_vgpr_msb 64                       ;  msbs: dst=1 src0=0 src1=0 src2=0
	v_dual_fmac_f32 v21 /*v277*/, v251, v254 :: v_dual_add_f32 v16 /*v272*/, v9, v11
	s_set_vgpr_msb 0                        ;  msbs: dst=0 src0=0 src1=0 src2=0
	v_mul_f32_e32 v9, v249, v253
	s_set_vgpr_msb 64                       ;  msbs: dst=1 src0=0 src1=0 src2=0
	s_delay_alu instid0(VALU_DEP_1) | instskip(SKIP_3) | instid1(VALU_DEP_1)
	v_fma_f32 v18 /*v274*/, v248, v252, -v9
	s_set_vgpr_msb 0                        ;  msbs: dst=0 src0=0 src1=0 src2=0
	v_mul_f32_e32 v9, v251, v255
	s_set_vgpr_msb 64                       ;  msbs: dst=1 src0=0 src1=0 src2=0
	v_fma_f32 v20 /*v276*/, v250, v254, -v9
	s_set_vgpr_msb 5                        ;  msbs: dst=0 src0=1 src1=1 src2=0
	v_pk_add_f32 v[144:145], v[16:17] /*v[272:273]*/, v[18:19] /*v[274:275]*/
	s_set_vgpr_msb 4                        ;  msbs: dst=0 src0=0 src1=1 src2=0
	s_delay_alu instid0(VALU_DEP_1) | instskip(SKIP_1) | instid1(VALU_DEP_1)
	v_pk_add_f32 v[144:145], v[144:145], v[20:21] /*v[276:277]*/
	s_set_vgpr_msb 0                        ;  msbs: dst=0 src0=0 src1=0 src2=0
	v_pk_add_f32 v[128:129], v[144:145], v[148:149]
	v_dual_mov_b32 v144, v131 :: v_dual_mov_b32 v145, v130
	s_delay_alu instid0(VALU_DEP_1) | instskip(SKIP_1) | instid1(VALU_DEP_1)
	v_pk_mul_f32 v[144:145], v[144:145], v[146:147] op_sel_hi:[1,0]
	s_set_vgpr_msb 4                        ;  msbs: dst=0 src0=0 src1=1 src2=0
	v_pk_fma_f32 v[146:147], v[130:131], v[2:3] /*v[258:259]*/, v[144:145] neg_lo:[0,0,1] neg_hi:[0,0,1]
	v_pk_fma_f32 v[130:131], v[130:131], v[2:3] /*v[258:259]*/, v[144:145] op_sel_hi:[1,0,1]
	s_delay_alu instid0(VALU_DEP_1) | instskip(SKIP_3) | instid1(VALU_DEP_2)
	v_mov_b32_e32 v147, v131
	s_wait_loadcnt_dscnt 0x202
	v_pk_mul_f32 v[130:131], v[132:133], v[4:5] /*v[260:261]*/ op_sel:[1,1] op_sel_hi:[0,1]
	s_set_vgpr_msb 0                        ;  msbs: dst=0 src0=0 src1=0 src2=0
	v_pk_add_f32 v[128:129], v[128:129], v[146:147]
	s_set_vgpr_msb 4                        ;  msbs: dst=0 src0=0 src1=1 src2=0
	s_delay_alu instid0(VALU_DEP_2)
	v_pk_fma_f32 v[144:145], v[132:133], v[4:5] /*v[260:261]*/, v[130:131] neg_lo:[0,0,1] neg_hi:[0,0,1]
	v_pk_fma_f32 v[130:131], v[132:133], v[4:5] /*v[260:261]*/, v[130:131] op_sel_hi:[1,0,1]
	v_mov_b32_e32 v130, v135
	s_set_vgpr_msb 1                        ;  msbs: dst=0 src0=1 src1=0 src2=0
	v_mov_b32_e32 v132, v7 /*v263*/
	s_set_vgpr_msb 0                        ;  msbs: dst=0 src0=0 src1=0 src2=0
	v_dual_mov_b32 v145, v131 :: v_dual_mov_b32 v131, v134
	s_delay_alu instid0(VALU_DEP_1) | instskip(NEXT) | instid1(VALU_DEP_2)
	v_pk_add_f32 v[128:129], v[128:129], v[144:145]
	v_pk_mul_f32 v[130:131], v[130:131], v[132:133] op_sel_hi:[1,0]
	s_set_vgpr_msb 4                        ;  msbs: dst=0 src0=0 src1=1 src2=0
	s_delay_alu instid0(VALU_DEP_1) | instskip(SKIP_1) | instid1(VALU_DEP_1)
	v_pk_fma_f32 v[132:133], v[134:135], v[6:7] /*v[262:263]*/, v[130:131] neg_lo:[0,0,1] neg_hi:[0,0,1]
	v_pk_fma_f32 v[130:131], v[134:135], v[6:7] /*v[262:263]*/, v[130:131] op_sel_hi:[1,0,1]
	v_mov_b32_e32 v133, v131
	s_wait_loadcnt_dscnt 0x101
	v_pk_mul_f32 v[130:131], v[136:137], v[8:9] /*v[264:265]*/ op_sel:[1,1] op_sel_hi:[0,1]
	s_set_vgpr_msb 0                        ;  msbs: dst=0 src0=0 src1=0 src2=0
	s_delay_alu instid0(VALU_DEP_2) | instskip(SKIP_1) | instid1(VALU_DEP_2)
	v_pk_add_f32 v[128:129], v[128:129], v[132:133]
	s_set_vgpr_msb 4                        ;  msbs: dst=0 src0=0 src1=1 src2=0
	v_pk_fma_f32 v[132:133], v[136:137], v[8:9] /*v[264:265]*/, v[130:131] neg_lo:[0,0,1] neg_hi:[0,0,1]
	v_pk_fma_f32 v[130:131], v[136:137], v[8:9] /*v[264:265]*/, v[130:131] op_sel_hi:[1,0,1]
	s_delay_alu instid0(VALU_DEP_1) | instskip(SKIP_2) | instid1(VALU_DEP_2)
	v_dual_mov_b32 v130, v139 :: v_dual_mov_b32 v133, v131
	v_mov_b32_e32 v131, v138
	s_set_vgpr_msb 0                        ;  msbs: dst=0 src0=0 src1=0 src2=0
	v_pk_add_f32 v[128:129], v[128:129], v[132:133]
	s_set_vgpr_msb 1                        ;  msbs: dst=0 src0=1 src1=0 src2=0
	v_mov_b32_e32 v132, v11 /*v267*/
	s_set_vgpr_msb 0                        ;  msbs: dst=0 src0=0 src1=0 src2=0
	s_delay_alu instid0(VALU_DEP_1) | instskip(SKIP_1) | instid1(VALU_DEP_1)
	v_pk_mul_f32 v[130:131], v[130:131], v[132:133] op_sel_hi:[1,0]
	s_set_vgpr_msb 4                        ;  msbs: dst=0 src0=0 src1=1 src2=0
	v_pk_fma_f32 v[132:133], v[138:139], v[10:11] /*v[266:267]*/, v[130:131] neg_lo:[0,0,1] neg_hi:[0,0,1]
	v_pk_fma_f32 v[130:131], v[138:139], v[10:11] /*v[266:267]*/, v[130:131] op_sel_hi:[1,0,1]
	s_delay_alu instid0(VALU_DEP_1) | instskip(SKIP_3) | instid1(VALU_DEP_2)
	v_mov_b32_e32 v133, v131
	s_wait_loadcnt_dscnt 0x0
	v_pk_mul_f32 v[130:131], v[140:141], v[12:13] /*v[268:269]*/ op_sel:[1,1] op_sel_hi:[0,1]
	s_set_vgpr_msb 0                        ;  msbs: dst=0 src0=0 src1=0 src2=0
	v_pk_add_f32 v[128:129], v[128:129], v[132:133]
	s_set_vgpr_msb 4                        ;  msbs: dst=0 src0=0 src1=1 src2=0
	s_delay_alu instid0(VALU_DEP_2) | instskip(SKIP_1) | instid1(VALU_DEP_1)
	v_pk_fma_f32 v[132:133], v[140:141], v[12:13] /*v[268:269]*/, v[130:131] neg_lo:[0,0,1] neg_hi:[0,0,1]
	v_pk_fma_f32 v[130:131], v[140:141], v[12:13] /*v[268:269]*/, v[130:131] op_sel_hi:[1,0,1]
	v_dual_mov_b32 v130, v143 :: v_dual_mov_b32 v133, v131
	v_mov_b32_e32 v131, v142
	s_set_vgpr_msb 0                        ;  msbs: dst=0 src0=0 src1=0 src2=0
	s_delay_alu instid0(VALU_DEP_2) | instskip(SKIP_3) | instid1(VALU_DEP_1)
	v_pk_add_f32 v[128:129], v[128:129], v[132:133]
	s_set_vgpr_msb 1                        ;  msbs: dst=0 src0=1 src1=0 src2=0
	v_mov_b32_e32 v132, v15 /*v271*/
	s_set_vgpr_msb 0                        ;  msbs: dst=0 src0=0 src1=0 src2=0
	v_pk_mul_f32 v[130:131], v[130:131], v[132:133] op_sel_hi:[1,0]
	s_set_vgpr_msb 4                        ;  msbs: dst=0 src0=0 src1=1 src2=0
	s_delay_alu instid0(VALU_DEP_1) | instskip(SKIP_1) | instid1(VALU_DEP_1)
	v_pk_fma_f32 v[132:133], v[142:143], v[14:15] /*v[270:271]*/, v[130:131] neg_lo:[0,0,1] neg_hi:[0,0,1]
	v_pk_fma_f32 v[130:131], v[142:143], v[14:15] /*v[270:271]*/, v[130:131] op_sel_hi:[1,0,1]
	v_mov_b32_e32 v133, v131
	scratch_load_b64 v[130:131], off, off offset:176
	s_set_vgpr_msb 0                        ;  msbs: dst=0 src0=0 src1=0 src2=0
	v_pk_add_f32 v[128:129], v[128:129], v[132:133]
	s_wait_loadcnt 0x0
	s_delay_alu instid0(VALU_DEP_1)
	v_pk_add_f32 v[128:129], v[130:131], v[128:129] neg_lo:[0,1] neg_hi:[0,1]
	scratch_store_b64 off, v[128:129], off offset:176
	s_wait_xcnt 0x0
	v_cmpx_lt_u32_e32 21, v0
	s_cbranch_execz .LBB126_349
; %bb.348:
	scratch_load_b64 v[128:129], off, off offset:168
	v_mov_b64_e32 v[130:131], 0
	scratch_store_b64 off, v[130:131], off offset:168
	s_wait_loadcnt 0x0
	ds_store_b64 v1, v[128:129]
.LBB126_349:
	s_wait_xcnt 0x0
	s_or_b32 exec_lo, exec_lo, s0
	v_mov_b32_e32 v7, 0
	s_wait_storecnt_dscnt 0x0
	s_barrier_signal -1
	s_barrier_wait -1
	ds_load_b128 v[128:131], v7 offset:688
	ds_load_b128 v[132:135], v7 offset:704
	;; [unrolled: 1-line block ×4, first 2 shown]
	s_clause 0x11
	scratch_load_b128 v[144:147], off, off offset:176
	scratch_load_b128 v[148:151], off, off offset:192
	;; [unrolled: 1-line block ×16, first 2 shown]
	s_set_vgpr_msb 64                       ;  msbs: dst=1 src0=0 src1=0 src2=0
	scratch_load_b128 v[4:7] /*v[260:263]*/, off, off offset:432
	s_mov_b32 s0, exec_lo
	s_wait_loadcnt_dscnt 0x1003
	s_set_vgpr_msb 0                        ;  msbs: dst=0 src0=0 src1=0 src2=0
	v_mul_f32_e32 v9, v128, v145
	ds_load_b128 v[240:243], v7 offset:912
	ds_load_b128 v[248:251], v7 offset:928
	;; [unrolled: 1-line block ×4, first 2 shown]
	v_dual_fmac_f32 v9, v129, v144 :: v_dual_mul_f32 v11, v130, v147
	ds_load_b128 v[176:179], v7 offset:784
	ds_load_b128 v[184:187], v7 offset:800
	;; [unrolled: 1-line block ×4, first 2 shown]
	v_dual_add_f32 v9, 0, v9 :: v_dual_fmac_f32 v11, v131, v146
	ds_load_b128 v[208:211], v7 offset:848
	ds_load_b128 v[216:219], v7 offset:864
	;; [unrolled: 1-line block ×4, first 2 shown]
	s_wait_loadcnt_dscnt 0xf0e
	v_dual_add_f32 v9, v9, v11 :: v_dual_mul_f32 v11, v132, v149
	s_set_vgpr_msb 64                       ;  msbs: dst=1 src0=0 src1=0 src2=0
	ds_load_b128 v[0:3] /*v[256:259]*/, v7 offset:944
	s_clause 0x3
	scratch_load_b128 v[8:11] /*v[264:267]*/, off, off offset:448
	scratch_load_b128 v[12:15] /*v[268:271]*/, off, off offset:464
	;; [unrolled: 1-line block ×3, first 2 shown]
	scratch_load_b64 v[26:27] /*v[282:283]*/, off, off offset:496
	s_wait_loadcnt_dscnt 0x50b
	v_mul_f32_e32 v23 /*v279*/, v250, v255
	s_set_vgpr_msb 0                        ;  msbs: dst=0 src0=0 src1=0 src2=0
	v_fmac_f32_e32 v11, v133, v148
	s_delay_alu instid0(VALU_DEP_1) | instskip(SKIP_1) | instid1(VALU_DEP_1)
	v_add_f32_e32 v9, v9, v11
	v_mul_f32_e32 v11, v134, v151
	v_fmac_f32_e32 v11, v135, v150
	s_delay_alu instid0(VALU_DEP_1) | instskip(NEXT) | instid1(VALU_DEP_1)
	v_dual_add_f32 v9, v9, v11 :: v_dual_mul_f32 v11, v136, v153
	v_fmac_f32_e32 v11, v137, v152
	s_delay_alu instid0(VALU_DEP_1) | instskip(SKIP_1) | instid1(VALU_DEP_1)
	v_add_f32_e32 v9, v9, v11
	v_mul_f32_e32 v11, v138, v155
	v_fmac_f32_e32 v11, v139, v154
	s_delay_alu instid0(VALU_DEP_1) | instskip(NEXT) | instid1(VALU_DEP_1)
	v_dual_add_f32 v9, v9, v11 :: v_dual_mul_f32 v11, v140, v157
	v_fmac_f32_e32 v11, v141, v156
	s_delay_alu instid0(VALU_DEP_1) | instskip(SKIP_1) | instid1(VALU_DEP_1)
	v_add_f32_e32 v9, v9, v11
	v_mul_f32_e32 v11, v142, v159
	v_fmac_f32_e32 v11, v143, v158
	s_wait_dscnt 0xa
	s_delay_alu instid0(VALU_DEP_1) | instskip(NEXT) | instid1(VALU_DEP_1)
	v_dual_add_f32 v9, v9, v11 :: v_dual_mul_f32 v11, v160, v165
	v_fmac_f32_e32 v11, v161, v164
	s_delay_alu instid0(VALU_DEP_1) | instskip(SKIP_1) | instid1(VALU_DEP_1)
	v_add_f32_e32 v9, v9, v11
	v_mul_f32_e32 v11, v162, v167
	v_fmac_f32_e32 v11, v163, v166
	s_wait_dscnt 0x9
	;; [unrolled: 8-line block ×10, first 2 shown]
	s_delay_alu instid0(VALU_DEP_1) | instskip(NEXT) | instid1(VALU_DEP_1)
	v_dual_add_f32 v9, v9, v11 :: v_dual_mul_f32 v11, v232, v237
	v_fmac_f32_e32 v11, v233, v236
	s_delay_alu instid0(VALU_DEP_1) | instskip(SKIP_1) | instid1(VALU_DEP_1)
	v_add_f32_e32 v9, v9, v11
	v_mul_f32_e32 v11, v234, v239
	v_fmac_f32_e32 v11, v235, v238
	s_delay_alu instid0(VALU_DEP_1) | instskip(NEXT) | instid1(VALU_DEP_1)
	v_dual_add_f32 v9, v9, v11 :: v_dual_mul_f32 v11, v240, v245
	v_fmac_f32_e32 v11, v241, v244
	s_delay_alu instid0(VALU_DEP_1) | instskip(SKIP_1) | instid1(VALU_DEP_1)
	v_add_f32_e32 v9, v9, v11
	v_mul_f32_e32 v11, v242, v247
	v_fmac_f32_e32 v11, v243, v246
	s_delay_alu instid0(VALU_DEP_1) | instskip(NEXT) | instid1(VALU_DEP_1)
	v_dual_add_f32 v9, v9, v11 :: v_dual_mul_f32 v11, v248, v253
	v_fmac_f32_e32 v11, v249, v252
	s_set_vgpr_msb 64                       ;  msbs: dst=1 src0=0 src1=0 src2=0
	s_delay_alu instid0(VALU_DEP_1)
	v_add_f32_e32 v21 /*v277*/, v9, v11
	s_set_vgpr_msb 0                        ;  msbs: dst=0 src0=0 src1=0 src2=0
	v_dual_mul_f32 v9, v129, v145 :: v_dual_mul_f32 v11, v131, v147
	s_wait_dscnt 0x0
	s_set_vgpr_msb 1                        ;  msbs: dst=0 src0=1 src1=0 src2=0
	v_mov_b32_e32 v145, v2 /*v258*/
	s_set_vgpr_msb 0                        ;  msbs: dst=0 src0=0 src1=0 src2=0
	v_dual_fma_f32 v9, v128, v144, -v9 :: v_dual_fma_f32 v11, v130, v146, -v11
	s_wait_loadcnt 0x4
	s_set_vgpr_msb 1                        ;  msbs: dst=0 src0=1 src1=0 src2=0
	v_dual_mov_b32 v146, v7 /*v263*/ :: v_dual_mov_b32 v144, v3 /*v259*/
	s_delay_alu instid0(VALU_DEP_2) | instskip(SKIP_1) | instid1(VALU_DEP_2)
	v_add_f32_e32 v9, 0, v9
	s_set_vgpr_msb 0                        ;  msbs: dst=0 src0=0 src1=0 src2=0
	v_pk_mul_f32 v[144:145], v[144:145], v[146:147] op_sel_hi:[1,0]
	s_delay_alu instid0(VALU_DEP_2) | instskip(SKIP_2) | instid1(VALU_DEP_3)
	v_add_f32_e32 v9, v9, v11
	v_mul_f32_e32 v11, v133, v149
	s_set_vgpr_msb 5                        ;  msbs: dst=0 src0=1 src1=1 src2=0
	v_pk_fma_f32 v[146:147], v[2:3] /*v[258:259]*/, v[6:7] /*v[262:263]*/, v[144:145] neg_lo:[0,0,1] neg_hi:[0,0,1]
	v_pk_fma_f32 v[144:145], v[2:3] /*v[258:259]*/, v[6:7] /*v[262:263]*/, v[144:145] op_sel_hi:[1,0,1]
	s_set_vgpr_msb 0                        ;  msbs: dst=0 src0=0 src1=0 src2=0
	s_delay_alu instid0(VALU_DEP_1) | instskip(NEXT) | instid1(VALU_DEP_1)
	v_dual_fma_f32 v11, v132, v148, -v11 :: v_dual_mov_b32 v147, v145
	v_add_f32_e32 v9, v9, v11
	v_mul_f32_e32 v11, v135, v151
	s_delay_alu instid0(VALU_DEP_1) | instskip(NEXT) | instid1(VALU_DEP_1)
	v_fma_f32 v11, v134, v150, -v11
	v_add_f32_e32 v9, v9, v11
	v_mul_f32_e32 v11, v137, v153
	s_delay_alu instid0(VALU_DEP_1) | instskip(NEXT) | instid1(VALU_DEP_1)
	v_fma_f32 v11, v136, v152, -v11
	;; [unrolled: 4-line block ×3, first 2 shown]
	v_add_f32_e32 v9, v9, v11
	v_mul_f32_e32 v11, v141, v157
	s_delay_alu instid0(VALU_DEP_1)
	v_fma_f32 v11, v140, v156, -v11
	ds_load_b128 v[128:131], v7 offset:960
	ds_load_b128 v[132:135], v7 offset:976
	;; [unrolled: 1-line block ×3, first 2 shown]
	ds_load_b64 v[140:141], v7 offset:1008
	v_add_f32_e32 v9, v9, v11
	v_mul_f32_e32 v11, v143, v159
	s_delay_alu instid0(VALU_DEP_1) | instskip(NEXT) | instid1(VALU_DEP_1)
	v_fma_f32 v11, v142, v158, -v11
	v_add_f32_e32 v9, v9, v11
	v_mul_f32_e32 v11, v161, v165
	s_wait_loadcnt_dscnt 0x303
	s_set_vgpr_msb 4                        ;  msbs: dst=0 src0=0 src1=1 src2=0
	v_pk_mul_f32 v[144:145], v[128:129], v[8:9] /*v[264:265]*/ op_sel:[1,1] op_sel_hi:[0,1]
	s_set_vgpr_msb 0                        ;  msbs: dst=0 src0=0 src1=0 src2=0
	v_fma_f32 v11, v160, v164, -v11
	s_delay_alu instid0(VALU_DEP_1) | instskip(SKIP_1) | instid1(VALU_DEP_1)
	v_add_f32_e32 v9, v9, v11
	v_mul_f32_e32 v11, v163, v167
	v_fma_f32 v11, v162, v166, -v11
	s_delay_alu instid0(VALU_DEP_1) | instskip(SKIP_1) | instid1(VALU_DEP_1)
	v_add_f32_e32 v9, v9, v11
	v_mul_f32_e32 v11, v169, v173
	;; [unrolled: 4-line block ×22, first 2 shown]
	v_fma_f32 v11, v248, v252, -v11
	s_set_vgpr_msb 64                       ;  msbs: dst=1 src0=0 src1=0 src2=0
	s_delay_alu instid0(VALU_DEP_1) | instskip(SKIP_3) | instid1(VALU_DEP_1)
	v_add_f32_e32 v20 /*v276*/, v9, v11
	s_set_vgpr_msb 0                        ;  msbs: dst=0 src0=0 src1=0 src2=0
	v_mul_f32_e32 v9, v251, v255
	s_set_vgpr_msb 64                       ;  msbs: dst=1 src0=0 src1=0 src2=0
	v_fma_f32 v22 /*v278*/, v250, v254, -v9
	s_set_vgpr_msb 5                        ;  msbs: dst=0 src0=1 src1=1 src2=0
	v_mul_f32_e32 v9, v1 /*v257*/, v5 /*v261*/
	s_set_vgpr_msb 64                       ;  msbs: dst=1 src0=0 src1=0 src2=0
	v_fmac_f32_e32 v23 /*v279*/, v251, v254
	s_set_vgpr_msb 0x45                     ;  msbs: dst=1 src0=1 src1=1 src2=0
	s_delay_alu instid0(VALU_DEP_2) | instskip(SKIP_1) | instid1(VALU_DEP_2)
	v_dual_mul_f32 v25 /*v281*/, v0 /*v256*/, v5 /*v261*/ :: v_dual_fma_f32 v24 /*v280*/, v0 /*v256*/, v4 /*v260*/, -v9
	s_set_vgpr_msb 5                        ;  msbs: dst=0 src0=1 src1=1 src2=0
	v_pk_add_f32 v[142:143], v[20:21] /*v[276:277]*/, v[22:23] /*v[278:279]*/
	s_set_vgpr_msb 0x45                     ;  msbs: dst=1 src0=1 src1=1 src2=0
	s_delay_alu instid0(VALU_DEP_2) | instskip(SKIP_1) | instid1(VALU_DEP_1)
	v_fmac_f32_e32 v25 /*v281*/, v1 /*v257*/, v4 /*v260*/
	s_set_vgpr_msb 4                        ;  msbs: dst=0 src0=0 src1=1 src2=0
	v_pk_add_f32 v[142:143], v[142:143], v[24:25] /*v[280:281]*/
	s_set_vgpr_msb 0                        ;  msbs: dst=0 src0=0 src1=0 src2=0
	s_delay_alu instid0(VALU_DEP_1)
	v_pk_add_f32 v[142:143], v[142:143], v[146:147]
	s_set_vgpr_msb 4                        ;  msbs: dst=0 src0=0 src1=1 src2=0
	v_pk_fma_f32 v[146:147], v[128:129], v[8:9] /*v[264:265]*/, v[144:145] neg_lo:[0,0,1] neg_hi:[0,0,1]
	v_pk_fma_f32 v[128:129], v[128:129], v[8:9] /*v[264:265]*/, v[144:145] op_sel_hi:[1,0,1]
	s_set_vgpr_msb 1                        ;  msbs: dst=0 src0=1 src1=0 src2=0
	v_mov_b32_e32 v144, v11 /*v267*/
	s_set_vgpr_msb 0                        ;  msbs: dst=0 src0=0 src1=0 src2=0
	s_delay_alu instid0(VALU_DEP_2) | instskip(NEXT) | instid1(VALU_DEP_1)
	v_mov_b32_e32 v147, v129
	v_pk_add_f32 v[128:129], v[142:143], v[146:147]
	v_dual_mov_b32 v142, v131 :: v_dual_mov_b32 v143, v130
	s_delay_alu instid0(VALU_DEP_1) | instskip(SKIP_1) | instid1(VALU_DEP_1)
	v_pk_mul_f32 v[142:143], v[142:143], v[144:145] op_sel_hi:[1,0]
	s_set_vgpr_msb 4                        ;  msbs: dst=0 src0=0 src1=1 src2=0
	v_pk_fma_f32 v[144:145], v[130:131], v[10:11] /*v[266:267]*/, v[142:143] neg_lo:[0,0,1] neg_hi:[0,0,1]
	v_pk_fma_f32 v[130:131], v[130:131], v[10:11] /*v[266:267]*/, v[142:143] op_sel_hi:[1,0,1]
	s_delay_alu instid0(VALU_DEP_1) | instskip(SKIP_3) | instid1(VALU_DEP_2)
	v_mov_b32_e32 v145, v131
	s_wait_loadcnt_dscnt 0x202
	v_pk_mul_f32 v[130:131], v[132:133], v[12:13] /*v[268:269]*/ op_sel:[1,1] op_sel_hi:[0,1]
	s_set_vgpr_msb 0                        ;  msbs: dst=0 src0=0 src1=0 src2=0
	v_pk_add_f32 v[128:129], v[128:129], v[144:145]
	s_set_vgpr_msb 4                        ;  msbs: dst=0 src0=0 src1=1 src2=0
	s_delay_alu instid0(VALU_DEP_2)
	v_pk_fma_f32 v[142:143], v[132:133], v[12:13] /*v[268:269]*/, v[130:131] neg_lo:[0,0,1] neg_hi:[0,0,1]
	v_pk_fma_f32 v[130:131], v[132:133], v[12:13] /*v[268:269]*/, v[130:131] op_sel_hi:[1,0,1]
	v_mov_b32_e32 v130, v135
	s_set_vgpr_msb 1                        ;  msbs: dst=0 src0=1 src1=0 src2=0
	v_mov_b32_e32 v132, v15 /*v271*/
	s_set_vgpr_msb 0                        ;  msbs: dst=0 src0=0 src1=0 src2=0
	v_dual_mov_b32 v143, v131 :: v_dual_mov_b32 v131, v134
	s_delay_alu instid0(VALU_DEP_1) | instskip(NEXT) | instid1(VALU_DEP_2)
	v_pk_add_f32 v[128:129], v[128:129], v[142:143]
	v_pk_mul_f32 v[130:131], v[130:131], v[132:133] op_sel_hi:[1,0]
	s_set_vgpr_msb 4                        ;  msbs: dst=0 src0=0 src1=1 src2=0
	s_delay_alu instid0(VALU_DEP_1) | instskip(SKIP_1) | instid1(VALU_DEP_1)
	v_pk_fma_f32 v[132:133], v[134:135], v[14:15] /*v[270:271]*/, v[130:131] neg_lo:[0,0,1] neg_hi:[0,0,1]
	v_pk_fma_f32 v[130:131], v[134:135], v[14:15] /*v[270:271]*/, v[130:131] op_sel_hi:[1,0,1]
	v_mov_b32_e32 v133, v131
	s_wait_loadcnt_dscnt 0x101
	v_pk_mul_f32 v[130:131], v[136:137], v[16:17] /*v[272:273]*/ op_sel:[1,1] op_sel_hi:[0,1]
	s_set_vgpr_msb 0                        ;  msbs: dst=0 src0=0 src1=0 src2=0
	s_delay_alu instid0(VALU_DEP_2) | instskip(SKIP_1) | instid1(VALU_DEP_2)
	v_pk_add_f32 v[128:129], v[128:129], v[132:133]
	s_set_vgpr_msb 4                        ;  msbs: dst=0 src0=0 src1=1 src2=0
	v_pk_fma_f32 v[132:133], v[136:137], v[16:17] /*v[272:273]*/, v[130:131] neg_lo:[0,0,1] neg_hi:[0,0,1]
	v_pk_fma_f32 v[130:131], v[136:137], v[16:17] /*v[272:273]*/, v[130:131] op_sel_hi:[1,0,1]
	s_delay_alu instid0(VALU_DEP_1) | instskip(SKIP_2) | instid1(VALU_DEP_2)
	v_dual_mov_b32 v130, v139 :: v_dual_mov_b32 v133, v131
	v_mov_b32_e32 v131, v138
	s_set_vgpr_msb 0                        ;  msbs: dst=0 src0=0 src1=0 src2=0
	v_pk_add_f32 v[128:129], v[128:129], v[132:133]
	s_set_vgpr_msb 1                        ;  msbs: dst=0 src0=1 src1=0 src2=0
	v_mov_b32_e32 v132, v19 /*v275*/
	s_set_vgpr_msb 0                        ;  msbs: dst=0 src0=0 src1=0 src2=0
	s_delay_alu instid0(VALU_DEP_1) | instskip(SKIP_1) | instid1(VALU_DEP_1)
	v_pk_mul_f32 v[130:131], v[130:131], v[132:133] op_sel_hi:[1,0]
	s_set_vgpr_msb 4                        ;  msbs: dst=0 src0=0 src1=1 src2=0
	v_pk_fma_f32 v[132:133], v[138:139], v[18:19] /*v[274:275]*/, v[130:131] neg_lo:[0,0,1] neg_hi:[0,0,1]
	v_pk_fma_f32 v[130:131], v[138:139], v[18:19] /*v[274:275]*/, v[130:131] op_sel_hi:[1,0,1]
	s_delay_alu instid0(VALU_DEP_1) | instskip(SKIP_3) | instid1(VALU_DEP_2)
	v_mov_b32_e32 v133, v131
	s_wait_loadcnt_dscnt 0x0
	v_pk_mul_f32 v[130:131], v[140:141], v[26:27] /*v[282:283]*/ op_sel:[1,1] op_sel_hi:[0,1]
	s_set_vgpr_msb 0                        ;  msbs: dst=0 src0=0 src1=0 src2=0
	v_pk_add_f32 v[128:129], v[128:129], v[132:133]
	s_set_vgpr_msb 4                        ;  msbs: dst=0 src0=0 src1=1 src2=0
	s_delay_alu instid0(VALU_DEP_2) | instskip(SKIP_1) | instid1(VALU_DEP_1)
	v_pk_fma_f32 v[132:133], v[140:141], v[26:27] /*v[282:283]*/, v[130:131] neg_lo:[0,0,1] neg_hi:[0,0,1]
	v_pk_fma_f32 v[130:131], v[140:141], v[26:27] /*v[282:283]*/, v[130:131] op_sel_hi:[1,0,1]
	v_mov_b32_e32 v133, v131
	scratch_load_b64 v[130:131], off, off offset:168
	s_set_vgpr_msb 0                        ;  msbs: dst=0 src0=0 src1=0 src2=0
	v_pk_add_f32 v[128:129], v[128:129], v[132:133]
	s_wait_loadcnt 0x0
	s_delay_alu instid0(VALU_DEP_1)
	v_pk_add_f32 v[128:129], v[130:131], v[128:129] neg_lo:[0,1] neg_hi:[0,1]
	scratch_store_b64 off, v[128:129], off offset:168
	s_wait_xcnt 0x0
	v_cmpx_lt_u32_e32 20, v0
	s_cbranch_execz .LBB126_351
; %bb.350:
	scratch_load_b64 v[128:129], off, off offset:160
	v_mov_b64_e32 v[130:131], 0
	scratch_store_b64 off, v[130:131], off offset:160
	s_wait_loadcnt 0x0
	ds_store_b64 v1, v[128:129]
.LBB126_351:
	s_wait_xcnt 0x0
	s_or_b32 exec_lo, exec_lo, s0
	s_wait_storecnt_dscnt 0x0
	s_barrier_signal -1
	s_barrier_wait -1
	s_clause 0xf
	scratch_load_b128 v[132:135], off, off offset:168
	scratch_load_b128 v[140:143], off, off offset:184
	;; [unrolled: 1-line block ×16, first 2 shown]
	ds_load_2addr_b64 v[128:131], v7 offset0:85 offset1:86
	ds_load_2addr_b64 v[136:139], v7 offset0:87 offset1:88
	;; [unrolled: 1-line block ×16, first 2 shown]
	s_set_vgpr_msb 64                       ;  msbs: dst=1 src0=0 src1=0 src2=0
	scratch_load_b128 v[4:7] /*v[260:263]*/, off, off offset:424
	ds_load_2addr_b64 v[0:3] /*v[256:259]*/, v7 offset0:117 offset1:118
	s_clause 0x3
	scratch_load_b128 v[8:11] /*v[264:267]*/, off, off offset:440
	scratch_load_b128 v[12:15] /*v[268:271]*/, off, off offset:456
	;; [unrolled: 1-line block ×4, first 2 shown]
	s_mov_b32 s0, exec_lo
	s_wait_loadcnt_dscnt 0x1410
	s_set_vgpr_msb 0                        ;  msbs: dst=0 src0=0 src1=0 src2=0
	v_dual_mul_f32 v9, v128, v133 :: v_dual_mul_f32 v11, v130, v135
	s_delay_alu instid0(VALU_DEP_1) | instskip(NEXT) | instid1(VALU_DEP_1)
	v_dual_fmac_f32 v9, v129, v132 :: v_dual_fmac_f32 v11, v131, v134
	v_add_f32_e32 v9, 0, v9
	s_wait_loadcnt_dscnt 0x130f
	s_delay_alu instid0(VALU_DEP_1) | instskip(NEXT) | instid1(VALU_DEP_1)
	v_dual_add_f32 v9, v9, v11 :: v_dual_mul_f32 v11, v136, v141
	v_fmac_f32_e32 v11, v137, v140
	s_delay_alu instid0(VALU_DEP_1) | instskip(SKIP_1) | instid1(VALU_DEP_1)
	v_add_f32_e32 v9, v9, v11
	v_mul_f32_e32 v11, v138, v143
	v_fmac_f32_e32 v11, v139, v142
	s_wait_loadcnt_dscnt 0x400
	s_set_vgpr_msb 0x45                     ;  msbs: dst=1 src0=1 src1=1 src2=0
	v_dual_mul_f32 v27 /*v283*/, v0 /*v256*/, v5 /*v261*/ :: v_dual_mul_f32 v29 /*v285*/, v2 /*v258*/, v7 /*v263*/
	s_set_vgpr_msb 0                        ;  msbs: dst=0 src0=0 src1=0 src2=0
	v_dual_add_f32 v9, v9, v11 :: v_dual_mul_f32 v11, v144, v149
	s_set_vgpr_msb 0x45                     ;  msbs: dst=1 src0=1 src1=1 src2=0
	s_delay_alu instid0(VALU_DEP_2) | instskip(SKIP_1) | instid1(VALU_DEP_2)
	v_dual_fmac_f32 v27 /*v283*/, v1 /*v257*/, v4 /*v260*/ :: v_dual_fmac_f32 v29 /*v285*/, v3 /*v259*/, v6 /*v262*/
	s_set_vgpr_msb 0                        ;  msbs: dst=0 src0=0 src1=0 src2=0
	v_fmac_f32_e32 v11, v145, v148
	s_delay_alu instid0(VALU_DEP_1) | instskip(SKIP_1) | instid1(VALU_DEP_1)
	v_add_f32_e32 v9, v9, v11
	v_mul_f32_e32 v11, v146, v151
	v_fmac_f32_e32 v11, v147, v150
	s_delay_alu instid0(VALU_DEP_1) | instskip(NEXT) | instid1(VALU_DEP_1)
	v_dual_add_f32 v9, v9, v11 :: v_dual_mul_f32 v11, v152, v157
	v_fmac_f32_e32 v11, v153, v156
	s_delay_alu instid0(VALU_DEP_1) | instskip(SKIP_1) | instid1(VALU_DEP_1)
	v_add_f32_e32 v9, v9, v11
	v_mul_f32_e32 v11, v154, v159
	v_fmac_f32_e32 v11, v155, v158
	s_delay_alu instid0(VALU_DEP_1) | instskip(NEXT) | instid1(VALU_DEP_1)
	v_dual_add_f32 v9, v9, v11 :: v_dual_mul_f32 v11, v160, v165
	;; [unrolled: 7-line block ×13, first 2 shown]
	v_fmac_f32_e32 v11, v249, v252
	s_delay_alu instid0(VALU_DEP_1) | instskip(SKIP_1) | instid1(VALU_DEP_1)
	v_add_f32_e32 v9, v9, v11
	v_mul_f32_e32 v11, v250, v255
	v_fmac_f32_e32 v11, v251, v254
	s_set_vgpr_msb 64                       ;  msbs: dst=1 src0=0 src1=0 src2=0
	s_delay_alu instid0(VALU_DEP_1) | instskip(SKIP_2) | instid1(VALU_DEP_1)
	v_add_f32_e32 v25 /*v281*/, v9, v11
	s_set_vgpr_msb 0                        ;  msbs: dst=0 src0=0 src1=0 src2=0
	v_dual_mul_f32 v9, v129, v133 :: v_dual_mul_f32 v11, v131, v135
	v_dual_fma_f32 v9, v128, v132, -v9 :: v_dual_fma_f32 v11, v130, v134, -v11
	s_delay_alu instid0(VALU_DEP_1) | instskip(NEXT) | instid1(VALU_DEP_1)
	v_add_f32_e32 v9, 0, v9
	v_add_f32_e32 v9, v9, v11
	v_mul_f32_e32 v11, v137, v141
	s_delay_alu instid0(VALU_DEP_1) | instskip(NEXT) | instid1(VALU_DEP_1)
	v_fma_f32 v11, v136, v140, -v11
	v_add_f32_e32 v9, v9, v11
	v_mul_f32_e32 v11, v139, v143
	s_delay_alu instid0(VALU_DEP_1)
	v_fma_f32 v11, v138, v142, -v11
	ds_load_2addr_b64 v[128:131], v7 offset0:119 offset1:120
	ds_load_2addr_b64 v[132:135], v7 offset0:121 offset1:122
	;; [unrolled: 1-line block ×4, first 2 shown]
	v_add_f32_e32 v9, v9, v11
	v_mul_f32_e32 v11, v145, v149
	s_delay_alu instid0(VALU_DEP_1) | instskip(NEXT) | instid1(VALU_DEP_1)
	v_fma_f32 v11, v144, v148, -v11
	v_add_f32_e32 v9, v9, v11
	v_mul_f32_e32 v11, v147, v151
	s_delay_alu instid0(VALU_DEP_1)
	v_fma_f32 v11, v146, v150, -v11
	s_wait_loadcnt_dscnt 0x303
	s_set_vgpr_msb 4                        ;  msbs: dst=0 src0=0 src1=1 src2=0
	v_pk_mul_f32 v[146:147], v[128:129], v[8:9] /*v[264:265]*/ op_sel:[1,1] op_sel_hi:[0,1]
	s_set_vgpr_msb 0                        ;  msbs: dst=0 src0=0 src1=0 src2=0
	v_add_f32_e32 v9, v9, v11
	v_mul_f32_e32 v11, v153, v157
	s_set_vgpr_msb 4                        ;  msbs: dst=0 src0=0 src1=1 src2=0
	v_pk_fma_f32 v[148:149], v[128:129], v[8:9] /*v[264:265]*/, v[146:147] neg_lo:[0,0,1] neg_hi:[0,0,1]
	v_pk_fma_f32 v[128:129], v[128:129], v[8:9] /*v[264:265]*/, v[146:147] op_sel_hi:[1,0,1]
	s_set_vgpr_msb 1                        ;  msbs: dst=0 src0=1 src1=0 src2=0
	v_mov_b32_e32 v146, v11 /*v267*/
	s_set_vgpr_msb 0                        ;  msbs: dst=0 src0=0 src1=0 src2=0
	s_delay_alu instid0(VALU_DEP_2) | instskip(NEXT) | instid1(VALU_DEP_1)
	v_dual_fma_f32 v11, v152, v156, -v11 :: v_dual_mov_b32 v149, v129
	v_add_f32_e32 v9, v9, v11
	v_mul_f32_e32 v11, v155, v159
	s_delay_alu instid0(VALU_DEP_1) | instskip(NEXT) | instid1(VALU_DEP_1)
	v_fma_f32 v11, v154, v158, -v11
	v_add_f32_e32 v9, v9, v11
	v_mul_f32_e32 v11, v161, v165
	s_delay_alu instid0(VALU_DEP_1) | instskip(NEXT) | instid1(VALU_DEP_1)
	v_fma_f32 v11, v160, v164, -v11
	;; [unrolled: 4-line block ×24, first 2 shown]
	v_add_f32_e32 v9, v9, v11
	v_mul_f32_e32 v11, v251, v255
	s_delay_alu instid0(VALU_DEP_1) | instskip(SKIP_1) | instid1(VALU_DEP_1)
	v_fma_f32 v11, v250, v254, -v11
	s_set_vgpr_msb 64                       ;  msbs: dst=1 src0=0 src1=0 src2=0
	v_add_f32_e32 v24 /*v280*/, v9, v11
	s_set_vgpr_msb 5                        ;  msbs: dst=0 src0=1 src1=1 src2=0
	v_mul_f32_e32 v9, v1 /*v257*/, v5 /*v261*/
	s_set_vgpr_msb 0x45                     ;  msbs: dst=1 src0=1 src1=1 src2=0
	s_delay_alu instid0(VALU_DEP_1) | instskip(SKIP_3) | instid1(VALU_DEP_1)
	v_fma_f32 v26 /*v282*/, v0 /*v256*/, v4 /*v260*/, -v9
	s_set_vgpr_msb 5                        ;  msbs: dst=0 src0=1 src1=1 src2=0
	v_mul_f32_e32 v9, v3 /*v259*/, v7 /*v263*/
	s_set_vgpr_msb 0x45                     ;  msbs: dst=1 src0=1 src1=1 src2=0
	v_fma_f32 v28 /*v284*/, v2 /*v258*/, v6 /*v262*/, -v9
	s_set_vgpr_msb 5                        ;  msbs: dst=0 src0=1 src1=1 src2=0
	v_pk_add_f32 v[144:145], v[24:25] /*v[280:281]*/, v[26:27] /*v[282:283]*/
	s_set_vgpr_msb 4                        ;  msbs: dst=0 src0=0 src1=1 src2=0
	s_delay_alu instid0(VALU_DEP_1) | instskip(SKIP_1) | instid1(VALU_DEP_1)
	v_pk_add_f32 v[144:145], v[144:145], v[28:29] /*v[284:285]*/
	s_set_vgpr_msb 0                        ;  msbs: dst=0 src0=0 src1=0 src2=0
	v_pk_add_f32 v[128:129], v[144:145], v[148:149]
	v_dual_mov_b32 v144, v131 :: v_dual_mov_b32 v145, v130
	s_delay_alu instid0(VALU_DEP_1) | instskip(SKIP_1) | instid1(VALU_DEP_1)
	v_pk_mul_f32 v[144:145], v[144:145], v[146:147] op_sel_hi:[1,0]
	s_set_vgpr_msb 4                        ;  msbs: dst=0 src0=0 src1=1 src2=0
	v_pk_fma_f32 v[146:147], v[130:131], v[10:11] /*v[266:267]*/, v[144:145] neg_lo:[0,0,1] neg_hi:[0,0,1]
	v_pk_fma_f32 v[130:131], v[130:131], v[10:11] /*v[266:267]*/, v[144:145] op_sel_hi:[1,0,1]
	s_delay_alu instid0(VALU_DEP_1) | instskip(SKIP_3) | instid1(VALU_DEP_2)
	v_mov_b32_e32 v147, v131
	s_wait_loadcnt_dscnt 0x202
	v_pk_mul_f32 v[130:131], v[132:133], v[12:13] /*v[268:269]*/ op_sel:[1,1] op_sel_hi:[0,1]
	s_set_vgpr_msb 0                        ;  msbs: dst=0 src0=0 src1=0 src2=0
	v_pk_add_f32 v[128:129], v[128:129], v[146:147]
	s_set_vgpr_msb 4                        ;  msbs: dst=0 src0=0 src1=1 src2=0
	s_delay_alu instid0(VALU_DEP_2)
	v_pk_fma_f32 v[144:145], v[132:133], v[12:13] /*v[268:269]*/, v[130:131] neg_lo:[0,0,1] neg_hi:[0,0,1]
	v_pk_fma_f32 v[130:131], v[132:133], v[12:13] /*v[268:269]*/, v[130:131] op_sel_hi:[1,0,1]
	v_mov_b32_e32 v130, v135
	s_set_vgpr_msb 1                        ;  msbs: dst=0 src0=1 src1=0 src2=0
	v_mov_b32_e32 v132, v15 /*v271*/
	s_set_vgpr_msb 0                        ;  msbs: dst=0 src0=0 src1=0 src2=0
	v_dual_mov_b32 v145, v131 :: v_dual_mov_b32 v131, v134
	s_delay_alu instid0(VALU_DEP_1) | instskip(NEXT) | instid1(VALU_DEP_2)
	v_pk_add_f32 v[128:129], v[128:129], v[144:145]
	v_pk_mul_f32 v[130:131], v[130:131], v[132:133] op_sel_hi:[1,0]
	s_set_vgpr_msb 4                        ;  msbs: dst=0 src0=0 src1=1 src2=0
	s_delay_alu instid0(VALU_DEP_1) | instskip(SKIP_1) | instid1(VALU_DEP_1)
	v_pk_fma_f32 v[132:133], v[134:135], v[14:15] /*v[270:271]*/, v[130:131] neg_lo:[0,0,1] neg_hi:[0,0,1]
	v_pk_fma_f32 v[130:131], v[134:135], v[14:15] /*v[270:271]*/, v[130:131] op_sel_hi:[1,0,1]
	v_mov_b32_e32 v133, v131
	s_wait_loadcnt_dscnt 0x101
	v_pk_mul_f32 v[130:131], v[136:137], v[16:17] /*v[272:273]*/ op_sel:[1,1] op_sel_hi:[0,1]
	s_set_vgpr_msb 0                        ;  msbs: dst=0 src0=0 src1=0 src2=0
	s_delay_alu instid0(VALU_DEP_2) | instskip(SKIP_1) | instid1(VALU_DEP_2)
	v_pk_add_f32 v[128:129], v[128:129], v[132:133]
	s_set_vgpr_msb 4                        ;  msbs: dst=0 src0=0 src1=1 src2=0
	v_pk_fma_f32 v[132:133], v[136:137], v[16:17] /*v[272:273]*/, v[130:131] neg_lo:[0,0,1] neg_hi:[0,0,1]
	v_pk_fma_f32 v[130:131], v[136:137], v[16:17] /*v[272:273]*/, v[130:131] op_sel_hi:[1,0,1]
	s_delay_alu instid0(VALU_DEP_1) | instskip(SKIP_2) | instid1(VALU_DEP_2)
	v_dual_mov_b32 v130, v139 :: v_dual_mov_b32 v133, v131
	v_mov_b32_e32 v131, v138
	s_set_vgpr_msb 0                        ;  msbs: dst=0 src0=0 src1=0 src2=0
	v_pk_add_f32 v[128:129], v[128:129], v[132:133]
	s_set_vgpr_msb 1                        ;  msbs: dst=0 src0=1 src1=0 src2=0
	v_mov_b32_e32 v132, v19 /*v275*/
	s_set_vgpr_msb 0                        ;  msbs: dst=0 src0=0 src1=0 src2=0
	s_delay_alu instid0(VALU_DEP_1) | instskip(SKIP_1) | instid1(VALU_DEP_1)
	v_pk_mul_f32 v[130:131], v[130:131], v[132:133] op_sel_hi:[1,0]
	s_set_vgpr_msb 4                        ;  msbs: dst=0 src0=0 src1=1 src2=0
	v_pk_fma_f32 v[132:133], v[138:139], v[18:19] /*v[274:275]*/, v[130:131] neg_lo:[0,0,1] neg_hi:[0,0,1]
	v_pk_fma_f32 v[130:131], v[138:139], v[18:19] /*v[274:275]*/, v[130:131] op_sel_hi:[1,0,1]
	s_delay_alu instid0(VALU_DEP_1) | instskip(SKIP_3) | instid1(VALU_DEP_2)
	v_mov_b32_e32 v133, v131
	s_wait_loadcnt_dscnt 0x0
	v_pk_mul_f32 v[130:131], v[140:141], v[20:21] /*v[276:277]*/ op_sel:[1,1] op_sel_hi:[0,1]
	s_set_vgpr_msb 0                        ;  msbs: dst=0 src0=0 src1=0 src2=0
	v_pk_add_f32 v[128:129], v[128:129], v[132:133]
	s_set_vgpr_msb 4                        ;  msbs: dst=0 src0=0 src1=1 src2=0
	s_delay_alu instid0(VALU_DEP_2) | instskip(SKIP_1) | instid1(VALU_DEP_1)
	v_pk_fma_f32 v[132:133], v[140:141], v[20:21] /*v[276:277]*/, v[130:131] neg_lo:[0,0,1] neg_hi:[0,0,1]
	v_pk_fma_f32 v[130:131], v[140:141], v[20:21] /*v[276:277]*/, v[130:131] op_sel_hi:[1,0,1]
	v_dual_mov_b32 v130, v143 :: v_dual_mov_b32 v133, v131
	v_mov_b32_e32 v131, v142
	s_set_vgpr_msb 0                        ;  msbs: dst=0 src0=0 src1=0 src2=0
	s_delay_alu instid0(VALU_DEP_2) | instskip(SKIP_3) | instid1(VALU_DEP_1)
	v_pk_add_f32 v[128:129], v[128:129], v[132:133]
	s_set_vgpr_msb 1                        ;  msbs: dst=0 src0=1 src1=0 src2=0
	v_mov_b32_e32 v132, v23 /*v279*/
	s_set_vgpr_msb 0                        ;  msbs: dst=0 src0=0 src1=0 src2=0
	v_pk_mul_f32 v[130:131], v[130:131], v[132:133] op_sel_hi:[1,0]
	s_set_vgpr_msb 4                        ;  msbs: dst=0 src0=0 src1=1 src2=0
	s_delay_alu instid0(VALU_DEP_1) | instskip(SKIP_1) | instid1(VALU_DEP_1)
	v_pk_fma_f32 v[132:133], v[142:143], v[22:23] /*v[278:279]*/, v[130:131] neg_lo:[0,0,1] neg_hi:[0,0,1]
	v_pk_fma_f32 v[130:131], v[142:143], v[22:23] /*v[278:279]*/, v[130:131] op_sel_hi:[1,0,1]
	v_mov_b32_e32 v133, v131
	scratch_load_b64 v[130:131], off, off offset:160
	s_set_vgpr_msb 0                        ;  msbs: dst=0 src0=0 src1=0 src2=0
	v_pk_add_f32 v[128:129], v[128:129], v[132:133]
	s_wait_loadcnt 0x0
	s_delay_alu instid0(VALU_DEP_1)
	v_pk_add_f32 v[128:129], v[130:131], v[128:129] neg_lo:[0,1] neg_hi:[0,1]
	scratch_store_b64 off, v[128:129], off offset:160
	s_wait_xcnt 0x0
	v_cmpx_lt_u32_e32 19, v0
	s_cbranch_execz .LBB126_353
; %bb.352:
	scratch_load_b64 v[128:129], off, off offset:152
	v_mov_b64_e32 v[130:131], 0
	scratch_store_b64 off, v[130:131], off offset:152
	s_wait_loadcnt 0x0
	ds_store_b64 v1, v[128:129]
.LBB126_353:
	s_wait_xcnt 0x0
	s_or_b32 exec_lo, exec_lo, s0
	v_mov_b32_e32 v7, 0
	s_wait_storecnt_dscnt 0x0
	s_barrier_signal -1
	s_barrier_wait -1
	ds_load_b128 v[128:131], v7 offset:672
	ds_load_b128 v[132:135], v7 offset:688
	;; [unrolled: 1-line block ×4, first 2 shown]
	s_clause 0x12
	scratch_load_b128 v[144:147], off, off offset:160
	scratch_load_b128 v[148:151], off, off offset:176
	;; [unrolled: 1-line block ×16, first 2 shown]
	s_set_vgpr_msb 64                       ;  msbs: dst=1 src0=0 src1=0 src2=0
	scratch_load_b128 v[4:7] /*v[260:263]*/, off, off offset:416
	scratch_load_b128 v[12:15] /*v[268:271]*/, off, off offset:432
	s_mov_b32 s0, exec_lo
	s_wait_loadcnt_dscnt 0x1103
	s_set_vgpr_msb 0                        ;  msbs: dst=0 src0=0 src1=0 src2=0
	v_mul_f32_e32 v9, v128, v145
	ds_load_b128 v[160:163], v7 offset:736
	ds_load_b128 v[168:171], v7 offset:752
	;; [unrolled: 1-line block ×4, first 2 shown]
	v_dual_fmac_f32 v9, v129, v144 :: v_dual_mul_f32 v11, v130, v147
	ds_load_b128 v[192:195], v7 offset:800
	ds_load_b128 v[200:203], v7 offset:816
	;; [unrolled: 1-line block ×4, first 2 shown]
	v_dual_add_f32 v9, 0, v9 :: v_dual_fmac_f32 v11, v131, v146
	ds_load_b128 v[224:227], v7 offset:864
	ds_load_b128 v[232:235], v7 offset:880
	;; [unrolled: 1-line block ×4, first 2 shown]
	s_wait_loadcnt_dscnt 0x100e
	v_dual_add_f32 v9, v9, v11 :: v_dual_mul_f32 v11, v132, v149
	s_set_vgpr_msb 64                       ;  msbs: dst=1 src0=0 src1=0 src2=0
	ds_load_b128 v[0:3] /*v[256:259]*/, v7 offset:928
	ds_load_b128 v[8:11] /*v[264:267]*/, v7 offset:944
	s_clause 0x3
	scratch_load_b128 v[16:19] /*v[272:275]*/, off, off offset:448
	scratch_load_b128 v[20:23] /*v[276:279]*/, off, off offset:464
	;; [unrolled: 1-line block ×3, first 2 shown]
	scratch_load_b64 v[34:35] /*v[290:291]*/, off, off offset:496
	s_set_vgpr_msb 0                        ;  msbs: dst=0 src0=0 src1=0 src2=0
	v_fmac_f32_e32 v11, v133, v148
	s_delay_alu instid0(VALU_DEP_1) | instskip(SKIP_1) | instid1(VALU_DEP_1)
	v_add_f32_e32 v9, v9, v11
	v_mul_f32_e32 v11, v134, v151
	v_fmac_f32_e32 v11, v135, v150
	s_wait_loadcnt_dscnt 0x130f
	s_delay_alu instid0(VALU_DEP_1)
	v_dual_add_f32 v9, v9, v11 :: v_dual_mul_f32 v11, v136, v153
	s_wait_loadcnt_dscnt 0x400
	s_set_vgpr_msb 0x45                     ;  msbs: dst=1 src0=1 src1=1 src2=0
	v_dual_mul_f32 v31 /*v287*/, v2 /*v258*/, v7 /*v263*/ :: v_dual_mul_f32 v33 /*v289*/, v8 /*v264*/, v13 /*v269*/
	s_set_vgpr_msb 0                        ;  msbs: dst=0 src0=0 src1=0 src2=0
	v_fmac_f32_e32 v11, v137, v152
	s_set_vgpr_msb 0x45                     ;  msbs: dst=1 src0=1 src1=1 src2=0
	s_delay_alu instid0(VALU_DEP_2) | instskip(SKIP_1) | instid1(VALU_DEP_2)
	v_dual_fmac_f32 v31 /*v287*/, v3 /*v259*/, v6 /*v262*/ :: v_dual_fmac_f32 v33 /*v289*/, v9 /*v265*/, v12 /*v268*/
	s_set_vgpr_msb 0                        ;  msbs: dst=0 src0=0 src1=0 src2=0
	v_add_f32_e32 v9, v9, v11
	v_mul_f32_e32 v11, v138, v155
	s_delay_alu instid0(VALU_DEP_1) | instskip(NEXT) | instid1(VALU_DEP_1)
	v_fmac_f32_e32 v11, v139, v154
	v_dual_add_f32 v9, v9, v11 :: v_dual_mul_f32 v11, v140, v157
	s_delay_alu instid0(VALU_DEP_1) | instskip(NEXT) | instid1(VALU_DEP_1)
	v_fmac_f32_e32 v11, v141, v156
	v_add_f32_e32 v9, v9, v11
	v_mul_f32_e32 v11, v142, v159
	s_delay_alu instid0(VALU_DEP_1) | instskip(NEXT) | instid1(VALU_DEP_1)
	v_fmac_f32_e32 v11, v143, v158
	v_dual_add_f32 v9, v9, v11 :: v_dual_mul_f32 v11, v160, v165
	s_delay_alu instid0(VALU_DEP_1) | instskip(NEXT) | instid1(VALU_DEP_1)
	v_fmac_f32_e32 v11, v161, v164
	;; [unrolled: 7-line block ×13, first 2 shown]
	v_add_f32_e32 v9, v9, v11
	v_mul_f32_e32 v11, v250, v255
	s_delay_alu instid0(VALU_DEP_1) | instskip(NEXT) | instid1(VALU_DEP_1)
	v_fmac_f32_e32 v11, v251, v254
	v_add_f32_e32 v9, v9, v11
	s_set_vgpr_msb 5                        ;  msbs: dst=0 src0=1 src1=1 src2=0
	v_mul_f32_e32 v11, v0 /*v256*/, v5 /*v261*/
	s_delay_alu instid0(VALU_DEP_1) | instskip(SKIP_1) | instid1(VALU_DEP_1)
	v_fmac_f32_e32 v11, v1 /*v257*/, v4 /*v260*/
	s_set_vgpr_msb 64                       ;  msbs: dst=1 src0=0 src1=0 src2=0
	v_add_f32_e32 v29 /*v285*/, v9, v11
	s_set_vgpr_msb 0                        ;  msbs: dst=0 src0=0 src1=0 src2=0
	v_dual_mul_f32 v9, v129, v145 :: v_dual_mul_f32 v11, v131, v147
	s_set_vgpr_msb 1                        ;  msbs: dst=0 src0=1 src1=0 src2=0
	v_mov_b32_e32 v145, v10 /*v266*/
	s_set_vgpr_msb 0                        ;  msbs: dst=0 src0=0 src1=0 src2=0
	s_delay_alu instid0(VALU_DEP_2) | instskip(SKIP_2) | instid1(VALU_DEP_2)
	v_dual_fma_f32 v9, v128, v144, -v9 :: v_dual_fma_f32 v11, v130, v146, -v11
	s_set_vgpr_msb 1                        ;  msbs: dst=0 src0=1 src1=0 src2=0
	v_dual_mov_b32 v144, v11 /*v267*/ :: v_dual_mov_b32 v146, v15 /*v271*/
	v_add_f32_e32 v9, 0, v9
	s_set_vgpr_msb 0                        ;  msbs: dst=0 src0=0 src1=0 src2=0
	s_delay_alu instid0(VALU_DEP_2) | instskip(NEXT) | instid1(VALU_DEP_2)
	v_pk_mul_f32 v[144:145], v[144:145], v[146:147] op_sel_hi:[1,0]
	v_add_f32_e32 v9, v9, v11
	v_mul_f32_e32 v11, v133, v149
	s_set_vgpr_msb 5                        ;  msbs: dst=0 src0=1 src1=1 src2=0
	s_delay_alu instid0(VALU_DEP_3) | instskip(SKIP_2) | instid1(VALU_DEP_1)
	v_pk_fma_f32 v[146:147], v[10:11] /*v[266:267]*/, v[14:15] /*v[270:271]*/, v[144:145] neg_lo:[0,0,1] neg_hi:[0,0,1]
	v_pk_fma_f32 v[144:145], v[10:11] /*v[266:267]*/, v[14:15] /*v[270:271]*/, v[144:145] op_sel_hi:[1,0,1]
	s_set_vgpr_msb 0                        ;  msbs: dst=0 src0=0 src1=0 src2=0
	v_dual_fma_f32 v11, v132, v148, -v11 :: v_dual_mov_b32 v147, v145
	s_delay_alu instid0(VALU_DEP_1) | instskip(SKIP_1) | instid1(VALU_DEP_1)
	v_add_f32_e32 v9, v9, v11
	v_mul_f32_e32 v11, v135, v151
	v_fma_f32 v11, v134, v150, -v11
	s_delay_alu instid0(VALU_DEP_1) | instskip(SKIP_1) | instid1(VALU_DEP_1)
	v_add_f32_e32 v9, v9, v11
	v_mul_f32_e32 v11, v137, v153
	v_fma_f32 v11, v136, v152, -v11
	s_delay_alu instid0(VALU_DEP_1) | instskip(SKIP_1) | instid1(VALU_DEP_1)
	v_add_f32_e32 v9, v9, v11
	v_mul_f32_e32 v11, v139, v155
	v_fma_f32 v11, v138, v154, -v11
	s_delay_alu instid0(VALU_DEP_1) | instskip(SKIP_1) | instid1(VALU_DEP_1)
	v_add_f32_e32 v9, v9, v11
	v_mul_f32_e32 v11, v141, v157
	v_fma_f32 v11, v140, v156, -v11
	ds_load_b128 v[128:131], v7 offset:960
	ds_load_b128 v[132:135], v7 offset:976
	ds_load_b128 v[136:139], v7 offset:992
	ds_load_b64 v[140:141], v7 offset:1008
	v_add_f32_e32 v9, v9, v11
	v_mul_f32_e32 v11, v143, v159
	s_delay_alu instid0(VALU_DEP_1) | instskip(NEXT) | instid1(VALU_DEP_1)
	v_fma_f32 v11, v142, v158, -v11
	v_add_f32_e32 v9, v9, v11
	v_mul_f32_e32 v11, v161, v165
	s_wait_loadcnt_dscnt 0x303
	s_set_vgpr_msb 4                        ;  msbs: dst=0 src0=0 src1=1 src2=0
	v_pk_mul_f32 v[144:145], v[128:129], v[16:17] /*v[272:273]*/ op_sel:[1,1] op_sel_hi:[0,1]
	s_set_vgpr_msb 0                        ;  msbs: dst=0 src0=0 src1=0 src2=0
	v_fma_f32 v11, v160, v164, -v11
	s_delay_alu instid0(VALU_DEP_1) | instskip(SKIP_1) | instid1(VALU_DEP_1)
	v_add_f32_e32 v9, v9, v11
	v_mul_f32_e32 v11, v163, v167
	v_fma_f32 v11, v162, v166, -v11
	s_delay_alu instid0(VALU_DEP_1) | instskip(SKIP_1) | instid1(VALU_DEP_1)
	v_add_f32_e32 v9, v9, v11
	v_mul_f32_e32 v11, v169, v173
	;; [unrolled: 4-line block ×23, first 2 shown]
	v_fma_f32 v11, v250, v254, -v11
	s_delay_alu instid0(VALU_DEP_1) | instskip(SKIP_2) | instid1(VALU_DEP_1)
	v_add_f32_e32 v9, v9, v11
	s_set_vgpr_msb 5                        ;  msbs: dst=0 src0=1 src1=1 src2=0
	v_mul_f32_e32 v11, v1 /*v257*/, v5 /*v261*/
	v_fma_f32 v11, v0 /*v256*/, v4 /*v260*/, -v11
	s_set_vgpr_msb 64                       ;  msbs: dst=1 src0=0 src1=0 src2=0
	s_delay_alu instid0(VALU_DEP_1) | instskip(SKIP_3) | instid1(VALU_DEP_1)
	v_add_f32_e32 v28 /*v284*/, v9, v11
	s_set_vgpr_msb 5                        ;  msbs: dst=0 src0=1 src1=1 src2=0
	v_mul_f32_e32 v9, v3 /*v259*/, v7 /*v263*/
	s_set_vgpr_msb 0x45                     ;  msbs: dst=1 src0=1 src1=1 src2=0
	v_fma_f32 v30 /*v286*/, v2 /*v258*/, v6 /*v262*/, -v9
	s_set_vgpr_msb 5                        ;  msbs: dst=0 src0=1 src1=1 src2=0
	v_mul_f32_e32 v9, v9 /*v265*/, v13 /*v269*/
	s_set_vgpr_msb 0x45                     ;  msbs: dst=1 src0=1 src1=1 src2=0
	s_delay_alu instid0(VALU_DEP_1) | instskip(SKIP_3) | instid1(VALU_DEP_1)
	v_fma_f32 v32 /*v288*/, v8 /*v264*/, v12 /*v268*/, -v9
	s_set_vgpr_msb 5                        ;  msbs: dst=0 src0=1 src1=1 src2=0
	v_pk_add_f32 v[142:143], v[28:29] /*v[284:285]*/, v[30:31] /*v[286:287]*/
	s_set_vgpr_msb 4                        ;  msbs: dst=0 src0=0 src1=1 src2=0
	v_pk_add_f32 v[142:143], v[142:143], v[32:33] /*v[288:289]*/
	s_set_vgpr_msb 0                        ;  msbs: dst=0 src0=0 src1=0 src2=0
	s_delay_alu instid0(VALU_DEP_1)
	v_pk_add_f32 v[142:143], v[142:143], v[146:147]
	s_set_vgpr_msb 4                        ;  msbs: dst=0 src0=0 src1=1 src2=0
	v_pk_fma_f32 v[146:147], v[128:129], v[16:17] /*v[272:273]*/, v[144:145] neg_lo:[0,0,1] neg_hi:[0,0,1]
	v_pk_fma_f32 v[128:129], v[128:129], v[16:17] /*v[272:273]*/, v[144:145] op_sel_hi:[1,0,1]
	s_set_vgpr_msb 1                        ;  msbs: dst=0 src0=1 src1=0 src2=0
	v_mov_b32_e32 v144, v19 /*v275*/
	s_set_vgpr_msb 0                        ;  msbs: dst=0 src0=0 src1=0 src2=0
	s_delay_alu instid0(VALU_DEP_2) | instskip(NEXT) | instid1(VALU_DEP_1)
	v_mov_b32_e32 v147, v129
	v_pk_add_f32 v[128:129], v[142:143], v[146:147]
	v_dual_mov_b32 v142, v131 :: v_dual_mov_b32 v143, v130
	s_delay_alu instid0(VALU_DEP_1) | instskip(SKIP_1) | instid1(VALU_DEP_1)
	v_pk_mul_f32 v[142:143], v[142:143], v[144:145] op_sel_hi:[1,0]
	s_set_vgpr_msb 4                        ;  msbs: dst=0 src0=0 src1=1 src2=0
	v_pk_fma_f32 v[144:145], v[130:131], v[18:19] /*v[274:275]*/, v[142:143] neg_lo:[0,0,1] neg_hi:[0,0,1]
	v_pk_fma_f32 v[130:131], v[130:131], v[18:19] /*v[274:275]*/, v[142:143] op_sel_hi:[1,0,1]
	s_delay_alu instid0(VALU_DEP_1) | instskip(SKIP_3) | instid1(VALU_DEP_2)
	v_mov_b32_e32 v145, v131
	s_wait_loadcnt_dscnt 0x202
	v_pk_mul_f32 v[130:131], v[132:133], v[20:21] /*v[276:277]*/ op_sel:[1,1] op_sel_hi:[0,1]
	s_set_vgpr_msb 0                        ;  msbs: dst=0 src0=0 src1=0 src2=0
	v_pk_add_f32 v[128:129], v[128:129], v[144:145]
	s_set_vgpr_msb 4                        ;  msbs: dst=0 src0=0 src1=1 src2=0
	s_delay_alu instid0(VALU_DEP_2)
	v_pk_fma_f32 v[142:143], v[132:133], v[20:21] /*v[276:277]*/, v[130:131] neg_lo:[0,0,1] neg_hi:[0,0,1]
	v_pk_fma_f32 v[130:131], v[132:133], v[20:21] /*v[276:277]*/, v[130:131] op_sel_hi:[1,0,1]
	v_mov_b32_e32 v130, v135
	s_set_vgpr_msb 1                        ;  msbs: dst=0 src0=1 src1=0 src2=0
	v_mov_b32_e32 v132, v23 /*v279*/
	s_set_vgpr_msb 0                        ;  msbs: dst=0 src0=0 src1=0 src2=0
	v_dual_mov_b32 v143, v131 :: v_dual_mov_b32 v131, v134
	s_delay_alu instid0(VALU_DEP_1) | instskip(NEXT) | instid1(VALU_DEP_2)
	v_pk_add_f32 v[128:129], v[128:129], v[142:143]
	v_pk_mul_f32 v[130:131], v[130:131], v[132:133] op_sel_hi:[1,0]
	s_set_vgpr_msb 4                        ;  msbs: dst=0 src0=0 src1=1 src2=0
	s_delay_alu instid0(VALU_DEP_1) | instskip(SKIP_1) | instid1(VALU_DEP_1)
	v_pk_fma_f32 v[132:133], v[134:135], v[22:23] /*v[278:279]*/, v[130:131] neg_lo:[0,0,1] neg_hi:[0,0,1]
	v_pk_fma_f32 v[130:131], v[134:135], v[22:23] /*v[278:279]*/, v[130:131] op_sel_hi:[1,0,1]
	v_mov_b32_e32 v133, v131
	s_wait_loadcnt_dscnt 0x101
	v_pk_mul_f32 v[130:131], v[136:137], v[24:25] /*v[280:281]*/ op_sel:[1,1] op_sel_hi:[0,1]
	s_set_vgpr_msb 0                        ;  msbs: dst=0 src0=0 src1=0 src2=0
	s_delay_alu instid0(VALU_DEP_2) | instskip(SKIP_1) | instid1(VALU_DEP_2)
	v_pk_add_f32 v[128:129], v[128:129], v[132:133]
	s_set_vgpr_msb 4                        ;  msbs: dst=0 src0=0 src1=1 src2=0
	v_pk_fma_f32 v[132:133], v[136:137], v[24:25] /*v[280:281]*/, v[130:131] neg_lo:[0,0,1] neg_hi:[0,0,1]
	v_pk_fma_f32 v[130:131], v[136:137], v[24:25] /*v[280:281]*/, v[130:131] op_sel_hi:[1,0,1]
	s_delay_alu instid0(VALU_DEP_1) | instskip(SKIP_2) | instid1(VALU_DEP_2)
	v_dual_mov_b32 v130, v139 :: v_dual_mov_b32 v133, v131
	v_mov_b32_e32 v131, v138
	s_set_vgpr_msb 0                        ;  msbs: dst=0 src0=0 src1=0 src2=0
	v_pk_add_f32 v[128:129], v[128:129], v[132:133]
	s_set_vgpr_msb 1                        ;  msbs: dst=0 src0=1 src1=0 src2=0
	v_mov_b32_e32 v132, v27 /*v283*/
	s_set_vgpr_msb 0                        ;  msbs: dst=0 src0=0 src1=0 src2=0
	s_delay_alu instid0(VALU_DEP_1) | instskip(SKIP_1) | instid1(VALU_DEP_1)
	v_pk_mul_f32 v[130:131], v[130:131], v[132:133] op_sel_hi:[1,0]
	s_set_vgpr_msb 4                        ;  msbs: dst=0 src0=0 src1=1 src2=0
	v_pk_fma_f32 v[132:133], v[138:139], v[26:27] /*v[282:283]*/, v[130:131] neg_lo:[0,0,1] neg_hi:[0,0,1]
	v_pk_fma_f32 v[130:131], v[138:139], v[26:27] /*v[282:283]*/, v[130:131] op_sel_hi:[1,0,1]
	s_delay_alu instid0(VALU_DEP_1) | instskip(SKIP_3) | instid1(VALU_DEP_2)
	v_mov_b32_e32 v133, v131
	s_wait_loadcnt_dscnt 0x0
	v_pk_mul_f32 v[130:131], v[140:141], v[34:35] /*v[290:291]*/ op_sel:[1,1] op_sel_hi:[0,1]
	s_set_vgpr_msb 0                        ;  msbs: dst=0 src0=0 src1=0 src2=0
	v_pk_add_f32 v[128:129], v[128:129], v[132:133]
	s_set_vgpr_msb 4                        ;  msbs: dst=0 src0=0 src1=1 src2=0
	s_delay_alu instid0(VALU_DEP_2) | instskip(SKIP_1) | instid1(VALU_DEP_1)
	v_pk_fma_f32 v[132:133], v[140:141], v[34:35] /*v[290:291]*/, v[130:131] neg_lo:[0,0,1] neg_hi:[0,0,1]
	v_pk_fma_f32 v[130:131], v[140:141], v[34:35] /*v[290:291]*/, v[130:131] op_sel_hi:[1,0,1]
	v_mov_b32_e32 v133, v131
	scratch_load_b64 v[130:131], off, off offset:152
	s_set_vgpr_msb 0                        ;  msbs: dst=0 src0=0 src1=0 src2=0
	v_pk_add_f32 v[128:129], v[128:129], v[132:133]
	s_wait_loadcnt 0x0
	s_delay_alu instid0(VALU_DEP_1)
	v_pk_add_f32 v[128:129], v[130:131], v[128:129] neg_lo:[0,1] neg_hi:[0,1]
	scratch_store_b64 off, v[128:129], off offset:152
	s_wait_xcnt 0x0
	v_cmpx_lt_u32_e32 18, v0
	s_cbranch_execz .LBB126_355
; %bb.354:
	scratch_load_b64 v[128:129], off, off offset:144
	v_mov_b64_e32 v[130:131], 0
	scratch_store_b64 off, v[130:131], off offset:144
	s_wait_loadcnt 0x0
	ds_store_b64 v1, v[128:129]
.LBB126_355:
	s_wait_xcnt 0x0
	s_or_b32 exec_lo, exec_lo, s0
	s_wait_storecnt_dscnt 0x0
	s_barrier_signal -1
	s_barrier_wait -1
	s_clause 0xf
	scratch_load_b128 v[132:135], off, off offset:152
	scratch_load_b128 v[140:143], off, off offset:168
	scratch_load_b128 v[148:151], off, off offset:184
	scratch_load_b128 v[156:159], off, off offset:200
	scratch_load_b128 v[164:167], off, off offset:216
	scratch_load_b128 v[172:175], off, off offset:232
	scratch_load_b128 v[180:183], off, off offset:248
	scratch_load_b128 v[188:191], off, off offset:264
	scratch_load_b128 v[196:199], off, off offset:280
	scratch_load_b128 v[204:207], off, off offset:296
	scratch_load_b128 v[212:215], off, off offset:312
	scratch_load_b128 v[220:223], off, off offset:328
	scratch_load_b128 v[228:231], off, off offset:344
	scratch_load_b128 v[236:239], off, off offset:360
	scratch_load_b128 v[244:247], off, off offset:376
	scratch_load_b128 v[252:255], off, off offset:392
	ds_load_2addr_b64 v[128:131], v7 offset0:83 offset1:84
	ds_load_2addr_b64 v[136:139], v7 offset0:85 offset1:86
	s_set_vgpr_msb 64                       ;  msbs: dst=1 src0=0 src1=0 src2=0
	s_clause 0x1
	scratch_load_b128 v[4:7] /*v[260:263]*/, off, off offset:408
	scratch_load_b128 v[12:15] /*v[268:271]*/, off, off offset:424
	s_set_vgpr_msb 0                        ;  msbs: dst=0 src0=0 src1=0 src2=0
	ds_load_2addr_b64 v[144:147], v7 offset0:87 offset1:88
	ds_load_2addr_b64 v[152:155], v7 offset0:89 offset1:90
	;; [unrolled: 1-line block ×14, first 2 shown]
	s_set_vgpr_msb 64                       ;  msbs: dst=1 src0=0 src1=0 src2=0
	ds_load_2addr_b64 v[0:3] /*v[256:259]*/, v7 offset0:115 offset1:116
	ds_load_2addr_b64 v[8:11] /*v[264:267]*/, v7 offset0:117 offset1:118
	s_clause 0x3
	scratch_load_b128 v[16:19] /*v[272:275]*/, off, off offset:440
	scratch_load_b128 v[20:23] /*v[276:279]*/, off, off offset:456
	;; [unrolled: 1-line block ×4, first 2 shown]
	s_mov_b32 s0, exec_lo
	s_wait_loadcnt_dscnt 0x1511
	s_set_vgpr_msb 0                        ;  msbs: dst=0 src0=0 src1=0 src2=0
	v_dual_mul_f32 v9, v128, v133 :: v_dual_mul_f32 v11, v130, v135
	s_delay_alu instid0(VALU_DEP_1) | instskip(NEXT) | instid1(VALU_DEP_1)
	v_dual_fmac_f32 v9, v129, v132 :: v_dual_fmac_f32 v11, v131, v134
	v_add_f32_e32 v9, 0, v9
	s_wait_loadcnt_dscnt 0x1410
	s_delay_alu instid0(VALU_DEP_1)
	v_dual_add_f32 v9, v9, v11 :: v_dual_mul_f32 v11, v136, v141
	s_wait_loadcnt_dscnt 0x400
	s_set_vgpr_msb 0x45                     ;  msbs: dst=1 src0=1 src1=1 src2=0
	v_dual_mul_f32 v35 /*v291*/, v8 /*v264*/, v13 /*v269*/ :: v_dual_mul_f32 v37 /*v293*/, v10 /*v266*/, v15 /*v271*/
	s_set_vgpr_msb 0                        ;  msbs: dst=0 src0=0 src1=0 src2=0
	v_fmac_f32_e32 v11, v137, v140
	s_set_vgpr_msb 0x45                     ;  msbs: dst=1 src0=1 src1=1 src2=0
	s_delay_alu instid0(VALU_DEP_2) | instskip(SKIP_1) | instid1(VALU_DEP_2)
	v_dual_fmac_f32 v35 /*v291*/, v9 /*v265*/, v12 /*v268*/ :: v_dual_fmac_f32 v37 /*v293*/, v11 /*v267*/, v14 /*v270*/
	s_set_vgpr_msb 0                        ;  msbs: dst=0 src0=0 src1=0 src2=0
	v_add_f32_e32 v9, v9, v11
	v_mul_f32_e32 v11, v138, v143
	s_delay_alu instid0(VALU_DEP_1) | instskip(NEXT) | instid1(VALU_DEP_1)
	v_fmac_f32_e32 v11, v139, v142
	v_dual_add_f32 v9, v9, v11 :: v_dual_mul_f32 v11, v144, v149
	s_delay_alu instid0(VALU_DEP_1) | instskip(NEXT) | instid1(VALU_DEP_1)
	v_fmac_f32_e32 v11, v145, v148
	v_add_f32_e32 v9, v9, v11
	v_mul_f32_e32 v11, v146, v151
	s_delay_alu instid0(VALU_DEP_1) | instskip(NEXT) | instid1(VALU_DEP_1)
	v_fmac_f32_e32 v11, v147, v150
	v_dual_add_f32 v9, v9, v11 :: v_dual_mul_f32 v11, v152, v157
	s_delay_alu instid0(VALU_DEP_1) | instskip(NEXT) | instid1(VALU_DEP_1)
	v_fmac_f32_e32 v11, v153, v156
	;; [unrolled: 7-line block ×14, first 2 shown]
	v_add_f32_e32 v9, v9, v11
	v_mul_f32_e32 v11, v250, v255
	s_delay_alu instid0(VALU_DEP_1) | instskip(NEXT) | instid1(VALU_DEP_1)
	v_fmac_f32_e32 v11, v251, v254
	v_add_f32_e32 v9, v9, v11
	s_set_vgpr_msb 5                        ;  msbs: dst=0 src0=1 src1=1 src2=0
	v_mul_f32_e32 v11, v0 /*v256*/, v5 /*v261*/
	s_delay_alu instid0(VALU_DEP_1) | instskip(SKIP_1) | instid1(VALU_DEP_1)
	v_fmac_f32_e32 v11, v1 /*v257*/, v4 /*v260*/
	s_set_vgpr_msb 0                        ;  msbs: dst=0 src0=0 src1=0 src2=0
	v_add_f32_e32 v9, v9, v11
	s_set_vgpr_msb 5                        ;  msbs: dst=0 src0=1 src1=1 src2=0
	v_mul_f32_e32 v11, v2 /*v258*/, v7 /*v263*/
	s_delay_alu instid0(VALU_DEP_1) | instskip(SKIP_1) | instid1(VALU_DEP_1)
	v_fmac_f32_e32 v11, v3 /*v259*/, v6 /*v262*/
	s_set_vgpr_msb 64                       ;  msbs: dst=1 src0=0 src1=0 src2=0
	v_add_f32_e32 v33 /*v289*/, v9, v11
	s_set_vgpr_msb 0                        ;  msbs: dst=0 src0=0 src1=0 src2=0
	v_dual_mul_f32 v9, v129, v133 :: v_dual_mul_f32 v11, v131, v135
	s_delay_alu instid0(VALU_DEP_1) | instskip(NEXT) | instid1(VALU_DEP_1)
	v_dual_fma_f32 v9, v128, v132, -v9 :: v_dual_fma_f32 v11, v130, v134, -v11
	v_add_f32_e32 v9, 0, v9
	s_delay_alu instid0(VALU_DEP_1) | instskip(SKIP_1) | instid1(VALU_DEP_1)
	v_add_f32_e32 v9, v9, v11
	v_mul_f32_e32 v11, v137, v141
	v_fma_f32 v11, v136, v140, -v11
	s_delay_alu instid0(VALU_DEP_1) | instskip(SKIP_1) | instid1(VALU_DEP_1)
	v_add_f32_e32 v9, v9, v11
	v_mul_f32_e32 v11, v139, v143
	v_fma_f32 v11, v138, v142, -v11
	ds_load_2addr_b64 v[128:131], v7 offset0:119 offset1:120
	ds_load_2addr_b64 v[132:135], v7 offset0:121 offset1:122
	;; [unrolled: 1-line block ×4, first 2 shown]
	v_add_f32_e32 v9, v9, v11
	v_mul_f32_e32 v11, v145, v149
	s_delay_alu instid0(VALU_DEP_1) | instskip(NEXT) | instid1(VALU_DEP_1)
	v_fma_f32 v11, v144, v148, -v11
	v_add_f32_e32 v9, v9, v11
	v_mul_f32_e32 v11, v147, v151
	s_delay_alu instid0(VALU_DEP_1)
	v_fma_f32 v11, v146, v150, -v11
	s_wait_loadcnt_dscnt 0x303
	s_set_vgpr_msb 4                        ;  msbs: dst=0 src0=0 src1=1 src2=0
	v_pk_mul_f32 v[146:147], v[128:129], v[16:17] /*v[272:273]*/ op_sel:[1,1] op_sel_hi:[0,1]
	s_set_vgpr_msb 0                        ;  msbs: dst=0 src0=0 src1=0 src2=0
	v_add_f32_e32 v9, v9, v11
	v_mul_f32_e32 v11, v153, v157
	s_set_vgpr_msb 4                        ;  msbs: dst=0 src0=0 src1=1 src2=0
	v_pk_fma_f32 v[148:149], v[128:129], v[16:17] /*v[272:273]*/, v[146:147] neg_lo:[0,0,1] neg_hi:[0,0,1]
	v_pk_fma_f32 v[128:129], v[128:129], v[16:17] /*v[272:273]*/, v[146:147] op_sel_hi:[1,0,1]
	s_set_vgpr_msb 1                        ;  msbs: dst=0 src0=1 src1=0 src2=0
	v_mov_b32_e32 v146, v19 /*v275*/
	s_set_vgpr_msb 0                        ;  msbs: dst=0 src0=0 src1=0 src2=0
	s_delay_alu instid0(VALU_DEP_2) | instskip(NEXT) | instid1(VALU_DEP_1)
	v_dual_fma_f32 v11, v152, v156, -v11 :: v_dual_mov_b32 v149, v129
	v_add_f32_e32 v9, v9, v11
	v_mul_f32_e32 v11, v155, v159
	s_delay_alu instid0(VALU_DEP_1) | instskip(NEXT) | instid1(VALU_DEP_1)
	v_fma_f32 v11, v154, v158, -v11
	v_add_f32_e32 v9, v9, v11
	v_mul_f32_e32 v11, v161, v165
	s_delay_alu instid0(VALU_DEP_1) | instskip(NEXT) | instid1(VALU_DEP_1)
	v_fma_f32 v11, v160, v164, -v11
	;; [unrolled: 4-line block ×25, first 2 shown]
	v_add_f32_e32 v9, v9, v11
	s_set_vgpr_msb 5                        ;  msbs: dst=0 src0=1 src1=1 src2=0
	v_mul_f32_e32 v11, v1 /*v257*/, v5 /*v261*/
	s_delay_alu instid0(VALU_DEP_1) | instskip(SKIP_1) | instid1(VALU_DEP_1)
	v_fma_f32 v11, v0 /*v256*/, v4 /*v260*/, -v11
	s_set_vgpr_msb 0                        ;  msbs: dst=0 src0=0 src1=0 src2=0
	v_add_f32_e32 v9, v9, v11
	s_set_vgpr_msb 5                        ;  msbs: dst=0 src0=1 src1=1 src2=0
	v_mul_f32_e32 v11, v3 /*v259*/, v7 /*v263*/
	s_delay_alu instid0(VALU_DEP_1) | instskip(SKIP_1) | instid1(VALU_DEP_1)
	v_fma_f32 v11, v2 /*v258*/, v6 /*v262*/, -v11
	s_set_vgpr_msb 64                       ;  msbs: dst=1 src0=0 src1=0 src2=0
	v_add_f32_e32 v32 /*v288*/, v9, v11
	s_set_vgpr_msb 5                        ;  msbs: dst=0 src0=1 src1=1 src2=0
	v_mul_f32_e32 v9, v9 /*v265*/, v13 /*v269*/
	s_set_vgpr_msb 0x45                     ;  msbs: dst=1 src0=1 src1=1 src2=0
	s_delay_alu instid0(VALU_DEP_1) | instskip(SKIP_3) | instid1(VALU_DEP_1)
	v_fma_f32 v34 /*v290*/, v8 /*v264*/, v12 /*v268*/, -v9
	s_set_vgpr_msb 5                        ;  msbs: dst=0 src0=1 src1=1 src2=0
	v_mul_f32_e32 v9, v11 /*v267*/, v15 /*v271*/
	s_set_vgpr_msb 0x45                     ;  msbs: dst=1 src0=1 src1=1 src2=0
	v_fma_f32 v36 /*v292*/, v10 /*v266*/, v14 /*v270*/, -v9
	s_set_vgpr_msb 5                        ;  msbs: dst=0 src0=1 src1=1 src2=0
	v_pk_add_f32 v[144:145], v[32:33] /*v[288:289]*/, v[34:35] /*v[290:291]*/
	s_set_vgpr_msb 4                        ;  msbs: dst=0 src0=0 src1=1 src2=0
	s_delay_alu instid0(VALU_DEP_1) | instskip(SKIP_1) | instid1(VALU_DEP_1)
	v_pk_add_f32 v[144:145], v[144:145], v[36:37] /*v[292:293]*/
	s_set_vgpr_msb 0                        ;  msbs: dst=0 src0=0 src1=0 src2=0
	v_pk_add_f32 v[128:129], v[144:145], v[148:149]
	v_dual_mov_b32 v144, v131 :: v_dual_mov_b32 v145, v130
	s_delay_alu instid0(VALU_DEP_1) | instskip(SKIP_1) | instid1(VALU_DEP_1)
	v_pk_mul_f32 v[144:145], v[144:145], v[146:147] op_sel_hi:[1,0]
	s_set_vgpr_msb 4                        ;  msbs: dst=0 src0=0 src1=1 src2=0
	v_pk_fma_f32 v[146:147], v[130:131], v[18:19] /*v[274:275]*/, v[144:145] neg_lo:[0,0,1] neg_hi:[0,0,1]
	v_pk_fma_f32 v[130:131], v[130:131], v[18:19] /*v[274:275]*/, v[144:145] op_sel_hi:[1,0,1]
	s_delay_alu instid0(VALU_DEP_1) | instskip(SKIP_3) | instid1(VALU_DEP_2)
	v_mov_b32_e32 v147, v131
	s_wait_loadcnt_dscnt 0x202
	v_pk_mul_f32 v[130:131], v[132:133], v[20:21] /*v[276:277]*/ op_sel:[1,1] op_sel_hi:[0,1]
	s_set_vgpr_msb 0                        ;  msbs: dst=0 src0=0 src1=0 src2=0
	v_pk_add_f32 v[128:129], v[128:129], v[146:147]
	s_set_vgpr_msb 4                        ;  msbs: dst=0 src0=0 src1=1 src2=0
	s_delay_alu instid0(VALU_DEP_2)
	v_pk_fma_f32 v[144:145], v[132:133], v[20:21] /*v[276:277]*/, v[130:131] neg_lo:[0,0,1] neg_hi:[0,0,1]
	v_pk_fma_f32 v[130:131], v[132:133], v[20:21] /*v[276:277]*/, v[130:131] op_sel_hi:[1,0,1]
	v_mov_b32_e32 v130, v135
	s_set_vgpr_msb 1                        ;  msbs: dst=0 src0=1 src1=0 src2=0
	v_mov_b32_e32 v132, v23 /*v279*/
	s_set_vgpr_msb 0                        ;  msbs: dst=0 src0=0 src1=0 src2=0
	v_dual_mov_b32 v145, v131 :: v_dual_mov_b32 v131, v134
	s_delay_alu instid0(VALU_DEP_1) | instskip(NEXT) | instid1(VALU_DEP_2)
	v_pk_add_f32 v[128:129], v[128:129], v[144:145]
	v_pk_mul_f32 v[130:131], v[130:131], v[132:133] op_sel_hi:[1,0]
	s_set_vgpr_msb 4                        ;  msbs: dst=0 src0=0 src1=1 src2=0
	s_delay_alu instid0(VALU_DEP_1) | instskip(SKIP_1) | instid1(VALU_DEP_1)
	v_pk_fma_f32 v[132:133], v[134:135], v[22:23] /*v[278:279]*/, v[130:131] neg_lo:[0,0,1] neg_hi:[0,0,1]
	v_pk_fma_f32 v[130:131], v[134:135], v[22:23] /*v[278:279]*/, v[130:131] op_sel_hi:[1,0,1]
	v_mov_b32_e32 v133, v131
	s_wait_loadcnt_dscnt 0x101
	v_pk_mul_f32 v[130:131], v[136:137], v[24:25] /*v[280:281]*/ op_sel:[1,1] op_sel_hi:[0,1]
	s_set_vgpr_msb 0                        ;  msbs: dst=0 src0=0 src1=0 src2=0
	s_delay_alu instid0(VALU_DEP_2) | instskip(SKIP_1) | instid1(VALU_DEP_2)
	v_pk_add_f32 v[128:129], v[128:129], v[132:133]
	s_set_vgpr_msb 4                        ;  msbs: dst=0 src0=0 src1=1 src2=0
	v_pk_fma_f32 v[132:133], v[136:137], v[24:25] /*v[280:281]*/, v[130:131] neg_lo:[0,0,1] neg_hi:[0,0,1]
	v_pk_fma_f32 v[130:131], v[136:137], v[24:25] /*v[280:281]*/, v[130:131] op_sel_hi:[1,0,1]
	s_delay_alu instid0(VALU_DEP_1) | instskip(SKIP_2) | instid1(VALU_DEP_2)
	v_dual_mov_b32 v130, v139 :: v_dual_mov_b32 v133, v131
	v_mov_b32_e32 v131, v138
	s_set_vgpr_msb 0                        ;  msbs: dst=0 src0=0 src1=0 src2=0
	v_pk_add_f32 v[128:129], v[128:129], v[132:133]
	s_set_vgpr_msb 1                        ;  msbs: dst=0 src0=1 src1=0 src2=0
	v_mov_b32_e32 v132, v27 /*v283*/
	s_set_vgpr_msb 0                        ;  msbs: dst=0 src0=0 src1=0 src2=0
	s_delay_alu instid0(VALU_DEP_1) | instskip(SKIP_1) | instid1(VALU_DEP_1)
	v_pk_mul_f32 v[130:131], v[130:131], v[132:133] op_sel_hi:[1,0]
	s_set_vgpr_msb 4                        ;  msbs: dst=0 src0=0 src1=1 src2=0
	v_pk_fma_f32 v[132:133], v[138:139], v[26:27] /*v[282:283]*/, v[130:131] neg_lo:[0,0,1] neg_hi:[0,0,1]
	v_pk_fma_f32 v[130:131], v[138:139], v[26:27] /*v[282:283]*/, v[130:131] op_sel_hi:[1,0,1]
	s_delay_alu instid0(VALU_DEP_1) | instskip(SKIP_3) | instid1(VALU_DEP_2)
	v_mov_b32_e32 v133, v131
	s_wait_loadcnt_dscnt 0x0
	v_pk_mul_f32 v[130:131], v[140:141], v[28:29] /*v[284:285]*/ op_sel:[1,1] op_sel_hi:[0,1]
	s_set_vgpr_msb 0                        ;  msbs: dst=0 src0=0 src1=0 src2=0
	v_pk_add_f32 v[128:129], v[128:129], v[132:133]
	s_set_vgpr_msb 4                        ;  msbs: dst=0 src0=0 src1=1 src2=0
	s_delay_alu instid0(VALU_DEP_2) | instskip(SKIP_1) | instid1(VALU_DEP_1)
	v_pk_fma_f32 v[132:133], v[140:141], v[28:29] /*v[284:285]*/, v[130:131] neg_lo:[0,0,1] neg_hi:[0,0,1]
	v_pk_fma_f32 v[130:131], v[140:141], v[28:29] /*v[284:285]*/, v[130:131] op_sel_hi:[1,0,1]
	v_dual_mov_b32 v130, v143 :: v_dual_mov_b32 v133, v131
	v_mov_b32_e32 v131, v142
	s_set_vgpr_msb 0                        ;  msbs: dst=0 src0=0 src1=0 src2=0
	s_delay_alu instid0(VALU_DEP_2) | instskip(SKIP_3) | instid1(VALU_DEP_1)
	v_pk_add_f32 v[128:129], v[128:129], v[132:133]
	s_set_vgpr_msb 1                        ;  msbs: dst=0 src0=1 src1=0 src2=0
	v_mov_b32_e32 v132, v31 /*v287*/
	s_set_vgpr_msb 0                        ;  msbs: dst=0 src0=0 src1=0 src2=0
	v_pk_mul_f32 v[130:131], v[130:131], v[132:133] op_sel_hi:[1,0]
	s_set_vgpr_msb 4                        ;  msbs: dst=0 src0=0 src1=1 src2=0
	s_delay_alu instid0(VALU_DEP_1) | instskip(SKIP_1) | instid1(VALU_DEP_1)
	v_pk_fma_f32 v[132:133], v[142:143], v[30:31] /*v[286:287]*/, v[130:131] neg_lo:[0,0,1] neg_hi:[0,0,1]
	v_pk_fma_f32 v[130:131], v[142:143], v[30:31] /*v[286:287]*/, v[130:131] op_sel_hi:[1,0,1]
	v_mov_b32_e32 v133, v131
	scratch_load_b64 v[130:131], off, off offset:144
	s_set_vgpr_msb 0                        ;  msbs: dst=0 src0=0 src1=0 src2=0
	v_pk_add_f32 v[128:129], v[128:129], v[132:133]
	s_wait_loadcnt 0x0
	s_delay_alu instid0(VALU_DEP_1)
	v_pk_add_f32 v[128:129], v[130:131], v[128:129] neg_lo:[0,1] neg_hi:[0,1]
	scratch_store_b64 off, v[128:129], off offset:144
	s_wait_xcnt 0x0
	v_cmpx_lt_u32_e32 17, v0
	s_cbranch_execz .LBB126_357
; %bb.356:
	scratch_load_b64 v[128:129], off, off offset:136
	v_mov_b64_e32 v[130:131], 0
	scratch_store_b64 off, v[130:131], off offset:136
	s_wait_loadcnt 0x0
	ds_store_b64 v1, v[128:129]
.LBB126_357:
	s_wait_xcnt 0x0
	s_or_b32 exec_lo, exec_lo, s0
	v_mov_b32_e32 v7, 0
	s_wait_storecnt_dscnt 0x0
	s_barrier_signal -1
	s_barrier_wait -1
	ds_load_b128 v[128:131], v7 offset:656
	ds_load_b128 v[132:135], v7 offset:672
	;; [unrolled: 1-line block ×4, first 2 shown]
	s_clause 0x13
	scratch_load_b128 v[144:147], off, off offset:144
	scratch_load_b128 v[148:151], off, off offset:160
	;; [unrolled: 1-line block ×16, first 2 shown]
	s_set_vgpr_msb 64                       ;  msbs: dst=1 src0=0 src1=0 src2=0
	scratch_load_b128 v[4:7] /*v[260:263]*/, off, off offset:400
	scratch_load_b128 v[12:15] /*v[268:271]*/, off, off offset:416
	;; [unrolled: 1-line block ×3, first 2 shown]
	s_mov_b32 s0, exec_lo
	s_wait_loadcnt_dscnt 0x1203
	s_set_vgpr_msb 0                        ;  msbs: dst=0 src0=0 src1=0 src2=0
	v_mul_f32_e32 v9, v128, v145
	ds_load_b128 v[160:163], v7 offset:720
	ds_load_b128 v[168:171], v7 offset:736
	;; [unrolled: 1-line block ×4, first 2 shown]
	v_dual_fmac_f32 v9, v129, v144 :: v_dual_mul_f32 v11, v130, v147
	ds_load_b128 v[192:195], v7 offset:784
	ds_load_b128 v[200:203], v7 offset:800
	;; [unrolled: 1-line block ×4, first 2 shown]
	v_dual_add_f32 v9, 0, v9 :: v_dual_fmac_f32 v11, v131, v146
	ds_load_b128 v[224:227], v7 offset:848
	ds_load_b128 v[232:235], v7 offset:864
	;; [unrolled: 1-line block ×4, first 2 shown]
	s_wait_loadcnt_dscnt 0x110e
	v_dual_add_f32 v9, v9, v11 :: v_dual_mul_f32 v11, v132, v149
	s_set_vgpr_msb 64                       ;  msbs: dst=1 src0=0 src1=0 src2=0
	ds_load_b128 v[0:3] /*v[256:259]*/, v7 offset:912
	ds_load_b128 v[8:11] /*v[264:267]*/, v7 offset:928
	;; [unrolled: 1-line block ×3, first 2 shown]
	s_clause 0x3
	scratch_load_b128 v[24:27] /*v[280:283]*/, off, off offset:448
	scratch_load_b128 v[28:31] /*v[284:287]*/, off, off offset:464
	;; [unrolled: 1-line block ×3, first 2 shown]
	scratch_load_b64 v[42:43] /*v[298:299]*/, off, off offset:496
	s_set_vgpr_msb 0                        ;  msbs: dst=0 src0=0 src1=0 src2=0
	v_fmac_f32_e32 v11, v133, v148
	s_delay_alu instid0(VALU_DEP_1) | instskip(SKIP_1) | instid1(VALU_DEP_1)
	v_add_f32_e32 v9, v9, v11
	v_mul_f32_e32 v11, v134, v151
	v_fmac_f32_e32 v11, v135, v150
	s_wait_loadcnt_dscnt 0x1410
	s_delay_alu instid0(VALU_DEP_1)
	v_dual_add_f32 v9, v9, v11 :: v_dual_mul_f32 v11, v136, v153
	s_wait_loadcnt_dscnt 0x400
	s_set_vgpr_msb 0x45                     ;  msbs: dst=1 src0=1 src1=1 src2=0
	v_dual_mul_f32 v39 /*v295*/, v10 /*v266*/, v15 /*v271*/ :: v_dual_mul_f32 v41 /*v297*/, v16 /*v272*/, v21 /*v277*/
	s_set_vgpr_msb 0                        ;  msbs: dst=0 src0=0 src1=0 src2=0
	v_fmac_f32_e32 v11, v137, v152
	s_set_vgpr_msb 0x45                     ;  msbs: dst=1 src0=1 src1=1 src2=0
	s_delay_alu instid0(VALU_DEP_2) | instskip(SKIP_1) | instid1(VALU_DEP_2)
	v_dual_fmac_f32 v39 /*v295*/, v11 /*v267*/, v14 /*v270*/ :: v_dual_fmac_f32 v41 /*v297*/, v17 /*v273*/, v20 /*v276*/
	s_set_vgpr_msb 0                        ;  msbs: dst=0 src0=0 src1=0 src2=0
	v_add_f32_e32 v9, v9, v11
	v_mul_f32_e32 v11, v138, v155
	s_delay_alu instid0(VALU_DEP_1) | instskip(NEXT) | instid1(VALU_DEP_1)
	v_fmac_f32_e32 v11, v139, v154
	v_dual_add_f32 v9, v9, v11 :: v_dual_mul_f32 v11, v140, v157
	s_delay_alu instid0(VALU_DEP_1) | instskip(NEXT) | instid1(VALU_DEP_1)
	v_fmac_f32_e32 v11, v141, v156
	v_add_f32_e32 v9, v9, v11
	v_mul_f32_e32 v11, v142, v159
	s_delay_alu instid0(VALU_DEP_1) | instskip(NEXT) | instid1(VALU_DEP_1)
	v_fmac_f32_e32 v11, v143, v158
	v_dual_add_f32 v9, v9, v11 :: v_dual_mul_f32 v11, v160, v165
	s_delay_alu instid0(VALU_DEP_1) | instskip(NEXT) | instid1(VALU_DEP_1)
	v_fmac_f32_e32 v11, v161, v164
	;; [unrolled: 7-line block ×13, first 2 shown]
	v_add_f32_e32 v9, v9, v11
	v_mul_f32_e32 v11, v250, v255
	s_delay_alu instid0(VALU_DEP_1) | instskip(NEXT) | instid1(VALU_DEP_1)
	v_fmac_f32_e32 v11, v251, v254
	v_add_f32_e32 v9, v9, v11
	s_set_vgpr_msb 5                        ;  msbs: dst=0 src0=1 src1=1 src2=0
	v_mul_f32_e32 v11, v0 /*v256*/, v5 /*v261*/
	s_delay_alu instid0(VALU_DEP_1) | instskip(SKIP_1) | instid1(VALU_DEP_1)
	v_fmac_f32_e32 v11, v1 /*v257*/, v4 /*v260*/
	s_set_vgpr_msb 0                        ;  msbs: dst=0 src0=0 src1=0 src2=0
	v_add_f32_e32 v9, v9, v11
	s_set_vgpr_msb 5                        ;  msbs: dst=0 src0=1 src1=1 src2=0
	v_mul_f32_e32 v11, v2 /*v258*/, v7 /*v263*/
	s_delay_alu instid0(VALU_DEP_1) | instskip(SKIP_1) | instid1(VALU_DEP_1)
	v_fmac_f32_e32 v11, v3 /*v259*/, v6 /*v262*/
	s_set_vgpr_msb 0                        ;  msbs: dst=0 src0=0 src1=0 src2=0
	v_add_f32_e32 v9, v9, v11
	s_set_vgpr_msb 5                        ;  msbs: dst=0 src0=1 src1=1 src2=0
	v_mul_f32_e32 v11, v8 /*v264*/, v13 /*v269*/
	s_delay_alu instid0(VALU_DEP_1) | instskip(SKIP_1) | instid1(VALU_DEP_1)
	v_fmac_f32_e32 v11, v9 /*v265*/, v12 /*v268*/
	s_set_vgpr_msb 64                       ;  msbs: dst=1 src0=0 src1=0 src2=0
	v_add_f32_e32 v37 /*v293*/, v9, v11
	s_set_vgpr_msb 0                        ;  msbs: dst=0 src0=0 src1=0 src2=0
	v_dual_mul_f32 v9, v129, v145 :: v_dual_mul_f32 v11, v131, v147
	s_set_vgpr_msb 1                        ;  msbs: dst=0 src0=1 src1=0 src2=0
	v_mov_b32_e32 v145, v18 /*v274*/
	s_set_vgpr_msb 0                        ;  msbs: dst=0 src0=0 src1=0 src2=0
	s_delay_alu instid0(VALU_DEP_2) | instskip(SKIP_2) | instid1(VALU_DEP_2)
	v_dual_fma_f32 v9, v128, v144, -v9 :: v_dual_fma_f32 v11, v130, v146, -v11
	s_set_vgpr_msb 1                        ;  msbs: dst=0 src0=1 src1=0 src2=0
	v_dual_mov_b32 v144, v19 /*v275*/ :: v_dual_mov_b32 v146, v23 /*v279*/
	v_add_f32_e32 v9, 0, v9
	s_set_vgpr_msb 0                        ;  msbs: dst=0 src0=0 src1=0 src2=0
	s_delay_alu instid0(VALU_DEP_2) | instskip(NEXT) | instid1(VALU_DEP_2)
	v_pk_mul_f32 v[144:145], v[144:145], v[146:147] op_sel_hi:[1,0]
	v_add_f32_e32 v9, v9, v11
	v_mul_f32_e32 v11, v133, v149
	s_set_vgpr_msb 5                        ;  msbs: dst=0 src0=1 src1=1 src2=0
	s_delay_alu instid0(VALU_DEP_3) | instskip(SKIP_2) | instid1(VALU_DEP_1)
	v_pk_fma_f32 v[146:147], v[18:19] /*v[274:275]*/, v[22:23] /*v[278:279]*/, v[144:145] neg_lo:[0,0,1] neg_hi:[0,0,1]
	v_pk_fma_f32 v[144:145], v[18:19] /*v[274:275]*/, v[22:23] /*v[278:279]*/, v[144:145] op_sel_hi:[1,0,1]
	s_set_vgpr_msb 0                        ;  msbs: dst=0 src0=0 src1=0 src2=0
	v_dual_fma_f32 v11, v132, v148, -v11 :: v_dual_mov_b32 v147, v145
	s_delay_alu instid0(VALU_DEP_1) | instskip(SKIP_1) | instid1(VALU_DEP_1)
	v_add_f32_e32 v9, v9, v11
	v_mul_f32_e32 v11, v135, v151
	v_fma_f32 v11, v134, v150, -v11
	s_delay_alu instid0(VALU_DEP_1) | instskip(SKIP_1) | instid1(VALU_DEP_1)
	v_add_f32_e32 v9, v9, v11
	v_mul_f32_e32 v11, v137, v153
	v_fma_f32 v11, v136, v152, -v11
	;; [unrolled: 4-line block ×4, first 2 shown]
	ds_load_b128 v[128:131], v7 offset:960
	ds_load_b128 v[132:135], v7 offset:976
	;; [unrolled: 1-line block ×3, first 2 shown]
	ds_load_b64 v[140:141], v7 offset:1008
	v_add_f32_e32 v9, v9, v11
	v_mul_f32_e32 v11, v143, v159
	s_delay_alu instid0(VALU_DEP_1) | instskip(NEXT) | instid1(VALU_DEP_1)
	v_fma_f32 v11, v142, v158, -v11
	v_add_f32_e32 v9, v9, v11
	v_mul_f32_e32 v11, v161, v165
	s_wait_loadcnt_dscnt 0x303
	s_set_vgpr_msb 4                        ;  msbs: dst=0 src0=0 src1=1 src2=0
	v_pk_mul_f32 v[144:145], v[128:129], v[24:25] /*v[280:281]*/ op_sel:[1,1] op_sel_hi:[0,1]
	s_set_vgpr_msb 0                        ;  msbs: dst=0 src0=0 src1=0 src2=0
	v_fma_f32 v11, v160, v164, -v11
	s_delay_alu instid0(VALU_DEP_1) | instskip(SKIP_1) | instid1(VALU_DEP_1)
	v_add_f32_e32 v9, v9, v11
	v_mul_f32_e32 v11, v163, v167
	v_fma_f32 v11, v162, v166, -v11
	s_delay_alu instid0(VALU_DEP_1) | instskip(SKIP_1) | instid1(VALU_DEP_1)
	v_add_f32_e32 v9, v9, v11
	v_mul_f32_e32 v11, v169, v173
	;; [unrolled: 4-line block ×23, first 2 shown]
	v_fma_f32 v11, v250, v254, -v11
	s_delay_alu instid0(VALU_DEP_1) | instskip(SKIP_2) | instid1(VALU_DEP_1)
	v_add_f32_e32 v9, v9, v11
	s_set_vgpr_msb 5                        ;  msbs: dst=0 src0=1 src1=1 src2=0
	v_mul_f32_e32 v11, v1 /*v257*/, v5 /*v261*/
	v_fma_f32 v11, v0 /*v256*/, v4 /*v260*/, -v11
	s_set_vgpr_msb 0                        ;  msbs: dst=0 src0=0 src1=0 src2=0
	s_delay_alu instid0(VALU_DEP_1) | instskip(SKIP_2) | instid1(VALU_DEP_1)
	v_add_f32_e32 v9, v9, v11
	s_set_vgpr_msb 5                        ;  msbs: dst=0 src0=1 src1=1 src2=0
	v_mul_f32_e32 v11, v3 /*v259*/, v7 /*v263*/
	v_fma_f32 v11, v2 /*v258*/, v6 /*v262*/, -v11
	s_set_vgpr_msb 0                        ;  msbs: dst=0 src0=0 src1=0 src2=0
	s_delay_alu instid0(VALU_DEP_1) | instskip(SKIP_2) | instid1(VALU_DEP_1)
	v_add_f32_e32 v9, v9, v11
	s_set_vgpr_msb 5                        ;  msbs: dst=0 src0=1 src1=1 src2=0
	v_mul_f32_e32 v11, v9 /*v265*/, v13 /*v269*/
	v_fma_f32 v11, v8 /*v264*/, v12 /*v268*/, -v11
	s_set_vgpr_msb 64                       ;  msbs: dst=1 src0=0 src1=0 src2=0
	s_delay_alu instid0(VALU_DEP_1) | instskip(SKIP_3) | instid1(VALU_DEP_1)
	v_add_f32_e32 v36 /*v292*/, v9, v11
	s_set_vgpr_msb 5                        ;  msbs: dst=0 src0=1 src1=1 src2=0
	v_mul_f32_e32 v9, v11 /*v267*/, v15 /*v271*/
	s_set_vgpr_msb 0x45                     ;  msbs: dst=1 src0=1 src1=1 src2=0
	v_fma_f32 v38 /*v294*/, v10 /*v266*/, v14 /*v270*/, -v9
	s_set_vgpr_msb 5                        ;  msbs: dst=0 src0=1 src1=1 src2=0
	v_mul_f32_e32 v9, v17 /*v273*/, v21 /*v277*/
	s_set_vgpr_msb 0x45                     ;  msbs: dst=1 src0=1 src1=1 src2=0
	s_delay_alu instid0(VALU_DEP_1) | instskip(SKIP_3) | instid1(VALU_DEP_1)
	v_fma_f32 v40 /*v296*/, v16 /*v272*/, v20 /*v276*/, -v9
	s_set_vgpr_msb 5                        ;  msbs: dst=0 src0=1 src1=1 src2=0
	v_pk_add_f32 v[142:143], v[36:37] /*v[292:293]*/, v[38:39] /*v[294:295]*/
	s_set_vgpr_msb 4                        ;  msbs: dst=0 src0=0 src1=1 src2=0
	v_pk_add_f32 v[142:143], v[142:143], v[40:41] /*v[296:297]*/
	s_set_vgpr_msb 0                        ;  msbs: dst=0 src0=0 src1=0 src2=0
	s_delay_alu instid0(VALU_DEP_1)
	v_pk_add_f32 v[142:143], v[142:143], v[146:147]
	s_set_vgpr_msb 4                        ;  msbs: dst=0 src0=0 src1=1 src2=0
	v_pk_fma_f32 v[146:147], v[128:129], v[24:25] /*v[280:281]*/, v[144:145] neg_lo:[0,0,1] neg_hi:[0,0,1]
	v_pk_fma_f32 v[128:129], v[128:129], v[24:25] /*v[280:281]*/, v[144:145] op_sel_hi:[1,0,1]
	s_set_vgpr_msb 1                        ;  msbs: dst=0 src0=1 src1=0 src2=0
	v_mov_b32_e32 v144, v27 /*v283*/
	s_set_vgpr_msb 0                        ;  msbs: dst=0 src0=0 src1=0 src2=0
	s_delay_alu instid0(VALU_DEP_2) | instskip(NEXT) | instid1(VALU_DEP_1)
	v_mov_b32_e32 v147, v129
	v_pk_add_f32 v[128:129], v[142:143], v[146:147]
	v_dual_mov_b32 v142, v131 :: v_dual_mov_b32 v143, v130
	s_delay_alu instid0(VALU_DEP_1) | instskip(SKIP_1) | instid1(VALU_DEP_1)
	v_pk_mul_f32 v[142:143], v[142:143], v[144:145] op_sel_hi:[1,0]
	s_set_vgpr_msb 4                        ;  msbs: dst=0 src0=0 src1=1 src2=0
	v_pk_fma_f32 v[144:145], v[130:131], v[26:27] /*v[282:283]*/, v[142:143] neg_lo:[0,0,1] neg_hi:[0,0,1]
	v_pk_fma_f32 v[130:131], v[130:131], v[26:27] /*v[282:283]*/, v[142:143] op_sel_hi:[1,0,1]
	s_delay_alu instid0(VALU_DEP_1) | instskip(SKIP_3) | instid1(VALU_DEP_2)
	v_mov_b32_e32 v145, v131
	s_wait_loadcnt_dscnt 0x202
	v_pk_mul_f32 v[130:131], v[132:133], v[28:29] /*v[284:285]*/ op_sel:[1,1] op_sel_hi:[0,1]
	s_set_vgpr_msb 0                        ;  msbs: dst=0 src0=0 src1=0 src2=0
	v_pk_add_f32 v[128:129], v[128:129], v[144:145]
	s_set_vgpr_msb 4                        ;  msbs: dst=0 src0=0 src1=1 src2=0
	s_delay_alu instid0(VALU_DEP_2)
	v_pk_fma_f32 v[142:143], v[132:133], v[28:29] /*v[284:285]*/, v[130:131] neg_lo:[0,0,1] neg_hi:[0,0,1]
	v_pk_fma_f32 v[130:131], v[132:133], v[28:29] /*v[284:285]*/, v[130:131] op_sel_hi:[1,0,1]
	v_mov_b32_e32 v130, v135
	s_set_vgpr_msb 1                        ;  msbs: dst=0 src0=1 src1=0 src2=0
	v_mov_b32_e32 v132, v31 /*v287*/
	s_set_vgpr_msb 0                        ;  msbs: dst=0 src0=0 src1=0 src2=0
	v_dual_mov_b32 v143, v131 :: v_dual_mov_b32 v131, v134
	s_delay_alu instid0(VALU_DEP_1) | instskip(NEXT) | instid1(VALU_DEP_2)
	v_pk_add_f32 v[128:129], v[128:129], v[142:143]
	v_pk_mul_f32 v[130:131], v[130:131], v[132:133] op_sel_hi:[1,0]
	s_set_vgpr_msb 4                        ;  msbs: dst=0 src0=0 src1=1 src2=0
	s_delay_alu instid0(VALU_DEP_1) | instskip(SKIP_1) | instid1(VALU_DEP_1)
	v_pk_fma_f32 v[132:133], v[134:135], v[30:31] /*v[286:287]*/, v[130:131] neg_lo:[0,0,1] neg_hi:[0,0,1]
	v_pk_fma_f32 v[130:131], v[134:135], v[30:31] /*v[286:287]*/, v[130:131] op_sel_hi:[1,0,1]
	v_mov_b32_e32 v133, v131
	s_wait_loadcnt_dscnt 0x101
	v_pk_mul_f32 v[130:131], v[136:137], v[32:33] /*v[288:289]*/ op_sel:[1,1] op_sel_hi:[0,1]
	s_set_vgpr_msb 0                        ;  msbs: dst=0 src0=0 src1=0 src2=0
	s_delay_alu instid0(VALU_DEP_2) | instskip(SKIP_1) | instid1(VALU_DEP_2)
	v_pk_add_f32 v[128:129], v[128:129], v[132:133]
	s_set_vgpr_msb 4                        ;  msbs: dst=0 src0=0 src1=1 src2=0
	v_pk_fma_f32 v[132:133], v[136:137], v[32:33] /*v[288:289]*/, v[130:131] neg_lo:[0,0,1] neg_hi:[0,0,1]
	v_pk_fma_f32 v[130:131], v[136:137], v[32:33] /*v[288:289]*/, v[130:131] op_sel_hi:[1,0,1]
	s_delay_alu instid0(VALU_DEP_1) | instskip(SKIP_2) | instid1(VALU_DEP_2)
	v_dual_mov_b32 v130, v139 :: v_dual_mov_b32 v133, v131
	v_mov_b32_e32 v131, v138
	s_set_vgpr_msb 0                        ;  msbs: dst=0 src0=0 src1=0 src2=0
	v_pk_add_f32 v[128:129], v[128:129], v[132:133]
	s_set_vgpr_msb 1                        ;  msbs: dst=0 src0=1 src1=0 src2=0
	v_mov_b32_e32 v132, v35 /*v291*/
	s_set_vgpr_msb 0                        ;  msbs: dst=0 src0=0 src1=0 src2=0
	s_delay_alu instid0(VALU_DEP_1) | instskip(SKIP_1) | instid1(VALU_DEP_1)
	v_pk_mul_f32 v[130:131], v[130:131], v[132:133] op_sel_hi:[1,0]
	s_set_vgpr_msb 4                        ;  msbs: dst=0 src0=0 src1=1 src2=0
	v_pk_fma_f32 v[132:133], v[138:139], v[34:35] /*v[290:291]*/, v[130:131] neg_lo:[0,0,1] neg_hi:[0,0,1]
	v_pk_fma_f32 v[130:131], v[138:139], v[34:35] /*v[290:291]*/, v[130:131] op_sel_hi:[1,0,1]
	s_delay_alu instid0(VALU_DEP_1) | instskip(SKIP_3) | instid1(VALU_DEP_2)
	v_mov_b32_e32 v133, v131
	s_wait_loadcnt_dscnt 0x0
	v_pk_mul_f32 v[130:131], v[140:141], v[42:43] /*v[298:299]*/ op_sel:[1,1] op_sel_hi:[0,1]
	s_set_vgpr_msb 0                        ;  msbs: dst=0 src0=0 src1=0 src2=0
	v_pk_add_f32 v[128:129], v[128:129], v[132:133]
	s_set_vgpr_msb 4                        ;  msbs: dst=0 src0=0 src1=1 src2=0
	s_delay_alu instid0(VALU_DEP_2) | instskip(SKIP_1) | instid1(VALU_DEP_1)
	v_pk_fma_f32 v[132:133], v[140:141], v[42:43] /*v[298:299]*/, v[130:131] neg_lo:[0,0,1] neg_hi:[0,0,1]
	v_pk_fma_f32 v[130:131], v[140:141], v[42:43] /*v[298:299]*/, v[130:131] op_sel_hi:[1,0,1]
	v_mov_b32_e32 v133, v131
	scratch_load_b64 v[130:131], off, off offset:136
	s_set_vgpr_msb 0                        ;  msbs: dst=0 src0=0 src1=0 src2=0
	v_pk_add_f32 v[128:129], v[128:129], v[132:133]
	s_wait_loadcnt 0x0
	s_delay_alu instid0(VALU_DEP_1)
	v_pk_add_f32 v[128:129], v[130:131], v[128:129] neg_lo:[0,1] neg_hi:[0,1]
	scratch_store_b64 off, v[128:129], off offset:136
	s_wait_xcnt 0x0
	v_cmpx_lt_u32_e32 16, v0
	s_cbranch_execz .LBB126_359
; %bb.358:
	scratch_load_b64 v[128:129], off, off offset:128
	v_mov_b64_e32 v[130:131], 0
	scratch_store_b64 off, v[130:131], off offset:128
	s_wait_loadcnt 0x0
	ds_store_b64 v1, v[128:129]
.LBB126_359:
	s_wait_xcnt 0x0
	s_or_b32 exec_lo, exec_lo, s0
	s_wait_storecnt_dscnt 0x0
	s_barrier_signal -1
	s_barrier_wait -1
	s_clause 0xf
	scratch_load_b128 v[132:135], off, off offset:136
	scratch_load_b128 v[140:143], off, off offset:152
	;; [unrolled: 1-line block ×16, first 2 shown]
	ds_load_2addr_b64 v[128:131], v7 offset0:81 offset1:82
	ds_load_2addr_b64 v[136:139], v7 offset0:83 offset1:84
	s_set_vgpr_msb 64                       ;  msbs: dst=1 src0=0 src1=0 src2=0
	s_clause 0x1
	scratch_load_b128 v[4:7] /*v[260:263]*/, off, off offset:392
	scratch_load_b128 v[12:15] /*v[268:271]*/, off, off offset:408
	s_set_vgpr_msb 0                        ;  msbs: dst=0 src0=0 src1=0 src2=0
	ds_load_2addr_b64 v[144:147], v7 offset0:85 offset1:86
	ds_load_2addr_b64 v[152:155], v7 offset0:87 offset1:88
	;; [unrolled: 1-line block ×14, first 2 shown]
	s_set_vgpr_msb 64                       ;  msbs: dst=1 src0=0 src1=0 src2=0
	ds_load_2addr_b64 v[0:3] /*v[256:259]*/, v7 offset0:113 offset1:114
	ds_load_2addr_b64 v[8:11] /*v[264:267]*/, v7 offset0:115 offset1:116
	;; [unrolled: 1-line block ×3, first 2 shown]
	s_clause 0x4
	scratch_load_b128 v[20:23] /*v[276:279]*/, off, off offset:424
	scratch_load_b128 v[24:27] /*v[280:283]*/, off, off offset:440
	;; [unrolled: 1-line block ×5, first 2 shown]
	s_mov_b32 s0, exec_lo
	s_wait_loadcnt_dscnt 0x1612
	s_set_vgpr_msb 0                        ;  msbs: dst=0 src0=0 src1=0 src2=0
	v_dual_mul_f32 v9, v128, v133 :: v_dual_mul_f32 v11, v130, v135
	s_delay_alu instid0(VALU_DEP_1) | instskip(NEXT) | instid1(VALU_DEP_1)
	v_dual_fmac_f32 v9, v129, v132 :: v_dual_fmac_f32 v11, v131, v134
	v_add_f32_e32 v9, 0, v9
	s_wait_loadcnt_dscnt 0x1511
	s_delay_alu instid0(VALU_DEP_1) | instskip(NEXT) | instid1(VALU_DEP_1)
	v_dual_add_f32 v9, v9, v11 :: v_dual_mul_f32 v11, v136, v141
	v_fmac_f32_e32 v11, v137, v140
	s_delay_alu instid0(VALU_DEP_1) | instskip(SKIP_1) | instid1(VALU_DEP_1)
	v_add_f32_e32 v9, v9, v11
	v_mul_f32_e32 v11, v138, v143
	v_fmac_f32_e32 v11, v139, v142
	s_wait_loadcnt_dscnt 0x1410
	s_delay_alu instid0(VALU_DEP_1)
	v_dual_add_f32 v9, v9, v11 :: v_dual_mul_f32 v11, v144, v149
	s_wait_loadcnt_dscnt 0x400
	s_set_vgpr_msb 0x45                     ;  msbs: dst=1 src0=1 src1=1 src2=0
	v_dual_mul_f32 v43 /*v299*/, v16 /*v272*/, v21 /*v277*/ :: v_dual_mul_f32 v45 /*v301*/, v18 /*v274*/, v23 /*v279*/
	s_set_vgpr_msb 0                        ;  msbs: dst=0 src0=0 src1=0 src2=0
	v_fmac_f32_e32 v11, v145, v148
	s_set_vgpr_msb 0x45                     ;  msbs: dst=1 src0=1 src1=1 src2=0
	s_delay_alu instid0(VALU_DEP_2) | instskip(SKIP_1) | instid1(VALU_DEP_2)
	v_dual_fmac_f32 v43 /*v299*/, v17 /*v273*/, v20 /*v276*/ :: v_dual_fmac_f32 v45 /*v301*/, v19 /*v275*/, v22 /*v278*/
	s_set_vgpr_msb 0                        ;  msbs: dst=0 src0=0 src1=0 src2=0
	v_add_f32_e32 v9, v9, v11
	v_mul_f32_e32 v11, v146, v151
	s_delay_alu instid0(VALU_DEP_1) | instskip(NEXT) | instid1(VALU_DEP_1)
	v_fmac_f32_e32 v11, v147, v150
	v_dual_add_f32 v9, v9, v11 :: v_dual_mul_f32 v11, v152, v157
	s_delay_alu instid0(VALU_DEP_1) | instskip(NEXT) | instid1(VALU_DEP_1)
	v_fmac_f32_e32 v11, v153, v156
	v_add_f32_e32 v9, v9, v11
	v_mul_f32_e32 v11, v154, v159
	s_delay_alu instid0(VALU_DEP_1) | instskip(NEXT) | instid1(VALU_DEP_1)
	v_fmac_f32_e32 v11, v155, v158
	v_dual_add_f32 v9, v9, v11 :: v_dual_mul_f32 v11, v160, v165
	s_delay_alu instid0(VALU_DEP_1) | instskip(NEXT) | instid1(VALU_DEP_1)
	v_fmac_f32_e32 v11, v161, v164
	;; [unrolled: 7-line block ×13, first 2 shown]
	v_add_f32_e32 v9, v9, v11
	v_mul_f32_e32 v11, v250, v255
	s_delay_alu instid0(VALU_DEP_1) | instskip(NEXT) | instid1(VALU_DEP_1)
	v_fmac_f32_e32 v11, v251, v254
	v_add_f32_e32 v9, v9, v11
	s_set_vgpr_msb 5                        ;  msbs: dst=0 src0=1 src1=1 src2=0
	v_mul_f32_e32 v11, v0 /*v256*/, v5 /*v261*/
	s_delay_alu instid0(VALU_DEP_1) | instskip(SKIP_1) | instid1(VALU_DEP_1)
	v_fmac_f32_e32 v11, v1 /*v257*/, v4 /*v260*/
	s_set_vgpr_msb 0                        ;  msbs: dst=0 src0=0 src1=0 src2=0
	v_add_f32_e32 v9, v9, v11
	s_set_vgpr_msb 5                        ;  msbs: dst=0 src0=1 src1=1 src2=0
	v_mul_f32_e32 v11, v2 /*v258*/, v7 /*v263*/
	s_delay_alu instid0(VALU_DEP_1) | instskip(SKIP_1) | instid1(VALU_DEP_1)
	v_fmac_f32_e32 v11, v3 /*v259*/, v6 /*v262*/
	s_set_vgpr_msb 0                        ;  msbs: dst=0 src0=0 src1=0 src2=0
	;; [unrolled: 6-line block ×3, first 2 shown]
	v_add_f32_e32 v9, v9, v11
	s_set_vgpr_msb 5                        ;  msbs: dst=0 src0=1 src1=1 src2=0
	v_mul_f32_e32 v11, v10 /*v266*/, v15 /*v271*/
	s_delay_alu instid0(VALU_DEP_1) | instskip(SKIP_1) | instid1(VALU_DEP_1)
	v_fmac_f32_e32 v11, v11 /*v267*/, v14 /*v270*/
	s_set_vgpr_msb 64                       ;  msbs: dst=1 src0=0 src1=0 src2=0
	v_add_f32_e32 v41 /*v297*/, v9, v11
	s_set_vgpr_msb 0                        ;  msbs: dst=0 src0=0 src1=0 src2=0
	v_dual_mul_f32 v9, v129, v133 :: v_dual_mul_f32 v11, v131, v135
	s_delay_alu instid0(VALU_DEP_1) | instskip(NEXT) | instid1(VALU_DEP_1)
	v_dual_fma_f32 v9, v128, v132, -v9 :: v_dual_fma_f32 v11, v130, v134, -v11
	v_add_f32_e32 v9, 0, v9
	s_delay_alu instid0(VALU_DEP_1) | instskip(SKIP_1) | instid1(VALU_DEP_1)
	v_add_f32_e32 v9, v9, v11
	v_mul_f32_e32 v11, v137, v141
	v_fma_f32 v11, v136, v140, -v11
	s_delay_alu instid0(VALU_DEP_1) | instskip(SKIP_1) | instid1(VALU_DEP_1)
	v_add_f32_e32 v9, v9, v11
	v_mul_f32_e32 v11, v139, v143
	v_fma_f32 v11, v138, v142, -v11
	ds_load_2addr_b64 v[128:131], v7 offset0:119 offset1:120
	ds_load_2addr_b64 v[132:135], v7 offset0:121 offset1:122
	;; [unrolled: 1-line block ×4, first 2 shown]
	v_add_f32_e32 v9, v9, v11
	v_mul_f32_e32 v11, v145, v149
	s_delay_alu instid0(VALU_DEP_1) | instskip(NEXT) | instid1(VALU_DEP_1)
	v_fma_f32 v11, v144, v148, -v11
	v_add_f32_e32 v9, v9, v11
	v_mul_f32_e32 v11, v147, v151
	s_delay_alu instid0(VALU_DEP_1)
	v_fma_f32 v11, v146, v150, -v11
	s_wait_loadcnt_dscnt 0x303
	s_set_vgpr_msb 4                        ;  msbs: dst=0 src0=0 src1=1 src2=0
	v_pk_mul_f32 v[146:147], v[128:129], v[24:25] /*v[280:281]*/ op_sel:[1,1] op_sel_hi:[0,1]
	s_set_vgpr_msb 0                        ;  msbs: dst=0 src0=0 src1=0 src2=0
	v_add_f32_e32 v9, v9, v11
	v_mul_f32_e32 v11, v153, v157
	s_set_vgpr_msb 4                        ;  msbs: dst=0 src0=0 src1=1 src2=0
	v_pk_fma_f32 v[148:149], v[128:129], v[24:25] /*v[280:281]*/, v[146:147] neg_lo:[0,0,1] neg_hi:[0,0,1]
	v_pk_fma_f32 v[128:129], v[128:129], v[24:25] /*v[280:281]*/, v[146:147] op_sel_hi:[1,0,1]
	s_set_vgpr_msb 1                        ;  msbs: dst=0 src0=1 src1=0 src2=0
	v_mov_b32_e32 v146, v27 /*v283*/
	s_set_vgpr_msb 0                        ;  msbs: dst=0 src0=0 src1=0 src2=0
	s_delay_alu instid0(VALU_DEP_2) | instskip(NEXT) | instid1(VALU_DEP_1)
	v_dual_fma_f32 v11, v152, v156, -v11 :: v_dual_mov_b32 v149, v129
	v_add_f32_e32 v9, v9, v11
	v_mul_f32_e32 v11, v155, v159
	s_delay_alu instid0(VALU_DEP_1) | instskip(NEXT) | instid1(VALU_DEP_1)
	v_fma_f32 v11, v154, v158, -v11
	v_add_f32_e32 v9, v9, v11
	v_mul_f32_e32 v11, v161, v165
	s_delay_alu instid0(VALU_DEP_1) | instskip(NEXT) | instid1(VALU_DEP_1)
	v_fma_f32 v11, v160, v164, -v11
	;; [unrolled: 4-line block ×25, first 2 shown]
	v_add_f32_e32 v9, v9, v11
	s_set_vgpr_msb 5                        ;  msbs: dst=0 src0=1 src1=1 src2=0
	v_mul_f32_e32 v11, v1 /*v257*/, v5 /*v261*/
	s_delay_alu instid0(VALU_DEP_1) | instskip(SKIP_1) | instid1(VALU_DEP_1)
	v_fma_f32 v11, v0 /*v256*/, v4 /*v260*/, -v11
	s_set_vgpr_msb 0                        ;  msbs: dst=0 src0=0 src1=0 src2=0
	v_add_f32_e32 v9, v9, v11
	s_set_vgpr_msb 5                        ;  msbs: dst=0 src0=1 src1=1 src2=0
	v_mul_f32_e32 v11, v3 /*v259*/, v7 /*v263*/
	s_delay_alu instid0(VALU_DEP_1) | instskip(SKIP_1) | instid1(VALU_DEP_1)
	v_fma_f32 v11, v2 /*v258*/, v6 /*v262*/, -v11
	s_set_vgpr_msb 0                        ;  msbs: dst=0 src0=0 src1=0 src2=0
	;; [unrolled: 6-line block ×3, first 2 shown]
	v_add_f32_e32 v9, v9, v11
	s_set_vgpr_msb 5                        ;  msbs: dst=0 src0=1 src1=1 src2=0
	v_mul_f32_e32 v11, v11 /*v267*/, v15 /*v271*/
	s_delay_alu instid0(VALU_DEP_1) | instskip(SKIP_1) | instid1(VALU_DEP_1)
	v_fma_f32 v11, v10 /*v266*/, v14 /*v270*/, -v11
	s_set_vgpr_msb 64                       ;  msbs: dst=1 src0=0 src1=0 src2=0
	v_add_f32_e32 v40 /*v296*/, v9, v11
	s_set_vgpr_msb 5                        ;  msbs: dst=0 src0=1 src1=1 src2=0
	v_mul_f32_e32 v9, v17 /*v273*/, v21 /*v277*/
	s_set_vgpr_msb 0x45                     ;  msbs: dst=1 src0=1 src1=1 src2=0
	s_delay_alu instid0(VALU_DEP_1) | instskip(SKIP_3) | instid1(VALU_DEP_1)
	v_fma_f32 v42 /*v298*/, v16 /*v272*/, v20 /*v276*/, -v9
	s_set_vgpr_msb 5                        ;  msbs: dst=0 src0=1 src1=1 src2=0
	v_mul_f32_e32 v9, v19 /*v275*/, v23 /*v279*/
	s_set_vgpr_msb 0x45                     ;  msbs: dst=1 src0=1 src1=1 src2=0
	v_fma_f32 v44 /*v300*/, v18 /*v274*/, v22 /*v278*/, -v9
	s_set_vgpr_msb 5                        ;  msbs: dst=0 src0=1 src1=1 src2=0
	v_pk_add_f32 v[144:145], v[40:41] /*v[296:297]*/, v[42:43] /*v[298:299]*/
	s_set_vgpr_msb 4                        ;  msbs: dst=0 src0=0 src1=1 src2=0
	s_delay_alu instid0(VALU_DEP_1) | instskip(SKIP_1) | instid1(VALU_DEP_1)
	v_pk_add_f32 v[144:145], v[144:145], v[44:45] /*v[300:301]*/
	s_set_vgpr_msb 0                        ;  msbs: dst=0 src0=0 src1=0 src2=0
	v_pk_add_f32 v[128:129], v[144:145], v[148:149]
	v_dual_mov_b32 v144, v131 :: v_dual_mov_b32 v145, v130
	s_delay_alu instid0(VALU_DEP_1) | instskip(SKIP_1) | instid1(VALU_DEP_1)
	v_pk_mul_f32 v[144:145], v[144:145], v[146:147] op_sel_hi:[1,0]
	s_set_vgpr_msb 4                        ;  msbs: dst=0 src0=0 src1=1 src2=0
	v_pk_fma_f32 v[146:147], v[130:131], v[26:27] /*v[282:283]*/, v[144:145] neg_lo:[0,0,1] neg_hi:[0,0,1]
	v_pk_fma_f32 v[130:131], v[130:131], v[26:27] /*v[282:283]*/, v[144:145] op_sel_hi:[1,0,1]
	s_delay_alu instid0(VALU_DEP_1) | instskip(SKIP_3) | instid1(VALU_DEP_2)
	v_mov_b32_e32 v147, v131
	s_wait_loadcnt_dscnt 0x202
	v_pk_mul_f32 v[130:131], v[132:133], v[28:29] /*v[284:285]*/ op_sel:[1,1] op_sel_hi:[0,1]
	s_set_vgpr_msb 0                        ;  msbs: dst=0 src0=0 src1=0 src2=0
	v_pk_add_f32 v[128:129], v[128:129], v[146:147]
	s_set_vgpr_msb 4                        ;  msbs: dst=0 src0=0 src1=1 src2=0
	s_delay_alu instid0(VALU_DEP_2)
	v_pk_fma_f32 v[144:145], v[132:133], v[28:29] /*v[284:285]*/, v[130:131] neg_lo:[0,0,1] neg_hi:[0,0,1]
	v_pk_fma_f32 v[130:131], v[132:133], v[28:29] /*v[284:285]*/, v[130:131] op_sel_hi:[1,0,1]
	v_mov_b32_e32 v130, v135
	s_set_vgpr_msb 1                        ;  msbs: dst=0 src0=1 src1=0 src2=0
	v_mov_b32_e32 v132, v31 /*v287*/
	s_set_vgpr_msb 0                        ;  msbs: dst=0 src0=0 src1=0 src2=0
	v_dual_mov_b32 v145, v131 :: v_dual_mov_b32 v131, v134
	s_delay_alu instid0(VALU_DEP_1) | instskip(NEXT) | instid1(VALU_DEP_2)
	v_pk_add_f32 v[128:129], v[128:129], v[144:145]
	v_pk_mul_f32 v[130:131], v[130:131], v[132:133] op_sel_hi:[1,0]
	s_set_vgpr_msb 4                        ;  msbs: dst=0 src0=0 src1=1 src2=0
	s_delay_alu instid0(VALU_DEP_1) | instskip(SKIP_1) | instid1(VALU_DEP_1)
	v_pk_fma_f32 v[132:133], v[134:135], v[30:31] /*v[286:287]*/, v[130:131] neg_lo:[0,0,1] neg_hi:[0,0,1]
	v_pk_fma_f32 v[130:131], v[134:135], v[30:31] /*v[286:287]*/, v[130:131] op_sel_hi:[1,0,1]
	v_mov_b32_e32 v133, v131
	s_wait_loadcnt_dscnt 0x101
	v_pk_mul_f32 v[130:131], v[136:137], v[32:33] /*v[288:289]*/ op_sel:[1,1] op_sel_hi:[0,1]
	s_set_vgpr_msb 0                        ;  msbs: dst=0 src0=0 src1=0 src2=0
	s_delay_alu instid0(VALU_DEP_2) | instskip(SKIP_1) | instid1(VALU_DEP_2)
	v_pk_add_f32 v[128:129], v[128:129], v[132:133]
	s_set_vgpr_msb 4                        ;  msbs: dst=0 src0=0 src1=1 src2=0
	v_pk_fma_f32 v[132:133], v[136:137], v[32:33] /*v[288:289]*/, v[130:131] neg_lo:[0,0,1] neg_hi:[0,0,1]
	v_pk_fma_f32 v[130:131], v[136:137], v[32:33] /*v[288:289]*/, v[130:131] op_sel_hi:[1,0,1]
	s_delay_alu instid0(VALU_DEP_1) | instskip(SKIP_2) | instid1(VALU_DEP_2)
	v_dual_mov_b32 v130, v139 :: v_dual_mov_b32 v133, v131
	v_mov_b32_e32 v131, v138
	s_set_vgpr_msb 0                        ;  msbs: dst=0 src0=0 src1=0 src2=0
	v_pk_add_f32 v[128:129], v[128:129], v[132:133]
	s_set_vgpr_msb 1                        ;  msbs: dst=0 src0=1 src1=0 src2=0
	v_mov_b32_e32 v132, v35 /*v291*/
	s_set_vgpr_msb 0                        ;  msbs: dst=0 src0=0 src1=0 src2=0
	s_delay_alu instid0(VALU_DEP_1) | instskip(SKIP_1) | instid1(VALU_DEP_1)
	v_pk_mul_f32 v[130:131], v[130:131], v[132:133] op_sel_hi:[1,0]
	s_set_vgpr_msb 4                        ;  msbs: dst=0 src0=0 src1=1 src2=0
	v_pk_fma_f32 v[132:133], v[138:139], v[34:35] /*v[290:291]*/, v[130:131] neg_lo:[0,0,1] neg_hi:[0,0,1]
	v_pk_fma_f32 v[130:131], v[138:139], v[34:35] /*v[290:291]*/, v[130:131] op_sel_hi:[1,0,1]
	s_delay_alu instid0(VALU_DEP_1) | instskip(SKIP_3) | instid1(VALU_DEP_2)
	v_mov_b32_e32 v133, v131
	s_wait_loadcnt_dscnt 0x0
	v_pk_mul_f32 v[130:131], v[140:141], v[36:37] /*v[292:293]*/ op_sel:[1,1] op_sel_hi:[0,1]
	s_set_vgpr_msb 0                        ;  msbs: dst=0 src0=0 src1=0 src2=0
	v_pk_add_f32 v[128:129], v[128:129], v[132:133]
	s_set_vgpr_msb 4                        ;  msbs: dst=0 src0=0 src1=1 src2=0
	s_delay_alu instid0(VALU_DEP_2) | instskip(SKIP_1) | instid1(VALU_DEP_1)
	v_pk_fma_f32 v[132:133], v[140:141], v[36:37] /*v[292:293]*/, v[130:131] neg_lo:[0,0,1] neg_hi:[0,0,1]
	v_pk_fma_f32 v[130:131], v[140:141], v[36:37] /*v[292:293]*/, v[130:131] op_sel_hi:[1,0,1]
	v_dual_mov_b32 v130, v143 :: v_dual_mov_b32 v133, v131
	v_mov_b32_e32 v131, v142
	s_set_vgpr_msb 0                        ;  msbs: dst=0 src0=0 src1=0 src2=0
	s_delay_alu instid0(VALU_DEP_2) | instskip(SKIP_3) | instid1(VALU_DEP_1)
	v_pk_add_f32 v[128:129], v[128:129], v[132:133]
	s_set_vgpr_msb 1                        ;  msbs: dst=0 src0=1 src1=0 src2=0
	v_mov_b32_e32 v132, v39 /*v295*/
	s_set_vgpr_msb 0                        ;  msbs: dst=0 src0=0 src1=0 src2=0
	v_pk_mul_f32 v[130:131], v[130:131], v[132:133] op_sel_hi:[1,0]
	s_set_vgpr_msb 4                        ;  msbs: dst=0 src0=0 src1=1 src2=0
	s_delay_alu instid0(VALU_DEP_1) | instskip(SKIP_1) | instid1(VALU_DEP_1)
	v_pk_fma_f32 v[132:133], v[142:143], v[38:39] /*v[294:295]*/, v[130:131] neg_lo:[0,0,1] neg_hi:[0,0,1]
	v_pk_fma_f32 v[130:131], v[142:143], v[38:39] /*v[294:295]*/, v[130:131] op_sel_hi:[1,0,1]
	v_mov_b32_e32 v133, v131
	scratch_load_b64 v[130:131], off, off offset:128
	s_set_vgpr_msb 0                        ;  msbs: dst=0 src0=0 src1=0 src2=0
	v_pk_add_f32 v[128:129], v[128:129], v[132:133]
	s_wait_loadcnt 0x0
	s_delay_alu instid0(VALU_DEP_1)
	v_pk_add_f32 v[128:129], v[130:131], v[128:129] neg_lo:[0,1] neg_hi:[0,1]
	scratch_store_b64 off, v[128:129], off offset:128
	s_wait_xcnt 0x0
	v_cmpx_lt_u32_e32 15, v0
	s_cbranch_execz .LBB126_361
; %bb.360:
	scratch_load_b64 v[128:129], off, off offset:120
	v_mov_b64_e32 v[130:131], 0
	scratch_store_b64 off, v[130:131], off offset:120
	s_wait_loadcnt 0x0
	ds_store_b64 v1, v[128:129]
.LBB126_361:
	s_wait_xcnt 0x0
	s_or_b32 exec_lo, exec_lo, s0
	v_mov_b32_e32 v7, 0
	s_wait_storecnt_dscnt 0x0
	s_barrier_signal -1
	s_barrier_wait -1
	ds_load_b128 v[128:131], v7 offset:640
	ds_load_b128 v[132:135], v7 offset:656
	;; [unrolled: 1-line block ×4, first 2 shown]
	s_clause 0x14
	scratch_load_b128 v[144:147], off, off offset:128
	scratch_load_b128 v[148:151], off, off offset:144
	;; [unrolled: 1-line block ×16, first 2 shown]
	s_set_vgpr_msb 64                       ;  msbs: dst=1 src0=0 src1=0 src2=0
	scratch_load_b128 v[4:7] /*v[260:263]*/, off, off offset:384
	scratch_load_b128 v[12:15] /*v[268:271]*/, off, off offset:400
	;; [unrolled: 1-line block ×4, first 2 shown]
	s_mov_b32 s0, exec_lo
	s_wait_loadcnt_dscnt 0x1303
	s_set_vgpr_msb 0                        ;  msbs: dst=0 src0=0 src1=0 src2=0
	v_mul_f32_e32 v9, v128, v145
	ds_load_b128 v[160:163], v7 offset:704
	ds_load_b128 v[168:171], v7 offset:720
	;; [unrolled: 1-line block ×4, first 2 shown]
	v_dual_fmac_f32 v9, v129, v144 :: v_dual_mul_f32 v11, v130, v147
	ds_load_b128 v[192:195], v7 offset:768
	ds_load_b128 v[200:203], v7 offset:784
	;; [unrolled: 1-line block ×4, first 2 shown]
	v_dual_add_f32 v9, 0, v9 :: v_dual_fmac_f32 v11, v131, v146
	ds_load_b128 v[224:227], v7 offset:832
	ds_load_b128 v[232:235], v7 offset:848
	;; [unrolled: 1-line block ×4, first 2 shown]
	s_wait_loadcnt_dscnt 0x120e
	v_dual_add_f32 v9, v9, v11 :: v_dual_mul_f32 v11, v132, v149
	s_set_vgpr_msb 64                       ;  msbs: dst=1 src0=0 src1=0 src2=0
	ds_load_b128 v[0:3] /*v[256:259]*/, v7 offset:896
	ds_load_b128 v[8:11] /*v[264:267]*/, v7 offset:912
	;; [unrolled: 1-line block ×4, first 2 shown]
	s_set_vgpr_msb 0                        ;  msbs: dst=0 src0=0 src1=0 src2=0
	v_fmac_f32_e32 v11, v133, v148
	s_set_vgpr_msb 64                       ;  msbs: dst=1 src0=0 src1=0 src2=0
	s_clause 0x3
	scratch_load_b128 v[32:35] /*v[288:291]*/, off, off offset:448
	scratch_load_b128 v[36:39] /*v[292:295]*/, off, off offset:464
	;; [unrolled: 1-line block ×3, first 2 shown]
	scratch_load_b64 v[50:51] /*v[306:307]*/, off, off offset:496
	s_set_vgpr_msb 0                        ;  msbs: dst=0 src0=0 src1=0 src2=0
	v_add_f32_e32 v9, v9, v11
	v_mul_f32_e32 v11, v134, v151
	s_delay_alu instid0(VALU_DEP_1) | instskip(SKIP_1) | instid1(VALU_DEP_1)
	v_fmac_f32_e32 v11, v135, v150
	s_wait_loadcnt_dscnt 0x1511
	v_dual_add_f32 v9, v9, v11 :: v_dual_mul_f32 v11, v136, v153
	s_wait_loadcnt_dscnt 0x400
	s_set_vgpr_msb 0x45                     ;  msbs: dst=1 src0=1 src1=1 src2=0
	v_dual_mul_f32 v47 /*v303*/, v18 /*v274*/, v23 /*v279*/ :: v_dual_mul_f32 v49 /*v305*/, v24 /*v280*/, v29 /*v285*/
	s_set_vgpr_msb 0                        ;  msbs: dst=0 src0=0 src1=0 src2=0
	v_fmac_f32_e32 v11, v137, v152
	s_set_vgpr_msb 0x45                     ;  msbs: dst=1 src0=1 src1=1 src2=0
	s_delay_alu instid0(VALU_DEP_2) | instskip(SKIP_1) | instid1(VALU_DEP_2)
	v_dual_fmac_f32 v47 /*v303*/, v19 /*v275*/, v22 /*v278*/ :: v_dual_fmac_f32 v49 /*v305*/, v25 /*v281*/, v28 /*v284*/
	s_set_vgpr_msb 0                        ;  msbs: dst=0 src0=0 src1=0 src2=0
	v_add_f32_e32 v9, v9, v11
	v_mul_f32_e32 v11, v138, v155
	s_delay_alu instid0(VALU_DEP_1) | instskip(NEXT) | instid1(VALU_DEP_1)
	v_fmac_f32_e32 v11, v139, v154
	v_dual_add_f32 v9, v9, v11 :: v_dual_mul_f32 v11, v140, v157
	s_delay_alu instid0(VALU_DEP_1) | instskip(NEXT) | instid1(VALU_DEP_1)
	v_fmac_f32_e32 v11, v141, v156
	v_add_f32_e32 v9, v9, v11
	v_mul_f32_e32 v11, v142, v159
	s_delay_alu instid0(VALU_DEP_1) | instskip(NEXT) | instid1(VALU_DEP_1)
	v_fmac_f32_e32 v11, v143, v158
	v_dual_add_f32 v9, v9, v11 :: v_dual_mul_f32 v11, v160, v165
	s_delay_alu instid0(VALU_DEP_1) | instskip(NEXT) | instid1(VALU_DEP_1)
	v_fmac_f32_e32 v11, v161, v164
	;; [unrolled: 7-line block ×13, first 2 shown]
	v_add_f32_e32 v9, v9, v11
	v_mul_f32_e32 v11, v250, v255
	s_delay_alu instid0(VALU_DEP_1) | instskip(NEXT) | instid1(VALU_DEP_1)
	v_fmac_f32_e32 v11, v251, v254
	v_add_f32_e32 v9, v9, v11
	s_set_vgpr_msb 5                        ;  msbs: dst=0 src0=1 src1=1 src2=0
	v_mul_f32_e32 v11, v0 /*v256*/, v5 /*v261*/
	s_delay_alu instid0(VALU_DEP_1) | instskip(SKIP_1) | instid1(VALU_DEP_1)
	v_fmac_f32_e32 v11, v1 /*v257*/, v4 /*v260*/
	s_set_vgpr_msb 0                        ;  msbs: dst=0 src0=0 src1=0 src2=0
	v_add_f32_e32 v9, v9, v11
	s_set_vgpr_msb 5                        ;  msbs: dst=0 src0=1 src1=1 src2=0
	v_mul_f32_e32 v11, v2 /*v258*/, v7 /*v263*/
	s_delay_alu instid0(VALU_DEP_1) | instskip(SKIP_1) | instid1(VALU_DEP_1)
	v_fmac_f32_e32 v11, v3 /*v259*/, v6 /*v262*/
	s_set_vgpr_msb 0                        ;  msbs: dst=0 src0=0 src1=0 src2=0
	;; [unrolled: 6-line block ×4, first 2 shown]
	v_add_f32_e32 v9, v9, v11
	s_set_vgpr_msb 5                        ;  msbs: dst=0 src0=1 src1=1 src2=0
	v_mul_f32_e32 v11, v16 /*v272*/, v21 /*v277*/
	s_delay_alu instid0(VALU_DEP_1) | instskip(SKIP_1) | instid1(VALU_DEP_1)
	v_fmac_f32_e32 v11, v17 /*v273*/, v20 /*v276*/
	s_set_vgpr_msb 64                       ;  msbs: dst=1 src0=0 src1=0 src2=0
	v_add_f32_e32 v45 /*v301*/, v9, v11
	s_set_vgpr_msb 0                        ;  msbs: dst=0 src0=0 src1=0 src2=0
	v_dual_mul_f32 v9, v129, v145 :: v_dual_mul_f32 v11, v131, v147
	s_set_vgpr_msb 1                        ;  msbs: dst=0 src0=1 src1=0 src2=0
	v_mov_b32_e32 v145, v26 /*v282*/
	s_set_vgpr_msb 0                        ;  msbs: dst=0 src0=0 src1=0 src2=0
	s_delay_alu instid0(VALU_DEP_2) | instskip(SKIP_2) | instid1(VALU_DEP_2)
	v_dual_fma_f32 v9, v128, v144, -v9 :: v_dual_fma_f32 v11, v130, v146, -v11
	s_set_vgpr_msb 1                        ;  msbs: dst=0 src0=1 src1=0 src2=0
	v_dual_mov_b32 v144, v27 /*v283*/ :: v_dual_mov_b32 v146, v31 /*v287*/
	v_add_f32_e32 v9, 0, v9
	s_set_vgpr_msb 0                        ;  msbs: dst=0 src0=0 src1=0 src2=0
	s_delay_alu instid0(VALU_DEP_2) | instskip(NEXT) | instid1(VALU_DEP_2)
	v_pk_mul_f32 v[144:145], v[144:145], v[146:147] op_sel_hi:[1,0]
	v_add_f32_e32 v9, v9, v11
	v_mul_f32_e32 v11, v133, v149
	s_set_vgpr_msb 5                        ;  msbs: dst=0 src0=1 src1=1 src2=0
	s_delay_alu instid0(VALU_DEP_3) | instskip(SKIP_2) | instid1(VALU_DEP_1)
	v_pk_fma_f32 v[146:147], v[26:27] /*v[282:283]*/, v[30:31] /*v[286:287]*/, v[144:145] neg_lo:[0,0,1] neg_hi:[0,0,1]
	v_pk_fma_f32 v[144:145], v[26:27] /*v[282:283]*/, v[30:31] /*v[286:287]*/, v[144:145] op_sel_hi:[1,0,1]
	s_set_vgpr_msb 0                        ;  msbs: dst=0 src0=0 src1=0 src2=0
	v_dual_fma_f32 v11, v132, v148, -v11 :: v_dual_mov_b32 v147, v145
	s_delay_alu instid0(VALU_DEP_1) | instskip(SKIP_1) | instid1(VALU_DEP_1)
	v_add_f32_e32 v9, v9, v11
	v_mul_f32_e32 v11, v135, v151
	v_fma_f32 v11, v134, v150, -v11
	s_delay_alu instid0(VALU_DEP_1) | instskip(SKIP_1) | instid1(VALU_DEP_1)
	v_add_f32_e32 v9, v9, v11
	v_mul_f32_e32 v11, v137, v153
	v_fma_f32 v11, v136, v152, -v11
	;; [unrolled: 4-line block ×4, first 2 shown]
	ds_load_b128 v[128:131], v7 offset:960
	ds_load_b128 v[132:135], v7 offset:976
	;; [unrolled: 1-line block ×3, first 2 shown]
	ds_load_b64 v[140:141], v7 offset:1008
	v_add_f32_e32 v9, v9, v11
	v_mul_f32_e32 v11, v143, v159
	s_delay_alu instid0(VALU_DEP_1) | instskip(NEXT) | instid1(VALU_DEP_1)
	v_fma_f32 v11, v142, v158, -v11
	v_add_f32_e32 v9, v9, v11
	v_mul_f32_e32 v11, v161, v165
	s_wait_loadcnt_dscnt 0x303
	s_set_vgpr_msb 4                        ;  msbs: dst=0 src0=0 src1=1 src2=0
	v_pk_mul_f32 v[144:145], v[128:129], v[32:33] /*v[288:289]*/ op_sel:[1,1] op_sel_hi:[0,1]
	s_set_vgpr_msb 0                        ;  msbs: dst=0 src0=0 src1=0 src2=0
	v_fma_f32 v11, v160, v164, -v11
	s_delay_alu instid0(VALU_DEP_1) | instskip(SKIP_1) | instid1(VALU_DEP_1)
	v_add_f32_e32 v9, v9, v11
	v_mul_f32_e32 v11, v163, v167
	v_fma_f32 v11, v162, v166, -v11
	s_delay_alu instid0(VALU_DEP_1) | instskip(SKIP_1) | instid1(VALU_DEP_1)
	v_add_f32_e32 v9, v9, v11
	v_mul_f32_e32 v11, v169, v173
	;; [unrolled: 4-line block ×23, first 2 shown]
	v_fma_f32 v11, v250, v254, -v11
	s_delay_alu instid0(VALU_DEP_1) | instskip(SKIP_2) | instid1(VALU_DEP_1)
	v_add_f32_e32 v9, v9, v11
	s_set_vgpr_msb 5                        ;  msbs: dst=0 src0=1 src1=1 src2=0
	v_mul_f32_e32 v11, v1 /*v257*/, v5 /*v261*/
	v_fma_f32 v11, v0 /*v256*/, v4 /*v260*/, -v11
	s_set_vgpr_msb 0                        ;  msbs: dst=0 src0=0 src1=0 src2=0
	s_delay_alu instid0(VALU_DEP_1) | instskip(SKIP_2) | instid1(VALU_DEP_1)
	v_add_f32_e32 v9, v9, v11
	s_set_vgpr_msb 5                        ;  msbs: dst=0 src0=1 src1=1 src2=0
	v_mul_f32_e32 v11, v3 /*v259*/, v7 /*v263*/
	v_fma_f32 v11, v2 /*v258*/, v6 /*v262*/, -v11
	s_set_vgpr_msb 0                        ;  msbs: dst=0 src0=0 src1=0 src2=0
	;; [unrolled: 6-line block ×4, first 2 shown]
	s_delay_alu instid0(VALU_DEP_1) | instskip(SKIP_2) | instid1(VALU_DEP_1)
	v_add_f32_e32 v9, v9, v11
	s_set_vgpr_msb 5                        ;  msbs: dst=0 src0=1 src1=1 src2=0
	v_mul_f32_e32 v11, v17 /*v273*/, v21 /*v277*/
	v_fma_f32 v11, v16 /*v272*/, v20 /*v276*/, -v11
	s_set_vgpr_msb 64                       ;  msbs: dst=1 src0=0 src1=0 src2=0
	s_delay_alu instid0(VALU_DEP_1) | instskip(SKIP_3) | instid1(VALU_DEP_1)
	v_add_f32_e32 v44 /*v300*/, v9, v11
	s_set_vgpr_msb 5                        ;  msbs: dst=0 src0=1 src1=1 src2=0
	v_mul_f32_e32 v9, v19 /*v275*/, v23 /*v279*/
	s_set_vgpr_msb 0x45                     ;  msbs: dst=1 src0=1 src1=1 src2=0
	v_fma_f32 v46 /*v302*/, v18 /*v274*/, v22 /*v278*/, -v9
	s_set_vgpr_msb 5                        ;  msbs: dst=0 src0=1 src1=1 src2=0
	v_mul_f32_e32 v9, v25 /*v281*/, v29 /*v285*/
	s_set_vgpr_msb 0x45                     ;  msbs: dst=1 src0=1 src1=1 src2=0
	s_delay_alu instid0(VALU_DEP_1) | instskip(SKIP_3) | instid1(VALU_DEP_1)
	v_fma_f32 v48 /*v304*/, v24 /*v280*/, v28 /*v284*/, -v9
	s_set_vgpr_msb 5                        ;  msbs: dst=0 src0=1 src1=1 src2=0
	v_pk_add_f32 v[142:143], v[44:45] /*v[300:301]*/, v[46:47] /*v[302:303]*/
	s_set_vgpr_msb 4                        ;  msbs: dst=0 src0=0 src1=1 src2=0
	v_pk_add_f32 v[142:143], v[142:143], v[48:49] /*v[304:305]*/
	s_set_vgpr_msb 0                        ;  msbs: dst=0 src0=0 src1=0 src2=0
	s_delay_alu instid0(VALU_DEP_1)
	v_pk_add_f32 v[142:143], v[142:143], v[146:147]
	s_set_vgpr_msb 4                        ;  msbs: dst=0 src0=0 src1=1 src2=0
	v_pk_fma_f32 v[146:147], v[128:129], v[32:33] /*v[288:289]*/, v[144:145] neg_lo:[0,0,1] neg_hi:[0,0,1]
	v_pk_fma_f32 v[128:129], v[128:129], v[32:33] /*v[288:289]*/, v[144:145] op_sel_hi:[1,0,1]
	s_set_vgpr_msb 1                        ;  msbs: dst=0 src0=1 src1=0 src2=0
	v_mov_b32_e32 v144, v35 /*v291*/
	s_set_vgpr_msb 0                        ;  msbs: dst=0 src0=0 src1=0 src2=0
	s_delay_alu instid0(VALU_DEP_2) | instskip(NEXT) | instid1(VALU_DEP_1)
	v_mov_b32_e32 v147, v129
	v_pk_add_f32 v[128:129], v[142:143], v[146:147]
	v_dual_mov_b32 v142, v131 :: v_dual_mov_b32 v143, v130
	s_delay_alu instid0(VALU_DEP_1) | instskip(SKIP_1) | instid1(VALU_DEP_1)
	v_pk_mul_f32 v[142:143], v[142:143], v[144:145] op_sel_hi:[1,0]
	s_set_vgpr_msb 4                        ;  msbs: dst=0 src0=0 src1=1 src2=0
	v_pk_fma_f32 v[144:145], v[130:131], v[34:35] /*v[290:291]*/, v[142:143] neg_lo:[0,0,1] neg_hi:[0,0,1]
	v_pk_fma_f32 v[130:131], v[130:131], v[34:35] /*v[290:291]*/, v[142:143] op_sel_hi:[1,0,1]
	s_delay_alu instid0(VALU_DEP_1) | instskip(SKIP_3) | instid1(VALU_DEP_2)
	v_mov_b32_e32 v145, v131
	s_wait_loadcnt_dscnt 0x202
	v_pk_mul_f32 v[130:131], v[132:133], v[36:37] /*v[292:293]*/ op_sel:[1,1] op_sel_hi:[0,1]
	s_set_vgpr_msb 0                        ;  msbs: dst=0 src0=0 src1=0 src2=0
	v_pk_add_f32 v[128:129], v[128:129], v[144:145]
	s_set_vgpr_msb 4                        ;  msbs: dst=0 src0=0 src1=1 src2=0
	s_delay_alu instid0(VALU_DEP_2)
	v_pk_fma_f32 v[142:143], v[132:133], v[36:37] /*v[292:293]*/, v[130:131] neg_lo:[0,0,1] neg_hi:[0,0,1]
	v_pk_fma_f32 v[130:131], v[132:133], v[36:37] /*v[292:293]*/, v[130:131] op_sel_hi:[1,0,1]
	v_mov_b32_e32 v130, v135
	s_set_vgpr_msb 1                        ;  msbs: dst=0 src0=1 src1=0 src2=0
	v_mov_b32_e32 v132, v39 /*v295*/
	s_set_vgpr_msb 0                        ;  msbs: dst=0 src0=0 src1=0 src2=0
	v_dual_mov_b32 v143, v131 :: v_dual_mov_b32 v131, v134
	s_delay_alu instid0(VALU_DEP_1) | instskip(NEXT) | instid1(VALU_DEP_2)
	v_pk_add_f32 v[128:129], v[128:129], v[142:143]
	v_pk_mul_f32 v[130:131], v[130:131], v[132:133] op_sel_hi:[1,0]
	s_set_vgpr_msb 4                        ;  msbs: dst=0 src0=0 src1=1 src2=0
	s_delay_alu instid0(VALU_DEP_1) | instskip(SKIP_1) | instid1(VALU_DEP_1)
	v_pk_fma_f32 v[132:133], v[134:135], v[38:39] /*v[294:295]*/, v[130:131] neg_lo:[0,0,1] neg_hi:[0,0,1]
	v_pk_fma_f32 v[130:131], v[134:135], v[38:39] /*v[294:295]*/, v[130:131] op_sel_hi:[1,0,1]
	v_mov_b32_e32 v133, v131
	s_wait_loadcnt_dscnt 0x101
	v_pk_mul_f32 v[130:131], v[136:137], v[40:41] /*v[296:297]*/ op_sel:[1,1] op_sel_hi:[0,1]
	s_set_vgpr_msb 0                        ;  msbs: dst=0 src0=0 src1=0 src2=0
	s_delay_alu instid0(VALU_DEP_2) | instskip(SKIP_1) | instid1(VALU_DEP_2)
	v_pk_add_f32 v[128:129], v[128:129], v[132:133]
	s_set_vgpr_msb 4                        ;  msbs: dst=0 src0=0 src1=1 src2=0
	v_pk_fma_f32 v[132:133], v[136:137], v[40:41] /*v[296:297]*/, v[130:131] neg_lo:[0,0,1] neg_hi:[0,0,1]
	v_pk_fma_f32 v[130:131], v[136:137], v[40:41] /*v[296:297]*/, v[130:131] op_sel_hi:[1,0,1]
	s_delay_alu instid0(VALU_DEP_1) | instskip(SKIP_2) | instid1(VALU_DEP_2)
	v_dual_mov_b32 v130, v139 :: v_dual_mov_b32 v133, v131
	v_mov_b32_e32 v131, v138
	s_set_vgpr_msb 0                        ;  msbs: dst=0 src0=0 src1=0 src2=0
	v_pk_add_f32 v[128:129], v[128:129], v[132:133]
	s_set_vgpr_msb 1                        ;  msbs: dst=0 src0=1 src1=0 src2=0
	v_mov_b32_e32 v132, v43 /*v299*/
	s_set_vgpr_msb 0                        ;  msbs: dst=0 src0=0 src1=0 src2=0
	s_delay_alu instid0(VALU_DEP_1) | instskip(SKIP_1) | instid1(VALU_DEP_1)
	v_pk_mul_f32 v[130:131], v[130:131], v[132:133] op_sel_hi:[1,0]
	s_set_vgpr_msb 4                        ;  msbs: dst=0 src0=0 src1=1 src2=0
	v_pk_fma_f32 v[132:133], v[138:139], v[42:43] /*v[298:299]*/, v[130:131] neg_lo:[0,0,1] neg_hi:[0,0,1]
	v_pk_fma_f32 v[130:131], v[138:139], v[42:43] /*v[298:299]*/, v[130:131] op_sel_hi:[1,0,1]
	s_delay_alu instid0(VALU_DEP_1) | instskip(SKIP_3) | instid1(VALU_DEP_2)
	v_mov_b32_e32 v133, v131
	s_wait_loadcnt_dscnt 0x0
	v_pk_mul_f32 v[130:131], v[140:141], v[50:51] /*v[306:307]*/ op_sel:[1,1] op_sel_hi:[0,1]
	s_set_vgpr_msb 0                        ;  msbs: dst=0 src0=0 src1=0 src2=0
	v_pk_add_f32 v[128:129], v[128:129], v[132:133]
	s_set_vgpr_msb 4                        ;  msbs: dst=0 src0=0 src1=1 src2=0
	s_delay_alu instid0(VALU_DEP_2) | instskip(SKIP_1) | instid1(VALU_DEP_1)
	v_pk_fma_f32 v[132:133], v[140:141], v[50:51] /*v[306:307]*/, v[130:131] neg_lo:[0,0,1] neg_hi:[0,0,1]
	v_pk_fma_f32 v[130:131], v[140:141], v[50:51] /*v[306:307]*/, v[130:131] op_sel_hi:[1,0,1]
	v_mov_b32_e32 v133, v131
	scratch_load_b64 v[130:131], off, off offset:120
	s_set_vgpr_msb 0                        ;  msbs: dst=0 src0=0 src1=0 src2=0
	v_pk_add_f32 v[128:129], v[128:129], v[132:133]
	s_wait_loadcnt 0x0
	s_delay_alu instid0(VALU_DEP_1)
	v_pk_add_f32 v[128:129], v[130:131], v[128:129] neg_lo:[0,1] neg_hi:[0,1]
	scratch_store_b64 off, v[128:129], off offset:120
	s_wait_xcnt 0x0
	v_cmpx_lt_u32_e32 14, v0
	s_cbranch_execz .LBB126_363
; %bb.362:
	scratch_load_b64 v[128:129], off, off offset:112
	v_mov_b64_e32 v[130:131], 0
	scratch_store_b64 off, v[130:131], off offset:112
	s_wait_loadcnt 0x0
	ds_store_b64 v1, v[128:129]
.LBB126_363:
	s_wait_xcnt 0x0
	s_or_b32 exec_lo, exec_lo, s0
	s_wait_storecnt_dscnt 0x0
	s_barrier_signal -1
	s_barrier_wait -1
	s_clause 0x17
	scratch_load_b128 v[128:131], off, off offset:120
	scratch_load_b128 v[132:135], off, off offset:136
	;; [unrolled: 1-line block ×24, first 2 shown]
	ds_load_2addr_b64 v[224:227], v7 offset0:79 offset1:80
	ds_load_2addr_b64 v[228:231], v7 offset0:81 offset1:82
	;; [unrolled: 1-line block ×6, first 2 shown]
	s_set_vgpr_msb 64                       ;  msbs: dst=1 src0=0 src1=0 src2=0
	scratch_load_b64 v[64:65] /*v[320:321]*/, off, off offset:112
	s_set_vgpr_msb 0                        ;  msbs: dst=0 src0=0 src1=0 src2=0
	ds_load_2addr_b64 v[248:251], v7 offset0:87 offset1:88
	ds_load_2addr_b64 v[252:255], v7 offset0:89 offset1:90
	s_set_vgpr_msb 64                       ;  msbs: dst=1 src0=0 src1=0 src2=0
	ds_load_2addr_b64 v[0:3] /*v[256:259]*/, v7 offset0:123 offset1:124
	ds_load_2addr_b64 v[4:7] /*v[260:263]*/, v7 offset0:125 offset1:126
	;; [unrolled: 1-line block ×16, first 2 shown]
	s_mov_b32 s0, exec_lo
	s_wait_dscnt 0xf
	s_set_vgpr_msb 0x41                     ;  msbs: dst=1 src0=1 src1=0 src2=0
	v_dual_mov_b32 v70 /*v326*/, v3 /*v259*/ :: v_dual_mov_b32 v71 /*v327*/, v2 /*v258*/
	s_wait_dscnt 0xe
	v_dual_mov_b32 v72 /*v328*/, v7 /*v263*/ :: v_dual_mov_b32 v73 /*v329*/, v6 /*v262*/
	s_set_vgpr_msb 64                       ;  msbs: dst=1 src0=0 src1=0 src2=0
	v_dual_mov_b32 v66 /*v322*/, v243 :: v_dual_mov_b32 v67 /*v323*/, v242
	v_dual_mov_b32 v68 /*v324*/, v247 :: v_dual_mov_b32 v69 /*v325*/, v246
	s_wait_loadcnt 0x18
	s_set_vgpr_msb 0                        ;  msbs: dst=0 src0=0 src1=0 src2=0
	v_dual_mul_f32 v7, v224, v129 :: v_dual_mul_f32 v9, v226, v131
	v_dual_mul_f32 v83, v225, v129 :: v_dual_mul_f32 v85, v227, v131
	s_wait_loadcnt 0x17
	v_dual_mul_f32 v11, v228, v133 :: v_dual_mul_f32 v13, v230, v135
	s_delay_alu instid0(VALU_DEP_3) | instskip(SKIP_3) | instid1(VALU_DEP_3)
	v_dual_fmac_f32 v7, v225, v128 :: v_dual_fmac_f32 v9, v227, v130
	s_wait_loadcnt 0x15
	v_dual_fma_f32 v83, v224, v128, -v83 :: v_dual_mul_f32 v95, v237, v141
	v_dual_mul_f32 v87, v229, v133 :: v_dual_mul_f32 v89, v231, v135
	v_dual_fma_f32 v85, v226, v130, -v85 :: v_dual_add_f32 v7, 0, v7
	s_delay_alu instid0(VALU_DEP_3) | instskip(SKIP_1) | instid1(VALU_DEP_4)
	v_dual_add_f32 v83, 0, v83 :: v_dual_fmac_f32 v11, v229, v132
	v_dual_mul_f32 v15, v232, v137 :: v_dual_mul_f32 v17, v234, v139
	v_dual_mul_f32 v97, v239, v143 :: v_dual_fma_f32 v87, v228, v132, -v87
	s_delay_alu instid0(VALU_DEP_4) | instskip(NEXT) | instid1(VALU_DEP_3)
	v_add_f32_e32 v7, v7, v9
	v_dual_add_f32 v9, v83, v85 :: v_dual_fmac_f32 v15, v233, v136
	v_dual_mul_f32 v91, v233, v137 :: v_dual_mul_f32 v93, v235, v139
	s_wait_loadcnt 0x14
	v_dual_mul_f32 v83, v249, v145 :: v_dual_fmac_f32 v13, v231, v134
	v_dual_fma_f32 v85, v230, v134, -v89 :: v_dual_add_f32 v7, v7, v11
	s_delay_alu instid0(VALU_DEP_3) | instskip(SKIP_1) | instid1(VALU_DEP_3)
	v_dual_add_f32 v9, v9, v87 :: v_dual_fma_f32 v87, v232, v136, -v91
	v_dual_mul_f32 v19, v236, v141 :: v_dual_mul_f32 v21, v238, v143
	v_add_f32_e32 v7, v7, v13
	s_delay_alu instid0(VALU_DEP_3) | instskip(SKIP_2) | instid1(VALU_DEP_3)
	v_dual_mul_f32 v11, v251, v147 :: v_dual_add_f32 v9, v9, v85
	s_wait_loadcnt 0x13
	v_dual_mul_f32 v13, v253, v149 :: v_dual_fmac_f32 v17, v235, v138
	v_dual_fma_f32 v85, v234, v138, -v93 :: v_dual_add_f32 v7, v7, v15
	s_delay_alu instid0(VALU_DEP_3) | instskip(SKIP_1) | instid1(VALU_DEP_3)
	v_dual_add_f32 v9, v9, v87 :: v_dual_fma_f32 v87, v236, v140, -v95
	v_dual_mul_f32 v15, v255, v151 :: v_dual_fmac_f32 v19, v237, v140
	v_add_f32_e32 v7, v7, v17
	s_delay_alu instid0(VALU_DEP_3) | instskip(SKIP_1) | instid1(VALU_DEP_3)
	v_dual_add_f32 v9, v9, v85 :: v_dual_fmac_f32 v21, v239, v142
	v_dual_mul_f32 v23, v248, v145 :: v_dual_mul_f32 v25, v250, v147
	v_dual_fma_f32 v85, v238, v142, -v97 :: v_dual_add_f32 v7, v7, v19
	s_delay_alu instid0(VALU_DEP_3) | instskip(NEXT) | instid1(VALU_DEP_3)
	v_dual_add_f32 v9, v9, v87 :: v_dual_fma_f32 v83, v248, v144, -v83
	v_dual_fmac_f32 v23, v249, v144 :: v_dual_mul_f32 v27, v252, v149
	s_delay_alu instid0(VALU_DEP_3) | instskip(NEXT) | instid1(VALU_DEP_3)
	v_dual_mul_f32 v29, v254, v151 :: v_dual_add_f32 v7, v7, v21
	v_dual_fma_f32 v11, v250, v146, -v11 :: v_dual_add_f32 v9, v9, v85
	s_delay_alu instid0(VALU_DEP_3) | instskip(NEXT) | instid1(VALU_DEP_3)
	v_dual_fmac_f32 v25, v251, v146 :: v_dual_fmac_f32 v27, v253, v148
	v_dual_add_f32 v7, v7, v23 :: v_dual_fma_f32 v13, v252, v148, -v13
	s_delay_alu instid0(VALU_DEP_3)
	v_add_f32_e32 v9, v9, v83
	s_wait_loadcnt_dscnt 0x120d
	s_set_vgpr_msb 1                        ;  msbs: dst=0 src0=1 src1=0 src2=0
	v_dual_mul_f32 v31, v8 /*v264*/, v153 :: v_dual_mul_f32 v33, v10 /*v266*/, v155
	s_set_vgpr_msb 0                        ;  msbs: dst=0 src0=0 src1=0 src2=0
	v_add_f32_e32 v7, v7, v25
	s_set_vgpr_msb 1                        ;  msbs: dst=0 src0=1 src1=0 src2=0
	v_dual_mul_f32 v17, v9 /*v265*/, v153 :: v_dual_mul_f32 v19, v11 /*v267*/, v155
	s_set_vgpr_msb 0                        ;  msbs: dst=0 src0=0 src1=0 src2=0
	v_dual_add_f32 v9, v9, v11 :: v_dual_fmac_f32 v29, v255, v150
	v_dual_fma_f32 v15, v254, v150, -v15 :: v_dual_add_f32 v7, v7, v27
	s_set_vgpr_msb 1                        ;  msbs: dst=0 src0=1 src1=0 src2=0
	v_dual_fmac_f32 v31, v9 /*v265*/, v152 :: v_dual_fma_f32 v17, v8 /*v264*/, v152, -v17
	s_set_vgpr_msb 0                        ;  msbs: dst=0 src0=0 src1=0 src2=0
	v_add_f32_e32 v9, v9, v13
	s_wait_loadcnt_dscnt 0x110c
	s_set_vgpr_msb 1                        ;  msbs: dst=0 src0=1 src1=0 src2=0
	v_dual_mul_f32 v35, v12 /*v268*/, v157 :: v_dual_mul_f32 v37, v14 /*v270*/, v159
	s_set_vgpr_msb 0                        ;  msbs: dst=0 src0=0 src1=0 src2=0
	v_add_f32_e32 v7, v7, v29
	s_set_vgpr_msb 1                        ;  msbs: dst=0 src0=1 src1=0 src2=0
	v_dual_mul_f32 v21, v13 /*v269*/, v157 :: v_dual_mul_f32 v23, v15 /*v271*/, v159
	s_set_vgpr_msb 0                        ;  msbs: dst=0 src0=0 src1=0 src2=0
	v_add_f32_e32 v9, v9, v15
	s_wait_loadcnt_dscnt 0xf0a
	s_set_vgpr_msb 1                        ;  msbs: dst=0 src0=1 src1=0 src2=0
	v_dual_mul_f32 v15, v21 /*v277*/, v165 :: v_dual_fmac_f32 v33, v11 /*v267*/, v154
	v_fma_f32 v19, v10 /*v266*/, v154, -v19
	s_set_vgpr_msb 0                        ;  msbs: dst=0 src0=0 src1=0 src2=0
	v_dual_add_f32 v7, v7, v31 :: v_dual_add_f32 v9, v9, v17
	s_set_vgpr_msb 1                        ;  msbs: dst=0 src0=1 src1=0 src2=0
	v_dual_mul_f32 v17, v23 /*v279*/, v167 :: v_dual_fmac_f32 v35, v13 /*v269*/, v156
	v_fma_f32 v21, v12 /*v268*/, v156, -v21
	s_set_vgpr_msb 0                        ;  msbs: dst=0 src0=0 src1=0 src2=0
	v_dual_add_f32 v7, v7, v33 :: v_dual_add_f32 v9, v9, v19
	s_set_vgpr_msb 1                        ;  msbs: dst=0 src0=1 src1=0 src2=0
	v_dual_mul_f32 v11, v17 /*v273*/, v161 :: v_dual_mul_f32 v13, v19 /*v275*/, v163
	s_wait_loadcnt_dscnt 0xe09
	v_dual_mul_f32 v19, v25 /*v281*/, v169 :: v_dual_fmac_f32 v37, v15 /*v271*/, v158
	v_fma_f32 v23, v14 /*v270*/, v158, -v23
	s_set_vgpr_msb 0                        ;  msbs: dst=0 src0=0 src1=0 src2=0
	v_dual_add_f32 v7, v7, v35 :: v_dual_add_f32 v9, v9, v21
	s_set_vgpr_msb 1                        ;  msbs: dst=0 src0=1 src1=0 src2=0
	v_dual_mul_f32 v39, v16 /*v272*/, v161 :: v_dual_mul_f32 v41, v18 /*v274*/, v163
	v_dual_mul_f32 v21, v27 /*v283*/, v171 :: v_dual_fma_f32 v11, v16 /*v272*/, v160, -v11
	s_set_vgpr_msb 0                        ;  msbs: dst=0 src0=0 src1=0 src2=0
	v_dual_add_f32 v7, v7, v37 :: v_dual_add_f32 v9, v9, v23
	s_set_vgpr_msb 1                        ;  msbs: dst=0 src0=1 src1=0 src2=0
	v_dual_fmac_f32 v39, v17 /*v273*/, v160 :: v_dual_fmac_f32 v41, v19 /*v275*/, v162
	s_wait_loadcnt_dscnt 0xd08
	v_dual_mul_f32 v23, v29 /*v285*/, v173 :: v_dual_fma_f32 v13, v18 /*v274*/, v162, -v13
	s_set_vgpr_msb 0                        ;  msbs: dst=0 src0=0 src1=0 src2=0
	v_add_f32_e32 v9, v9, v11
	s_set_vgpr_msb 1                        ;  msbs: dst=0 src0=1 src1=0 src2=0
	v_dual_mul_f32 v43, v20 /*v276*/, v165 :: v_dual_mul_f32 v45, v22 /*v278*/, v167
	v_mul_f32_e32 v11, v31 /*v287*/, v175
	s_set_vgpr_msb 0                        ;  msbs: dst=0 src0=0 src1=0 src2=0
	v_dual_add_f32 v7, v7, v39 :: v_dual_add_f32 v9, v9, v13
	s_wait_loadcnt_dscnt 0xc07
	s_set_vgpr_msb 1                        ;  msbs: dst=0 src0=1 src1=0 src2=0
	v_dual_fma_f32 v15, v20 /*v276*/, v164, -v15 :: v_dual_mul_f32 v13, v33 /*v289*/, v177
	v_dual_fmac_f32 v43, v21 /*v277*/, v164 :: v_dual_fmac_f32 v45, v23 /*v279*/, v166
	s_set_vgpr_msb 0                        ;  msbs: dst=0 src0=0 src1=0 src2=0
	v_add_f32_e32 v7, v7, v41
	s_set_vgpr_msb 1                        ;  msbs: dst=0 src0=1 src1=0 src2=0
	v_fma_f32 v17, v22 /*v278*/, v166, -v17
	s_set_vgpr_msb 0                        ;  msbs: dst=0 src0=0 src1=0 src2=0
	v_add_f32_e32 v9, v9, v15
	s_set_vgpr_msb 1                        ;  msbs: dst=0 src0=1 src1=0 src2=0
	v_dual_mul_f32 v47, v24 /*v280*/, v169 :: v_dual_mul_f32 v49, v26 /*v282*/, v171
	v_mul_f32_e32 v15, v35 /*v291*/, v179
	s_set_vgpr_msb 0                        ;  msbs: dst=0 src0=0 src1=0 src2=0
	v_dual_add_f32 v7, v7, v43 :: v_dual_add_f32 v9, v9, v17
	s_wait_loadcnt_dscnt 0xb06
	s_set_vgpr_msb 1                        ;  msbs: dst=0 src0=1 src1=0 src2=0
	v_dual_fma_f32 v19, v24 /*v280*/, v168, -v19 :: v_dual_mul_f32 v17, v37 /*v293*/, v181
	v_dual_fmac_f32 v47, v25 /*v281*/, v168 :: v_dual_fmac_f32 v49, v27 /*v283*/, v170
	s_set_vgpr_msb 0                        ;  msbs: dst=0 src0=0 src1=0 src2=0
	v_add_f32_e32 v7, v7, v45
	s_set_vgpr_msb 1                        ;  msbs: dst=0 src0=1 src1=0 src2=0
	v_fma_f32 v21, v26 /*v282*/, v170, -v21
	s_set_vgpr_msb 0                        ;  msbs: dst=0 src0=0 src1=0 src2=0
	v_add_f32_e32 v9, v9, v19
	s_set_vgpr_msb 1                        ;  msbs: dst=0 src0=1 src1=0 src2=0
	v_dual_mul_f32 v51, v28 /*v284*/, v173 :: v_dual_mul_f32 v53, v30 /*v286*/, v175
	v_mul_f32_e32 v19, v39 /*v295*/, v183
	s_set_vgpr_msb 0                        ;  msbs: dst=0 src0=0 src1=0 src2=0
	v_dual_add_f32 v7, v7, v47 :: v_dual_add_f32 v9, v9, v21
	s_wait_loadcnt_dscnt 0xa05
	s_set_vgpr_msb 1                        ;  msbs: dst=0 src0=1 src1=0 src2=0
	v_dual_fma_f32 v23, v28 /*v284*/, v172, -v23 :: v_dual_mul_f32 v21, v41 /*v297*/, v185
	v_dual_mul_f32 v55, v32 /*v288*/, v177 :: v_dual_mul_f32 v57, v34 /*v290*/, v179
	v_dual_mul_f32 v59, v36 /*v292*/, v181 :: v_dual_mul_f32 v61, v38 /*v294*/, v183
	v_dual_fmac_f32 v51, v29 /*v285*/, v172 :: v_dual_fmac_f32 v53, v31 /*v287*/, v174
	v_fma_f32 v11, v30 /*v286*/, v174, -v11
	s_set_vgpr_msb 0                        ;  msbs: dst=0 src0=0 src1=0 src2=0
	v_dual_add_f32 v9, v9, v23 :: v_dual_add_f32 v7, v7, v49
	s_set_vgpr_msb 1                        ;  msbs: dst=0 src0=1 src1=0 src2=0
	v_dual_mul_f32 v23, v43 /*v299*/, v187 :: v_dual_fmac_f32 v55, v33 /*v289*/, v176
	v_fma_f32 v13, v32 /*v288*/, v176, -v13
	v_dual_fmac_f32 v57, v35 /*v291*/, v178 :: v_dual_fmac_f32 v59, v37 /*v293*/, v180
	s_set_vgpr_msb 0                        ;  msbs: dst=0 src0=0 src1=0 src2=0
	v_add_f32_e32 v9, v9, v11
	s_set_vgpr_msb 1                        ;  msbs: dst=0 src0=1 src1=0 src2=0
	v_dual_mul_f32 v63, v40 /*v296*/, v185 :: v_dual_mul_f32 v65, v42 /*v298*/, v187
	s_set_vgpr_msb 0                        ;  msbs: dst=0 src0=0 src1=0 src2=0
	v_add_f32_e32 v7, v7, v51
	s_wait_loadcnt_dscnt 0x904
	s_set_vgpr_msb 1                        ;  msbs: dst=0 src0=1 src1=0 src2=0
	v_dual_mul_f32 v11, v45 /*v301*/, v189 :: v_dual_fma_f32 v15, v34 /*v290*/, v178, -v15
	s_set_vgpr_msb 0                        ;  msbs: dst=0 src0=0 src1=0 src2=0
	v_add_f32_e32 v9, v9, v13
	s_set_vgpr_msb 1                        ;  msbs: dst=0 src0=1 src1=0 src2=0
	v_dual_mul_f32 v13, v47 /*v303*/, v191 :: v_dual_fma_f32 v17, v36 /*v292*/, v180, -v17
	s_set_vgpr_msb 0                        ;  msbs: dst=0 src0=0 src1=0 src2=0
	v_add_f32_e32 v7, v7, v53
	s_set_vgpr_msb 1                        ;  msbs: dst=0 src0=1 src1=0 src2=0
	v_dual_fmac_f32 v61, v39 /*v295*/, v182 :: v_dual_fmac_f32 v63, v41 /*v297*/, v184
	s_set_vgpr_msb 0                        ;  msbs: dst=0 src0=0 src1=0 src2=0
	v_add_f32_e32 v9, v9, v15
	s_set_vgpr_msb 1                        ;  msbs: dst=0 src0=1 src1=0 src2=0
	v_dual_mul_f32 v67, v44 /*v300*/, v189 :: v_dual_mul_f32 v69, v46 /*v302*/, v191
	s_set_vgpr_msb 0                        ;  msbs: dst=0 src0=0 src1=0 src2=0
	v_add_f32_e32 v7, v7, v55
	s_wait_loadcnt_dscnt 0x803
	s_set_vgpr_msb 1                        ;  msbs: dst=0 src0=1 src1=0 src2=0
	v_dual_mul_f32 v15, v49 /*v305*/, v193 :: v_dual_fma_f32 v19, v38 /*v294*/, v182, -v19
	s_set_vgpr_msb 0                        ;  msbs: dst=0 src0=0 src1=0 src2=0
	v_add_f32_e32 v9, v9, v17
	s_set_vgpr_msb 1                        ;  msbs: dst=0 src0=1 src1=0 src2=0
	v_dual_mul_f32 v17, v51 /*v307*/, v195 :: v_dual_fma_f32 v21, v40 /*v296*/, v184, -v21
	s_set_vgpr_msb 0                        ;  msbs: dst=0 src0=0 src1=0 src2=0
	v_add_f32_e32 v7, v7, v57
	s_set_vgpr_msb 1                        ;  msbs: dst=0 src0=1 src1=0 src2=0
	v_dual_fmac_f32 v65, v43 /*v299*/, v186 :: v_dual_fmac_f32 v67, v45 /*v301*/, v188
	s_set_vgpr_msb 0                        ;  msbs: dst=0 src0=0 src1=0 src2=0
	v_add_f32_e32 v9, v9, v19
	s_set_vgpr_msb 1                        ;  msbs: dst=0 src0=1 src1=0 src2=0
	v_dual_mul_f32 v71, v48 /*v304*/, v193 :: v_dual_mul_f32 v73, v50 /*v306*/, v195
	s_set_vgpr_msb 0                        ;  msbs: dst=0 src0=0 src1=0 src2=0
	v_add_f32_e32 v7, v7, v59
	s_wait_loadcnt_dscnt 0x702
	s_set_vgpr_msb 1                        ;  msbs: dst=0 src0=1 src1=0 src2=0
	v_dual_mul_f32 v19, v53 /*v309*/, v197 :: v_dual_fma_f32 v23, v42 /*v298*/, v186, -v23
	s_set_vgpr_msb 0                        ;  msbs: dst=0 src0=0 src1=0 src2=0
	v_add_f32_e32 v9, v9, v21
	s_set_vgpr_msb 1                        ;  msbs: dst=0 src0=1 src1=0 src2=0
	v_dual_mul_f32 v75, v52 /*v308*/, v197 :: v_dual_mul_f32 v77, v54 /*v310*/, v199
	s_set_vgpr_msb 0                        ;  msbs: dst=0 src0=0 src1=0 src2=0
	v_add_f32_e32 v7, v7, v61
	s_set_vgpr_msb 1                        ;  msbs: dst=0 src0=1 src1=0 src2=0
	v_dual_mul_f32 v21, v55 /*v311*/, v199 :: v_dual_fma_f32 v11, v44 /*v300*/, v188, -v11
	v_dual_fmac_f32 v69, v47 /*v303*/, v190 :: v_dual_fmac_f32 v71, v49 /*v305*/, v192
	s_set_vgpr_msb 0                        ;  msbs: dst=0 src0=0 src1=0 src2=0
	v_add_f32_e32 v9, v9, v23
	s_wait_loadcnt_dscnt 0x601
	s_set_vgpr_msb 1                        ;  msbs: dst=0 src0=1 src1=0 src2=0
	v_dual_mul_f32 v23, v57 /*v313*/, v201 :: v_dual_fma_f32 v13, v46 /*v302*/, v190, -v13
	v_dual_fmac_f32 v73, v51 /*v307*/, v194 :: v_dual_fmac_f32 v75, v53 /*v309*/, v196
	s_set_vgpr_msb 0                        ;  msbs: dst=0 src0=0 src1=0 src2=0
	v_add_f32_e32 v9, v9, v11
	v_add_f32_e32 v7, v7, v63
	s_set_vgpr_msb 1                        ;  msbs: dst=0 src0=1 src1=0 src2=0
	v_dual_mul_f32 v11, v59 /*v315*/, v203 :: v_dual_fma_f32 v15, v48 /*v304*/, v192, -v15
	v_fma_f32 v17, v50 /*v306*/, v194, -v17
	s_set_vgpr_msb 0                        ;  msbs: dst=0 src0=0 src1=0 src2=0
	v_add_f32_e32 v9, v9, v13
	v_add_f32_e32 v7, v7, v65
	s_wait_loadcnt_dscnt 0x500
	s_set_vgpr_msb 1                        ;  msbs: dst=0 src0=1 src1=0 src2=0
	v_mul_f32_e32 v13, v61 /*v317*/, v205
	s_wait_loadcnt 0x4
	s_set_vgpr_msb 0                        ;  msbs: dst=0 src0=0 src1=0 src2=0
	v_mov_b32_e32 v130, v211
	s_set_vgpr_msb 1                        ;  msbs: dst=0 src0=1 src1=0 src2=0
	v_dual_mul_f32 v79, v56 /*v312*/, v201 :: v_dual_mul_f32 v81, v58 /*v314*/, v203
	s_set_vgpr_msb 0                        ;  msbs: dst=0 src0=0 src1=0 src2=0
	v_add_f32_e32 v9, v9, v15
	v_add_f32_e32 v7, v7, v67
	s_set_vgpr_msb 1                        ;  msbs: dst=0 src0=1 src1=0 src2=0
	v_dual_mul_f32 v15, v63 /*v319*/, v207 :: v_dual_fma_f32 v19, v52 /*v308*/, v196, -v19
	v_dual_fmac_f32 v77, v55 /*v311*/, v198 :: v_dual_fmac_f32 v79, v57 /*v313*/, v200
	s_set_vgpr_msb 0                        ;  msbs: dst=0 src0=0 src1=0 src2=0
	v_add_f32_e32 v9, v9, v17
	v_add_f32_e32 v7, v7, v69
	s_set_vgpr_msb 1                        ;  msbs: dst=0 src0=1 src1=0 src2=0
	v_fma_f32 v17, v54 /*v310*/, v198, -v21
	s_set_vgpr_msb 0x41                     ;  msbs: dst=1 src0=1 src1=0 src2=0
	v_dual_mul_f32 v75 /*v331*/, v60 /*v316*/, v205 :: v_dual_mul_f32 v77 /*v333*/, v62 /*v318*/, v207
	s_set_vgpr_msb 0                        ;  msbs: dst=0 src0=0 src1=0 src2=0
	v_add_f32_e32 v9, v9, v19
	s_set_vgpr_msb 1                        ;  msbs: dst=0 src0=1 src1=0 src2=0
	v_fma_f32 v19, v56 /*v312*/, v200, -v23
	s_set_vgpr_msb 0                        ;  msbs: dst=0 src0=0 src1=0 src2=0
	v_add_f32_e32 v7, v7, v71
	s_set_vgpr_msb 1                        ;  msbs: dst=0 src0=1 src1=0 src2=0
	v_dual_fmac_f32 v81, v59 /*v315*/, v202 :: v_dual_fma_f32 v11, v58 /*v314*/, v202, -v11
	s_set_vgpr_msb 0                        ;  msbs: dst=0 src0=0 src1=0 src2=0
	v_add_f32_e32 v9, v9, v17
	v_pk_mul_f32 v[128:129], v[240:241], v[208:209] op_sel:[1,1] op_sel_hi:[0,1]
	v_add_f32_e32 v7, v7, v73
	s_wait_loadcnt 0x3
	v_mov_b32_e32 v134, v215
	s_set_vgpr_msb 0x41                     ;  msbs: dst=1 src0=1 src1=0 src2=0
	v_dual_fmac_f32 v75 /*v331*/, v61 /*v317*/, v204 :: v_dual_fmac_f32 v77 /*v333*/, v63 /*v319*/, v206
	s_set_vgpr_msb 0                        ;  msbs: dst=0 src0=0 src1=0 src2=0
	v_add_f32_e32 v9, v9, v19
	v_add_f32_e32 v7, v7, v75
	s_set_vgpr_msb 0x41                     ;  msbs: dst=1 src0=1 src1=0 src2=0
	v_dual_fma_f32 v74 /*v330*/, v60 /*v316*/, v204, -v13 :: v_dual_fma_f32 v76 /*v332*/, v62 /*v318*/, v206, -v15
	s_set_vgpr_msb 0                        ;  msbs: dst=0 src0=0 src1=0 src2=0
	v_pk_fma_f32 v[138:139], v[240:241], v[208:209], v[128:129] op_sel_hi:[1,0,1]
	v_dual_add_f32 v136, v9, v11 :: v_dual_add_f32 v7, v7, v77
	s_set_vgpr_msb 1                        ;  msbs: dst=0 src0=1 src1=0 src2=0
	v_pk_mul_f32 v[130:131], v[66:67] /*v[322:323]*/, v[130:131] op_sel_hi:[1,0]
	s_set_vgpr_msb 0                        ;  msbs: dst=0 src0=0 src1=0 src2=0
	v_pk_fma_f32 v[128:129], v[240:241], v[208:209], v[128:129] neg_lo:[0,0,1] neg_hi:[0,0,1]
	v_pk_mul_f32 v[132:133], v[244:245], v[212:213] op_sel:[1,1] op_sel_hi:[0,1]
	v_mov_b32_e32 v129, v139
	v_add_f32_e32 v7, v7, v79
	v_pk_fma_f32 v[138:139], v[242:243], v[210:211], v[130:131] op_sel_hi:[1,0,1]
	v_pk_fma_f32 v[130:131], v[242:243], v[210:211], v[130:131] neg_lo:[0,0,1] neg_hi:[0,0,1]
	v_pk_fma_f32 v[142:143], v[244:245], v[212:213], v[132:133] op_sel_hi:[1,0,1]
	s_set_vgpr_msb 1                        ;  msbs: dst=0 src0=1 src1=0 src2=0
	v_pk_mul_f32 v[134:135], v[68:69] /*v[324:325]*/, v[134:135] op_sel_hi:[1,0]
	s_set_vgpr_msb 0                        ;  msbs: dst=0 src0=0 src1=0 src2=0
	v_add_f32_e32 v137, v7, v81
	v_mov_b32_e32 v131, v139
	s_wait_loadcnt 0x2
	s_set_vgpr_msb 1                        ;  msbs: dst=0 src0=1 src1=0 src2=0
	v_pk_mul_f32 v[140:141], v[0:1] /*v[256:257]*/, v[216:217] op_sel:[1,1] op_sel_hi:[0,1]
	s_set_vgpr_msb 0                        ;  msbs: dst=0 src0=0 src1=0 src2=0
	v_pk_fma_f32 v[132:133], v[244:245], v[212:213], v[132:133] neg_lo:[0,0,1] neg_hi:[0,0,1]
	v_mov_b32_e32 v133, v143
	s_set_vgpr_msb 4                        ;  msbs: dst=0 src0=0 src1=1 src2=0
	v_pk_add_f32 v[136:137], v[136:137], v[74:75] /*v[330:331]*/
	s_set_vgpr_msb 0                        ;  msbs: dst=0 src0=0 src1=0 src2=0
	v_pk_fma_f32 v[138:139], v[246:247], v[214:215], v[134:135] op_sel_hi:[1,0,1]
	v_pk_fma_f32 v[134:135], v[246:247], v[214:215], v[134:135] neg_lo:[0,0,1] neg_hi:[0,0,1]
	s_set_vgpr_msb 4                        ;  msbs: dst=0 src0=0 src1=1 src2=0
	v_pk_add_f32 v[136:137], v[136:137], v[76:77] /*v[332:333]*/
	s_set_vgpr_msb 0                        ;  msbs: dst=0 src0=0 src1=0 src2=0
	s_delay_alu instid0(VALU_DEP_1) | instskip(SKIP_1) | instid1(VALU_DEP_2)
	v_pk_add_f32 v[128:129], v[136:137], v[128:129]
	v_mov_b32_e32 v136, v219
	v_pk_add_f32 v[128:129], v[128:129], v[130:131]
	s_set_vgpr_msb 1                        ;  msbs: dst=0 src0=1 src1=0 src2=0
	v_pk_fma_f32 v[130:131], v[0:1] /*v[256:257]*/, v[216:217], v[140:141] op_sel_hi:[1,0,1]
	s_delay_alu instid0(VALU_DEP_3)
	v_pk_mul_f32 v[136:137], v[70:71] /*v[326:327]*/, v[136:137] op_sel_hi:[1,0]
	s_set_vgpr_msb 0                        ;  msbs: dst=0 src0=0 src1=0 src2=0
	v_mov_b32_e32 v135, v139
	s_set_vgpr_msb 1                        ;  msbs: dst=0 src0=1 src1=0 src2=0
	v_pk_fma_f32 v[138:139], v[0:1] /*v[256:257]*/, v[216:217], v[140:141] neg_lo:[0,0,1] neg_hi:[0,0,1]
	s_set_vgpr_msb 0                        ;  msbs: dst=0 src0=0 src1=0 src2=0
	v_pk_add_f32 v[128:129], v[128:129], v[132:133]
	v_mov_b32_e32 v139, v131
	s_set_vgpr_msb 1                        ;  msbs: dst=0 src0=1 src1=0 src2=0
	v_pk_fma_f32 v[130:131], v[2:3] /*v[258:259]*/, v[218:219], v[136:137] op_sel_hi:[1,0,1]
	s_wait_loadcnt 0x1
	v_pk_mul_f32 v[132:133], v[4:5] /*v[260:261]*/, v[220:221] op_sel:[1,1] op_sel_hi:[0,1]
	s_set_vgpr_msb 0                        ;  msbs: dst=0 src0=0 src1=0 src2=0
	v_mov_b32_e32 v130, v223
	v_pk_add_f32 v[128:129], v[128:129], v[134:135]
	s_set_vgpr_msb 1                        ;  msbs: dst=0 src0=1 src1=0 src2=0
	v_pk_fma_f32 v[136:137], v[2:3] /*v[258:259]*/, v[218:219], v[136:137] neg_lo:[0,0,1] neg_hi:[0,0,1]
	s_set_vgpr_msb 0                        ;  msbs: dst=0 src0=0 src1=0 src2=0
	v_mov_b32_e32 v137, v131
	s_set_vgpr_msb 1                        ;  msbs: dst=0 src0=1 src1=0 src2=0
	v_pk_fma_f32 v[134:135], v[4:5] /*v[260:261]*/, v[220:221], v[132:133] op_sel_hi:[1,0,1]
	v_pk_mul_f32 v[130:131], v[72:73] /*v[328:329]*/, v[130:131] op_sel_hi:[1,0]
	s_set_vgpr_msb 0                        ;  msbs: dst=0 src0=0 src1=0 src2=0
	v_pk_add_f32 v[128:129], v[128:129], v[138:139]
	s_set_vgpr_msb 1                        ;  msbs: dst=0 src0=1 src1=0 src2=0
	v_pk_fma_f32 v[132:133], v[4:5] /*v[260:261]*/, v[220:221], v[132:133] neg_lo:[0,0,1] neg_hi:[0,0,1]
	s_set_vgpr_msb 0                        ;  msbs: dst=0 src0=0 src1=0 src2=0
	v_mov_b32_e32 v133, v135
	s_set_vgpr_msb 1                        ;  msbs: dst=0 src0=1 src1=0 src2=0
	v_pk_fma_f32 v[134:135], v[6:7] /*v[262:263]*/, v[222:223], v[130:131] op_sel_hi:[1,0,1]
	s_set_vgpr_msb 0                        ;  msbs: dst=0 src0=0 src1=0 src2=0
	v_pk_add_f32 v[128:129], v[128:129], v[136:137]
	s_set_vgpr_msb 1                        ;  msbs: dst=0 src0=1 src1=0 src2=0
	v_pk_fma_f32 v[130:131], v[6:7] /*v[262:263]*/, v[222:223], v[130:131] neg_lo:[0,0,1] neg_hi:[0,0,1]
	s_set_vgpr_msb 0                        ;  msbs: dst=0 src0=0 src1=0 src2=0
	v_mov_b32_e32 v131, v135
	v_pk_add_f32 v[128:129], v[128:129], v[132:133]
	s_delay_alu instid0(VALU_DEP_1) | instskip(SKIP_2) | instid1(VALU_DEP_1)
	v_pk_add_f32 v[128:129], v[128:129], v[130:131]
	s_wait_loadcnt 0x0
	s_set_vgpr_msb 1                        ;  msbs: dst=0 src0=1 src1=0 src2=0
	v_pk_add_f32 v[128:129], v[64:65] /*v[320:321]*/, v[128:129] neg_lo:[0,1] neg_hi:[0,1]
	scratch_store_b64 off, v[128:129], off offset:112
	s_wait_xcnt 0x0
	v_cmpx_lt_u32_e32 13, v0
	s_set_vgpr_msb 0                        ;  msbs: dst=0 src0=0 src1=0 src2=0
	s_cbranch_execz .LBB126_365
; %bb.364:
	scratch_load_b64 v[128:129], off, off offset:104
	v_mov_b64_e32 v[130:131], 0
	scratch_store_b64 off, v[130:131], off offset:104
	s_wait_loadcnt 0x0
	ds_store_b64 v1, v[128:129]
.LBB126_365:
	s_wait_xcnt 0x0
	s_or_b32 exec_lo, exec_lo, s0
	s_wait_storecnt_dscnt 0x0
	s_barrier_signal -1
	s_barrier_wait -1
	s_clause 0x1a
	scratch_load_b128 v[128:131], off, off offset:112
	scratch_load_b128 v[132:135], off, off offset:128
	;; [unrolled: 1-line block ×24, first 2 shown]
	s_set_vgpr_msb 64                       ;  msbs: dst=1 src0=0 src1=0 src2=0
	scratch_load_b64 v[64:65] /*v[320:321]*/, off, off offset:496
	scratch_load_b64 v[66:67] /*v[322:323]*/, off, off offset:104
	s_set_vgpr_msb 0                        ;  msbs: dst=0 src0=0 src1=0 src2=0
	v_mov_b32_e32 v7, 0
	ds_load_b128 v[224:227], v7 offset:624
	ds_load_b128 v[228:231], v7 offset:640
	;; [unrolled: 1-line block ×8, first 2 shown]
	s_set_vgpr_msb 64                       ;  msbs: dst=1 src0=0 src1=0 src2=0
	ds_load_b128 v[0:3] /*v[256:259]*/, v7 offset:976
	ds_load_b128 v[4:7] /*v[260:263]*/, v7 offset:720
	;; [unrolled: 1-line block ×16, first 2 shown]
	ds_load_b64 v[68:69] /*v[324:325]*/, v7 offset:1008
	s_wait_dscnt 0x14
	v_dual_mov_b32 v70 /*v326*/, v243 :: v_dual_mov_b32 v71 /*v327*/, v242
	s_wait_dscnt 0x11
	v_dual_mov_b32 v72 /*v328*/, v255 :: v_dual_mov_b32 v73 /*v329*/, v254
	s_wait_dscnt 0x10
	s_set_vgpr_msb 0x41                     ;  msbs: dst=1 src0=1 src1=0 src2=0
	v_dual_mov_b32 v74 /*v330*/, v3 /*v259*/ :: v_dual_mov_b32 v75 /*v331*/, v2 /*v258*/
	s_wait_dscnt 0xd
	v_dual_mov_b32 v76 /*v332*/, v15 /*v271*/ :: v_dual_mov_b32 v77 /*v333*/, v14 /*v270*/
	s_mov_b32 s0, exec_lo
	s_wait_loadcnt 0x19
	s_set_vgpr_msb 0                        ;  msbs: dst=0 src0=0 src1=0 src2=0
	v_dual_mul_f32 v9, v224, v129 :: v_dual_mul_f32 v87, v225, v129
	s_wait_loadcnt 0x18
	v_dual_mul_f32 v11, v226, v131 :: v_dual_mul_f32 v13, v228, v133
	v_dual_mul_f32 v89, v227, v131 :: v_dual_mul_f32 v91, v229, v133
	s_wait_loadcnt 0x14
	v_dual_mul_f32 v31, v250, v151 :: v_dual_fmac_f32 v9, v225, v128
	v_dual_fma_f32 v87, v224, v128, -v87 :: v_dual_mul_f32 v101, v239, v143
	s_delay_alu instid0(VALU_DEP_3) | instskip(NEXT) | instid1(VALU_DEP_3)
	v_dual_fma_f32 v89, v226, v130, -v89 :: v_dual_fmac_f32 v11, v227, v130
	v_dual_add_f32 v9, 0, v9 :: v_dual_mul_f32 v15, v230, v135
	s_delay_alu instid0(VALU_DEP_3)
	v_dual_mul_f32 v17, v232, v137 :: v_dual_add_f32 v87, 0, v87
	v_dual_mul_f32 v93, v231, v135 :: v_dual_mul_f32 v95, v233, v137
	v_dual_mul_f32 v103, v245, v145 :: v_dual_fma_f32 v91, v228, v132, -v91
	s_wait_loadcnt_dscnt 0x601
	s_set_vgpr_msb 1                        ;  msbs: dst=0 src0=1 src1=0 src2=0
	v_mul_f32_e32 v85, v60 /*v316*/, v205
	s_set_vgpr_msb 0                        ;  msbs: dst=0 src0=0 src1=0 src2=0
	v_fmac_f32_e32 v13, v229, v132
	v_dual_add_f32 v9, v9, v11 :: v_dual_fmac_f32 v15, v231, v134
	v_add_f32_e32 v11, v87, v89
	v_dual_mul_f32 v87, v247, v147 :: v_dual_fma_f32 v89, v230, v134, -v93
	s_delay_alu instid0(VALU_DEP_3) | instskip(NEXT) | instid1(VALU_DEP_3)
	v_dual_add_f32 v9, v9, v13 :: v_dual_mul_f32 v19, v234, v139
	v_dual_mul_f32 v21, v236, v141 :: v_dual_add_f32 v11, v11, v91
	v_dual_mul_f32 v97, v235, v139 :: v_dual_mul_f32 v99, v237, v141
	v_dual_mul_f32 v13, v249, v149 :: v_dual_fma_f32 v91, v232, v136, -v95
	s_delay_alu instid0(VALU_DEP_3) | instskip(SKIP_1) | instid1(VALU_DEP_4)
	v_dual_fmac_f32 v17, v233, v136 :: v_dual_add_f32 v11, v11, v89
	v_dual_add_f32 v9, v9, v15 :: v_dual_fmac_f32 v19, v235, v138
	v_dual_mul_f32 v15, v251, v151 :: v_dual_fma_f32 v89, v234, v138, -v97
	s_delay_alu instid0(VALU_DEP_2) | instskip(SKIP_2) | instid1(VALU_DEP_3)
	v_dual_add_f32 v11, v11, v91 :: v_dual_add_f32 v9, v9, v17
	v_dual_mul_f32 v23, v238, v143 :: v_dual_mul_f32 v25, v244, v145
	v_dual_fmac_f32 v21, v237, v140 :: v_dual_fma_f32 v91, v236, v140, -v99
	v_dual_add_f32 v9, v9, v19 :: v_dual_add_f32 v11, v11, v89
	s_delay_alu instid0(VALU_DEP_3) | instskip(SKIP_1) | instid1(VALU_DEP_3)
	v_dual_fmac_f32 v23, v239, v142 :: v_dual_fma_f32 v89, v238, v142, -v101
	v_dual_mul_f32 v27, v246, v147 :: v_dual_mul_f32 v29, v248, v149
	v_dual_add_f32 v9, v9, v21 :: v_dual_add_f32 v11, v11, v91
	v_dual_fmac_f32 v25, v245, v144 :: v_dual_fma_f32 v91, v244, v144, -v103
	s_set_vgpr_msb 1                        ;  msbs: dst=0 src0=1 src1=0 src2=0
	v_dual_mul_f32 v33, v4 /*v260*/, v153 :: v_dual_mul_f32 v35, v6 /*v262*/, v155
	s_set_vgpr_msb 0                        ;  msbs: dst=0 src0=0 src1=0 src2=0
	v_dual_add_f32 v9, v9, v23 :: v_dual_add_f32 v11, v11, v89
	v_fmac_f32_e32 v27, v247, v146
	v_fma_f32 v87, v246, v146, -v87
	s_set_vgpr_msb 1                        ;  msbs: dst=0 src0=1 src1=0 src2=0
	v_dual_mul_f32 v17, v5 /*v261*/, v153 :: v_dual_mul_f32 v19, v7 /*v263*/, v155
	s_set_vgpr_msb 0                        ;  msbs: dst=0 src0=0 src1=0 src2=0
	v_dual_add_f32 v9, v9, v25 :: v_dual_add_f32 v11, v11, v91
	v_fmac_f32_e32 v29, v249, v148
	v_fma_f32 v13, v248, v148, -v13
	s_set_vgpr_msb 1                        ;  msbs: dst=0 src0=1 src1=0 src2=0
	v_fmac_f32_e32 v33, v5 /*v261*/, v152
	s_set_vgpr_msb 0                        ;  msbs: dst=0 src0=0 src1=0 src2=0
	v_add_f32_e32 v9, v9, v27
	v_add_f32_e32 v11, v11, v87
	v_fmac_f32_e32 v31, v251, v150
	v_fma_f32 v15, v250, v150, -v15
	s_set_vgpr_msb 1                        ;  msbs: dst=0 src0=1 src1=0 src2=0
	v_fma_f32 v17, v4 /*v260*/, v152, -v17
	s_set_vgpr_msb 0                        ;  msbs: dst=0 src0=0 src1=0 src2=0
	v_add_f32_e32 v9, v9, v29
	v_add_f32_e32 v11, v11, v13
	s_set_vgpr_msb 1                        ;  msbs: dst=0 src0=1 src1=0 src2=0
	v_mul_f32_e32 v13, v21 /*v277*/, v165
	v_dual_mul_f32 v37, v8 /*v264*/, v157 :: v_dual_mul_f32 v39, v10 /*v266*/, v159
	v_dual_mul_f32 v21, v9 /*v265*/, v157 :: v_dual_mul_f32 v23, v11 /*v267*/, v159
	s_set_vgpr_msb 0                        ;  msbs: dst=0 src0=0 src1=0 src2=0
	v_add_f32_e32 v11, v11, v15
	v_add_f32_e32 v9, v9, v31
	s_set_vgpr_msb 1                        ;  msbs: dst=0 src0=1 src1=0 src2=0
	v_mul_f32_e32 v15, v23 /*v279*/, v167
	v_fmac_f32_e32 v35, v7 /*v263*/, v154
	v_dual_fma_f32 v19, v6 /*v262*/, v154, -v19 :: v_dual_fmac_f32 v37, v9 /*v265*/, v156
	s_set_vgpr_msb 0                        ;  msbs: dst=0 src0=0 src1=0 src2=0
	v_add_f32_e32 v11, v11, v17
	v_add_f32_e32 v9, v9, v33
	s_set_vgpr_msb 1                        ;  msbs: dst=0 src0=1 src1=0 src2=0
	v_dual_mul_f32 v17, v25 /*v281*/, v169 :: v_dual_fma_f32 v21, v8 /*v264*/, v156, -v21
	v_dual_mul_f32 v41, v16 /*v272*/, v161 :: v_dual_mul_f32 v43, v18 /*v274*/, v163
	s_set_vgpr_msb 0                        ;  msbs: dst=0 src0=0 src1=0 src2=0
	v_add_f32_e32 v11, v11, v19
	s_set_vgpr_msb 1                        ;  msbs: dst=0 src0=1 src1=0 src2=0
	v_mul_f32_e32 v19, v27 /*v283*/, v171
	s_set_vgpr_msb 0                        ;  msbs: dst=0 src0=0 src1=0 src2=0
	v_add_f32_e32 v9, v9, v35
	s_set_vgpr_msb 1                        ;  msbs: dst=0 src0=1 src1=0 src2=0
	v_dual_mul_f32 v25, v17 /*v273*/, v161 :: v_dual_mul_f32 v27, v19 /*v275*/, v163
	v_fmac_f32_e32 v39, v11 /*v267*/, v158
	v_dual_fma_f32 v23, v10 /*v266*/, v158, -v23 :: v_dual_fmac_f32 v41, v17 /*v273*/, v160
	s_set_vgpr_msb 0                        ;  msbs: dst=0 src0=0 src1=0 src2=0
	v_add_f32_e32 v11, v11, v21
	v_add_f32_e32 v9, v9, v37
	s_set_vgpr_msb 1                        ;  msbs: dst=0 src0=1 src1=0 src2=0
	v_dual_mul_f32 v21, v29 /*v285*/, v173 :: v_dual_fma_f32 v25, v16 /*v272*/, v160, -v25
	v_dual_mul_f32 v45, v20 /*v276*/, v165 :: v_dual_mul_f32 v47, v22 /*v278*/, v167
	s_set_vgpr_msb 0                        ;  msbs: dst=0 src0=0 src1=0 src2=0
	v_add_f32_e32 v11, v11, v23
	s_set_vgpr_msb 1                        ;  msbs: dst=0 src0=1 src1=0 src2=0
	v_mul_f32_e32 v23, v31 /*v287*/, v175
	s_set_vgpr_msb 0                        ;  msbs: dst=0 src0=0 src1=0 src2=0
	v_add_f32_e32 v9, v9, v39
	s_set_vgpr_msb 1                        ;  msbs: dst=0 src0=1 src1=0 src2=0
	v_fmac_f32_e32 v43, v19 /*v275*/, v162
	v_dual_fma_f32 v27, v18 /*v274*/, v162, -v27 :: v_dual_fmac_f32 v45, v21 /*v277*/, v164
	s_set_vgpr_msb 0                        ;  msbs: dst=0 src0=0 src1=0 src2=0
	v_add_f32_e32 v11, v11, v25
	v_add_f32_e32 v9, v9, v41
	s_set_vgpr_msb 1                        ;  msbs: dst=0 src0=1 src1=0 src2=0
	v_dual_mul_f32 v25, v33 /*v289*/, v177 :: v_dual_fma_f32 v13, v20 /*v276*/, v164, -v13
	v_dual_mul_f32 v49, v24 /*v280*/, v169 :: v_dual_mul_f32 v51, v26 /*v282*/, v171
	s_set_vgpr_msb 0                        ;  msbs: dst=0 src0=0 src1=0 src2=0
	v_add_f32_e32 v11, v11, v27
	s_set_vgpr_msb 1                        ;  msbs: dst=0 src0=1 src1=0 src2=0
	v_mul_f32_e32 v27, v35 /*v291*/, v179
	s_set_vgpr_msb 0                        ;  msbs: dst=0 src0=0 src1=0 src2=0
	v_add_f32_e32 v9, v9, v43
	s_set_vgpr_msb 1                        ;  msbs: dst=0 src0=1 src1=0 src2=0
	;; [unrolled: 15-line block ×9, first 2 shown]
	v_dual_fmac_f32 v75, v51 /*v307*/, v194 :: v_dual_fmac_f32 v77, v53 /*v309*/, v196
	v_dual_fma_f32 v27, v50 /*v306*/, v194, -v27 :: v_dual_fma_f32 v13, v52 /*v308*/, v196, -v13
	s_set_vgpr_msb 0                        ;  msbs: dst=0 src0=0 src1=0 src2=0
	v_add_f32_e32 v11, v11, v25
	v_add_f32_e32 v9, v9, v73
	s_set_vgpr_msb 1                        ;  msbs: dst=0 src0=1 src1=0 src2=0
	v_dual_mul_f32 v81, v56 /*v312*/, v201 :: v_dual_mul_f32 v83, v58 /*v314*/, v203
	s_wait_loadcnt 0x5
	s_set_vgpr_msb 0                        ;  msbs: dst=0 src0=0 src1=0 src2=0
	v_dual_mul_f32 v25, v241, v209 :: v_dual_add_f32 v11, v11, v27
	v_dual_add_f32 v9, v9, v75 :: v_dual_mov_b32 v128, v211
	s_set_vgpr_msb 1                        ;  msbs: dst=0 src0=1 src1=0 src2=0
	v_dual_fmac_f32 v79, v55 /*v311*/, v198 :: v_dual_fmac_f32 v81, v57 /*v313*/, v200
	v_fma_f32 v15, v54 /*v310*/, v198, -v15
	s_set_vgpr_msb 0                        ;  msbs: dst=0 src0=0 src1=0 src2=0
	v_add_f32_e32 v11, v11, v13
	s_set_vgpr_msb 1                        ;  msbs: dst=0 src0=1 src1=0 src2=0
	v_fma_f32 v13, v56 /*v312*/, v200, -v17
	s_set_vgpr_msb 0                        ;  msbs: dst=0 src0=0 src1=0 src2=0
	v_add_f32_e32 v9, v9, v77
	s_set_vgpr_msb 1                        ;  msbs: dst=0 src0=1 src1=0 src2=0
	v_dual_fmac_f32 v83, v59 /*v315*/, v202 :: v_dual_fmac_f32 v85, v61 /*v317*/, v204
	s_set_vgpr_msb 0                        ;  msbs: dst=0 src0=0 src1=0 src2=0
	v_add_f32_e32 v11, v11, v15
	s_set_vgpr_msb 1                        ;  msbs: dst=0 src0=1 src1=0 src2=0
	v_fma_f32 v15, v58 /*v314*/, v202, -v19
	s_wait_loadcnt 0x4
	s_set_vgpr_msb 0                        ;  msbs: dst=0 src0=0 src1=0 src2=0
	v_dual_add_f32 v9, v9, v79 :: v_dual_mov_b32 v132, v215
	s_set_vgpr_msb 0x41                     ;  msbs: dst=1 src0=1 src1=0 src2=0
	v_dual_mul_f32 v79 /*v335*/, v62 /*v318*/, v207 :: v_dual_fma_f32 v78 /*v334*/, v62 /*v318*/, v206, -v23
	s_set_vgpr_msb 1                        ;  msbs: dst=0 src0=1 src1=0 src2=0
	v_pk_mul_f32 v[128:129], v[70:71] /*v[326:327]*/, v[128:129] op_sel_hi:[1,0]
	s_set_vgpr_msb 0                        ;  msbs: dst=0 src0=0 src1=0 src2=0
	v_add_f32_e32 v9, v9, v81
	v_add_f32_e32 v11, v11, v13
	s_set_vgpr_msb 1                        ;  msbs: dst=0 src0=1 src1=0 src2=0
	v_fma_f32 v13, v60 /*v316*/, v204, -v21
	s_set_vgpr_msb 64                       ;  msbs: dst=1 src0=0 src1=0 src2=0
	v_dual_mul_f32 v81 /*v337*/, v240, v209 :: v_dual_fma_f32 v80 /*v336*/, v240, v208, -v25
	s_set_vgpr_msb 0                        ;  msbs: dst=0 src0=0 src1=0 src2=0
	v_add_f32_e32 v9, v9, v83
	v_add_f32_e32 v11, v11, v15
	s_set_vgpr_msb 0x41                     ;  msbs: dst=1 src0=1 src1=0 src2=0
	v_fmac_f32_e32 v79 /*v335*/, v63 /*v319*/, v206
	s_set_vgpr_msb 0                        ;  msbs: dst=0 src0=0 src1=0 src2=0
	v_pk_fma_f32 v[140:141], v[242:243], v[210:211], v[128:129] op_sel_hi:[1,0,1]
	v_pk_fma_f32 v[128:129], v[242:243], v[210:211], v[128:129] neg_lo:[0,0,1] neg_hi:[0,0,1]
	v_add_f32_e32 v137, v9, v85
	v_add_f32_e32 v136, v11, v13
	v_pk_mul_f32 v[130:131], v[252:253], v[212:213] op_sel:[1,1] op_sel_hi:[0,1]
	s_set_vgpr_msb 64                       ;  msbs: dst=1 src0=0 src1=0 src2=0
	v_fmac_f32_e32 v81 /*v337*/, v241, v208
	s_set_vgpr_msb 0                        ;  msbs: dst=0 src0=0 src1=0 src2=0
	v_mov_b32_e32 v129, v141
	s_set_vgpr_msb 1                        ;  msbs: dst=0 src0=1 src1=0 src2=0
	v_pk_mul_f32 v[132:133], v[72:73] /*v[328:329]*/, v[132:133] op_sel_hi:[1,0]
	s_set_vgpr_msb 4                        ;  msbs: dst=0 src0=0 src1=1 src2=0
	v_pk_add_f32 v[136:137], v[136:137], v[78:79] /*v[334:335]*/
	s_set_vgpr_msb 0                        ;  msbs: dst=0 src0=0 src1=0 src2=0
	v_pk_fma_f32 v[142:143], v[252:253], v[212:213], v[130:131] op_sel_hi:[1,0,1]
	v_pk_fma_f32 v[130:131], v[252:253], v[212:213], v[130:131] neg_lo:[0,0,1] neg_hi:[0,0,1]
	s_wait_loadcnt 0x3
	s_set_vgpr_msb 1                        ;  msbs: dst=0 src0=1 src1=0 src2=0
	v_pk_mul_f32 v[134:135], v[0:1] /*v[256:257]*/, v[216:217] op_sel:[1,1] op_sel_hi:[0,1]
	s_set_vgpr_msb 4                        ;  msbs: dst=0 src0=0 src1=1 src2=0
	v_mov_b32_e32 v138, v219
	v_pk_add_f32 v[136:137], v[136:137], v[80:81] /*v[336:337]*/
	v_mov_b32_e32 v131, v143
	s_set_vgpr_msb 0                        ;  msbs: dst=0 src0=0 src1=0 src2=0
	v_pk_fma_f32 v[142:143], v[254:255], v[214:215], v[132:133] op_sel_hi:[1,0,1]
	v_pk_fma_f32 v[132:133], v[254:255], v[214:215], v[132:133] neg_lo:[0,0,1] neg_hi:[0,0,1]
	s_set_vgpr_msb 1                        ;  msbs: dst=0 src0=1 src1=0 src2=0
	v_pk_mul_f32 v[138:139], v[74:75] /*v[330:331]*/, v[138:139] op_sel_hi:[1,0]
	s_set_vgpr_msb 0                        ;  msbs: dst=0 src0=0 src1=0 src2=0
	v_pk_add_f32 v[128:129], v[136:137], v[128:129]
	s_set_vgpr_msb 1                        ;  msbs: dst=0 src0=1 src1=0 src2=0
	v_pk_fma_f32 v[136:137], v[0:1] /*v[256:257]*/, v[216:217], v[134:135] op_sel_hi:[1,0,1]
	s_set_vgpr_msb 0                        ;  msbs: dst=0 src0=0 src1=0 src2=0
	v_mov_b32_e32 v133, v143
	s_set_vgpr_msb 1                        ;  msbs: dst=0 src0=1 src1=0 src2=0
	v_pk_fma_f32 v[134:135], v[0:1] /*v[256:257]*/, v[216:217], v[134:135] neg_lo:[0,0,1] neg_hi:[0,0,1]
	s_wait_loadcnt 0x2
	v_pk_mul_f32 v[140:141], v[12:13] /*v[268:269]*/, v[220:221] op_sel:[1,1] op_sel_hi:[0,1]
	s_set_vgpr_msb 0                        ;  msbs: dst=0 src0=0 src1=0 src2=0
	v_pk_add_f32 v[128:129], v[128:129], v[130:131]
	v_dual_mov_b32 v130, v223 :: v_dual_mov_b32 v135, v137
	s_set_vgpr_msb 1                        ;  msbs: dst=0 src0=1 src1=0 src2=0
	v_pk_fma_f32 v[136:137], v[2:3] /*v[258:259]*/, v[218:219], v[138:139] op_sel_hi:[1,0,1]
	v_pk_fma_f32 v[138:139], v[2:3] /*v[258:259]*/, v[218:219], v[138:139] neg_lo:[0,0,1] neg_hi:[0,0,1]
	s_set_vgpr_msb 0                        ;  msbs: dst=0 src0=0 src1=0 src2=0
	v_pk_add_f32 v[128:129], v[128:129], v[132:133]
	s_set_vgpr_msb 1                        ;  msbs: dst=0 src0=1 src1=0 src2=0
	v_pk_fma_f32 v[132:133], v[12:13] /*v[268:269]*/, v[220:221], v[140:141] op_sel_hi:[1,0,1]
	v_pk_mul_f32 v[130:131], v[76:77] /*v[332:333]*/, v[130:131] op_sel_hi:[1,0]
	s_set_vgpr_msb 0                        ;  msbs: dst=0 src0=0 src1=0 src2=0
	v_mov_b32_e32 v139, v137
	s_wait_loadcnt_dscnt 0x100
	s_set_vgpr_msb 5                        ;  msbs: dst=0 src0=1 src1=1 src2=0
	v_pk_mul_f32 v[136:137], v[68:69] /*v[324:325]*/, v[64:65] /*v[320:321]*/ op_sel:[1,1] op_sel_hi:[0,1]
	s_set_vgpr_msb 0                        ;  msbs: dst=0 src0=0 src1=0 src2=0
	v_pk_add_f32 v[128:129], v[128:129], v[134:135]
	s_set_vgpr_msb 1                        ;  msbs: dst=0 src0=1 src1=0 src2=0
	v_pk_fma_f32 v[134:135], v[12:13] /*v[268:269]*/, v[220:221], v[140:141] neg_lo:[0,0,1] neg_hi:[0,0,1]
	s_set_vgpr_msb 0                        ;  msbs: dst=0 src0=0 src1=0 src2=0
	v_mov_b32_e32 v135, v133
	s_set_vgpr_msb 1                        ;  msbs: dst=0 src0=1 src1=0 src2=0
	v_pk_fma_f32 v[132:133], v[14:15] /*v[270:271]*/, v[222:223], v[130:131] op_sel_hi:[1,0,1]
	v_pk_fma_f32 v[130:131], v[14:15] /*v[270:271]*/, v[222:223], v[130:131] neg_lo:[0,0,1] neg_hi:[0,0,1]
	s_set_vgpr_msb 0                        ;  msbs: dst=0 src0=0 src1=0 src2=0
	v_pk_add_f32 v[128:129], v[128:129], v[138:139]
	s_delay_alu instid0(VALU_DEP_3)
	v_mov_b32_e32 v131, v133
	s_set_vgpr_msb 5                        ;  msbs: dst=0 src0=1 src1=1 src2=0
	v_pk_fma_f32 v[132:133], v[68:69] /*v[324:325]*/, v[64:65] /*v[320:321]*/, v[136:137] op_sel_hi:[1,0,1]
	s_set_vgpr_msb 0                        ;  msbs: dst=0 src0=0 src1=0 src2=0
	v_pk_add_f32 v[128:129], v[128:129], v[134:135]
	s_set_vgpr_msb 5                        ;  msbs: dst=0 src0=1 src1=1 src2=0
	v_pk_fma_f32 v[134:135], v[68:69] /*v[324:325]*/, v[64:65] /*v[320:321]*/, v[136:137] neg_lo:[0,0,1] neg_hi:[0,0,1]
	s_set_vgpr_msb 0                        ;  msbs: dst=0 src0=0 src1=0 src2=0
	v_mov_b32_e32 v135, v133
	v_pk_add_f32 v[128:129], v[128:129], v[130:131]
	s_delay_alu instid0(VALU_DEP_1) | instskip(SKIP_2) | instid1(VALU_DEP_1)
	v_pk_add_f32 v[128:129], v[128:129], v[134:135]
	s_wait_loadcnt 0x0
	s_set_vgpr_msb 1                        ;  msbs: dst=0 src0=1 src1=0 src2=0
	v_pk_add_f32 v[128:129], v[66:67] /*v[322:323]*/, v[128:129] neg_lo:[0,1] neg_hi:[0,1]
	scratch_store_b64 off, v[128:129], off offset:104
	s_wait_xcnt 0x0
	v_cmpx_lt_u32_e32 12, v0
	s_set_vgpr_msb 0                        ;  msbs: dst=0 src0=0 src1=0 src2=0
	s_cbranch_execz .LBB126_367
; %bb.366:
	scratch_load_b64 v[128:129], off, off offset:96
	v_mov_b64_e32 v[130:131], 0
	scratch_store_b64 off, v[130:131], off offset:96
	s_wait_loadcnt 0x0
	ds_store_b64 v1, v[128:129]
.LBB126_367:
	s_wait_xcnt 0x0
	s_or_b32 exec_lo, exec_lo, s0
	s_wait_storecnt_dscnt 0x0
	s_barrier_signal -1
	s_barrier_wait -1
	s_clause 0x18
	scratch_load_b128 v[128:131], off, off offset:104
	scratch_load_b128 v[132:135], off, off offset:120
	;; [unrolled: 1-line block ×25, first 2 shown]
	ds_load_2addr_b64 v[228:231], v7 offset0:77 offset1:78
	ds_load_2addr_b64 v[232:235], v7 offset0:79 offset1:80
	;; [unrolled: 1-line block ×7, first 2 shown]
	s_set_vgpr_msb 64                       ;  msbs: dst=1 src0=0 src1=0 src2=0
	ds_load_2addr_b64 v[0:3] /*v[256:259]*/, v7 offset0:87 offset1:88
	ds_load_2addr_b64 v[4:7] /*v[260:263]*/, v7 offset0:121 offset1:122
	;; [unrolled: 1-line block ×12, first 2 shown]
	scratch_load_b64 v[72:73] /*v[328:329]*/, off, off offset:96
	ds_load_2addr_b64 v[48:51] /*v[304:307]*/, v7 offset0:105 offset1:106
	ds_load_2addr_b64 v[52:55] /*v[308:311]*/, v7 offset0:107 offset1:108
	;; [unrolled: 1-line block ×6, first 2 shown]
	s_mov_b32 s0, exec_lo
	s_wait_dscnt 0x13
	v_dual_mov_b32 v74 /*v330*/, v251 :: v_dual_mov_b32 v75 /*v331*/, v250
	s_wait_dscnt 0x10
	s_set_vgpr_msb 0x41                     ;  msbs: dst=1 src0=1 src1=0 src2=0
	v_dual_mov_b32 v76 /*v332*/, v7 /*v263*/ :: v_dual_mov_b32 v77 /*v333*/, v6 /*v262*/
	s_wait_dscnt 0xf
	v_dual_mov_b32 v78 /*v334*/, v11 /*v267*/ :: v_dual_mov_b32 v79 /*v335*/, v10 /*v266*/
	s_wait_dscnt 0xc
	v_dual_mov_b32 v80 /*v336*/, v23 /*v279*/ :: v_dual_mov_b32 v81 /*v337*/, v22 /*v278*/
	s_wait_loadcnt 0x19
	s_set_vgpr_msb 0                        ;  msbs: dst=0 src0=0 src1=0 src2=0
	v_dual_mul_f32 v7, v228, v129 :: v_dual_mul_f32 v9, v230, v131
	v_dual_mul_f32 v87, v229, v129 :: v_dual_mul_f32 v89, v231, v131
	s_wait_loadcnt 0x18
	v_dual_mul_f32 v11, v232, v133 :: v_dual_mul_f32 v13, v234, v135
	s_delay_alu instid0(VALU_DEP_3) | instskip(SKIP_3) | instid1(VALU_DEP_3)
	v_dual_fmac_f32 v7, v229, v128 :: v_dual_fmac_f32 v9, v231, v130
	s_wait_loadcnt 0x16
	v_dual_fma_f32 v87, v228, v128, -v87 :: v_dual_mul_f32 v99, v241, v141
	v_dual_mul_f32 v91, v233, v133 :: v_dual_mul_f32 v93, v235, v135
	v_dual_fma_f32 v89, v230, v130, -v89 :: v_dual_add_f32 v7, 0, v7
	s_delay_alu instid0(VALU_DEP_3) | instskip(SKIP_1) | instid1(VALU_DEP_4)
	v_dual_add_f32 v87, 0, v87 :: v_dual_fmac_f32 v11, v233, v132
	v_dual_mul_f32 v15, v236, v137 :: v_dual_mul_f32 v17, v238, v139
	v_dual_mul_f32 v101, v243, v143 :: v_dual_fma_f32 v91, v232, v132, -v91
	s_delay_alu instid0(VALU_DEP_4) | instskip(NEXT) | instid1(VALU_DEP_3)
	v_add_f32_e32 v7, v7, v9
	v_dual_add_f32 v9, v87, v89 :: v_dual_fmac_f32 v15, v237, v136
	v_dual_mul_f32 v95, v237, v137 :: v_dual_mul_f32 v97, v239, v139
	s_wait_loadcnt 0x15
	v_dual_mul_f32 v87, v253, v145 :: v_dual_fmac_f32 v13, v235, v134
	v_dual_fma_f32 v89, v234, v134, -v93 :: v_dual_add_f32 v7, v7, v11
	s_delay_alu instid0(VALU_DEP_3) | instskip(SKIP_1) | instid1(VALU_DEP_3)
	v_dual_add_f32 v9, v9, v91 :: v_dual_fma_f32 v91, v236, v136, -v95
	v_dual_mul_f32 v19, v240, v141 :: v_dual_mul_f32 v21, v242, v143
	v_add_f32_e32 v7, v7, v13
	s_delay_alu instid0(VALU_DEP_3) | instskip(SKIP_1) | instid1(VALU_DEP_3)
	v_dual_mul_f32 v11, v255, v147 :: v_dual_add_f32 v9, v9, v89
	v_fmac_f32_e32 v17, v239, v138
	v_dual_fma_f32 v89, v238, v138, -v97 :: v_dual_add_f32 v7, v7, v15
	v_dual_mul_f32 v23, v252, v145 :: v_dual_mul_f32 v25, v254, v147
	s_delay_alu instid0(VALU_DEP_4) | instskip(NEXT) | instid1(VALU_DEP_3)
	v_dual_add_f32 v9, v9, v91 :: v_dual_fma_f32 v91, v240, v140, -v99
	v_dual_fmac_f32 v19, v241, v140 :: v_dual_add_f32 v7, v7, v17
	s_wait_loadcnt 0x14
	s_set_vgpr_msb 1                        ;  msbs: dst=0 src0=1 src1=0 src2=0
	v_dual_mul_f32 v27, v0 /*v256*/, v149 :: v_dual_mul_f32 v29, v2 /*v258*/, v151
	s_set_vgpr_msb 0                        ;  msbs: dst=0 src0=0 src1=0 src2=0
	v_dual_add_f32 v9, v9, v89 :: v_dual_fmac_f32 v21, v243, v142
	v_dual_fma_f32 v89, v242, v142, -v101 :: v_dual_add_f32 v7, v7, v19
	s_wait_loadcnt 0x13
	s_set_vgpr_msb 1                        ;  msbs: dst=0 src0=1 src1=0 src2=0
	v_dual_mul_f32 v31, v12 /*v268*/, v153 :: v_dual_mul_f32 v33, v14 /*v270*/, v155
	s_set_vgpr_msb 0                        ;  msbs: dst=0 src0=0 src1=0 src2=0
	v_dual_add_f32 v9, v9, v91 :: v_dual_fma_f32 v87, v252, v144, -v87
	s_set_vgpr_msb 1                        ;  msbs: dst=0 src0=1 src1=0 src2=0
	v_dual_mul_f32 v13, v1 /*v257*/, v149 :: v_dual_mul_f32 v15, v3 /*v259*/, v151
	s_set_vgpr_msb 0                        ;  msbs: dst=0 src0=0 src1=0 src2=0
	v_dual_fmac_f32 v25, v255, v146 :: v_dual_fma_f32 v11, v254, v146, -v11
	v_add_f32_e32 v9, v9, v89
	v_dual_fmac_f32 v23, v253, v144 :: v_dual_add_f32 v7, v7, v21
	s_set_vgpr_msb 1                        ;  msbs: dst=0 src0=1 src1=0 src2=0
	v_dual_fmac_f32 v27, v1 /*v257*/, v148 :: v_dual_fma_f32 v13, v0 /*v256*/, v148, -v13
	s_set_vgpr_msb 0                        ;  msbs: dst=0 src0=0 src1=0 src2=0
	v_add_f32_e32 v9, v9, v87
	s_set_vgpr_msb 1                        ;  msbs: dst=0 src0=1 src1=0 src2=0
	v_dual_fmac_f32 v29, v3 /*v259*/, v150 :: v_dual_fmac_f32 v31, v13 /*v269*/, v152
	s_wait_loadcnt 0x12
	v_dual_mul_f32 v35, v16 /*v272*/, v157 :: v_dual_mul_f32 v37, v18 /*v274*/, v159
	s_set_vgpr_msb 0                        ;  msbs: dst=0 src0=0 src1=0 src2=0
	v_add_f32_e32 v9, v9, v11
	s_set_vgpr_msb 1                        ;  msbs: dst=0 src0=1 src1=0 src2=0
	v_dual_mul_f32 v17, v13 /*v269*/, v153 :: v_dual_mul_f32 v19, v15 /*v271*/, v155
	s_set_vgpr_msb 0                        ;  msbs: dst=0 src0=0 src1=0 src2=0
	v_add_f32_e32 v7, v7, v23
	s_wait_loadcnt_dscnt 0x110b
	s_set_vgpr_msb 1                        ;  msbs: dst=0 src0=1 src1=0 src2=0
	v_dual_mul_f32 v11, v25 /*v281*/, v161 :: v_dual_fma_f32 v15, v2 /*v258*/, v150, -v15
	s_set_vgpr_msb 0                        ;  msbs: dst=0 src0=0 src1=0 src2=0
	v_add_f32_e32 v9, v9, v13
	s_set_vgpr_msb 1                        ;  msbs: dst=0 src0=1 src1=0 src2=0
	v_dual_mul_f32 v13, v27 /*v283*/, v163 :: v_dual_fma_f32 v17, v12 /*v268*/, v152, -v17
	s_set_vgpr_msb 0                        ;  msbs: dst=0 src0=0 src1=0 src2=0
	v_add_f32_e32 v7, v7, v25
	s_set_vgpr_msb 1                        ;  msbs: dst=0 src0=1 src1=0 src2=0
	v_dual_fmac_f32 v33, v15 /*v271*/, v154 :: v_dual_fmac_f32 v35, v17 /*v273*/, v156
	s_set_vgpr_msb 0                        ;  msbs: dst=0 src0=0 src1=0 src2=0
	v_add_f32_e32 v9, v9, v15
	s_set_vgpr_msb 1                        ;  msbs: dst=0 src0=1 src1=0 src2=0
	v_dual_mul_f32 v39, v24 /*v280*/, v161 :: v_dual_mul_f32 v41, v26 /*v282*/, v163
	v_dual_mul_f32 v21, v17 /*v273*/, v157 :: v_dual_mul_f32 v23, v19 /*v275*/, v159
	s_set_vgpr_msb 0                        ;  msbs: dst=0 src0=0 src1=0 src2=0
	v_dual_add_f32 v7, v7, v27 :: v_dual_add_f32 v9, v9, v17
	s_wait_loadcnt_dscnt 0x100a
	s_set_vgpr_msb 1                        ;  msbs: dst=0 src0=1 src1=0 src2=0
	v_dual_mul_f32 v15, v29 /*v285*/, v165 :: v_dual_fma_f32 v19, v14 /*v270*/, v154, -v19
	v_dual_mul_f32 v17, v31 /*v287*/, v167 :: v_dual_fma_f32 v21, v16 /*v272*/, v156, -v21
	s_set_vgpr_msb 0                        ;  msbs: dst=0 src0=0 src1=0 src2=0
	v_add_f32_e32 v7, v7, v29
	s_set_vgpr_msb 1                        ;  msbs: dst=0 src0=1 src1=0 src2=0
	v_dual_fmac_f32 v37, v19 /*v275*/, v158 :: v_dual_fmac_f32 v39, v25 /*v281*/, v160
	s_set_vgpr_msb 0                        ;  msbs: dst=0 src0=0 src1=0 src2=0
	v_add_f32_e32 v9, v9, v19
	s_set_vgpr_msb 1                        ;  msbs: dst=0 src0=1 src1=0 src2=0
	v_dual_mul_f32 v43, v28 /*v284*/, v165 :: v_dual_mul_f32 v45, v30 /*v286*/, v167
	s_set_vgpr_msb 0                        ;  msbs: dst=0 src0=0 src1=0 src2=0
	v_add_f32_e32 v7, v7, v31
	s_wait_loadcnt_dscnt 0xf09
	s_set_vgpr_msb 1                        ;  msbs: dst=0 src0=1 src1=0 src2=0
	v_dual_mul_f32 v19, v33 /*v289*/, v169 :: v_dual_fma_f32 v23, v18 /*v274*/, v158, -v23
	s_set_vgpr_msb 0                        ;  msbs: dst=0 src0=0 src1=0 src2=0
	v_add_f32_e32 v9, v9, v21
	s_set_vgpr_msb 1                        ;  msbs: dst=0 src0=1 src1=0 src2=0
	v_dual_mul_f32 v47, v32 /*v288*/, v169 :: v_dual_mul_f32 v49, v34 /*v290*/, v171
	v_dual_mul_f32 v21, v35 /*v291*/, v171 :: v_dual_fma_f32 v11, v24 /*v280*/, v160, -v11
	v_dual_fmac_f32 v41, v27 /*v283*/, v162 :: v_dual_fmac_f32 v43, v29 /*v285*/, v164
	s_set_vgpr_msb 0                        ;  msbs: dst=0 src0=0 src1=0 src2=0
	v_dual_add_f32 v9, v9, v23 :: v_dual_add_f32 v7, v7, v33
	s_wait_loadcnt_dscnt 0xe08
	s_set_vgpr_msb 1                        ;  msbs: dst=0 src0=1 src1=0 src2=0
	v_dual_mul_f32 v23, v37 /*v293*/, v173 :: v_dual_fma_f32 v13, v26 /*v282*/, v162, -v13
	v_dual_fmac_f32 v45, v31 /*v287*/, v166 :: v_dual_fmac_f32 v47, v33 /*v289*/, v168
	s_set_vgpr_msb 0                        ;  msbs: dst=0 src0=0 src1=0 src2=0
	v_add_f32_e32 v9, v9, v11
	s_set_vgpr_msb 1                        ;  msbs: dst=0 src0=1 src1=0 src2=0
	v_dual_mul_f32 v51, v36 /*v292*/, v173 :: v_dual_mul_f32 v53, v38 /*v294*/, v175
	s_set_vgpr_msb 0                        ;  msbs: dst=0 src0=0 src1=0 src2=0
	v_add_f32_e32 v7, v7, v35
	s_set_vgpr_msb 1                        ;  msbs: dst=0 src0=1 src1=0 src2=0
	v_dual_mul_f32 v11, v39 /*v295*/, v175 :: v_dual_fma_f32 v15, v28 /*v284*/, v164, -v15
	s_set_vgpr_msb 0                        ;  msbs: dst=0 src0=0 src1=0 src2=0
	v_add_f32_e32 v9, v9, v13
	s_wait_loadcnt_dscnt 0xd07
	s_set_vgpr_msb 1                        ;  msbs: dst=0 src0=1 src1=0 src2=0
	v_dual_mul_f32 v13, v41 /*v297*/, v177 :: v_dual_fma_f32 v17, v30 /*v286*/, v166, -v17
	s_set_vgpr_msb 0                        ;  msbs: dst=0 src0=0 src1=0 src2=0
	v_add_f32_e32 v7, v7, v37
	s_set_vgpr_msb 1                        ;  msbs: dst=0 src0=1 src1=0 src2=0
	v_dual_fmac_f32 v49, v35 /*v291*/, v170 :: v_dual_fmac_f32 v51, v37 /*v293*/, v172
	s_set_vgpr_msb 0                        ;  msbs: dst=0 src0=0 src1=0 src2=0
	v_add_f32_e32 v9, v9, v15
	s_set_vgpr_msb 1                        ;  msbs: dst=0 src0=1 src1=0 src2=0
	v_dual_mul_f32 v55, v40 /*v296*/, v177 :: v_dual_mul_f32 v57, v42 /*v298*/, v179
	s_set_vgpr_msb 0                        ;  msbs: dst=0 src0=0 src1=0 src2=0
	v_add_f32_e32 v7, v7, v39
	s_set_vgpr_msb 1                        ;  msbs: dst=0 src0=1 src1=0 src2=0
	v_dual_mul_f32 v15, v43 /*v299*/, v179 :: v_dual_fma_f32 v19, v32 /*v288*/, v168, -v19
	s_set_vgpr_msb 0                        ;  msbs: dst=0 src0=0 src1=0 src2=0
	v_add_f32_e32 v9, v9, v17
	s_wait_loadcnt_dscnt 0xc06
	s_set_vgpr_msb 1                        ;  msbs: dst=0 src0=1 src1=0 src2=0
	v_dual_mul_f32 v17, v45 /*v301*/, v181 :: v_dual_fma_f32 v21, v34 /*v290*/, v170, -v21
	s_set_vgpr_msb 0                        ;  msbs: dst=0 src0=0 src1=0 src2=0
	v_add_f32_e32 v7, v7, v41
	s_set_vgpr_msb 1                        ;  msbs: dst=0 src0=1 src1=0 src2=0
	v_dual_fmac_f32 v53, v39 /*v295*/, v174 :: v_dual_fmac_f32 v55, v41 /*v297*/, v176
	s_set_vgpr_msb 0                        ;  msbs: dst=0 src0=0 src1=0 src2=0
	v_add_f32_e32 v9, v9, v19
	s_set_vgpr_msb 1                        ;  msbs: dst=0 src0=1 src1=0 src2=0
	v_dual_mul_f32 v59, v44 /*v300*/, v181 :: v_dual_mul_f32 v61, v46 /*v302*/, v183
	s_set_vgpr_msb 0                        ;  msbs: dst=0 src0=0 src1=0 src2=0
	v_add_f32_e32 v7, v7, v43
	s_set_vgpr_msb 1                        ;  msbs: dst=0 src0=1 src1=0 src2=0
	v_dual_mul_f32 v19, v47 /*v303*/, v183 :: v_dual_fma_f32 v23, v36 /*v292*/, v172, -v23
	s_set_vgpr_msb 0                        ;  msbs: dst=0 src0=0 src1=0 src2=0
	v_add_f32_e32 v9, v9, v21
	s_wait_loadcnt_dscnt 0xb05
	s_set_vgpr_msb 1                        ;  msbs: dst=0 src0=1 src1=0 src2=0
	v_dual_mul_f32 v63, v48 /*v304*/, v185 :: v_dual_mul_f32 v65, v50 /*v306*/, v187
	v_dual_mul_f32 v21, v49 /*v305*/, v185 :: v_dual_fma_f32 v11, v38 /*v294*/, v174, -v11
	v_dual_fmac_f32 v57, v43 /*v299*/, v178 :: v_dual_fmac_f32 v59, v45 /*v301*/, v180
	s_set_vgpr_msb 0                        ;  msbs: dst=0 src0=0 src1=0 src2=0
	v_dual_add_f32 v9, v9, v23 :: v_dual_add_f32 v7, v7, v45
	s_set_vgpr_msb 1                        ;  msbs: dst=0 src0=1 src1=0 src2=0
	v_dual_mul_f32 v23, v51 /*v307*/, v187 :: v_dual_fma_f32 v13, v40 /*v296*/, v176, -v13
	v_dual_fmac_f32 v61, v47 /*v303*/, v182 :: v_dual_fmac_f32 v63, v49 /*v305*/, v184
	s_set_vgpr_msb 0                        ;  msbs: dst=0 src0=0 src1=0 src2=0
	v_add_f32_e32 v9, v9, v11
	s_wait_loadcnt_dscnt 0xa04
	s_set_vgpr_msb 1                        ;  msbs: dst=0 src0=1 src1=0 src2=0
	v_dual_mul_f32 v67, v52 /*v308*/, v189 :: v_dual_mul_f32 v69, v54 /*v310*/, v191
	s_set_vgpr_msb 0                        ;  msbs: dst=0 src0=0 src1=0 src2=0
	v_add_f32_e32 v7, v7, v47
	s_set_vgpr_msb 1                        ;  msbs: dst=0 src0=1 src1=0 src2=0
	v_dual_mul_f32 v11, v53 /*v309*/, v189 :: v_dual_fma_f32 v15, v42 /*v298*/, v178, -v15
	s_set_vgpr_msb 0                        ;  msbs: dst=0 src0=0 src1=0 src2=0
	v_add_f32_e32 v9, v9, v13
	s_set_vgpr_msb 1                        ;  msbs: dst=0 src0=1 src1=0 src2=0
	v_dual_mul_f32 v13, v55 /*v311*/, v191 :: v_dual_fma_f32 v17, v44 /*v300*/, v180, -v17
	s_set_vgpr_msb 0                        ;  msbs: dst=0 src0=0 src1=0 src2=0
	v_add_f32_e32 v7, v7, v49
	s_set_vgpr_msb 1                        ;  msbs: dst=0 src0=1 src1=0 src2=0
	v_dual_fmac_f32 v65, v51 /*v307*/, v186 :: v_dual_fmac_f32 v67, v53 /*v309*/, v188
	s_set_vgpr_msb 0                        ;  msbs: dst=0 src0=0 src1=0 src2=0
	v_add_f32_e32 v9, v9, v15
	s_wait_loadcnt_dscnt 0x903
	s_set_vgpr_msb 1                        ;  msbs: dst=0 src0=1 src1=0 src2=0
	v_dual_mul_f32 v71, v56 /*v312*/, v193 :: v_dual_mul_f32 v73, v58 /*v314*/, v195
	s_set_vgpr_msb 0                        ;  msbs: dst=0 src0=0 src1=0 src2=0
	v_add_f32_e32 v7, v7, v51
	s_set_vgpr_msb 1                        ;  msbs: dst=0 src0=1 src1=0 src2=0
	v_dual_mul_f32 v15, v57 /*v313*/, v193 :: v_dual_fma_f32 v19, v46 /*v302*/, v182, -v19
	s_set_vgpr_msb 0                        ;  msbs: dst=0 src0=0 src1=0 src2=0
	v_add_f32_e32 v9, v9, v17
	s_set_vgpr_msb 1                        ;  msbs: dst=0 src0=1 src1=0 src2=0
	v_dual_mul_f32 v17, v59 /*v315*/, v195 :: v_dual_fma_f32 v21, v48 /*v304*/, v184, -v21
	s_set_vgpr_msb 0                        ;  msbs: dst=0 src0=0 src1=0 src2=0
	v_add_f32_e32 v7, v7, v53
	s_set_vgpr_msb 1                        ;  msbs: dst=0 src0=1 src1=0 src2=0
	v_dual_fmac_f32 v69, v55 /*v311*/, v190 :: v_dual_fmac_f32 v71, v57 /*v313*/, v192
	s_set_vgpr_msb 0                        ;  msbs: dst=0 src0=0 src1=0 src2=0
	v_add_f32_e32 v9, v9, v19
	s_wait_loadcnt_dscnt 0x802
	s_set_vgpr_msb 1                        ;  msbs: dst=0 src0=1 src1=0 src2=0
	v_dual_mul_f32 v75, v60 /*v316*/, v197 :: v_dual_mul_f32 v77, v62 /*v318*/, v199
	s_set_vgpr_msb 0                        ;  msbs: dst=0 src0=0 src1=0 src2=0
	v_add_f32_e32 v7, v7, v55
	s_set_vgpr_msb 1                        ;  msbs: dst=0 src0=1 src1=0 src2=0
	v_dual_mul_f32 v19, v61 /*v317*/, v197 :: v_dual_fma_f32 v23, v50 /*v306*/, v186, -v23
	s_set_vgpr_msb 0                        ;  msbs: dst=0 src0=0 src1=0 src2=0
	v_add_f32_e32 v9, v9, v21
	s_wait_loadcnt_dscnt 0x701
	s_set_vgpr_msb 1                        ;  msbs: dst=0 src0=1 src1=0 src2=0
	v_dual_mul_f32 v79, v64 /*v320*/, v201 :: v_dual_mul_f32 v81, v66 /*v322*/, v203
	s_set_vgpr_msb 0                        ;  msbs: dst=0 src0=0 src1=0 src2=0
	v_add_f32_e32 v7, v7, v57
	s_set_vgpr_msb 1                        ;  msbs: dst=0 src0=1 src1=0 src2=0
	v_dual_mul_f32 v21, v63 /*v319*/, v199 :: v_dual_fma_f32 v11, v52 /*v308*/, v188, -v11
	v_dual_fmac_f32 v73, v59 /*v315*/, v194 :: v_dual_fmac_f32 v75, v61 /*v317*/, v196
	s_set_vgpr_msb 0                        ;  msbs: dst=0 src0=0 src1=0 src2=0
	v_add_f32_e32 v9, v9, v23
	s_set_vgpr_msb 1                        ;  msbs: dst=0 src0=1 src1=0 src2=0
	v_dual_mul_f32 v23, v65 /*v321*/, v201 :: v_dual_fma_f32 v13, v54 /*v310*/, v190, -v13
	v_dual_fmac_f32 v77, v63 /*v319*/, v198 :: v_dual_fmac_f32 v79, v65 /*v321*/, v200
	s_set_vgpr_msb 0                        ;  msbs: dst=0 src0=0 src1=0 src2=0
	v_add_f32_e32 v9, v9, v11
	v_add_f32_e32 v7, v7, v59
	s_set_vgpr_msb 1                        ;  msbs: dst=0 src0=1 src1=0 src2=0
	v_dual_mul_f32 v11, v67 /*v323*/, v203 :: v_dual_fma_f32 v15, v56 /*v312*/, v192, -v15
	v_fma_f32 v17, v58 /*v314*/, v194, -v17
	s_set_vgpr_msb 0                        ;  msbs: dst=0 src0=0 src1=0 src2=0
	v_add_f32_e32 v9, v9, v13
	v_add_f32_e32 v7, v7, v61
	s_wait_loadcnt_dscnt 0x600
	s_set_vgpr_msb 1                        ;  msbs: dst=0 src0=1 src1=0 src2=0
	v_mul_f32_e32 v13, v69 /*v325*/, v205
	s_wait_loadcnt 0x4
	s_set_vgpr_msb 0                        ;  msbs: dst=0 src0=0 src1=0 src2=0
	v_mov_b32_e32 v130, v215
	s_set_vgpr_msb 1                        ;  msbs: dst=0 src0=1 src1=0 src2=0
	v_fma_f32 v19, v60 /*v316*/, v196, -v19
	s_set_vgpr_msb 0                        ;  msbs: dst=0 src0=0 src1=0 src2=0
	v_add_f32_e32 v9, v9, v15
	v_add_f32_e32 v7, v7, v63
	s_set_vgpr_msb 1                        ;  msbs: dst=0 src0=1 src1=0 src2=0
	v_dual_mul_f32 v15, v71 /*v327*/, v207 :: v_dual_fma_f32 v21, v62 /*v318*/, v198, -v21
	v_fma_f32 v23, v64 /*v320*/, v200, -v23
	s_set_vgpr_msb 0                        ;  msbs: dst=0 src0=0 src1=0 src2=0
	v_add_f32_e32 v9, v9, v17
	v_add_f32_e32 v7, v7, v65
	v_mul_f32_e32 v17, v245, v209
	s_set_vgpr_msb 1                        ;  msbs: dst=0 src0=1 src1=0 src2=0
	v_dual_fmac_f32 v81, v67 /*v323*/, v202 :: v_dual_fma_f32 v11, v66 /*v322*/, v202, -v11
	s_set_vgpr_msb 0                        ;  msbs: dst=0 src0=0 src1=0 src2=0
	v_add_f32_e32 v9, v9, v19
	v_add_f32_e32 v7, v7, v67
	s_set_vgpr_msb 1                        ;  msbs: dst=0 src0=1 src1=0 src2=0
	v_dual_mul_f32 v83, v68 /*v324*/, v205 :: v_dual_mul_f32 v85, v70 /*v326*/, v207
	v_fma_f32 v13, v68 /*v324*/, v204, -v13
	s_set_vgpr_msb 0                        ;  msbs: dst=0 src0=0 src1=0 src2=0
	v_add_f32_e32 v9, v9, v21
	v_add_f32_e32 v7, v7, v69
	s_set_vgpr_msb 1                        ;  msbs: dst=0 src0=1 src1=0 src2=0
	v_dual_fmac_f32 v83, v69 /*v325*/, v204 :: v_dual_fmac_f32 v85, v71 /*v327*/, v206
	s_wait_loadcnt 0x3
	s_set_vgpr_msb 0                        ;  msbs: dst=0 src0=0 src1=0 src2=0
	v_dual_mov_b32 v134, v219 :: v_dual_add_f32 v9, v9, v23
	v_add_f32_e32 v7, v7, v71
	s_set_vgpr_msb 64                       ;  msbs: dst=1 src0=0 src1=0 src2=0
	v_dual_mul_f32 v83 /*v339*/, v244, v209 :: v_dual_mul_f32 v85 /*v341*/, v246, v211
	s_set_vgpr_msb 0                        ;  msbs: dst=0 src0=0 src1=0 src2=0
	v_pk_mul_f32 v[128:129], v[248:249], v[212:213] op_sel:[1,1] op_sel_hi:[0,1]
	v_dual_add_f32 v9, v9, v11 :: v_dual_add_f32 v7, v7, v73
	s_set_vgpr_msb 1                        ;  msbs: dst=0 src0=1 src1=0 src2=0
	v_fma_f32 v11, v70 /*v326*/, v206, -v15
	s_set_vgpr_msb 0                        ;  msbs: dst=0 src0=0 src1=0 src2=0
	v_mul_f32_e32 v19, v247, v211
	s_set_vgpr_msb 64                       ;  msbs: dst=1 src0=0 src1=0 src2=0
	v_dual_fmac_f32 v83 /*v339*/, v245, v208 :: v_dual_fmac_f32 v85 /*v341*/, v247, v210
	s_set_vgpr_msb 0                        ;  msbs: dst=0 src0=0 src1=0 src2=0
	v_dual_add_f32 v7, v7, v75 :: v_dual_add_f32 v9, v9, v13
	s_set_vgpr_msb 64                       ;  msbs: dst=1 src0=0 src1=0 src2=0
	v_dual_fma_f32 v82 /*v338*/, v244, v208, -v17 :: v_dual_fma_f32 v84 /*v340*/, v246, v210, -v19
	s_set_vgpr_msb 0                        ;  msbs: dst=0 src0=0 src1=0 src2=0
	v_pk_fma_f32 v[138:139], v[248:249], v[212:213], v[128:129] op_sel_hi:[1,0,1]
	v_dual_add_f32 v7, v7, v77 :: v_dual_add_f32 v136, v9, v11
	v_pk_fma_f32 v[128:129], v[248:249], v[212:213], v[128:129] neg_lo:[0,0,1] neg_hi:[0,0,1]
	s_set_vgpr_msb 1                        ;  msbs: dst=0 src0=1 src1=0 src2=0
	v_pk_mul_f32 v[130:131], v[74:75] /*v[330:331]*/, v[130:131] op_sel_hi:[1,0]
	s_set_vgpr_msb 0                        ;  msbs: dst=0 src0=0 src1=0 src2=0
	v_mov_b32_e32 v129, v139
	v_add_f32_e32 v7, v7, v79
	s_set_vgpr_msb 1                        ;  msbs: dst=0 src0=1 src1=0 src2=0
	v_pk_mul_f32 v[132:133], v[4:5] /*v[260:261]*/, v[216:217] op_sel:[1,1] op_sel_hi:[0,1]
	v_pk_mul_f32 v[134:135], v[76:77] /*v[332:333]*/, v[134:135] op_sel_hi:[1,0]
	s_set_vgpr_msb 0                        ;  msbs: dst=0 src0=0 src1=0 src2=0
	v_pk_fma_f32 v[138:139], v[250:251], v[214:215], v[130:131] op_sel_hi:[1,0,1]
	v_pk_fma_f32 v[130:131], v[250:251], v[214:215], v[130:131] neg_lo:[0,0,1] neg_hi:[0,0,1]
	v_add_f32_e32 v7, v7, v81
	s_set_vgpr_msb 1                        ;  msbs: dst=0 src0=1 src1=0 src2=0
	v_pk_fma_f32 v[142:143], v[4:5] /*v[260:261]*/, v[216:217], v[132:133] op_sel_hi:[1,0,1]
	s_wait_loadcnt 0x2
	v_pk_mul_f32 v[140:141], v[8:9] /*v[264:265]*/, v[220:221] op_sel:[1,1] op_sel_hi:[0,1]
	s_set_vgpr_msb 0                        ;  msbs: dst=0 src0=0 src1=0 src2=0
	v_mov_b32_e32 v131, v139
	s_set_vgpr_msb 1                        ;  msbs: dst=0 src0=1 src1=0 src2=0
	v_pk_fma_f32 v[132:133], v[4:5] /*v[260:261]*/, v[216:217], v[132:133] neg_lo:[0,0,1] neg_hi:[0,0,1]
	s_set_vgpr_msb 0                        ;  msbs: dst=0 src0=0 src1=0 src2=0
	v_add_f32_e32 v7, v7, v83
	s_set_vgpr_msb 1                        ;  msbs: dst=0 src0=1 src1=0 src2=0
	v_pk_fma_f32 v[138:139], v[6:7] /*v[262:263]*/, v[218:219], v[134:135] op_sel_hi:[1,0,1]
	s_set_vgpr_msb 0                        ;  msbs: dst=0 src0=0 src1=0 src2=0
	v_mov_b32_e32 v133, v143
	s_set_vgpr_msb 1                        ;  msbs: dst=0 src0=1 src1=0 src2=0
	v_pk_fma_f32 v[134:135], v[6:7] /*v[262:263]*/, v[218:219], v[134:135] neg_lo:[0,0,1] neg_hi:[0,0,1]
	s_set_vgpr_msb 0                        ;  msbs: dst=0 src0=0 src1=0 src2=0
	v_add_f32_e32 v137, v7, v85
	v_mov_b32_e32 v135, v139
	s_set_vgpr_msb 1                        ;  msbs: dst=0 src0=1 src1=0 src2=0
	v_pk_fma_f32 v[138:139], v[8:9] /*v[264:265]*/, v[220:221], v[140:141] neg_lo:[0,0,1] neg_hi:[0,0,1]
	s_set_vgpr_msb 4                        ;  msbs: dst=0 src0=0 src1=1 src2=0
	v_pk_add_f32 v[136:137], v[136:137], v[82:83] /*v[338:339]*/
	s_delay_alu instid0(VALU_DEP_1) | instskip(SKIP_1) | instid1(VALU_DEP_1)
	v_pk_add_f32 v[136:137], v[136:137], v[84:85] /*v[340:341]*/
	s_set_vgpr_msb 0                        ;  msbs: dst=0 src0=0 src1=0 src2=0
	v_pk_add_f32 v[128:129], v[136:137], v[128:129]
	v_mov_b32_e32 v136, v223
	s_delay_alu instid0(VALU_DEP_2) | instskip(SKIP_2) | instid1(VALU_DEP_3)
	v_pk_add_f32 v[128:129], v[128:129], v[130:131]
	s_set_vgpr_msb 1                        ;  msbs: dst=0 src0=1 src1=0 src2=0
	v_pk_fma_f32 v[130:131], v[8:9] /*v[264:265]*/, v[220:221], v[140:141] op_sel_hi:[1,0,1]
	v_pk_mul_f32 v[136:137], v[78:79] /*v[334:335]*/, v[136:137] op_sel_hi:[1,0]
	s_set_vgpr_msb 0                        ;  msbs: dst=0 src0=0 src1=0 src2=0
	v_pk_add_f32 v[128:129], v[128:129], v[132:133]
	s_delay_alu instid0(VALU_DEP_3)
	v_mov_b32_e32 v139, v131
	s_set_vgpr_msb 1                        ;  msbs: dst=0 src0=1 src1=0 src2=0
	v_pk_fma_f32 v[130:131], v[10:11] /*v[266:267]*/, v[222:223], v[136:137] op_sel_hi:[1,0,1]
	s_wait_loadcnt 0x1
	v_pk_mul_f32 v[132:133], v[20:21] /*v[276:277]*/, v[224:225] op_sel:[1,1] op_sel_hi:[0,1]
	s_set_vgpr_msb 0                        ;  msbs: dst=0 src0=0 src1=0 src2=0
	v_mov_b32_e32 v130, v227
	v_pk_add_f32 v[128:129], v[128:129], v[134:135]
	s_set_vgpr_msb 1                        ;  msbs: dst=0 src0=1 src1=0 src2=0
	v_pk_fma_f32 v[136:137], v[10:11] /*v[266:267]*/, v[222:223], v[136:137] neg_lo:[0,0,1] neg_hi:[0,0,1]
	v_pk_fma_f32 v[134:135], v[20:21] /*v[276:277]*/, v[224:225], v[132:133] op_sel_hi:[1,0,1]
	s_set_vgpr_msb 0                        ;  msbs: dst=0 src0=0 src1=0 src2=0
	v_mov_b32_e32 v137, v131
	v_pk_add_f32 v[128:129], v[128:129], v[138:139]
	s_set_vgpr_msb 1                        ;  msbs: dst=0 src0=1 src1=0 src2=0
	v_pk_mul_f32 v[130:131], v[80:81] /*v[336:337]*/, v[130:131] op_sel_hi:[1,0]
	v_pk_fma_f32 v[132:133], v[20:21] /*v[276:277]*/, v[224:225], v[132:133] neg_lo:[0,0,1] neg_hi:[0,0,1]
	s_set_vgpr_msb 0                        ;  msbs: dst=0 src0=0 src1=0 src2=0
	v_mov_b32_e32 v133, v135
	v_pk_add_f32 v[128:129], v[128:129], v[136:137]
	s_set_vgpr_msb 1                        ;  msbs: dst=0 src0=1 src1=0 src2=0
	v_pk_fma_f32 v[134:135], v[22:23] /*v[278:279]*/, v[226:227], v[130:131] op_sel_hi:[1,0,1]
	v_pk_fma_f32 v[130:131], v[22:23] /*v[278:279]*/, v[226:227], v[130:131] neg_lo:[0,0,1] neg_hi:[0,0,1]
	s_set_vgpr_msb 0                        ;  msbs: dst=0 src0=0 src1=0 src2=0
	v_pk_add_f32 v[128:129], v[128:129], v[132:133]
	s_delay_alu instid0(VALU_DEP_3) | instskip(NEXT) | instid1(VALU_DEP_1)
	v_mov_b32_e32 v131, v135
	v_pk_add_f32 v[128:129], v[128:129], v[130:131]
	s_wait_loadcnt 0x0
	s_set_vgpr_msb 1                        ;  msbs: dst=0 src0=1 src1=0 src2=0
	s_delay_alu instid0(VALU_DEP_1)
	v_pk_add_f32 v[128:129], v[72:73] /*v[328:329]*/, v[128:129] neg_lo:[0,1] neg_hi:[0,1]
	scratch_store_b64 off, v[128:129], off offset:96
	s_wait_xcnt 0x0
	v_cmpx_lt_u32_e32 11, v0
	s_set_vgpr_msb 0                        ;  msbs: dst=0 src0=0 src1=0 src2=0
	s_cbranch_execz .LBB126_369
; %bb.368:
	scratch_load_b64 v[128:129], off, off offset:88
	v_mov_b64_e32 v[130:131], 0
	scratch_store_b64 off, v[130:131], off offset:88
	s_wait_loadcnt 0x0
	ds_store_b64 v1, v[128:129]
.LBB126_369:
	s_wait_xcnt 0x0
	s_or_b32 exec_lo, exec_lo, s0
	s_wait_storecnt_dscnt 0x0
	s_barrier_signal -1
	s_barrier_wait -1
	s_clause 0x1b
	scratch_load_b128 v[128:131], off, off offset:96
	scratch_load_b128 v[132:135], off, off offset:112
	;; [unrolled: 1-line block ×25, first 2 shown]
	s_set_vgpr_msb 64                       ;  msbs: dst=1 src0=0 src1=0 src2=0
	scratch_load_b64 v[72:73] /*v[328:329]*/, off, off offset:496
	scratch_load_b64 v[74:75] /*v[330:331]*/, off, off offset:88
	s_set_vgpr_msb 0                        ;  msbs: dst=0 src0=0 src1=0 src2=0
	v_mov_b32_e32 v7, 0
	ds_load_b128 v[228:231], v7 offset:608
	ds_load_b128 v[232:235], v7 offset:624
	;; [unrolled: 1-line block ×7, first 2 shown]
	s_set_vgpr_msb 64                       ;  msbs: dst=1 src0=0 src1=0 src2=0
	ds_load_b128 v[0:3] /*v[256:259]*/, v7 offset:688
	ds_load_b128 v[4:7] /*v[260:263]*/, v7 offset:960
	ds_load_b128 v[8:11] /*v[264:267]*/, v7 offset:976
	ds_load_b128 v[12:15] /*v[268:271]*/, v7 offset:704
	ds_load_b128 v[16:19] /*v[272:275]*/, v7 offset:720
	ds_load_b128 v[20:23] /*v[276:279]*/, v7 offset:992
	ds_load_b128 v[24:27] /*v[280:283]*/, v7 offset:736
	ds_load_b128 v[28:31] /*v[284:287]*/, v7 offset:752
	ds_load_b128 v[32:35] /*v[288:291]*/, v7 offset:768
	ds_load_b128 v[36:39] /*v[292:295]*/, v7 offset:784
	ds_load_b128 v[40:43] /*v[296:299]*/, v7 offset:800
	ds_load_b128 v[44:47] /*v[300:303]*/, v7 offset:816
	ds_load_b128 v[48:51] /*v[304:307]*/, v7 offset:832
	ds_load_b128 v[52:55] /*v[308:311]*/, v7 offset:848
	ds_load_b128 v[56:59] /*v[312:315]*/, v7 offset:864
	ds_load_b128 v[60:63] /*v[316:319]*/, v7 offset:880
	ds_load_b128 v[64:67] /*v[320:323]*/, v7 offset:896
	ds_load_b128 v[68:71] /*v[324:327]*/, v7 offset:912
	ds_load_b64 v[76:77] /*v[332:333]*/, v7 offset:1008
	s_wait_dscnt 0x14
	v_dual_mov_b32 v78 /*v334*/, v251 :: v_dual_mov_b32 v79 /*v335*/, v250
	s_wait_dscnt 0x11
	s_set_vgpr_msb 0x41                     ;  msbs: dst=1 src0=1 src1=0 src2=0
	v_dual_mov_b32 v80 /*v336*/, v7 /*v263*/ :: v_dual_mov_b32 v81 /*v337*/, v6 /*v262*/
	s_wait_dscnt 0x10
	v_dual_mov_b32 v82 /*v338*/, v11 /*v267*/ :: v_dual_mov_b32 v83 /*v339*/, v10 /*v266*/
	s_wait_dscnt 0xd
	v_dual_mov_b32 v84 /*v340*/, v23 /*v279*/ :: v_dual_mov_b32 v85 /*v341*/, v22 /*v278*/
	s_mov_b32 s0, exec_lo
	s_wait_loadcnt 0x1a
	s_set_vgpr_msb 0                        ;  msbs: dst=0 src0=0 src1=0 src2=0
	v_dual_mul_f32 v9, v228, v129 :: v_dual_mul_f32 v75, v229, v129
	s_wait_loadcnt 0x19
	v_dual_mul_f32 v11, v230, v131 :: v_dual_mul_f32 v13, v232, v133
	s_wait_loadcnt 0x16
	v_mul_f32_e32 v27, v254, v147
	v_dual_mul_f32 v77, v231, v131 :: v_dual_mul_f32 v91, v233, v133
	v_dual_mul_f32 v103, v241, v141 :: v_dual_fma_f32 v75, v228, v128, -v75
	v_dual_fmac_f32 v9, v229, v128 :: v_dual_mul_f32 v105, v243, v143
	s_delay_alu instid0(VALU_DEP_3) | instskip(NEXT) | instid1(VALU_DEP_2)
	v_dual_fmac_f32 v11, v231, v130 :: v_dual_fma_f32 v77, v230, v130, -v77
	v_dual_add_f32 v75, 0, v75 :: v_dual_add_f32 v9, 0, v9
	v_dual_mul_f32 v15, v234, v135 :: v_dual_mul_f32 v17, v236, v137
	v_dual_mul_f32 v93, v235, v135 :: v_dual_mul_f32 v107, v253, v145
	v_dual_fma_f32 v91, v232, v132, -v91 :: v_dual_fmac_f32 v13, v233, v132
	s_delay_alu instid0(VALU_DEP_3)
	v_dual_add_f32 v9, v9, v11 :: v_dual_fmac_f32 v15, v235, v134
	v_add_f32_e32 v11, v75, v77
	s_wait_loadcnt 0x6
	v_mul_f32_e32 v97, v244, v209
	v_dual_mul_f32 v99, v237, v137 :: v_dual_mul_f32 v101, v239, v139
	v_dual_mul_f32 v75, v255, v147 :: v_dual_fma_f32 v77, v234, v134, -v93
	v_dual_add_f32 v9, v9, v13 :: v_dual_add_f32 v11, v11, v91
	v_dual_mul_f32 v19, v238, v139 :: v_dual_mul_f32 v21, v240, v141
	s_delay_alu instid0(VALU_DEP_4) | instskip(NEXT) | instid1(VALU_DEP_3)
	v_dual_fmac_f32 v17, v237, v136 :: v_dual_fma_f32 v91, v236, v136, -v99
	v_dual_add_f32 v9, v9, v15 :: v_dual_add_f32 v11, v11, v77
	s_delay_alu instid0(VALU_DEP_3) | instskip(SKIP_1) | instid1(VALU_DEP_3)
	v_dual_fmac_f32 v19, v239, v138 :: v_dual_fma_f32 v77, v238, v138, -v101
	v_dual_mul_f32 v23, v242, v143 :: v_dual_mul_f32 v25, v252, v145
	v_dual_add_f32 v9, v9, v17 :: v_dual_add_f32 v11, v11, v91
	v_dual_fmac_f32 v21, v241, v140 :: v_dual_fma_f32 v91, v240, v140, -v103
	s_delay_alu instid0(VALU_DEP_2) | instskip(NEXT) | instid1(VALU_DEP_3)
	v_dual_fmac_f32 v23, v243, v142 :: v_dual_add_f32 v9, v9, v19
	v_dual_add_f32 v11, v11, v77 :: v_dual_fma_f32 v77, v242, v142, -v105
	v_fmac_f32_e32 v25, v253, v144
	s_set_vgpr_msb 1                        ;  msbs: dst=0 src0=1 src1=0 src2=0
	v_dual_mul_f32 v29, v0 /*v256*/, v149 :: v_dual_mul_f32 v31, v2 /*v258*/, v151
	s_set_vgpr_msb 0                        ;  msbs: dst=0 src0=0 src1=0 src2=0
	v_dual_add_f32 v9, v9, v21 :: v_dual_add_f32 v11, v11, v91
	v_fma_f32 v91, v252, v144, -v107
	s_set_vgpr_msb 1                        ;  msbs: dst=0 src0=1 src1=0 src2=0
	v_dual_mul_f32 v13, v1 /*v257*/, v149 :: v_dual_mul_f32 v15, v3 /*v259*/, v151
	s_set_vgpr_msb 0                        ;  msbs: dst=0 src0=0 src1=0 src2=0
	v_dual_add_f32 v9, v9, v23 :: v_dual_add_f32 v11, v11, v77
	v_fmac_f32_e32 v27, v255, v146
	v_fma_f32 v75, v254, v146, -v75
	s_set_vgpr_msb 1                        ;  msbs: dst=0 src0=1 src1=0 src2=0
	v_fmac_f32_e32 v29, v1 /*v257*/, v148
	s_set_vgpr_msb 0                        ;  msbs: dst=0 src0=0 src1=0 src2=0
	v_dual_add_f32 v9, v9, v25 :: v_dual_add_f32 v11, v11, v91
	s_wait_dscnt 0xc
	s_set_vgpr_msb 1                        ;  msbs: dst=0 src0=1 src1=0 src2=0
	v_dual_mul_f32 v25, v25 /*v281*/, v161 :: v_dual_fma_f32 v13, v0 /*v256*/, v148, -v13
	v_dual_mul_f32 v33, v12 /*v268*/, v153 :: v_dual_mul_f32 v35, v14 /*v270*/, v155
	s_set_vgpr_msb 0                        ;  msbs: dst=0 src0=0 src1=0 src2=0
	v_add_f32_e32 v11, v11, v75
	v_add_f32_e32 v9, v9, v27
	s_set_vgpr_msb 1                        ;  msbs: dst=0 src0=1 src1=0 src2=0
	v_dual_mul_f32 v17, v13 /*v269*/, v153 :: v_dual_mul_f32 v19, v15 /*v271*/, v155
	v_mul_f32_e32 v27, v27 /*v283*/, v163
	v_fmac_f32_e32 v31, v3 /*v259*/, v150
	v_dual_fma_f32 v15, v2 /*v258*/, v150, -v15 :: v_dual_fmac_f32 v33, v13 /*v269*/, v152
	s_set_vgpr_msb 0                        ;  msbs: dst=0 src0=0 src1=0 src2=0
	v_add_f32_e32 v11, v11, v13
	v_add_f32_e32 v9, v9, v29
	s_wait_dscnt 0xb
	s_set_vgpr_msb 1                        ;  msbs: dst=0 src0=1 src1=0 src2=0
	v_dual_mul_f32 v13, v29 /*v285*/, v165 :: v_dual_fma_f32 v17, v12 /*v268*/, v152, -v17
	v_dual_mul_f32 v37, v16 /*v272*/, v157 :: v_dual_mul_f32 v39, v18 /*v274*/, v159
	s_set_vgpr_msb 0                        ;  msbs: dst=0 src0=0 src1=0 src2=0
	v_add_f32_e32 v11, v11, v15
	s_set_vgpr_msb 1                        ;  msbs: dst=0 src0=1 src1=0 src2=0
	v_mul_f32_e32 v15, v31 /*v287*/, v167
	s_set_vgpr_msb 0                        ;  msbs: dst=0 src0=0 src1=0 src2=0
	v_add_f32_e32 v9, v9, v31
	s_set_vgpr_msb 1                        ;  msbs: dst=0 src0=1 src1=0 src2=0
	v_dual_mul_f32 v21, v17 /*v273*/, v157 :: v_dual_mul_f32 v23, v19 /*v275*/, v159
	v_fmac_f32_e32 v35, v15 /*v271*/, v154
	v_dual_fma_f32 v19, v14 /*v270*/, v154, -v19 :: v_dual_fmac_f32 v37, v17 /*v273*/, v156
	s_set_vgpr_msb 0                        ;  msbs: dst=0 src0=0 src1=0 src2=0
	v_add_f32_e32 v11, v11, v17
	v_add_f32_e32 v9, v9, v33
	s_wait_dscnt 0xa
	s_set_vgpr_msb 1                        ;  msbs: dst=0 src0=1 src1=0 src2=0
	v_dual_mul_f32 v17, v33 /*v289*/, v169 :: v_dual_fma_f32 v21, v16 /*v272*/, v156, -v21
	v_dual_mul_f32 v41, v24 /*v280*/, v161 :: v_dual_mul_f32 v43, v26 /*v282*/, v163
	s_set_vgpr_msb 0                        ;  msbs: dst=0 src0=0 src1=0 src2=0
	v_add_f32_e32 v11, v11, v19
	s_set_vgpr_msb 1                        ;  msbs: dst=0 src0=1 src1=0 src2=0
	v_mul_f32_e32 v19, v35 /*v291*/, v171
	s_set_vgpr_msb 0                        ;  msbs: dst=0 src0=0 src1=0 src2=0
	v_add_f32_e32 v9, v9, v35
	s_set_vgpr_msb 1                        ;  msbs: dst=0 src0=1 src1=0 src2=0
	v_fmac_f32_e32 v39, v19 /*v275*/, v158
	v_dual_fma_f32 v23, v18 /*v274*/, v158, -v23 :: v_dual_fmac_f32 v41, v25 /*v281*/, v160
	s_set_vgpr_msb 0                        ;  msbs: dst=0 src0=0 src1=0 src2=0
	v_add_f32_e32 v11, v11, v21
	v_add_f32_e32 v9, v9, v37
	s_wait_dscnt 0x9
	s_set_vgpr_msb 1                        ;  msbs: dst=0 src0=1 src1=0 src2=0
	v_dual_mul_f32 v21, v37 /*v293*/, v173 :: v_dual_fma_f32 v25, v24 /*v280*/, v160, -v25
	v_dual_mul_f32 v45, v28 /*v284*/, v165 :: v_dual_mul_f32 v47, v30 /*v286*/, v167
	s_set_vgpr_msb 0                        ;  msbs: dst=0 src0=0 src1=0 src2=0
	v_add_f32_e32 v11, v11, v23
	s_set_vgpr_msb 1                        ;  msbs: dst=0 src0=1 src1=0 src2=0
	v_mul_f32_e32 v23, v39 /*v295*/, v175
	s_set_vgpr_msb 0                        ;  msbs: dst=0 src0=0 src1=0 src2=0
	v_add_f32_e32 v9, v9, v39
	s_set_vgpr_msb 1                        ;  msbs: dst=0 src0=1 src1=0 src2=0
	;; [unrolled: 16-line block ×10, first 2 shown]
	v_dual_fmac_f32 v79, v59 /*v315*/, v194 :: v_dual_fmac_f32 v81, v61 /*v317*/, v196
	v_dual_fma_f32 v27, v58 /*v314*/, v194, -v27 :: v_dual_fma_f32 v13, v60 /*v316*/, v196, -v13
	s_set_vgpr_msb 0                        ;  msbs: dst=0 src0=0 src1=0 src2=0
	v_add_f32_e32 v11, v11, v25
	v_add_f32_e32 v9, v9, v73
	v_mul_f32_e32 v25, v245, v209
	s_set_vgpr_msb 1                        ;  msbs: dst=0 src0=1 src1=0 src2=0
	v_dual_mul_f32 v85, v64 /*v320*/, v201 :: v_dual_mul_f32 v87, v66 /*v322*/, v203
	s_set_vgpr_msb 0                        ;  msbs: dst=0 src0=0 src1=0 src2=0
	v_add_f32_e32 v11, v11, v27
	v_add_f32_e32 v9, v9, v79
	s_set_vgpr_msb 1                        ;  msbs: dst=0 src0=1 src1=0 src2=0
	v_dual_fmac_f32 v83, v63 /*v319*/, v198 :: v_dual_fmac_f32 v85, v65 /*v321*/, v200
	v_dual_fma_f32 v15, v62 /*v318*/, v198, -v15 :: v_dual_fma_f32 v17, v64 /*v320*/, v200, -v17
	s_set_vgpr_msb 0                        ;  msbs: dst=0 src0=0 src1=0 src2=0
	v_add_f32_e32 v11, v11, v13
	v_dual_mul_f32 v27, v247, v211 :: v_dual_add_f32 v9, v9, v81
	s_set_vgpr_msb 1                        ;  msbs: dst=0 src0=1 src1=0 src2=0
	v_dual_mul_f32 v89, v68 /*v324*/, v205 :: v_dual_mul_f32 v95, v70 /*v326*/, v207
	s_wait_loadcnt 0x5
	s_set_vgpr_msb 0                        ;  msbs: dst=0 src0=0 src1=0 src2=0
	v_dual_mul_f32 v13, v249, v213 :: v_dual_add_f32 v11, v11, v15
	v_dual_add_f32 v9, v9, v83 :: v_dual_mov_b32 v130, v215
	s_set_vgpr_msb 1                        ;  msbs: dst=0 src0=1 src1=0 src2=0
	v_dual_fmac_f32 v87, v67 /*v323*/, v202 :: v_dual_fmac_f32 v89, v69 /*v325*/, v204
	v_fma_f32 v15, v66 /*v322*/, v202, -v19
	s_set_vgpr_msb 0                        ;  msbs: dst=0 src0=0 src1=0 src2=0
	v_add_f32_e32 v11, v11, v17
	s_set_vgpr_msb 1                        ;  msbs: dst=0 src0=1 src1=0 src2=0
	v_fma_f32 v17, v68 /*v324*/, v204, -v21
	s_set_vgpr_msb 0                        ;  msbs: dst=0 src0=0 src1=0 src2=0
	v_add_f32_e32 v9, v9, v85
	s_set_vgpr_msb 1                        ;  msbs: dst=0 src0=1 src1=0 src2=0
	v_fmac_f32_e32 v95, v71 /*v327*/, v206
	s_set_vgpr_msb 0                        ;  msbs: dst=0 src0=0 src1=0 src2=0
	v_dual_mul_f32 v129, v246, v211 :: v_dual_mul_f32 v131, v248, v213
	v_add_f32_e32 v11, v11, v15
	s_wait_loadcnt 0x4
	v_dual_add_f32 v9, v9, v87 :: v_dual_mov_b32 v134, v219
	s_set_vgpr_msb 1                        ;  msbs: dst=0 src0=1 src1=0 src2=0
	v_fma_f32 v15, v70 /*v326*/, v206, -v23
	s_set_vgpr_msb 0                        ;  msbs: dst=0 src0=0 src1=0 src2=0
	v_dual_fmac_f32 v97, v245, v208 :: v_dual_add_f32 v11, v11, v17
	v_dual_add_f32 v9, v9, v89 :: v_dual_fma_f32 v17, v244, v208, -v25
	v_fma_f32 v128, v246, v210, -v27
	s_set_vgpr_msb 1                        ;  msbs: dst=0 src0=1 src1=0 src2=0
	v_pk_mul_f32 v[138:139], v[78:79] /*v[334:335]*/, v[130:131] op_sel_hi:[1,0]
	s_set_vgpr_msb 0                        ;  msbs: dst=0 src0=0 src1=0 src2=0
	v_add_f32_e32 v11, v11, v15
	v_dual_add_f32 v9, v9, v95 :: v_dual_fmac_f32 v129, v247, v210
	s_set_vgpr_msb 1                        ;  msbs: dst=0 src0=1 src1=0 src2=0
	v_pk_mul_f32 v[132:133], v[4:5] /*v[260:261]*/, v[216:217] op_sel:[1,1] op_sel_hi:[0,1]
	s_wait_loadcnt 0x3
	s_set_vgpr_msb 0                        ;  msbs: dst=0 src0=0 src1=0 src2=0
	v_dual_mov_b32 v142, v223 :: v_dual_fma_f32 v130, v248, v212, -v13
	v_add_f32_e32 v141, v9, v97
	v_dual_add_f32 v140, v11, v17 :: v_dual_fmac_f32 v131, v249, v212
	v_pk_fma_f32 v[144:145], v[250:251], v[214:215], v[138:139] op_sel_hi:[1,0,1]
	v_pk_fma_f32 v[138:139], v[250:251], v[214:215], v[138:139] neg_lo:[0,0,1] neg_hi:[0,0,1]
	s_set_vgpr_msb 1                        ;  msbs: dst=0 src0=1 src1=0 src2=0
	v_pk_mul_f32 v[134:135], v[80:81] /*v[336:337]*/, v[134:135] op_sel_hi:[1,0]
	s_set_vgpr_msb 0                        ;  msbs: dst=0 src0=0 src1=0 src2=0
	v_pk_add_f32 v[128:129], v[140:141], v[128:129]
	s_set_vgpr_msb 1                        ;  msbs: dst=0 src0=1 src1=0 src2=0
	v_pk_fma_f32 v[140:141], v[4:5] /*v[260:261]*/, v[216:217], v[132:133] op_sel_hi:[1,0,1]
	s_set_vgpr_msb 0                        ;  msbs: dst=0 src0=0 src1=0 src2=0
	v_mov_b32_e32 v139, v145
	s_set_vgpr_msb 1                        ;  msbs: dst=0 src0=1 src1=0 src2=0
	v_pk_fma_f32 v[132:133], v[4:5] /*v[260:261]*/, v[216:217], v[132:133] neg_lo:[0,0,1] neg_hi:[0,0,1]
	v_pk_mul_f32 v[136:137], v[8:9] /*v[264:265]*/, v[220:221] op_sel:[1,1] op_sel_hi:[0,1]
	s_set_vgpr_msb 0                        ;  msbs: dst=0 src0=0 src1=0 src2=0
	v_pk_add_f32 v[128:129], v[128:129], v[130:131]
	v_mov_b32_e32 v133, v141
	s_set_vgpr_msb 1                        ;  msbs: dst=0 src0=1 src1=0 src2=0
	v_pk_fma_f32 v[140:141], v[6:7] /*v[262:263]*/, v[218:219], v[134:135] op_sel_hi:[1,0,1]
	v_pk_fma_f32 v[134:135], v[6:7] /*v[262:263]*/, v[218:219], v[134:135] neg_lo:[0,0,1] neg_hi:[0,0,1]
	v_pk_mul_f32 v[142:143], v[82:83] /*v[338:339]*/, v[142:143] op_sel_hi:[1,0]
	s_set_vgpr_msb 0                        ;  msbs: dst=0 src0=0 src1=0 src2=0
	v_pk_add_f32 v[128:129], v[128:129], v[138:139]
	s_set_vgpr_msb 1                        ;  msbs: dst=0 src0=1 src1=0 src2=0
	v_pk_fma_f32 v[138:139], v[8:9] /*v[264:265]*/, v[220:221], v[136:137] op_sel_hi:[1,0,1]
	s_set_vgpr_msb 0                        ;  msbs: dst=0 src0=0 src1=0 src2=0
	v_mov_b32_e32 v135, v141
	s_set_vgpr_msb 1                        ;  msbs: dst=0 src0=1 src1=0 src2=0
	v_pk_fma_f32 v[136:137], v[8:9] /*v[264:265]*/, v[220:221], v[136:137] neg_lo:[0,0,1] neg_hi:[0,0,1]
	s_wait_loadcnt 0x2
	v_pk_mul_f32 v[130:131], v[20:21] /*v[276:277]*/, v[224:225] op_sel:[1,1] op_sel_hi:[0,1]
	s_set_vgpr_msb 0                        ;  msbs: dst=0 src0=0 src1=0 src2=0
	v_pk_add_f32 v[128:129], v[128:129], v[132:133]
	v_dual_mov_b32 v132, v227 :: v_dual_mov_b32 v137, v139
	s_set_vgpr_msb 1                        ;  msbs: dst=0 src0=1 src1=0 src2=0
	v_pk_fma_f32 v[138:139], v[10:11] /*v[266:267]*/, v[222:223], v[142:143] op_sel_hi:[1,0,1]
	v_pk_fma_f32 v[140:141], v[10:11] /*v[266:267]*/, v[222:223], v[142:143] neg_lo:[0,0,1] neg_hi:[0,0,1]
	s_set_vgpr_msb 0                        ;  msbs: dst=0 src0=0 src1=0 src2=0
	v_pk_add_f32 v[128:129], v[128:129], v[134:135]
	s_set_vgpr_msb 1                        ;  msbs: dst=0 src0=1 src1=0 src2=0
	v_pk_fma_f32 v[134:135], v[20:21] /*v[276:277]*/, v[224:225], v[130:131] op_sel_hi:[1,0,1]
	v_pk_mul_f32 v[132:133], v[84:85] /*v[340:341]*/, v[132:133] op_sel_hi:[1,0]
	s_set_vgpr_msb 0                        ;  msbs: dst=0 src0=0 src1=0 src2=0
	v_mov_b32_e32 v141, v139
	s_set_vgpr_msb 1                        ;  msbs: dst=0 src0=1 src1=0 src2=0
	v_pk_fma_f32 v[130:131], v[20:21] /*v[276:277]*/, v[224:225], v[130:131] neg_lo:[0,0,1] neg_hi:[0,0,1]
	s_set_vgpr_msb 0                        ;  msbs: dst=0 src0=0 src1=0 src2=0
	v_pk_add_f32 v[128:129], v[128:129], v[136:137]
	v_mov_b32_e32 v131, v135
	s_set_vgpr_msb 1                        ;  msbs: dst=0 src0=1 src1=0 src2=0
	v_pk_fma_f32 v[134:135], v[22:23] /*v[278:279]*/, v[226:227], v[132:133] op_sel_hi:[1,0,1]
	s_wait_loadcnt_dscnt 0x100
	s_set_vgpr_msb 5                        ;  msbs: dst=0 src0=1 src1=1 src2=0
	v_pk_mul_f32 v[136:137], v[76:77] /*v[332:333]*/, v[72:73] /*v[328:329]*/ op_sel:[1,1] op_sel_hi:[0,1]
	s_set_vgpr_msb 1                        ;  msbs: dst=0 src0=1 src1=0 src2=0
	v_pk_fma_f32 v[132:133], v[22:23] /*v[278:279]*/, v[226:227], v[132:133] neg_lo:[0,0,1] neg_hi:[0,0,1]
	s_set_vgpr_msb 0                        ;  msbs: dst=0 src0=0 src1=0 src2=0
	v_pk_add_f32 v[128:129], v[128:129], v[140:141]
	v_mov_b32_e32 v133, v135
	s_set_vgpr_msb 5                        ;  msbs: dst=0 src0=1 src1=1 src2=0
	v_pk_fma_f32 v[134:135], v[76:77] /*v[332:333]*/, v[72:73] /*v[328:329]*/, v[136:137] neg_lo:[0,0,1] neg_hi:[0,0,1]
	s_set_vgpr_msb 0                        ;  msbs: dst=0 src0=0 src1=0 src2=0
	v_pk_add_f32 v[128:129], v[128:129], v[130:131]
	s_set_vgpr_msb 5                        ;  msbs: dst=0 src0=1 src1=1 src2=0
	v_pk_fma_f32 v[130:131], v[76:77] /*v[332:333]*/, v[72:73] /*v[328:329]*/, v[136:137] op_sel_hi:[1,0,1]
	s_set_vgpr_msb 0                        ;  msbs: dst=0 src0=0 src1=0 src2=0
	s_delay_alu instid0(VALU_DEP_2) | instskip(NEXT) | instid1(VALU_DEP_2)
	v_pk_add_f32 v[128:129], v[128:129], v[132:133]
	v_mov_b32_e32 v135, v131
	s_delay_alu instid0(VALU_DEP_1) | instskip(SKIP_2) | instid1(VALU_DEP_1)
	v_pk_add_f32 v[128:129], v[128:129], v[134:135]
	s_wait_loadcnt 0x0
	s_set_vgpr_msb 1                        ;  msbs: dst=0 src0=1 src1=0 src2=0
	v_pk_add_f32 v[128:129], v[74:75] /*v[330:331]*/, v[128:129] neg_lo:[0,1] neg_hi:[0,1]
	scratch_store_b64 off, v[128:129], off offset:88
	s_wait_xcnt 0x0
	v_cmpx_lt_u32_e32 10, v0
	s_set_vgpr_msb 0                        ;  msbs: dst=0 src0=0 src1=0 src2=0
	s_cbranch_execz .LBB126_371
; %bb.370:
	scratch_load_b64 v[128:129], off, off offset:80
	v_mov_b64_e32 v[130:131], 0
	scratch_store_b64 off, v[130:131], off offset:80
	s_wait_loadcnt 0x0
	ds_store_b64 v1, v[128:129]
.LBB126_371:
	s_wait_xcnt 0x0
	s_or_b32 exec_lo, exec_lo, s0
	s_wait_storecnt_dscnt 0x0
	s_barrier_signal -1
	s_barrier_wait -1
	s_clause 0x18
	scratch_load_b128 v[128:131], off, off offset:88
	scratch_load_b128 v[132:135], off, off offset:104
	scratch_load_b128 v[136:139], off, off offset:120
	scratch_load_b128 v[140:143], off, off offset:136
	scratch_load_b128 v[144:147], off, off offset:152
	scratch_load_b128 v[148:151], off, off offset:168
	scratch_load_b128 v[152:155], off, off offset:184
	scratch_load_b128 v[156:159], off, off offset:200
	scratch_load_b128 v[160:163], off, off offset:216
	scratch_load_b128 v[164:167], off, off offset:232
	scratch_load_b128 v[168:171], off, off offset:248
	scratch_load_b128 v[172:175], off, off offset:264
	scratch_load_b128 v[176:179], off, off offset:280
	scratch_load_b128 v[180:183], off, off offset:296
	scratch_load_b128 v[184:187], off, off offset:312
	scratch_load_b128 v[188:191], off, off offset:328
	scratch_load_b128 v[192:195], off, off offset:344
	scratch_load_b128 v[196:199], off, off offset:360
	scratch_load_b128 v[200:203], off, off offset:376
	scratch_load_b128 v[204:207], off, off offset:392
	scratch_load_b128 v[208:211], off, off offset:408
	scratch_load_b128 v[212:215], off, off offset:424
	scratch_load_b128 v[216:219], off, off offset:440
	scratch_load_b128 v[220:223], off, off offset:456
	scratch_load_b128 v[224:227], off, off offset:472
	ds_load_2addr_b64 v[228:231], v7 offset0:75 offset1:76
	ds_load_2addr_b64 v[232:235], v7 offset0:77 offset1:78
	scratch_load_b128 v[236:239], off, off offset:488
	ds_load_2addr_b64 v[240:243], v7 offset0:79 offset1:80
	ds_load_2addr_b64 v[244:247], v7 offset0:81 offset1:82
	;; [unrolled: 1-line block ×4, first 2 shown]
	s_set_vgpr_msb 64                       ;  msbs: dst=1 src0=0 src1=0 src2=0
	ds_load_2addr_b64 v[0:3] /*v[256:259]*/, v7 offset0:119 offset1:120
	ds_load_2addr_b64 v[4:7] /*v[260:263]*/, v7 offset0:87 offset1:88
	;; [unrolled: 1-line block ×20, first 2 shown]
	scratch_load_b64 v[80:81] /*v[336:337]*/, off, off offset:80
	s_wait_dscnt 0x13
	s_set_vgpr_msb 0x41                     ;  msbs: dst=1 src0=1 src1=0 src2=0
	v_dual_mov_b32 v82 /*v338*/, v3 /*v259*/ :: v_dual_mov_b32 v83 /*v339*/, v2 /*v258*/
	s_wait_dscnt 0x10
	v_dual_mov_b32 v84 /*v340*/, v15 /*v271*/ :: v_dual_mov_b32 v85 /*v341*/, v14 /*v270*/
	s_wait_dscnt 0xf
	;; [unrolled: 2-line block ×3, first 2 shown]
	v_dual_mov_b32 v88 /*v344*/, v31 /*v287*/ :: v_dual_mov_b32 v89 /*v345*/, v30 /*v286*/
	s_mov_b32 s0, exec_lo
	s_wait_loadcnt 0x1a
	s_set_vgpr_msb 0                        ;  msbs: dst=0 src0=0 src1=0 src2=0
	v_dual_mul_f32 v7, v228, v129 :: v_dual_mul_f32 v9, v230, v131
	v_dual_mul_f32 v91, v229, v129 :: v_dual_mul_f32 v93, v231, v131
	s_wait_loadcnt 0x19
	v_dual_mul_f32 v11, v232, v133 :: v_dual_mul_f32 v13, v234, v135
	s_delay_alu instid0(VALU_DEP_3) | instskip(SKIP_3) | instid1(VALU_DEP_3)
	v_dual_fmac_f32 v7, v229, v128 :: v_dual_fmac_f32 v9, v231, v130
	s_wait_loadcnt 0x17
	v_dual_fma_f32 v91, v228, v128, -v91 :: v_dual_mul_f32 v103, v245, v141
	v_dual_mul_f32 v95, v233, v133 :: v_dual_mul_f32 v97, v235, v135
	v_dual_fma_f32 v93, v230, v130, -v93 :: v_dual_add_f32 v7, 0, v7
	s_delay_alu instid0(VALU_DEP_3) | instskip(SKIP_1) | instid1(VALU_DEP_4)
	v_dual_add_f32 v91, 0, v91 :: v_dual_fmac_f32 v11, v233, v132
	v_dual_mul_f32 v15, v240, v137 :: v_dual_mul_f32 v17, v242, v139
	v_dual_mul_f32 v105, v247, v143 :: v_dual_fma_f32 v95, v232, v132, -v95
	s_delay_alu instid0(VALU_DEP_4) | instskip(NEXT) | instid1(VALU_DEP_3)
	v_add_f32_e32 v7, v7, v9
	v_dual_add_f32 v9, v91, v93 :: v_dual_fmac_f32 v15, v241, v136
	v_dual_mul_f32 v99, v241, v137 :: v_dual_mul_f32 v101, v243, v139
	s_wait_loadcnt 0x16
	v_dual_mul_f32 v91, v249, v145 :: v_dual_fmac_f32 v13, v235, v134
	v_dual_fma_f32 v93, v234, v134, -v97 :: v_dual_add_f32 v7, v7, v11
	s_delay_alu instid0(VALU_DEP_3) | instskip(SKIP_1) | instid1(VALU_DEP_3)
	v_dual_add_f32 v9, v9, v95 :: v_dual_fma_f32 v95, v240, v136, -v99
	v_dual_mul_f32 v19, v244, v141 :: v_dual_mul_f32 v21, v246, v143
	v_add_f32_e32 v7, v7, v13
	s_delay_alu instid0(VALU_DEP_3) | instskip(SKIP_2) | instid1(VALU_DEP_3)
	v_dual_mul_f32 v11, v251, v147 :: v_dual_add_f32 v9, v9, v93
	s_wait_loadcnt 0x15
	v_dual_mul_f32 v13, v253, v149 :: v_dual_fmac_f32 v17, v243, v138
	v_dual_fma_f32 v93, v242, v138, -v101 :: v_dual_add_f32 v7, v7, v15
	s_delay_alu instid0(VALU_DEP_3) | instskip(SKIP_1) | instid1(VALU_DEP_3)
	v_dual_add_f32 v9, v9, v95 :: v_dual_fma_f32 v95, v244, v140, -v103
	v_dual_mul_f32 v15, v255, v151 :: v_dual_fmac_f32 v19, v245, v140
	v_add_f32_e32 v7, v7, v17
	s_delay_alu instid0(VALU_DEP_3) | instskip(SKIP_1) | instid1(VALU_DEP_3)
	v_dual_add_f32 v9, v9, v93 :: v_dual_fmac_f32 v21, v247, v142
	v_dual_mul_f32 v23, v248, v145 :: v_dual_mul_f32 v25, v250, v147
	v_dual_fma_f32 v93, v246, v142, -v105 :: v_dual_add_f32 v7, v7, v19
	s_delay_alu instid0(VALU_DEP_3) | instskip(NEXT) | instid1(VALU_DEP_3)
	v_dual_add_f32 v9, v9, v95 :: v_dual_fma_f32 v91, v248, v144, -v91
	v_dual_fmac_f32 v23, v249, v144 :: v_dual_mul_f32 v27, v252, v149
	s_delay_alu instid0(VALU_DEP_3) | instskip(NEXT) | instid1(VALU_DEP_3)
	v_dual_mul_f32 v29, v254, v151 :: v_dual_add_f32 v7, v7, v21
	v_dual_fma_f32 v11, v250, v146, -v11 :: v_dual_add_f32 v9, v9, v93
	s_delay_alu instid0(VALU_DEP_3) | instskip(NEXT) | instid1(VALU_DEP_3)
	v_dual_fmac_f32 v25, v251, v146 :: v_dual_fmac_f32 v27, v253, v148
	v_dual_add_f32 v7, v7, v23 :: v_dual_fma_f32 v13, v252, v148, -v13
	s_delay_alu instid0(VALU_DEP_3)
	v_add_f32_e32 v9, v9, v91
	s_wait_loadcnt 0x14
	s_set_vgpr_msb 1                        ;  msbs: dst=0 src0=1 src1=0 src2=0
	v_dual_mul_f32 v31, v4 /*v260*/, v153 :: v_dual_mul_f32 v33, v6 /*v262*/, v155
	s_set_vgpr_msb 0                        ;  msbs: dst=0 src0=0 src1=0 src2=0
	v_add_f32_e32 v7, v7, v25
	s_set_vgpr_msb 1                        ;  msbs: dst=0 src0=1 src1=0 src2=0
	v_dual_mul_f32 v17, v5 /*v261*/, v153 :: v_dual_mul_f32 v19, v7 /*v263*/, v155
	s_set_vgpr_msb 0                        ;  msbs: dst=0 src0=0 src1=0 src2=0
	v_dual_add_f32 v9, v9, v11 :: v_dual_fmac_f32 v29, v255, v150
	v_dual_fma_f32 v15, v254, v150, -v15 :: v_dual_add_f32 v7, v7, v27
	s_set_vgpr_msb 1                        ;  msbs: dst=0 src0=1 src1=0 src2=0
	v_dual_fmac_f32 v31, v5 /*v261*/, v152 :: v_dual_fma_f32 v17, v4 /*v260*/, v152, -v17
	s_set_vgpr_msb 0                        ;  msbs: dst=0 src0=0 src1=0 src2=0
	v_add_f32_e32 v9, v9, v13
	s_wait_loadcnt 0x13
	s_set_vgpr_msb 1                        ;  msbs: dst=0 src0=1 src1=0 src2=0
	v_dual_mul_f32 v35, v8 /*v264*/, v157 :: v_dual_mul_f32 v37, v10 /*v266*/, v159
	s_set_vgpr_msb 0                        ;  msbs: dst=0 src0=0 src1=0 src2=0
	v_add_f32_e32 v7, v7, v29
	s_set_vgpr_msb 1                        ;  msbs: dst=0 src0=1 src1=0 src2=0
	v_dual_mul_f32 v21, v9 /*v265*/, v157 :: v_dual_mul_f32 v23, v11 /*v267*/, v159
	s_set_vgpr_msb 0                        ;  msbs: dst=0 src0=0 src1=0 src2=0
	v_add_f32_e32 v9, v9, v15
	s_wait_loadcnt 0x11
	s_set_vgpr_msb 1                        ;  msbs: dst=0 src0=1 src1=0 src2=0
	v_dual_mul_f32 v15, v25 /*v281*/, v165 :: v_dual_fmac_f32 v33, v7 /*v263*/, v154
	v_fma_f32 v19, v6 /*v262*/, v154, -v19
	s_set_vgpr_msb 0                        ;  msbs: dst=0 src0=0 src1=0 src2=0
	v_dual_add_f32 v7, v7, v31 :: v_dual_add_f32 v9, v9, v17
	s_set_vgpr_msb 1                        ;  msbs: dst=0 src0=1 src1=0 src2=0
	v_dual_mul_f32 v17, v27 /*v283*/, v167 :: v_dual_fmac_f32 v35, v9 /*v265*/, v156
	v_fma_f32 v21, v8 /*v264*/, v156, -v21
	s_set_vgpr_msb 0                        ;  msbs: dst=0 src0=0 src1=0 src2=0
	v_dual_add_f32 v7, v7, v33 :: v_dual_add_f32 v9, v9, v19
	s_set_vgpr_msb 1                        ;  msbs: dst=0 src0=1 src1=0 src2=0
	v_dual_mul_f32 v11, v21 /*v277*/, v161 :: v_dual_mul_f32 v13, v23 /*v279*/, v163
	s_wait_loadcnt_dscnt 0x100b
	v_dual_mul_f32 v19, v33 /*v289*/, v169 :: v_dual_fmac_f32 v37, v11 /*v267*/, v158
	v_fma_f32 v23, v10 /*v266*/, v158, -v23
	s_set_vgpr_msb 0                        ;  msbs: dst=0 src0=0 src1=0 src2=0
	v_dual_add_f32 v7, v7, v35 :: v_dual_add_f32 v9, v9, v21
	s_set_vgpr_msb 1                        ;  msbs: dst=0 src0=1 src1=0 src2=0
	v_dual_mul_f32 v39, v20 /*v276*/, v161 :: v_dual_mul_f32 v41, v22 /*v278*/, v163
	v_dual_mul_f32 v21, v35 /*v291*/, v171 :: v_dual_fma_f32 v11, v20 /*v276*/, v160, -v11
	s_set_vgpr_msb 0                        ;  msbs: dst=0 src0=0 src1=0 src2=0
	v_dual_add_f32 v7, v7, v37 :: v_dual_add_f32 v9, v9, v23
	s_set_vgpr_msb 1                        ;  msbs: dst=0 src0=1 src1=0 src2=0
	v_dual_fmac_f32 v39, v21 /*v277*/, v160 :: v_dual_fmac_f32 v41, v23 /*v279*/, v162
	s_wait_loadcnt_dscnt 0xf0a
	v_dual_mul_f32 v23, v37 /*v293*/, v173 :: v_dual_fma_f32 v13, v22 /*v278*/, v162, -v13
	s_set_vgpr_msb 0                        ;  msbs: dst=0 src0=0 src1=0 src2=0
	v_add_f32_e32 v9, v9, v11
	s_set_vgpr_msb 1                        ;  msbs: dst=0 src0=1 src1=0 src2=0
	v_dual_mul_f32 v43, v24 /*v280*/, v165 :: v_dual_mul_f32 v45, v26 /*v282*/, v167
	v_mul_f32_e32 v11, v39 /*v295*/, v175
	s_set_vgpr_msb 0                        ;  msbs: dst=0 src0=0 src1=0 src2=0
	v_dual_add_f32 v7, v7, v39 :: v_dual_add_f32 v9, v9, v13
	s_wait_loadcnt_dscnt 0xe09
	s_set_vgpr_msb 1                        ;  msbs: dst=0 src0=1 src1=0 src2=0
	v_dual_fma_f32 v15, v24 /*v280*/, v164, -v15 :: v_dual_mul_f32 v13, v41 /*v297*/, v177
	v_dual_fmac_f32 v43, v25 /*v281*/, v164 :: v_dual_fmac_f32 v45, v27 /*v283*/, v166
	s_set_vgpr_msb 0                        ;  msbs: dst=0 src0=0 src1=0 src2=0
	v_add_f32_e32 v7, v7, v41
	s_set_vgpr_msb 1                        ;  msbs: dst=0 src0=1 src1=0 src2=0
	v_fma_f32 v17, v26 /*v282*/, v166, -v17
	s_set_vgpr_msb 0                        ;  msbs: dst=0 src0=0 src1=0 src2=0
	v_add_f32_e32 v9, v9, v15
	s_set_vgpr_msb 1                        ;  msbs: dst=0 src0=1 src1=0 src2=0
	v_dual_mul_f32 v47, v32 /*v288*/, v169 :: v_dual_mul_f32 v49, v34 /*v290*/, v171
	v_mul_f32_e32 v15, v43 /*v299*/, v179
	s_set_vgpr_msb 0                        ;  msbs: dst=0 src0=0 src1=0 src2=0
	v_dual_add_f32 v7, v7, v43 :: v_dual_add_f32 v9, v9, v17
	s_wait_loadcnt_dscnt 0xd08
	s_set_vgpr_msb 1                        ;  msbs: dst=0 src0=1 src1=0 src2=0
	v_dual_fma_f32 v19, v32 /*v288*/, v168, -v19 :: v_dual_mul_f32 v17, v45 /*v301*/, v181
	v_dual_fmac_f32 v47, v33 /*v289*/, v168 :: v_dual_fmac_f32 v49, v35 /*v291*/, v170
	s_set_vgpr_msb 0                        ;  msbs: dst=0 src0=0 src1=0 src2=0
	v_add_f32_e32 v7, v7, v45
	s_set_vgpr_msb 1                        ;  msbs: dst=0 src0=1 src1=0 src2=0
	v_fma_f32 v21, v34 /*v290*/, v170, -v21
	s_set_vgpr_msb 0                        ;  msbs: dst=0 src0=0 src1=0 src2=0
	v_add_f32_e32 v9, v9, v19
	s_set_vgpr_msb 1                        ;  msbs: dst=0 src0=1 src1=0 src2=0
	v_dual_mul_f32 v51, v36 /*v292*/, v173 :: v_dual_mul_f32 v53, v38 /*v294*/, v175
	v_mul_f32_e32 v19, v47 /*v303*/, v183
	s_set_vgpr_msb 0                        ;  msbs: dst=0 src0=0 src1=0 src2=0
	v_dual_add_f32 v7, v7, v47 :: v_dual_add_f32 v9, v9, v21
	s_wait_loadcnt_dscnt 0xc07
	s_set_vgpr_msb 1                        ;  msbs: dst=0 src0=1 src1=0 src2=0
	v_dual_fma_f32 v23, v36 /*v292*/, v172, -v23 :: v_dual_mul_f32 v21, v49 /*v305*/, v185
	v_dual_mul_f32 v55, v40 /*v296*/, v177 :: v_dual_mul_f32 v57, v42 /*v298*/, v179
	v_dual_mul_f32 v59, v44 /*v300*/, v181 :: v_dual_mul_f32 v61, v46 /*v302*/, v183
	v_dual_fmac_f32 v51, v37 /*v293*/, v172 :: v_dual_fmac_f32 v53, v39 /*v295*/, v174
	v_fma_f32 v11, v38 /*v294*/, v174, -v11
	s_set_vgpr_msb 0                        ;  msbs: dst=0 src0=0 src1=0 src2=0
	v_dual_add_f32 v9, v9, v23 :: v_dual_add_f32 v7, v7, v49
	s_set_vgpr_msb 1                        ;  msbs: dst=0 src0=1 src1=0 src2=0
	v_dual_mul_f32 v23, v51 /*v307*/, v187 :: v_dual_fmac_f32 v55, v41 /*v297*/, v176
	v_fma_f32 v13, v40 /*v296*/, v176, -v13
	v_dual_fmac_f32 v57, v43 /*v299*/, v178 :: v_dual_fmac_f32 v59, v45 /*v301*/, v180
	s_set_vgpr_msb 0                        ;  msbs: dst=0 src0=0 src1=0 src2=0
	v_add_f32_e32 v9, v9, v11
	s_set_vgpr_msb 1                        ;  msbs: dst=0 src0=1 src1=0 src2=0
	v_dual_mul_f32 v63, v48 /*v304*/, v185 :: v_dual_mul_f32 v65, v50 /*v306*/, v187
	s_set_vgpr_msb 0                        ;  msbs: dst=0 src0=0 src1=0 src2=0
	v_add_f32_e32 v7, v7, v51
	s_wait_loadcnt_dscnt 0xb06
	s_set_vgpr_msb 1                        ;  msbs: dst=0 src0=1 src1=0 src2=0
	v_dual_mul_f32 v11, v53 /*v309*/, v189 :: v_dual_fma_f32 v15, v42 /*v298*/, v178, -v15
	s_set_vgpr_msb 0                        ;  msbs: dst=0 src0=0 src1=0 src2=0
	v_add_f32_e32 v9, v9, v13
	s_set_vgpr_msb 1                        ;  msbs: dst=0 src0=1 src1=0 src2=0
	v_dual_mul_f32 v13, v55 /*v311*/, v191 :: v_dual_fma_f32 v17, v44 /*v300*/, v180, -v17
	s_set_vgpr_msb 0                        ;  msbs: dst=0 src0=0 src1=0 src2=0
	v_add_f32_e32 v7, v7, v53
	s_set_vgpr_msb 1                        ;  msbs: dst=0 src0=1 src1=0 src2=0
	v_dual_fmac_f32 v61, v47 /*v303*/, v182 :: v_dual_fmac_f32 v63, v49 /*v305*/, v184
	s_set_vgpr_msb 0                        ;  msbs: dst=0 src0=0 src1=0 src2=0
	v_add_f32_e32 v9, v9, v15
	s_set_vgpr_msb 1                        ;  msbs: dst=0 src0=1 src1=0 src2=0
	v_dual_mul_f32 v67, v52 /*v308*/, v189 :: v_dual_mul_f32 v69, v54 /*v310*/, v191
	s_set_vgpr_msb 0                        ;  msbs: dst=0 src0=0 src1=0 src2=0
	v_add_f32_e32 v7, v7, v55
	s_wait_loadcnt_dscnt 0xa05
	s_set_vgpr_msb 1                        ;  msbs: dst=0 src0=1 src1=0 src2=0
	v_dual_mul_f32 v15, v57 /*v313*/, v193 :: v_dual_fma_f32 v19, v46 /*v302*/, v182, -v19
	s_set_vgpr_msb 0                        ;  msbs: dst=0 src0=0 src1=0 src2=0
	v_add_f32_e32 v9, v9, v17
	s_set_vgpr_msb 1                        ;  msbs: dst=0 src0=1 src1=0 src2=0
	v_dual_mul_f32 v17, v59 /*v315*/, v195 :: v_dual_fma_f32 v21, v48 /*v304*/, v184, -v21
	s_set_vgpr_msb 0                        ;  msbs: dst=0 src0=0 src1=0 src2=0
	v_add_f32_e32 v7, v7, v57
	s_set_vgpr_msb 1                        ;  msbs: dst=0 src0=1 src1=0 src2=0
	v_dual_fmac_f32 v65, v51 /*v307*/, v186 :: v_dual_fmac_f32 v67, v53 /*v309*/, v188
	s_set_vgpr_msb 0                        ;  msbs: dst=0 src0=0 src1=0 src2=0
	v_add_f32_e32 v9, v9, v19
	s_set_vgpr_msb 1                        ;  msbs: dst=0 src0=1 src1=0 src2=0
	v_dual_mul_f32 v71, v56 /*v312*/, v193 :: v_dual_mul_f32 v73, v58 /*v314*/, v195
	s_set_vgpr_msb 0                        ;  msbs: dst=0 src0=0 src1=0 src2=0
	v_add_f32_e32 v7, v7, v59
	s_wait_loadcnt_dscnt 0x904
	s_set_vgpr_msb 1                        ;  msbs: dst=0 src0=1 src1=0 src2=0
	v_dual_mul_f32 v19, v61 /*v317*/, v197 :: v_dual_fma_f32 v23, v50 /*v306*/, v186, -v23
	s_set_vgpr_msb 0                        ;  msbs: dst=0 src0=0 src1=0 src2=0
	v_add_f32_e32 v9, v9, v21
	s_set_vgpr_msb 1                        ;  msbs: dst=0 src0=1 src1=0 src2=0
	v_dual_mul_f32 v75, v60 /*v316*/, v197 :: v_dual_mul_f32 v77, v62 /*v318*/, v199
	v_dual_mul_f32 v21, v63 /*v319*/, v199 :: v_dual_fma_f32 v11, v52 /*v308*/, v188, -v11
	v_dual_fmac_f32 v69, v55 /*v311*/, v190 :: v_dual_fmac_f32 v71, v57 /*v313*/, v192
	s_set_vgpr_msb 0                        ;  msbs: dst=0 src0=0 src1=0 src2=0
	v_dual_add_f32 v9, v9, v23 :: v_dual_add_f32 v7, v7, v61
	s_wait_loadcnt_dscnt 0x803
	s_set_vgpr_msb 1                        ;  msbs: dst=0 src0=1 src1=0 src2=0
	v_dual_mul_f32 v23, v65 /*v321*/, v201 :: v_dual_fma_f32 v13, v54 /*v310*/, v190, -v13
	v_dual_fmac_f32 v73, v59 /*v315*/, v194 :: v_dual_fmac_f32 v75, v61 /*v317*/, v196
	s_set_vgpr_msb 0                        ;  msbs: dst=0 src0=0 src1=0 src2=0
	v_add_f32_e32 v9, v9, v11
	s_set_vgpr_msb 1                        ;  msbs: dst=0 src0=1 src1=0 src2=0
	v_dual_mul_f32 v79, v64 /*v320*/, v201 :: v_dual_mul_f32 v81, v66 /*v322*/, v203
	s_set_vgpr_msb 0                        ;  msbs: dst=0 src0=0 src1=0 src2=0
	v_add_f32_e32 v7, v7, v63
	s_set_vgpr_msb 1                        ;  msbs: dst=0 src0=1 src1=0 src2=0
	v_dual_mul_f32 v11, v67 /*v323*/, v203 :: v_dual_fma_f32 v15, v56 /*v312*/, v192, -v15
	s_set_vgpr_msb 0                        ;  msbs: dst=0 src0=0 src1=0 src2=0
	v_add_f32_e32 v9, v9, v13
	s_wait_loadcnt_dscnt 0x702
	s_set_vgpr_msb 1                        ;  msbs: dst=0 src0=1 src1=0 src2=0
	v_dual_mul_f32 v13, v69 /*v325*/, v205 :: v_dual_fma_f32 v17, v58 /*v314*/, v194, -v17
	s_set_vgpr_msb 0                        ;  msbs: dst=0 src0=0 src1=0 src2=0
	v_add_f32_e32 v7, v7, v65
	s_set_vgpr_msb 1                        ;  msbs: dst=0 src0=1 src1=0 src2=0
	v_dual_fmac_f32 v77, v63 /*v319*/, v198 :: v_dual_fmac_f32 v79, v65 /*v321*/, v200
	s_set_vgpr_msb 0                        ;  msbs: dst=0 src0=0 src1=0 src2=0
	v_add_f32_e32 v9, v9, v15
	s_set_vgpr_msb 1                        ;  msbs: dst=0 src0=1 src1=0 src2=0
	v_dual_mul_f32 v83, v68 /*v324*/, v205 :: v_dual_mul_f32 v85, v70 /*v326*/, v207
	s_set_vgpr_msb 0                        ;  msbs: dst=0 src0=0 src1=0 src2=0
	v_add_f32_e32 v7, v7, v67
	s_set_vgpr_msb 1                        ;  msbs: dst=0 src0=1 src1=0 src2=0
	v_dual_mul_f32 v15, v71 /*v327*/, v207 :: v_dual_fma_f32 v19, v60 /*v316*/, v196, -v19
	s_set_vgpr_msb 0                        ;  msbs: dst=0 src0=0 src1=0 src2=0
	v_add_f32_e32 v9, v9, v17
	s_wait_loadcnt_dscnt 0x601
	s_set_vgpr_msb 1                        ;  msbs: dst=0 src0=1 src1=0 src2=0
	v_dual_mul_f32 v17, v73 /*v329*/, v209 :: v_dual_fma_f32 v21, v62 /*v318*/, v198, -v21
	s_set_vgpr_msb 0                        ;  msbs: dst=0 src0=0 src1=0 src2=0
	v_add_f32_e32 v7, v7, v69
	s_set_vgpr_msb 1                        ;  msbs: dst=0 src0=1 src1=0 src2=0
	v_dual_fmac_f32 v81, v67 /*v323*/, v202 :: v_dual_fmac_f32 v83, v69 /*v325*/, v204
	s_set_vgpr_msb 0                        ;  msbs: dst=0 src0=0 src1=0 src2=0
	v_add_f32_e32 v9, v9, v19
	s_set_vgpr_msb 1                        ;  msbs: dst=0 src0=1 src1=0 src2=0
	v_dual_mul_f32 v19, v75 /*v331*/, v211 :: v_dual_fma_f32 v23, v64 /*v320*/, v200, -v23
	s_set_vgpr_msb 0                        ;  msbs: dst=0 src0=0 src1=0 src2=0
	v_add_f32_e32 v7, v7, v71
	s_set_vgpr_msb 1                        ;  msbs: dst=0 src0=1 src1=0 src2=0
	v_fma_f32 v11, v66 /*v322*/, v202, -v11
	s_set_vgpr_msb 0                        ;  msbs: dst=0 src0=0 src1=0 src2=0
	v_add_f32_e32 v9, v9, v21
	s_wait_loadcnt_dscnt 0x500
	s_set_vgpr_msb 1                        ;  msbs: dst=0 src0=1 src1=0 src2=0
	v_dual_mul_f32 v21, v77 /*v333*/, v213 :: v_dual_fma_f32 v13, v68 /*v324*/, v204, -v13
	s_set_vgpr_msb 0                        ;  msbs: dst=0 src0=0 src1=0 src2=0
	v_add_f32_e32 v7, v7, v73
	s_set_vgpr_msb 1                        ;  msbs: dst=0 src0=1 src1=0 src2=0
	v_fmac_f32_e32 v85, v71 /*v327*/, v206
	s_wait_loadcnt 0x4
	s_set_vgpr_msb 0                        ;  msbs: dst=0 src0=0 src1=0 src2=0
	v_dual_add_f32 v9, v9, v23 :: v_dual_mov_b32 v130, v219
	s_set_vgpr_msb 1                        ;  msbs: dst=0 src0=1 src1=0 src2=0
	v_dual_mul_f32 v23, v79 /*v335*/, v215 :: v_dual_mul_f32 v87, v72 /*v328*/, v209
	v_mul_f32_e32 v89, v74 /*v330*/, v211
	s_set_vgpr_msb 0                        ;  msbs: dst=0 src0=0 src1=0 src2=0
	v_add_f32_e32 v9, v9, v11
	v_add_f32_e32 v7, v7, v75
	s_set_vgpr_msb 1                        ;  msbs: dst=0 src0=1 src1=0 src2=0
	v_fma_f32 v11, v70 /*v326*/, v206, -v15
	v_fmac_f32_e32 v87, v73 /*v329*/, v208
	s_wait_loadcnt 0x3
	s_set_vgpr_msb 0                        ;  msbs: dst=0 src0=0 src1=0 src2=0
	v_dual_mov_b32 v134, v223 :: v_dual_add_f32 v9, v9, v13
	v_add_f32_e32 v7, v7, v77
	s_set_vgpr_msb 1                        ;  msbs: dst=0 src0=1 src1=0 src2=0
	v_fma_f32 v13, v72 /*v328*/, v208, -v17
	s_set_vgpr_msb 0x41                     ;  msbs: dst=1 src0=1 src1=0 src2=0
	v_dual_mul_f32 v91 /*v347*/, v76 /*v332*/, v213 :: v_dual_mul_f32 v93 /*v349*/, v78 /*v334*/, v215
	s_set_vgpr_msb 0                        ;  msbs: dst=0 src0=0 src1=0 src2=0
	v_add_f32_e32 v9, v9, v11
	v_add_f32_e32 v7, v7, v79
	s_set_vgpr_msb 1                        ;  msbs: dst=0 src0=1 src1=0 src2=0
	v_dual_fmac_f32 v89, v75 /*v331*/, v210 :: v_dual_fma_f32 v11, v74 /*v330*/, v210, -v19
	v_pk_mul_f32 v[128:129], v[0:1] /*v[256:257]*/, v[216:217] op_sel:[1,1] op_sel_hi:[0,1]
	s_set_vgpr_msb 0                        ;  msbs: dst=0 src0=0 src1=0 src2=0
	v_add_f32_e32 v9, v9, v13
	v_add_f32_e32 v7, v7, v81
	s_set_vgpr_msb 0x41                     ;  msbs: dst=1 src0=1 src1=0 src2=0
	v_dual_fmac_f32 v91 /*v347*/, v77 /*v333*/, v212 :: v_dual_fmac_f32 v93 /*v349*/, v79 /*v335*/, v214
	v_dual_fma_f32 v90 /*v346*/, v76 /*v332*/, v212, -v21 :: v_dual_fma_f32 v92 /*v348*/, v78 /*v334*/, v214, -v23
	s_set_vgpr_msb 0                        ;  msbs: dst=0 src0=0 src1=0 src2=0
	v_add_f32_e32 v7, v7, v83
	v_add_f32_e32 v136, v9, v11
	s_set_vgpr_msb 1                        ;  msbs: dst=0 src0=1 src1=0 src2=0
	v_pk_fma_f32 v[138:139], v[0:1] /*v[256:257]*/, v[216:217], v[128:129] op_sel_hi:[1,0,1]
	v_pk_mul_f32 v[130:131], v[82:83] /*v[338:339]*/, v[130:131] op_sel_hi:[1,0]
	v_pk_fma_f32 v[128:129], v[0:1] /*v[256:257]*/, v[216:217], v[128:129] neg_lo:[0,0,1] neg_hi:[0,0,1]
	s_set_vgpr_msb 0                        ;  msbs: dst=0 src0=0 src1=0 src2=0
	v_add_f32_e32 v7, v7, v85
	s_set_vgpr_msb 1                        ;  msbs: dst=0 src0=1 src1=0 src2=0
	v_pk_mul_f32 v[132:133], v[12:13] /*v[268:269]*/, v[220:221] op_sel:[1,1] op_sel_hi:[0,1]
	s_set_vgpr_msb 0                        ;  msbs: dst=0 src0=0 src1=0 src2=0
	v_mov_b32_e32 v129, v139
	s_set_vgpr_msb 1                        ;  msbs: dst=0 src0=1 src1=0 src2=0
	v_pk_fma_f32 v[138:139], v[2:3] /*v[258:259]*/, v[218:219], v[130:131] op_sel_hi:[1,0,1]
	v_pk_fma_f32 v[130:131], v[2:3] /*v[258:259]*/, v[218:219], v[130:131] neg_lo:[0,0,1] neg_hi:[0,0,1]
	s_set_vgpr_msb 0                        ;  msbs: dst=0 src0=0 src1=0 src2=0
	v_add_f32_e32 v7, v7, v87
	s_set_vgpr_msb 1                        ;  msbs: dst=0 src0=1 src1=0 src2=0
	v_pk_fma_f32 v[142:143], v[12:13] /*v[268:269]*/, v[220:221], v[132:133] op_sel_hi:[1,0,1]
	v_pk_mul_f32 v[134:135], v[84:85] /*v[340:341]*/, v[134:135] op_sel_hi:[1,0]
	s_set_vgpr_msb 0                        ;  msbs: dst=0 src0=0 src1=0 src2=0
	v_mov_b32_e32 v131, v139
	s_wait_loadcnt 0x2
	s_set_vgpr_msb 1                        ;  msbs: dst=0 src0=1 src1=0 src2=0
	v_pk_mul_f32 v[140:141], v[16:17] /*v[272:273]*/, v[224:225] op_sel:[1,1] op_sel_hi:[0,1]
	s_set_vgpr_msb 0                        ;  msbs: dst=0 src0=0 src1=0 src2=0
	v_add_f32_e32 v137, v7, v89
	s_set_vgpr_msb 1                        ;  msbs: dst=0 src0=1 src1=0 src2=0
	v_pk_fma_f32 v[132:133], v[12:13] /*v[268:269]*/, v[220:221], v[132:133] neg_lo:[0,0,1] neg_hi:[0,0,1]
	s_set_vgpr_msb 0                        ;  msbs: dst=0 src0=0 src1=0 src2=0
	v_mov_b32_e32 v133, v143
	s_set_vgpr_msb 1                        ;  msbs: dst=0 src0=1 src1=0 src2=0
	v_pk_fma_f32 v[138:139], v[14:15] /*v[270:271]*/, v[222:223], v[134:135] op_sel_hi:[1,0,1]
	v_pk_fma_f32 v[134:135], v[14:15] /*v[270:271]*/, v[222:223], v[134:135] neg_lo:[0,0,1] neg_hi:[0,0,1]
	s_set_vgpr_msb 4                        ;  msbs: dst=0 src0=0 src1=1 src2=0
	v_pk_add_f32 v[136:137], v[136:137], v[90:91] /*v[346:347]*/
	s_delay_alu instid0(VALU_DEP_1) | instskip(SKIP_1) | instid1(VALU_DEP_1)
	v_pk_add_f32 v[136:137], v[136:137], v[92:93] /*v[348:349]*/
	s_set_vgpr_msb 0                        ;  msbs: dst=0 src0=0 src1=0 src2=0
	v_pk_add_f32 v[128:129], v[136:137], v[128:129]
	v_mov_b32_e32 v136, v227
	s_delay_alu instid0(VALU_DEP_2) | instskip(SKIP_2) | instid1(VALU_DEP_3)
	v_pk_add_f32 v[128:129], v[128:129], v[130:131]
	s_set_vgpr_msb 1                        ;  msbs: dst=0 src0=1 src1=0 src2=0
	v_pk_fma_f32 v[130:131], v[16:17] /*v[272:273]*/, v[224:225], v[140:141] op_sel_hi:[1,0,1]
	v_pk_mul_f32 v[136:137], v[86:87] /*v[342:343]*/, v[136:137] op_sel_hi:[1,0]
	s_set_vgpr_msb 0                        ;  msbs: dst=0 src0=0 src1=0 src2=0
	v_mov_b32_e32 v135, v139
	s_set_vgpr_msb 1                        ;  msbs: dst=0 src0=1 src1=0 src2=0
	v_pk_fma_f32 v[138:139], v[16:17] /*v[272:273]*/, v[224:225], v[140:141] neg_lo:[0,0,1] neg_hi:[0,0,1]
	s_set_vgpr_msb 0                        ;  msbs: dst=0 src0=0 src1=0 src2=0
	v_pk_add_f32 v[128:129], v[128:129], v[132:133]
	v_mov_b32_e32 v139, v131
	s_set_vgpr_msb 1                        ;  msbs: dst=0 src0=1 src1=0 src2=0
	v_pk_fma_f32 v[130:131], v[18:19] /*v[274:275]*/, v[226:227], v[136:137] op_sel_hi:[1,0,1]
	s_wait_loadcnt 0x1
	v_pk_mul_f32 v[132:133], v[28:29] /*v[284:285]*/, v[236:237] op_sel:[1,1] op_sel_hi:[0,1]
	s_set_vgpr_msb 0                        ;  msbs: dst=0 src0=0 src1=0 src2=0
	v_mov_b32_e32 v130, v239
	v_pk_add_f32 v[128:129], v[128:129], v[134:135]
	s_set_vgpr_msb 1                        ;  msbs: dst=0 src0=1 src1=0 src2=0
	v_pk_fma_f32 v[136:137], v[18:19] /*v[274:275]*/, v[226:227], v[136:137] neg_lo:[0,0,1] neg_hi:[0,0,1]
	s_set_vgpr_msb 0                        ;  msbs: dst=0 src0=0 src1=0 src2=0
	v_mov_b32_e32 v137, v131
	s_set_vgpr_msb 1                        ;  msbs: dst=0 src0=1 src1=0 src2=0
	v_pk_fma_f32 v[134:135], v[28:29] /*v[284:285]*/, v[236:237], v[132:133] op_sel_hi:[1,0,1]
	v_pk_mul_f32 v[130:131], v[88:89] /*v[344:345]*/, v[130:131] op_sel_hi:[1,0]
	s_set_vgpr_msb 0                        ;  msbs: dst=0 src0=0 src1=0 src2=0
	v_pk_add_f32 v[128:129], v[128:129], v[138:139]
	s_set_vgpr_msb 1                        ;  msbs: dst=0 src0=1 src1=0 src2=0
	v_pk_fma_f32 v[132:133], v[28:29] /*v[284:285]*/, v[236:237], v[132:133] neg_lo:[0,0,1] neg_hi:[0,0,1]
	s_set_vgpr_msb 0                        ;  msbs: dst=0 src0=0 src1=0 src2=0
	v_mov_b32_e32 v133, v135
	s_set_vgpr_msb 1                        ;  msbs: dst=0 src0=1 src1=0 src2=0
	v_pk_fma_f32 v[134:135], v[30:31] /*v[286:287]*/, v[238:239], v[130:131] op_sel_hi:[1,0,1]
	s_set_vgpr_msb 0                        ;  msbs: dst=0 src0=0 src1=0 src2=0
	v_pk_add_f32 v[128:129], v[128:129], v[136:137]
	s_set_vgpr_msb 1                        ;  msbs: dst=0 src0=1 src1=0 src2=0
	v_pk_fma_f32 v[130:131], v[30:31] /*v[286:287]*/, v[238:239], v[130:131] neg_lo:[0,0,1] neg_hi:[0,0,1]
	s_set_vgpr_msb 0                        ;  msbs: dst=0 src0=0 src1=0 src2=0
	v_mov_b32_e32 v131, v135
	v_pk_add_f32 v[128:129], v[128:129], v[132:133]
	s_delay_alu instid0(VALU_DEP_1) | instskip(SKIP_2) | instid1(VALU_DEP_1)
	v_pk_add_f32 v[128:129], v[128:129], v[130:131]
	s_wait_loadcnt 0x0
	s_set_vgpr_msb 1                        ;  msbs: dst=0 src0=1 src1=0 src2=0
	v_pk_add_f32 v[128:129], v[80:81] /*v[336:337]*/, v[128:129] neg_lo:[0,1] neg_hi:[0,1]
	scratch_store_b64 off, v[128:129], off offset:80
	s_wait_xcnt 0x0
	v_cmpx_lt_u32_e32 9, v0
	s_set_vgpr_msb 0                        ;  msbs: dst=0 src0=0 src1=0 src2=0
	s_cbranch_execz .LBB126_373
; %bb.372:
	scratch_load_b64 v[128:129], off, off offset:72
	v_mov_b64_e32 v[130:131], 0
	scratch_store_b64 off, v[130:131], off offset:72
	s_wait_loadcnt 0x0
	ds_store_b64 v1, v[128:129]
.LBB126_373:
	s_wait_xcnt 0x0
	s_or_b32 exec_lo, exec_lo, s0
	s_wait_storecnt_dscnt 0x0
	s_barrier_signal -1
	s_barrier_wait -1
	s_clause 0x1c
	scratch_load_b128 v[128:131], off, off offset:80
	scratch_load_b128 v[132:135], off, off offset:96
	;; [unrolled: 1-line block ×26, first 2 shown]
	s_set_vgpr_msb 64                       ;  msbs: dst=1 src0=0 src1=0 src2=0
	scratch_load_b64 v[80:81] /*v[336:337]*/, off, off offset:496
	scratch_load_b64 v[82:83] /*v[338:339]*/, off, off offset:72
	s_set_vgpr_msb 0                        ;  msbs: dst=0 src0=0 src1=0 src2=0
	v_mov_b32_e32 v7, 0
	ds_load_b128 v[232:235], v7 offset:592
	ds_load_b128 v[236:239], v7 offset:608
	;; [unrolled: 1-line block ×6, first 2 shown]
	s_set_vgpr_msb 64                       ;  msbs: dst=1 src0=0 src1=0 src2=0
	ds_load_b128 v[0:3] /*v[256:259]*/, v7 offset:944
	ds_load_b128 v[4:7] /*v[260:263]*/, v7 offset:688
	;; [unrolled: 1-line block ×20, first 2 shown]
	ds_load_b64 v[84:85] /*v[340:341]*/, v7 offset:1008
	s_wait_dscnt 0x14
	s_set_vgpr_msb 0x41                     ;  msbs: dst=1 src0=1 src1=0 src2=0
	v_dual_mov_b32 v86 /*v342*/, v3 /*v259*/ :: v_dual_mov_b32 v87 /*v343*/, v2 /*v258*/
	s_wait_dscnt 0x11
	v_dual_mov_b32 v88 /*v344*/, v15 /*v271*/ :: v_dual_mov_b32 v89 /*v345*/, v14 /*v270*/
	s_wait_dscnt 0x10
	;; [unrolled: 2-line block ×3, first 2 shown]
	v_dual_mov_b32 v92 /*v348*/, v31 /*v287*/ :: v_dual_mov_b32 v93 /*v349*/, v30 /*v286*/
	s_mov_b32 s0, exec_lo
	s_wait_loadcnt 0x1b
	s_set_vgpr_msb 0                        ;  msbs: dst=0 src0=0 src1=0 src2=0
	v_dual_mul_f32 v9, v232, v129 :: v_dual_mul_f32 v95, v233, v129
	s_wait_loadcnt 0x1a
	v_dual_mul_f32 v11, v234, v131 :: v_dual_mul_f32 v13, v236, v133
	v_dual_mul_f32 v97, v235, v131 :: v_dual_mul_f32 v99, v237, v133
	s_wait_loadcnt 0x16
	v_dual_mul_f32 v31, v254, v151 :: v_dual_fmac_f32 v9, v233, v128
	v_dual_fma_f32 v95, v232, v128, -v95 :: v_dual_mul_f32 v109, v247, v143
	s_delay_alu instid0(VALU_DEP_3) | instskip(NEXT) | instid1(VALU_DEP_3)
	v_dual_fma_f32 v97, v234, v130, -v97 :: v_dual_fmac_f32 v11, v235, v130
	v_dual_add_f32 v9, 0, v9 :: v_dual_mul_f32 v15, v238, v135
	v_dual_mul_f32 v17, v240, v137 :: v_dual_mul_f32 v101, v239, v135
	s_delay_alu instid0(VALU_DEP_4)
	v_dual_mul_f32 v103, v241, v137 :: v_dual_add_f32 v95, 0, v95
	v_dual_mul_f32 v111, v249, v145 :: v_dual_fma_f32 v99, v236, v132, -v99
	v_fmac_f32_e32 v13, v237, v132
	s_wait_loadcnt_dscnt 0x601
	s_set_vgpr_msb 1                        ;  msbs: dst=0 src0=1 src1=0 src2=0
	v_mul_f32_e32 v93, v76 /*v332*/, v213
	s_set_vgpr_msb 0                        ;  msbs: dst=0 src0=0 src1=0 src2=0
	v_dual_add_f32 v9, v9, v11 :: v_dual_fmac_f32 v15, v239, v134
	v_add_f32_e32 v11, v95, v97
	v_dual_mul_f32 v95, v251, v147 :: v_dual_fma_f32 v97, v238, v134, -v101
	s_delay_alu instid0(VALU_DEP_3) | instskip(NEXT) | instid1(VALU_DEP_3)
	v_dual_add_f32 v9, v9, v13 :: v_dual_mul_f32 v19, v242, v139
	v_dual_mul_f32 v21, v244, v141 :: v_dual_add_f32 v11, v11, v99
	v_dual_mul_f32 v105, v243, v139 :: v_dual_mul_f32 v107, v245, v141
	v_dual_mul_f32 v13, v253, v149 :: v_dual_fma_f32 v99, v240, v136, -v103
	s_delay_alu instid0(VALU_DEP_3) | instskip(SKIP_1) | instid1(VALU_DEP_4)
	v_dual_fmac_f32 v17, v241, v136 :: v_dual_add_f32 v11, v11, v97
	v_dual_add_f32 v9, v9, v15 :: v_dual_fmac_f32 v19, v243, v138
	v_dual_mul_f32 v15, v255, v151 :: v_dual_fma_f32 v97, v242, v138, -v105
	s_delay_alu instid0(VALU_DEP_2) | instskip(SKIP_2) | instid1(VALU_DEP_3)
	v_dual_add_f32 v11, v11, v99 :: v_dual_add_f32 v9, v9, v17
	v_dual_mul_f32 v23, v246, v143 :: v_dual_mul_f32 v25, v248, v145
	v_dual_fmac_f32 v21, v245, v140 :: v_dual_fma_f32 v99, v244, v140, -v107
	v_dual_add_f32 v9, v9, v19 :: v_dual_add_f32 v11, v11, v97
	s_delay_alu instid0(VALU_DEP_3) | instskip(SKIP_1) | instid1(VALU_DEP_3)
	v_dual_fmac_f32 v23, v247, v142 :: v_dual_fma_f32 v97, v246, v142, -v109
	v_dual_mul_f32 v27, v250, v147 :: v_dual_mul_f32 v29, v252, v149
	v_dual_add_f32 v9, v9, v21 :: v_dual_add_f32 v11, v11, v99
	v_dual_fmac_f32 v25, v249, v144 :: v_dual_fma_f32 v99, v248, v144, -v111
	s_set_vgpr_msb 1                        ;  msbs: dst=0 src0=1 src1=0 src2=0
	v_dual_mul_f32 v33, v4 /*v260*/, v153 :: v_dual_mul_f32 v35, v6 /*v262*/, v155
	s_set_vgpr_msb 0                        ;  msbs: dst=0 src0=0 src1=0 src2=0
	v_dual_add_f32 v9, v9, v23 :: v_dual_add_f32 v11, v11, v97
	v_fmac_f32_e32 v27, v251, v146
	v_fma_f32 v95, v250, v146, -v95
	s_set_vgpr_msb 1                        ;  msbs: dst=0 src0=1 src1=0 src2=0
	v_dual_mul_f32 v17, v5 /*v261*/, v153 :: v_dual_mul_f32 v19, v7 /*v263*/, v155
	s_set_vgpr_msb 0                        ;  msbs: dst=0 src0=0 src1=0 src2=0
	v_dual_add_f32 v9, v9, v25 :: v_dual_add_f32 v11, v11, v99
	v_fmac_f32_e32 v29, v253, v148
	v_fma_f32 v13, v252, v148, -v13
	s_set_vgpr_msb 1                        ;  msbs: dst=0 src0=1 src1=0 src2=0
	v_fmac_f32_e32 v33, v5 /*v261*/, v152
	s_set_vgpr_msb 0                        ;  msbs: dst=0 src0=0 src1=0 src2=0
	v_add_f32_e32 v9, v9, v27
	v_add_f32_e32 v11, v11, v95
	v_fmac_f32_e32 v31, v255, v150
	v_fma_f32 v15, v254, v150, -v15
	s_set_vgpr_msb 1                        ;  msbs: dst=0 src0=1 src1=0 src2=0
	v_fma_f32 v17, v4 /*v260*/, v152, -v17
	s_set_vgpr_msb 0                        ;  msbs: dst=0 src0=0 src1=0 src2=0
	v_add_f32_e32 v9, v9, v29
	v_add_f32_e32 v11, v11, v13
	s_set_vgpr_msb 1                        ;  msbs: dst=0 src0=1 src1=0 src2=0
	v_mul_f32_e32 v13, v25 /*v281*/, v165
	v_dual_mul_f32 v37, v8 /*v264*/, v157 :: v_dual_mul_f32 v39, v10 /*v266*/, v159
	v_dual_mul_f32 v21, v9 /*v265*/, v157 :: v_dual_mul_f32 v23, v11 /*v267*/, v159
	s_set_vgpr_msb 0                        ;  msbs: dst=0 src0=0 src1=0 src2=0
	v_add_f32_e32 v11, v11, v15
	v_add_f32_e32 v9, v9, v31
	s_set_vgpr_msb 1                        ;  msbs: dst=0 src0=1 src1=0 src2=0
	v_mul_f32_e32 v15, v27 /*v283*/, v167
	v_fmac_f32_e32 v35, v7 /*v263*/, v154
	v_dual_fma_f32 v19, v6 /*v262*/, v154, -v19 :: v_dual_fmac_f32 v37, v9 /*v265*/, v156
	s_set_vgpr_msb 0                        ;  msbs: dst=0 src0=0 src1=0 src2=0
	v_add_f32_e32 v11, v11, v17
	v_add_f32_e32 v9, v9, v33
	s_set_vgpr_msb 1                        ;  msbs: dst=0 src0=1 src1=0 src2=0
	v_dual_mul_f32 v17, v33 /*v289*/, v169 :: v_dual_fma_f32 v21, v8 /*v264*/, v156, -v21
	v_dual_mul_f32 v41, v20 /*v276*/, v161 :: v_dual_mul_f32 v43, v22 /*v278*/, v163
	s_set_vgpr_msb 0                        ;  msbs: dst=0 src0=0 src1=0 src2=0
	v_add_f32_e32 v11, v11, v19
	s_set_vgpr_msb 1                        ;  msbs: dst=0 src0=1 src1=0 src2=0
	v_mul_f32_e32 v19, v35 /*v291*/, v171
	s_set_vgpr_msb 0                        ;  msbs: dst=0 src0=0 src1=0 src2=0
	v_add_f32_e32 v9, v9, v35
	s_set_vgpr_msb 1                        ;  msbs: dst=0 src0=1 src1=0 src2=0
	v_dual_mul_f32 v25, v21 /*v277*/, v161 :: v_dual_mul_f32 v27, v23 /*v279*/, v163
	v_fmac_f32_e32 v39, v11 /*v267*/, v158
	v_dual_fma_f32 v23, v10 /*v266*/, v158, -v23 :: v_dual_fmac_f32 v41, v21 /*v277*/, v160
	s_set_vgpr_msb 0                        ;  msbs: dst=0 src0=0 src1=0 src2=0
	v_add_f32_e32 v11, v11, v21
	v_add_f32_e32 v9, v9, v37
	s_set_vgpr_msb 1                        ;  msbs: dst=0 src0=1 src1=0 src2=0
	v_dual_mul_f32 v21, v37 /*v293*/, v173 :: v_dual_fma_f32 v25, v20 /*v276*/, v160, -v25
	v_dual_mul_f32 v45, v24 /*v280*/, v165 :: v_dual_mul_f32 v47, v26 /*v282*/, v167
	s_set_vgpr_msb 0                        ;  msbs: dst=0 src0=0 src1=0 src2=0
	v_add_f32_e32 v11, v11, v23
	s_set_vgpr_msb 1                        ;  msbs: dst=0 src0=1 src1=0 src2=0
	v_mul_f32_e32 v23, v39 /*v295*/, v175
	s_set_vgpr_msb 0                        ;  msbs: dst=0 src0=0 src1=0 src2=0
	v_add_f32_e32 v9, v9, v39
	s_set_vgpr_msb 1                        ;  msbs: dst=0 src0=1 src1=0 src2=0
	v_fmac_f32_e32 v43, v23 /*v279*/, v162
	v_dual_fma_f32 v27, v22 /*v278*/, v162, -v27 :: v_dual_fmac_f32 v45, v25 /*v281*/, v164
	s_set_vgpr_msb 0                        ;  msbs: dst=0 src0=0 src1=0 src2=0
	v_add_f32_e32 v11, v11, v25
	v_add_f32_e32 v9, v9, v41
	s_set_vgpr_msb 1                        ;  msbs: dst=0 src0=1 src1=0 src2=0
	v_dual_mul_f32 v25, v41 /*v297*/, v177 :: v_dual_fma_f32 v13, v24 /*v280*/, v164, -v13
	v_dual_mul_f32 v49, v32 /*v288*/, v169 :: v_dual_mul_f32 v51, v34 /*v290*/, v171
	s_set_vgpr_msb 0                        ;  msbs: dst=0 src0=0 src1=0 src2=0
	v_add_f32_e32 v11, v11, v27
	s_set_vgpr_msb 1                        ;  msbs: dst=0 src0=1 src1=0 src2=0
	v_mul_f32_e32 v27, v43 /*v299*/, v179
	s_set_vgpr_msb 0                        ;  msbs: dst=0 src0=0 src1=0 src2=0
	v_add_f32_e32 v9, v9, v43
	s_set_vgpr_msb 1                        ;  msbs: dst=0 src0=1 src1=0 src2=0
	;; [unrolled: 15-line block ×11, first 2 shown]
	v_fmac_f32_e32 v83, v67 /*v323*/, v202
	v_dual_fma_f32 v19, v66 /*v322*/, v202, -v19 :: v_dual_fmac_f32 v85, v69 /*v325*/, v204
	s_set_vgpr_msb 0                        ;  msbs: dst=0 src0=0 src1=0 src2=0
	v_add_f32_e32 v11, v11, v17
	v_add_f32_e32 v9, v9, v81
	s_wait_loadcnt 0x5
	s_set_vgpr_msb 1                        ;  msbs: dst=0 src0=1 src1=0 src2=0
	v_dual_mul_f32 v17, v1 /*v257*/, v217 :: v_dual_fma_f32 v21, v68 /*v324*/, v204, -v21
	v_fmac_f32_e32 v87, v71 /*v327*/, v206
	s_set_vgpr_msb 0                        ;  msbs: dst=0 src0=0 src1=0 src2=0
	v_dual_mov_b32 v128, v219 :: v_dual_add_f32 v9, v9, v83
	v_add_f32_e32 v11, v11, v19
	s_set_vgpr_msb 1                        ;  msbs: dst=0 src0=1 src1=0 src2=0
	v_dual_mul_f32 v89, v72 /*v328*/, v209 :: v_dual_mul_f32 v91, v74 /*v330*/, v211
	v_fma_f32 v19, v70 /*v326*/, v206, -v23
	s_set_vgpr_msb 0                        ;  msbs: dst=0 src0=0 src1=0 src2=0
	v_add_f32_e32 v9, v9, v85
	v_add_f32_e32 v11, v11, v21
	s_set_vgpr_msb 1                        ;  msbs: dst=0 src0=1 src1=0 src2=0
	v_fmac_f32_e32 v89, v73 /*v329*/, v208
	v_dual_fma_f32 v21, v72 /*v328*/, v208, -v25 :: v_dual_fmac_f32 v91, v75 /*v331*/, v210
	s_set_vgpr_msb 0                        ;  msbs: dst=0 src0=0 src1=0 src2=0
	v_add_f32_e32 v9, v9, v87
	v_add_f32_e32 v11, v11, v19
	s_set_vgpr_msb 1                        ;  msbs: dst=0 src0=1 src1=0 src2=0
	v_pk_mul_f32 v[128:129], v[86:87] /*v[342:343]*/, v[128:129] op_sel_hi:[1,0]
	v_dual_fma_f32 v19, v74 /*v330*/, v210, -v27 :: v_dual_fmac_f32 v93, v77 /*v333*/, v212
	s_set_vgpr_msb 0                        ;  msbs: dst=0 src0=0 src1=0 src2=0
	v_add_f32_e32 v9, v9, v89
	s_set_vgpr_msb 0x41                     ;  msbs: dst=1 src0=1 src1=0 src2=0
	v_dual_mul_f32 v95 /*v351*/, v78 /*v334*/, v215 :: v_dual_mul_f32 v97 /*v353*/, v0 /*v256*/, v217
	s_set_vgpr_msb 1                        ;  msbs: dst=0 src0=1 src1=0 src2=0
	v_pk_fma_f32 v[140:141], v[2:3] /*v[258:259]*/, v[218:219], v[128:129] op_sel_hi:[1,0,1]
	s_set_vgpr_msb 0                        ;  msbs: dst=0 src0=0 src1=0 src2=0
	v_add_f32_e32 v11, v11, v21
	s_set_vgpr_msb 1                        ;  msbs: dst=0 src0=1 src1=0 src2=0
	v_pk_fma_f32 v[128:129], v[2:3] /*v[258:259]*/, v[218:219], v[128:129] neg_lo:[0,0,1] neg_hi:[0,0,1]
	s_wait_loadcnt 0x4
	s_set_vgpr_msb 0                        ;  msbs: dst=0 src0=0 src1=0 src2=0
	v_dual_mov_b32 v132, v223 :: v_dual_add_f32 v9, v9, v91
	s_set_vgpr_msb 1                        ;  msbs: dst=0 src0=1 src1=0 src2=0
	v_fma_f32 v13, v76 /*v332*/, v212, -v13
	s_set_vgpr_msb 0                        ;  msbs: dst=0 src0=0 src1=0 src2=0
	v_dual_mov_b32 v129, v141 :: v_dual_add_f32 v11, v11, v19
	s_set_vgpr_msb 0x41                     ;  msbs: dst=1 src0=1 src1=0 src2=0
	v_dual_fmac_f32 v95 /*v351*/, v79 /*v335*/, v214 :: v_dual_fmac_f32 v97 /*v353*/, v1 /*v257*/, v216
	v_dual_fma_f32 v94 /*v350*/, v78 /*v334*/, v214, -v15 :: v_dual_fma_f32 v96 /*v352*/, v0 /*v256*/, v216, -v17
	s_set_vgpr_msb 0                        ;  msbs: dst=0 src0=0 src1=0 src2=0
	v_add_f32_e32 v137, v9, v93
	v_add_f32_e32 v136, v11, v13
	s_set_vgpr_msb 1                        ;  msbs: dst=0 src0=1 src1=0 src2=0
	v_pk_mul_f32 v[130:131], v[12:13] /*v[268:269]*/, v[220:221] op_sel:[1,1] op_sel_hi:[0,1]
	v_pk_mul_f32 v[132:133], v[88:89] /*v[344:345]*/, v[132:133] op_sel_hi:[1,0]
	s_wait_loadcnt 0x3
	v_pk_mul_f32 v[134:135], v[16:17] /*v[272:273]*/, v[224:225] op_sel:[1,1] op_sel_hi:[0,1]
	s_wait_loadcnt 0x2
	v_pk_mul_f32 v[140:141], v[28:29] /*v[284:285]*/, v[228:229] op_sel:[1,1] op_sel_hi:[0,1]
	s_set_vgpr_msb 4                        ;  msbs: dst=0 src0=0 src1=1 src2=0
	v_pk_add_f32 v[136:137], v[136:137], v[94:95] /*v[350:351]*/
	s_set_vgpr_msb 1                        ;  msbs: dst=0 src0=1 src1=0 src2=0
	v_pk_fma_f32 v[142:143], v[12:13] /*v[268:269]*/, v[220:221], v[130:131] op_sel_hi:[1,0,1]
	v_pk_fma_f32 v[130:131], v[12:13] /*v[268:269]*/, v[220:221], v[130:131] neg_lo:[0,0,1] neg_hi:[0,0,1]
	s_set_vgpr_msb 4                        ;  msbs: dst=0 src0=0 src1=1 src2=0
	v_mov_b32_e32 v138, v227
	v_pk_add_f32 v[136:137], v[136:137], v[96:97] /*v[352:353]*/
	v_mov_b32_e32 v131, v143
	s_set_vgpr_msb 1                        ;  msbs: dst=0 src0=1 src1=0 src2=0
	v_pk_fma_f32 v[142:143], v[14:15] /*v[270:271]*/, v[222:223], v[132:133] op_sel_hi:[1,0,1]
	v_pk_fma_f32 v[132:133], v[14:15] /*v[270:271]*/, v[222:223], v[132:133] neg_lo:[0,0,1] neg_hi:[0,0,1]
	v_pk_mul_f32 v[138:139], v[90:91] /*v[346:347]*/, v[138:139] op_sel_hi:[1,0]
	s_set_vgpr_msb 0                        ;  msbs: dst=0 src0=0 src1=0 src2=0
	v_pk_add_f32 v[128:129], v[136:137], v[128:129]
	s_set_vgpr_msb 1                        ;  msbs: dst=0 src0=1 src1=0 src2=0
	v_pk_fma_f32 v[136:137], v[16:17] /*v[272:273]*/, v[224:225], v[134:135] op_sel_hi:[1,0,1]
	s_set_vgpr_msb 0                        ;  msbs: dst=0 src0=0 src1=0 src2=0
	v_mov_b32_e32 v133, v143
	s_set_vgpr_msb 1                        ;  msbs: dst=0 src0=1 src1=0 src2=0
	v_pk_fma_f32 v[134:135], v[16:17] /*v[272:273]*/, v[224:225], v[134:135] neg_lo:[0,0,1] neg_hi:[0,0,1]
	s_set_vgpr_msb 0                        ;  msbs: dst=0 src0=0 src1=0 src2=0
	v_pk_add_f32 v[128:129], v[128:129], v[130:131]
	v_dual_mov_b32 v130, v231 :: v_dual_mov_b32 v135, v137
	s_set_vgpr_msb 1                        ;  msbs: dst=0 src0=1 src1=0 src2=0
	v_pk_fma_f32 v[136:137], v[18:19] /*v[274:275]*/, v[226:227], v[138:139] op_sel_hi:[1,0,1]
	v_pk_fma_f32 v[138:139], v[18:19] /*v[274:275]*/, v[226:227], v[138:139] neg_lo:[0,0,1] neg_hi:[0,0,1]
	s_set_vgpr_msb 0                        ;  msbs: dst=0 src0=0 src1=0 src2=0
	v_pk_add_f32 v[128:129], v[128:129], v[132:133]
	s_set_vgpr_msb 1                        ;  msbs: dst=0 src0=1 src1=0 src2=0
	v_pk_fma_f32 v[132:133], v[28:29] /*v[284:285]*/, v[228:229], v[140:141] op_sel_hi:[1,0,1]
	v_pk_mul_f32 v[130:131], v[92:93] /*v[348:349]*/, v[130:131] op_sel_hi:[1,0]
	s_set_vgpr_msb 0                        ;  msbs: dst=0 src0=0 src1=0 src2=0
	v_mov_b32_e32 v139, v137
	s_wait_loadcnt_dscnt 0x100
	s_set_vgpr_msb 5                        ;  msbs: dst=0 src0=1 src1=1 src2=0
	v_pk_mul_f32 v[136:137], v[84:85] /*v[340:341]*/, v[80:81] /*v[336:337]*/ op_sel:[1,1] op_sel_hi:[0,1]
	s_set_vgpr_msb 0                        ;  msbs: dst=0 src0=0 src1=0 src2=0
	v_pk_add_f32 v[128:129], v[128:129], v[134:135]
	s_set_vgpr_msb 1                        ;  msbs: dst=0 src0=1 src1=0 src2=0
	v_pk_fma_f32 v[134:135], v[28:29] /*v[284:285]*/, v[228:229], v[140:141] neg_lo:[0,0,1] neg_hi:[0,0,1]
	s_set_vgpr_msb 0                        ;  msbs: dst=0 src0=0 src1=0 src2=0
	v_mov_b32_e32 v135, v133
	s_set_vgpr_msb 1                        ;  msbs: dst=0 src0=1 src1=0 src2=0
	v_pk_fma_f32 v[132:133], v[30:31] /*v[286:287]*/, v[230:231], v[130:131] op_sel_hi:[1,0,1]
	v_pk_fma_f32 v[130:131], v[30:31] /*v[286:287]*/, v[230:231], v[130:131] neg_lo:[0,0,1] neg_hi:[0,0,1]
	s_set_vgpr_msb 0                        ;  msbs: dst=0 src0=0 src1=0 src2=0
	v_pk_add_f32 v[128:129], v[128:129], v[138:139]
	s_delay_alu instid0(VALU_DEP_3)
	v_mov_b32_e32 v131, v133
	s_set_vgpr_msb 5                        ;  msbs: dst=0 src0=1 src1=1 src2=0
	v_pk_fma_f32 v[132:133], v[84:85] /*v[340:341]*/, v[80:81] /*v[336:337]*/, v[136:137] op_sel_hi:[1,0,1]
	s_set_vgpr_msb 0                        ;  msbs: dst=0 src0=0 src1=0 src2=0
	v_pk_add_f32 v[128:129], v[128:129], v[134:135]
	s_set_vgpr_msb 5                        ;  msbs: dst=0 src0=1 src1=1 src2=0
	v_pk_fma_f32 v[134:135], v[84:85] /*v[340:341]*/, v[80:81] /*v[336:337]*/, v[136:137] neg_lo:[0,0,1] neg_hi:[0,0,1]
	s_set_vgpr_msb 0                        ;  msbs: dst=0 src0=0 src1=0 src2=0
	v_mov_b32_e32 v135, v133
	v_pk_add_f32 v[128:129], v[128:129], v[130:131]
	s_delay_alu instid0(VALU_DEP_1) | instskip(SKIP_2) | instid1(VALU_DEP_1)
	v_pk_add_f32 v[128:129], v[128:129], v[134:135]
	s_wait_loadcnt 0x0
	s_set_vgpr_msb 1                        ;  msbs: dst=0 src0=1 src1=0 src2=0
	v_pk_add_f32 v[128:129], v[82:83] /*v[338:339]*/, v[128:129] neg_lo:[0,1] neg_hi:[0,1]
	scratch_store_b64 off, v[128:129], off offset:72
	s_wait_xcnt 0x0
	v_cmpx_lt_u32_e32 8, v0
	s_set_vgpr_msb 0                        ;  msbs: dst=0 src0=0 src1=0 src2=0
	s_cbranch_execz .LBB126_375
; %bb.374:
	scratch_load_b64 v[128:129], off, off offset:64
	v_mov_b64_e32 v[130:131], 0
	scratch_store_b64 off, v[130:131], off offset:64
	s_wait_loadcnt 0x0
	ds_store_b64 v1, v[128:129]
.LBB126_375:
	s_wait_xcnt 0x0
	s_or_b32 exec_lo, exec_lo, s0
	s_wait_storecnt_dscnt 0x0
	s_barrier_signal -1
	s_barrier_wait -1
	s_clause 0xf
	scratch_load_b128 v[132:135], off, off offset:72
	scratch_load_b128 v[140:143], off, off offset:88
	;; [unrolled: 1-line block ×16, first 2 shown]
	ds_load_2addr_b64 v[128:131], v7 offset0:73 offset1:74
	ds_load_2addr_b64 v[136:139], v7 offset0:75 offset1:76
	s_set_vgpr_msb 64                       ;  msbs: dst=1 src0=0 src1=0 src2=0
	s_clause 0x1
	scratch_load_b128 v[4:7] /*v[260:263]*/, off, off offset:328
	scratch_load_b128 v[12:15] /*v[268:271]*/, off, off offset:344
	s_set_vgpr_msb 0                        ;  msbs: dst=0 src0=0 src1=0 src2=0
	ds_load_2addr_b64 v[144:147], v7 offset0:77 offset1:78
	ds_load_2addr_b64 v[152:155], v7 offset0:79 offset1:80
	s_set_vgpr_msb 64                       ;  msbs: dst=1 src0=0 src1=0 src2=0
	s_clause 0x1
	scratch_load_b128 v[20:23] /*v[276:279]*/, off, off offset:360
	scratch_load_b128 v[28:31] /*v[284:287]*/, off, off offset:376
	s_set_vgpr_msb 0                        ;  msbs: dst=0 src0=0 src1=0 src2=0
	;; [unrolled: 7-line block ×3, first 2 shown]
	ds_load_2addr_b64 v[176:179], v7 offset0:85 offset1:86
	ds_load_2addr_b64 v[184:187], v7 offset0:87 offset1:88
	;; [unrolled: 1-line block ×10, first 2 shown]
	s_set_vgpr_msb 64                       ;  msbs: dst=1 src0=0 src1=0 src2=0
	ds_load_2addr_b64 v[0:3] /*v[256:259]*/, v7 offset0:105 offset1:106
	ds_load_2addr_b64 v[8:11] /*v[264:267]*/, v7 offset0:107 offset1:108
	ds_load_2addr_b64 v[48:51] /*v[304:307]*/, v7 offset0:117 offset1:118
	scratch_load_b128 v[52:55] /*v[308:311]*/, off, off offset:424
	ds_load_2addr_b64 v[16:19] /*v[272:275]*/, v7 offset0:109 offset1:110
	ds_load_2addr_b64 v[24:27] /*v[280:283]*/, v7 offset0:111 offset1:112
	;; [unrolled: 1-line block ×4, first 2 shown]
	s_clause 0x3
	scratch_load_b128 v[56:59] /*v[312:315]*/, off, off offset:440
	scratch_load_b128 v[60:63] /*v[316:319]*/, off, off offset:456
	;; [unrolled: 1-line block ×4, first 2 shown]
	s_mov_b32 s0, exec_lo
	s_wait_loadcnt_dscnt 0x1a16
	s_set_vgpr_msb 0                        ;  msbs: dst=0 src0=0 src1=0 src2=0
	v_dual_mul_f32 v9, v128, v133 :: v_dual_mul_f32 v11, v130, v135
	s_delay_alu instid0(VALU_DEP_1) | instskip(NEXT) | instid1(VALU_DEP_1)
	v_dual_fmac_f32 v9, v129, v132 :: v_dual_fmac_f32 v11, v131, v134
	v_add_f32_e32 v9, 0, v9
	s_wait_loadcnt_dscnt 0x1915
	s_delay_alu instid0(VALU_DEP_1) | instskip(NEXT) | instid1(VALU_DEP_1)
	v_dual_add_f32 v9, v9, v11 :: v_dual_mul_f32 v11, v136, v141
	v_fmac_f32_e32 v11, v137, v140
	s_delay_alu instid0(VALU_DEP_1) | instskip(SKIP_1) | instid1(VALU_DEP_1)
	v_add_f32_e32 v9, v9, v11
	v_mul_f32_e32 v11, v138, v143
	v_fmac_f32_e32 v11, v139, v142
	s_wait_loadcnt_dscnt 0x1814
	s_delay_alu instid0(VALU_DEP_1)
	v_dual_add_f32 v9, v9, v11 :: v_dual_mul_f32 v11, v144, v149
	s_wait_loadcnt_dscnt 0x404
	s_set_vgpr_msb 0x45                     ;  msbs: dst=1 src0=1 src1=1 src2=0
	v_dual_mul_f32 v75 /*v331*/, v48 /*v304*/, v53 /*v309*/ :: v_dual_mul_f32 v77 /*v333*/, v50 /*v306*/, v55 /*v311*/
	s_set_vgpr_msb 0                        ;  msbs: dst=0 src0=0 src1=0 src2=0
	v_fmac_f32_e32 v11, v145, v148
	s_set_vgpr_msb 0x45                     ;  msbs: dst=1 src0=1 src1=1 src2=0
	s_delay_alu instid0(VALU_DEP_2) | instskip(SKIP_1) | instid1(VALU_DEP_2)
	v_dual_fmac_f32 v75 /*v331*/, v49 /*v305*/, v52 /*v308*/ :: v_dual_fmac_f32 v77 /*v333*/, v51 /*v307*/, v54 /*v310*/
	s_set_vgpr_msb 0                        ;  msbs: dst=0 src0=0 src1=0 src2=0
	v_add_f32_e32 v9, v9, v11
	v_mul_f32_e32 v11, v146, v151
	s_delay_alu instid0(VALU_DEP_1) | instskip(NEXT) | instid1(VALU_DEP_1)
	v_fmac_f32_e32 v11, v147, v150
	v_dual_add_f32 v9, v9, v11 :: v_dual_mul_f32 v11, v152, v157
	s_delay_alu instid0(VALU_DEP_1) | instskip(NEXT) | instid1(VALU_DEP_1)
	v_fmac_f32_e32 v11, v153, v156
	v_add_f32_e32 v9, v9, v11
	v_mul_f32_e32 v11, v154, v159
	s_delay_alu instid0(VALU_DEP_1) | instskip(NEXT) | instid1(VALU_DEP_1)
	v_fmac_f32_e32 v11, v155, v158
	v_dual_add_f32 v9, v9, v11 :: v_dual_mul_f32 v11, v160, v165
	s_delay_alu instid0(VALU_DEP_1) | instskip(NEXT) | instid1(VALU_DEP_1)
	v_fmac_f32_e32 v11, v161, v164
	;; [unrolled: 7-line block ×13, first 2 shown]
	v_add_f32_e32 v9, v9, v11
	v_mul_f32_e32 v11, v250, v255
	s_delay_alu instid0(VALU_DEP_1) | instskip(NEXT) | instid1(VALU_DEP_1)
	v_fmac_f32_e32 v11, v251, v254
	v_add_f32_e32 v9, v9, v11
	s_set_vgpr_msb 5                        ;  msbs: dst=0 src0=1 src1=1 src2=0
	v_mul_f32_e32 v11, v0 /*v256*/, v5 /*v261*/
	s_delay_alu instid0(VALU_DEP_1) | instskip(SKIP_1) | instid1(VALU_DEP_1)
	v_fmac_f32_e32 v11, v1 /*v257*/, v4 /*v260*/
	s_set_vgpr_msb 0                        ;  msbs: dst=0 src0=0 src1=0 src2=0
	v_add_f32_e32 v9, v9, v11
	s_set_vgpr_msb 5                        ;  msbs: dst=0 src0=1 src1=1 src2=0
	v_mul_f32_e32 v11, v2 /*v258*/, v7 /*v263*/
	s_delay_alu instid0(VALU_DEP_1) | instskip(SKIP_1) | instid1(VALU_DEP_1)
	v_fmac_f32_e32 v11, v3 /*v259*/, v6 /*v262*/
	s_set_vgpr_msb 0                        ;  msbs: dst=0 src0=0 src1=0 src2=0
	;; [unrolled: 6-line block ×4, first 2 shown]
	v_add_f32_e32 v9, v9, v11
	s_wait_dscnt 0x3
	s_set_vgpr_msb 5                        ;  msbs: dst=0 src0=1 src1=1 src2=0
	v_mul_f32_e32 v11, v16 /*v272*/, v21 /*v277*/
	s_delay_alu instid0(VALU_DEP_1) | instskip(SKIP_1) | instid1(VALU_DEP_1)
	v_fmac_f32_e32 v11, v17 /*v273*/, v20 /*v276*/
	s_set_vgpr_msb 0                        ;  msbs: dst=0 src0=0 src1=0 src2=0
	v_add_f32_e32 v9, v9, v11
	s_set_vgpr_msb 5                        ;  msbs: dst=0 src0=1 src1=1 src2=0
	v_mul_f32_e32 v11, v18 /*v274*/, v23 /*v279*/
	s_delay_alu instid0(VALU_DEP_1) | instskip(SKIP_1) | instid1(VALU_DEP_1)
	v_fmac_f32_e32 v11, v19 /*v275*/, v22 /*v278*/
	s_set_vgpr_msb 0                        ;  msbs: dst=0 src0=0 src1=0 src2=0
	v_add_f32_e32 v9, v9, v11
	s_wait_dscnt 0x2
	s_set_vgpr_msb 5                        ;  msbs: dst=0 src0=1 src1=1 src2=0
	v_mul_f32_e32 v11, v24 /*v280*/, v29 /*v285*/
	s_delay_alu instid0(VALU_DEP_1) | instskip(SKIP_1) | instid1(VALU_DEP_1)
	v_fmac_f32_e32 v11, v25 /*v281*/, v28 /*v284*/
	s_set_vgpr_msb 0                        ;  msbs: dst=0 src0=0 src1=0 src2=0
	v_add_f32_e32 v9, v9, v11
	s_set_vgpr_msb 5                        ;  msbs: dst=0 src0=1 src1=1 src2=0
	v_mul_f32_e32 v11, v26 /*v282*/, v31 /*v287*/
	s_delay_alu instid0(VALU_DEP_1) | instskip(SKIP_1) | instid1(VALU_DEP_1)
	v_fmac_f32_e32 v11, v27 /*v283*/, v30 /*v286*/
	s_set_vgpr_msb 0                        ;  msbs: dst=0 src0=0 src1=0 src2=0
	;; [unrolled: 13-line block ×3, first 2 shown]
	v_add_f32_e32 v9, v9, v11
	s_wait_dscnt 0x0
	s_set_vgpr_msb 5                        ;  msbs: dst=0 src0=1 src1=1 src2=0
	v_mul_f32_e32 v11, v40 /*v296*/, v45 /*v301*/
	s_delay_alu instid0(VALU_DEP_1) | instskip(SKIP_1) | instid1(VALU_DEP_1)
	v_fmac_f32_e32 v11, v41 /*v297*/, v44 /*v300*/
	s_set_vgpr_msb 0                        ;  msbs: dst=0 src0=0 src1=0 src2=0
	v_add_f32_e32 v9, v9, v11
	s_set_vgpr_msb 5                        ;  msbs: dst=0 src0=1 src1=1 src2=0
	v_mul_f32_e32 v11, v42 /*v298*/, v47 /*v303*/
	s_delay_alu instid0(VALU_DEP_1) | instskip(SKIP_1) | instid1(VALU_DEP_1)
	v_fmac_f32_e32 v11, v43 /*v299*/, v46 /*v302*/
	s_set_vgpr_msb 64                       ;  msbs: dst=1 src0=0 src1=0 src2=0
	v_add_f32_e32 v73 /*v329*/, v9, v11
	s_set_vgpr_msb 0                        ;  msbs: dst=0 src0=0 src1=0 src2=0
	v_dual_mul_f32 v9, v129, v133 :: v_dual_mul_f32 v11, v131, v135
	s_delay_alu instid0(VALU_DEP_1) | instskip(NEXT) | instid1(VALU_DEP_1)
	v_dual_fma_f32 v9, v128, v132, -v9 :: v_dual_fma_f32 v11, v130, v134, -v11
	v_add_f32_e32 v9, 0, v9
	s_delay_alu instid0(VALU_DEP_1) | instskip(SKIP_1) | instid1(VALU_DEP_1)
	v_add_f32_e32 v9, v9, v11
	v_mul_f32_e32 v11, v137, v141
	v_fma_f32 v11, v136, v140, -v11
	s_delay_alu instid0(VALU_DEP_1) | instskip(SKIP_1) | instid1(VALU_DEP_1)
	v_add_f32_e32 v9, v9, v11
	v_mul_f32_e32 v11, v139, v143
	v_fma_f32 v11, v138, v142, -v11
	ds_load_2addr_b64 v[128:131], v7 offset0:119 offset1:120
	ds_load_2addr_b64 v[132:135], v7 offset0:121 offset1:122
	;; [unrolled: 1-line block ×4, first 2 shown]
	v_add_f32_e32 v9, v9, v11
	v_mul_f32_e32 v11, v145, v149
	s_delay_alu instid0(VALU_DEP_1) | instskip(NEXT) | instid1(VALU_DEP_1)
	v_fma_f32 v11, v144, v148, -v11
	v_add_f32_e32 v9, v9, v11
	v_mul_f32_e32 v11, v147, v151
	s_delay_alu instid0(VALU_DEP_1)
	v_fma_f32 v11, v146, v150, -v11
	s_wait_loadcnt_dscnt 0x303
	s_set_vgpr_msb 4                        ;  msbs: dst=0 src0=0 src1=1 src2=0
	v_pk_mul_f32 v[146:147], v[128:129], v[56:57] /*v[312:313]*/ op_sel:[1,1] op_sel_hi:[0,1]
	s_set_vgpr_msb 0                        ;  msbs: dst=0 src0=0 src1=0 src2=0
	v_add_f32_e32 v9, v9, v11
	v_mul_f32_e32 v11, v153, v157
	s_set_vgpr_msb 4                        ;  msbs: dst=0 src0=0 src1=1 src2=0
	v_pk_fma_f32 v[148:149], v[128:129], v[56:57] /*v[312:313]*/, v[146:147] neg_lo:[0,0,1] neg_hi:[0,0,1]
	v_pk_fma_f32 v[128:129], v[128:129], v[56:57] /*v[312:313]*/, v[146:147] op_sel_hi:[1,0,1]
	s_set_vgpr_msb 1                        ;  msbs: dst=0 src0=1 src1=0 src2=0
	v_mov_b32_e32 v146, v59 /*v315*/
	s_set_vgpr_msb 0                        ;  msbs: dst=0 src0=0 src1=0 src2=0
	s_delay_alu instid0(VALU_DEP_2) | instskip(NEXT) | instid1(VALU_DEP_1)
	v_dual_fma_f32 v11, v152, v156, -v11 :: v_dual_mov_b32 v149, v129
	v_add_f32_e32 v9, v9, v11
	v_mul_f32_e32 v11, v155, v159
	s_delay_alu instid0(VALU_DEP_1) | instskip(NEXT) | instid1(VALU_DEP_1)
	v_fma_f32 v11, v154, v158, -v11
	v_add_f32_e32 v9, v9, v11
	v_mul_f32_e32 v11, v161, v165
	s_delay_alu instid0(VALU_DEP_1) | instskip(NEXT) | instid1(VALU_DEP_1)
	v_fma_f32 v11, v160, v164, -v11
	;; [unrolled: 4-line block ×25, first 2 shown]
	v_add_f32_e32 v9, v9, v11
	s_set_vgpr_msb 5                        ;  msbs: dst=0 src0=1 src1=1 src2=0
	v_mul_f32_e32 v11, v1 /*v257*/, v5 /*v261*/
	s_delay_alu instid0(VALU_DEP_1) | instskip(SKIP_1) | instid1(VALU_DEP_1)
	v_fma_f32 v11, v0 /*v256*/, v4 /*v260*/, -v11
	s_set_vgpr_msb 0                        ;  msbs: dst=0 src0=0 src1=0 src2=0
	v_add_f32_e32 v9, v9, v11
	s_set_vgpr_msb 5                        ;  msbs: dst=0 src0=1 src1=1 src2=0
	v_mul_f32_e32 v11, v3 /*v259*/, v7 /*v263*/
	s_delay_alu instid0(VALU_DEP_1) | instskip(SKIP_1) | instid1(VALU_DEP_1)
	v_fma_f32 v11, v2 /*v258*/, v6 /*v262*/, -v11
	s_set_vgpr_msb 0                        ;  msbs: dst=0 src0=0 src1=0 src2=0
	;; [unrolled: 6-line block ×11, first 2 shown]
	v_add_f32_e32 v9, v9, v11
	s_set_vgpr_msb 5                        ;  msbs: dst=0 src0=1 src1=1 src2=0
	v_mul_f32_e32 v11, v43 /*v299*/, v47 /*v303*/
	s_delay_alu instid0(VALU_DEP_1) | instskip(SKIP_1) | instid1(VALU_DEP_1)
	v_fma_f32 v11, v42 /*v298*/, v46 /*v302*/, -v11
	s_set_vgpr_msb 64                       ;  msbs: dst=1 src0=0 src1=0 src2=0
	v_add_f32_e32 v72 /*v328*/, v9, v11
	s_set_vgpr_msb 5                        ;  msbs: dst=0 src0=1 src1=1 src2=0
	v_mul_f32_e32 v9, v49 /*v305*/, v53 /*v309*/
	s_set_vgpr_msb 0x45                     ;  msbs: dst=1 src0=1 src1=1 src2=0
	s_delay_alu instid0(VALU_DEP_1) | instskip(SKIP_3) | instid1(VALU_DEP_1)
	v_fma_f32 v74 /*v330*/, v48 /*v304*/, v52 /*v308*/, -v9
	s_set_vgpr_msb 5                        ;  msbs: dst=0 src0=1 src1=1 src2=0
	v_mul_f32_e32 v9, v51 /*v307*/, v55 /*v311*/
	s_set_vgpr_msb 0x45                     ;  msbs: dst=1 src0=1 src1=1 src2=0
	v_fma_f32 v76 /*v332*/, v50 /*v306*/, v54 /*v310*/, -v9
	s_set_vgpr_msb 5                        ;  msbs: dst=0 src0=1 src1=1 src2=0
	v_pk_add_f32 v[144:145], v[72:73] /*v[328:329]*/, v[74:75] /*v[330:331]*/
	s_set_vgpr_msb 4                        ;  msbs: dst=0 src0=0 src1=1 src2=0
	s_delay_alu instid0(VALU_DEP_1) | instskip(SKIP_1) | instid1(VALU_DEP_1)
	v_pk_add_f32 v[144:145], v[144:145], v[76:77] /*v[332:333]*/
	s_set_vgpr_msb 0                        ;  msbs: dst=0 src0=0 src1=0 src2=0
	v_pk_add_f32 v[128:129], v[144:145], v[148:149]
	v_dual_mov_b32 v144, v131 :: v_dual_mov_b32 v145, v130
	s_delay_alu instid0(VALU_DEP_1) | instskip(SKIP_1) | instid1(VALU_DEP_1)
	v_pk_mul_f32 v[144:145], v[144:145], v[146:147] op_sel_hi:[1,0]
	s_set_vgpr_msb 4                        ;  msbs: dst=0 src0=0 src1=1 src2=0
	v_pk_fma_f32 v[146:147], v[130:131], v[58:59] /*v[314:315]*/, v[144:145] neg_lo:[0,0,1] neg_hi:[0,0,1]
	v_pk_fma_f32 v[130:131], v[130:131], v[58:59] /*v[314:315]*/, v[144:145] op_sel_hi:[1,0,1]
	s_delay_alu instid0(VALU_DEP_1) | instskip(SKIP_3) | instid1(VALU_DEP_2)
	v_mov_b32_e32 v147, v131
	s_wait_loadcnt_dscnt 0x202
	v_pk_mul_f32 v[130:131], v[132:133], v[60:61] /*v[316:317]*/ op_sel:[1,1] op_sel_hi:[0,1]
	s_set_vgpr_msb 0                        ;  msbs: dst=0 src0=0 src1=0 src2=0
	v_pk_add_f32 v[128:129], v[128:129], v[146:147]
	s_set_vgpr_msb 4                        ;  msbs: dst=0 src0=0 src1=1 src2=0
	s_delay_alu instid0(VALU_DEP_2)
	v_pk_fma_f32 v[144:145], v[132:133], v[60:61] /*v[316:317]*/, v[130:131] neg_lo:[0,0,1] neg_hi:[0,0,1]
	v_pk_fma_f32 v[130:131], v[132:133], v[60:61] /*v[316:317]*/, v[130:131] op_sel_hi:[1,0,1]
	v_mov_b32_e32 v130, v135
	s_set_vgpr_msb 1                        ;  msbs: dst=0 src0=1 src1=0 src2=0
	v_mov_b32_e32 v132, v63 /*v319*/
	s_set_vgpr_msb 0                        ;  msbs: dst=0 src0=0 src1=0 src2=0
	v_dual_mov_b32 v145, v131 :: v_dual_mov_b32 v131, v134
	s_delay_alu instid0(VALU_DEP_1) | instskip(NEXT) | instid1(VALU_DEP_2)
	v_pk_add_f32 v[128:129], v[128:129], v[144:145]
	v_pk_mul_f32 v[130:131], v[130:131], v[132:133] op_sel_hi:[1,0]
	s_set_vgpr_msb 4                        ;  msbs: dst=0 src0=0 src1=1 src2=0
	s_delay_alu instid0(VALU_DEP_1) | instskip(SKIP_1) | instid1(VALU_DEP_1)
	v_pk_fma_f32 v[132:133], v[134:135], v[62:63] /*v[318:319]*/, v[130:131] neg_lo:[0,0,1] neg_hi:[0,0,1]
	v_pk_fma_f32 v[130:131], v[134:135], v[62:63] /*v[318:319]*/, v[130:131] op_sel_hi:[1,0,1]
	v_mov_b32_e32 v133, v131
	s_wait_loadcnt_dscnt 0x101
	v_pk_mul_f32 v[130:131], v[136:137], v[64:65] /*v[320:321]*/ op_sel:[1,1] op_sel_hi:[0,1]
	s_set_vgpr_msb 0                        ;  msbs: dst=0 src0=0 src1=0 src2=0
	s_delay_alu instid0(VALU_DEP_2) | instskip(SKIP_1) | instid1(VALU_DEP_2)
	v_pk_add_f32 v[128:129], v[128:129], v[132:133]
	s_set_vgpr_msb 4                        ;  msbs: dst=0 src0=0 src1=1 src2=0
	v_pk_fma_f32 v[132:133], v[136:137], v[64:65] /*v[320:321]*/, v[130:131] neg_lo:[0,0,1] neg_hi:[0,0,1]
	v_pk_fma_f32 v[130:131], v[136:137], v[64:65] /*v[320:321]*/, v[130:131] op_sel_hi:[1,0,1]
	s_delay_alu instid0(VALU_DEP_1) | instskip(SKIP_2) | instid1(VALU_DEP_2)
	v_dual_mov_b32 v130, v139 :: v_dual_mov_b32 v133, v131
	v_mov_b32_e32 v131, v138
	s_set_vgpr_msb 0                        ;  msbs: dst=0 src0=0 src1=0 src2=0
	v_pk_add_f32 v[128:129], v[128:129], v[132:133]
	s_set_vgpr_msb 1                        ;  msbs: dst=0 src0=1 src1=0 src2=0
	v_mov_b32_e32 v132, v67 /*v323*/
	s_set_vgpr_msb 0                        ;  msbs: dst=0 src0=0 src1=0 src2=0
	s_delay_alu instid0(VALU_DEP_1) | instskip(SKIP_1) | instid1(VALU_DEP_1)
	v_pk_mul_f32 v[130:131], v[130:131], v[132:133] op_sel_hi:[1,0]
	s_set_vgpr_msb 4                        ;  msbs: dst=0 src0=0 src1=1 src2=0
	v_pk_fma_f32 v[132:133], v[138:139], v[66:67] /*v[322:323]*/, v[130:131] neg_lo:[0,0,1] neg_hi:[0,0,1]
	v_pk_fma_f32 v[130:131], v[138:139], v[66:67] /*v[322:323]*/, v[130:131] op_sel_hi:[1,0,1]
	s_delay_alu instid0(VALU_DEP_1) | instskip(SKIP_3) | instid1(VALU_DEP_2)
	v_mov_b32_e32 v133, v131
	s_wait_loadcnt_dscnt 0x0
	v_pk_mul_f32 v[130:131], v[140:141], v[68:69] /*v[324:325]*/ op_sel:[1,1] op_sel_hi:[0,1]
	s_set_vgpr_msb 0                        ;  msbs: dst=0 src0=0 src1=0 src2=0
	v_pk_add_f32 v[128:129], v[128:129], v[132:133]
	s_set_vgpr_msb 4                        ;  msbs: dst=0 src0=0 src1=1 src2=0
	s_delay_alu instid0(VALU_DEP_2) | instskip(SKIP_1) | instid1(VALU_DEP_1)
	v_pk_fma_f32 v[132:133], v[140:141], v[68:69] /*v[324:325]*/, v[130:131] neg_lo:[0,0,1] neg_hi:[0,0,1]
	v_pk_fma_f32 v[130:131], v[140:141], v[68:69] /*v[324:325]*/, v[130:131] op_sel_hi:[1,0,1]
	v_dual_mov_b32 v130, v143 :: v_dual_mov_b32 v133, v131
	v_mov_b32_e32 v131, v142
	s_set_vgpr_msb 0                        ;  msbs: dst=0 src0=0 src1=0 src2=0
	s_delay_alu instid0(VALU_DEP_2) | instskip(SKIP_3) | instid1(VALU_DEP_1)
	v_pk_add_f32 v[128:129], v[128:129], v[132:133]
	s_set_vgpr_msb 1                        ;  msbs: dst=0 src0=1 src1=0 src2=0
	v_mov_b32_e32 v132, v71 /*v327*/
	s_set_vgpr_msb 0                        ;  msbs: dst=0 src0=0 src1=0 src2=0
	v_pk_mul_f32 v[130:131], v[130:131], v[132:133] op_sel_hi:[1,0]
	s_set_vgpr_msb 4                        ;  msbs: dst=0 src0=0 src1=1 src2=0
	s_delay_alu instid0(VALU_DEP_1) | instskip(SKIP_1) | instid1(VALU_DEP_1)
	v_pk_fma_f32 v[132:133], v[142:143], v[70:71] /*v[326:327]*/, v[130:131] neg_lo:[0,0,1] neg_hi:[0,0,1]
	v_pk_fma_f32 v[130:131], v[142:143], v[70:71] /*v[326:327]*/, v[130:131] op_sel_hi:[1,0,1]
	v_mov_b32_e32 v133, v131
	scratch_load_b64 v[130:131], off, off offset:64
	s_set_vgpr_msb 0                        ;  msbs: dst=0 src0=0 src1=0 src2=0
	v_pk_add_f32 v[128:129], v[128:129], v[132:133]
	s_wait_loadcnt 0x0
	s_delay_alu instid0(VALU_DEP_1)
	v_pk_add_f32 v[128:129], v[130:131], v[128:129] neg_lo:[0,1] neg_hi:[0,1]
	scratch_store_b64 off, v[128:129], off offset:64
	s_wait_xcnt 0x0
	v_cmpx_lt_u32_e32 7, v0
	s_cbranch_execz .LBB126_377
; %bb.376:
	scratch_load_b64 v[128:129], off, off offset:56
	v_mov_b64_e32 v[130:131], 0
	scratch_store_b64 off, v[130:131], off offset:56
	s_wait_loadcnt 0x0
	ds_store_b64 v1, v[128:129]
.LBB126_377:
	s_wait_xcnt 0x0
	s_or_b32 exec_lo, exec_lo, s0
	v_mov_b32_e32 v7, 0
	s_wait_storecnt_dscnt 0x0
	s_barrier_signal -1
	s_barrier_wait -1
	ds_load_b128 v[128:131], v7 offset:576
	ds_load_b128 v[132:135], v7 offset:592
	;; [unrolled: 1-line block ×4, first 2 shown]
	s_clause 0x18
	scratch_load_b128 v[144:147], off, off offset:64
	scratch_load_b128 v[148:151], off, off offset:80
	;; [unrolled: 1-line block ×16, first 2 shown]
	s_set_vgpr_msb 64                       ;  msbs: dst=1 src0=0 src1=0 src2=0
	scratch_load_b128 v[4:7] /*v[260:263]*/, off, off offset:320
	scratch_load_b128 v[12:15] /*v[268:271]*/, off, off offset:336
	;; [unrolled: 1-line block ×8, first 2 shown]
	s_mov_b32 s0, exec_lo
	s_wait_loadcnt_dscnt 0x1703
	s_set_vgpr_msb 0                        ;  msbs: dst=0 src0=0 src1=0 src2=0
	v_mul_f32_e32 v9, v128, v145
	ds_load_b128 v[160:163], v7 offset:640
	ds_load_b128 v[168:171], v7 offset:656
	;; [unrolled: 1-line block ×4, first 2 shown]
	v_dual_fmac_f32 v9, v129, v144 :: v_dual_mul_f32 v11, v130, v147
	ds_load_b128 v[192:195], v7 offset:704
	ds_load_b128 v[200:203], v7 offset:720
	;; [unrolled: 1-line block ×4, first 2 shown]
	v_dual_add_f32 v9, 0, v9 :: v_dual_fmac_f32 v11, v131, v146
	ds_load_b128 v[224:227], v7 offset:768
	ds_load_b128 v[232:235], v7 offset:784
	;; [unrolled: 1-line block ×4, first 2 shown]
	s_wait_loadcnt_dscnt 0x160e
	v_dual_add_f32 v9, v9, v11 :: v_dual_mul_f32 v11, v132, v149
	s_set_vgpr_msb 64                       ;  msbs: dst=1 src0=0 src1=0 src2=0
	ds_load_b128 v[0:3] /*v[256:259]*/, v7 offset:832
	ds_load_b128 v[8:11] /*v[264:267]*/, v7 offset:848
	;; [unrolled: 1-line block ×4, first 2 shown]
	s_set_vgpr_msb 0                        ;  msbs: dst=0 src0=0 src1=0 src2=0
	v_fmac_f32_e32 v11, v133, v148
	s_set_vgpr_msb 64                       ;  msbs: dst=1 src0=0 src1=0 src2=0
	ds_load_b128 v[16:19] /*v[272:275]*/, v7 offset:864
	ds_load_b128 v[24:27] /*v[280:283]*/, v7 offset:880
	;; [unrolled: 1-line block ×4, first 2 shown]
	s_set_vgpr_msb 0                        ;  msbs: dst=0 src0=0 src1=0 src2=0
	v_add_f32_e32 v9, v9, v11
	v_mul_f32_e32 v11, v134, v151
	s_set_vgpr_msb 64                       ;  msbs: dst=1 src0=0 src1=0 src2=0
	s_clause 0x3
	scratch_load_b128 v[64:67] /*v[320:323]*/, off, off offset:448
	scratch_load_b128 v[68:71] /*v[324:327]*/, off, off offset:464
	;; [unrolled: 1-line block ×3, first 2 shown]
	scratch_load_b64 v[82:83] /*v[338:339]*/, off, off offset:496
	s_set_vgpr_msb 0                        ;  msbs: dst=0 src0=0 src1=0 src2=0
	v_fmac_f32_e32 v11, v135, v150
	s_wait_loadcnt_dscnt 0x1915
	s_delay_alu instid0(VALU_DEP_1)
	v_dual_add_f32 v9, v9, v11 :: v_dual_mul_f32 v11, v136, v153
	s_wait_loadcnt_dscnt 0x404
	s_set_vgpr_msb 0x45                     ;  msbs: dst=1 src0=1 src1=1 src2=0
	v_dual_mul_f32 v79 /*v335*/, v50 /*v306*/, v55 /*v311*/ :: v_dual_mul_f32 v81 /*v337*/, v56 /*v312*/, v61 /*v317*/
	s_set_vgpr_msb 0                        ;  msbs: dst=0 src0=0 src1=0 src2=0
	v_fmac_f32_e32 v11, v137, v152
	s_set_vgpr_msb 0x45                     ;  msbs: dst=1 src0=1 src1=1 src2=0
	s_delay_alu instid0(VALU_DEP_2) | instskip(SKIP_1) | instid1(VALU_DEP_2)
	v_dual_fmac_f32 v79 /*v335*/, v51 /*v307*/, v54 /*v310*/ :: v_dual_fmac_f32 v81 /*v337*/, v57 /*v313*/, v60 /*v316*/
	s_set_vgpr_msb 0                        ;  msbs: dst=0 src0=0 src1=0 src2=0
	v_add_f32_e32 v9, v9, v11
	v_mul_f32_e32 v11, v138, v155
	s_delay_alu instid0(VALU_DEP_1) | instskip(NEXT) | instid1(VALU_DEP_1)
	v_fmac_f32_e32 v11, v139, v154
	v_dual_add_f32 v9, v9, v11 :: v_dual_mul_f32 v11, v140, v157
	s_delay_alu instid0(VALU_DEP_1) | instskip(NEXT) | instid1(VALU_DEP_1)
	v_fmac_f32_e32 v11, v141, v156
	v_add_f32_e32 v9, v9, v11
	v_mul_f32_e32 v11, v142, v159
	s_delay_alu instid0(VALU_DEP_1) | instskip(NEXT) | instid1(VALU_DEP_1)
	v_fmac_f32_e32 v11, v143, v158
	v_dual_add_f32 v9, v9, v11 :: v_dual_mul_f32 v11, v160, v165
	s_delay_alu instid0(VALU_DEP_1) | instskip(NEXT) | instid1(VALU_DEP_1)
	v_fmac_f32_e32 v11, v161, v164
	;; [unrolled: 7-line block ×13, first 2 shown]
	v_add_f32_e32 v9, v9, v11
	v_mul_f32_e32 v11, v250, v255
	s_delay_alu instid0(VALU_DEP_1) | instskip(NEXT) | instid1(VALU_DEP_1)
	v_fmac_f32_e32 v11, v251, v254
	v_add_f32_e32 v9, v9, v11
	s_set_vgpr_msb 5                        ;  msbs: dst=0 src0=1 src1=1 src2=0
	v_mul_f32_e32 v11, v0 /*v256*/, v5 /*v261*/
	s_delay_alu instid0(VALU_DEP_1) | instskip(SKIP_1) | instid1(VALU_DEP_1)
	v_fmac_f32_e32 v11, v1 /*v257*/, v4 /*v260*/
	s_set_vgpr_msb 0                        ;  msbs: dst=0 src0=0 src1=0 src2=0
	v_add_f32_e32 v9, v9, v11
	s_set_vgpr_msb 5                        ;  msbs: dst=0 src0=1 src1=1 src2=0
	v_mul_f32_e32 v11, v2 /*v258*/, v7 /*v263*/
	s_delay_alu instid0(VALU_DEP_1) | instskip(SKIP_1) | instid1(VALU_DEP_1)
	v_fmac_f32_e32 v11, v3 /*v259*/, v6 /*v262*/
	s_set_vgpr_msb 0                        ;  msbs: dst=0 src0=0 src1=0 src2=0
	;; [unrolled: 6-line block ×4, first 2 shown]
	v_add_f32_e32 v9, v9, v11
	s_wait_dscnt 0x3
	s_set_vgpr_msb 5                        ;  msbs: dst=0 src0=1 src1=1 src2=0
	v_mul_f32_e32 v11, v16 /*v272*/, v21 /*v277*/
	s_delay_alu instid0(VALU_DEP_1) | instskip(SKIP_1) | instid1(VALU_DEP_1)
	v_fmac_f32_e32 v11, v17 /*v273*/, v20 /*v276*/
	s_set_vgpr_msb 0                        ;  msbs: dst=0 src0=0 src1=0 src2=0
	v_add_f32_e32 v9, v9, v11
	s_set_vgpr_msb 5                        ;  msbs: dst=0 src0=1 src1=1 src2=0
	v_mul_f32_e32 v11, v18 /*v274*/, v23 /*v279*/
	s_delay_alu instid0(VALU_DEP_1) | instskip(SKIP_1) | instid1(VALU_DEP_1)
	v_fmac_f32_e32 v11, v19 /*v275*/, v22 /*v278*/
	s_set_vgpr_msb 0                        ;  msbs: dst=0 src0=0 src1=0 src2=0
	v_add_f32_e32 v9, v9, v11
	s_wait_dscnt 0x2
	s_set_vgpr_msb 5                        ;  msbs: dst=0 src0=1 src1=1 src2=0
	v_mul_f32_e32 v11, v24 /*v280*/, v29 /*v285*/
	s_delay_alu instid0(VALU_DEP_1) | instskip(SKIP_1) | instid1(VALU_DEP_1)
	v_fmac_f32_e32 v11, v25 /*v281*/, v28 /*v284*/
	s_set_vgpr_msb 0                        ;  msbs: dst=0 src0=0 src1=0 src2=0
	v_add_f32_e32 v9, v9, v11
	s_set_vgpr_msb 5                        ;  msbs: dst=0 src0=1 src1=1 src2=0
	v_mul_f32_e32 v11, v26 /*v282*/, v31 /*v287*/
	s_delay_alu instid0(VALU_DEP_1) | instskip(SKIP_1) | instid1(VALU_DEP_1)
	v_fmac_f32_e32 v11, v27 /*v283*/, v30 /*v286*/
	s_set_vgpr_msb 0                        ;  msbs: dst=0 src0=0 src1=0 src2=0
	;; [unrolled: 13-line block ×4, first 2 shown]
	v_add_f32_e32 v9, v9, v11
	s_set_vgpr_msb 5                        ;  msbs: dst=0 src0=1 src1=1 src2=0
	v_mul_f32_e32 v11, v48 /*v304*/, v53 /*v309*/
	s_delay_alu instid0(VALU_DEP_1) | instskip(SKIP_1) | instid1(VALU_DEP_1)
	v_fmac_f32_e32 v11, v49 /*v305*/, v52 /*v308*/
	s_set_vgpr_msb 64                       ;  msbs: dst=1 src0=0 src1=0 src2=0
	v_add_f32_e32 v77 /*v333*/, v9, v11
	s_set_vgpr_msb 0                        ;  msbs: dst=0 src0=0 src1=0 src2=0
	v_dual_mul_f32 v9, v129, v145 :: v_dual_mul_f32 v11, v131, v147
	s_set_vgpr_msb 1                        ;  msbs: dst=0 src0=1 src1=0 src2=0
	v_mov_b32_e32 v145, v58 /*v314*/
	s_set_vgpr_msb 0                        ;  msbs: dst=0 src0=0 src1=0 src2=0
	s_delay_alu instid0(VALU_DEP_2) | instskip(SKIP_2) | instid1(VALU_DEP_2)
	v_dual_fma_f32 v9, v128, v144, -v9 :: v_dual_fma_f32 v11, v130, v146, -v11
	s_set_vgpr_msb 1                        ;  msbs: dst=0 src0=1 src1=0 src2=0
	v_dual_mov_b32 v144, v59 /*v315*/ :: v_dual_mov_b32 v146, v63 /*v319*/
	v_add_f32_e32 v9, 0, v9
	s_set_vgpr_msb 0                        ;  msbs: dst=0 src0=0 src1=0 src2=0
	s_delay_alu instid0(VALU_DEP_2) | instskip(NEXT) | instid1(VALU_DEP_2)
	v_pk_mul_f32 v[144:145], v[144:145], v[146:147] op_sel_hi:[1,0]
	v_add_f32_e32 v9, v9, v11
	v_mul_f32_e32 v11, v133, v149
	s_set_vgpr_msb 5                        ;  msbs: dst=0 src0=1 src1=1 src2=0
	s_delay_alu instid0(VALU_DEP_3) | instskip(SKIP_2) | instid1(VALU_DEP_1)
	v_pk_fma_f32 v[146:147], v[58:59] /*v[314:315]*/, v[62:63] /*v[318:319]*/, v[144:145] neg_lo:[0,0,1] neg_hi:[0,0,1]
	v_pk_fma_f32 v[144:145], v[58:59] /*v[314:315]*/, v[62:63] /*v[318:319]*/, v[144:145] op_sel_hi:[1,0,1]
	s_set_vgpr_msb 0                        ;  msbs: dst=0 src0=0 src1=0 src2=0
	v_dual_fma_f32 v11, v132, v148, -v11 :: v_dual_mov_b32 v147, v145
	s_delay_alu instid0(VALU_DEP_1) | instskip(SKIP_1) | instid1(VALU_DEP_1)
	v_add_f32_e32 v9, v9, v11
	v_mul_f32_e32 v11, v135, v151
	v_fma_f32 v11, v134, v150, -v11
	s_delay_alu instid0(VALU_DEP_1) | instskip(SKIP_1) | instid1(VALU_DEP_1)
	v_add_f32_e32 v9, v9, v11
	v_mul_f32_e32 v11, v137, v153
	v_fma_f32 v11, v136, v152, -v11
	;; [unrolled: 4-line block ×4, first 2 shown]
	ds_load_b128 v[128:131], v7 offset:960
	ds_load_b128 v[132:135], v7 offset:976
	;; [unrolled: 1-line block ×3, first 2 shown]
	ds_load_b64 v[140:141], v7 offset:1008
	v_add_f32_e32 v9, v9, v11
	v_mul_f32_e32 v11, v143, v159
	s_delay_alu instid0(VALU_DEP_1) | instskip(NEXT) | instid1(VALU_DEP_1)
	v_fma_f32 v11, v142, v158, -v11
	v_add_f32_e32 v9, v9, v11
	v_mul_f32_e32 v11, v161, v165
	s_wait_loadcnt_dscnt 0x303
	s_set_vgpr_msb 4                        ;  msbs: dst=0 src0=0 src1=1 src2=0
	v_pk_mul_f32 v[144:145], v[128:129], v[64:65] /*v[320:321]*/ op_sel:[1,1] op_sel_hi:[0,1]
	s_set_vgpr_msb 0                        ;  msbs: dst=0 src0=0 src1=0 src2=0
	v_fma_f32 v11, v160, v164, -v11
	s_delay_alu instid0(VALU_DEP_1) | instskip(SKIP_1) | instid1(VALU_DEP_1)
	v_add_f32_e32 v9, v9, v11
	v_mul_f32_e32 v11, v163, v167
	v_fma_f32 v11, v162, v166, -v11
	s_delay_alu instid0(VALU_DEP_1) | instskip(SKIP_1) | instid1(VALU_DEP_1)
	v_add_f32_e32 v9, v9, v11
	v_mul_f32_e32 v11, v169, v173
	v_fma_f32 v11, v168, v172, -v11
	s_delay_alu instid0(VALU_DEP_1) | instskip(SKIP_1) | instid1(VALU_DEP_1)
	v_add_f32_e32 v9, v9, v11
	v_mul_f32_e32 v11, v171, v175
	v_fma_f32 v11, v170, v174, -v11
	s_delay_alu instid0(VALU_DEP_1) | instskip(SKIP_1) | instid1(VALU_DEP_1)
	v_add_f32_e32 v9, v9, v11
	v_mul_f32_e32 v11, v177, v181
	v_fma_f32 v11, v176, v180, -v11
	s_delay_alu instid0(VALU_DEP_1) | instskip(SKIP_1) | instid1(VALU_DEP_1)
	v_add_f32_e32 v9, v9, v11
	v_mul_f32_e32 v11, v179, v183
	v_fma_f32 v11, v178, v182, -v11
	s_delay_alu instid0(VALU_DEP_1) | instskip(SKIP_1) | instid1(VALU_DEP_1)
	v_add_f32_e32 v9, v9, v11
	v_mul_f32_e32 v11, v185, v189
	v_fma_f32 v11, v184, v188, -v11
	s_delay_alu instid0(VALU_DEP_1) | instskip(SKIP_1) | instid1(VALU_DEP_1)
	v_add_f32_e32 v9, v9, v11
	v_mul_f32_e32 v11, v187, v191
	v_fma_f32 v11, v186, v190, -v11
	s_delay_alu instid0(VALU_DEP_1) | instskip(SKIP_1) | instid1(VALU_DEP_1)
	v_add_f32_e32 v9, v9, v11
	v_mul_f32_e32 v11, v193, v197
	v_fma_f32 v11, v192, v196, -v11
	s_delay_alu instid0(VALU_DEP_1) | instskip(SKIP_1) | instid1(VALU_DEP_1)
	v_add_f32_e32 v9, v9, v11
	v_mul_f32_e32 v11, v195, v199
	v_fma_f32 v11, v194, v198, -v11
	s_delay_alu instid0(VALU_DEP_1) | instskip(SKIP_1) | instid1(VALU_DEP_1)
	v_add_f32_e32 v9, v9, v11
	v_mul_f32_e32 v11, v201, v205
	v_fma_f32 v11, v200, v204, -v11
	s_delay_alu instid0(VALU_DEP_1) | instskip(SKIP_1) | instid1(VALU_DEP_1)
	v_add_f32_e32 v9, v9, v11
	v_mul_f32_e32 v11, v203, v207
	v_fma_f32 v11, v202, v206, -v11
	s_delay_alu instid0(VALU_DEP_1) | instskip(SKIP_1) | instid1(VALU_DEP_1)
	v_add_f32_e32 v9, v9, v11
	v_mul_f32_e32 v11, v209, v213
	v_fma_f32 v11, v208, v212, -v11
	s_delay_alu instid0(VALU_DEP_1) | instskip(SKIP_1) | instid1(VALU_DEP_1)
	v_add_f32_e32 v9, v9, v11
	v_mul_f32_e32 v11, v211, v215
	v_fma_f32 v11, v210, v214, -v11
	s_delay_alu instid0(VALU_DEP_1) | instskip(SKIP_1) | instid1(VALU_DEP_1)
	v_add_f32_e32 v9, v9, v11
	v_mul_f32_e32 v11, v217, v221
	v_fma_f32 v11, v216, v220, -v11
	s_delay_alu instid0(VALU_DEP_1) | instskip(SKIP_1) | instid1(VALU_DEP_1)
	v_add_f32_e32 v9, v9, v11
	v_mul_f32_e32 v11, v219, v223
	v_fma_f32 v11, v218, v222, -v11
	s_delay_alu instid0(VALU_DEP_1) | instskip(SKIP_1) | instid1(VALU_DEP_1)
	v_add_f32_e32 v9, v9, v11
	v_mul_f32_e32 v11, v225, v229
	v_fma_f32 v11, v224, v228, -v11
	s_delay_alu instid0(VALU_DEP_1) | instskip(SKIP_1) | instid1(VALU_DEP_1)
	v_add_f32_e32 v9, v9, v11
	v_mul_f32_e32 v11, v227, v231
	v_fma_f32 v11, v226, v230, -v11
	s_delay_alu instid0(VALU_DEP_1) | instskip(SKIP_1) | instid1(VALU_DEP_1)
	v_add_f32_e32 v9, v9, v11
	v_mul_f32_e32 v11, v233, v237
	v_fma_f32 v11, v232, v236, -v11
	s_delay_alu instid0(VALU_DEP_1) | instskip(SKIP_1) | instid1(VALU_DEP_1)
	v_add_f32_e32 v9, v9, v11
	v_mul_f32_e32 v11, v235, v239
	v_fma_f32 v11, v234, v238, -v11
	s_delay_alu instid0(VALU_DEP_1) | instskip(SKIP_1) | instid1(VALU_DEP_1)
	v_add_f32_e32 v9, v9, v11
	v_mul_f32_e32 v11, v241, v245
	v_fma_f32 v11, v240, v244, -v11
	s_delay_alu instid0(VALU_DEP_1) | instskip(SKIP_1) | instid1(VALU_DEP_1)
	v_add_f32_e32 v9, v9, v11
	v_mul_f32_e32 v11, v243, v247
	v_fma_f32 v11, v242, v246, -v11
	s_delay_alu instid0(VALU_DEP_1) | instskip(SKIP_1) | instid1(VALU_DEP_1)
	v_add_f32_e32 v9, v9, v11
	v_mul_f32_e32 v11, v249, v253
	v_fma_f32 v11, v248, v252, -v11
	s_delay_alu instid0(VALU_DEP_1) | instskip(SKIP_1) | instid1(VALU_DEP_1)
	v_add_f32_e32 v9, v9, v11
	v_mul_f32_e32 v11, v251, v255
	v_fma_f32 v11, v250, v254, -v11
	s_delay_alu instid0(VALU_DEP_1) | instskip(SKIP_2) | instid1(VALU_DEP_1)
	v_add_f32_e32 v9, v9, v11
	s_set_vgpr_msb 5                        ;  msbs: dst=0 src0=1 src1=1 src2=0
	v_mul_f32_e32 v11, v1 /*v257*/, v5 /*v261*/
	v_fma_f32 v11, v0 /*v256*/, v4 /*v260*/, -v11
	s_set_vgpr_msb 0                        ;  msbs: dst=0 src0=0 src1=0 src2=0
	s_delay_alu instid0(VALU_DEP_1) | instskip(SKIP_2) | instid1(VALU_DEP_1)
	v_add_f32_e32 v9, v9, v11
	s_set_vgpr_msb 5                        ;  msbs: dst=0 src0=1 src1=1 src2=0
	v_mul_f32_e32 v11, v3 /*v259*/, v7 /*v263*/
	v_fma_f32 v11, v2 /*v258*/, v6 /*v262*/, -v11
	s_set_vgpr_msb 0                        ;  msbs: dst=0 src0=0 src1=0 src2=0
	;; [unrolled: 6-line block ×12, first 2 shown]
	s_delay_alu instid0(VALU_DEP_1) | instskip(SKIP_2) | instid1(VALU_DEP_1)
	v_add_f32_e32 v9, v9, v11
	s_set_vgpr_msb 5                        ;  msbs: dst=0 src0=1 src1=1 src2=0
	v_mul_f32_e32 v11, v49 /*v305*/, v53 /*v309*/
	v_fma_f32 v11, v48 /*v304*/, v52 /*v308*/, -v11
	s_set_vgpr_msb 64                       ;  msbs: dst=1 src0=0 src1=0 src2=0
	s_delay_alu instid0(VALU_DEP_1) | instskip(SKIP_3) | instid1(VALU_DEP_1)
	v_add_f32_e32 v76 /*v332*/, v9, v11
	s_set_vgpr_msb 5                        ;  msbs: dst=0 src0=1 src1=1 src2=0
	v_mul_f32_e32 v9, v51 /*v307*/, v55 /*v311*/
	s_set_vgpr_msb 0x45                     ;  msbs: dst=1 src0=1 src1=1 src2=0
	v_fma_f32 v78 /*v334*/, v50 /*v306*/, v54 /*v310*/, -v9
	s_set_vgpr_msb 5                        ;  msbs: dst=0 src0=1 src1=1 src2=0
	v_mul_f32_e32 v9, v57 /*v313*/, v61 /*v317*/
	s_set_vgpr_msb 0x45                     ;  msbs: dst=1 src0=1 src1=1 src2=0
	s_delay_alu instid0(VALU_DEP_1) | instskip(SKIP_3) | instid1(VALU_DEP_1)
	v_fma_f32 v80 /*v336*/, v56 /*v312*/, v60 /*v316*/, -v9
	s_set_vgpr_msb 5                        ;  msbs: dst=0 src0=1 src1=1 src2=0
	v_pk_add_f32 v[142:143], v[76:77] /*v[332:333]*/, v[78:79] /*v[334:335]*/
	s_set_vgpr_msb 4                        ;  msbs: dst=0 src0=0 src1=1 src2=0
	v_pk_add_f32 v[142:143], v[142:143], v[80:81] /*v[336:337]*/
	s_set_vgpr_msb 0                        ;  msbs: dst=0 src0=0 src1=0 src2=0
	s_delay_alu instid0(VALU_DEP_1)
	v_pk_add_f32 v[142:143], v[142:143], v[146:147]
	s_set_vgpr_msb 4                        ;  msbs: dst=0 src0=0 src1=1 src2=0
	v_pk_fma_f32 v[146:147], v[128:129], v[64:65] /*v[320:321]*/, v[144:145] neg_lo:[0,0,1] neg_hi:[0,0,1]
	v_pk_fma_f32 v[128:129], v[128:129], v[64:65] /*v[320:321]*/, v[144:145] op_sel_hi:[1,0,1]
	s_set_vgpr_msb 1                        ;  msbs: dst=0 src0=1 src1=0 src2=0
	v_mov_b32_e32 v144, v67 /*v323*/
	s_set_vgpr_msb 0                        ;  msbs: dst=0 src0=0 src1=0 src2=0
	s_delay_alu instid0(VALU_DEP_2) | instskip(NEXT) | instid1(VALU_DEP_1)
	v_mov_b32_e32 v147, v129
	v_pk_add_f32 v[128:129], v[142:143], v[146:147]
	v_dual_mov_b32 v142, v131 :: v_dual_mov_b32 v143, v130
	s_delay_alu instid0(VALU_DEP_1) | instskip(SKIP_1) | instid1(VALU_DEP_1)
	v_pk_mul_f32 v[142:143], v[142:143], v[144:145] op_sel_hi:[1,0]
	s_set_vgpr_msb 4                        ;  msbs: dst=0 src0=0 src1=1 src2=0
	v_pk_fma_f32 v[144:145], v[130:131], v[66:67] /*v[322:323]*/, v[142:143] neg_lo:[0,0,1] neg_hi:[0,0,1]
	v_pk_fma_f32 v[130:131], v[130:131], v[66:67] /*v[322:323]*/, v[142:143] op_sel_hi:[1,0,1]
	s_delay_alu instid0(VALU_DEP_1) | instskip(SKIP_3) | instid1(VALU_DEP_2)
	v_mov_b32_e32 v145, v131
	s_wait_loadcnt_dscnt 0x202
	v_pk_mul_f32 v[130:131], v[132:133], v[68:69] /*v[324:325]*/ op_sel:[1,1] op_sel_hi:[0,1]
	s_set_vgpr_msb 0                        ;  msbs: dst=0 src0=0 src1=0 src2=0
	v_pk_add_f32 v[128:129], v[128:129], v[144:145]
	s_set_vgpr_msb 4                        ;  msbs: dst=0 src0=0 src1=1 src2=0
	s_delay_alu instid0(VALU_DEP_2)
	v_pk_fma_f32 v[142:143], v[132:133], v[68:69] /*v[324:325]*/, v[130:131] neg_lo:[0,0,1] neg_hi:[0,0,1]
	v_pk_fma_f32 v[130:131], v[132:133], v[68:69] /*v[324:325]*/, v[130:131] op_sel_hi:[1,0,1]
	v_mov_b32_e32 v130, v135
	s_set_vgpr_msb 1                        ;  msbs: dst=0 src0=1 src1=0 src2=0
	v_mov_b32_e32 v132, v71 /*v327*/
	s_set_vgpr_msb 0                        ;  msbs: dst=0 src0=0 src1=0 src2=0
	v_dual_mov_b32 v143, v131 :: v_dual_mov_b32 v131, v134
	s_delay_alu instid0(VALU_DEP_1) | instskip(NEXT) | instid1(VALU_DEP_2)
	v_pk_add_f32 v[128:129], v[128:129], v[142:143]
	v_pk_mul_f32 v[130:131], v[130:131], v[132:133] op_sel_hi:[1,0]
	s_set_vgpr_msb 4                        ;  msbs: dst=0 src0=0 src1=1 src2=0
	s_delay_alu instid0(VALU_DEP_1) | instskip(SKIP_1) | instid1(VALU_DEP_1)
	v_pk_fma_f32 v[132:133], v[134:135], v[70:71] /*v[326:327]*/, v[130:131] neg_lo:[0,0,1] neg_hi:[0,0,1]
	v_pk_fma_f32 v[130:131], v[134:135], v[70:71] /*v[326:327]*/, v[130:131] op_sel_hi:[1,0,1]
	v_mov_b32_e32 v133, v131
	s_wait_loadcnt_dscnt 0x101
	v_pk_mul_f32 v[130:131], v[136:137], v[72:73] /*v[328:329]*/ op_sel:[1,1] op_sel_hi:[0,1]
	s_set_vgpr_msb 0                        ;  msbs: dst=0 src0=0 src1=0 src2=0
	s_delay_alu instid0(VALU_DEP_2) | instskip(SKIP_1) | instid1(VALU_DEP_2)
	v_pk_add_f32 v[128:129], v[128:129], v[132:133]
	s_set_vgpr_msb 4                        ;  msbs: dst=0 src0=0 src1=1 src2=0
	v_pk_fma_f32 v[132:133], v[136:137], v[72:73] /*v[328:329]*/, v[130:131] neg_lo:[0,0,1] neg_hi:[0,0,1]
	v_pk_fma_f32 v[130:131], v[136:137], v[72:73] /*v[328:329]*/, v[130:131] op_sel_hi:[1,0,1]
	s_delay_alu instid0(VALU_DEP_1) | instskip(SKIP_2) | instid1(VALU_DEP_2)
	v_dual_mov_b32 v130, v139 :: v_dual_mov_b32 v133, v131
	v_mov_b32_e32 v131, v138
	s_set_vgpr_msb 0                        ;  msbs: dst=0 src0=0 src1=0 src2=0
	v_pk_add_f32 v[128:129], v[128:129], v[132:133]
	s_set_vgpr_msb 1                        ;  msbs: dst=0 src0=1 src1=0 src2=0
	v_mov_b32_e32 v132, v75 /*v331*/
	s_set_vgpr_msb 0                        ;  msbs: dst=0 src0=0 src1=0 src2=0
	s_delay_alu instid0(VALU_DEP_1) | instskip(SKIP_1) | instid1(VALU_DEP_1)
	v_pk_mul_f32 v[130:131], v[130:131], v[132:133] op_sel_hi:[1,0]
	s_set_vgpr_msb 4                        ;  msbs: dst=0 src0=0 src1=1 src2=0
	v_pk_fma_f32 v[132:133], v[138:139], v[74:75] /*v[330:331]*/, v[130:131] neg_lo:[0,0,1] neg_hi:[0,0,1]
	v_pk_fma_f32 v[130:131], v[138:139], v[74:75] /*v[330:331]*/, v[130:131] op_sel_hi:[1,0,1]
	s_delay_alu instid0(VALU_DEP_1) | instskip(SKIP_3) | instid1(VALU_DEP_2)
	v_mov_b32_e32 v133, v131
	s_wait_loadcnt_dscnt 0x0
	v_pk_mul_f32 v[130:131], v[140:141], v[82:83] /*v[338:339]*/ op_sel:[1,1] op_sel_hi:[0,1]
	s_set_vgpr_msb 0                        ;  msbs: dst=0 src0=0 src1=0 src2=0
	v_pk_add_f32 v[128:129], v[128:129], v[132:133]
	s_set_vgpr_msb 4                        ;  msbs: dst=0 src0=0 src1=1 src2=0
	s_delay_alu instid0(VALU_DEP_2) | instskip(SKIP_1) | instid1(VALU_DEP_1)
	v_pk_fma_f32 v[132:133], v[140:141], v[82:83] /*v[338:339]*/, v[130:131] neg_lo:[0,0,1] neg_hi:[0,0,1]
	v_pk_fma_f32 v[130:131], v[140:141], v[82:83] /*v[338:339]*/, v[130:131] op_sel_hi:[1,0,1]
	v_mov_b32_e32 v133, v131
	scratch_load_b64 v[130:131], off, off offset:56
	s_set_vgpr_msb 0                        ;  msbs: dst=0 src0=0 src1=0 src2=0
	v_pk_add_f32 v[128:129], v[128:129], v[132:133]
	s_wait_loadcnt 0x0
	s_delay_alu instid0(VALU_DEP_1)
	v_pk_add_f32 v[128:129], v[130:131], v[128:129] neg_lo:[0,1] neg_hi:[0,1]
	scratch_store_b64 off, v[128:129], off offset:56
	s_wait_xcnt 0x0
	v_cmpx_lt_u32_e32 6, v0
	s_cbranch_execz .LBB126_379
; %bb.378:
	scratch_load_b64 v[128:129], off, off offset:48
	v_mov_b64_e32 v[130:131], 0
	scratch_store_b64 off, v[130:131], off offset:48
	s_wait_loadcnt 0x0
	ds_store_b64 v1, v[128:129]
.LBB126_379:
	s_wait_xcnt 0x0
	s_or_b32 exec_lo, exec_lo, s0
	s_wait_storecnt_dscnt 0x0
	s_barrier_signal -1
	s_barrier_wait -1
	s_clause 0xf
	scratch_load_b128 v[132:135], off, off offset:56
	scratch_load_b128 v[140:143], off, off offset:72
	;; [unrolled: 1-line block ×16, first 2 shown]
	ds_load_2addr_b64 v[128:131], v7 offset0:71 offset1:72
	ds_load_2addr_b64 v[136:139], v7 offset0:73 offset1:74
	s_set_vgpr_msb 64                       ;  msbs: dst=1 src0=0 src1=0 src2=0
	s_clause 0x1
	scratch_load_b128 v[4:7] /*v[260:263]*/, off, off offset:312
	scratch_load_b128 v[12:15] /*v[268:271]*/, off, off offset:328
	s_set_vgpr_msb 0                        ;  msbs: dst=0 src0=0 src1=0 src2=0
	ds_load_2addr_b64 v[144:147], v7 offset0:75 offset1:76
	ds_load_2addr_b64 v[152:155], v7 offset0:77 offset1:78
	s_set_vgpr_msb 64                       ;  msbs: dst=1 src0=0 src1=0 src2=0
	s_clause 0x1
	scratch_load_b128 v[20:23] /*v[276:279]*/, off, off offset:344
	scratch_load_b128 v[28:31] /*v[284:287]*/, off, off offset:360
	s_set_vgpr_msb 0                        ;  msbs: dst=0 src0=0 src1=0 src2=0
	;; [unrolled: 7-line block ×4, first 2 shown]
	ds_load_2addr_b64 v[192:195], v7 offset0:87 offset1:88
	ds_load_2addr_b64 v[200:203], v7 offset0:89 offset1:90
	;; [unrolled: 1-line block ×8, first 2 shown]
	s_set_vgpr_msb 64                       ;  msbs: dst=1 src0=0 src1=0 src2=0
	ds_load_2addr_b64 v[0:3] /*v[256:259]*/, v7 offset0:103 offset1:104
	ds_load_2addr_b64 v[8:11] /*v[264:267]*/, v7 offset0:105 offset1:106
	;; [unrolled: 1-line block ×8, first 2 shown]
	s_clause 0x3
	scratch_load_b128 v[64:67] /*v[320:323]*/, off, off offset:440
	scratch_load_b128 v[68:71] /*v[324:327]*/, off, off offset:456
	;; [unrolled: 1-line block ×4, first 2 shown]
	s_mov_b32 s0, exec_lo
	s_wait_loadcnt_dscnt 0x1b17
	s_set_vgpr_msb 0                        ;  msbs: dst=0 src0=0 src1=0 src2=0
	v_dual_mul_f32 v9, v128, v133 :: v_dual_mul_f32 v11, v130, v135
	s_delay_alu instid0(VALU_DEP_1) | instskip(NEXT) | instid1(VALU_DEP_1)
	v_dual_fmac_f32 v9, v129, v132 :: v_dual_fmac_f32 v11, v131, v134
	v_add_f32_e32 v9, 0, v9
	s_wait_loadcnt_dscnt 0x1a16
	s_delay_alu instid0(VALU_DEP_1) | instskip(NEXT) | instid1(VALU_DEP_1)
	v_dual_add_f32 v9, v9, v11 :: v_dual_mul_f32 v11, v136, v141
	v_fmac_f32_e32 v11, v137, v140
	s_delay_alu instid0(VALU_DEP_1)
	v_add_f32_e32 v9, v9, v11
	v_mul_f32_e32 v11, v138, v143
	s_wait_loadcnt_dscnt 0x404
	s_set_vgpr_msb 0x45                     ;  msbs: dst=1 src0=1 src1=1 src2=0
	v_dual_mul_f32 v83 /*v339*/, v56 /*v312*/, v61 /*v317*/ :: v_dual_mul_f32 v85 /*v341*/, v58 /*v314*/, v63 /*v319*/
	s_set_vgpr_msb 0                        ;  msbs: dst=0 src0=0 src1=0 src2=0
	v_fmac_f32_e32 v11, v139, v142
	s_set_vgpr_msb 0x45                     ;  msbs: dst=1 src0=1 src1=1 src2=0
	s_delay_alu instid0(VALU_DEP_2) | instskip(SKIP_1) | instid1(VALU_DEP_2)
	v_dual_fmac_f32 v83 /*v339*/, v57 /*v313*/, v60 /*v316*/ :: v_dual_fmac_f32 v85 /*v341*/, v59 /*v315*/, v62 /*v318*/
	s_set_vgpr_msb 0                        ;  msbs: dst=0 src0=0 src1=0 src2=0
	v_dual_add_f32 v9, v9, v11 :: v_dual_mul_f32 v11, v144, v149
	s_delay_alu instid0(VALU_DEP_1) | instskip(NEXT) | instid1(VALU_DEP_1)
	v_fmac_f32_e32 v11, v145, v148
	v_add_f32_e32 v9, v9, v11
	v_mul_f32_e32 v11, v146, v151
	s_delay_alu instid0(VALU_DEP_1) | instskip(NEXT) | instid1(VALU_DEP_1)
	v_fmac_f32_e32 v11, v147, v150
	v_dual_add_f32 v9, v9, v11 :: v_dual_mul_f32 v11, v152, v157
	s_delay_alu instid0(VALU_DEP_1) | instskip(NEXT) | instid1(VALU_DEP_1)
	v_fmac_f32_e32 v11, v153, v156
	v_add_f32_e32 v9, v9, v11
	v_mul_f32_e32 v11, v154, v159
	s_delay_alu instid0(VALU_DEP_1) | instskip(NEXT) | instid1(VALU_DEP_1)
	v_fmac_f32_e32 v11, v155, v158
	;; [unrolled: 7-line block ×14, first 2 shown]
	v_add_f32_e32 v9, v9, v11
	s_set_vgpr_msb 5                        ;  msbs: dst=0 src0=1 src1=1 src2=0
	v_mul_f32_e32 v11, v0 /*v256*/, v5 /*v261*/
	s_delay_alu instid0(VALU_DEP_1) | instskip(SKIP_1) | instid1(VALU_DEP_1)
	v_fmac_f32_e32 v11, v1 /*v257*/, v4 /*v260*/
	s_set_vgpr_msb 0                        ;  msbs: dst=0 src0=0 src1=0 src2=0
	v_add_f32_e32 v9, v9, v11
	s_set_vgpr_msb 5                        ;  msbs: dst=0 src0=1 src1=1 src2=0
	v_mul_f32_e32 v11, v2 /*v258*/, v7 /*v263*/
	s_delay_alu instid0(VALU_DEP_1) | instskip(SKIP_1) | instid1(VALU_DEP_1)
	v_fmac_f32_e32 v11, v3 /*v259*/, v6 /*v262*/
	s_set_vgpr_msb 0                        ;  msbs: dst=0 src0=0 src1=0 src2=0
	;; [unrolled: 6-line block ×4, first 2 shown]
	v_add_f32_e32 v9, v9, v11
	s_wait_dscnt 0x3
	s_set_vgpr_msb 5                        ;  msbs: dst=0 src0=1 src1=1 src2=0
	v_mul_f32_e32 v11, v16 /*v272*/, v21 /*v277*/
	s_delay_alu instid0(VALU_DEP_1) | instskip(SKIP_1) | instid1(VALU_DEP_1)
	v_fmac_f32_e32 v11, v17 /*v273*/, v20 /*v276*/
	s_set_vgpr_msb 0                        ;  msbs: dst=0 src0=0 src1=0 src2=0
	v_add_f32_e32 v9, v9, v11
	s_set_vgpr_msb 5                        ;  msbs: dst=0 src0=1 src1=1 src2=0
	v_mul_f32_e32 v11, v18 /*v274*/, v23 /*v279*/
	s_delay_alu instid0(VALU_DEP_1) | instskip(SKIP_1) | instid1(VALU_DEP_1)
	v_fmac_f32_e32 v11, v19 /*v275*/, v22 /*v278*/
	s_set_vgpr_msb 0                        ;  msbs: dst=0 src0=0 src1=0 src2=0
	v_add_f32_e32 v9, v9, v11
	s_wait_dscnt 0x2
	s_set_vgpr_msb 5                        ;  msbs: dst=0 src0=1 src1=1 src2=0
	v_mul_f32_e32 v11, v24 /*v280*/, v29 /*v285*/
	s_delay_alu instid0(VALU_DEP_1) | instskip(SKIP_1) | instid1(VALU_DEP_1)
	v_fmac_f32_e32 v11, v25 /*v281*/, v28 /*v284*/
	s_set_vgpr_msb 0                        ;  msbs: dst=0 src0=0 src1=0 src2=0
	v_add_f32_e32 v9, v9, v11
	s_set_vgpr_msb 5                        ;  msbs: dst=0 src0=1 src1=1 src2=0
	v_mul_f32_e32 v11, v26 /*v282*/, v31 /*v287*/
	s_delay_alu instid0(VALU_DEP_1) | instskip(SKIP_1) | instid1(VALU_DEP_1)
	v_fmac_f32_e32 v11, v27 /*v283*/, v30 /*v286*/
	s_set_vgpr_msb 0                        ;  msbs: dst=0 src0=0 src1=0 src2=0
	;; [unrolled: 13-line block ×4, first 2 shown]
	v_add_f32_e32 v9, v9, v11
	s_set_vgpr_msb 5                        ;  msbs: dst=0 src0=1 src1=1 src2=0
	v_mul_f32_e32 v11, v48 /*v304*/, v53 /*v309*/
	s_delay_alu instid0(VALU_DEP_1) | instskip(SKIP_1) | instid1(VALU_DEP_1)
	v_fmac_f32_e32 v11, v49 /*v305*/, v52 /*v308*/
	s_set_vgpr_msb 0                        ;  msbs: dst=0 src0=0 src1=0 src2=0
	v_add_f32_e32 v9, v9, v11
	s_set_vgpr_msb 5                        ;  msbs: dst=0 src0=1 src1=1 src2=0
	v_mul_f32_e32 v11, v50 /*v306*/, v55 /*v311*/
	s_delay_alu instid0(VALU_DEP_1) | instskip(SKIP_1) | instid1(VALU_DEP_1)
	v_fmac_f32_e32 v11, v51 /*v307*/, v54 /*v310*/
	s_set_vgpr_msb 64                       ;  msbs: dst=1 src0=0 src1=0 src2=0
	v_add_f32_e32 v81 /*v337*/, v9, v11
	s_set_vgpr_msb 0                        ;  msbs: dst=0 src0=0 src1=0 src2=0
	v_dual_mul_f32 v9, v129, v133 :: v_dual_mul_f32 v11, v131, v135
	s_delay_alu instid0(VALU_DEP_1) | instskip(NEXT) | instid1(VALU_DEP_1)
	v_dual_fma_f32 v9, v128, v132, -v9 :: v_dual_fma_f32 v11, v130, v134, -v11
	v_add_f32_e32 v9, 0, v9
	s_delay_alu instid0(VALU_DEP_1) | instskip(SKIP_1) | instid1(VALU_DEP_1)
	v_add_f32_e32 v9, v9, v11
	v_mul_f32_e32 v11, v137, v141
	v_fma_f32 v11, v136, v140, -v11
	s_delay_alu instid0(VALU_DEP_1) | instskip(SKIP_1) | instid1(VALU_DEP_1)
	v_add_f32_e32 v9, v9, v11
	v_mul_f32_e32 v11, v139, v143
	v_fma_f32 v11, v138, v142, -v11
	ds_load_2addr_b64 v[128:131], v7 offset0:119 offset1:120
	ds_load_2addr_b64 v[132:135], v7 offset0:121 offset1:122
	;; [unrolled: 1-line block ×4, first 2 shown]
	v_add_f32_e32 v9, v9, v11
	v_mul_f32_e32 v11, v145, v149
	s_delay_alu instid0(VALU_DEP_1) | instskip(NEXT) | instid1(VALU_DEP_1)
	v_fma_f32 v11, v144, v148, -v11
	v_add_f32_e32 v9, v9, v11
	v_mul_f32_e32 v11, v147, v151
	s_delay_alu instid0(VALU_DEP_1)
	v_fma_f32 v11, v146, v150, -v11
	s_wait_loadcnt_dscnt 0x303
	s_set_vgpr_msb 4                        ;  msbs: dst=0 src0=0 src1=1 src2=0
	v_pk_mul_f32 v[146:147], v[128:129], v[64:65] /*v[320:321]*/ op_sel:[1,1] op_sel_hi:[0,1]
	s_set_vgpr_msb 0                        ;  msbs: dst=0 src0=0 src1=0 src2=0
	v_add_f32_e32 v9, v9, v11
	v_mul_f32_e32 v11, v153, v157
	s_set_vgpr_msb 4                        ;  msbs: dst=0 src0=0 src1=1 src2=0
	v_pk_fma_f32 v[148:149], v[128:129], v[64:65] /*v[320:321]*/, v[146:147] neg_lo:[0,0,1] neg_hi:[0,0,1]
	v_pk_fma_f32 v[128:129], v[128:129], v[64:65] /*v[320:321]*/, v[146:147] op_sel_hi:[1,0,1]
	s_set_vgpr_msb 1                        ;  msbs: dst=0 src0=1 src1=0 src2=0
	v_mov_b32_e32 v146, v67 /*v323*/
	s_set_vgpr_msb 0                        ;  msbs: dst=0 src0=0 src1=0 src2=0
	s_delay_alu instid0(VALU_DEP_2) | instskip(NEXT) | instid1(VALU_DEP_1)
	v_dual_fma_f32 v11, v152, v156, -v11 :: v_dual_mov_b32 v149, v129
	v_add_f32_e32 v9, v9, v11
	v_mul_f32_e32 v11, v155, v159
	s_delay_alu instid0(VALU_DEP_1) | instskip(NEXT) | instid1(VALU_DEP_1)
	v_fma_f32 v11, v154, v158, -v11
	v_add_f32_e32 v9, v9, v11
	v_mul_f32_e32 v11, v161, v165
	s_delay_alu instid0(VALU_DEP_1) | instskip(NEXT) | instid1(VALU_DEP_1)
	v_fma_f32 v11, v160, v164, -v11
	;; [unrolled: 4-line block ×25, first 2 shown]
	v_add_f32_e32 v9, v9, v11
	s_set_vgpr_msb 5                        ;  msbs: dst=0 src0=1 src1=1 src2=0
	v_mul_f32_e32 v11, v1 /*v257*/, v5 /*v261*/
	s_delay_alu instid0(VALU_DEP_1) | instskip(SKIP_1) | instid1(VALU_DEP_1)
	v_fma_f32 v11, v0 /*v256*/, v4 /*v260*/, -v11
	s_set_vgpr_msb 0                        ;  msbs: dst=0 src0=0 src1=0 src2=0
	v_add_f32_e32 v9, v9, v11
	s_set_vgpr_msb 5                        ;  msbs: dst=0 src0=1 src1=1 src2=0
	v_mul_f32_e32 v11, v3 /*v259*/, v7 /*v263*/
	s_delay_alu instid0(VALU_DEP_1) | instskip(SKIP_1) | instid1(VALU_DEP_1)
	v_fma_f32 v11, v2 /*v258*/, v6 /*v262*/, -v11
	s_set_vgpr_msb 0                        ;  msbs: dst=0 src0=0 src1=0 src2=0
	;; [unrolled: 6-line block ×13, first 2 shown]
	v_add_f32_e32 v9, v9, v11
	s_set_vgpr_msb 5                        ;  msbs: dst=0 src0=1 src1=1 src2=0
	v_mul_f32_e32 v11, v51 /*v307*/, v55 /*v311*/
	s_delay_alu instid0(VALU_DEP_1) | instskip(SKIP_1) | instid1(VALU_DEP_1)
	v_fma_f32 v11, v50 /*v306*/, v54 /*v310*/, -v11
	s_set_vgpr_msb 64                       ;  msbs: dst=1 src0=0 src1=0 src2=0
	v_add_f32_e32 v80 /*v336*/, v9, v11
	s_set_vgpr_msb 5                        ;  msbs: dst=0 src0=1 src1=1 src2=0
	v_mul_f32_e32 v9, v57 /*v313*/, v61 /*v317*/
	s_set_vgpr_msb 0x45                     ;  msbs: dst=1 src0=1 src1=1 src2=0
	s_delay_alu instid0(VALU_DEP_1) | instskip(SKIP_3) | instid1(VALU_DEP_1)
	v_fma_f32 v82 /*v338*/, v56 /*v312*/, v60 /*v316*/, -v9
	s_set_vgpr_msb 5                        ;  msbs: dst=0 src0=1 src1=1 src2=0
	v_mul_f32_e32 v9, v59 /*v315*/, v63 /*v319*/
	s_set_vgpr_msb 0x45                     ;  msbs: dst=1 src0=1 src1=1 src2=0
	v_fma_f32 v84 /*v340*/, v58 /*v314*/, v62 /*v318*/, -v9
	s_set_vgpr_msb 5                        ;  msbs: dst=0 src0=1 src1=1 src2=0
	v_pk_add_f32 v[144:145], v[80:81] /*v[336:337]*/, v[82:83] /*v[338:339]*/
	s_set_vgpr_msb 4                        ;  msbs: dst=0 src0=0 src1=1 src2=0
	s_delay_alu instid0(VALU_DEP_1) | instskip(SKIP_1) | instid1(VALU_DEP_1)
	v_pk_add_f32 v[144:145], v[144:145], v[84:85] /*v[340:341]*/
	s_set_vgpr_msb 0                        ;  msbs: dst=0 src0=0 src1=0 src2=0
	v_pk_add_f32 v[128:129], v[144:145], v[148:149]
	v_dual_mov_b32 v144, v131 :: v_dual_mov_b32 v145, v130
	s_delay_alu instid0(VALU_DEP_1) | instskip(SKIP_1) | instid1(VALU_DEP_1)
	v_pk_mul_f32 v[144:145], v[144:145], v[146:147] op_sel_hi:[1,0]
	s_set_vgpr_msb 4                        ;  msbs: dst=0 src0=0 src1=1 src2=0
	v_pk_fma_f32 v[146:147], v[130:131], v[66:67] /*v[322:323]*/, v[144:145] neg_lo:[0,0,1] neg_hi:[0,0,1]
	v_pk_fma_f32 v[130:131], v[130:131], v[66:67] /*v[322:323]*/, v[144:145] op_sel_hi:[1,0,1]
	s_delay_alu instid0(VALU_DEP_1) | instskip(SKIP_3) | instid1(VALU_DEP_2)
	v_mov_b32_e32 v147, v131
	s_wait_loadcnt_dscnt 0x202
	v_pk_mul_f32 v[130:131], v[132:133], v[68:69] /*v[324:325]*/ op_sel:[1,1] op_sel_hi:[0,1]
	s_set_vgpr_msb 0                        ;  msbs: dst=0 src0=0 src1=0 src2=0
	v_pk_add_f32 v[128:129], v[128:129], v[146:147]
	s_set_vgpr_msb 4                        ;  msbs: dst=0 src0=0 src1=1 src2=0
	s_delay_alu instid0(VALU_DEP_2)
	v_pk_fma_f32 v[144:145], v[132:133], v[68:69] /*v[324:325]*/, v[130:131] neg_lo:[0,0,1] neg_hi:[0,0,1]
	v_pk_fma_f32 v[130:131], v[132:133], v[68:69] /*v[324:325]*/, v[130:131] op_sel_hi:[1,0,1]
	v_mov_b32_e32 v130, v135
	s_set_vgpr_msb 1                        ;  msbs: dst=0 src0=1 src1=0 src2=0
	v_mov_b32_e32 v132, v71 /*v327*/
	s_set_vgpr_msb 0                        ;  msbs: dst=0 src0=0 src1=0 src2=0
	v_dual_mov_b32 v145, v131 :: v_dual_mov_b32 v131, v134
	s_delay_alu instid0(VALU_DEP_1) | instskip(NEXT) | instid1(VALU_DEP_2)
	v_pk_add_f32 v[128:129], v[128:129], v[144:145]
	v_pk_mul_f32 v[130:131], v[130:131], v[132:133] op_sel_hi:[1,0]
	s_set_vgpr_msb 4                        ;  msbs: dst=0 src0=0 src1=1 src2=0
	s_delay_alu instid0(VALU_DEP_1) | instskip(SKIP_1) | instid1(VALU_DEP_1)
	v_pk_fma_f32 v[132:133], v[134:135], v[70:71] /*v[326:327]*/, v[130:131] neg_lo:[0,0,1] neg_hi:[0,0,1]
	v_pk_fma_f32 v[130:131], v[134:135], v[70:71] /*v[326:327]*/, v[130:131] op_sel_hi:[1,0,1]
	v_mov_b32_e32 v133, v131
	s_wait_loadcnt_dscnt 0x101
	v_pk_mul_f32 v[130:131], v[136:137], v[72:73] /*v[328:329]*/ op_sel:[1,1] op_sel_hi:[0,1]
	s_set_vgpr_msb 0                        ;  msbs: dst=0 src0=0 src1=0 src2=0
	s_delay_alu instid0(VALU_DEP_2) | instskip(SKIP_1) | instid1(VALU_DEP_2)
	v_pk_add_f32 v[128:129], v[128:129], v[132:133]
	s_set_vgpr_msb 4                        ;  msbs: dst=0 src0=0 src1=1 src2=0
	v_pk_fma_f32 v[132:133], v[136:137], v[72:73] /*v[328:329]*/, v[130:131] neg_lo:[0,0,1] neg_hi:[0,0,1]
	v_pk_fma_f32 v[130:131], v[136:137], v[72:73] /*v[328:329]*/, v[130:131] op_sel_hi:[1,0,1]
	s_delay_alu instid0(VALU_DEP_1) | instskip(SKIP_2) | instid1(VALU_DEP_2)
	v_dual_mov_b32 v130, v139 :: v_dual_mov_b32 v133, v131
	v_mov_b32_e32 v131, v138
	s_set_vgpr_msb 0                        ;  msbs: dst=0 src0=0 src1=0 src2=0
	v_pk_add_f32 v[128:129], v[128:129], v[132:133]
	s_set_vgpr_msb 1                        ;  msbs: dst=0 src0=1 src1=0 src2=0
	v_mov_b32_e32 v132, v75 /*v331*/
	s_set_vgpr_msb 0                        ;  msbs: dst=0 src0=0 src1=0 src2=0
	s_delay_alu instid0(VALU_DEP_1) | instskip(SKIP_1) | instid1(VALU_DEP_1)
	v_pk_mul_f32 v[130:131], v[130:131], v[132:133] op_sel_hi:[1,0]
	s_set_vgpr_msb 4                        ;  msbs: dst=0 src0=0 src1=1 src2=0
	v_pk_fma_f32 v[132:133], v[138:139], v[74:75] /*v[330:331]*/, v[130:131] neg_lo:[0,0,1] neg_hi:[0,0,1]
	v_pk_fma_f32 v[130:131], v[138:139], v[74:75] /*v[330:331]*/, v[130:131] op_sel_hi:[1,0,1]
	s_delay_alu instid0(VALU_DEP_1) | instskip(SKIP_3) | instid1(VALU_DEP_2)
	v_mov_b32_e32 v133, v131
	s_wait_loadcnt_dscnt 0x0
	v_pk_mul_f32 v[130:131], v[140:141], v[76:77] /*v[332:333]*/ op_sel:[1,1] op_sel_hi:[0,1]
	s_set_vgpr_msb 0                        ;  msbs: dst=0 src0=0 src1=0 src2=0
	v_pk_add_f32 v[128:129], v[128:129], v[132:133]
	s_set_vgpr_msb 4                        ;  msbs: dst=0 src0=0 src1=1 src2=0
	s_delay_alu instid0(VALU_DEP_2) | instskip(SKIP_1) | instid1(VALU_DEP_1)
	v_pk_fma_f32 v[132:133], v[140:141], v[76:77] /*v[332:333]*/, v[130:131] neg_lo:[0,0,1] neg_hi:[0,0,1]
	v_pk_fma_f32 v[130:131], v[140:141], v[76:77] /*v[332:333]*/, v[130:131] op_sel_hi:[1,0,1]
	v_dual_mov_b32 v130, v143 :: v_dual_mov_b32 v133, v131
	v_mov_b32_e32 v131, v142
	s_set_vgpr_msb 0                        ;  msbs: dst=0 src0=0 src1=0 src2=0
	s_delay_alu instid0(VALU_DEP_2) | instskip(SKIP_3) | instid1(VALU_DEP_1)
	v_pk_add_f32 v[128:129], v[128:129], v[132:133]
	s_set_vgpr_msb 1                        ;  msbs: dst=0 src0=1 src1=0 src2=0
	v_mov_b32_e32 v132, v79 /*v335*/
	s_set_vgpr_msb 0                        ;  msbs: dst=0 src0=0 src1=0 src2=0
	v_pk_mul_f32 v[130:131], v[130:131], v[132:133] op_sel_hi:[1,0]
	s_set_vgpr_msb 4                        ;  msbs: dst=0 src0=0 src1=1 src2=0
	s_delay_alu instid0(VALU_DEP_1) | instskip(SKIP_1) | instid1(VALU_DEP_1)
	v_pk_fma_f32 v[132:133], v[142:143], v[78:79] /*v[334:335]*/, v[130:131] neg_lo:[0,0,1] neg_hi:[0,0,1]
	v_pk_fma_f32 v[130:131], v[142:143], v[78:79] /*v[334:335]*/, v[130:131] op_sel_hi:[1,0,1]
	v_mov_b32_e32 v133, v131
	scratch_load_b64 v[130:131], off, off offset:48
	s_set_vgpr_msb 0                        ;  msbs: dst=0 src0=0 src1=0 src2=0
	v_pk_add_f32 v[128:129], v[128:129], v[132:133]
	s_wait_loadcnt 0x0
	s_delay_alu instid0(VALU_DEP_1)
	v_pk_add_f32 v[128:129], v[130:131], v[128:129] neg_lo:[0,1] neg_hi:[0,1]
	scratch_store_b64 off, v[128:129], off offset:48
	s_wait_xcnt 0x0
	v_cmpx_lt_u32_e32 5, v0
	s_cbranch_execz .LBB126_381
; %bb.380:
	scratch_load_b64 v[128:129], off, off offset:40
	v_mov_b64_e32 v[130:131], 0
	scratch_store_b64 off, v[130:131], off offset:40
	s_wait_loadcnt 0x0
	ds_store_b64 v1, v[128:129]
.LBB126_381:
	s_wait_xcnt 0x0
	s_or_b32 exec_lo, exec_lo, s0
	v_mov_b32_e32 v7, 0
	s_wait_storecnt_dscnt 0x0
	s_barrier_signal -1
	s_barrier_wait -1
	ds_load_b128 v[128:131], v7 offset:560
	ds_load_b128 v[132:135], v7 offset:576
	;; [unrolled: 1-line block ×4, first 2 shown]
	s_clause 0x19
	scratch_load_b128 v[144:147], off, off offset:48
	scratch_load_b128 v[148:151], off, off offset:64
	;; [unrolled: 1-line block ×16, first 2 shown]
	s_set_vgpr_msb 64                       ;  msbs: dst=1 src0=0 src1=0 src2=0
	scratch_load_b128 v[4:7] /*v[260:263]*/, off, off offset:304
	scratch_load_b128 v[12:15] /*v[268:271]*/, off, off offset:320
	;; [unrolled: 1-line block ×9, first 2 shown]
	s_mov_b32 s0, exec_lo
	s_wait_loadcnt_dscnt 0x1803
	s_set_vgpr_msb 0                        ;  msbs: dst=0 src0=0 src1=0 src2=0
	v_mul_f32_e32 v9, v128, v145
	ds_load_b128 v[160:163], v7 offset:624
	ds_load_b128 v[168:171], v7 offset:640
	;; [unrolled: 1-line block ×4, first 2 shown]
	v_dual_fmac_f32 v9, v129, v144 :: v_dual_mul_f32 v11, v130, v147
	ds_load_b128 v[192:195], v7 offset:688
	ds_load_b128 v[200:203], v7 offset:704
	;; [unrolled: 1-line block ×4, first 2 shown]
	v_dual_add_f32 v9, 0, v9 :: v_dual_fmac_f32 v11, v131, v146
	ds_load_b128 v[224:227], v7 offset:752
	ds_load_b128 v[232:235], v7 offset:768
	;; [unrolled: 1-line block ×4, first 2 shown]
	s_wait_loadcnt_dscnt 0x170e
	v_dual_add_f32 v9, v9, v11 :: v_dual_mul_f32 v11, v132, v149
	s_set_vgpr_msb 64                       ;  msbs: dst=1 src0=0 src1=0 src2=0
	ds_load_b128 v[0:3] /*v[256:259]*/, v7 offset:816
	ds_load_b128 v[8:11] /*v[264:267]*/, v7 offset:832
	;; [unrolled: 1-line block ×4, first 2 shown]
	s_set_vgpr_msb 0                        ;  msbs: dst=0 src0=0 src1=0 src2=0
	v_fmac_f32_e32 v11, v133, v148
	s_set_vgpr_msb 64                       ;  msbs: dst=1 src0=0 src1=0 src2=0
	ds_load_b128 v[64:67] /*v[320:323]*/, v7 offset:944
	ds_load_b128 v[16:19] /*v[272:275]*/, v7 offset:848
	;; [unrolled: 1-line block ×5, first 2 shown]
	s_set_vgpr_msb 0                        ;  msbs: dst=0 src0=0 src1=0 src2=0
	v_add_f32_e32 v9, v9, v11
	v_mul_f32_e32 v11, v134, v151
	s_set_vgpr_msb 64                       ;  msbs: dst=1 src0=0 src1=0 src2=0
	s_clause 0x3
	scratch_load_b128 v[72:75] /*v[328:331]*/, off, off offset:448
	scratch_load_b128 v[76:79] /*v[332:335]*/, off, off offset:464
	;; [unrolled: 1-line block ×3, first 2 shown]
	scratch_load_b64 v[90:91] /*v[346:347]*/, off, off offset:496
	s_set_vgpr_msb 0                        ;  msbs: dst=0 src0=0 src1=0 src2=0
	v_fmac_f32_e32 v11, v135, v150
	s_wait_loadcnt_dscnt 0x1a16
	s_delay_alu instid0(VALU_DEP_1)
	v_dual_add_f32 v9, v9, v11 :: v_dual_mul_f32 v11, v136, v153
	s_wait_loadcnt_dscnt 0x404
	s_set_vgpr_msb 0x45                     ;  msbs: dst=1 src0=1 src1=1 src2=0
	v_dual_mul_f32 v87 /*v343*/, v58 /*v314*/, v63 /*v319*/ :: v_dual_mul_f32 v89 /*v345*/, v64 /*v320*/, v69 /*v325*/
	s_set_vgpr_msb 0                        ;  msbs: dst=0 src0=0 src1=0 src2=0
	v_fmac_f32_e32 v11, v137, v152
	s_set_vgpr_msb 0x45                     ;  msbs: dst=1 src0=1 src1=1 src2=0
	s_delay_alu instid0(VALU_DEP_2) | instskip(SKIP_1) | instid1(VALU_DEP_2)
	v_dual_fmac_f32 v87 /*v343*/, v59 /*v315*/, v62 /*v318*/ :: v_dual_fmac_f32 v89 /*v345*/, v65 /*v321*/, v68 /*v324*/
	s_set_vgpr_msb 0                        ;  msbs: dst=0 src0=0 src1=0 src2=0
	v_add_f32_e32 v9, v9, v11
	v_mul_f32_e32 v11, v138, v155
	s_delay_alu instid0(VALU_DEP_1) | instskip(NEXT) | instid1(VALU_DEP_1)
	v_fmac_f32_e32 v11, v139, v154
	v_dual_add_f32 v9, v9, v11 :: v_dual_mul_f32 v11, v140, v157
	s_delay_alu instid0(VALU_DEP_1) | instskip(NEXT) | instid1(VALU_DEP_1)
	v_fmac_f32_e32 v11, v141, v156
	v_add_f32_e32 v9, v9, v11
	v_mul_f32_e32 v11, v142, v159
	s_delay_alu instid0(VALU_DEP_1) | instskip(NEXT) | instid1(VALU_DEP_1)
	v_fmac_f32_e32 v11, v143, v158
	v_dual_add_f32 v9, v9, v11 :: v_dual_mul_f32 v11, v160, v165
	s_delay_alu instid0(VALU_DEP_1) | instskip(NEXT) | instid1(VALU_DEP_1)
	v_fmac_f32_e32 v11, v161, v164
	;; [unrolled: 7-line block ×13, first 2 shown]
	v_add_f32_e32 v9, v9, v11
	v_mul_f32_e32 v11, v250, v255
	s_delay_alu instid0(VALU_DEP_1) | instskip(NEXT) | instid1(VALU_DEP_1)
	v_fmac_f32_e32 v11, v251, v254
	v_add_f32_e32 v9, v9, v11
	s_set_vgpr_msb 5                        ;  msbs: dst=0 src0=1 src1=1 src2=0
	v_mul_f32_e32 v11, v0 /*v256*/, v5 /*v261*/
	s_delay_alu instid0(VALU_DEP_1) | instskip(SKIP_1) | instid1(VALU_DEP_1)
	v_fmac_f32_e32 v11, v1 /*v257*/, v4 /*v260*/
	s_set_vgpr_msb 0                        ;  msbs: dst=0 src0=0 src1=0 src2=0
	v_add_f32_e32 v9, v9, v11
	s_set_vgpr_msb 5                        ;  msbs: dst=0 src0=1 src1=1 src2=0
	v_mul_f32_e32 v11, v2 /*v258*/, v7 /*v263*/
	s_delay_alu instid0(VALU_DEP_1) | instskip(SKIP_1) | instid1(VALU_DEP_1)
	v_fmac_f32_e32 v11, v3 /*v259*/, v6 /*v262*/
	s_set_vgpr_msb 0                        ;  msbs: dst=0 src0=0 src1=0 src2=0
	;; [unrolled: 6-line block ×4, first 2 shown]
	v_add_f32_e32 v9, v9, v11
	s_wait_dscnt 0x3
	s_set_vgpr_msb 5                        ;  msbs: dst=0 src0=1 src1=1 src2=0
	v_mul_f32_e32 v11, v16 /*v272*/, v21 /*v277*/
	s_delay_alu instid0(VALU_DEP_1) | instskip(SKIP_1) | instid1(VALU_DEP_1)
	v_fmac_f32_e32 v11, v17 /*v273*/, v20 /*v276*/
	s_set_vgpr_msb 0                        ;  msbs: dst=0 src0=0 src1=0 src2=0
	v_add_f32_e32 v9, v9, v11
	s_set_vgpr_msb 5                        ;  msbs: dst=0 src0=1 src1=1 src2=0
	v_mul_f32_e32 v11, v18 /*v274*/, v23 /*v279*/
	s_delay_alu instid0(VALU_DEP_1) | instskip(SKIP_1) | instid1(VALU_DEP_1)
	v_fmac_f32_e32 v11, v19 /*v275*/, v22 /*v278*/
	s_set_vgpr_msb 0                        ;  msbs: dst=0 src0=0 src1=0 src2=0
	v_add_f32_e32 v9, v9, v11
	s_wait_dscnt 0x2
	s_set_vgpr_msb 5                        ;  msbs: dst=0 src0=1 src1=1 src2=0
	v_mul_f32_e32 v11, v24 /*v280*/, v29 /*v285*/
	s_delay_alu instid0(VALU_DEP_1) | instskip(SKIP_1) | instid1(VALU_DEP_1)
	v_fmac_f32_e32 v11, v25 /*v281*/, v28 /*v284*/
	s_set_vgpr_msb 0                        ;  msbs: dst=0 src0=0 src1=0 src2=0
	v_add_f32_e32 v9, v9, v11
	s_set_vgpr_msb 5                        ;  msbs: dst=0 src0=1 src1=1 src2=0
	v_mul_f32_e32 v11, v26 /*v282*/, v31 /*v287*/
	s_delay_alu instid0(VALU_DEP_1) | instskip(SKIP_1) | instid1(VALU_DEP_1)
	v_fmac_f32_e32 v11, v27 /*v283*/, v30 /*v286*/
	s_set_vgpr_msb 0                        ;  msbs: dst=0 src0=0 src1=0 src2=0
	;; [unrolled: 13-line block ×4, first 2 shown]
	v_add_f32_e32 v9, v9, v11
	s_set_vgpr_msb 5                        ;  msbs: dst=0 src0=1 src1=1 src2=0
	v_mul_f32_e32 v11, v48 /*v304*/, v53 /*v309*/
	s_delay_alu instid0(VALU_DEP_1) | instskip(SKIP_1) | instid1(VALU_DEP_1)
	v_fmac_f32_e32 v11, v49 /*v305*/, v52 /*v308*/
	s_set_vgpr_msb 0                        ;  msbs: dst=0 src0=0 src1=0 src2=0
	v_add_f32_e32 v9, v9, v11
	s_set_vgpr_msb 5                        ;  msbs: dst=0 src0=1 src1=1 src2=0
	v_mul_f32_e32 v11, v50 /*v306*/, v55 /*v311*/
	s_delay_alu instid0(VALU_DEP_1) | instskip(SKIP_1) | instid1(VALU_DEP_1)
	v_fmac_f32_e32 v11, v51 /*v307*/, v54 /*v310*/
	s_set_vgpr_msb 0                        ;  msbs: dst=0 src0=0 src1=0 src2=0
	v_add_f32_e32 v9, v9, v11
	s_set_vgpr_msb 5                        ;  msbs: dst=0 src0=1 src1=1 src2=0
	v_mul_f32_e32 v11, v56 /*v312*/, v61 /*v317*/
	s_delay_alu instid0(VALU_DEP_1) | instskip(SKIP_1) | instid1(VALU_DEP_1)
	v_fmac_f32_e32 v11, v57 /*v313*/, v60 /*v316*/
	s_set_vgpr_msb 64                       ;  msbs: dst=1 src0=0 src1=0 src2=0
	v_add_f32_e32 v85 /*v341*/, v9, v11
	s_set_vgpr_msb 0                        ;  msbs: dst=0 src0=0 src1=0 src2=0
	v_dual_mul_f32 v9, v129, v145 :: v_dual_mul_f32 v11, v131, v147
	s_set_vgpr_msb 1                        ;  msbs: dst=0 src0=1 src1=0 src2=0
	v_mov_b32_e32 v145, v66 /*v322*/
	s_set_vgpr_msb 0                        ;  msbs: dst=0 src0=0 src1=0 src2=0
	s_delay_alu instid0(VALU_DEP_2) | instskip(SKIP_2) | instid1(VALU_DEP_2)
	v_dual_fma_f32 v9, v128, v144, -v9 :: v_dual_fma_f32 v11, v130, v146, -v11
	s_set_vgpr_msb 1                        ;  msbs: dst=0 src0=1 src1=0 src2=0
	v_dual_mov_b32 v144, v67 /*v323*/ :: v_dual_mov_b32 v146, v71 /*v327*/
	v_add_f32_e32 v9, 0, v9
	s_set_vgpr_msb 0                        ;  msbs: dst=0 src0=0 src1=0 src2=0
	s_delay_alu instid0(VALU_DEP_2) | instskip(NEXT) | instid1(VALU_DEP_2)
	v_pk_mul_f32 v[144:145], v[144:145], v[146:147] op_sel_hi:[1,0]
	v_add_f32_e32 v9, v9, v11
	v_mul_f32_e32 v11, v133, v149
	s_set_vgpr_msb 5                        ;  msbs: dst=0 src0=1 src1=1 src2=0
	s_delay_alu instid0(VALU_DEP_3) | instskip(SKIP_2) | instid1(VALU_DEP_1)
	v_pk_fma_f32 v[146:147], v[66:67] /*v[322:323]*/, v[70:71] /*v[326:327]*/, v[144:145] neg_lo:[0,0,1] neg_hi:[0,0,1]
	v_pk_fma_f32 v[144:145], v[66:67] /*v[322:323]*/, v[70:71] /*v[326:327]*/, v[144:145] op_sel_hi:[1,0,1]
	s_set_vgpr_msb 0                        ;  msbs: dst=0 src0=0 src1=0 src2=0
	v_dual_fma_f32 v11, v132, v148, -v11 :: v_dual_mov_b32 v147, v145
	s_delay_alu instid0(VALU_DEP_1) | instskip(SKIP_1) | instid1(VALU_DEP_1)
	v_add_f32_e32 v9, v9, v11
	v_mul_f32_e32 v11, v135, v151
	v_fma_f32 v11, v134, v150, -v11
	s_delay_alu instid0(VALU_DEP_1) | instskip(SKIP_1) | instid1(VALU_DEP_1)
	v_add_f32_e32 v9, v9, v11
	v_mul_f32_e32 v11, v137, v153
	v_fma_f32 v11, v136, v152, -v11
	;; [unrolled: 4-line block ×4, first 2 shown]
	ds_load_b128 v[128:131], v7 offset:960
	ds_load_b128 v[132:135], v7 offset:976
	;; [unrolled: 1-line block ×3, first 2 shown]
	ds_load_b64 v[140:141], v7 offset:1008
	v_add_f32_e32 v9, v9, v11
	v_mul_f32_e32 v11, v143, v159
	s_delay_alu instid0(VALU_DEP_1) | instskip(NEXT) | instid1(VALU_DEP_1)
	v_fma_f32 v11, v142, v158, -v11
	v_add_f32_e32 v9, v9, v11
	v_mul_f32_e32 v11, v161, v165
	s_wait_loadcnt_dscnt 0x303
	s_set_vgpr_msb 4                        ;  msbs: dst=0 src0=0 src1=1 src2=0
	v_pk_mul_f32 v[144:145], v[128:129], v[72:73] /*v[328:329]*/ op_sel:[1,1] op_sel_hi:[0,1]
	s_set_vgpr_msb 0                        ;  msbs: dst=0 src0=0 src1=0 src2=0
	v_fma_f32 v11, v160, v164, -v11
	s_delay_alu instid0(VALU_DEP_1) | instskip(SKIP_1) | instid1(VALU_DEP_1)
	v_add_f32_e32 v9, v9, v11
	v_mul_f32_e32 v11, v163, v167
	v_fma_f32 v11, v162, v166, -v11
	s_delay_alu instid0(VALU_DEP_1) | instskip(SKIP_1) | instid1(VALU_DEP_1)
	v_add_f32_e32 v9, v9, v11
	v_mul_f32_e32 v11, v169, v173
	;; [unrolled: 4-line block ×23, first 2 shown]
	v_fma_f32 v11, v250, v254, -v11
	s_delay_alu instid0(VALU_DEP_1) | instskip(SKIP_2) | instid1(VALU_DEP_1)
	v_add_f32_e32 v9, v9, v11
	s_set_vgpr_msb 5                        ;  msbs: dst=0 src0=1 src1=1 src2=0
	v_mul_f32_e32 v11, v1 /*v257*/, v5 /*v261*/
	v_fma_f32 v11, v0 /*v256*/, v4 /*v260*/, -v11
	s_set_vgpr_msb 0                        ;  msbs: dst=0 src0=0 src1=0 src2=0
	s_delay_alu instid0(VALU_DEP_1) | instskip(SKIP_2) | instid1(VALU_DEP_1)
	v_add_f32_e32 v9, v9, v11
	s_set_vgpr_msb 5                        ;  msbs: dst=0 src0=1 src1=1 src2=0
	v_mul_f32_e32 v11, v3 /*v259*/, v7 /*v263*/
	v_fma_f32 v11, v2 /*v258*/, v6 /*v262*/, -v11
	s_set_vgpr_msb 0                        ;  msbs: dst=0 src0=0 src1=0 src2=0
	;; [unrolled: 6-line block ×14, first 2 shown]
	s_delay_alu instid0(VALU_DEP_1) | instskip(SKIP_2) | instid1(VALU_DEP_1)
	v_add_f32_e32 v9, v9, v11
	s_set_vgpr_msb 5                        ;  msbs: dst=0 src0=1 src1=1 src2=0
	v_mul_f32_e32 v11, v57 /*v313*/, v61 /*v317*/
	v_fma_f32 v11, v56 /*v312*/, v60 /*v316*/, -v11
	s_set_vgpr_msb 64                       ;  msbs: dst=1 src0=0 src1=0 src2=0
	s_delay_alu instid0(VALU_DEP_1) | instskip(SKIP_3) | instid1(VALU_DEP_1)
	v_add_f32_e32 v84 /*v340*/, v9, v11
	s_set_vgpr_msb 5                        ;  msbs: dst=0 src0=1 src1=1 src2=0
	v_mul_f32_e32 v9, v59 /*v315*/, v63 /*v319*/
	s_set_vgpr_msb 0x45                     ;  msbs: dst=1 src0=1 src1=1 src2=0
	v_fma_f32 v86 /*v342*/, v58 /*v314*/, v62 /*v318*/, -v9
	s_set_vgpr_msb 5                        ;  msbs: dst=0 src0=1 src1=1 src2=0
	v_mul_f32_e32 v9, v65 /*v321*/, v69 /*v325*/
	s_set_vgpr_msb 0x45                     ;  msbs: dst=1 src0=1 src1=1 src2=0
	s_delay_alu instid0(VALU_DEP_1) | instskip(SKIP_3) | instid1(VALU_DEP_1)
	v_fma_f32 v88 /*v344*/, v64 /*v320*/, v68 /*v324*/, -v9
	s_set_vgpr_msb 5                        ;  msbs: dst=0 src0=1 src1=1 src2=0
	v_pk_add_f32 v[142:143], v[84:85] /*v[340:341]*/, v[86:87] /*v[342:343]*/
	s_set_vgpr_msb 4                        ;  msbs: dst=0 src0=0 src1=1 src2=0
	v_pk_add_f32 v[142:143], v[142:143], v[88:89] /*v[344:345]*/
	s_set_vgpr_msb 0                        ;  msbs: dst=0 src0=0 src1=0 src2=0
	s_delay_alu instid0(VALU_DEP_1)
	v_pk_add_f32 v[142:143], v[142:143], v[146:147]
	s_set_vgpr_msb 4                        ;  msbs: dst=0 src0=0 src1=1 src2=0
	v_pk_fma_f32 v[146:147], v[128:129], v[72:73] /*v[328:329]*/, v[144:145] neg_lo:[0,0,1] neg_hi:[0,0,1]
	v_pk_fma_f32 v[128:129], v[128:129], v[72:73] /*v[328:329]*/, v[144:145] op_sel_hi:[1,0,1]
	s_set_vgpr_msb 1                        ;  msbs: dst=0 src0=1 src1=0 src2=0
	v_mov_b32_e32 v144, v75 /*v331*/
	s_set_vgpr_msb 0                        ;  msbs: dst=0 src0=0 src1=0 src2=0
	s_delay_alu instid0(VALU_DEP_2) | instskip(NEXT) | instid1(VALU_DEP_1)
	v_mov_b32_e32 v147, v129
	v_pk_add_f32 v[128:129], v[142:143], v[146:147]
	v_dual_mov_b32 v142, v131 :: v_dual_mov_b32 v143, v130
	s_delay_alu instid0(VALU_DEP_1) | instskip(SKIP_1) | instid1(VALU_DEP_1)
	v_pk_mul_f32 v[142:143], v[142:143], v[144:145] op_sel_hi:[1,0]
	s_set_vgpr_msb 4                        ;  msbs: dst=0 src0=0 src1=1 src2=0
	v_pk_fma_f32 v[144:145], v[130:131], v[74:75] /*v[330:331]*/, v[142:143] neg_lo:[0,0,1] neg_hi:[0,0,1]
	v_pk_fma_f32 v[130:131], v[130:131], v[74:75] /*v[330:331]*/, v[142:143] op_sel_hi:[1,0,1]
	s_delay_alu instid0(VALU_DEP_1) | instskip(SKIP_3) | instid1(VALU_DEP_2)
	v_mov_b32_e32 v145, v131
	s_wait_loadcnt_dscnt 0x202
	v_pk_mul_f32 v[130:131], v[132:133], v[76:77] /*v[332:333]*/ op_sel:[1,1] op_sel_hi:[0,1]
	s_set_vgpr_msb 0                        ;  msbs: dst=0 src0=0 src1=0 src2=0
	v_pk_add_f32 v[128:129], v[128:129], v[144:145]
	s_set_vgpr_msb 4                        ;  msbs: dst=0 src0=0 src1=1 src2=0
	s_delay_alu instid0(VALU_DEP_2)
	v_pk_fma_f32 v[142:143], v[132:133], v[76:77] /*v[332:333]*/, v[130:131] neg_lo:[0,0,1] neg_hi:[0,0,1]
	v_pk_fma_f32 v[130:131], v[132:133], v[76:77] /*v[332:333]*/, v[130:131] op_sel_hi:[1,0,1]
	v_mov_b32_e32 v130, v135
	s_set_vgpr_msb 1                        ;  msbs: dst=0 src0=1 src1=0 src2=0
	v_mov_b32_e32 v132, v79 /*v335*/
	s_set_vgpr_msb 0                        ;  msbs: dst=0 src0=0 src1=0 src2=0
	v_dual_mov_b32 v143, v131 :: v_dual_mov_b32 v131, v134
	s_delay_alu instid0(VALU_DEP_1) | instskip(NEXT) | instid1(VALU_DEP_2)
	v_pk_add_f32 v[128:129], v[128:129], v[142:143]
	v_pk_mul_f32 v[130:131], v[130:131], v[132:133] op_sel_hi:[1,0]
	s_set_vgpr_msb 4                        ;  msbs: dst=0 src0=0 src1=1 src2=0
	s_delay_alu instid0(VALU_DEP_1) | instskip(SKIP_1) | instid1(VALU_DEP_1)
	v_pk_fma_f32 v[132:133], v[134:135], v[78:79] /*v[334:335]*/, v[130:131] neg_lo:[0,0,1] neg_hi:[0,0,1]
	v_pk_fma_f32 v[130:131], v[134:135], v[78:79] /*v[334:335]*/, v[130:131] op_sel_hi:[1,0,1]
	v_mov_b32_e32 v133, v131
	s_wait_loadcnt_dscnt 0x101
	v_pk_mul_f32 v[130:131], v[136:137], v[80:81] /*v[336:337]*/ op_sel:[1,1] op_sel_hi:[0,1]
	s_set_vgpr_msb 0                        ;  msbs: dst=0 src0=0 src1=0 src2=0
	s_delay_alu instid0(VALU_DEP_2) | instskip(SKIP_1) | instid1(VALU_DEP_2)
	v_pk_add_f32 v[128:129], v[128:129], v[132:133]
	s_set_vgpr_msb 4                        ;  msbs: dst=0 src0=0 src1=1 src2=0
	v_pk_fma_f32 v[132:133], v[136:137], v[80:81] /*v[336:337]*/, v[130:131] neg_lo:[0,0,1] neg_hi:[0,0,1]
	v_pk_fma_f32 v[130:131], v[136:137], v[80:81] /*v[336:337]*/, v[130:131] op_sel_hi:[1,0,1]
	s_delay_alu instid0(VALU_DEP_1) | instskip(SKIP_2) | instid1(VALU_DEP_2)
	v_dual_mov_b32 v130, v139 :: v_dual_mov_b32 v133, v131
	v_mov_b32_e32 v131, v138
	s_set_vgpr_msb 0                        ;  msbs: dst=0 src0=0 src1=0 src2=0
	v_pk_add_f32 v[128:129], v[128:129], v[132:133]
	s_set_vgpr_msb 1                        ;  msbs: dst=0 src0=1 src1=0 src2=0
	v_mov_b32_e32 v132, v83 /*v339*/
	s_set_vgpr_msb 0                        ;  msbs: dst=0 src0=0 src1=0 src2=0
	s_delay_alu instid0(VALU_DEP_1) | instskip(SKIP_1) | instid1(VALU_DEP_1)
	v_pk_mul_f32 v[130:131], v[130:131], v[132:133] op_sel_hi:[1,0]
	s_set_vgpr_msb 4                        ;  msbs: dst=0 src0=0 src1=1 src2=0
	v_pk_fma_f32 v[132:133], v[138:139], v[82:83] /*v[338:339]*/, v[130:131] neg_lo:[0,0,1] neg_hi:[0,0,1]
	v_pk_fma_f32 v[130:131], v[138:139], v[82:83] /*v[338:339]*/, v[130:131] op_sel_hi:[1,0,1]
	s_delay_alu instid0(VALU_DEP_1) | instskip(SKIP_3) | instid1(VALU_DEP_2)
	v_mov_b32_e32 v133, v131
	s_wait_loadcnt_dscnt 0x0
	v_pk_mul_f32 v[130:131], v[140:141], v[90:91] /*v[346:347]*/ op_sel:[1,1] op_sel_hi:[0,1]
	s_set_vgpr_msb 0                        ;  msbs: dst=0 src0=0 src1=0 src2=0
	v_pk_add_f32 v[128:129], v[128:129], v[132:133]
	s_set_vgpr_msb 4                        ;  msbs: dst=0 src0=0 src1=1 src2=0
	s_delay_alu instid0(VALU_DEP_2) | instskip(SKIP_1) | instid1(VALU_DEP_1)
	v_pk_fma_f32 v[132:133], v[140:141], v[90:91] /*v[346:347]*/, v[130:131] neg_lo:[0,0,1] neg_hi:[0,0,1]
	v_pk_fma_f32 v[130:131], v[140:141], v[90:91] /*v[346:347]*/, v[130:131] op_sel_hi:[1,0,1]
	v_mov_b32_e32 v133, v131
	scratch_load_b64 v[130:131], off, off offset:40
	s_set_vgpr_msb 0                        ;  msbs: dst=0 src0=0 src1=0 src2=0
	v_pk_add_f32 v[128:129], v[128:129], v[132:133]
	s_wait_loadcnt 0x0
	s_delay_alu instid0(VALU_DEP_1)
	v_pk_add_f32 v[128:129], v[130:131], v[128:129] neg_lo:[0,1] neg_hi:[0,1]
	scratch_store_b64 off, v[128:129], off offset:40
	s_wait_xcnt 0x0
	v_cmpx_lt_u32_e32 4, v0
	s_cbranch_execz .LBB126_383
; %bb.382:
	scratch_load_b64 v[128:129], off, off offset:32
	v_mov_b64_e32 v[130:131], 0
	scratch_store_b64 off, v[130:131], off offset:32
	s_wait_loadcnt 0x0
	ds_store_b64 v1, v[128:129]
.LBB126_383:
	s_wait_xcnt 0x0
	s_or_b32 exec_lo, exec_lo, s0
	s_wait_storecnt_dscnt 0x0
	s_barrier_signal -1
	s_barrier_wait -1
	s_clause 0xf
	scratch_load_b128 v[132:135], off, off offset:40
	scratch_load_b128 v[140:143], off, off offset:56
	;; [unrolled: 1-line block ×16, first 2 shown]
	ds_load_2addr_b64 v[128:131], v7 offset0:69 offset1:70
	ds_load_2addr_b64 v[136:139], v7 offset0:71 offset1:72
	s_set_vgpr_msb 64                       ;  msbs: dst=1 src0=0 src1=0 src2=0
	s_clause 0x1
	scratch_load_b128 v[4:7] /*v[260:263]*/, off, off offset:296
	scratch_load_b128 v[12:15] /*v[268:271]*/, off, off offset:312
	s_set_vgpr_msb 0                        ;  msbs: dst=0 src0=0 src1=0 src2=0
	ds_load_2addr_b64 v[144:147], v7 offset0:73 offset1:74
	ds_load_2addr_b64 v[152:155], v7 offset0:75 offset1:76
	s_set_vgpr_msb 64                       ;  msbs: dst=1 src0=0 src1=0 src2=0
	s_clause 0x1
	scratch_load_b128 v[20:23] /*v[276:279]*/, off, off offset:328
	scratch_load_b128 v[28:31] /*v[284:287]*/, off, off offset:344
	s_set_vgpr_msb 0                        ;  msbs: dst=0 src0=0 src1=0 src2=0
	;; [unrolled: 7-line block ×4, first 2 shown]
	ds_load_2addr_b64 v[192:195], v7 offset0:85 offset1:86
	ds_load_2addr_b64 v[200:203], v7 offset0:87 offset1:88
	;; [unrolled: 1-line block ×8, first 2 shown]
	s_set_vgpr_msb 64                       ;  msbs: dst=1 src0=0 src1=0 src2=0
	ds_load_2addr_b64 v[0:3] /*v[256:259]*/, v7 offset0:101 offset1:102
	ds_load_2addr_b64 v[8:11] /*v[264:267]*/, v7 offset0:103 offset1:104
	;; [unrolled: 1-line block ×3, first 2 shown]
	scratch_load_b128 v[68:71] /*v[324:327]*/, off, off offset:424
	ds_load_2addr_b64 v[16:19] /*v[272:275]*/, v7 offset0:105 offset1:106
	ds_load_2addr_b64 v[24:27] /*v[280:283]*/, v7 offset0:107 offset1:108
	;; [unrolled: 1-line block ×6, first 2 shown]
	s_clause 0x3
	scratch_load_b128 v[72:75] /*v[328:331]*/, off, off offset:440
	scratch_load_b128 v[76:79] /*v[332:335]*/, off, off offset:456
	;; [unrolled: 1-line block ×4, first 2 shown]
	s_mov_b32 s0, exec_lo
	s_wait_loadcnt_dscnt 0x1c18
	s_set_vgpr_msb 0                        ;  msbs: dst=0 src0=0 src1=0 src2=0
	v_dual_mul_f32 v9, v128, v133 :: v_dual_mul_f32 v11, v130, v135
	s_delay_alu instid0(VALU_DEP_1) | instskip(NEXT) | instid1(VALU_DEP_1)
	v_dual_fmac_f32 v9, v129, v132 :: v_dual_fmac_f32 v11, v131, v134
	v_add_f32_e32 v9, 0, v9
	s_wait_loadcnt_dscnt 0x1b17
	s_delay_alu instid0(VALU_DEP_1) | instskip(NEXT) | instid1(VALU_DEP_1)
	v_dual_add_f32 v9, v9, v11 :: v_dual_mul_f32 v11, v136, v141
	v_fmac_f32_e32 v11, v137, v140
	s_delay_alu instid0(VALU_DEP_1) | instskip(SKIP_1) | instid1(VALU_DEP_1)
	v_add_f32_e32 v9, v9, v11
	v_mul_f32_e32 v11, v138, v143
	v_fmac_f32_e32 v11, v139, v142
	s_wait_loadcnt_dscnt 0x1a16
	s_delay_alu instid0(VALU_DEP_1) | instskip(NEXT) | instid1(VALU_DEP_1)
	v_dual_add_f32 v9, v9, v11 :: v_dual_mul_f32 v11, v144, v149
	v_fmac_f32_e32 v11, v145, v148
	s_wait_loadcnt_dscnt 0x406
	s_set_vgpr_msb 0x45                     ;  msbs: dst=1 src0=1 src1=1 src2=0
	v_dual_mul_f32 v91 /*v347*/, v64 /*v320*/, v69 /*v325*/ :: v_dual_mul_f32 v93 /*v349*/, v66 /*v322*/, v71 /*v327*/
	s_set_vgpr_msb 0                        ;  msbs: dst=0 src0=0 src1=0 src2=0
	v_add_f32_e32 v9, v9, v11
	v_mul_f32_e32 v11, v146, v151
	s_set_vgpr_msb 0x45                     ;  msbs: dst=1 src0=1 src1=1 src2=0
	v_dual_fmac_f32 v91 /*v347*/, v65 /*v321*/, v68 /*v324*/ :: v_dual_fmac_f32 v93 /*v349*/, v67 /*v323*/, v70 /*v326*/
	s_set_vgpr_msb 0                        ;  msbs: dst=0 src0=0 src1=0 src2=0
	s_delay_alu instid0(VALU_DEP_2) | instskip(NEXT) | instid1(VALU_DEP_1)
	v_fmac_f32_e32 v11, v147, v150
	v_dual_add_f32 v9, v9, v11 :: v_dual_mul_f32 v11, v152, v157
	s_delay_alu instid0(VALU_DEP_1) | instskip(NEXT) | instid1(VALU_DEP_1)
	v_fmac_f32_e32 v11, v153, v156
	v_add_f32_e32 v9, v9, v11
	v_mul_f32_e32 v11, v154, v159
	s_delay_alu instid0(VALU_DEP_1) | instskip(NEXT) | instid1(VALU_DEP_1)
	v_fmac_f32_e32 v11, v155, v158
	v_dual_add_f32 v9, v9, v11 :: v_dual_mul_f32 v11, v160, v165
	s_delay_alu instid0(VALU_DEP_1) | instskip(NEXT) | instid1(VALU_DEP_1)
	v_fmac_f32_e32 v11, v161, v164
	v_add_f32_e32 v9, v9, v11
	v_mul_f32_e32 v11, v162, v167
	s_delay_alu instid0(VALU_DEP_1) | instskip(NEXT) | instid1(VALU_DEP_1)
	;; [unrolled: 7-line block ×13, first 2 shown]
	v_fmac_f32_e32 v11, v251, v254
	v_add_f32_e32 v9, v9, v11
	s_set_vgpr_msb 5                        ;  msbs: dst=0 src0=1 src1=1 src2=0
	v_mul_f32_e32 v11, v0 /*v256*/, v5 /*v261*/
	s_delay_alu instid0(VALU_DEP_1) | instskip(SKIP_1) | instid1(VALU_DEP_1)
	v_fmac_f32_e32 v11, v1 /*v257*/, v4 /*v260*/
	s_set_vgpr_msb 0                        ;  msbs: dst=0 src0=0 src1=0 src2=0
	v_add_f32_e32 v9, v9, v11
	s_set_vgpr_msb 5                        ;  msbs: dst=0 src0=1 src1=1 src2=0
	v_mul_f32_e32 v11, v2 /*v258*/, v7 /*v263*/
	s_delay_alu instid0(VALU_DEP_1) | instskip(SKIP_1) | instid1(VALU_DEP_1)
	v_fmac_f32_e32 v11, v3 /*v259*/, v6 /*v262*/
	s_set_vgpr_msb 0                        ;  msbs: dst=0 src0=0 src1=0 src2=0
	;; [unrolled: 6-line block ×4, first 2 shown]
	v_add_f32_e32 v9, v9, v11
	s_wait_dscnt 0x5
	s_set_vgpr_msb 5                        ;  msbs: dst=0 src0=1 src1=1 src2=0
	v_mul_f32_e32 v11, v16 /*v272*/, v21 /*v277*/
	s_delay_alu instid0(VALU_DEP_1) | instskip(SKIP_1) | instid1(VALU_DEP_1)
	v_fmac_f32_e32 v11, v17 /*v273*/, v20 /*v276*/
	s_set_vgpr_msb 0                        ;  msbs: dst=0 src0=0 src1=0 src2=0
	v_add_f32_e32 v9, v9, v11
	s_set_vgpr_msb 5                        ;  msbs: dst=0 src0=1 src1=1 src2=0
	v_mul_f32_e32 v11, v18 /*v274*/, v23 /*v279*/
	s_delay_alu instid0(VALU_DEP_1) | instskip(SKIP_1) | instid1(VALU_DEP_1)
	v_fmac_f32_e32 v11, v19 /*v275*/, v22 /*v278*/
	s_set_vgpr_msb 0                        ;  msbs: dst=0 src0=0 src1=0 src2=0
	v_add_f32_e32 v9, v9, v11
	s_wait_dscnt 0x4
	s_set_vgpr_msb 5                        ;  msbs: dst=0 src0=1 src1=1 src2=0
	v_mul_f32_e32 v11, v24 /*v280*/, v29 /*v285*/
	s_delay_alu instid0(VALU_DEP_1) | instskip(SKIP_1) | instid1(VALU_DEP_1)
	v_fmac_f32_e32 v11, v25 /*v281*/, v28 /*v284*/
	s_set_vgpr_msb 0                        ;  msbs: dst=0 src0=0 src1=0 src2=0
	v_add_f32_e32 v9, v9, v11
	s_set_vgpr_msb 5                        ;  msbs: dst=0 src0=1 src1=1 src2=0
	v_mul_f32_e32 v11, v26 /*v282*/, v31 /*v287*/
	s_delay_alu instid0(VALU_DEP_1) | instskip(SKIP_1) | instid1(VALU_DEP_1)
	v_fmac_f32_e32 v11, v27 /*v283*/, v30 /*v286*/
	s_set_vgpr_msb 0                        ;  msbs: dst=0 src0=0 src1=0 src2=0
	v_add_f32_e32 v9, v9, v11
	s_wait_dscnt 0x3
	s_set_vgpr_msb 5                        ;  msbs: dst=0 src0=1 src1=1 src2=0
	v_mul_f32_e32 v11, v32 /*v288*/, v37 /*v293*/
	s_delay_alu instid0(VALU_DEP_1) | instskip(SKIP_1) | instid1(VALU_DEP_1)
	v_fmac_f32_e32 v11, v33 /*v289*/, v36 /*v292*/
	s_set_vgpr_msb 0                        ;  msbs: dst=0 src0=0 src1=0 src2=0
	v_add_f32_e32 v9, v9, v11
	s_set_vgpr_msb 5                        ;  msbs: dst=0 src0=1 src1=1 src2=0
	v_mul_f32_e32 v11, v34 /*v290*/, v39 /*v295*/
	s_delay_alu instid0(VALU_DEP_1) | instskip(SKIP_1) | instid1(VALU_DEP_1)
	v_fmac_f32_e32 v11, v35 /*v291*/, v38 /*v294*/
	s_set_vgpr_msb 0                        ;  msbs: dst=0 src0=0 src1=0 src2=0
	v_add_f32_e32 v9, v9, v11
	s_wait_dscnt 0x2
	s_set_vgpr_msb 5                        ;  msbs: dst=0 src0=1 src1=1 src2=0
	v_mul_f32_e32 v11, v40 /*v296*/, v45 /*v301*/
	s_delay_alu instid0(VALU_DEP_1) | instskip(SKIP_1) | instid1(VALU_DEP_1)
	v_fmac_f32_e32 v11, v41 /*v297*/, v44 /*v300*/
	s_set_vgpr_msb 0                        ;  msbs: dst=0 src0=0 src1=0 src2=0
	v_add_f32_e32 v9, v9, v11
	s_set_vgpr_msb 5                        ;  msbs: dst=0 src0=1 src1=1 src2=0
	v_mul_f32_e32 v11, v42 /*v298*/, v47 /*v303*/
	s_delay_alu instid0(VALU_DEP_1) | instskip(SKIP_1) | instid1(VALU_DEP_1)
	v_fmac_f32_e32 v11, v43 /*v299*/, v46 /*v302*/
	s_set_vgpr_msb 0                        ;  msbs: dst=0 src0=0 src1=0 src2=0
	v_add_f32_e32 v9, v9, v11
	s_wait_dscnt 0x1
	s_set_vgpr_msb 5                        ;  msbs: dst=0 src0=1 src1=1 src2=0
	v_mul_f32_e32 v11, v48 /*v304*/, v53 /*v309*/
	s_delay_alu instid0(VALU_DEP_1) | instskip(SKIP_1) | instid1(VALU_DEP_1)
	v_fmac_f32_e32 v11, v49 /*v305*/, v52 /*v308*/
	s_set_vgpr_msb 0                        ;  msbs: dst=0 src0=0 src1=0 src2=0
	v_add_f32_e32 v9, v9, v11
	s_set_vgpr_msb 5                        ;  msbs: dst=0 src0=1 src1=1 src2=0
	v_mul_f32_e32 v11, v50 /*v306*/, v55 /*v311*/
	s_delay_alu instid0(VALU_DEP_1) | instskip(SKIP_1) | instid1(VALU_DEP_1)
	v_fmac_f32_e32 v11, v51 /*v307*/, v54 /*v310*/
	s_set_vgpr_msb 0                        ;  msbs: dst=0 src0=0 src1=0 src2=0
	v_add_f32_e32 v9, v9, v11
	s_wait_dscnt 0x0
	s_set_vgpr_msb 5                        ;  msbs: dst=0 src0=1 src1=1 src2=0
	v_mul_f32_e32 v11, v56 /*v312*/, v61 /*v317*/
	s_delay_alu instid0(VALU_DEP_1) | instskip(SKIP_1) | instid1(VALU_DEP_1)
	v_fmac_f32_e32 v11, v57 /*v313*/, v60 /*v316*/
	s_set_vgpr_msb 0                        ;  msbs: dst=0 src0=0 src1=0 src2=0
	v_add_f32_e32 v9, v9, v11
	s_set_vgpr_msb 5                        ;  msbs: dst=0 src0=1 src1=1 src2=0
	v_mul_f32_e32 v11, v58 /*v314*/, v63 /*v319*/
	s_delay_alu instid0(VALU_DEP_1) | instskip(SKIP_1) | instid1(VALU_DEP_1)
	v_fmac_f32_e32 v11, v59 /*v315*/, v62 /*v318*/
	s_set_vgpr_msb 64                       ;  msbs: dst=1 src0=0 src1=0 src2=0
	v_add_f32_e32 v89 /*v345*/, v9, v11
	s_set_vgpr_msb 0                        ;  msbs: dst=0 src0=0 src1=0 src2=0
	v_dual_mul_f32 v9, v129, v133 :: v_dual_mul_f32 v11, v131, v135
	s_delay_alu instid0(VALU_DEP_1) | instskip(NEXT) | instid1(VALU_DEP_1)
	v_dual_fma_f32 v9, v128, v132, -v9 :: v_dual_fma_f32 v11, v130, v134, -v11
	v_add_f32_e32 v9, 0, v9
	s_delay_alu instid0(VALU_DEP_1) | instskip(SKIP_1) | instid1(VALU_DEP_1)
	v_add_f32_e32 v9, v9, v11
	v_mul_f32_e32 v11, v137, v141
	v_fma_f32 v11, v136, v140, -v11
	s_delay_alu instid0(VALU_DEP_1) | instskip(SKIP_1) | instid1(VALU_DEP_1)
	v_add_f32_e32 v9, v9, v11
	v_mul_f32_e32 v11, v139, v143
	v_fma_f32 v11, v138, v142, -v11
	ds_load_2addr_b64 v[128:131], v7 offset0:119 offset1:120
	ds_load_2addr_b64 v[132:135], v7 offset0:121 offset1:122
	;; [unrolled: 1-line block ×4, first 2 shown]
	v_add_f32_e32 v9, v9, v11
	v_mul_f32_e32 v11, v145, v149
	s_delay_alu instid0(VALU_DEP_1) | instskip(NEXT) | instid1(VALU_DEP_1)
	v_fma_f32 v11, v144, v148, -v11
	v_add_f32_e32 v9, v9, v11
	v_mul_f32_e32 v11, v147, v151
	s_delay_alu instid0(VALU_DEP_1)
	v_fma_f32 v11, v146, v150, -v11
	s_wait_loadcnt_dscnt 0x303
	s_set_vgpr_msb 4                        ;  msbs: dst=0 src0=0 src1=1 src2=0
	v_pk_mul_f32 v[146:147], v[128:129], v[72:73] /*v[328:329]*/ op_sel:[1,1] op_sel_hi:[0,1]
	s_set_vgpr_msb 0                        ;  msbs: dst=0 src0=0 src1=0 src2=0
	v_add_f32_e32 v9, v9, v11
	v_mul_f32_e32 v11, v153, v157
	s_set_vgpr_msb 4                        ;  msbs: dst=0 src0=0 src1=1 src2=0
	v_pk_fma_f32 v[148:149], v[128:129], v[72:73] /*v[328:329]*/, v[146:147] neg_lo:[0,0,1] neg_hi:[0,0,1]
	v_pk_fma_f32 v[128:129], v[128:129], v[72:73] /*v[328:329]*/, v[146:147] op_sel_hi:[1,0,1]
	s_set_vgpr_msb 1                        ;  msbs: dst=0 src0=1 src1=0 src2=0
	v_mov_b32_e32 v146, v75 /*v331*/
	s_set_vgpr_msb 0                        ;  msbs: dst=0 src0=0 src1=0 src2=0
	s_delay_alu instid0(VALU_DEP_2) | instskip(NEXT) | instid1(VALU_DEP_1)
	v_dual_fma_f32 v11, v152, v156, -v11 :: v_dual_mov_b32 v149, v129
	v_add_f32_e32 v9, v9, v11
	v_mul_f32_e32 v11, v155, v159
	s_delay_alu instid0(VALU_DEP_1) | instskip(NEXT) | instid1(VALU_DEP_1)
	v_fma_f32 v11, v154, v158, -v11
	v_add_f32_e32 v9, v9, v11
	v_mul_f32_e32 v11, v161, v165
	s_delay_alu instid0(VALU_DEP_1) | instskip(NEXT) | instid1(VALU_DEP_1)
	v_fma_f32 v11, v160, v164, -v11
	v_add_f32_e32 v9, v9, v11
	v_mul_f32_e32 v11, v163, v167
	s_delay_alu instid0(VALU_DEP_1) | instskip(NEXT) | instid1(VALU_DEP_1)
	v_fma_f32 v11, v162, v166, -v11
	v_add_f32_e32 v9, v9, v11
	v_mul_f32_e32 v11, v169, v173
	s_delay_alu instid0(VALU_DEP_1) | instskip(NEXT) | instid1(VALU_DEP_1)
	v_fma_f32 v11, v168, v172, -v11
	v_add_f32_e32 v9, v9, v11
	v_mul_f32_e32 v11, v171, v175
	s_delay_alu instid0(VALU_DEP_1) | instskip(NEXT) | instid1(VALU_DEP_1)
	v_fma_f32 v11, v170, v174, -v11
	v_add_f32_e32 v9, v9, v11
	v_mul_f32_e32 v11, v177, v181
	s_delay_alu instid0(VALU_DEP_1) | instskip(NEXT) | instid1(VALU_DEP_1)
	v_fma_f32 v11, v176, v180, -v11
	v_add_f32_e32 v9, v9, v11
	v_mul_f32_e32 v11, v179, v183
	s_delay_alu instid0(VALU_DEP_1) | instskip(NEXT) | instid1(VALU_DEP_1)
	v_fma_f32 v11, v178, v182, -v11
	v_add_f32_e32 v9, v9, v11
	v_mul_f32_e32 v11, v185, v189
	s_delay_alu instid0(VALU_DEP_1) | instskip(NEXT) | instid1(VALU_DEP_1)
	v_fma_f32 v11, v184, v188, -v11
	v_add_f32_e32 v9, v9, v11
	v_mul_f32_e32 v11, v187, v191
	s_delay_alu instid0(VALU_DEP_1) | instskip(NEXT) | instid1(VALU_DEP_1)
	v_fma_f32 v11, v186, v190, -v11
	v_add_f32_e32 v9, v9, v11
	v_mul_f32_e32 v11, v193, v197
	s_delay_alu instid0(VALU_DEP_1) | instskip(NEXT) | instid1(VALU_DEP_1)
	v_fma_f32 v11, v192, v196, -v11
	v_add_f32_e32 v9, v9, v11
	v_mul_f32_e32 v11, v195, v199
	s_delay_alu instid0(VALU_DEP_1) | instskip(NEXT) | instid1(VALU_DEP_1)
	v_fma_f32 v11, v194, v198, -v11
	v_add_f32_e32 v9, v9, v11
	v_mul_f32_e32 v11, v201, v205
	s_delay_alu instid0(VALU_DEP_1) | instskip(NEXT) | instid1(VALU_DEP_1)
	v_fma_f32 v11, v200, v204, -v11
	v_add_f32_e32 v9, v9, v11
	v_mul_f32_e32 v11, v203, v207
	s_delay_alu instid0(VALU_DEP_1) | instskip(NEXT) | instid1(VALU_DEP_1)
	v_fma_f32 v11, v202, v206, -v11
	v_add_f32_e32 v9, v9, v11
	v_mul_f32_e32 v11, v209, v213
	s_delay_alu instid0(VALU_DEP_1) | instskip(NEXT) | instid1(VALU_DEP_1)
	v_fma_f32 v11, v208, v212, -v11
	v_add_f32_e32 v9, v9, v11
	v_mul_f32_e32 v11, v211, v215
	s_delay_alu instid0(VALU_DEP_1) | instskip(NEXT) | instid1(VALU_DEP_1)
	v_fma_f32 v11, v210, v214, -v11
	v_add_f32_e32 v9, v9, v11
	v_mul_f32_e32 v11, v217, v221
	s_delay_alu instid0(VALU_DEP_1) | instskip(NEXT) | instid1(VALU_DEP_1)
	v_fma_f32 v11, v216, v220, -v11
	v_add_f32_e32 v9, v9, v11
	v_mul_f32_e32 v11, v219, v223
	s_delay_alu instid0(VALU_DEP_1) | instskip(NEXT) | instid1(VALU_DEP_1)
	v_fma_f32 v11, v218, v222, -v11
	v_add_f32_e32 v9, v9, v11
	v_mul_f32_e32 v11, v225, v229
	s_delay_alu instid0(VALU_DEP_1) | instskip(NEXT) | instid1(VALU_DEP_1)
	v_fma_f32 v11, v224, v228, -v11
	v_add_f32_e32 v9, v9, v11
	v_mul_f32_e32 v11, v227, v231
	s_delay_alu instid0(VALU_DEP_1) | instskip(NEXT) | instid1(VALU_DEP_1)
	v_fma_f32 v11, v226, v230, -v11
	v_add_f32_e32 v9, v9, v11
	v_mul_f32_e32 v11, v233, v237
	s_delay_alu instid0(VALU_DEP_1) | instskip(NEXT) | instid1(VALU_DEP_1)
	v_fma_f32 v11, v232, v236, -v11
	v_add_f32_e32 v9, v9, v11
	v_mul_f32_e32 v11, v235, v239
	s_delay_alu instid0(VALU_DEP_1) | instskip(NEXT) | instid1(VALU_DEP_1)
	v_fma_f32 v11, v234, v238, -v11
	v_add_f32_e32 v9, v9, v11
	v_mul_f32_e32 v11, v241, v245
	s_delay_alu instid0(VALU_DEP_1) | instskip(NEXT) | instid1(VALU_DEP_1)
	v_fma_f32 v11, v240, v244, -v11
	v_add_f32_e32 v9, v9, v11
	v_mul_f32_e32 v11, v243, v247
	s_delay_alu instid0(VALU_DEP_1) | instskip(NEXT) | instid1(VALU_DEP_1)
	v_fma_f32 v11, v242, v246, -v11
	v_add_f32_e32 v9, v9, v11
	v_mul_f32_e32 v11, v249, v253
	s_delay_alu instid0(VALU_DEP_1) | instskip(NEXT) | instid1(VALU_DEP_1)
	v_fma_f32 v11, v248, v252, -v11
	v_add_f32_e32 v9, v9, v11
	v_mul_f32_e32 v11, v251, v255
	s_delay_alu instid0(VALU_DEP_1) | instskip(NEXT) | instid1(VALU_DEP_1)
	v_fma_f32 v11, v250, v254, -v11
	v_add_f32_e32 v9, v9, v11
	s_set_vgpr_msb 5                        ;  msbs: dst=0 src0=1 src1=1 src2=0
	v_mul_f32_e32 v11, v1 /*v257*/, v5 /*v261*/
	s_delay_alu instid0(VALU_DEP_1) | instskip(SKIP_1) | instid1(VALU_DEP_1)
	v_fma_f32 v11, v0 /*v256*/, v4 /*v260*/, -v11
	s_set_vgpr_msb 0                        ;  msbs: dst=0 src0=0 src1=0 src2=0
	v_add_f32_e32 v9, v9, v11
	s_set_vgpr_msb 5                        ;  msbs: dst=0 src0=1 src1=1 src2=0
	v_mul_f32_e32 v11, v3 /*v259*/, v7 /*v263*/
	s_delay_alu instid0(VALU_DEP_1) | instskip(SKIP_1) | instid1(VALU_DEP_1)
	v_fma_f32 v11, v2 /*v258*/, v6 /*v262*/, -v11
	s_set_vgpr_msb 0                        ;  msbs: dst=0 src0=0 src1=0 src2=0
	;; [unrolled: 6-line block ×15, first 2 shown]
	v_add_f32_e32 v9, v9, v11
	s_set_vgpr_msb 5                        ;  msbs: dst=0 src0=1 src1=1 src2=0
	v_mul_f32_e32 v11, v59 /*v315*/, v63 /*v319*/
	s_delay_alu instid0(VALU_DEP_1) | instskip(SKIP_1) | instid1(VALU_DEP_1)
	v_fma_f32 v11, v58 /*v314*/, v62 /*v318*/, -v11
	s_set_vgpr_msb 64                       ;  msbs: dst=1 src0=0 src1=0 src2=0
	v_add_f32_e32 v88 /*v344*/, v9, v11
	s_set_vgpr_msb 5                        ;  msbs: dst=0 src0=1 src1=1 src2=0
	v_mul_f32_e32 v9, v65 /*v321*/, v69 /*v325*/
	s_set_vgpr_msb 0x45                     ;  msbs: dst=1 src0=1 src1=1 src2=0
	s_delay_alu instid0(VALU_DEP_1) | instskip(SKIP_3) | instid1(VALU_DEP_1)
	v_fma_f32 v90 /*v346*/, v64 /*v320*/, v68 /*v324*/, -v9
	s_set_vgpr_msb 5                        ;  msbs: dst=0 src0=1 src1=1 src2=0
	v_mul_f32_e32 v9, v67 /*v323*/, v71 /*v327*/
	s_set_vgpr_msb 0x45                     ;  msbs: dst=1 src0=1 src1=1 src2=0
	v_fma_f32 v92 /*v348*/, v66 /*v322*/, v70 /*v326*/, -v9
	s_set_vgpr_msb 5                        ;  msbs: dst=0 src0=1 src1=1 src2=0
	v_pk_add_f32 v[144:145], v[88:89] /*v[344:345]*/, v[90:91] /*v[346:347]*/
	s_set_vgpr_msb 4                        ;  msbs: dst=0 src0=0 src1=1 src2=0
	s_delay_alu instid0(VALU_DEP_1) | instskip(SKIP_1) | instid1(VALU_DEP_1)
	v_pk_add_f32 v[144:145], v[144:145], v[92:93] /*v[348:349]*/
	s_set_vgpr_msb 0                        ;  msbs: dst=0 src0=0 src1=0 src2=0
	v_pk_add_f32 v[128:129], v[144:145], v[148:149]
	v_dual_mov_b32 v144, v131 :: v_dual_mov_b32 v145, v130
	s_delay_alu instid0(VALU_DEP_1) | instskip(SKIP_1) | instid1(VALU_DEP_1)
	v_pk_mul_f32 v[144:145], v[144:145], v[146:147] op_sel_hi:[1,0]
	s_set_vgpr_msb 4                        ;  msbs: dst=0 src0=0 src1=1 src2=0
	v_pk_fma_f32 v[146:147], v[130:131], v[74:75] /*v[330:331]*/, v[144:145] neg_lo:[0,0,1] neg_hi:[0,0,1]
	v_pk_fma_f32 v[130:131], v[130:131], v[74:75] /*v[330:331]*/, v[144:145] op_sel_hi:[1,0,1]
	s_delay_alu instid0(VALU_DEP_1) | instskip(SKIP_3) | instid1(VALU_DEP_2)
	v_mov_b32_e32 v147, v131
	s_wait_loadcnt_dscnt 0x202
	v_pk_mul_f32 v[130:131], v[132:133], v[76:77] /*v[332:333]*/ op_sel:[1,1] op_sel_hi:[0,1]
	s_set_vgpr_msb 0                        ;  msbs: dst=0 src0=0 src1=0 src2=0
	v_pk_add_f32 v[128:129], v[128:129], v[146:147]
	s_set_vgpr_msb 4                        ;  msbs: dst=0 src0=0 src1=1 src2=0
	s_delay_alu instid0(VALU_DEP_2)
	v_pk_fma_f32 v[144:145], v[132:133], v[76:77] /*v[332:333]*/, v[130:131] neg_lo:[0,0,1] neg_hi:[0,0,1]
	v_pk_fma_f32 v[130:131], v[132:133], v[76:77] /*v[332:333]*/, v[130:131] op_sel_hi:[1,0,1]
	v_mov_b32_e32 v130, v135
	s_set_vgpr_msb 1                        ;  msbs: dst=0 src0=1 src1=0 src2=0
	v_mov_b32_e32 v132, v79 /*v335*/
	s_set_vgpr_msb 0                        ;  msbs: dst=0 src0=0 src1=0 src2=0
	v_dual_mov_b32 v145, v131 :: v_dual_mov_b32 v131, v134
	s_delay_alu instid0(VALU_DEP_1) | instskip(NEXT) | instid1(VALU_DEP_2)
	v_pk_add_f32 v[128:129], v[128:129], v[144:145]
	v_pk_mul_f32 v[130:131], v[130:131], v[132:133] op_sel_hi:[1,0]
	s_set_vgpr_msb 4                        ;  msbs: dst=0 src0=0 src1=1 src2=0
	s_delay_alu instid0(VALU_DEP_1) | instskip(SKIP_1) | instid1(VALU_DEP_1)
	v_pk_fma_f32 v[132:133], v[134:135], v[78:79] /*v[334:335]*/, v[130:131] neg_lo:[0,0,1] neg_hi:[0,0,1]
	v_pk_fma_f32 v[130:131], v[134:135], v[78:79] /*v[334:335]*/, v[130:131] op_sel_hi:[1,0,1]
	v_mov_b32_e32 v133, v131
	s_wait_loadcnt_dscnt 0x101
	v_pk_mul_f32 v[130:131], v[136:137], v[80:81] /*v[336:337]*/ op_sel:[1,1] op_sel_hi:[0,1]
	s_set_vgpr_msb 0                        ;  msbs: dst=0 src0=0 src1=0 src2=0
	s_delay_alu instid0(VALU_DEP_2) | instskip(SKIP_1) | instid1(VALU_DEP_2)
	v_pk_add_f32 v[128:129], v[128:129], v[132:133]
	s_set_vgpr_msb 4                        ;  msbs: dst=0 src0=0 src1=1 src2=0
	v_pk_fma_f32 v[132:133], v[136:137], v[80:81] /*v[336:337]*/, v[130:131] neg_lo:[0,0,1] neg_hi:[0,0,1]
	v_pk_fma_f32 v[130:131], v[136:137], v[80:81] /*v[336:337]*/, v[130:131] op_sel_hi:[1,0,1]
	s_delay_alu instid0(VALU_DEP_1) | instskip(SKIP_2) | instid1(VALU_DEP_2)
	v_dual_mov_b32 v130, v139 :: v_dual_mov_b32 v133, v131
	v_mov_b32_e32 v131, v138
	s_set_vgpr_msb 0                        ;  msbs: dst=0 src0=0 src1=0 src2=0
	v_pk_add_f32 v[128:129], v[128:129], v[132:133]
	s_set_vgpr_msb 1                        ;  msbs: dst=0 src0=1 src1=0 src2=0
	v_mov_b32_e32 v132, v83 /*v339*/
	s_set_vgpr_msb 0                        ;  msbs: dst=0 src0=0 src1=0 src2=0
	s_delay_alu instid0(VALU_DEP_1) | instskip(SKIP_1) | instid1(VALU_DEP_1)
	v_pk_mul_f32 v[130:131], v[130:131], v[132:133] op_sel_hi:[1,0]
	s_set_vgpr_msb 4                        ;  msbs: dst=0 src0=0 src1=1 src2=0
	v_pk_fma_f32 v[132:133], v[138:139], v[82:83] /*v[338:339]*/, v[130:131] neg_lo:[0,0,1] neg_hi:[0,0,1]
	v_pk_fma_f32 v[130:131], v[138:139], v[82:83] /*v[338:339]*/, v[130:131] op_sel_hi:[1,0,1]
	s_delay_alu instid0(VALU_DEP_1) | instskip(SKIP_3) | instid1(VALU_DEP_2)
	v_mov_b32_e32 v133, v131
	s_wait_loadcnt_dscnt 0x0
	v_pk_mul_f32 v[130:131], v[140:141], v[84:85] /*v[340:341]*/ op_sel:[1,1] op_sel_hi:[0,1]
	s_set_vgpr_msb 0                        ;  msbs: dst=0 src0=0 src1=0 src2=0
	v_pk_add_f32 v[128:129], v[128:129], v[132:133]
	s_set_vgpr_msb 4                        ;  msbs: dst=0 src0=0 src1=1 src2=0
	s_delay_alu instid0(VALU_DEP_2) | instskip(SKIP_1) | instid1(VALU_DEP_1)
	v_pk_fma_f32 v[132:133], v[140:141], v[84:85] /*v[340:341]*/, v[130:131] neg_lo:[0,0,1] neg_hi:[0,0,1]
	v_pk_fma_f32 v[130:131], v[140:141], v[84:85] /*v[340:341]*/, v[130:131] op_sel_hi:[1,0,1]
	v_dual_mov_b32 v130, v143 :: v_dual_mov_b32 v133, v131
	v_mov_b32_e32 v131, v142
	s_set_vgpr_msb 0                        ;  msbs: dst=0 src0=0 src1=0 src2=0
	s_delay_alu instid0(VALU_DEP_2) | instskip(SKIP_3) | instid1(VALU_DEP_1)
	v_pk_add_f32 v[128:129], v[128:129], v[132:133]
	s_set_vgpr_msb 1                        ;  msbs: dst=0 src0=1 src1=0 src2=0
	v_mov_b32_e32 v132, v87 /*v343*/
	s_set_vgpr_msb 0                        ;  msbs: dst=0 src0=0 src1=0 src2=0
	v_pk_mul_f32 v[130:131], v[130:131], v[132:133] op_sel_hi:[1,0]
	s_set_vgpr_msb 4                        ;  msbs: dst=0 src0=0 src1=1 src2=0
	s_delay_alu instid0(VALU_DEP_1) | instskip(SKIP_1) | instid1(VALU_DEP_1)
	v_pk_fma_f32 v[132:133], v[142:143], v[86:87] /*v[342:343]*/, v[130:131] neg_lo:[0,0,1] neg_hi:[0,0,1]
	v_pk_fma_f32 v[130:131], v[142:143], v[86:87] /*v[342:343]*/, v[130:131] op_sel_hi:[1,0,1]
	v_mov_b32_e32 v133, v131
	scratch_load_b64 v[130:131], off, off offset:32
	s_set_vgpr_msb 0                        ;  msbs: dst=0 src0=0 src1=0 src2=0
	v_pk_add_f32 v[128:129], v[128:129], v[132:133]
	s_wait_loadcnt 0x0
	s_delay_alu instid0(VALU_DEP_1)
	v_pk_add_f32 v[128:129], v[130:131], v[128:129] neg_lo:[0,1] neg_hi:[0,1]
	scratch_store_b64 off, v[128:129], off offset:32
	s_wait_xcnt 0x0
	v_cmpx_lt_u32_e32 3, v0
	s_cbranch_execz .LBB126_385
; %bb.384:
	scratch_load_b64 v[128:129], off, off offset:24
	v_mov_b64_e32 v[130:131], 0
	scratch_store_b64 off, v[130:131], off offset:24
	s_wait_loadcnt 0x0
	ds_store_b64 v1, v[128:129]
.LBB126_385:
	s_wait_xcnt 0x0
	s_or_b32 exec_lo, exec_lo, s0
	v_mov_b32_e32 v7, 0
	s_wait_storecnt_dscnt 0x0
	s_barrier_signal -1
	s_barrier_wait -1
	ds_load_b128 v[128:131], v7 offset:544
	ds_load_b128 v[132:135], v7 offset:560
	;; [unrolled: 1-line block ×4, first 2 shown]
	s_clause 0x1a
	scratch_load_b128 v[144:147], off, off offset:32
	scratch_load_b128 v[148:151], off, off offset:48
	scratch_load_b128 v[152:155], off, off offset:64
	scratch_load_b128 v[156:159], off, off offset:80
	scratch_load_b128 v[164:167], off, off offset:96
	scratch_load_b128 v[172:175], off, off offset:112
	scratch_load_b128 v[180:183], off, off offset:128
	scratch_load_b128 v[188:191], off, off offset:144
	scratch_load_b128 v[196:199], off, off offset:160
	scratch_load_b128 v[204:207], off, off offset:176
	scratch_load_b128 v[212:215], off, off offset:192
	scratch_load_b128 v[220:223], off, off offset:208
	scratch_load_b128 v[228:231], off, off offset:224
	scratch_load_b128 v[236:239], off, off offset:240
	scratch_load_b128 v[244:247], off, off offset:256
	scratch_load_b128 v[252:255], off, off offset:272
	s_set_vgpr_msb 64                       ;  msbs: dst=1 src0=0 src1=0 src2=0
	scratch_load_b128 v[4:7] /*v[260:263]*/, off, off offset:288
	scratch_load_b128 v[12:15] /*v[268:271]*/, off, off offset:304
	;; [unrolled: 1-line block ×10, first 2 shown]
	s_mov_b32 s0, exec_lo
	s_wait_loadcnt_dscnt 0x1903
	s_set_vgpr_msb 0                        ;  msbs: dst=0 src0=0 src1=0 src2=0
	v_mul_f32_e32 v9, v128, v145
	ds_load_b128 v[160:163], v7 offset:608
	ds_load_b128 v[168:171], v7 offset:624
	;; [unrolled: 1-line block ×4, first 2 shown]
	v_dual_fmac_f32 v9, v129, v144 :: v_dual_mul_f32 v11, v130, v147
	ds_load_b128 v[192:195], v7 offset:672
	ds_load_b128 v[200:203], v7 offset:688
	;; [unrolled: 1-line block ×4, first 2 shown]
	v_dual_add_f32 v9, 0, v9 :: v_dual_fmac_f32 v11, v131, v146
	ds_load_b128 v[224:227], v7 offset:736
	ds_load_b128 v[232:235], v7 offset:752
	;; [unrolled: 1-line block ×4, first 2 shown]
	s_wait_loadcnt_dscnt 0x180e
	v_dual_add_f32 v9, v9, v11 :: v_dual_mul_f32 v11, v132, v149
	s_set_vgpr_msb 64                       ;  msbs: dst=1 src0=0 src1=0 src2=0
	ds_load_b128 v[0:3] /*v[256:259]*/, v7 offset:800
	ds_load_b128 v[8:11] /*v[264:267]*/, v7 offset:816
	;; [unrolled: 1-line block ×4, first 2 shown]
	s_set_vgpr_msb 0                        ;  msbs: dst=0 src0=0 src1=0 src2=0
	v_fmac_f32_e32 v11, v133, v148
	s_set_vgpr_msb 64                       ;  msbs: dst=1 src0=0 src1=0 src2=0
	ds_load_b128 v[16:19] /*v[272:275]*/, v7 offset:832
	ds_load_b128 v[24:27] /*v[280:283]*/, v7 offset:848
	;; [unrolled: 1-line block ×4, first 2 shown]
	s_set_vgpr_msb 0                        ;  msbs: dst=0 src0=0 src1=0 src2=0
	v_add_f32_e32 v9, v9, v11
	v_mul_f32_e32 v11, v134, v151
	s_set_vgpr_msb 64                       ;  msbs: dst=1 src0=0 src1=0 src2=0
	ds_load_b128 v[48:51] /*v[304:307]*/, v7 offset:896
	ds_load_b128 v[56:59] /*v[312:315]*/, v7 offset:912
	s_clause 0x3
	scratch_load_b128 v[80:83] /*v[336:339]*/, off, off offset:448
	scratch_load_b128 v[84:87] /*v[340:343]*/, off, off offset:464
	;; [unrolled: 1-line block ×3, first 2 shown]
	scratch_load_b64 v[98:99] /*v[354:355]*/, off, off offset:496
	s_set_vgpr_msb 0                        ;  msbs: dst=0 src0=0 src1=0 src2=0
	v_fmac_f32_e32 v11, v135, v150
	s_wait_loadcnt_dscnt 0x1b17
	s_delay_alu instid0(VALU_DEP_1)
	v_dual_add_f32 v9, v9, v11 :: v_dual_mul_f32 v11, v136, v153
	s_wait_loadcnt_dscnt 0x406
	s_set_vgpr_msb 0x45                     ;  msbs: dst=1 src0=1 src1=1 src2=0
	v_dual_mul_f32 v95 /*v351*/, v66 /*v322*/, v71 /*v327*/ :: v_dual_mul_f32 v97 /*v353*/, v72 /*v328*/, v77 /*v333*/
	s_set_vgpr_msb 0                        ;  msbs: dst=0 src0=0 src1=0 src2=0
	v_fmac_f32_e32 v11, v137, v152
	s_set_vgpr_msb 0x45                     ;  msbs: dst=1 src0=1 src1=1 src2=0
	s_delay_alu instid0(VALU_DEP_2) | instskip(SKIP_1) | instid1(VALU_DEP_2)
	v_dual_fmac_f32 v95 /*v351*/, v67 /*v323*/, v70 /*v326*/ :: v_dual_fmac_f32 v97 /*v353*/, v73 /*v329*/, v76 /*v332*/
	s_set_vgpr_msb 0                        ;  msbs: dst=0 src0=0 src1=0 src2=0
	v_add_f32_e32 v9, v9, v11
	v_mul_f32_e32 v11, v138, v155
	s_delay_alu instid0(VALU_DEP_1) | instskip(NEXT) | instid1(VALU_DEP_1)
	v_fmac_f32_e32 v11, v139, v154
	v_dual_add_f32 v9, v9, v11 :: v_dual_mul_f32 v11, v140, v157
	s_delay_alu instid0(VALU_DEP_1) | instskip(NEXT) | instid1(VALU_DEP_1)
	v_fmac_f32_e32 v11, v141, v156
	v_add_f32_e32 v9, v9, v11
	v_mul_f32_e32 v11, v142, v159
	s_delay_alu instid0(VALU_DEP_1) | instskip(NEXT) | instid1(VALU_DEP_1)
	v_fmac_f32_e32 v11, v143, v158
	v_dual_add_f32 v9, v9, v11 :: v_dual_mul_f32 v11, v160, v165
	s_delay_alu instid0(VALU_DEP_1) | instskip(NEXT) | instid1(VALU_DEP_1)
	v_fmac_f32_e32 v11, v161, v164
	v_add_f32_e32 v9, v9, v11
	v_mul_f32_e32 v11, v162, v167
	s_delay_alu instid0(VALU_DEP_1) | instskip(NEXT) | instid1(VALU_DEP_1)
	v_fmac_f32_e32 v11, v163, v166
	v_dual_add_f32 v9, v9, v11 :: v_dual_mul_f32 v11, v168, v173
	s_delay_alu instid0(VALU_DEP_1) | instskip(NEXT) | instid1(VALU_DEP_1)
	v_fmac_f32_e32 v11, v169, v172
	v_add_f32_e32 v9, v9, v11
	v_mul_f32_e32 v11, v170, v175
	s_delay_alu instid0(VALU_DEP_1) | instskip(NEXT) | instid1(VALU_DEP_1)
	v_fmac_f32_e32 v11, v171, v174
	v_dual_add_f32 v9, v9, v11 :: v_dual_mul_f32 v11, v176, v181
	s_delay_alu instid0(VALU_DEP_1) | instskip(NEXT) | instid1(VALU_DEP_1)
	v_fmac_f32_e32 v11, v177, v180
	v_add_f32_e32 v9, v9, v11
	v_mul_f32_e32 v11, v178, v183
	s_delay_alu instid0(VALU_DEP_1) | instskip(NEXT) | instid1(VALU_DEP_1)
	v_fmac_f32_e32 v11, v179, v182
	v_dual_add_f32 v9, v9, v11 :: v_dual_mul_f32 v11, v184, v189
	s_delay_alu instid0(VALU_DEP_1) | instskip(NEXT) | instid1(VALU_DEP_1)
	v_fmac_f32_e32 v11, v185, v188
	v_add_f32_e32 v9, v9, v11
	v_mul_f32_e32 v11, v186, v191
	s_delay_alu instid0(VALU_DEP_1) | instskip(NEXT) | instid1(VALU_DEP_1)
	v_fmac_f32_e32 v11, v187, v190
	v_dual_add_f32 v9, v9, v11 :: v_dual_mul_f32 v11, v192, v197
	s_delay_alu instid0(VALU_DEP_1) | instskip(NEXT) | instid1(VALU_DEP_1)
	v_fmac_f32_e32 v11, v193, v196
	v_add_f32_e32 v9, v9, v11
	v_mul_f32_e32 v11, v194, v199
	s_delay_alu instid0(VALU_DEP_1) | instskip(NEXT) | instid1(VALU_DEP_1)
	v_fmac_f32_e32 v11, v195, v198
	v_dual_add_f32 v9, v9, v11 :: v_dual_mul_f32 v11, v200, v205
	s_delay_alu instid0(VALU_DEP_1) | instskip(NEXT) | instid1(VALU_DEP_1)
	v_fmac_f32_e32 v11, v201, v204
	v_add_f32_e32 v9, v9, v11
	v_mul_f32_e32 v11, v202, v207
	s_delay_alu instid0(VALU_DEP_1) | instskip(NEXT) | instid1(VALU_DEP_1)
	v_fmac_f32_e32 v11, v203, v206
	v_dual_add_f32 v9, v9, v11 :: v_dual_mul_f32 v11, v208, v213
	s_delay_alu instid0(VALU_DEP_1) | instskip(NEXT) | instid1(VALU_DEP_1)
	v_fmac_f32_e32 v11, v209, v212
	v_add_f32_e32 v9, v9, v11
	v_mul_f32_e32 v11, v210, v215
	s_delay_alu instid0(VALU_DEP_1) | instskip(NEXT) | instid1(VALU_DEP_1)
	v_fmac_f32_e32 v11, v211, v214
	v_dual_add_f32 v9, v9, v11 :: v_dual_mul_f32 v11, v216, v221
	s_delay_alu instid0(VALU_DEP_1) | instskip(NEXT) | instid1(VALU_DEP_1)
	v_fmac_f32_e32 v11, v217, v220
	v_add_f32_e32 v9, v9, v11
	v_mul_f32_e32 v11, v218, v223
	s_delay_alu instid0(VALU_DEP_1) | instskip(NEXT) | instid1(VALU_DEP_1)
	v_fmac_f32_e32 v11, v219, v222
	v_dual_add_f32 v9, v9, v11 :: v_dual_mul_f32 v11, v224, v229
	s_delay_alu instid0(VALU_DEP_1) | instskip(NEXT) | instid1(VALU_DEP_1)
	v_fmac_f32_e32 v11, v225, v228
	v_add_f32_e32 v9, v9, v11
	v_mul_f32_e32 v11, v226, v231
	s_delay_alu instid0(VALU_DEP_1) | instskip(NEXT) | instid1(VALU_DEP_1)
	v_fmac_f32_e32 v11, v227, v230
	v_dual_add_f32 v9, v9, v11 :: v_dual_mul_f32 v11, v232, v237
	s_delay_alu instid0(VALU_DEP_1) | instskip(NEXT) | instid1(VALU_DEP_1)
	v_fmac_f32_e32 v11, v233, v236
	v_add_f32_e32 v9, v9, v11
	v_mul_f32_e32 v11, v234, v239
	s_delay_alu instid0(VALU_DEP_1) | instskip(NEXT) | instid1(VALU_DEP_1)
	v_fmac_f32_e32 v11, v235, v238
	v_dual_add_f32 v9, v9, v11 :: v_dual_mul_f32 v11, v240, v245
	s_delay_alu instid0(VALU_DEP_1) | instskip(NEXT) | instid1(VALU_DEP_1)
	v_fmac_f32_e32 v11, v241, v244
	v_add_f32_e32 v9, v9, v11
	v_mul_f32_e32 v11, v242, v247
	s_delay_alu instid0(VALU_DEP_1) | instskip(NEXT) | instid1(VALU_DEP_1)
	v_fmac_f32_e32 v11, v243, v246
	v_dual_add_f32 v9, v9, v11 :: v_dual_mul_f32 v11, v248, v253
	s_delay_alu instid0(VALU_DEP_1) | instskip(NEXT) | instid1(VALU_DEP_1)
	v_fmac_f32_e32 v11, v249, v252
	v_add_f32_e32 v9, v9, v11
	v_mul_f32_e32 v11, v250, v255
	s_delay_alu instid0(VALU_DEP_1) | instskip(NEXT) | instid1(VALU_DEP_1)
	v_fmac_f32_e32 v11, v251, v254
	v_add_f32_e32 v9, v9, v11
	s_set_vgpr_msb 5                        ;  msbs: dst=0 src0=1 src1=1 src2=0
	v_mul_f32_e32 v11, v0 /*v256*/, v5 /*v261*/
	s_delay_alu instid0(VALU_DEP_1) | instskip(SKIP_1) | instid1(VALU_DEP_1)
	v_fmac_f32_e32 v11, v1 /*v257*/, v4 /*v260*/
	s_set_vgpr_msb 0                        ;  msbs: dst=0 src0=0 src1=0 src2=0
	v_add_f32_e32 v9, v9, v11
	s_set_vgpr_msb 5                        ;  msbs: dst=0 src0=1 src1=1 src2=0
	v_mul_f32_e32 v11, v2 /*v258*/, v7 /*v263*/
	s_delay_alu instid0(VALU_DEP_1) | instskip(SKIP_1) | instid1(VALU_DEP_1)
	v_fmac_f32_e32 v11, v3 /*v259*/, v6 /*v262*/
	s_set_vgpr_msb 0                        ;  msbs: dst=0 src0=0 src1=0 src2=0
	;; [unrolled: 6-line block ×4, first 2 shown]
	v_add_f32_e32 v9, v9, v11
	s_wait_dscnt 0x5
	s_set_vgpr_msb 5                        ;  msbs: dst=0 src0=1 src1=1 src2=0
	v_mul_f32_e32 v11, v16 /*v272*/, v21 /*v277*/
	s_delay_alu instid0(VALU_DEP_1) | instskip(SKIP_1) | instid1(VALU_DEP_1)
	v_fmac_f32_e32 v11, v17 /*v273*/, v20 /*v276*/
	s_set_vgpr_msb 0                        ;  msbs: dst=0 src0=0 src1=0 src2=0
	v_add_f32_e32 v9, v9, v11
	s_set_vgpr_msb 5                        ;  msbs: dst=0 src0=1 src1=1 src2=0
	v_mul_f32_e32 v11, v18 /*v274*/, v23 /*v279*/
	s_delay_alu instid0(VALU_DEP_1) | instskip(SKIP_1) | instid1(VALU_DEP_1)
	v_fmac_f32_e32 v11, v19 /*v275*/, v22 /*v278*/
	s_set_vgpr_msb 0                        ;  msbs: dst=0 src0=0 src1=0 src2=0
	v_add_f32_e32 v9, v9, v11
	s_wait_dscnt 0x4
	s_set_vgpr_msb 5                        ;  msbs: dst=0 src0=1 src1=1 src2=0
	v_mul_f32_e32 v11, v24 /*v280*/, v29 /*v285*/
	s_delay_alu instid0(VALU_DEP_1) | instskip(SKIP_1) | instid1(VALU_DEP_1)
	v_fmac_f32_e32 v11, v25 /*v281*/, v28 /*v284*/
	s_set_vgpr_msb 0                        ;  msbs: dst=0 src0=0 src1=0 src2=0
	v_add_f32_e32 v9, v9, v11
	s_set_vgpr_msb 5                        ;  msbs: dst=0 src0=1 src1=1 src2=0
	v_mul_f32_e32 v11, v26 /*v282*/, v31 /*v287*/
	s_delay_alu instid0(VALU_DEP_1) | instskip(SKIP_1) | instid1(VALU_DEP_1)
	v_fmac_f32_e32 v11, v27 /*v283*/, v30 /*v286*/
	s_set_vgpr_msb 0                        ;  msbs: dst=0 src0=0 src1=0 src2=0
	;; [unrolled: 13-line block ×6, first 2 shown]
	v_add_f32_e32 v9, v9, v11
	s_set_vgpr_msb 5                        ;  msbs: dst=0 src0=1 src1=1 src2=0
	v_mul_f32_e32 v11, v64 /*v320*/, v69 /*v325*/
	s_delay_alu instid0(VALU_DEP_1) | instskip(SKIP_1) | instid1(VALU_DEP_1)
	v_fmac_f32_e32 v11, v65 /*v321*/, v68 /*v324*/
	s_set_vgpr_msb 64                       ;  msbs: dst=1 src0=0 src1=0 src2=0
	v_add_f32_e32 v93 /*v349*/, v9, v11
	s_set_vgpr_msb 0                        ;  msbs: dst=0 src0=0 src1=0 src2=0
	v_dual_mul_f32 v9, v129, v145 :: v_dual_mul_f32 v11, v131, v147
	s_set_vgpr_msb 1                        ;  msbs: dst=0 src0=1 src1=0 src2=0
	v_mov_b32_e32 v145, v74 /*v330*/
	s_set_vgpr_msb 0                        ;  msbs: dst=0 src0=0 src1=0 src2=0
	s_delay_alu instid0(VALU_DEP_2) | instskip(SKIP_2) | instid1(VALU_DEP_2)
	v_dual_fma_f32 v9, v128, v144, -v9 :: v_dual_fma_f32 v11, v130, v146, -v11
	s_set_vgpr_msb 1                        ;  msbs: dst=0 src0=1 src1=0 src2=0
	v_dual_mov_b32 v144, v75 /*v331*/ :: v_dual_mov_b32 v146, v79 /*v335*/
	v_add_f32_e32 v9, 0, v9
	s_set_vgpr_msb 0                        ;  msbs: dst=0 src0=0 src1=0 src2=0
	s_delay_alu instid0(VALU_DEP_2) | instskip(NEXT) | instid1(VALU_DEP_2)
	v_pk_mul_f32 v[144:145], v[144:145], v[146:147] op_sel_hi:[1,0]
	v_add_f32_e32 v9, v9, v11
	v_mul_f32_e32 v11, v133, v149
	s_set_vgpr_msb 5                        ;  msbs: dst=0 src0=1 src1=1 src2=0
	s_delay_alu instid0(VALU_DEP_3) | instskip(SKIP_2) | instid1(VALU_DEP_1)
	v_pk_fma_f32 v[146:147], v[74:75] /*v[330:331]*/, v[78:79] /*v[334:335]*/, v[144:145] neg_lo:[0,0,1] neg_hi:[0,0,1]
	v_pk_fma_f32 v[144:145], v[74:75] /*v[330:331]*/, v[78:79] /*v[334:335]*/, v[144:145] op_sel_hi:[1,0,1]
	s_set_vgpr_msb 0                        ;  msbs: dst=0 src0=0 src1=0 src2=0
	v_dual_fma_f32 v11, v132, v148, -v11 :: v_dual_mov_b32 v147, v145
	s_delay_alu instid0(VALU_DEP_1) | instskip(SKIP_1) | instid1(VALU_DEP_1)
	v_add_f32_e32 v9, v9, v11
	v_mul_f32_e32 v11, v135, v151
	v_fma_f32 v11, v134, v150, -v11
	s_delay_alu instid0(VALU_DEP_1) | instskip(SKIP_1) | instid1(VALU_DEP_1)
	v_add_f32_e32 v9, v9, v11
	v_mul_f32_e32 v11, v137, v153
	v_fma_f32 v11, v136, v152, -v11
	;; [unrolled: 4-line block ×4, first 2 shown]
	ds_load_b128 v[128:131], v7 offset:960
	ds_load_b128 v[132:135], v7 offset:976
	;; [unrolled: 1-line block ×3, first 2 shown]
	ds_load_b64 v[140:141], v7 offset:1008
	v_add_f32_e32 v9, v9, v11
	v_mul_f32_e32 v11, v143, v159
	s_delay_alu instid0(VALU_DEP_1) | instskip(NEXT) | instid1(VALU_DEP_1)
	v_fma_f32 v11, v142, v158, -v11
	v_add_f32_e32 v9, v9, v11
	v_mul_f32_e32 v11, v161, v165
	s_wait_loadcnt_dscnt 0x303
	s_set_vgpr_msb 4                        ;  msbs: dst=0 src0=0 src1=1 src2=0
	v_pk_mul_f32 v[144:145], v[128:129], v[80:81] /*v[336:337]*/ op_sel:[1,1] op_sel_hi:[0,1]
	s_set_vgpr_msb 0                        ;  msbs: dst=0 src0=0 src1=0 src2=0
	v_fma_f32 v11, v160, v164, -v11
	s_delay_alu instid0(VALU_DEP_1) | instskip(SKIP_1) | instid1(VALU_DEP_1)
	v_add_f32_e32 v9, v9, v11
	v_mul_f32_e32 v11, v163, v167
	v_fma_f32 v11, v162, v166, -v11
	s_delay_alu instid0(VALU_DEP_1) | instskip(SKIP_1) | instid1(VALU_DEP_1)
	v_add_f32_e32 v9, v9, v11
	v_mul_f32_e32 v11, v169, v173
	;; [unrolled: 4-line block ×23, first 2 shown]
	v_fma_f32 v11, v250, v254, -v11
	s_delay_alu instid0(VALU_DEP_1) | instskip(SKIP_2) | instid1(VALU_DEP_1)
	v_add_f32_e32 v9, v9, v11
	s_set_vgpr_msb 5                        ;  msbs: dst=0 src0=1 src1=1 src2=0
	v_mul_f32_e32 v11, v1 /*v257*/, v5 /*v261*/
	v_fma_f32 v11, v0 /*v256*/, v4 /*v260*/, -v11
	s_set_vgpr_msb 0                        ;  msbs: dst=0 src0=0 src1=0 src2=0
	s_delay_alu instid0(VALU_DEP_1) | instskip(SKIP_2) | instid1(VALU_DEP_1)
	v_add_f32_e32 v9, v9, v11
	s_set_vgpr_msb 5                        ;  msbs: dst=0 src0=1 src1=1 src2=0
	v_mul_f32_e32 v11, v3 /*v259*/, v7 /*v263*/
	v_fma_f32 v11, v2 /*v258*/, v6 /*v262*/, -v11
	s_set_vgpr_msb 0                        ;  msbs: dst=0 src0=0 src1=0 src2=0
	;; [unrolled: 6-line block ×16, first 2 shown]
	s_delay_alu instid0(VALU_DEP_1) | instskip(SKIP_2) | instid1(VALU_DEP_1)
	v_add_f32_e32 v9, v9, v11
	s_set_vgpr_msb 5                        ;  msbs: dst=0 src0=1 src1=1 src2=0
	v_mul_f32_e32 v11, v65 /*v321*/, v69 /*v325*/
	v_fma_f32 v11, v64 /*v320*/, v68 /*v324*/, -v11
	s_set_vgpr_msb 64                       ;  msbs: dst=1 src0=0 src1=0 src2=0
	s_delay_alu instid0(VALU_DEP_1) | instskip(SKIP_3) | instid1(VALU_DEP_1)
	v_add_f32_e32 v92 /*v348*/, v9, v11
	s_set_vgpr_msb 5                        ;  msbs: dst=0 src0=1 src1=1 src2=0
	v_mul_f32_e32 v9, v67 /*v323*/, v71 /*v327*/
	s_set_vgpr_msb 0x45                     ;  msbs: dst=1 src0=1 src1=1 src2=0
	v_fma_f32 v94 /*v350*/, v66 /*v322*/, v70 /*v326*/, -v9
	s_set_vgpr_msb 5                        ;  msbs: dst=0 src0=1 src1=1 src2=0
	v_mul_f32_e32 v9, v73 /*v329*/, v77 /*v333*/
	s_set_vgpr_msb 0x45                     ;  msbs: dst=1 src0=1 src1=1 src2=0
	s_delay_alu instid0(VALU_DEP_1) | instskip(SKIP_3) | instid1(VALU_DEP_1)
	v_fma_f32 v96 /*v352*/, v72 /*v328*/, v76 /*v332*/, -v9
	s_set_vgpr_msb 5                        ;  msbs: dst=0 src0=1 src1=1 src2=0
	v_pk_add_f32 v[142:143], v[92:93] /*v[348:349]*/, v[94:95] /*v[350:351]*/
	s_set_vgpr_msb 4                        ;  msbs: dst=0 src0=0 src1=1 src2=0
	v_pk_add_f32 v[142:143], v[142:143], v[96:97] /*v[352:353]*/
	s_set_vgpr_msb 0                        ;  msbs: dst=0 src0=0 src1=0 src2=0
	s_delay_alu instid0(VALU_DEP_1)
	v_pk_add_f32 v[142:143], v[142:143], v[146:147]
	s_set_vgpr_msb 4                        ;  msbs: dst=0 src0=0 src1=1 src2=0
	v_pk_fma_f32 v[146:147], v[128:129], v[80:81] /*v[336:337]*/, v[144:145] neg_lo:[0,0,1] neg_hi:[0,0,1]
	v_pk_fma_f32 v[128:129], v[128:129], v[80:81] /*v[336:337]*/, v[144:145] op_sel_hi:[1,0,1]
	s_set_vgpr_msb 1                        ;  msbs: dst=0 src0=1 src1=0 src2=0
	v_mov_b32_e32 v144, v83 /*v339*/
	s_set_vgpr_msb 0                        ;  msbs: dst=0 src0=0 src1=0 src2=0
	s_delay_alu instid0(VALU_DEP_2) | instskip(NEXT) | instid1(VALU_DEP_1)
	v_mov_b32_e32 v147, v129
	v_pk_add_f32 v[128:129], v[142:143], v[146:147]
	v_dual_mov_b32 v142, v131 :: v_dual_mov_b32 v143, v130
	s_delay_alu instid0(VALU_DEP_1) | instskip(SKIP_1) | instid1(VALU_DEP_1)
	v_pk_mul_f32 v[142:143], v[142:143], v[144:145] op_sel_hi:[1,0]
	s_set_vgpr_msb 4                        ;  msbs: dst=0 src0=0 src1=1 src2=0
	v_pk_fma_f32 v[144:145], v[130:131], v[82:83] /*v[338:339]*/, v[142:143] neg_lo:[0,0,1] neg_hi:[0,0,1]
	v_pk_fma_f32 v[130:131], v[130:131], v[82:83] /*v[338:339]*/, v[142:143] op_sel_hi:[1,0,1]
	s_delay_alu instid0(VALU_DEP_1) | instskip(SKIP_3) | instid1(VALU_DEP_2)
	v_mov_b32_e32 v145, v131
	s_wait_loadcnt_dscnt 0x202
	v_pk_mul_f32 v[130:131], v[132:133], v[84:85] /*v[340:341]*/ op_sel:[1,1] op_sel_hi:[0,1]
	s_set_vgpr_msb 0                        ;  msbs: dst=0 src0=0 src1=0 src2=0
	v_pk_add_f32 v[128:129], v[128:129], v[144:145]
	s_set_vgpr_msb 4                        ;  msbs: dst=0 src0=0 src1=1 src2=0
	s_delay_alu instid0(VALU_DEP_2)
	v_pk_fma_f32 v[142:143], v[132:133], v[84:85] /*v[340:341]*/, v[130:131] neg_lo:[0,0,1] neg_hi:[0,0,1]
	v_pk_fma_f32 v[130:131], v[132:133], v[84:85] /*v[340:341]*/, v[130:131] op_sel_hi:[1,0,1]
	v_mov_b32_e32 v130, v135
	s_set_vgpr_msb 1                        ;  msbs: dst=0 src0=1 src1=0 src2=0
	v_mov_b32_e32 v132, v87 /*v343*/
	s_set_vgpr_msb 0                        ;  msbs: dst=0 src0=0 src1=0 src2=0
	v_dual_mov_b32 v143, v131 :: v_dual_mov_b32 v131, v134
	s_delay_alu instid0(VALU_DEP_1) | instskip(NEXT) | instid1(VALU_DEP_2)
	v_pk_add_f32 v[128:129], v[128:129], v[142:143]
	v_pk_mul_f32 v[130:131], v[130:131], v[132:133] op_sel_hi:[1,0]
	s_set_vgpr_msb 4                        ;  msbs: dst=0 src0=0 src1=1 src2=0
	s_delay_alu instid0(VALU_DEP_1) | instskip(SKIP_1) | instid1(VALU_DEP_1)
	v_pk_fma_f32 v[132:133], v[134:135], v[86:87] /*v[342:343]*/, v[130:131] neg_lo:[0,0,1] neg_hi:[0,0,1]
	v_pk_fma_f32 v[130:131], v[134:135], v[86:87] /*v[342:343]*/, v[130:131] op_sel_hi:[1,0,1]
	v_mov_b32_e32 v133, v131
	s_wait_loadcnt_dscnt 0x101
	v_pk_mul_f32 v[130:131], v[136:137], v[88:89] /*v[344:345]*/ op_sel:[1,1] op_sel_hi:[0,1]
	s_set_vgpr_msb 0                        ;  msbs: dst=0 src0=0 src1=0 src2=0
	s_delay_alu instid0(VALU_DEP_2) | instskip(SKIP_1) | instid1(VALU_DEP_2)
	v_pk_add_f32 v[128:129], v[128:129], v[132:133]
	s_set_vgpr_msb 4                        ;  msbs: dst=0 src0=0 src1=1 src2=0
	v_pk_fma_f32 v[132:133], v[136:137], v[88:89] /*v[344:345]*/, v[130:131] neg_lo:[0,0,1] neg_hi:[0,0,1]
	v_pk_fma_f32 v[130:131], v[136:137], v[88:89] /*v[344:345]*/, v[130:131] op_sel_hi:[1,0,1]
	s_delay_alu instid0(VALU_DEP_1) | instskip(SKIP_2) | instid1(VALU_DEP_2)
	v_dual_mov_b32 v130, v139 :: v_dual_mov_b32 v133, v131
	v_mov_b32_e32 v131, v138
	s_set_vgpr_msb 0                        ;  msbs: dst=0 src0=0 src1=0 src2=0
	v_pk_add_f32 v[128:129], v[128:129], v[132:133]
	s_set_vgpr_msb 1                        ;  msbs: dst=0 src0=1 src1=0 src2=0
	v_mov_b32_e32 v132, v91 /*v347*/
	s_set_vgpr_msb 0                        ;  msbs: dst=0 src0=0 src1=0 src2=0
	s_delay_alu instid0(VALU_DEP_1) | instskip(SKIP_1) | instid1(VALU_DEP_1)
	v_pk_mul_f32 v[130:131], v[130:131], v[132:133] op_sel_hi:[1,0]
	s_set_vgpr_msb 4                        ;  msbs: dst=0 src0=0 src1=1 src2=0
	v_pk_fma_f32 v[132:133], v[138:139], v[90:91] /*v[346:347]*/, v[130:131] neg_lo:[0,0,1] neg_hi:[0,0,1]
	v_pk_fma_f32 v[130:131], v[138:139], v[90:91] /*v[346:347]*/, v[130:131] op_sel_hi:[1,0,1]
	s_delay_alu instid0(VALU_DEP_1) | instskip(SKIP_3) | instid1(VALU_DEP_2)
	v_mov_b32_e32 v133, v131
	s_wait_loadcnt_dscnt 0x0
	v_pk_mul_f32 v[130:131], v[140:141], v[98:99] /*v[354:355]*/ op_sel:[1,1] op_sel_hi:[0,1]
	s_set_vgpr_msb 0                        ;  msbs: dst=0 src0=0 src1=0 src2=0
	v_pk_add_f32 v[128:129], v[128:129], v[132:133]
	s_set_vgpr_msb 4                        ;  msbs: dst=0 src0=0 src1=1 src2=0
	s_delay_alu instid0(VALU_DEP_2) | instskip(SKIP_1) | instid1(VALU_DEP_1)
	v_pk_fma_f32 v[132:133], v[140:141], v[98:99] /*v[354:355]*/, v[130:131] neg_lo:[0,0,1] neg_hi:[0,0,1]
	v_pk_fma_f32 v[130:131], v[140:141], v[98:99] /*v[354:355]*/, v[130:131] op_sel_hi:[1,0,1]
	v_mov_b32_e32 v133, v131
	scratch_load_b64 v[130:131], off, off offset:24
	s_set_vgpr_msb 0                        ;  msbs: dst=0 src0=0 src1=0 src2=0
	v_pk_add_f32 v[128:129], v[128:129], v[132:133]
	s_wait_loadcnt 0x0
	s_delay_alu instid0(VALU_DEP_1)
	v_pk_add_f32 v[128:129], v[130:131], v[128:129] neg_lo:[0,1] neg_hi:[0,1]
	scratch_store_b64 off, v[128:129], off offset:24
	s_wait_xcnt 0x0
	v_cmpx_lt_u32_e32 2, v0
	s_cbranch_execz .LBB126_387
; %bb.386:
	scratch_load_b64 v[128:129], off, off offset:16
	v_mov_b64_e32 v[130:131], 0
	scratch_store_b64 off, v[130:131], off offset:16
	s_wait_loadcnt 0x0
	ds_store_b64 v1, v[128:129]
.LBB126_387:
	s_wait_xcnt 0x0
	s_or_b32 exec_lo, exec_lo, s0
	s_wait_storecnt_dscnt 0x0
	s_barrier_signal -1
	s_barrier_wait -1
	s_clause 0xf
	scratch_load_b128 v[132:135], off, off offset:24
	scratch_load_b128 v[140:143], off, off offset:40
	;; [unrolled: 1-line block ×16, first 2 shown]
	ds_load_2addr_b64 v[128:131], v7 offset0:67 offset1:68
	ds_load_2addr_b64 v[136:139], v7 offset0:69 offset1:70
	s_set_vgpr_msb 64                       ;  msbs: dst=1 src0=0 src1=0 src2=0
	s_clause 0x1
	scratch_load_b128 v[4:7] /*v[260:263]*/, off, off offset:280
	scratch_load_b128 v[12:15] /*v[268:271]*/, off, off offset:296
	s_set_vgpr_msb 0                        ;  msbs: dst=0 src0=0 src1=0 src2=0
	ds_load_2addr_b64 v[144:147], v7 offset0:71 offset1:72
	ds_load_2addr_b64 v[152:155], v7 offset0:73 offset1:74
	s_set_vgpr_msb 64                       ;  msbs: dst=1 src0=0 src1=0 src2=0
	s_clause 0x1
	scratch_load_b128 v[20:23] /*v[276:279]*/, off, off offset:312
	scratch_load_b128 v[28:31] /*v[284:287]*/, off, off offset:328
	s_set_vgpr_msb 0                        ;  msbs: dst=0 src0=0 src1=0 src2=0
	;; [unrolled: 7-line block ×5, first 2 shown]
	ds_load_2addr_b64 v[208:211], v7 offset0:87 offset1:88
	ds_load_2addr_b64 v[216:219], v7 offset0:89 offset1:90
	;; [unrolled: 1-line block ×6, first 2 shown]
	s_set_vgpr_msb 64                       ;  msbs: dst=1 src0=0 src1=0 src2=0
	ds_load_2addr_b64 v[0:3] /*v[256:259]*/, v7 offset0:99 offset1:100
	ds_load_2addr_b64 v[8:11] /*v[264:267]*/, v7 offset0:101 offset1:102
	;; [unrolled: 1-line block ×10, first 2 shown]
	s_clause 0x3
	scratch_load_b128 v[80:83] /*v[336:339]*/, off, off offset:440
	scratch_load_b128 v[84:87] /*v[340:343]*/, off, off offset:456
	;; [unrolled: 1-line block ×4, first 2 shown]
	s_mov_b32 s0, exec_lo
	s_wait_loadcnt_dscnt 0x1d19
	s_set_vgpr_msb 0                        ;  msbs: dst=0 src0=0 src1=0 src2=0
	v_dual_mul_f32 v9, v128, v133 :: v_dual_mul_f32 v11, v130, v135
	s_delay_alu instid0(VALU_DEP_1) | instskip(NEXT) | instid1(VALU_DEP_1)
	v_dual_fmac_f32 v9, v129, v132 :: v_dual_fmac_f32 v11, v131, v134
	v_add_f32_e32 v9, 0, v9
	s_wait_loadcnt_dscnt 0x1c18
	s_delay_alu instid0(VALU_DEP_1) | instskip(NEXT) | instid1(VALU_DEP_1)
	v_dual_add_f32 v9, v9, v11 :: v_dual_mul_f32 v11, v136, v141
	v_fmac_f32_e32 v11, v137, v140
	s_delay_alu instid0(VALU_DEP_1) | instskip(SKIP_1) | instid1(VALU_DEP_1)
	v_add_f32_e32 v9, v9, v11
	v_mul_f32_e32 v11, v138, v143
	v_fmac_f32_e32 v11, v139, v142
	s_wait_loadcnt_dscnt 0x406
	s_set_vgpr_msb 0x45                     ;  msbs: dst=1 src0=1 src1=1 src2=0
	v_dual_mul_f32 v99 /*v355*/, v72 /*v328*/, v77 /*v333*/ :: v_dual_mul_f32 v101 /*v357*/, v74 /*v330*/, v79 /*v335*/
	s_set_vgpr_msb 0                        ;  msbs: dst=0 src0=0 src1=0 src2=0
	v_dual_add_f32 v9, v9, v11 :: v_dual_mul_f32 v11, v144, v149
	s_set_vgpr_msb 0x45                     ;  msbs: dst=1 src0=1 src1=1 src2=0
	s_delay_alu instid0(VALU_DEP_2) | instskip(SKIP_1) | instid1(VALU_DEP_2)
	v_dual_fmac_f32 v99 /*v355*/, v73 /*v329*/, v76 /*v332*/ :: v_dual_fmac_f32 v101 /*v357*/, v75 /*v331*/, v78 /*v334*/
	s_set_vgpr_msb 0                        ;  msbs: dst=0 src0=0 src1=0 src2=0
	v_fmac_f32_e32 v11, v145, v148
	s_delay_alu instid0(VALU_DEP_1) | instskip(SKIP_1) | instid1(VALU_DEP_1)
	v_add_f32_e32 v9, v9, v11
	v_mul_f32_e32 v11, v146, v151
	v_fmac_f32_e32 v11, v147, v150
	s_delay_alu instid0(VALU_DEP_1) | instskip(NEXT) | instid1(VALU_DEP_1)
	v_dual_add_f32 v9, v9, v11 :: v_dual_mul_f32 v11, v152, v157
	v_fmac_f32_e32 v11, v153, v156
	s_delay_alu instid0(VALU_DEP_1) | instskip(SKIP_1) | instid1(VALU_DEP_1)
	v_add_f32_e32 v9, v9, v11
	v_mul_f32_e32 v11, v154, v159
	v_fmac_f32_e32 v11, v155, v158
	s_delay_alu instid0(VALU_DEP_1) | instskip(NEXT) | instid1(VALU_DEP_1)
	v_dual_add_f32 v9, v9, v11 :: v_dual_mul_f32 v11, v160, v165
	;; [unrolled: 7-line block ×13, first 2 shown]
	v_fmac_f32_e32 v11, v249, v252
	s_delay_alu instid0(VALU_DEP_1) | instskip(SKIP_1) | instid1(VALU_DEP_1)
	v_add_f32_e32 v9, v9, v11
	v_mul_f32_e32 v11, v250, v255
	v_fmac_f32_e32 v11, v251, v254
	s_delay_alu instid0(VALU_DEP_1) | instskip(SKIP_2) | instid1(VALU_DEP_1)
	v_add_f32_e32 v9, v9, v11
	s_set_vgpr_msb 5                        ;  msbs: dst=0 src0=1 src1=1 src2=0
	v_mul_f32_e32 v11, v0 /*v256*/, v5 /*v261*/
	v_fmac_f32_e32 v11, v1 /*v257*/, v4 /*v260*/
	s_set_vgpr_msb 0                        ;  msbs: dst=0 src0=0 src1=0 src2=0
	s_delay_alu instid0(VALU_DEP_1) | instskip(SKIP_2) | instid1(VALU_DEP_1)
	v_add_f32_e32 v9, v9, v11
	s_set_vgpr_msb 5                        ;  msbs: dst=0 src0=1 src1=1 src2=0
	v_mul_f32_e32 v11, v2 /*v258*/, v7 /*v263*/
	v_fmac_f32_e32 v11, v3 /*v259*/, v6 /*v262*/
	s_set_vgpr_msb 0                        ;  msbs: dst=0 src0=0 src1=0 src2=0
	;; [unrolled: 6-line block ×4, first 2 shown]
	s_delay_alu instid0(VALU_DEP_1) | instskip(SKIP_3) | instid1(VALU_DEP_1)
	v_add_f32_e32 v9, v9, v11
	s_wait_dscnt 0x5
	s_set_vgpr_msb 5                        ;  msbs: dst=0 src0=1 src1=1 src2=0
	v_mul_f32_e32 v11, v16 /*v272*/, v21 /*v277*/
	v_fmac_f32_e32 v11, v17 /*v273*/, v20 /*v276*/
	s_set_vgpr_msb 0                        ;  msbs: dst=0 src0=0 src1=0 src2=0
	s_delay_alu instid0(VALU_DEP_1) | instskip(SKIP_2) | instid1(VALU_DEP_1)
	v_add_f32_e32 v9, v9, v11
	s_set_vgpr_msb 5                        ;  msbs: dst=0 src0=1 src1=1 src2=0
	v_mul_f32_e32 v11, v18 /*v274*/, v23 /*v279*/
	v_fmac_f32_e32 v11, v19 /*v275*/, v22 /*v278*/
	s_set_vgpr_msb 0                        ;  msbs: dst=0 src0=0 src1=0 src2=0
	s_delay_alu instid0(VALU_DEP_1) | instskip(SKIP_3) | instid1(VALU_DEP_1)
	v_add_f32_e32 v9, v9, v11
	s_wait_dscnt 0x4
	s_set_vgpr_msb 5                        ;  msbs: dst=0 src0=1 src1=1 src2=0
	v_mul_f32_e32 v11, v24 /*v280*/, v29 /*v285*/
	v_fmac_f32_e32 v11, v25 /*v281*/, v28 /*v284*/
	s_set_vgpr_msb 0                        ;  msbs: dst=0 src0=0 src1=0 src2=0
	s_delay_alu instid0(VALU_DEP_1) | instskip(SKIP_2) | instid1(VALU_DEP_1)
	v_add_f32_e32 v9, v9, v11
	s_set_vgpr_msb 5                        ;  msbs: dst=0 src0=1 src1=1 src2=0
	v_mul_f32_e32 v11, v26 /*v282*/, v31 /*v287*/
	v_fmac_f32_e32 v11, v27 /*v283*/, v30 /*v286*/
	s_set_vgpr_msb 0                        ;  msbs: dst=0 src0=0 src1=0 src2=0
	;; [unrolled: 13-line block ×6, first 2 shown]
	s_delay_alu instid0(VALU_DEP_1) | instskip(SKIP_2) | instid1(VALU_DEP_1)
	v_add_f32_e32 v9, v9, v11
	s_set_vgpr_msb 5                        ;  msbs: dst=0 src0=1 src1=1 src2=0
	v_mul_f32_e32 v11, v64 /*v320*/, v69 /*v325*/
	v_fmac_f32_e32 v11, v65 /*v321*/, v68 /*v324*/
	s_set_vgpr_msb 0                        ;  msbs: dst=0 src0=0 src1=0 src2=0
	s_delay_alu instid0(VALU_DEP_1) | instskip(SKIP_2) | instid1(VALU_DEP_1)
	v_add_f32_e32 v9, v9, v11
	s_set_vgpr_msb 5                        ;  msbs: dst=0 src0=1 src1=1 src2=0
	v_mul_f32_e32 v11, v66 /*v322*/, v71 /*v327*/
	v_fmac_f32_e32 v11, v67 /*v323*/, v70 /*v326*/
	s_set_vgpr_msb 64                       ;  msbs: dst=1 src0=0 src1=0 src2=0
	s_delay_alu instid0(VALU_DEP_1) | instskip(SKIP_2) | instid1(VALU_DEP_1)
	v_add_f32_e32 v97 /*v353*/, v9, v11
	s_set_vgpr_msb 0                        ;  msbs: dst=0 src0=0 src1=0 src2=0
	v_dual_mul_f32 v9, v129, v133 :: v_dual_mul_f32 v11, v131, v135
	v_dual_fma_f32 v9, v128, v132, -v9 :: v_dual_fma_f32 v11, v130, v134, -v11
	s_delay_alu instid0(VALU_DEP_1) | instskip(NEXT) | instid1(VALU_DEP_1)
	v_add_f32_e32 v9, 0, v9
	v_add_f32_e32 v9, v9, v11
	v_mul_f32_e32 v11, v137, v141
	s_delay_alu instid0(VALU_DEP_1) | instskip(NEXT) | instid1(VALU_DEP_1)
	v_fma_f32 v11, v136, v140, -v11
	v_add_f32_e32 v9, v9, v11
	v_mul_f32_e32 v11, v139, v143
	s_delay_alu instid0(VALU_DEP_1)
	v_fma_f32 v11, v138, v142, -v11
	ds_load_2addr_b64 v[128:131], v7 offset0:119 offset1:120
	ds_load_2addr_b64 v[132:135], v7 offset0:121 offset1:122
	;; [unrolled: 1-line block ×4, first 2 shown]
	v_add_f32_e32 v9, v9, v11
	v_mul_f32_e32 v11, v145, v149
	s_delay_alu instid0(VALU_DEP_1) | instskip(NEXT) | instid1(VALU_DEP_1)
	v_fma_f32 v11, v144, v148, -v11
	v_add_f32_e32 v9, v9, v11
	v_mul_f32_e32 v11, v147, v151
	s_delay_alu instid0(VALU_DEP_1)
	v_fma_f32 v11, v146, v150, -v11
	s_wait_loadcnt_dscnt 0x303
	s_set_vgpr_msb 4                        ;  msbs: dst=0 src0=0 src1=1 src2=0
	v_pk_mul_f32 v[146:147], v[128:129], v[80:81] /*v[336:337]*/ op_sel:[1,1] op_sel_hi:[0,1]
	s_set_vgpr_msb 0                        ;  msbs: dst=0 src0=0 src1=0 src2=0
	v_add_f32_e32 v9, v9, v11
	v_mul_f32_e32 v11, v153, v157
	s_set_vgpr_msb 4                        ;  msbs: dst=0 src0=0 src1=1 src2=0
	v_pk_fma_f32 v[148:149], v[128:129], v[80:81] /*v[336:337]*/, v[146:147] neg_lo:[0,0,1] neg_hi:[0,0,1]
	v_pk_fma_f32 v[128:129], v[128:129], v[80:81] /*v[336:337]*/, v[146:147] op_sel_hi:[1,0,1]
	s_set_vgpr_msb 1                        ;  msbs: dst=0 src0=1 src1=0 src2=0
	v_mov_b32_e32 v146, v83 /*v339*/
	s_set_vgpr_msb 0                        ;  msbs: dst=0 src0=0 src1=0 src2=0
	s_delay_alu instid0(VALU_DEP_2) | instskip(NEXT) | instid1(VALU_DEP_1)
	v_dual_fma_f32 v11, v152, v156, -v11 :: v_dual_mov_b32 v149, v129
	v_add_f32_e32 v9, v9, v11
	v_mul_f32_e32 v11, v155, v159
	s_delay_alu instid0(VALU_DEP_1) | instskip(NEXT) | instid1(VALU_DEP_1)
	v_fma_f32 v11, v154, v158, -v11
	v_add_f32_e32 v9, v9, v11
	v_mul_f32_e32 v11, v161, v165
	s_delay_alu instid0(VALU_DEP_1) | instskip(NEXT) | instid1(VALU_DEP_1)
	v_fma_f32 v11, v160, v164, -v11
	;; [unrolled: 4-line block ×25, first 2 shown]
	v_add_f32_e32 v9, v9, v11
	s_set_vgpr_msb 5                        ;  msbs: dst=0 src0=1 src1=1 src2=0
	v_mul_f32_e32 v11, v1 /*v257*/, v5 /*v261*/
	s_delay_alu instid0(VALU_DEP_1) | instskip(SKIP_1) | instid1(VALU_DEP_1)
	v_fma_f32 v11, v0 /*v256*/, v4 /*v260*/, -v11
	s_set_vgpr_msb 0                        ;  msbs: dst=0 src0=0 src1=0 src2=0
	v_add_f32_e32 v9, v9, v11
	s_set_vgpr_msb 5                        ;  msbs: dst=0 src0=1 src1=1 src2=0
	v_mul_f32_e32 v11, v3 /*v259*/, v7 /*v263*/
	s_delay_alu instid0(VALU_DEP_1) | instskip(SKIP_1) | instid1(VALU_DEP_1)
	v_fma_f32 v11, v2 /*v258*/, v6 /*v262*/, -v11
	s_set_vgpr_msb 0                        ;  msbs: dst=0 src0=0 src1=0 src2=0
	;; [unrolled: 6-line block ×17, first 2 shown]
	v_add_f32_e32 v9, v9, v11
	s_set_vgpr_msb 5                        ;  msbs: dst=0 src0=1 src1=1 src2=0
	v_mul_f32_e32 v11, v67 /*v323*/, v71 /*v327*/
	s_delay_alu instid0(VALU_DEP_1) | instskip(SKIP_1) | instid1(VALU_DEP_1)
	v_fma_f32 v11, v66 /*v322*/, v70 /*v326*/, -v11
	s_set_vgpr_msb 64                       ;  msbs: dst=1 src0=0 src1=0 src2=0
	v_add_f32_e32 v96 /*v352*/, v9, v11
	s_set_vgpr_msb 5                        ;  msbs: dst=0 src0=1 src1=1 src2=0
	v_mul_f32_e32 v9, v73 /*v329*/, v77 /*v333*/
	s_set_vgpr_msb 0x45                     ;  msbs: dst=1 src0=1 src1=1 src2=0
	s_delay_alu instid0(VALU_DEP_1) | instskip(SKIP_3) | instid1(VALU_DEP_1)
	v_fma_f32 v98 /*v354*/, v72 /*v328*/, v76 /*v332*/, -v9
	s_set_vgpr_msb 5                        ;  msbs: dst=0 src0=1 src1=1 src2=0
	v_mul_f32_e32 v9, v75 /*v331*/, v79 /*v335*/
	s_set_vgpr_msb 0x45                     ;  msbs: dst=1 src0=1 src1=1 src2=0
	v_fma_f32 v100 /*v356*/, v74 /*v330*/, v78 /*v334*/, -v9
	s_set_vgpr_msb 5                        ;  msbs: dst=0 src0=1 src1=1 src2=0
	v_pk_add_f32 v[144:145], v[96:97] /*v[352:353]*/, v[98:99] /*v[354:355]*/
	s_set_vgpr_msb 4                        ;  msbs: dst=0 src0=0 src1=1 src2=0
	s_delay_alu instid0(VALU_DEP_1) | instskip(SKIP_1) | instid1(VALU_DEP_1)
	v_pk_add_f32 v[144:145], v[144:145], v[100:101] /*v[356:357]*/
	s_set_vgpr_msb 0                        ;  msbs: dst=0 src0=0 src1=0 src2=0
	v_pk_add_f32 v[128:129], v[144:145], v[148:149]
	v_dual_mov_b32 v144, v131 :: v_dual_mov_b32 v145, v130
	s_delay_alu instid0(VALU_DEP_1) | instskip(SKIP_1) | instid1(VALU_DEP_1)
	v_pk_mul_f32 v[144:145], v[144:145], v[146:147] op_sel_hi:[1,0]
	s_set_vgpr_msb 4                        ;  msbs: dst=0 src0=0 src1=1 src2=0
	v_pk_fma_f32 v[146:147], v[130:131], v[82:83] /*v[338:339]*/, v[144:145] neg_lo:[0,0,1] neg_hi:[0,0,1]
	v_pk_fma_f32 v[130:131], v[130:131], v[82:83] /*v[338:339]*/, v[144:145] op_sel_hi:[1,0,1]
	s_delay_alu instid0(VALU_DEP_1) | instskip(SKIP_3) | instid1(VALU_DEP_2)
	v_mov_b32_e32 v147, v131
	s_wait_loadcnt_dscnt 0x202
	v_pk_mul_f32 v[130:131], v[132:133], v[84:85] /*v[340:341]*/ op_sel:[1,1] op_sel_hi:[0,1]
	s_set_vgpr_msb 0                        ;  msbs: dst=0 src0=0 src1=0 src2=0
	v_pk_add_f32 v[128:129], v[128:129], v[146:147]
	s_set_vgpr_msb 4                        ;  msbs: dst=0 src0=0 src1=1 src2=0
	s_delay_alu instid0(VALU_DEP_2)
	v_pk_fma_f32 v[144:145], v[132:133], v[84:85] /*v[340:341]*/, v[130:131] neg_lo:[0,0,1] neg_hi:[0,0,1]
	v_pk_fma_f32 v[130:131], v[132:133], v[84:85] /*v[340:341]*/, v[130:131] op_sel_hi:[1,0,1]
	v_mov_b32_e32 v130, v135
	s_set_vgpr_msb 1                        ;  msbs: dst=0 src0=1 src1=0 src2=0
	v_mov_b32_e32 v132, v87 /*v343*/
	s_set_vgpr_msb 0                        ;  msbs: dst=0 src0=0 src1=0 src2=0
	v_dual_mov_b32 v145, v131 :: v_dual_mov_b32 v131, v134
	s_delay_alu instid0(VALU_DEP_1) | instskip(NEXT) | instid1(VALU_DEP_2)
	v_pk_add_f32 v[128:129], v[128:129], v[144:145]
	v_pk_mul_f32 v[130:131], v[130:131], v[132:133] op_sel_hi:[1,0]
	s_set_vgpr_msb 4                        ;  msbs: dst=0 src0=0 src1=1 src2=0
	s_delay_alu instid0(VALU_DEP_1) | instskip(SKIP_1) | instid1(VALU_DEP_1)
	v_pk_fma_f32 v[132:133], v[134:135], v[86:87] /*v[342:343]*/, v[130:131] neg_lo:[0,0,1] neg_hi:[0,0,1]
	v_pk_fma_f32 v[130:131], v[134:135], v[86:87] /*v[342:343]*/, v[130:131] op_sel_hi:[1,0,1]
	v_mov_b32_e32 v133, v131
	s_wait_loadcnt_dscnt 0x101
	v_pk_mul_f32 v[130:131], v[136:137], v[88:89] /*v[344:345]*/ op_sel:[1,1] op_sel_hi:[0,1]
	s_set_vgpr_msb 0                        ;  msbs: dst=0 src0=0 src1=0 src2=0
	s_delay_alu instid0(VALU_DEP_2) | instskip(SKIP_1) | instid1(VALU_DEP_2)
	v_pk_add_f32 v[128:129], v[128:129], v[132:133]
	s_set_vgpr_msb 4                        ;  msbs: dst=0 src0=0 src1=1 src2=0
	v_pk_fma_f32 v[132:133], v[136:137], v[88:89] /*v[344:345]*/, v[130:131] neg_lo:[0,0,1] neg_hi:[0,0,1]
	v_pk_fma_f32 v[130:131], v[136:137], v[88:89] /*v[344:345]*/, v[130:131] op_sel_hi:[1,0,1]
	s_delay_alu instid0(VALU_DEP_1) | instskip(SKIP_2) | instid1(VALU_DEP_2)
	v_dual_mov_b32 v130, v139 :: v_dual_mov_b32 v133, v131
	v_mov_b32_e32 v131, v138
	s_set_vgpr_msb 0                        ;  msbs: dst=0 src0=0 src1=0 src2=0
	v_pk_add_f32 v[128:129], v[128:129], v[132:133]
	s_set_vgpr_msb 1                        ;  msbs: dst=0 src0=1 src1=0 src2=0
	v_mov_b32_e32 v132, v91 /*v347*/
	s_set_vgpr_msb 0                        ;  msbs: dst=0 src0=0 src1=0 src2=0
	s_delay_alu instid0(VALU_DEP_1) | instskip(SKIP_1) | instid1(VALU_DEP_1)
	v_pk_mul_f32 v[130:131], v[130:131], v[132:133] op_sel_hi:[1,0]
	s_set_vgpr_msb 4                        ;  msbs: dst=0 src0=0 src1=1 src2=0
	v_pk_fma_f32 v[132:133], v[138:139], v[90:91] /*v[346:347]*/, v[130:131] neg_lo:[0,0,1] neg_hi:[0,0,1]
	v_pk_fma_f32 v[130:131], v[138:139], v[90:91] /*v[346:347]*/, v[130:131] op_sel_hi:[1,0,1]
	s_delay_alu instid0(VALU_DEP_1) | instskip(SKIP_3) | instid1(VALU_DEP_2)
	v_mov_b32_e32 v133, v131
	s_wait_loadcnt_dscnt 0x0
	v_pk_mul_f32 v[130:131], v[140:141], v[92:93] /*v[348:349]*/ op_sel:[1,1] op_sel_hi:[0,1]
	s_set_vgpr_msb 0                        ;  msbs: dst=0 src0=0 src1=0 src2=0
	v_pk_add_f32 v[128:129], v[128:129], v[132:133]
	s_set_vgpr_msb 4                        ;  msbs: dst=0 src0=0 src1=1 src2=0
	s_delay_alu instid0(VALU_DEP_2) | instskip(SKIP_1) | instid1(VALU_DEP_1)
	v_pk_fma_f32 v[132:133], v[140:141], v[92:93] /*v[348:349]*/, v[130:131] neg_lo:[0,0,1] neg_hi:[0,0,1]
	v_pk_fma_f32 v[130:131], v[140:141], v[92:93] /*v[348:349]*/, v[130:131] op_sel_hi:[1,0,1]
	v_dual_mov_b32 v130, v143 :: v_dual_mov_b32 v133, v131
	v_mov_b32_e32 v131, v142
	s_set_vgpr_msb 0                        ;  msbs: dst=0 src0=0 src1=0 src2=0
	s_delay_alu instid0(VALU_DEP_2) | instskip(SKIP_3) | instid1(VALU_DEP_1)
	v_pk_add_f32 v[128:129], v[128:129], v[132:133]
	s_set_vgpr_msb 1                        ;  msbs: dst=0 src0=1 src1=0 src2=0
	v_mov_b32_e32 v132, v95 /*v351*/
	s_set_vgpr_msb 0                        ;  msbs: dst=0 src0=0 src1=0 src2=0
	v_pk_mul_f32 v[130:131], v[130:131], v[132:133] op_sel_hi:[1,0]
	s_set_vgpr_msb 4                        ;  msbs: dst=0 src0=0 src1=1 src2=0
	s_delay_alu instid0(VALU_DEP_1) | instskip(SKIP_1) | instid1(VALU_DEP_1)
	v_pk_fma_f32 v[132:133], v[142:143], v[94:95] /*v[350:351]*/, v[130:131] neg_lo:[0,0,1] neg_hi:[0,0,1]
	v_pk_fma_f32 v[130:131], v[142:143], v[94:95] /*v[350:351]*/, v[130:131] op_sel_hi:[1,0,1]
	v_mov_b32_e32 v133, v131
	scratch_load_b64 v[130:131], off, off offset:16
	s_set_vgpr_msb 0                        ;  msbs: dst=0 src0=0 src1=0 src2=0
	v_pk_add_f32 v[128:129], v[128:129], v[132:133]
	s_wait_loadcnt 0x0
	s_delay_alu instid0(VALU_DEP_1)
	v_pk_add_f32 v[128:129], v[130:131], v[128:129] neg_lo:[0,1] neg_hi:[0,1]
	scratch_store_b64 off, v[128:129], off offset:16
	s_wait_xcnt 0x0
	v_cmpx_lt_u32_e32 1, v0
	s_cbranch_execz .LBB126_389
; %bb.388:
	scratch_load_b64 v[128:129], off, off offset:8
	v_mov_b64_e32 v[130:131], 0
	scratch_store_b64 off, v[130:131], off offset:8
	s_wait_loadcnt 0x0
	ds_store_b64 v1, v[128:129]
.LBB126_389:
	s_wait_xcnt 0x0
	s_or_b32 exec_lo, exec_lo, s0
	s_wait_storecnt_dscnt 0x0
	s_barrier_signal -1
	s_barrier_wait -1
	s_clause 0x20
	scratch_load_b128 v[130:133], off, off offset:16
	scratch_load_b128 v[134:137], off, off offset:32
	;; [unrolled: 1-line block ×30, first 2 shown]
	s_set_vgpr_msb 64                       ;  msbs: dst=1 src0=0 src1=0 src2=0
	scratch_load_b64 v[114:115] /*v[370:371]*/, off, off offset:496
	scratch_load_b64 v[116:117] /*v[372:373]*/, off, off offset:8
	s_set_vgpr_msb 0                        ;  msbs: dst=0 src0=0 src1=0 src2=0
	v_dual_mov_b32 v128, 0 :: v_dual_ashrrev_i32 v99, 31, v98
	ds_load_b128 v[250:253], v128 offset:528
	ds_load_b128 v[254:257], v128 offset:544
	s_set_vgpr_msb 64                       ;  msbs: dst=1 src0=0 src1=0 src2=0
	ds_load_b128 v[2:5] /*v[258:261]*/, v128 offset:560
	ds_load_b128 v[6:9] /*v[262:265]*/, v128 offset:576
	;; [unrolled: 1-line block ×28, first 2 shown]
	ds_load_b64 v[118:119] /*v[374:375]*/, v128 offset:1008
	s_wait_dscnt 0x14
	s_set_vgpr_msb 0x41                     ;  msbs: dst=1 src0=1 src1=0 src2=0
	v_dual_mov_b32 v120 /*v376*/, v37 /*v293*/ :: v_dual_mov_b32 v121 /*v377*/, v36 /*v292*/
	s_wait_dscnt 0x11
	v_dual_mov_b32 v122 /*v378*/, v49 /*v305*/ :: v_dual_mov_b32 v123 /*v379*/, v48 /*v304*/
	s_wait_dscnt 0x10
	;; [unrolled: 2-line block ×3, first 2 shown]
	v_dual_mov_b32 v126 /*v382*/, v65 /*v321*/ :: v_dual_mov_b32 v127 /*v383*/, v64 /*v320*/
	s_set_vgpr_msb 0                        ;  msbs: dst=0 src0=0 src1=0 src2=0
	v_dual_ashrrev_i32 v7, 31, v6 :: v_dual_ashrrev_i32 v9, 31, v8
	v_dual_ashrrev_i32 v11, 31, v10 :: v_dual_ashrrev_i32 v13, 31, v12
	;; [unrolled: 1-line block ×24, first 2 shown]
	s_mov_b32 s0, exec_lo
	s_wait_loadcnt 0x1f
	v_dual_mul_f32 v105, v250, v131 :: v_dual_mul_f32 v107, v252, v133
	v_dual_mul_f32 v109, v251, v131 :: v_dual_mul_f32 v111, v253, v133
	s_wait_loadcnt 0x1e
	v_dual_mul_f32 v113, v254, v135 :: v_dual_mul_f32 v121, v255, v135
	s_delay_alu instid0(VALU_DEP_3) | instskip(NEXT) | instid1(VALU_DEP_3)
	v_dual_fmac_f32 v105, v251, v130 :: v_dual_fmac_f32 v107, v253, v132
	v_dual_fma_f32 v109, v250, v130, -v109 :: v_dual_fma_f32 v111, v252, v132, -v111
	s_wait_loadcnt 0x1d
	s_set_vgpr_msb 1                        ;  msbs: dst=0 src0=1 src1=0 src2=0
	v_dual_mul_f32 v115, v0 /*v256*/, v137 :: v_dual_mul_f32 v117, v2 /*v258*/, v139
	s_wait_loadcnt 0x15
	v_dual_add_f32 v105, 0, v105 :: v_dual_mul_f32 v132, v39 /*v295*/, v171
	s_set_vgpr_msb 0                        ;  msbs: dst=0 src0=0 src1=0 src2=0
	v_dual_add_f32 v109, 0, v109 :: v_dual_fmac_f32 v113, v255, v134
	s_set_vgpr_msb 1                        ;  msbs: dst=0 src0=1 src1=0 src2=0
	v_dual_mul_f32 v123, v1 /*v257*/, v137 :: v_dual_mul_f32 v129, v6 /*v262*/, v143
	s_set_vgpr_msb 0                        ;  msbs: dst=0 src0=0 src1=0 src2=0
	v_dual_fma_f32 v121, v254, v134, -v121 :: v_dual_add_f32 v105, v105, v107
	v_add_f32_e32 v107, v109, v111
	s_set_vgpr_msb 1                        ;  msbs: dst=0 src0=1 src1=0 src2=0
	v_dual_mul_f32 v119, v4 /*v260*/, v141 :: v_dual_mul_f32 v125, v3 /*v259*/, v139
	v_dual_mul_f32 v109, v41 /*v297*/, v173 :: v_dual_fma_f32 v111, v0 /*v256*/, v136, -v123
	v_fmac_f32_e32 v115, v1 /*v257*/, v136
	s_set_vgpr_msb 0                        ;  msbs: dst=0 src0=0 src1=0 src2=0
	v_add_f32_e32 v107, v107, v121
	v_add_f32_e32 v105, v105, v113
	s_set_vgpr_msb 1                        ;  msbs: dst=0 src0=1 src1=0 src2=0
	v_dual_mul_f32 v127, v5 /*v261*/, v141 :: v_dual_mul_f32 v133, v10 /*v266*/, v147
	s_wait_loadcnt_dscnt 0xb06
	v_dual_mul_f32 v113, v92 /*v348*/, v213 :: v_dual_fmac_f32 v117, v3 /*v259*/, v138
	v_dual_fma_f32 v121, v2 /*v258*/, v138, -v125 :: v_dual_fmac_f32 v119, v5 /*v261*/, v140
	s_set_vgpr_msb 0                        ;  msbs: dst=0 src0=0 src1=0 src2=0
	v_add_f32_e32 v107, v107, v111
	v_add_f32_e32 v105, v105, v115
	s_set_vgpr_msb 1                        ;  msbs: dst=0 src0=1 src1=0 src2=0
	v_dual_mul_f32 v131, v8 /*v264*/, v145 :: v_dual_mul_f32 v137, v7 /*v263*/, v143
	s_wait_loadcnt_dscnt 0xa05
	v_dual_mul_f32 v111, v94 /*v350*/, v215 :: v_dual_fma_f32 v115, v4 /*v260*/, v140, -v127
	v_fmac_f32_e32 v129, v7 /*v263*/, v142
	s_set_vgpr_msb 0                        ;  msbs: dst=0 src0=0 src1=0 src2=0
	v_add_f32_e32 v107, v107, v121
	v_add_f32_e32 v105, v105, v117
	s_set_vgpr_msb 1                        ;  msbs: dst=0 src0=1 src1=0 src2=0
	v_dual_mul_f32 v139, v9 /*v265*/, v145 :: v_dual_mul_f32 v145, v14 /*v270*/, v151
	v_dual_mul_f32 v117, v96 /*v352*/, v217 :: v_dual_fma_f32 v121, v6 /*v262*/, v142, -v137
	s_set_vgpr_msb 0                        ;  msbs: dst=0 src0=0 src1=0 src2=0
	v_add_f32_e32 v107, v107, v115
	v_add_f32_e32 v105, v105, v119
	s_wait_loadcnt_dscnt 0x904
	s_set_vgpr_msb 1                        ;  msbs: dst=0 src0=1 src1=0 src2=0
	v_dual_mul_f32 v115, v98 /*v354*/, v219 :: v_dual_fmac_f32 v131, v9 /*v265*/, v144
	v_dual_fma_f32 v119, v8 /*v264*/, v144, -v139 :: v_dual_fmac_f32 v133, v11 /*v267*/, v146
	s_set_vgpr_msb 0                        ;  msbs: dst=0 src0=0 src1=0 src2=0
	v_add_f32_e32 v107, v107, v121
	v_add_f32_e32 v105, v105, v129
	s_set_vgpr_msb 1                        ;  msbs: dst=0 src0=1 src1=0 src2=0
	v_dual_mul_f32 v135, v12 /*v268*/, v149 :: v_dual_mul_f32 v141, v11 /*v267*/, v147
	v_dual_mul_f32 v143, v13 /*v269*/, v149 :: v_dual_mul_f32 v149, v18 /*v274*/, v155
	s_set_vgpr_msb 0                        ;  msbs: dst=0 src0=0 src1=0 src2=0
	v_add_f32_e32 v107, v107, v119
	v_add_f32_e32 v105, v105, v131
	s_set_vgpr_msb 1                        ;  msbs: dst=0 src0=1 src1=0 src2=0
	v_dual_mul_f32 v121, v100 /*v356*/, v221 :: v_dual_fma_f32 v123, v10 /*v266*/, v146, -v141
	s_wait_loadcnt_dscnt 0x803
	v_dual_mul_f32 v119, v102 /*v358*/, v223 :: v_dual_fmac_f32 v135, v13 /*v269*/, v148
	s_set_vgpr_msb 0                        ;  msbs: dst=0 src0=0 src1=0 src2=0
	v_add_f32_e32 v105, v105, v133
	s_set_vgpr_msb 1                        ;  msbs: dst=0 src0=1 src1=0 src2=0
	v_dual_mul_f32 v147, v16 /*v272*/, v153 :: v_dual_mul_f32 v151, v15 /*v271*/, v151
	v_dual_fma_f32 v125, v12 /*v268*/, v148, -v143 :: v_dual_fmac_f32 v145, v15 /*v271*/, v150
	s_set_vgpr_msb 0                        ;  msbs: dst=0 src0=0 src1=0 src2=0
	v_add_f32_e32 v107, v107, v123
	v_add_f32_e32 v105, v105, v135
	s_set_vgpr_msb 1                        ;  msbs: dst=0 src0=1 src1=0 src2=0
	v_dual_mul_f32 v153, v17 /*v273*/, v153 :: v_dual_mul_f32 v155, v19 /*v275*/, v155
	v_dual_mul_f32 v123, v104 /*v360*/, v225 :: v_dual_fma_f32 v127, v14 /*v270*/, v150, -v151
	s_set_vgpr_msb 0                        ;  msbs: dst=0 src0=0 src1=0 src2=0
	v_add_f32_e32 v107, v107, v125
	s_wait_loadcnt_dscnt 0x702
	s_set_vgpr_msb 1                        ;  msbs: dst=0 src0=1 src1=0 src2=0
	v_dual_mul_f32 v125, v106 /*v362*/, v227 :: v_dual_fmac_f32 v147, v17 /*v273*/, v152
	s_set_vgpr_msb 0                        ;  msbs: dst=0 src0=0 src1=0 src2=0
	v_add_f32_e32 v105, v105, v145
	s_set_vgpr_msb 0x41                     ;  msbs: dst=1 src0=1 src1=0 src2=0
	v_dual_mul_f32 v128 /*v384*/, v20 /*v276*/, v157 :: v_dual_mul_f32 v129 /*v385*/, v22 /*v278*/, v159
	s_set_vgpr_msb 1                        ;  msbs: dst=0 src0=1 src1=0 src2=0
	v_dual_fma_f32 v129, v16 /*v272*/, v152, -v153 :: v_dual_fma_f32 v131, v18 /*v274*/, v154, -v155
	s_set_vgpr_msb 0                        ;  msbs: dst=0 src0=0 src1=0 src2=0
	v_add_f32_e32 v107, v107, v127
	s_set_vgpr_msb 1                        ;  msbs: dst=0 src0=1 src1=0 src2=0
	v_dual_mul_f32 v127, v108 /*v364*/, v229 :: v_dual_fmac_f32 v149, v19 /*v275*/, v154
	s_set_vgpr_msb 0                        ;  msbs: dst=0 src0=0 src1=0 src2=0
	v_add_f32_e32 v105, v105, v147
	s_set_vgpr_msb 0x41                     ;  msbs: dst=1 src0=1 src1=0 src2=0
	v_dual_mul_f32 v154 /*v410*/, v88 /*v344*/, v209 :: v_dual_fmac_f32 v128 /*v384*/, v21 /*v277*/, v156
	s_set_vgpr_msb 0                        ;  msbs: dst=0 src0=0 src1=0 src2=0
	v_add_f32_e32 v107, v107, v129
	s_set_vgpr_msb 0x41                     ;  msbs: dst=1 src0=1 src1=0 src2=0
	v_dual_mul_f32 v130 /*v386*/, v24 /*v280*/, v161 :: v_dual_mul_f32 v131 /*v387*/, v26 /*v282*/, v163
	s_set_vgpr_msb 0                        ;  msbs: dst=0 src0=0 src1=0 src2=0
	v_add_f32_e32 v105, v105, v149
	s_set_vgpr_msb 0x41                     ;  msbs: dst=1 src0=1 src1=0 src2=0
	v_fmac_f32_e32 v129 /*v385*/, v23 /*v279*/, v158
	s_set_vgpr_msb 0                        ;  msbs: dst=0 src0=0 src1=0 src2=0
	v_add_f32_e32 v107, v107, v131
	s_set_vgpr_msb 0x41                     ;  msbs: dst=1 src0=1 src1=0 src2=0
	v_dual_fmac_f32 v130 /*v386*/, v25 /*v281*/, v160 :: v_dual_mul_f32 v132 /*v388*/, v28 /*v284*/, v165
	v_mul_f32_e32 v133 /*v389*/, v30 /*v286*/, v167
	s_set_vgpr_msb 4                        ;  msbs: dst=0 src0=0 src1=1 src2=0
	v_add_f32_e32 v105, v105, v128 /*v384*/
	s_set_vgpr_msb 0x41                     ;  msbs: dst=1 src0=1 src1=0 src2=0
	v_dual_fmac_f32 v131 /*v387*/, v27 /*v283*/, v162 :: v_dual_mul_f32 v134 /*v390*/, v32 /*v288*/, v169
	v_dual_mul_f32 v135 /*v391*/, v38 /*v294*/, v171 :: v_dual_fmac_f32 v132 /*v388*/, v29 /*v285*/, v164
	s_set_vgpr_msb 4                        ;  msbs: dst=0 src0=0 src1=1 src2=0
	v_add_f32_e32 v105, v105, v129 /*v385*/
	s_set_vgpr_msb 0x41                     ;  msbs: dst=1 src0=1 src1=0 src2=0
	v_dual_fmac_f32 v133 /*v389*/, v31 /*v287*/, v166 :: v_dual_fmac_f32 v134 /*v390*/, v33 /*v289*/, v168
	v_dual_mul_f32 v136 /*v392*/, v40 /*v296*/, v173 :: v_dual_mul_f32 v137 /*v393*/, v42 /*v298*/, v175
	s_set_vgpr_msb 4                        ;  msbs: dst=0 src0=0 src1=1 src2=0
	v_add_f32_e32 v105, v105, v130 /*v386*/
	s_set_vgpr_msb 0x41                     ;  msbs: dst=1 src0=1 src1=0 src2=0
	v_dual_fmac_f32 v135 /*v391*/, v39 /*v295*/, v170 :: v_dual_mul_f32 v138 /*v394*/, v44 /*v300*/, v177
	v_dual_mul_f32 v139 /*v395*/, v54 /*v310*/, v179 :: v_dual_fmac_f32 v136 /*v392*/, v41 /*v297*/, v172
	s_set_vgpr_msb 4                        ;  msbs: dst=0 src0=0 src1=1 src2=0
	v_add_f32_e32 v105, v105, v131 /*v387*/
	s_set_vgpr_msb 0x41                     ;  msbs: dst=1 src0=1 src1=0 src2=0
	v_dual_fmac_f32 v137 /*v393*/, v43 /*v299*/, v174 :: v_dual_fmac_f32 v138 /*v394*/, v45 /*v301*/, v176
	v_dual_mul_f32 v140 /*v396*/, v56 /*v312*/, v181 :: v_dual_mul_f32 v141 /*v397*/, v58 /*v314*/, v183
	;; [unrolled: 10-line block ×5, first 2 shown]
	s_set_vgpr_msb 4                        ;  msbs: dst=0 src0=0 src1=1 src2=0
	v_add_f32_e32 v105, v105, v138 /*v394*/
	s_set_vgpr_msb 0x41                     ;  msbs: dst=1 src0=1 src1=0 src2=0
	v_fmac_f32_e32 v151 /*v407*/, v83 /*v339*/, v202
	s_set_vgpr_msb 1                        ;  msbs: dst=0 src0=1 src1=0 src2=0
	v_dual_mul_f32 v157, v21 /*v277*/, v157 :: v_dual_mul_f32 v159, v23 /*v279*/, v159
	s_set_vgpr_msb 0x41                     ;  msbs: dst=1 src0=1 src1=0 src2=0
	v_fmac_f32_e32 v152 /*v408*/, v85 /*v341*/, v204
	s_set_vgpr_msb 4                        ;  msbs: dst=0 src0=0 src1=1 src2=0
	v_add_f32_e32 v105, v105, v139 /*v395*/
	s_set_vgpr_msb 0x41                     ;  msbs: dst=1 src0=1 src1=0 src2=0
	v_dual_fmac_f32 v153 /*v409*/, v87 /*v343*/, v206 :: v_dual_fmac_f32 v154 /*v410*/, v89 /*v345*/, v208
	s_set_vgpr_msb 1                        ;  msbs: dst=0 src0=1 src1=0 src2=0
	v_dual_mul_f32 v169, v33 /*v289*/, v169 :: v_dual_mul_f32 v130, v90 /*v346*/, v211
	s_set_vgpr_msb 4                        ;  msbs: dst=0 src0=0 src1=1 src2=0
	v_add_f32_e32 v105, v105, v140 /*v396*/
	s_wait_loadcnt_dscnt 0x601
	s_set_vgpr_msb 1                        ;  msbs: dst=0 src0=1 src1=0 src2=0
	v_dual_mul_f32 v129, v110 /*v366*/, v231 :: v_dual_fma_f32 v133, v20 /*v276*/, v156, -v157
	v_dual_mul_f32 v161, v25 /*v281*/, v161 :: v_dual_mul_f32 v163, v27 /*v283*/, v163
	s_set_vgpr_msb 4                        ;  msbs: dst=0 src0=0 src1=1 src2=0
	v_add_f32_e32 v105, v105, v141 /*v397*/
	s_set_vgpr_msb 1                        ;  msbs: dst=0 src0=1 src1=0 src2=0
	v_dual_fmac_f32 v130, v91 /*v347*/, v210 :: v_dual_mul_f32 v131, v112 /*v368*/, v233
	v_dual_fma_f32 v134, v22 /*v278*/, v158, -v159 :: v_dual_fmac_f32 v113, v93 /*v349*/, v212
	s_set_vgpr_msb 4                        ;  msbs: dst=0 src0=0 src1=1 src2=0
	v_add_f32_e32 v105, v105, v142 /*v398*/
	s_set_vgpr_msb 1                        ;  msbs: dst=0 src0=1 src1=0 src2=0
	v_dual_fmac_f32 v111, v95 /*v351*/, v214 :: v_dual_mul_f32 v165, v29 /*v285*/, v165
	v_dual_mul_f32 v167, v31 /*v287*/, v167 :: v_dual_fmac_f32 v117, v97 /*v353*/, v216
	s_set_vgpr_msb 4                        ;  msbs: dst=0 src0=0 src1=1 src2=0
	v_add_f32_e32 v105, v105, v143 /*v399*/
	s_set_vgpr_msb 1                        ;  msbs: dst=0 src0=1 src1=0 src2=0
	v_dual_fmac_f32 v115, v99 /*v355*/, v218 :: v_dual_fmac_f32 v121, v101 /*v357*/, v220
	v_dual_fmac_f32 v123, v105 /*v361*/, v224 :: v_dual_fmac_f32 v125, v107 /*v363*/, v226
	s_set_vgpr_msb 4                        ;  msbs: dst=0 src0=0 src1=1 src2=0
	v_add_f32_e32 v105, v105, v144 /*v400*/
	s_set_vgpr_msb 1                        ;  msbs: dst=0 src0=1 src1=0 src2=0
	v_fmac_f32_e32 v129, v111 /*v367*/, v230
	v_dual_fma_f32 v135, v24 /*v280*/, v160, -v161 :: v_dual_fma_f32 v136, v26 /*v282*/, v162, -v163
	v_fma_f32 v137, v28 /*v284*/, v164, -v165
	s_set_vgpr_msb 4                        ;  msbs: dst=0 src0=0 src1=1 src2=0
	v_add_f32_e32 v105, v105, v145 /*v401*/
	s_set_vgpr_msb 1                        ;  msbs: dst=0 src0=1 src1=0 src2=0
	v_dual_fma_f32 v138, v30 /*v286*/, v166, -v167 :: v_dual_fma_f32 v139, v32 /*v288*/, v168, -v169
	v_dual_fma_f32 v132, v38 /*v294*/, v170, -v132 :: v_dual_fma_f32 v109, v40 /*v296*/, v172, -v109
	s_set_vgpr_msb 4                        ;  msbs: dst=0 src0=0 src1=1 src2=0
	v_add_f32_e32 v105, v105, v146 /*v402*/
	s_set_vgpr_msb 1                        ;  msbs: dst=0 src0=1 src1=0 src2=0
	v_fmac_f32_e32 v127, v109 /*v365*/, v228
	s_wait_loadcnt 0x3
	s_set_vgpr_msb 4                        ;  msbs: dst=0 src0=0 src1=1 src2=0
	v_mov_b32_e32 v144, v245
	v_add_f32_e32 v105, v105, v147 /*v403*/
	s_set_vgpr_msb 1                        ;  msbs: dst=0 src0=1 src1=0 src2=0
	s_delay_alu instid0(VALU_DEP_2) | instskip(SKIP_1) | instid1(VALU_DEP_2)
	v_pk_mul_f32 v[144:145], v[124:125] /*v[380:381]*/, v[144:145] op_sel_hi:[1,0]
	s_set_vgpr_msb 4                        ;  msbs: dst=0 src0=0 src1=1 src2=0
	v_add_f32_e32 v105, v105, v148 /*v404*/
	s_delay_alu instid0(VALU_DEP_1) | instskip(NEXT) | instid1(VALU_DEP_1)
	v_add_f32_e32 v105, v105, v149 /*v405*/
	v_add_f32_e32 v105, v105, v150 /*v406*/
	s_delay_alu instid0(VALU_DEP_1) | instskip(NEXT) | instid1(VALU_DEP_1)
	v_add_f32_e32 v105, v105, v151 /*v407*/
	;; [unrolled: 3-line block ×3, first 2 shown]
	v_add_f32_e32 v105, v105, v154 /*v410*/
	s_set_vgpr_msb 0                        ;  msbs: dst=0 src0=0 src1=0 src2=0
	v_add_f32_e32 v107, v107, v133
	s_set_vgpr_msb 1                        ;  msbs: dst=0 src0=1 src1=0 src2=0
	v_mul_f32_e32 v133, v34 /*v290*/, v235
	s_set_vgpr_msb 0                        ;  msbs: dst=0 src0=0 src1=0 src2=0
	v_add_f32_e32 v105, v105, v130
	s_set_vgpr_msb 1                        ;  msbs: dst=0 src0=1 src1=0 src2=0
	v_mul_f32_e32 v130, v107 /*v363*/, v227
	;; [unrolled: 4-line block ×3, first 2 shown]
	s_set_vgpr_msb 0                        ;  msbs: dst=0 src0=0 src1=0 src2=0
	v_add_f32_e32 v105, v105, v113
	s_set_vgpr_msb 1                        ;  msbs: dst=0 src0=1 src1=0 src2=0
	v_dual_mul_f32 v113, v109 /*v365*/, v229 :: v_dual_fmac_f32 v119, v103 /*v359*/, v222
	v_fma_f32 v134, v42 /*v298*/, v174, -v134
	s_set_vgpr_msb 0                        ;  msbs: dst=0 src0=0 src1=0 src2=0
	v_add_f32_e32 v105, v105, v111
	v_add_f32_e32 v107, v107, v135
	s_set_vgpr_msb 1                        ;  msbs: dst=0 src0=1 src1=0 src2=0
	v_mul_f32_e32 v135, v45 /*v301*/, v177
	s_set_vgpr_msb 0                        ;  msbs: dst=0 src0=0 src1=0 src2=0
	v_add_f32_e32 v105, v105, v117
	s_set_vgpr_msb 1                        ;  msbs: dst=0 src0=1 src1=0 src2=0
	v_mul_f32_e32 v117, v113 /*v369*/, v233
	s_set_vgpr_msb 0                        ;  msbs: dst=0 src0=0 src1=0 src2=0
	v_add_f32_e32 v107, v107, v136
	s_set_vgpr_msb 1                        ;  msbs: dst=0 src0=1 src1=0 src2=0
	v_dual_mul_f32 v136, v55 /*v311*/, v179 :: v_dual_fma_f32 v135, v44 /*v300*/, v176, -v135
	s_set_vgpr_msb 0                        ;  msbs: dst=0 src0=0 src1=0 src2=0
	v_add_f32_e32 v105, v105, v115
	s_set_vgpr_msb 1                        ;  msbs: dst=0 src0=1 src1=0 src2=0
	v_mul_f32_e32 v115, v35 /*v291*/, v235
	s_set_vgpr_msb 0                        ;  msbs: dst=0 src0=0 src1=0 src2=0
	v_add_f32_e32 v107, v107, v137
	s_set_vgpr_msb 1                        ;  msbs: dst=0 src0=1 src1=0 src2=0
	v_dual_mul_f32 v137, v57 /*v313*/, v181 :: v_dual_fma_f32 v136, v54 /*v310*/, v178, -v136
	s_set_vgpr_msb 0                        ;  msbs: dst=0 src0=0 src1=0 src2=0
	v_add_f32_e32 v105, v105, v121
	s_set_vgpr_msb 1                        ;  msbs: dst=0 src0=1 src1=0 src2=0
	v_fmac_f32_e32 v131, v113 /*v369*/, v232
	s_set_vgpr_msb 0                        ;  msbs: dst=0 src0=0 src1=0 src2=0
	v_add_f32_e32 v107, v107, v138
	s_set_vgpr_msb 1                        ;  msbs: dst=0 src0=1 src1=0 src2=0
	v_dual_mul_f32 v138, v59 /*v315*/, v183 :: v_dual_fma_f32 v137, v56 /*v312*/, v180, -v137
	s_set_vgpr_msb 0                        ;  msbs: dst=0 src0=0 src1=0 src2=0
	v_add_f32_e32 v105, v105, v119
	s_set_vgpr_msb 1                        ;  msbs: dst=0 src0=1 src1=0 src2=0
	v_fma_f32 v119, v106 /*v362*/, v226, -v130
	s_set_vgpr_msb 0                        ;  msbs: dst=0 src0=0 src1=0 src2=0
	v_add_f32_e32 v107, v107, v139
	s_set_vgpr_msb 1                        ;  msbs: dst=0 src0=1 src1=0 src2=0
	v_dual_mul_f32 v139, v61 /*v317*/, v185 :: v_dual_fma_f32 v138, v58 /*v314*/, v182, -v138
	s_set_vgpr_msb 0                        ;  msbs: dst=0 src0=0 src1=0 src2=0
	v_add_f32_e32 v105, v105, v123
	s_set_vgpr_msb 1                        ;  msbs: dst=0 src0=1 src1=0 src2=0
	v_fma_f32 v130, v112 /*v368*/, v232, -v117
	s_set_vgpr_msb 0                        ;  msbs: dst=0 src0=0 src1=0 src2=0
	v_add_f32_e32 v107, v107, v132
	s_set_vgpr_msb 1                        ;  msbs: dst=0 src0=1 src1=0 src2=0
	v_dual_mul_f32 v132, v67 /*v323*/, v187 :: v_dual_fma_f32 v139, v60 /*v316*/, v184, -v139
	s_set_vgpr_msb 0                        ;  msbs: dst=0 src0=0 src1=0 src2=0
	v_dual_add_f32 v105, v105, v125 :: v_dual_ashrrev_i32 v117, 31, v116
	v_add_f32_e32 v107, v107, v109
	s_set_vgpr_msb 1                        ;  msbs: dst=0 src0=1 src1=0 src2=0
	v_dual_mul_f32 v109, v69 /*v325*/, v189 :: v_dual_fma_f32 v132, v66 /*v322*/, v186, -v132
	s_set_vgpr_msb 0                        ;  msbs: dst=0 src0=0 src1=0 src2=0
	v_dual_add_f32 v105, v105, v127 :: v_dual_ashrrev_i32 v121, 31, v120
	;; [unrolled: 5-line block ×3, first 2 shown]
	v_add_f32_e32 v107, v107, v135
	s_set_vgpr_msb 1                        ;  msbs: dst=0 src0=1 src1=0 src2=0
	v_dual_mul_f32 v135, v73 /*v329*/, v193 :: v_dual_fma_f32 v134, v70 /*v326*/, v190, -v134
	v_ashrrev_i32_e32 v123, 31, v122
	s_set_vgpr_msb 0                        ;  msbs: dst=0 src0=0 src1=0 src2=0
	v_dual_ashrrev_i32 v127, 31, v126 :: v_dual_add_f32 v107, v107, v136
	s_set_vgpr_msb 1                        ;  msbs: dst=0 src0=1 src1=0 src2=0
	v_dual_mul_f32 v136, v75 /*v331*/, v195 :: v_dual_fma_f32 v135, v72 /*v328*/, v192, -v135
	s_set_vgpr_msb 0                        ;  msbs: dst=0 src0=0 src1=0 src2=0
	s_delay_alu instid0(VALU_DEP_2) | instskip(SKIP_1) | instid1(VALU_DEP_2)
	v_dual_ashrrev_i32 v125, 31, v124 :: v_dual_add_f32 v107, v107, v137
	s_set_vgpr_msb 1                        ;  msbs: dst=0 src0=1 src1=0 src2=0
	v_dual_mul_f32 v137, v77 /*v333*/, v197 :: v_dual_fma_f32 v136, v74 /*v330*/, v194, -v136
	s_set_vgpr_msb 0                        ;  msbs: dst=0 src0=0 src1=0 src2=0
	s_delay_alu instid0(VALU_DEP_2) | instskip(SKIP_1) | instid1(VALU_DEP_2)
	v_add_f32_e32 v107, v107, v138
	s_set_vgpr_msb 1                        ;  msbs: dst=0 src0=1 src1=0 src2=0
	v_dual_mul_f32 v138, v79 /*v335*/, v199 :: v_dual_fma_f32 v137, v76 /*v332*/, v196, -v137
	s_set_vgpr_msb 0                        ;  msbs: dst=0 src0=0 src1=0 src2=0
	s_delay_alu instid0(VALU_DEP_2) | instskip(SKIP_1) | instid1(VALU_DEP_2)
	v_add_f32_e32 v107, v107, v139
	;; [unrolled: 5-line block ×9, first 2 shown]
	s_set_vgpr_msb 1                        ;  msbs: dst=0 src0=1 src1=0 src2=0
	v_dual_mul_f32 v138, v95 /*v351*/, v215 :: v_dual_fma_f32 v137, v92 /*v348*/, v212, -v137
	s_set_vgpr_msb 0                        ;  msbs: dst=0 src0=0 src1=0 src2=0
	s_delay_alu instid0(VALU_DEP_2) | instskip(SKIP_3) | instid1(VALU_DEP_2)
	v_add_f32_e32 v107, v107, v139
	s_set_vgpr_msb 1                        ;  msbs: dst=0 src0=1 src1=0 src2=0
	v_mul_f32_e32 v139, v97 /*v353*/, v217
	s_set_vgpr_msb 0                        ;  msbs: dst=0 src0=0 src1=0 src2=0
	v_add_f32_e32 v107, v107, v132
	s_set_vgpr_msb 1                        ;  msbs: dst=0 src0=1 src1=0 src2=0
	v_mul_f32_e32 v132, v99 /*v355*/, v219
	v_mul_f32_e32 v111, v111 /*v367*/, v231
	s_set_vgpr_msb 0                        ;  msbs: dst=0 src0=0 src1=0 src2=0
	v_add_f32_e32 v107, v107, v109
	s_set_vgpr_msb 1                        ;  msbs: dst=0 src0=1 src1=0 src2=0
	v_dual_mul_f32 v109, v101 /*v357*/, v221 :: v_dual_fma_f32 v132, v98 /*v354*/, v218, -v132
	v_fma_f32 v111, v110 /*v366*/, v230, -v111
	s_set_vgpr_msb 0                        ;  msbs: dst=0 src0=0 src1=0 src2=0
	v_add_f32_e32 v107, v107, v134
	s_set_vgpr_msb 1                        ;  msbs: dst=0 src0=1 src1=0 src2=0
	v_dual_mul_f32 v134, v103 /*v359*/, v223 :: v_dual_fma_f32 v109, v100 /*v356*/, v220, -v109
	s_set_vgpr_msb 0                        ;  msbs: dst=0 src0=0 src1=0 src2=0
	s_delay_alu instid0(VALU_DEP_2) | instskip(SKIP_1) | instid1(VALU_DEP_2)
	v_add_f32_e32 v107, v107, v135
	s_set_vgpr_msb 1                        ;  msbs: dst=0 src0=1 src1=0 src2=0
	v_dual_mul_f32 v135, v105 /*v361*/, v225 :: v_dual_fma_f32 v134, v102 /*v358*/, v222, -v134
	s_set_vgpr_msb 0                        ;  msbs: dst=0 src0=0 src1=0 src2=0
	s_delay_alu instid0(VALU_DEP_2) | instskip(SKIP_3) | instid1(VALU_DEP_2)
	v_add_f32_e32 v107, v107, v136
	s_set_vgpr_msb 1                        ;  msbs: dst=0 src0=1 src1=0 src2=0
	v_fma_f32 v136, v94 /*v350*/, v214, -v138
	s_set_vgpr_msb 0                        ;  msbs: dst=0 src0=0 src1=0 src2=0
	v_add_f32_e32 v107, v107, v137
	s_set_vgpr_msb 1                        ;  msbs: dst=0 src0=1 src1=0 src2=0
	v_fma_f32 v137, v96 /*v352*/, v216, -v139
	v_pk_mul_f32 v[138:139], v[50:51] /*v[306:307]*/, v[242:243] op_sel:[1,1] op_sel_hi:[0,1]
	s_set_vgpr_msb 0                        ;  msbs: dst=0 src0=0 src1=0 src2=0
	v_dual_add_f32 v107, v107, v136 :: v_dual_mov_b32 v136, v241
	s_delay_alu instid0(VALU_DEP_1) | instskip(SKIP_1) | instid1(VALU_DEP_2)
	v_add_f32_e32 v107, v107, v137
	s_set_vgpr_msb 1                        ;  msbs: dst=0 src0=1 src1=0 src2=0
	v_pk_mul_f32 v[136:137], v[122:123] /*v[378:379]*/, v[136:137] op_sel_hi:[1,0]
	s_set_vgpr_msb 0                        ;  msbs: dst=0 src0=0 src1=0 src2=0
	s_delay_alu instid0(VALU_DEP_2) | instskip(NEXT) | instid1(VALU_DEP_1)
	v_dual_add_f32 v107, v107, v132 :: v_dual_mov_b32 v132, v237
	v_add_f32_e32 v107, v107, v109
	s_set_vgpr_msb 1                        ;  msbs: dst=0 src0=1 src1=0 src2=0
	v_fma_f32 v109, v104 /*v360*/, v224, -v135
	s_delay_alu instid0(VALU_DEP_3)
	v_pk_mul_f32 v[140:141], v[120:121] /*v[376:377]*/, v[132:133] op_sel_hi:[1,0]
	v_dual_fmac_f32 v133, v35 /*v291*/, v234 :: v_dual_fma_f32 v132, v34 /*v290*/, v234, -v115
	s_set_vgpr_msb 0                        ;  msbs: dst=0 src0=0 src1=0 src2=0
	v_add_f32_e32 v107, v107, v134
	s_set_vgpr_msb 1                        ;  msbs: dst=0 src0=1 src1=0 src2=0
	v_pk_mul_f32 v[134:135], v[46:47] /*v[302:303]*/, v[238:239] op_sel:[1,1] op_sel_hi:[0,1]
	v_pk_fma_f32 v[146:147], v[36:37] /*v[292:293]*/, v[236:237], v[140:141] op_sel_hi:[1,0,1]
	v_pk_fma_f32 v[140:141], v[36:37] /*v[292:293]*/, v[236:237], v[140:141] neg_lo:[0,0,1] neg_hi:[0,0,1]
	s_set_vgpr_msb 0                        ;  msbs: dst=0 src0=0 src1=0 src2=0
	v_dual_ashrrev_i32 v115, 31, v114 :: v_dual_add_f32 v107, v107, v109
	s_set_vgpr_msb 1                        ;  msbs: dst=0 src0=1 src1=0 src2=0
	v_fma_f32 v109, v108 /*v364*/, v228, -v113
	s_set_vgpr_msb 0                        ;  msbs: dst=0 src0=0 src1=0 src2=0
	v_dual_mov_b32 v141, v147 :: v_dual_ashrrev_i32 v113, 31, v112
	v_dual_add_f32 v107, v107, v119 :: v_dual_ashrrev_i32 v119, 31, v118
	s_delay_alu instid0(VALU_DEP_1) | instskip(NEXT) | instid1(VALU_DEP_1)
	v_dual_add_f32 v107, v107, v109 :: v_dual_ashrrev_i32 v109, 31, v108
	v_dual_add_f32 v142, v107, v111 :: v_dual_ashrrev_i32 v107, 31, v106
	v_ashrrev_i32_e32 v111, 31, v110
	s_delay_alu instid0(VALU_DEP_2)
	v_pk_add_f32 v[130:131], v[142:143], v[130:131]
	s_set_vgpr_msb 1                        ;  msbs: dst=0 src0=1 src1=0 src2=0
	v_pk_fma_f32 v[142:143], v[46:47] /*v[302:303]*/, v[238:239], v[134:135] op_sel_hi:[1,0,1]
	v_pk_fma_f32 v[134:135], v[46:47] /*v[302:303]*/, v[238:239], v[134:135] neg_lo:[0,0,1] neg_hi:[0,0,1]
	s_set_vgpr_msb 0                        ;  msbs: dst=0 src0=0 src1=0 src2=0
	v_pk_add_f32 v[130:131], v[130:131], v[132:133]
	s_delay_alu instid0(VALU_DEP_3)
	v_mov_b32_e32 v135, v143
	s_set_vgpr_msb 1                        ;  msbs: dst=0 src0=1 src1=0 src2=0
	v_pk_fma_f32 v[142:143], v[48:49] /*v[304:305]*/, v[240:241], v[136:137] op_sel_hi:[1,0,1]
	v_pk_fma_f32 v[136:137], v[48:49] /*v[304:305]*/, v[240:241], v[136:137] neg_lo:[0,0,1] neg_hi:[0,0,1]
	s_wait_loadcnt 0x2
	v_pk_mul_f32 v[132:133], v[62:63] /*v[318:319]*/, v[246:247] op_sel:[1,1] op_sel_hi:[0,1]
	s_set_vgpr_msb 0                        ;  msbs: dst=0 src0=0 src1=0 src2=0
	v_pk_add_f32 v[130:131], v[130:131], v[140:141]
	s_set_vgpr_msb 1                        ;  msbs: dst=0 src0=1 src1=0 src2=0
	v_pk_fma_f32 v[140:141], v[50:51] /*v[306:307]*/, v[242:243], v[138:139] op_sel_hi:[1,0,1]
	s_set_vgpr_msb 0                        ;  msbs: dst=0 src0=0 src1=0 src2=0
	v_mov_b32_e32 v137, v143
	s_set_vgpr_msb 1                        ;  msbs: dst=0 src0=1 src1=0 src2=0
	v_pk_fma_f32 v[138:139], v[50:51] /*v[306:307]*/, v[242:243], v[138:139] neg_lo:[0,0,1] neg_hi:[0,0,1]
	v_pk_fma_f32 v[142:143], v[52:53] /*v[308:309]*/, v[244:245], v[144:145] neg_lo:[0,0,1] neg_hi:[0,0,1]
	s_set_vgpr_msb 0                        ;  msbs: dst=0 src0=0 src1=0 src2=0
	v_pk_add_f32 v[130:131], v[130:131], v[134:135]
	v_dual_mov_b32 v134, v249 :: v_dual_mov_b32 v139, v141
	s_set_vgpr_msb 1                        ;  msbs: dst=0 src0=1 src1=0 src2=0
	v_pk_fma_f32 v[140:141], v[52:53] /*v[308:309]*/, v[244:245], v[144:145] op_sel_hi:[1,0,1]
	s_set_vgpr_msb 0                        ;  msbs: dst=0 src0=0 src1=0 src2=0
	v_pk_add_f32 v[130:131], v[130:131], v[136:137]
	s_set_vgpr_msb 1                        ;  msbs: dst=0 src0=1 src1=0 src2=0
	v_pk_fma_f32 v[136:137], v[62:63] /*v[318:319]*/, v[246:247], v[132:133] op_sel_hi:[1,0,1]
	v_pk_mul_f32 v[134:135], v[126:127] /*v[382:383]*/, v[134:135] op_sel_hi:[1,0]
	s_set_vgpr_msb 0                        ;  msbs: dst=0 src0=0 src1=0 src2=0
	v_mov_b32_e32 v143, v141
	s_set_vgpr_msb 1                        ;  msbs: dst=0 src0=1 src1=0 src2=0
	v_pk_fma_f32 v[132:133], v[62:63] /*v[318:319]*/, v[246:247], v[132:133] neg_lo:[0,0,1] neg_hi:[0,0,1]
	s_set_vgpr_msb 0                        ;  msbs: dst=0 src0=0 src1=0 src2=0
	v_pk_add_f32 v[130:131], v[130:131], v[138:139]
	v_mov_b32_e32 v133, v137
	s_set_vgpr_msb 1                        ;  msbs: dst=0 src0=1 src1=0 src2=0
	v_pk_fma_f32 v[136:137], v[64:65] /*v[320:321]*/, v[248:249], v[134:135] op_sel_hi:[1,0,1]
	s_wait_loadcnt_dscnt 0x100
	s_set_vgpr_msb 5                        ;  msbs: dst=0 src0=1 src1=1 src2=0
	v_pk_mul_f32 v[138:139], v[118:119] /*v[374:375]*/, v[114:115] /*v[370:371]*/ op_sel:[1,1] op_sel_hi:[0,1]
	s_set_vgpr_msb 1                        ;  msbs: dst=0 src0=1 src1=0 src2=0
	v_pk_fma_f32 v[134:135], v[64:65] /*v[320:321]*/, v[248:249], v[134:135] neg_lo:[0,0,1] neg_hi:[0,0,1]
	s_set_vgpr_msb 0                        ;  msbs: dst=0 src0=0 src1=0 src2=0
	v_pk_add_f32 v[130:131], v[130:131], v[142:143]
	v_mov_b32_e32 v135, v137
	s_set_vgpr_msb 5                        ;  msbs: dst=0 src0=1 src1=1 src2=0
	v_pk_fma_f32 v[136:137], v[118:119] /*v[374:375]*/, v[114:115] /*v[370:371]*/, v[138:139] neg_lo:[0,0,1] neg_hi:[0,0,1]
	s_set_vgpr_msb 0                        ;  msbs: dst=0 src0=0 src1=0 src2=0
	v_pk_add_f32 v[130:131], v[130:131], v[132:133]
	s_set_vgpr_msb 5                        ;  msbs: dst=0 src0=1 src1=1 src2=0
	v_pk_fma_f32 v[132:133], v[118:119] /*v[374:375]*/, v[114:115] /*v[370:371]*/, v[138:139] op_sel_hi:[1,0,1]
	s_set_vgpr_msb 0                        ;  msbs: dst=0 src0=0 src1=0 src2=0
	s_delay_alu instid0(VALU_DEP_2) | instskip(NEXT) | instid1(VALU_DEP_2)
	v_pk_add_f32 v[130:131], v[130:131], v[134:135]
	v_mov_b32_e32 v137, v133
	s_delay_alu instid0(VALU_DEP_1) | instskip(SKIP_2) | instid1(VALU_DEP_1)
	v_pk_add_f32 v[130:131], v[130:131], v[136:137]
	s_wait_loadcnt 0x0
	s_set_vgpr_msb 1                        ;  msbs: dst=0 src0=1 src1=0 src2=0
	v_pk_add_f32 v[130:131], v[116:117] /*v[372:373]*/, v[130:131] neg_lo:[0,1] neg_hi:[0,1]
	scratch_store_b64 off, v[130:131], off offset:8
	s_wait_xcnt 0x0
	v_cmpx_ne_u32_e32 0, v0
	s_set_vgpr_msb 0                        ;  msbs: dst=0 src0=0 src1=0 src2=0
	s_cbranch_execz .LBB126_391
; %bb.390:
	scratch_load_b64 v[130:131], off, off
	v_mov_b64_e32 v[132:133], 0
	scratch_store_b64 off, v[132:133], off
	s_wait_loadcnt 0x0
	ds_store_b64 v1, v[130:131]
.LBB126_391:
	s_wait_xcnt 0x0
	s_or_b32 exec_lo, exec_lo, s0
	s_wait_storecnt_dscnt 0x0
	s_barrier_signal -1
	s_barrier_wait -1
	s_clause 0x1a
	scratch_load_b128 v[130:133], off, off offset:8
	scratch_load_b128 v[134:137], off, off offset:24
	scratch_load_b128 v[138:141], off, off offset:40
	scratch_load_b128 v[142:145], off, off offset:56
	scratch_load_b128 v[146:149], off, off offset:72
	scratch_load_b128 v[150:153], off, off offset:88
	scratch_load_b128 v[154:157], off, off offset:104
	scratch_load_b128 v[158:161], off, off offset:120
	scratch_load_b128 v[162:165], off, off offset:136
	scratch_load_b128 v[166:169], off, off offset:152
	scratch_load_b128 v[170:173], off, off offset:168
	scratch_load_b128 v[174:177], off, off offset:184
	scratch_load_b128 v[178:181], off, off offset:200
	scratch_load_b128 v[182:185], off, off offset:216
	scratch_load_b128 v[186:189], off, off offset:232
	scratch_load_b128 v[190:193], off, off offset:248
	scratch_load_b128 v[194:197], off, off offset:264
	scratch_load_b128 v[198:201], off, off offset:280
	scratch_load_b128 v[202:205], off, off offset:296
	scratch_load_b128 v[206:209], off, off offset:312
	scratch_load_b128 v[210:213], off, off offset:328
	scratch_load_b128 v[214:217], off, off offset:344
	scratch_load_b128 v[218:221], off, off offset:360
	scratch_load_b128 v[222:225], off, off offset:376
	scratch_load_b128 v[226:229], off, off offset:392
	scratch_load_b128 v[230:233], off, off offset:408
	scratch_load_b128 v[234:237], off, off offset:424
	ds_load_2addr_b64 v[238:241], v128 offset0:65 offset1:66
	ds_load_2addr_b64 v[242:245], v128 offset0:67 offset1:68
	;; [unrolled: 1-line block ×5, first 2 shown]
	s_set_vgpr_msb 64                       ;  msbs: dst=1 src0=0 src1=0 src2=0
	ds_load_2addr_b64 v[2:5] /*v[258:261]*/, v128 offset0:75 offset1:76
	ds_load_2addr_b64 v[6:9] /*v[262:265]*/, v128 offset0:77 offset1:78
	;; [unrolled: 1-line block ×14, first 2 shown]
	scratch_load_b128 v[58:61] /*v[314:317]*/, off, off offset:440
	ds_load_2addr_b64 v[62:65] /*v[318:321]*/, v128 offset0:123 offset1:124
	ds_load_2addr_b64 v[66:69] /*v[322:325]*/, v128 offset0:125 offset1:126
	ds_load_2addr_b64 v[70:73] /*v[326:329]*/, v128 offset0:97 offset1:98
	ds_load_2addr_b64 v[74:77] /*v[330:333]*/, v128 offset0:99 offset1:100
	ds_load_2addr_b64 v[78:81] /*v[334:337]*/, v128 offset0:101 offset1:102
	ds_load_2addr_b64 v[82:85] /*v[338:341]*/, v128 offset0:103 offset1:104
	ds_load_2addr_b64 v[86:89] /*v[342:345]*/, v128 offset0:105 offset1:106
	ds_load_2addr_b64 v[90:93] /*v[346:349]*/, v128 offset0:107 offset1:108
	ds_load_2addr_b64 v[94:97] /*v[350:353]*/, v128 offset0:109 offset1:110
	ds_load_2addr_b64 v[98:101] /*v[354:357]*/, v128 offset0:111 offset1:112
	ds_load_2addr_b64 v[102:105] /*v[358:361]*/, v128 offset0:113 offset1:114
	ds_load_2addr_b64 v[106:109] /*v[362:365]*/, v128 offset0:115 offset1:116
	s_clause 0x4
	scratch_load_b128 v[110:113] /*v[366:369]*/, off, off offset:456
	scratch_load_b128 v[114:117] /*v[370:373]*/, off, off offset:472
	;; [unrolled: 1-line block ×3, first 2 shown]
	s_set_vgpr_msb 0                        ;  msbs: dst=0 src0=0 src1=0 src2=0
	scratch_load_b64 v[0:1], off, off
	s_and_b32 vcc_lo, exec_lo, s12
	s_wait_dscnt 0xb
	s_set_vgpr_msb 0x41                     ;  msbs: dst=1 src0=1 src1=0 src2=0
	v_dual_mov_b32 v124 /*v380*/, v65 /*v321*/ :: v_dual_mov_b32 v125 /*v381*/, v64 /*v320*/
	s_wait_dscnt 0xa
	v_dual_mov_b32 v126 /*v382*/, v69 /*v325*/ :: v_dual_mov_b32 v127 /*v383*/, v68 /*v324*/
	s_set_vgpr_msb 1                        ;  msbs: dst=0 src0=1 src1=0 src2=0
	v_dual_mov_b32 v128, v45 /*v301*/ :: v_dual_mov_b32 v129, v44 /*v300*/
	s_set_vgpr_msb 0x41                     ;  msbs: dst=1 src0=1 src1=0 src2=0
	v_dual_mov_b32 v122 /*v378*/, v57 /*v313*/ :: v_dual_mov_b32 v123 /*v379*/, v56 /*v312*/
	s_wait_loadcnt 0x1f
	s_set_vgpr_msb 64                       ;  msbs: dst=1 src0=0 src1=0 src2=0
	v_dual_mul_f32 v128 /*v384*/, v238, v131 :: v_dual_mul_f32 v130 /*v386*/, v240, v133
	s_set_vgpr_msb 0                        ;  msbs: dst=0 src0=0 src1=0 src2=0
	v_dual_mul_f32 v131, v239, v131 :: v_dual_mul_f32 v133, v241, v133
	s_wait_loadcnt 0x1c
	s_set_vgpr_msb 64                       ;  msbs: dst=1 src0=0 src1=0 src2=0
	v_dual_mul_f32 v136 /*v392*/, v250, v143 :: v_dual_mul_f32 v137 /*v393*/, v252, v145
	s_wait_loadcnt 0x1b
	v_dual_mul_f32 v138 /*v394*/, v254, v147 :: v_dual_fmac_f32 v128 /*v384*/, v239, v130
	s_set_vgpr_msb 0                        ;  msbs: dst=0 src0=0 src1=0 src2=0
	v_dual_mul_f32 v143, v251, v143 :: v_dual_fma_f32 v130, v238, v130, -v131
	s_set_vgpr_msb 64                       ;  msbs: dst=1 src0=0 src1=0 src2=0
	v_dual_mul_f32 v132 /*v388*/, v242, v135 :: v_dual_mul_f32 v133 /*v389*/, v244, v137
	s_set_vgpr_msb 0                        ;  msbs: dst=0 src0=0 src1=0 src2=0
	v_dual_mul_f32 v135, v243, v135 :: v_dual_mul_f32 v137, v245, v137
	v_mul_f32_e32 v131, v253, v145
	s_set_vgpr_msb 64                       ;  msbs: dst=1 src0=0 src1=0 src2=0
	v_dual_fmac_f32 v130 /*v386*/, v241, v132 :: v_dual_fmac_f32 v132 /*v388*/, v243, v134
	s_set_vgpr_msb 0                        ;  msbs: dst=0 src0=0 src1=0 src2=0
	v_dual_fma_f32 v132, v240, v132, -v133 :: v_dual_add_f32 v130, 0, v130
	v_dual_mul_f32 v145, v255, v147 :: v_dual_fma_f32 v134, v242, v134, -v135
	v_fma_f32 v135, v244, v136, -v137
	s_set_vgpr_msb 64                       ;  msbs: dst=1 src0=0 src1=0 src2=0
	v_dual_mul_f32 v134 /*v390*/, v246, v139 :: v_dual_mul_f32 v135 /*v391*/, v248, v141
	s_set_vgpr_msb 0                        ;  msbs: dst=0 src0=0 src1=0 src2=0
	v_dual_add_f32 v130, v130, v132 :: v_dual_mul_f32 v139, v247, v139
	v_mul_f32_e32 v141, v249, v141
	s_set_vgpr_msb 64                       ;  msbs: dst=1 src0=0 src1=0 src2=0
	v_dual_fmac_f32 v133 /*v389*/, v245, v136 :: v_dual_fmac_f32 v134 /*v390*/, v247, v138
	s_set_vgpr_msb 0                        ;  msbs: dst=0 src0=0 src1=0 src2=0
	v_add_f32_e32 v130, v130, v134
	v_dual_fma_f32 v136, v246, v138, -v139 :: v_dual_fma_f32 v137, v248, v140, -v141
	v_fma_f32 v131, v252, v144, -v131
	v_fma_f32 v138, v250, v142, -v143
	s_delay_alu instid0(VALU_DEP_4)
	v_add_f32_e32 v130, v130, v135
	s_wait_loadcnt 0x1a
	s_set_vgpr_msb 1                        ;  msbs: dst=0 src0=1 src1=0 src2=0
	v_dual_mul_f32 v132, v1 /*v257*/, v149 :: v_dual_mul_f32 v134, v3 /*v259*/, v151
	s_set_vgpr_msb 0                        ;  msbs: dst=0 src0=0 src1=0 src2=0
	v_fma_f32 v139, v254, v146, -v145
	s_set_vgpr_msb 1                        ;  msbs: dst=0 src0=1 src1=0 src2=0
	v_mul_f32_e32 v135, v5 /*v261*/, v153
	s_set_vgpr_msb 0                        ;  msbs: dst=0 src0=0 src1=0 src2=0
	v_add_f32_e32 v130, v130, v136
	s_wait_loadcnt 0x19
	s_set_vgpr_msb 1                        ;  msbs: dst=0 src0=1 src1=0 src2=0
	v_dual_mul_f32 v136, v7 /*v263*/, v155 :: v_dual_fma_f32 v132, v0 /*v256*/, v148, -v132
	s_set_vgpr_msb 64                       ;  msbs: dst=1 src0=0 src1=0 src2=0
	v_dual_fmac_f32 v135 /*v391*/, v249, v140 :: v_dual_fmac_f32 v136 /*v392*/, v251, v142
	s_set_vgpr_msb 0                        ;  msbs: dst=0 src0=0 src1=0 src2=0
	v_add_f32_e32 v130, v130, v137
	s_set_vgpr_msb 1                        ;  msbs: dst=0 src0=1 src1=0 src2=0
	v_dual_mul_f32 v137, v9 /*v265*/, v157 :: v_dual_fma_f32 v134, v2 /*v258*/, v150, -v134
	s_set_vgpr_msb 4                        ;  msbs: dst=0 src0=0 src1=1 src2=0
	v_add_f32_e32 v133, 0, v128 /*v384*/
	s_set_vgpr_msb 64                       ;  msbs: dst=1 src0=0 src1=0 src2=0
	v_dual_fmac_f32 v137 /*v393*/, v253, v144 :: v_dual_fmac_f32 v138 /*v394*/, v255, v146
	s_set_vgpr_msb 0                        ;  msbs: dst=0 src0=0 src1=0 src2=0
	v_add_f32_e32 v130, v130, v138
	s_wait_loadcnt 0x18
	s_set_vgpr_msb 1                        ;  msbs: dst=0 src0=1 src1=0 src2=0
	v_dual_fma_f32 v135, v4 /*v260*/, v152, -v135 :: v_dual_mul_f32 v138, v11 /*v267*/, v159
	s_set_vgpr_msb 0x41                     ;  msbs: dst=1 src0=1 src1=0 src2=0
	v_dual_mul_f32 v139 /*v395*/, v0 /*v256*/, v149 :: v_dual_mul_f32 v140 /*v396*/, v2 /*v258*/, v151
	s_set_vgpr_msb 0                        ;  msbs: dst=0 src0=0 src1=0 src2=0
	v_add_f32_e32 v130, v130, v131
	s_set_vgpr_msb 1                        ;  msbs: dst=0 src0=1 src1=0 src2=0
	v_dual_mul_f32 v131, v13 /*v269*/, v161 :: v_dual_fma_f32 v136, v6 /*v262*/, v154, -v136
	s_wait_loadcnt 0x5
	s_set_vgpr_msb 0x41                     ;  msbs: dst=1 src0=1 src1=0 src2=0
	v_dual_mul_f32 v131 /*v387*/, v40 /*v296*/, v237 :: v_dual_fmac_f32 v139 /*v395*/, v1 /*v257*/, v148
	s_set_vgpr_msb 0                        ;  msbs: dst=0 src0=0 src1=0 src2=0
	v_add_f32_e32 v130, v130, v139
	s_set_vgpr_msb 1                        ;  msbs: dst=0 src0=1 src1=0 src2=0
	v_dual_mul_f32 v139, v15 /*v271*/, v163 :: v_dual_fma_f32 v137, v8 /*v264*/, v156, -v137
	s_set_vgpr_msb 0x41                     ;  msbs: dst=1 src0=1 src1=0 src2=0
	v_dual_mul_f32 v141 /*v397*/, v4 /*v260*/, v153 :: v_dual_mul_f32 v142 /*v398*/, v6 /*v262*/, v155
	s_set_vgpr_msb 0                        ;  msbs: dst=0 src0=0 src1=0 src2=0
	v_add_f32_e32 v130, v130, v132
	s_set_vgpr_msb 1                        ;  msbs: dst=0 src0=1 src1=0 src2=0
	v_dual_mul_f32 v132, v17 /*v273*/, v165 :: v_dual_fma_f32 v138, v10 /*v266*/, v158, -v138
	s_set_vgpr_msb 0x41                     ;  msbs: dst=1 src0=1 src1=0 src2=0
	v_dual_fmac_f32 v140 /*v396*/, v3 /*v259*/, v150 :: v_dual_fmac_f32 v141 /*v397*/, v5 /*v261*/, v152
	s_set_vgpr_msb 0                        ;  msbs: dst=0 src0=0 src1=0 src2=0
	v_add_f32_e32 v130, v130, v134
	s_set_vgpr_msb 1                        ;  msbs: dst=0 src0=1 src1=0 src2=0
	v_dual_mul_f32 v134, v19 /*v275*/, v167 :: v_dual_fma_f32 v131, v12 /*v268*/, v160, -v131
	s_set_vgpr_msb 0x41                     ;  msbs: dst=1 src0=1 src1=0 src2=0
	v_dual_mul_f32 v143 /*v399*/, v8 /*v264*/, v157 :: v_dual_mul_f32 v144 /*v400*/, v10 /*v266*/, v159
	s_set_vgpr_msb 0                        ;  msbs: dst=0 src0=0 src1=0 src2=0
	v_add_f32_e32 v130, v130, v135
	s_set_vgpr_msb 1                        ;  msbs: dst=0 src0=1 src1=0 src2=0
	v_dual_mul_f32 v135, v21 /*v277*/, v169 :: v_dual_fma_f32 v139, v14 /*v270*/, v162, -v139
	s_set_vgpr_msb 0x41                     ;  msbs: dst=1 src0=1 src1=0 src2=0
	v_dual_fmac_f32 v142 /*v398*/, v7 /*v263*/, v154 :: v_dual_fmac_f32 v143 /*v399*/, v9 /*v265*/, v156
	;; [unrolled: 12-line block ×8, first 2 shown]
	s_set_vgpr_msb 0                        ;  msbs: dst=0 src0=0 src1=0 src2=0
	v_add_f32_e32 v130, v130, v139
	s_wait_dscnt 0x9
	s_set_vgpr_msb 1                        ;  msbs: dst=0 src0=1 src1=0 src2=0
	v_dual_mul_f32 v139, v71 /*v327*/, v195 :: v_dual_fma_f32 v137, v48 /*v304*/, v188, -v137
	s_set_vgpr_msb 0x41                     ;  msbs: dst=1 src0=1 src1=0 src2=0
	v_dual_mul_f32 v157 /*v413*/, v36 /*v292*/, v185 :: v_dual_mul_f32 v158 /*v414*/, v46 /*v302*/, v187
	s_set_vgpr_msb 0                        ;  msbs: dst=0 src0=0 src1=0 src2=0
	v_add_f32_e32 v130, v130, v132
	s_set_vgpr_msb 1                        ;  msbs: dst=0 src0=1 src1=0 src2=0
	v_dual_mul_f32 v132, v73 /*v329*/, v197 :: v_dual_fma_f32 v138, v50 /*v306*/, v190, -v138
	s_set_vgpr_msb 0x41                     ;  msbs: dst=1 src0=1 src1=0 src2=0
	v_dual_fmac_f32 v156 /*v412*/, v35 /*v291*/, v182 :: v_dual_fmac_f32 v157 /*v413*/, v37 /*v293*/, v184
	s_set_vgpr_msb 0                        ;  msbs: dst=0 src0=0 src1=0 src2=0
	v_add_f32_e32 v130, v130, v134
	s_wait_dscnt 0x8
	s_set_vgpr_msb 1                        ;  msbs: dst=0 src0=1 src1=0 src2=0
	v_dual_mul_f32 v134, v75 /*v331*/, v199 :: v_dual_fma_f32 v131, v52 /*v308*/, v192, -v131
	s_set_vgpr_msb 0x41                     ;  msbs: dst=1 src0=1 src1=0 src2=0
	v_dual_mul_f32 v159 /*v415*/, v48 /*v304*/, v189 :: v_dual_mul_f32 v160 /*v416*/, v50 /*v306*/, v191
	s_set_vgpr_msb 0                        ;  msbs: dst=0 src0=0 src1=0 src2=0
	v_add_f32_e32 v130, v130, v135
	s_set_vgpr_msb 1                        ;  msbs: dst=0 src0=1 src1=0 src2=0
	v_dual_mul_f32 v135, v77 /*v333*/, v201 :: v_dual_fma_f32 v139, v70 /*v326*/, v194, -v139
	s_set_vgpr_msb 0x41                     ;  msbs: dst=1 src0=1 src1=0 src2=0
	v_dual_fmac_f32 v158 /*v414*/, v47 /*v303*/, v186 :: v_dual_fmac_f32 v159 /*v415*/, v49 /*v305*/, v188
	;; [unrolled: 13-line block ×5, first 2 shown]
	s_set_vgpr_msb 0                        ;  msbs: dst=0 src0=0 src1=0 src2=0
	v_add_f32_e32 v130, v130, v134
	s_wait_dscnt 0x4
	s_set_vgpr_msb 1                        ;  msbs: dst=0 src0=1 src1=0 src2=0
	v_dual_mul_f32 v134, v91 /*v347*/, v215 :: v_dual_fma_f32 v131, v84 /*v340*/, v208, -v131
	s_set_vgpr_msb 0x41                     ;  msbs: dst=1 src0=1 src1=0 src2=0
	v_dual_mul_f32 v167 /*v423*/, v80 /*v336*/, v205 :: v_dual_mul_f32 v168 /*v424*/, v82 /*v338*/, v207
	s_set_vgpr_msb 0                        ;  msbs: dst=0 src0=0 src1=0 src2=0
	v_add_f32_e32 v130, v130, v135
	s_set_vgpr_msb 1                        ;  msbs: dst=0 src0=1 src1=0 src2=0
	v_dual_mul_f32 v135, v93 /*v349*/, v217 :: v_dual_fma_f32 v139, v86 /*v342*/, v210, -v139
	s_wait_dscnt 0x1
	v_mul_f32_e32 v140, v105 /*v361*/, v229
	s_set_vgpr_msb 0x41                     ;  msbs: dst=1 src0=1 src1=0 src2=0
	v_dual_fmac_f32 v166 /*v422*/, v79 /*v335*/, v202 :: v_dual_fmac_f32 v167 /*v423*/, v81 /*v337*/, v204
	s_set_vgpr_msb 0                        ;  msbs: dst=0 src0=0 src1=0 src2=0
	v_add_f32_e32 v130, v130, v136
	s_set_vgpr_msb 1                        ;  msbs: dst=0 src0=1 src1=0 src2=0
	v_dual_mul_f32 v136, v95 /*v351*/, v219 :: v_dual_fma_f32 v132, v88 /*v344*/, v212, -v132
	s_wait_dscnt 0x0
	v_mul_f32_e32 v141, v107 /*v363*/, v231
	s_set_vgpr_msb 0x41                     ;  msbs: dst=1 src0=1 src1=0 src2=0
	v_dual_mul_f32 v169 /*v425*/, v84 /*v340*/, v209 :: v_dual_mul_f32 v170 /*v426*/, v86 /*v342*/, v211
	s_set_vgpr_msb 0                        ;  msbs: dst=0 src0=0 src1=0 src2=0
	v_add_f32_e32 v130, v130, v137
	s_set_vgpr_msb 1                        ;  msbs: dst=0 src0=1 src1=0 src2=0
	v_dual_mul_f32 v137, v97 /*v353*/, v221 :: v_dual_fma_f32 v134, v90 /*v346*/, v214, -v134
	v_mul_f32_e32 v142, v109 /*v365*/, v233
	s_set_vgpr_msb 0x41                     ;  msbs: dst=1 src0=1 src1=0 src2=0
	v_dual_fmac_f32 v168 /*v424*/, v83 /*v339*/, v206 :: v_dual_fmac_f32 v169 /*v425*/, v85 /*v341*/, v208
	s_set_vgpr_msb 0                        ;  msbs: dst=0 src0=0 src1=0 src2=0
	v_add_f32_e32 v130, v130, v138
	s_set_vgpr_msb 1                        ;  msbs: dst=0 src0=1 src1=0 src2=0
	v_mul_f32_e32 v138, v99 /*v355*/, v223
	s_set_vgpr_msb 0x41                     ;  msbs: dst=1 src0=1 src1=0 src2=0
	v_dual_mul_f32 v171 /*v427*/, v88 /*v344*/, v213 :: v_dual_mul_f32 v172 /*v428*/, v90 /*v346*/, v215
	v_fmac_f32_e32 v170 /*v426*/, v87 /*v343*/, v210
	s_set_vgpr_msb 0                        ;  msbs: dst=0 src0=0 src1=0 src2=0
	v_add_f32_e32 v130, v130, v131
	s_set_vgpr_msb 1                        ;  msbs: dst=0 src0=1 src1=0 src2=0
	v_mul_f32_e32 v131, v101 /*v357*/, v225
	v_mul_f32_e32 v143, v41 /*v297*/, v237
	s_set_vgpr_msb 0x41                     ;  msbs: dst=1 src0=1 src1=0 src2=0
	v_dual_fmac_f32 v171 /*v427*/, v89 /*v345*/, v212 :: v_dual_mul_f32 v173 /*v429*/, v92 /*v348*/, v217
	v_mul_f32_e32 v174 /*v430*/, v94 /*v350*/, v219
	s_set_vgpr_msb 0                        ;  msbs: dst=0 src0=0 src1=0 src2=0
	v_add_f32_e32 v130, v130, v139
	s_set_vgpr_msb 1                        ;  msbs: dst=0 src0=1 src1=0 src2=0
	v_mul_f32_e32 v139, v103 /*v359*/, v227
	s_set_vgpr_msb 0x41                     ;  msbs: dst=1 src0=1 src1=0 src2=0
	v_dual_fmac_f32 v172 /*v428*/, v91 /*v347*/, v214 :: v_dual_fmac_f32 v173 /*v429*/, v93 /*v349*/, v216
	v_dual_mul_f32 v175 /*v431*/, v96 /*v352*/, v221 :: v_dual_mul_f32 v176 /*v432*/, v98 /*v354*/, v223
	s_set_vgpr_msb 0                        ;  msbs: dst=0 src0=0 src1=0 src2=0
	v_add_f32_e32 v130, v130, v132
	s_set_vgpr_msb 1                        ;  msbs: dst=0 src0=1 src1=0 src2=0
	v_fma_f32 v132, v92 /*v348*/, v216, -v135
	v_fma_f32 v135, v102 /*v358*/, v226, -v139
	s_set_vgpr_msb 0x41                     ;  msbs: dst=1 src0=1 src1=0 src2=0
	v_dual_fmac_f32 v174 /*v430*/, v95 /*v351*/, v218 :: v_dual_fmac_f32 v175 /*v431*/, v97 /*v353*/, v220
	s_set_vgpr_msb 0                        ;  msbs: dst=0 src0=0 src1=0 src2=0
	v_add_f32_e32 v130, v130, v134
	s_set_vgpr_msb 1                        ;  msbs: dst=0 src0=1 src1=0 src2=0
	v_fma_f32 v134, v94 /*v350*/, v218, -v136
	v_dual_fma_f32 v136, v104 /*v360*/, v228, -v140 :: v_dual_fma_f32 v139, v106 /*v362*/, v230, -v141
	s_set_vgpr_msb 0x41                     ;  msbs: dst=1 src0=1 src1=0 src2=0
	v_dual_mul_f32 v177 /*v433*/, v100 /*v356*/, v225 :: v_dual_mul_f32 v178 /*v434*/, v102 /*v358*/, v227
	s_set_vgpr_msb 0                        ;  msbs: dst=0 src0=0 src1=0 src2=0
	v_add_f32_e32 v130, v130, v132
	s_set_vgpr_msb 1                        ;  msbs: dst=0 src0=1 src1=0 src2=0
	v_dual_fma_f32 v132, v96 /*v352*/, v220, -v137 :: v_dual_mul_f32 v137, v39 /*v295*/, v235
	v_fma_f32 v140, v108 /*v364*/, v232, -v142
	s_set_vgpr_msb 0x41                     ;  msbs: dst=1 src0=1 src1=0 src2=0
	v_dual_fmac_f32 v176 /*v432*/, v99 /*v355*/, v222 :: v_dual_fmac_f32 v177 /*v433*/, v101 /*v357*/, v224
	s_set_vgpr_msb 0                        ;  msbs: dst=0 src0=0 src1=0 src2=0
	v_add_f32_e32 v130, v130, v134
	s_set_vgpr_msb 1                        ;  msbs: dst=0 src0=1 src1=0 src2=0
	v_fma_f32 v134, v98 /*v354*/, v222, -v138
	s_set_vgpr_msb 0x41                     ;  msbs: dst=1 src0=1 src1=0 src2=0
	v_dual_mul_f32 v179 /*v435*/, v104 /*v360*/, v229 :: v_dual_mul_f32 v180 /*v436*/, v106 /*v362*/, v231
	v_fmac_f32_e32 v178 /*v434*/, v103 /*v359*/, v226
	s_set_vgpr_msb 0                        ;  msbs: dst=0 src0=0 src1=0 src2=0
	v_add_f32_e32 v130, v130, v132
	s_set_vgpr_msb 1                        ;  msbs: dst=0 src0=1 src1=0 src2=0
	v_fma_f32 v132, v100 /*v356*/, v224, -v131
	s_set_vgpr_msb 0x41                     ;  msbs: dst=1 src0=1 src1=0 src2=0
	v_fma_f32 v128 /*v384*/, v38 /*v294*/, v234, -v137
	v_dual_fmac_f32 v179 /*v435*/, v105 /*v361*/, v228 :: v_dual_mul_f32 v181 /*v437*/, v108 /*v364*/, v233
	v_mul_f32_e32 v129 /*v385*/, v38 /*v294*/, v235
	s_set_vgpr_msb 0                        ;  msbs: dst=0 src0=0 src1=0 src2=0
	v_add_f32_e32 v134, v130, v134
	s_wait_loadcnt 0x4
	s_set_vgpr_msb 5                        ;  msbs: dst=0 src0=1 src1=1 src2=0
	v_pk_mul_f32 v[130:131], v[42:43] /*v[298:299]*/, v[58:59] /*v[314:315]*/ op_sel:[1,1] op_sel_hi:[0,1]
	s_set_vgpr_msb 0x41                     ;  msbs: dst=1 src0=1 src1=0 src2=0
	v_dual_fmac_f32 v180 /*v436*/, v107 /*v363*/, v230 :: v_dual_fmac_f32 v181 /*v437*/, v109 /*v365*/, v232
	v_dual_fmac_f32 v129 /*v385*/, v39 /*v295*/, v234 :: v_dual_fmac_f32 v131 /*v387*/, v41 /*v297*/, v236
	s_set_vgpr_msb 0                        ;  msbs: dst=0 src0=0 src1=0 src2=0
	v_add_f32_e32 v134, v134, v132
	s_set_vgpr_msb 1                        ;  msbs: dst=0 src0=1 src1=0 src2=0
	v_mov_b32_e32 v132, v61 /*v317*/
	s_set_vgpr_msb 4                        ;  msbs: dst=0 src0=0 src1=1 src2=0
	v_add_f32_e32 v133, v133, v130 /*v386*/
	s_set_vgpr_msb 0x41                     ;  msbs: dst=1 src0=1 src1=0 src2=0
	v_fma_f32 v130 /*v386*/, v40 /*v296*/, v236, -v143
	s_set_vgpr_msb 0                        ;  msbs: dst=0 src0=0 src1=0 src2=0
	v_add_f32_e32 v138, v134, v135
	s_wait_loadcnt 0x3
	s_set_vgpr_msb 5                        ;  msbs: dst=0 src0=1 src1=1 src2=0
	v_pk_mul_f32 v[134:135], v[54:55] /*v[310:311]*/, v[110:111] /*v[366:367]*/ op_sel:[1,1] op_sel_hi:[0,1]
	s_set_vgpr_msb 0                        ;  msbs: dst=0 src0=0 src1=0 src2=0
	v_add_f32_e32 v138, v138, v136
	s_set_vgpr_msb 5                        ;  msbs: dst=0 src0=1 src1=1 src2=0
	v_mov_b32_e32 v136, v113 /*v369*/
	v_pk_fma_f32 v[144:145], v[54:55] /*v[310:311]*/, v[110:111] /*v[366:367]*/, v[134:135] op_sel_hi:[1,0,1]
	v_pk_fma_f32 v[134:135], v[54:55] /*v[310:311]*/, v[110:111] /*v[366:367]*/, v[134:135] neg_lo:[0,0,1] neg_hi:[0,0,1]
	s_set_vgpr_msb 0                        ;  msbs: dst=0 src0=0 src1=0 src2=0
	v_add_f32_e32 v142, v138, v139
	s_set_vgpr_msb 1                        ;  msbs: dst=0 src0=1 src1=0 src2=0
	v_pk_mul_f32 v[136:137], v[122:123] /*v[378:379]*/, v[136:137] op_sel_hi:[1,0]
	s_wait_loadcnt 0x2
	s_set_vgpr_msb 5                        ;  msbs: dst=0 src0=1 src1=1 src2=0
	v_pk_mul_f32 v[138:139], v[62:63] /*v[318:319]*/, v[114:115] /*v[370:371]*/ op_sel:[1,1] op_sel_hi:[0,1]
	s_set_vgpr_msb 0                        ;  msbs: dst=0 src0=0 src1=0 src2=0
	v_dual_mov_b32 v135, v145 :: v_dual_add_f32 v140, v142, v140
	s_set_vgpr_msb 5                        ;  msbs: dst=0 src0=1 src1=1 src2=0
	v_pk_fma_f32 v[142:143], v[42:43] /*v[298:299]*/, v[58:59] /*v[314:315]*/, v[130:131] op_sel_hi:[1,0,1]
	v_pk_fma_f32 v[130:131], v[42:43] /*v[298:299]*/, v[58:59] /*v[314:315]*/, v[130:131] neg_lo:[0,0,1] neg_hi:[0,0,1]
	s_set_vgpr_msb 4                        ;  msbs: dst=0 src0=0 src1=1 src2=0
	s_delay_alu instid0(VALU_DEP_2) | instskip(NEXT) | instid1(VALU_DEP_1)
	v_dual_mov_b32 v131, v143 :: v_dual_add_f32 v133, v133, v132 /*v388*/
	v_add_f32_e32 v133, v133, v133 /*v389*/
	s_delay_alu instid0(VALU_DEP_1) | instskip(NEXT) | instid1(VALU_DEP_1)
	v_add_f32_e32 v133, v133, v134 /*v390*/
	v_add_f32_e32 v133, v133, v135 /*v391*/
	s_delay_alu instid0(VALU_DEP_1) | instskip(NEXT) | instid1(VALU_DEP_1)
	v_add_f32_e32 v133, v133, v136 /*v392*/
	;; [unrolled: 3-line block ×24, first 2 shown]
	v_add_f32_e32 v141, v133, v181 /*v437*/
	s_set_vgpr_msb 0                        ;  msbs: dst=0 src0=0 src1=0 src2=0
	v_pk_mul_f32 v[128:129], v[128:129], v[132:133] op_sel_hi:[1,0]
	s_set_vgpr_msb 4                        ;  msbs: dst=0 src0=0 src1=1 src2=0
	s_delay_alu instid0(VALU_DEP_2) | instskip(SKIP_1) | instid1(VALU_DEP_2)
	v_pk_add_f32 v[132:133], v[140:141], v[128:129] /*v[384:385]*/
	s_set_vgpr_msb 5                        ;  msbs: dst=0 src0=1 src1=1 src2=0
	v_pk_fma_f32 v[142:143], v[44:45] /*v[300:301]*/, v[60:61] /*v[316:317]*/, v[128:129] op_sel_hi:[1,0,1]
	v_pk_fma_f32 v[128:129], v[44:45] /*v[300:301]*/, v[60:61] /*v[316:317]*/, v[128:129] neg_lo:[0,0,1] neg_hi:[0,0,1]
	v_mov_b32_e32 v140, v117 /*v373*/
	s_set_vgpr_msb 4                        ;  msbs: dst=0 src0=0 src1=1 src2=0
	v_pk_add_f32 v[132:133], v[132:133], v[130:131] /*v[386:387]*/
	v_mov_b32_e32 v129, v143
	s_set_vgpr_msb 5                        ;  msbs: dst=0 src0=1 src1=1 src2=0
	v_pk_fma_f32 v[142:143], v[56:57] /*v[312:313]*/, v[112:113] /*v[368:369]*/, v[136:137] op_sel_hi:[1,0,1]
	v_pk_fma_f32 v[136:137], v[56:57] /*v[312:313]*/, v[112:113] /*v[368:369]*/, v[136:137] neg_lo:[0,0,1] neg_hi:[0,0,1]
	s_set_vgpr_msb 1                        ;  msbs: dst=0 src0=1 src1=0 src2=0
	v_pk_mul_f32 v[140:141], v[124:125] /*v[380:381]*/, v[140:141] op_sel_hi:[1,0]
	s_set_vgpr_msb 0                        ;  msbs: dst=0 src0=0 src1=0 src2=0
	v_pk_add_f32 v[130:131], v[132:133], v[130:131]
	s_wait_loadcnt 0x1
	s_set_vgpr_msb 5                        ;  msbs: dst=0 src0=1 src1=1 src2=0
	v_pk_mul_f32 v[132:133], v[66:67] /*v[322:323]*/, v[118:119] /*v[374:375]*/ op_sel:[1,1] op_sel_hi:[0,1]
	s_set_vgpr_msb 0                        ;  msbs: dst=0 src0=0 src1=0 src2=0
	v_mov_b32_e32 v137, v143
	v_pk_add_f32 v[128:129], v[130:131], v[128:129]
	s_set_vgpr_msb 5                        ;  msbs: dst=0 src0=1 src1=1 src2=0
	v_pk_fma_f32 v[130:131], v[62:63] /*v[318:319]*/, v[114:115] /*v[370:371]*/, v[138:139] op_sel_hi:[1,0,1]
	v_mov_b32_e32 v130, v121 /*v377*/
	s_set_vgpr_msb 0                        ;  msbs: dst=0 src0=0 src1=0 src2=0
	v_pk_add_f32 v[128:129], v[128:129], v[134:135]
	s_set_vgpr_msb 5                        ;  msbs: dst=0 src0=1 src1=1 src2=0
	v_pk_fma_f32 v[134:135], v[62:63] /*v[318:319]*/, v[114:115] /*v[370:371]*/, v[138:139] neg_lo:[0,0,1] neg_hi:[0,0,1]
	s_set_vgpr_msb 0                        ;  msbs: dst=0 src0=0 src1=0 src2=0
	v_mov_b32_e32 v135, v131
	s_set_vgpr_msb 5                        ;  msbs: dst=0 src0=1 src1=1 src2=0
	v_pk_fma_f32 v[138:139], v[64:65] /*v[320:321]*/, v[116:117] /*v[372:373]*/, v[140:141] op_sel_hi:[1,0,1]
	v_pk_fma_f32 v[140:141], v[64:65] /*v[320:321]*/, v[116:117] /*v[372:373]*/, v[140:141] neg_lo:[0,0,1] neg_hi:[0,0,1]
	s_set_vgpr_msb 0                        ;  msbs: dst=0 src0=0 src1=0 src2=0
	v_pk_add_f32 v[128:129], v[128:129], v[136:137]
	s_set_vgpr_msb 5                        ;  msbs: dst=0 src0=1 src1=1 src2=0
	v_pk_fma_f32 v[136:137], v[66:67] /*v[322:323]*/, v[118:119] /*v[374:375]*/, v[132:133] op_sel_hi:[1,0,1]
	s_set_vgpr_msb 1                        ;  msbs: dst=0 src0=1 src1=0 src2=0
	v_pk_mul_f32 v[130:131], v[126:127] /*v[382:383]*/, v[130:131] op_sel_hi:[1,0]
	s_set_vgpr_msb 0                        ;  msbs: dst=0 src0=0 src1=0 src2=0
	v_mov_b32_e32 v141, v139
	s_set_vgpr_msb 5                        ;  msbs: dst=0 src0=1 src1=1 src2=0
	v_pk_fma_f32 v[132:133], v[66:67] /*v[322:323]*/, v[118:119] /*v[374:375]*/, v[132:133] neg_lo:[0,0,1] neg_hi:[0,0,1]
	s_set_vgpr_msb 0                        ;  msbs: dst=0 src0=0 src1=0 src2=0
	v_pk_add_f32 v[128:129], v[128:129], v[134:135]
	v_mov_b32_e32 v133, v137
	s_set_vgpr_msb 5                        ;  msbs: dst=0 src0=1 src1=1 src2=0
	v_pk_fma_f32 v[134:135], v[68:69] /*v[324:325]*/, v[120:121] /*v[376:377]*/, v[130:131] op_sel_hi:[1,0,1]
	v_pk_fma_f32 v[130:131], v[68:69] /*v[324:325]*/, v[120:121] /*v[376:377]*/, v[130:131] neg_lo:[0,0,1] neg_hi:[0,0,1]
	s_set_vgpr_msb 0                        ;  msbs: dst=0 src0=0 src1=0 src2=0
	v_pk_add_f32 v[128:129], v[128:129], v[140:141]
	s_delay_alu instid0(VALU_DEP_3) | instskip(NEXT) | instid1(VALU_DEP_2)
	v_mov_b32_e32 v131, v135
	v_pk_add_f32 v[128:129], v[128:129], v[132:133]
	s_delay_alu instid0(VALU_DEP_1) | instskip(SKIP_1) | instid1(VALU_DEP_1)
	v_pk_add_f32 v[128:129], v[128:129], v[130:131]
	s_wait_loadcnt 0x0
	v_pk_add_f32 v[140:141], v[0:1], v[128:129] neg_lo:[0,1] neg_hi:[0,1]
	scratch_store_b64 off, v[140:141], off
	s_cbranch_vccz .LBB126_516
; %bb.392:
	v_mov_b32_e32 v0, 0
	global_load_b32 v1, v0, s[8:9] offset:244
	s_wait_loadcnt 0x0
	v_cmp_ne_u32_e32 vcc_lo, 62, v1
	s_cbranch_vccz .LBB126_394
; %bb.393:
	v_lshlrev_b32_e32 v1, 3, v1
	scratch_load_b64 v[128:129], v1, off offset:-8
	scratch_load_b64 v[130:131], off, off offset:488
	s_wait_loadcnt 0x1
	scratch_store_b64 off, v[128:129], off offset:488
	s_wait_loadcnt 0x0
	scratch_store_b64 v1, v[130:131], off offset:-8
.LBB126_394:
	global_load_b32 v0, v0, s[8:9] offset:240
	s_wait_loadcnt 0x0
	v_cmp_eq_u32_e32 vcc_lo, 61, v0
	s_cbranch_vccnz .LBB126_396
; %bb.395:
	s_wait_xcnt 0x0
	v_lshlrev_b32_e32 v0, 3, v0
	s_delay_alu instid0(VALU_DEP_1)
	v_mov_b32_e32 v130, v0
	scratch_load_b64 v[0:1], v130, off offset:-8
	scratch_load_b64 v[128:129], off, off offset:480
	s_wait_loadcnt 0x1
	scratch_store_b64 off, v[0:1], off offset:480
	s_wait_loadcnt 0x0
	scratch_store_b64 v130, v[128:129], off offset:-8
.LBB126_396:
	s_wait_xcnt 0x0
	v_mov_b32_e32 v0, 0
	global_load_b32 v1, v0, s[8:9] offset:236
	s_wait_loadcnt 0x0
	v_cmp_eq_u32_e32 vcc_lo, 60, v1
	s_cbranch_vccnz .LBB126_398
; %bb.397:
	v_lshlrev_b32_e32 v1, 3, v1
	scratch_load_b64 v[128:129], v1, off offset:-8
	scratch_load_b64 v[130:131], off, off offset:472
	s_wait_loadcnt 0x1
	scratch_store_b64 off, v[128:129], off offset:472
	s_wait_loadcnt 0x0
	scratch_store_b64 v1, v[130:131], off offset:-8
.LBB126_398:
	global_load_b32 v0, v0, s[8:9] offset:232
	s_wait_loadcnt 0x0
	v_cmp_eq_u32_e32 vcc_lo, 59, v0
	s_cbranch_vccnz .LBB126_400
; %bb.399:
	s_wait_xcnt 0x0
	v_lshlrev_b32_e32 v0, 3, v0
	s_delay_alu instid0(VALU_DEP_1)
	v_mov_b32_e32 v130, v0
	scratch_load_b64 v[0:1], v130, off offset:-8
	scratch_load_b64 v[128:129], off, off offset:464
	s_wait_loadcnt 0x1
	scratch_store_b64 off, v[0:1], off offset:464
	s_wait_loadcnt 0x0
	scratch_store_b64 v130, v[128:129], off offset:-8
.LBB126_400:
	s_wait_xcnt 0x0
	v_mov_b32_e32 v0, 0
	global_load_b32 v1, v0, s[8:9] offset:228
	s_wait_loadcnt 0x0
	v_cmp_eq_u32_e32 vcc_lo, 58, v1
	s_cbranch_vccnz .LBB126_402
; %bb.401:
	v_lshlrev_b32_e32 v1, 3, v1
	scratch_load_b64 v[128:129], v1, off offset:-8
	scratch_load_b64 v[130:131], off, off offset:456
	s_wait_loadcnt 0x1
	scratch_store_b64 off, v[128:129], off offset:456
	s_wait_loadcnt 0x0
	scratch_store_b64 v1, v[130:131], off offset:-8
.LBB126_402:
	;; [unrolled: 31-line block ×30, first 2 shown]
	global_load_b32 v0, v0, s[8:9]
	scratch_load_b64 v[140:141], off, off
	s_wait_loadcnt 0x1
	v_cmp_eq_u32_e32 vcc_lo, 1, v0
	s_cbranch_vccnz .LBB126_516
; %bb.515:
	s_wait_xcnt 0x1
	v_lshlrev_b32_e32 v0, 3, v0
	s_delay_alu instid0(VALU_DEP_1)
	v_mov_b32_e32 v128, v0
	scratch_load_b64 v[0:1], v128, off offset:-8
	s_wait_loadcnt 0x0
	scratch_store_b64 off, v[0:1], off
	scratch_store_b64 v128, v[140:141], off offset:-8
	scratch_load_b64 v[140:141], off, off
.LBB126_516:
	s_wait_loadcnt 0x0
	flat_store_b64 v[2:3], v[140:141]
	scratch_load_b64 v[2:3], off, off offset:8
	v_lshl_add_u64 v[188:189], v[6:7], 3, s[2:3]
	v_lshl_add_u64 v[186:187], v[8:9], 3, s[2:3]
	;; [unrolled: 1-line block ×61, first 2 shown]
	s_wait_loadcnt 0x0
	flat_store_b64 v[4:5], v[2:3]
	scratch_load_b64 v[2:3], off, off offset:16
	s_wait_loadcnt 0x0
	flat_store_b64 v[188:189], v[2:3]
	scratch_load_b64 v[2:3], off, off offset:24
	;; [unrolled: 3-line block ×61, first 2 shown]
	s_wait_loadcnt 0x0
	flat_store_b64 v[0:1], v[2:3]
	s_sendmsg sendmsg(MSG_DEALLOC_VGPRS)
	s_endpgm
	.section	.rodata,"a",@progbits
	.p2align	6, 0x0
	.amdhsa_kernel _ZN9rocsolver6v33100L18getri_kernel_smallILi63E19rocblas_complex_numIfEPKPS3_EEvT1_iilPiilS8_bb
		.amdhsa_group_segment_fixed_size 1016
		.amdhsa_private_segment_fixed_size 512
		.amdhsa_kernarg_size 60
		.amdhsa_user_sgpr_count 2
		.amdhsa_user_sgpr_dispatch_ptr 0
		.amdhsa_user_sgpr_queue_ptr 0
		.amdhsa_user_sgpr_kernarg_segment_ptr 1
		.amdhsa_user_sgpr_dispatch_id 0
		.amdhsa_user_sgpr_kernarg_preload_length 0
		.amdhsa_user_sgpr_kernarg_preload_offset 0
		.amdhsa_user_sgpr_private_segment_size 0
		.amdhsa_wavefront_size32 1
		.amdhsa_uses_dynamic_stack 0
		.amdhsa_enable_private_segment 1
		.amdhsa_system_sgpr_workgroup_id_x 1
		.amdhsa_system_sgpr_workgroup_id_y 0
		.amdhsa_system_sgpr_workgroup_id_z 0
		.amdhsa_system_sgpr_workgroup_info 0
		.amdhsa_system_vgpr_workitem_id 0
		.amdhsa_next_free_vgpr 438
		.amdhsa_next_free_sgpr 19
		.amdhsa_named_barrier_count 0
		.amdhsa_reserve_vcc 1
		.amdhsa_float_round_mode_32 0
		.amdhsa_float_round_mode_16_64 0
		.amdhsa_float_denorm_mode_32 3
		.amdhsa_float_denorm_mode_16_64 3
		.amdhsa_fp16_overflow 0
		.amdhsa_memory_ordered 1
		.amdhsa_forward_progress 1
		.amdhsa_inst_pref_size 255
		.amdhsa_round_robin_scheduling 0
		.amdhsa_exception_fp_ieee_invalid_op 0
		.amdhsa_exception_fp_denorm_src 0
		.amdhsa_exception_fp_ieee_div_zero 0
		.amdhsa_exception_fp_ieee_overflow 0
		.amdhsa_exception_fp_ieee_underflow 0
		.amdhsa_exception_fp_ieee_inexact 0
		.amdhsa_exception_int_div_zero 0
	.end_amdhsa_kernel
	.section	.text._ZN9rocsolver6v33100L18getri_kernel_smallILi63E19rocblas_complex_numIfEPKPS3_EEvT1_iilPiilS8_bb,"axG",@progbits,_ZN9rocsolver6v33100L18getri_kernel_smallILi63E19rocblas_complex_numIfEPKPS3_EEvT1_iilPiilS8_bb,comdat
.Lfunc_end126:
	.size	_ZN9rocsolver6v33100L18getri_kernel_smallILi63E19rocblas_complex_numIfEPKPS3_EEvT1_iilPiilS8_bb, .Lfunc_end126-_ZN9rocsolver6v33100L18getri_kernel_smallILi63E19rocblas_complex_numIfEPKPS3_EEvT1_iilPiilS8_bb
                                        ; -- End function
	.set _ZN9rocsolver6v33100L18getri_kernel_smallILi63E19rocblas_complex_numIfEPKPS3_EEvT1_iilPiilS8_bb.num_vgpr, 438
	.set _ZN9rocsolver6v33100L18getri_kernel_smallILi63E19rocblas_complex_numIfEPKPS3_EEvT1_iilPiilS8_bb.num_agpr, 0
	.set _ZN9rocsolver6v33100L18getri_kernel_smallILi63E19rocblas_complex_numIfEPKPS3_EEvT1_iilPiilS8_bb.numbered_sgpr, 19
	.set _ZN9rocsolver6v33100L18getri_kernel_smallILi63E19rocblas_complex_numIfEPKPS3_EEvT1_iilPiilS8_bb.num_named_barrier, 0
	.set _ZN9rocsolver6v33100L18getri_kernel_smallILi63E19rocblas_complex_numIfEPKPS3_EEvT1_iilPiilS8_bb.private_seg_size, 512
	.set _ZN9rocsolver6v33100L18getri_kernel_smallILi63E19rocblas_complex_numIfEPKPS3_EEvT1_iilPiilS8_bb.uses_vcc, 1
	.set _ZN9rocsolver6v33100L18getri_kernel_smallILi63E19rocblas_complex_numIfEPKPS3_EEvT1_iilPiilS8_bb.uses_flat_scratch, 1
	.set _ZN9rocsolver6v33100L18getri_kernel_smallILi63E19rocblas_complex_numIfEPKPS3_EEvT1_iilPiilS8_bb.has_dyn_sized_stack, 0
	.set _ZN9rocsolver6v33100L18getri_kernel_smallILi63E19rocblas_complex_numIfEPKPS3_EEvT1_iilPiilS8_bb.has_recursion, 0
	.set _ZN9rocsolver6v33100L18getri_kernel_smallILi63E19rocblas_complex_numIfEPKPS3_EEvT1_iilPiilS8_bb.has_indirect_call, 0
	.section	.AMDGPU.csdata,"",@progbits
; Kernel info:
; codeLenInByte = 144596
; TotalNumSgprs: 21
; NumVgprs: 438
; ScratchSize: 512
; MemoryBound: 0
; FloatMode: 240
; IeeeMode: 1
; LDSByteSize: 1016 bytes/workgroup (compile time only)
; SGPRBlocks: 0
; VGPRBlocks: 27
; NumSGPRsForWavesPerEU: 21
; NumVGPRsForWavesPerEU: 438
; NamedBarCnt: 0
; Occupancy: 2
; WaveLimiterHint : 1
; COMPUTE_PGM_RSRC2:SCRATCH_EN: 1
; COMPUTE_PGM_RSRC2:USER_SGPR: 2
; COMPUTE_PGM_RSRC2:TRAP_HANDLER: 0
; COMPUTE_PGM_RSRC2:TGID_X_EN: 1
; COMPUTE_PGM_RSRC2:TGID_Y_EN: 0
; COMPUTE_PGM_RSRC2:TGID_Z_EN: 0
; COMPUTE_PGM_RSRC2:TIDIG_COMP_CNT: 0
	.section	.text._ZN9rocsolver6v33100L18getri_kernel_smallILi64E19rocblas_complex_numIfEPKPS3_EEvT1_iilPiilS8_bb,"axG",@progbits,_ZN9rocsolver6v33100L18getri_kernel_smallILi64E19rocblas_complex_numIfEPKPS3_EEvT1_iilPiilS8_bb,comdat
	.globl	_ZN9rocsolver6v33100L18getri_kernel_smallILi64E19rocblas_complex_numIfEPKPS3_EEvT1_iilPiilS8_bb ; -- Begin function _ZN9rocsolver6v33100L18getri_kernel_smallILi64E19rocblas_complex_numIfEPKPS3_EEvT1_iilPiilS8_bb
	.p2align	8
	.type	_ZN9rocsolver6v33100L18getri_kernel_smallILi64E19rocblas_complex_numIfEPKPS3_EEvT1_iilPiilS8_bb,@function
_ZN9rocsolver6v33100L18getri_kernel_smallILi64E19rocblas_complex_numIfEPKPS3_EEvT1_iilPiilS8_bb: ; @_ZN9rocsolver6v33100L18getri_kernel_smallILi64E19rocblas_complex_numIfEPKPS3_EEvT1_iilPiilS8_bb
; %bb.0:
	s_mov_b32 s2, exec_lo
	v_cmpx_gt_u32_e32 64, v0
	s_cbranch_execz .LBB127_270
; %bb.1:
	s_clause 0x1
	s_load_b32 s13, s[0:1], 0x38
	s_load_b64 s[2:3], s[0:1], 0x0
	s_getreg_b32 s6, hwreg(HW_REG_IB_STS2, 6, 4)
	s_wait_kmcnt 0x0
	s_bitcmp1_b32 s13, 8
	s_cselect_b32 s12, -1, 0
	s_bfe_u32 s4, ttmp6, 0x4000c
	s_and_b32 s5, ttmp6, 15
	s_add_co_i32 s4, s4, 1
	s_delay_alu instid0(SALU_CYCLE_1) | instskip(NEXT) | instid1(SALU_CYCLE_1)
	s_mul_i32 s4, ttmp9, s4
	s_add_co_i32 s5, s5, s4
	s_cmp_eq_u32 s6, 0
	s_cselect_b32 s10, ttmp9, s5
	s_load_b128 s[4:7], s[0:1], 0x28
	s_ashr_i32 s11, s10, 31
	s_delay_alu instid0(SALU_CYCLE_1) | instskip(NEXT) | instid1(SALU_CYCLE_1)
	s_lshl_b64 s[8:9], s[10:11], 3
	s_add_nc_u64 s[2:3], s[2:3], s[8:9]
	s_bfe_u32 s8, s13, 0x10008
	s_load_b64 s[2:3], s[2:3], 0x0
	s_cmp_eq_u32 s8, 0
                                        ; implicit-def: $sgpr8_sgpr9
	s_cbranch_scc1 .LBB127_3
; %bb.2:
	s_load_b96 s[16:18], s[0:1], 0x18
	s_wait_kmcnt 0x0
	s_mul_u64 s[4:5], s[4:5], s[10:11]
	s_delay_alu instid0(SALU_CYCLE_1) | instskip(SKIP_4) | instid1(SALU_CYCLE_1)
	s_lshl_b64 s[4:5], s[4:5], 2
	s_ashr_i32 s9, s18, 31
	s_mov_b32 s8, s18
	s_add_nc_u64 s[4:5], s[16:17], s[4:5]
	s_lshl_b64 s[8:9], s[8:9], 2
	s_add_nc_u64 s[8:9], s[4:5], s[8:9]
.LBB127_3:
	s_wait_kmcnt 0x0
	s_clause 0x1
	s_load_b64 s[4:5], s[0:1], 0x8
	s_load_b32 s13, s[0:1], 0x38
	v_dual_mov_b32 v131, 0 :: v_dual_lshlrev_b32 v130, 3, v0
	s_wait_kmcnt 0x0
	s_ashr_i32 s1, s4, 31
	s_mov_b32 s0, s4
	s_delay_alu instid0(SALU_CYCLE_1) | instskip(NEXT) | instid1(SALU_CYCLE_1)
	s_lshl_b64 s[0:1], s[0:1], 3
	s_add_nc_u64 s[2:3], s[2:3], s[0:1]
	s_ashr_i32 s1, s5, 31
	flat_load_b64 v[6:7], v0, s[2:3] scale_offset
	v_add_nc_u64_e32 v[2:3], s[2:3], v[130:131]
	s_mov_b32 s0, s5
	s_bitcmp0_b32 s13, 0
	s_delay_alu instid0(VALU_DEP_1)
	v_lshl_add_u64 v[4:5], s[0:1], 3, v[2:3]
	s_mov_b32 s1, -1
	s_wait_loadcnt_dscnt 0x0
	scratch_store_b64 off, v[6:7], off
	flat_load_b64 v[8:9], v[4:5]
	s_wait_xcnt 0x1
	v_add3_u32 v6, s5, s5, v0
	s_wait_loadcnt_dscnt 0x0
	scratch_store_b64 off, v[8:9], off offset:8
	flat_load_b64 v[10:11], v6, s[2:3] scale_offset
	s_wait_xcnt 0x1
	v_add_nc_u32_e32 v8, s5, v6
	s_wait_loadcnt_dscnt 0x0
	scratch_store_b64 off, v[10:11], off offset:16
	flat_load_b64 v[12:13], v8, s[2:3] scale_offset
	s_wait_xcnt 0x1
	v_add_nc_u32_e32 v10, s5, v8
	;; [unrolled: 5-line block ×61, first 2 shown]
	s_wait_loadcnt_dscnt 0x0
	scratch_store_b64 off, v[132:133], off offset:496
	flat_load_b64 v[132:133], v128, s[2:3] scale_offset
	s_wait_loadcnt_dscnt 0x0
	scratch_store_b64 off, v[132:133], off offset:504
	s_cbranch_scc1 .LBB127_268
; %bb.4:
	v_cmp_eq_u32_e64 s0, 0, v0
	s_wait_xcnt 0x0
	s_and_saveexec_b32 s1, s0
; %bb.5:
	v_mov_b32_e32 v1, 0
	ds_store_b32 v1, v1 offset:1024
; %bb.6:
	s_or_b32 exec_lo, exec_lo, s1
	s_wait_storecnt_dscnt 0x0
	s_barrier_signal -1
	s_barrier_wait -1
	scratch_load_b64 v[132:133], v0, off scale_offset
	s_wait_loadcnt 0x0
	v_cmp_eq_f32_e32 vcc_lo, 0, v132
	v_cmp_eq_f32_e64 s1, 0, v133
	s_and_b32 s1, vcc_lo, s1
	s_delay_alu instid0(SALU_CYCLE_1)
	s_and_saveexec_b32 s4, s1
	s_cbranch_execz .LBB127_10
; %bb.7:
	v_mov_b32_e32 v1, 0
	s_mov_b32 s5, 0
	ds_load_b32 v7, v1 offset:1024
	s_wait_dscnt 0x0
	v_readfirstlane_b32 s1, v7
	v_add_nc_u32_e32 v7, 1, v0
	s_cmp_eq_u32 s1, 0
	s_delay_alu instid0(VALU_DEP_1) | instskip(SKIP_1) | instid1(SALU_CYCLE_1)
	v_cmp_gt_i32_e32 vcc_lo, s1, v7
	s_cselect_b32 s13, -1, 0
	s_or_b32 s13, s13, vcc_lo
	s_delay_alu instid0(SALU_CYCLE_1)
	s_and_b32 exec_lo, exec_lo, s13
	s_cbranch_execz .LBB127_10
; %bb.8:
	v_mov_b32_e32 v9, s1
.LBB127_9:                              ; =>This Inner Loop Header: Depth=1
	ds_cmpstore_rtn_b32 v9, v1, v7, v9 offset:1024
	s_wait_dscnt 0x0
	v_cmp_ne_u32_e32 vcc_lo, 0, v9
	v_cmp_le_i32_e64 s1, v9, v7
	s_and_b32 s1, vcc_lo, s1
	s_delay_alu instid0(SALU_CYCLE_1) | instskip(NEXT) | instid1(SALU_CYCLE_1)
	s_and_b32 s1, exec_lo, s1
	s_or_b32 s5, s1, s5
	s_delay_alu instid0(SALU_CYCLE_1)
	s_and_not1_b32 exec_lo, exec_lo, s5
	s_cbranch_execnz .LBB127_9
.LBB127_10:
	s_or_b32 exec_lo, exec_lo, s4
	v_mov_b32_e32 v1, 0
	s_barrier_signal -1
	s_barrier_wait -1
	ds_load_b32 v7, v1 offset:1024
	s_and_saveexec_b32 s1, s0
	s_cbranch_execz .LBB127_12
; %bb.11:
	s_lshl_b64 s[4:5], s[10:11], 2
	s_delay_alu instid0(SALU_CYCLE_1)
	s_add_nc_u64 s[4:5], s[6:7], s[4:5]
	s_wait_dscnt 0x0
	global_store_b32 v1, v7, s[4:5]
.LBB127_12:
	s_wait_xcnt 0x0
	s_or_b32 exec_lo, exec_lo, s1
	s_wait_dscnt 0x0
	v_cmp_ne_u32_e32 vcc_lo, 0, v7
	s_mov_b32 s1, 0
	s_cbranch_vccnz .LBB127_268
; %bb.13:
	v_lshl_add_u32 v7, v0, 3, 0
                                        ; implicit-def: $vgpr135
                                        ; implicit-def: $vgpr136
	scratch_load_b64 v[132:133], v7, off
	s_wait_loadcnt 0x0
	v_cmp_ngt_f32_e64 s1, |v132|, |v133|
	s_wait_xcnt 0x0
	s_and_saveexec_b32 s4, s1
	s_delay_alu instid0(SALU_CYCLE_1)
	s_xor_b32 s1, exec_lo, s4
	s_cbranch_execz .LBB127_15
; %bb.14:
	v_div_scale_f32 v1, null, v133, v133, v132
	v_div_scale_f32 v13, vcc_lo, v132, v133, v132
	s_delay_alu instid0(VALU_DEP_2) | instskip(SKIP_1) | instid1(TRANS32_DEP_1)
	v_rcp_f32_e32 v9, v1
	v_nop
	v_fma_f32 v11, -v1, v9, 1.0
	s_delay_alu instid0(VALU_DEP_1) | instskip(NEXT) | instid1(VALU_DEP_1)
	v_fmac_f32_e32 v9, v11, v9
	v_mul_f32_e32 v11, v13, v9
	s_delay_alu instid0(VALU_DEP_1) | instskip(NEXT) | instid1(VALU_DEP_1)
	v_fma_f32 v15, -v1, v11, v13
	v_fmac_f32_e32 v11, v15, v9
	s_delay_alu instid0(VALU_DEP_1) | instskip(NEXT) | instid1(VALU_DEP_1)
	v_fma_f32 v1, -v1, v11, v13
	v_div_fmas_f32 v1, v1, v9, v11
	s_delay_alu instid0(VALU_DEP_1) | instskip(NEXT) | instid1(VALU_DEP_1)
	v_div_fixup_f32 v1, v1, v133, v132
	v_fmac_f32_e32 v133, v132, v1
	s_delay_alu instid0(VALU_DEP_1) | instskip(NEXT) | instid1(VALU_DEP_1)
	v_div_scale_f32 v9, null, v133, v133, -1.0
	v_rcp_f32_e32 v11, v9
	v_nop
	s_delay_alu instid0(TRANS32_DEP_1) | instskip(NEXT) | instid1(VALU_DEP_1)
	v_fma_f32 v13, -v9, v11, 1.0
	v_fmac_f32_e32 v11, v13, v11
	v_div_scale_f32 v13, vcc_lo, -1.0, v133, -1.0
	s_delay_alu instid0(VALU_DEP_1) | instskip(NEXT) | instid1(VALU_DEP_1)
	v_mul_f32_e32 v15, v13, v11
	v_fma_f32 v17, -v9, v15, v13
	s_delay_alu instid0(VALU_DEP_1) | instskip(NEXT) | instid1(VALU_DEP_1)
	v_fmac_f32_e32 v15, v17, v11
	v_fma_f32 v9, -v9, v15, v13
	s_delay_alu instid0(VALU_DEP_1) | instskip(NEXT) | instid1(VALU_DEP_1)
	v_div_fmas_f32 v9, v9, v11, v15
	v_div_fixup_f32 v135, v9, v133, -1.0
                                        ; implicit-def: $vgpr132_vgpr133
	s_delay_alu instid0(VALU_DEP_1) | instskip(NEXT) | instid1(VALU_DEP_1)
	v_mul_f32_e32 v136, v1, v135
	v_xor_b32_e32 v134, 0x80000000, v136
.LBB127_15:
	s_and_not1_saveexec_b32 s1, s1
	s_cbranch_execz .LBB127_17
; %bb.16:
	v_div_scale_f32 v1, null, v132, v132, v133
	v_div_scale_f32 v13, vcc_lo, v133, v132, v133
	s_delay_alu instid0(VALU_DEP_2) | instskip(SKIP_1) | instid1(TRANS32_DEP_1)
	v_rcp_f32_e32 v9, v1
	v_nop
	v_fma_f32 v11, -v1, v9, 1.0
	s_delay_alu instid0(VALU_DEP_1) | instskip(NEXT) | instid1(VALU_DEP_1)
	v_fmac_f32_e32 v9, v11, v9
	v_mul_f32_e32 v11, v13, v9
	s_delay_alu instid0(VALU_DEP_1) | instskip(NEXT) | instid1(VALU_DEP_1)
	v_fma_f32 v15, -v1, v11, v13
	v_fmac_f32_e32 v11, v15, v9
	s_delay_alu instid0(VALU_DEP_1) | instskip(NEXT) | instid1(VALU_DEP_1)
	v_fma_f32 v1, -v1, v11, v13
	v_div_fmas_f32 v1, v1, v9, v11
	s_delay_alu instid0(VALU_DEP_1) | instskip(NEXT) | instid1(VALU_DEP_1)
	v_div_fixup_f32 v1, v1, v132, v133
	v_fmac_f32_e32 v132, v133, v1
	s_delay_alu instid0(VALU_DEP_1) | instskip(SKIP_1) | instid1(VALU_DEP_2)
	v_div_scale_f32 v9, null, v132, v132, 1.0
	v_div_scale_f32 v15, vcc_lo, 1.0, v132, 1.0
	v_rcp_f32_e32 v11, v9
	v_nop
	s_delay_alu instid0(TRANS32_DEP_1) | instskip(NEXT) | instid1(VALU_DEP_1)
	v_fma_f32 v13, -v9, v11, 1.0
	v_fmac_f32_e32 v11, v13, v11
	s_delay_alu instid0(VALU_DEP_1) | instskip(NEXT) | instid1(VALU_DEP_1)
	v_mul_f32_e32 v13, v15, v11
	v_fma_f32 v17, -v9, v13, v15
	s_delay_alu instid0(VALU_DEP_1) | instskip(NEXT) | instid1(VALU_DEP_1)
	v_fmac_f32_e32 v13, v17, v11
	v_fma_f32 v9, -v9, v13, v15
	s_delay_alu instid0(VALU_DEP_1) | instskip(NEXT) | instid1(VALU_DEP_1)
	v_div_fmas_f32 v9, v9, v11, v13
	v_div_fixup_f32 v134, v9, v132, 1.0
	s_delay_alu instid0(VALU_DEP_1)
	v_xor_b32_e32 v136, 0x80000000, v134
	v_mul_f32_e64 v135, v1, -v134
.LBB127_17:
	s_or_b32 exec_lo, exec_lo, s1
	scratch_store_b64 v7, v[134:135], off
	scratch_load_b64 v[132:133], off, off offset:8
	v_xor_b32_e32 v137, 0x80000000, v135
	v_or_b32_e32 v1, 0x200, v130
	s_wait_loadcnt 0x0
	ds_store_2addr_stride64_b64 v130, v[136:137], v[132:133] offset1:1
	s_wait_storecnt_dscnt 0x0
	s_barrier_signal -1
	s_barrier_wait -1
	s_wait_xcnt 0x0
	s_and_saveexec_b32 s1, s0
	s_cbranch_execz .LBB127_19
; %bb.18:
	scratch_load_b64 v[132:133], v7, off
	ds_load_b64 v[134:135], v1
	s_wait_loadcnt_dscnt 0x0
	v_pk_mul_f32 v[138:139], v[134:135], v[132:133] op_sel:[1,1] op_sel_hi:[0,1]
	s_delay_alu instid0(VALU_DEP_1) | instskip(SKIP_2) | instid1(VALU_DEP_3)
	v_pk_fma_f32 v[140:141], v[134:135], v[132:133], v[138:139] op_sel_hi:[1,0,1]
	v_mov_b32_e32 v9, 0
	v_pk_fma_f32 v[132:133], v[134:135], v[132:133], v[138:139] neg_lo:[0,0,1] neg_hi:[0,0,1]
	v_mov_b32_e32 v133, v141
	ds_load_b64 v[136:137], v9 offset:8
	v_pk_add_f32 v[132:133], v[132:133], 0 op_sel_hi:[1,0]
	s_wait_dscnt 0x0
	s_delay_alu instid0(VALU_DEP_1) | instskip(NEXT) | instid1(VALU_DEP_1)
	v_pk_mul_f32 v[134:135], v[132:133], v[136:137] op_sel:[1,1] op_sel_hi:[0,1]
	v_pk_fma_f32 v[138:139], v[132:133], v[136:137], v[134:135] op_sel_hi:[1,0,1]
	v_pk_fma_f32 v[132:133], v[132:133], v[136:137], v[134:135] neg_lo:[0,0,1] neg_hi:[0,0,1]
	s_delay_alu instid0(VALU_DEP_2)
	v_mov_b32_e32 v133, v139
	scratch_store_b64 off, v[132:133], off offset:8
.LBB127_19:
	s_wait_xcnt 0x0
	s_or_b32 exec_lo, exec_lo, s1
	s_wait_storecnt 0x0
	s_barrier_signal -1
	s_barrier_wait -1
	scratch_load_b64 v[132:133], off, off offset:16
	s_mov_b32 s1, exec_lo
	s_wait_loadcnt 0x0
	ds_store_b64 v1, v[132:133]
	s_wait_dscnt 0x0
	s_barrier_signal -1
	s_barrier_wait -1
	v_cmpx_gt_u32_e32 2, v0
	s_cbranch_execz .LBB127_23
; %bb.20:
	scratch_load_b64 v[132:133], v7, off
	ds_load_b64 v[134:135], v1
	s_wait_loadcnt_dscnt 0x0
	v_pk_mul_f32 v[136:137], v[134:135], v[132:133] op_sel:[1,1] op_sel_hi:[0,1]
	s_delay_alu instid0(VALU_DEP_1) | instskip(SKIP_1) | instid1(VALU_DEP_2)
	v_pk_fma_f32 v[138:139], v[134:135], v[132:133], v[136:137] op_sel_hi:[1,0,1]
	v_pk_fma_f32 v[132:133], v[134:135], v[132:133], v[136:137] neg_lo:[0,0,1] neg_hi:[0,0,1]
	v_mov_b32_e32 v133, v139
	s_delay_alu instid0(VALU_DEP_1)
	v_pk_add_f32 v[132:133], v[132:133], 0 op_sel_hi:[1,0]
	s_and_saveexec_b32 s4, s0
	s_cbranch_execz .LBB127_22
; %bb.21:
	scratch_load_b64 v[134:135], off, off offset:8
	v_mov_b32_e32 v7, 0
	ds_load_b64 v[136:137], v7 offset:520
	s_wait_loadcnt_dscnt 0x0
	v_pk_mul_f32 v[138:139], v[136:137], v[134:135] op_sel:[1,1] op_sel_hi:[0,1]
	s_delay_alu instid0(VALU_DEP_1) | instskip(SKIP_1) | instid1(VALU_DEP_2)
	v_pk_fma_f32 v[140:141], v[136:137], v[134:135], v[138:139] op_sel_hi:[1,0,1]
	v_pk_fma_f32 v[134:135], v[136:137], v[134:135], v[138:139] neg_lo:[0,0,1] neg_hi:[0,0,1]
	v_mov_b32_e32 v135, v141
	s_delay_alu instid0(VALU_DEP_1)
	v_pk_add_f32 v[132:133], v[132:133], v[134:135]
.LBB127_22:
	s_or_b32 exec_lo, exec_lo, s4
	v_mov_b32_e32 v7, 0
	ds_load_b64 v[134:135], v7 offset:16
	s_wait_dscnt 0x0
	v_pk_mul_f32 v[136:137], v[132:133], v[134:135] op_sel:[1,1] op_sel_hi:[0,1]
	s_delay_alu instid0(VALU_DEP_1) | instskip(SKIP_1) | instid1(VALU_DEP_2)
	v_pk_fma_f32 v[138:139], v[132:133], v[134:135], v[136:137] op_sel_hi:[1,0,1]
	v_pk_fma_f32 v[132:133], v[132:133], v[134:135], v[136:137] neg_lo:[0,0,1] neg_hi:[0,0,1]
	v_mov_b32_e32 v133, v139
	scratch_store_b64 off, v[132:133], off offset:16
.LBB127_23:
	s_wait_xcnt 0x0
	s_or_b32 exec_lo, exec_lo, s1
	s_wait_storecnt 0x0
	s_barrier_signal -1
	s_barrier_wait -1
	scratch_load_b64 v[132:133], off, off offset:24
	v_add_nc_u32_e32 v7, -1, v0
	s_mov_b32 s0, exec_lo
	s_wait_loadcnt 0x0
	ds_store_b64 v1, v[132:133]
	s_wait_dscnt 0x0
	s_barrier_signal -1
	s_barrier_wait -1
	v_cmpx_gt_u32_e32 3, v0
	s_cbranch_execz .LBB127_27
; %bb.24:
	v_dual_mov_b32 v132, 0 :: v_dual_add_nc_u32 v9, -1, v0
	v_or_b32_e32 v11, 0x200, v130
	v_mov_b32_e32 v13, v130
	s_mov_b32 s1, 0
	s_delay_alu instid0(VALU_DEP_3)
	v_mov_b32_e32 v133, v132
.LBB127_25:                             ; =>This Inner Loop Header: Depth=1
	scratch_load_b64 v[134:135], v13, off
	ds_load_b64 v[136:137], v11
	s_wait_xcnt 0x0
	v_dual_add_nc_u32 v11, 8, v11 :: v_dual_add_nc_u32 v13, 8, v13
	s_wait_loadcnt_dscnt 0x0
	v_pk_mul_f32 v[138:139], v[136:137], v[134:135] op_sel:[1,1] op_sel_hi:[0,1]
	s_delay_alu instid0(VALU_DEP_1) | instskip(SKIP_2) | instid1(VALU_DEP_3)
	v_pk_fma_f32 v[140:141], v[136:137], v[134:135], v[138:139] op_sel_hi:[1,0,1]
	v_add_nc_u32_e32 v9, 1, v9
	v_pk_fma_f32 v[134:135], v[136:137], v[134:135], v[138:139] neg_lo:[0,0,1] neg_hi:[0,0,1]
	v_mov_b32_e32 v135, v141
	s_delay_alu instid0(VALU_DEP_3) | instskip(NEXT) | instid1(VALU_DEP_2)
	v_cmp_lt_u32_e32 vcc_lo, 1, v9
	v_pk_add_f32 v[132:133], v[132:133], v[134:135]
	s_or_b32 s1, vcc_lo, s1
	s_delay_alu instid0(SALU_CYCLE_1)
	s_and_not1_b32 exec_lo, exec_lo, s1
	s_cbranch_execnz .LBB127_25
; %bb.26:
	s_or_b32 exec_lo, exec_lo, s1
	v_mov_b32_e32 v9, 0
	ds_load_b64 v[134:135], v9 offset:24
	s_wait_dscnt 0x0
	v_pk_mul_f32 v[136:137], v[132:133], v[134:135] op_sel:[1,1] op_sel_hi:[0,1]
	s_delay_alu instid0(VALU_DEP_1) | instskip(SKIP_1) | instid1(VALU_DEP_2)
	v_pk_fma_f32 v[138:139], v[132:133], v[134:135], v[136:137] op_sel_hi:[1,0,1]
	v_pk_fma_f32 v[132:133], v[132:133], v[134:135], v[136:137] neg_lo:[0,0,1] neg_hi:[0,0,1]
	v_mov_b32_e32 v133, v139
	scratch_store_b64 off, v[132:133], off offset:24
.LBB127_27:
	s_wait_xcnt 0x0
	s_or_b32 exec_lo, exec_lo, s0
	s_wait_storecnt 0x0
	s_barrier_signal -1
	s_barrier_wait -1
	scratch_load_b64 v[132:133], off, off offset:32
	s_mov_b32 s0, exec_lo
	s_wait_loadcnt 0x0
	ds_store_b64 v1, v[132:133]
	s_wait_dscnt 0x0
	s_barrier_signal -1
	s_barrier_wait -1
	v_cmpx_gt_u32_e32 4, v0
	s_cbranch_execz .LBB127_31
; %bb.28:
	v_dual_mov_b32 v132, 0 :: v_dual_add_nc_u32 v9, -1, v0
	v_or_b32_e32 v11, 0x200, v130
	v_mov_b32_e32 v13, v130
	s_mov_b32 s1, 0
	s_delay_alu instid0(VALU_DEP_3)
	v_mov_b32_e32 v133, v132
.LBB127_29:                             ; =>This Inner Loop Header: Depth=1
	scratch_load_b64 v[134:135], v13, off
	ds_load_b64 v[136:137], v11
	s_wait_xcnt 0x0
	v_dual_add_nc_u32 v11, 8, v11 :: v_dual_add_nc_u32 v13, 8, v13
	s_wait_loadcnt_dscnt 0x0
	v_pk_mul_f32 v[138:139], v[136:137], v[134:135] op_sel:[1,1] op_sel_hi:[0,1]
	s_delay_alu instid0(VALU_DEP_1) | instskip(SKIP_2) | instid1(VALU_DEP_3)
	v_pk_fma_f32 v[140:141], v[136:137], v[134:135], v[138:139] op_sel_hi:[1,0,1]
	v_add_nc_u32_e32 v9, 1, v9
	v_pk_fma_f32 v[134:135], v[136:137], v[134:135], v[138:139] neg_lo:[0,0,1] neg_hi:[0,0,1]
	v_mov_b32_e32 v135, v141
	s_delay_alu instid0(VALU_DEP_3) | instskip(NEXT) | instid1(VALU_DEP_2)
	v_cmp_lt_u32_e32 vcc_lo, 2, v9
	v_pk_add_f32 v[132:133], v[132:133], v[134:135]
	s_or_b32 s1, vcc_lo, s1
	s_delay_alu instid0(SALU_CYCLE_1)
	s_and_not1_b32 exec_lo, exec_lo, s1
	s_cbranch_execnz .LBB127_29
; %bb.30:
	s_or_b32 exec_lo, exec_lo, s1
	v_mov_b32_e32 v9, 0
	ds_load_b64 v[134:135], v9 offset:32
	s_wait_dscnt 0x0
	v_pk_mul_f32 v[136:137], v[132:133], v[134:135] op_sel:[1,1] op_sel_hi:[0,1]
	s_delay_alu instid0(VALU_DEP_1) | instskip(SKIP_1) | instid1(VALU_DEP_2)
	v_pk_fma_f32 v[138:139], v[132:133], v[134:135], v[136:137] op_sel_hi:[1,0,1]
	v_pk_fma_f32 v[132:133], v[132:133], v[134:135], v[136:137] neg_lo:[0,0,1] neg_hi:[0,0,1]
	v_mov_b32_e32 v133, v139
	scratch_store_b64 off, v[132:133], off offset:32
.LBB127_31:
	s_wait_xcnt 0x0
	s_or_b32 exec_lo, exec_lo, s0
	s_wait_storecnt 0x0
	s_barrier_signal -1
	s_barrier_wait -1
	scratch_load_b64 v[132:133], off, off offset:40
	;; [unrolled: 52-line block ×19, first 2 shown]
	s_mov_b32 s0, exec_lo
	s_wait_loadcnt 0x0
	ds_store_b64 v1, v[132:133]
	s_wait_dscnt 0x0
	s_barrier_signal -1
	s_barrier_wait -1
	v_cmpx_gt_u32_e32 22, v0
	s_cbranch_execz .LBB127_103
; %bb.100:
	v_dual_mov_b32 v132, 0 :: v_dual_add_nc_u32 v9, -1, v0
	v_or_b32_e32 v11, 0x200, v130
	v_mov_b32_e32 v13, v130
	s_mov_b32 s1, 0
	s_delay_alu instid0(VALU_DEP_3)
	v_mov_b32_e32 v133, v132
.LBB127_101:                            ; =>This Inner Loop Header: Depth=1
	scratch_load_b64 v[134:135], v13, off
	ds_load_b64 v[136:137], v11
	s_wait_xcnt 0x0
	v_dual_add_nc_u32 v11, 8, v11 :: v_dual_add_nc_u32 v13, 8, v13
	s_wait_loadcnt_dscnt 0x0
	v_pk_mul_f32 v[138:139], v[136:137], v[134:135] op_sel:[1,1] op_sel_hi:[0,1]
	s_delay_alu instid0(VALU_DEP_1) | instskip(SKIP_2) | instid1(VALU_DEP_3)
	v_pk_fma_f32 v[140:141], v[136:137], v[134:135], v[138:139] op_sel_hi:[1,0,1]
	v_add_nc_u32_e32 v9, 1, v9
	v_pk_fma_f32 v[134:135], v[136:137], v[134:135], v[138:139] neg_lo:[0,0,1] neg_hi:[0,0,1]
	v_mov_b32_e32 v135, v141
	s_delay_alu instid0(VALU_DEP_3) | instskip(NEXT) | instid1(VALU_DEP_2)
	v_cmp_lt_u32_e32 vcc_lo, 20, v9
	v_pk_add_f32 v[132:133], v[132:133], v[134:135]
	s_or_b32 s1, vcc_lo, s1
	s_delay_alu instid0(SALU_CYCLE_1)
	s_and_not1_b32 exec_lo, exec_lo, s1
	s_cbranch_execnz .LBB127_101
; %bb.102:
	s_or_b32 exec_lo, exec_lo, s1
	v_mov_b32_e32 v9, 0
	ds_load_b64 v[134:135], v9 offset:176
	s_wait_dscnt 0x0
	v_pk_mul_f32 v[136:137], v[132:133], v[134:135] op_sel:[1,1] op_sel_hi:[0,1]
	s_delay_alu instid0(VALU_DEP_1) | instskip(SKIP_1) | instid1(VALU_DEP_2)
	v_pk_fma_f32 v[138:139], v[132:133], v[134:135], v[136:137] op_sel_hi:[1,0,1]
	v_pk_fma_f32 v[132:133], v[132:133], v[134:135], v[136:137] neg_lo:[0,0,1] neg_hi:[0,0,1]
	v_mov_b32_e32 v133, v139
	scratch_store_b64 off, v[132:133], off offset:176
.LBB127_103:
	s_wait_xcnt 0x0
	s_or_b32 exec_lo, exec_lo, s0
	s_wait_storecnt 0x0
	s_barrier_signal -1
	s_barrier_wait -1
	scratch_load_b64 v[132:133], off, off offset:184
	s_mov_b32 s0, exec_lo
	s_wait_loadcnt 0x0
	ds_store_b64 v1, v[132:133]
	s_wait_dscnt 0x0
	s_barrier_signal -1
	s_barrier_wait -1
	v_cmpx_gt_u32_e32 23, v0
	s_cbranch_execz .LBB127_107
; %bb.104:
	v_dual_mov_b32 v132, 0 :: v_dual_add_nc_u32 v9, -1, v0
	v_or_b32_e32 v11, 0x200, v130
	v_mov_b32_e32 v13, v130
	s_mov_b32 s1, 0
	s_delay_alu instid0(VALU_DEP_3)
	v_mov_b32_e32 v133, v132
.LBB127_105:                            ; =>This Inner Loop Header: Depth=1
	scratch_load_b64 v[134:135], v13, off
	ds_load_b64 v[136:137], v11
	s_wait_xcnt 0x0
	v_dual_add_nc_u32 v11, 8, v11 :: v_dual_add_nc_u32 v13, 8, v13
	s_wait_loadcnt_dscnt 0x0
	v_pk_mul_f32 v[138:139], v[136:137], v[134:135] op_sel:[1,1] op_sel_hi:[0,1]
	s_delay_alu instid0(VALU_DEP_1) | instskip(SKIP_2) | instid1(VALU_DEP_3)
	v_pk_fma_f32 v[140:141], v[136:137], v[134:135], v[138:139] op_sel_hi:[1,0,1]
	v_add_nc_u32_e32 v9, 1, v9
	v_pk_fma_f32 v[134:135], v[136:137], v[134:135], v[138:139] neg_lo:[0,0,1] neg_hi:[0,0,1]
	v_mov_b32_e32 v135, v141
	s_delay_alu instid0(VALU_DEP_3) | instskip(NEXT) | instid1(VALU_DEP_2)
	v_cmp_lt_u32_e32 vcc_lo, 21, v9
	v_pk_add_f32 v[132:133], v[132:133], v[134:135]
	s_or_b32 s1, vcc_lo, s1
	s_delay_alu instid0(SALU_CYCLE_1)
	s_and_not1_b32 exec_lo, exec_lo, s1
	s_cbranch_execnz .LBB127_105
; %bb.106:
	s_or_b32 exec_lo, exec_lo, s1
	v_mov_b32_e32 v9, 0
	ds_load_b64 v[134:135], v9 offset:184
	s_wait_dscnt 0x0
	v_pk_mul_f32 v[136:137], v[132:133], v[134:135] op_sel:[1,1] op_sel_hi:[0,1]
	s_delay_alu instid0(VALU_DEP_1) | instskip(SKIP_1) | instid1(VALU_DEP_2)
	v_pk_fma_f32 v[138:139], v[132:133], v[134:135], v[136:137] op_sel_hi:[1,0,1]
	v_pk_fma_f32 v[132:133], v[132:133], v[134:135], v[136:137] neg_lo:[0,0,1] neg_hi:[0,0,1]
	v_mov_b32_e32 v133, v139
	scratch_store_b64 off, v[132:133], off offset:184
.LBB127_107:
	s_wait_xcnt 0x0
	s_or_b32 exec_lo, exec_lo, s0
	s_wait_storecnt 0x0
	s_barrier_signal -1
	s_barrier_wait -1
	scratch_load_b64 v[132:133], off, off offset:192
	;; [unrolled: 52-line block ×41, first 2 shown]
	s_mov_b32 s0, exec_lo
	s_wait_loadcnt 0x0
	ds_store_b64 v1, v[132:133]
	s_wait_dscnt 0x0
	s_barrier_signal -1
	s_barrier_wait -1
	v_cmpx_ne_u32_e32 63, v0
	s_cbranch_execz .LBB127_267
; %bb.264:
	v_dual_mov_b32 v132, 0 :: v_dual_mov_b32 v9, v130
	s_mov_b32 s1, 0
	s_delay_alu instid0(VALU_DEP_1)
	v_mov_b32_e32 v133, v132
.LBB127_265:                            ; =>This Inner Loop Header: Depth=1
	scratch_load_b64 v[130:131], v9, off
	ds_load_b64 v[134:135], v1
	v_add_nc_u32_e32 v1, 8, v1
	s_wait_xcnt 0x0
	v_add_nc_u32_e32 v9, 8, v9
	s_wait_loadcnt_dscnt 0x0
	v_pk_mul_f32 v[136:137], v[134:135], v[130:131] op_sel:[1,1] op_sel_hi:[0,1]
	s_delay_alu instid0(VALU_DEP_1) | instskip(SKIP_2) | instid1(VALU_DEP_3)
	v_pk_fma_f32 v[138:139], v[134:135], v[130:131], v[136:137] op_sel_hi:[1,0,1]
	v_add_nc_u32_e32 v7, 1, v7
	v_pk_fma_f32 v[130:131], v[134:135], v[130:131], v[136:137] neg_lo:[0,0,1] neg_hi:[0,0,1]
	v_mov_b32_e32 v131, v139
	s_delay_alu instid0(VALU_DEP_3) | instskip(NEXT) | instid1(VALU_DEP_2)
	v_cmp_lt_u32_e32 vcc_lo, 61, v7
	v_pk_add_f32 v[132:133], v[132:133], v[130:131]
	s_or_b32 s1, vcc_lo, s1
	s_delay_alu instid0(SALU_CYCLE_1)
	s_and_not1_b32 exec_lo, exec_lo, s1
	s_cbranch_execnz .LBB127_265
; %bb.266:
	s_or_b32 exec_lo, exec_lo, s1
	v_mov_b32_e32 v1, 0
	ds_load_b64 v[130:131], v1 offset:504
	s_wait_dscnt 0x0
	v_pk_mul_f32 v[134:135], v[132:133], v[130:131] op_sel:[1,1] op_sel_hi:[0,1]
	s_delay_alu instid0(VALU_DEP_1) | instskip(SKIP_1) | instid1(VALU_DEP_2)
	v_pk_fma_f32 v[136:137], v[132:133], v[130:131], v[134:135] op_sel_hi:[1,0,1]
	v_pk_fma_f32 v[130:131], v[132:133], v[130:131], v[134:135] neg_lo:[0,0,1] neg_hi:[0,0,1]
	v_mov_b32_e32 v131, v137
	scratch_store_b64 off, v[130:131], off offset:504
.LBB127_267:
	s_wait_xcnt 0x0
	s_or_b32 exec_lo, exec_lo, s0
	s_mov_b32 s1, -1
	s_wait_storecnt 0x0
	s_barrier_signal -1
	s_barrier_wait -1
.LBB127_268:
	s_and_b32 vcc_lo, exec_lo, s1
	s_cbranch_vccz .LBB127_270
; %bb.269:
	v_mov_b32_e32 v1, 0
	s_lshl_b64 s[0:1], s[10:11], 2
	s_delay_alu instid0(SALU_CYCLE_1)
	s_add_nc_u64 s[0:1], s[6:7], s[0:1]
	global_load_b32 v1, v1, s[0:1]
	s_wait_loadcnt 0x0
	v_cmp_ne_u32_e32 vcc_lo, 0, v1
	s_cbranch_vccz .LBB127_271
.LBB127_270:
	s_sendmsg sendmsg(MSG_DEALLOC_VGPRS)
	s_endpgm
.LBB127_271:
	s_wait_xcnt 0x0
	v_lshl_or_b32 v1, v0, 3, 0x200
	s_mov_b32 s0, exec_lo
	v_cmpx_eq_u32_e32 63, v0
	s_cbranch_execz .LBB127_273
; %bb.272:
	scratch_load_b64 v[130:131], off, off offset:496
	v_mov_b64_e32 v[132:133], 0
	scratch_store_b64 off, v[132:133], off offset:496
	s_wait_loadcnt 0x0
	ds_store_b64 v1, v[130:131]
.LBB127_273:
	s_wait_xcnt 0x0
	s_or_b32 exec_lo, exec_lo, s0
	s_wait_storecnt_dscnt 0x0
	s_barrier_signal -1
	s_barrier_wait -1
	s_clause 0x1
	scratch_load_b64 v[130:131], off, off offset:504
	scratch_load_b64 v[132:133], off, off offset:496
	v_mov_b32_e32 v7, 0
	s_mov_b32 s0, exec_lo
	ds_load_b64 v[134:135], v7 offset:1016
	s_wait_loadcnt_dscnt 0x100
	v_pk_mul_f32 v[136:137], v[134:135], v[130:131] op_sel:[1,1] op_sel_hi:[0,1]
	s_delay_alu instid0(VALU_DEP_1) | instskip(SKIP_1) | instid1(VALU_DEP_2)
	v_pk_fma_f32 v[138:139], v[134:135], v[130:131], v[136:137] op_sel_hi:[1,0,1]
	v_pk_fma_f32 v[130:131], v[134:135], v[130:131], v[136:137] neg_lo:[0,0,1] neg_hi:[0,0,1]
	v_mov_b32_e32 v131, v139
	s_delay_alu instid0(VALU_DEP_1) | instskip(SKIP_1) | instid1(VALU_DEP_1)
	v_pk_add_f32 v[130:131], v[130:131], 0 op_sel_hi:[1,0]
	s_wait_loadcnt 0x0
	v_pk_add_f32 v[130:131], v[132:133], v[130:131] neg_lo:[0,1] neg_hi:[0,1]
	scratch_store_b64 off, v[130:131], off offset:496
	s_wait_xcnt 0x0
	v_cmpx_lt_u32_e32 61, v0
	s_cbranch_execz .LBB127_275
; %bb.274:
	scratch_load_b64 v[130:131], off, off offset:488
	v_mov_b64_e32 v[132:133], 0
	scratch_store_b64 off, v[132:133], off offset:488
	s_wait_loadcnt 0x0
	ds_store_b64 v1, v[130:131]
.LBB127_275:
	s_wait_xcnt 0x0
	s_or_b32 exec_lo, exec_lo, s0
	s_wait_storecnt_dscnt 0x0
	s_barrier_signal -1
	s_barrier_wait -1
	s_clause 0x1
	scratch_load_b128 v[130:133], off, off offset:496
	scratch_load_b64 v[138:139], off, off offset:488
	ds_load_b128 v[134:137], v7 offset:1008
	s_mov_b32 s0, exec_lo
	s_wait_dscnt 0x0
	v_dual_mov_b32 v140, v137 :: v_dual_mov_b32 v141, v136
	s_wait_loadcnt 0x1
	v_pk_mul_f32 v[142:143], v[134:135], v[130:131] op_sel:[1,1] op_sel_hi:[0,1]
	s_delay_alu instid0(VALU_DEP_1) | instskip(SKIP_2) | instid1(VALU_DEP_3)
	v_pk_fma_f32 v[146:147], v[134:135], v[130:131], v[142:143] op_sel_hi:[1,0,1]
	v_mov_b32_e32 v144, v133
	v_pk_fma_f32 v[130:131], v[134:135], v[130:131], v[142:143] neg_lo:[0,0,1] neg_hi:[0,0,1]
	v_mov_b32_e32 v131, v147
	s_delay_alu instid0(VALU_DEP_3) | instskip(NEXT) | instid1(VALU_DEP_2)
	v_pk_mul_f32 v[140:141], v[140:141], v[144:145] op_sel_hi:[1,0]
	v_pk_add_f32 v[130:131], v[130:131], 0 op_sel_hi:[1,0]
	s_delay_alu instid0(VALU_DEP_2) | instskip(SKIP_1) | instid1(VALU_DEP_2)
	v_pk_fma_f32 v[134:135], v[136:137], v[132:133], v[140:141] op_sel_hi:[1,0,1]
	v_pk_fma_f32 v[132:133], v[136:137], v[132:133], v[140:141] neg_lo:[0,0,1] neg_hi:[0,0,1]
	v_mov_b32_e32 v133, v135
	s_delay_alu instid0(VALU_DEP_1) | instskip(SKIP_1) | instid1(VALU_DEP_1)
	v_pk_add_f32 v[130:131], v[130:131], v[132:133]
	s_wait_loadcnt 0x0
	v_pk_add_f32 v[130:131], v[138:139], v[130:131] neg_lo:[0,1] neg_hi:[0,1]
	scratch_store_b64 off, v[130:131], off offset:488
	s_wait_xcnt 0x0
	v_cmpx_lt_u32_e32 60, v0
	s_cbranch_execz .LBB127_277
; %bb.276:
	scratch_load_b64 v[130:131], off, off offset:480
	v_mov_b64_e32 v[132:133], 0
	scratch_store_b64 off, v[132:133], off offset:480
	s_wait_loadcnt 0x0
	ds_store_b64 v1, v[130:131]
.LBB127_277:
	s_wait_xcnt 0x0
	s_or_b32 exec_lo, exec_lo, s0
	s_wait_storecnt_dscnt 0x0
	s_barrier_signal -1
	s_barrier_wait -1
	s_clause 0x2
	scratch_load_b128 v[130:133], off, off offset:488
	scratch_load_b64 v[138:139], off, off offset:504
	scratch_load_b64 v[140:141], off, off offset:480
	v_mov_b32_e32 v7, 0
	ds_load_2addr_b64 v[134:137], v7 offset0:125 offset1:126
	ds_load_b64 v[142:143], v7 offset:1016
	s_mov_b32 s0, exec_lo
	s_wait_dscnt 0x1
	v_dual_mov_b32 v144, v137 :: v_dual_mov_b32 v145, v136
	s_wait_loadcnt 0x2
	v_mov_b32_e32 v148, v133
	v_pk_mul_f32 v[146:147], v[134:135], v[130:131] op_sel:[1,1] op_sel_hi:[0,1]
	s_delay_alu instid0(VALU_DEP_2) | instskip(NEXT) | instid1(VALU_DEP_2)
	v_pk_mul_f32 v[144:145], v[144:145], v[148:149] op_sel_hi:[1,0]
	v_pk_fma_f32 v[150:151], v[134:135], v[130:131], v[146:147] op_sel_hi:[1,0,1]
	v_pk_fma_f32 v[130:131], v[134:135], v[130:131], v[146:147] neg_lo:[0,0,1] neg_hi:[0,0,1]
	s_wait_loadcnt_dscnt 0x100
	v_pk_mul_f32 v[146:147], v[142:143], v[138:139] op_sel:[1,1] op_sel_hi:[0,1]
	v_pk_fma_f32 v[134:135], v[136:137], v[132:133], v[144:145] op_sel_hi:[1,0,1]
	v_mov_b32_e32 v131, v151
	v_pk_fma_f32 v[132:133], v[136:137], v[132:133], v[144:145] neg_lo:[0,0,1] neg_hi:[0,0,1]
	s_delay_alu instid0(VALU_DEP_4) | instskip(NEXT) | instid1(VALU_DEP_4)
	v_pk_fma_f32 v[136:137], v[142:143], v[138:139], v[146:147] neg_lo:[0,0,1] neg_hi:[0,0,1]
	v_mov_b32_e32 v133, v135
	s_delay_alu instid0(VALU_DEP_4) | instskip(SKIP_1) | instid1(VALU_DEP_2)
	v_pk_add_f32 v[130:131], v[130:131], 0 op_sel_hi:[1,0]
	v_pk_fma_f32 v[134:135], v[142:143], v[138:139], v[146:147] op_sel_hi:[1,0,1]
	v_pk_add_f32 v[130:131], v[130:131], v[132:133]
	s_delay_alu instid0(VALU_DEP_2) | instskip(NEXT) | instid1(VALU_DEP_1)
	v_mov_b32_e32 v137, v135
	v_pk_add_f32 v[130:131], v[130:131], v[136:137]
	s_wait_loadcnt 0x0
	s_delay_alu instid0(VALU_DEP_1)
	v_pk_add_f32 v[130:131], v[140:141], v[130:131] neg_lo:[0,1] neg_hi:[0,1]
	scratch_store_b64 off, v[130:131], off offset:480
	s_wait_xcnt 0x0
	v_cmpx_lt_u32_e32 59, v0
	s_cbranch_execz .LBB127_279
; %bb.278:
	scratch_load_b64 v[130:131], off, off offset:472
	v_mov_b64_e32 v[132:133], 0
	scratch_store_b64 off, v[132:133], off offset:472
	s_wait_loadcnt 0x0
	ds_store_b64 v1, v[130:131]
.LBB127_279:
	s_wait_xcnt 0x0
	s_or_b32 exec_lo, exec_lo, s0
	s_wait_storecnt_dscnt 0x0
	s_barrier_signal -1
	s_barrier_wait -1
	s_clause 0x2
	scratch_load_b128 v[130:133], off, off offset:480
	scratch_load_b128 v[134:137], off, off offset:496
	scratch_load_b64 v[146:147], off, off offset:472
	ds_load_b128 v[138:141], v7 offset:992
	ds_load_b128 v[142:145], v7 offset:1008
	s_mov_b32 s0, exec_lo
	s_wait_dscnt 0x1
	v_dual_mov_b32 v148, v141 :: v_dual_mov_b32 v149, v140
	s_wait_loadcnt_dscnt 0x200
	v_dual_mov_b32 v154, v145 :: v_dual_mov_b32 v152, v133
	v_pk_mul_f32 v[150:151], v[138:139], v[130:131] op_sel:[1,1] op_sel_hi:[0,1]
	s_delay_alu instid0(VALU_DEP_2) | instskip(NEXT) | instid1(VALU_DEP_2)
	v_pk_mul_f32 v[148:149], v[148:149], v[152:153] op_sel_hi:[1,0]
	v_pk_fma_f32 v[156:157], v[138:139], v[130:131], v[150:151] op_sel_hi:[1,0,1]
	v_pk_fma_f32 v[130:131], v[138:139], v[130:131], v[150:151] neg_lo:[0,0,1] neg_hi:[0,0,1]
	v_mov_b32_e32 v155, v144
	s_wait_loadcnt 0x1
	v_pk_mul_f32 v[152:153], v[142:143], v[134:135] op_sel:[1,1] op_sel_hi:[0,1]
	v_pk_fma_f32 v[138:139], v[140:141], v[132:133], v[148:149] op_sel_hi:[1,0,1]
	v_dual_mov_b32 v131, v157 :: v_dual_mov_b32 v138, v137
	v_pk_fma_f32 v[132:133], v[140:141], v[132:133], v[148:149] neg_lo:[0,0,1] neg_hi:[0,0,1]
	s_delay_alu instid0(VALU_DEP_4) | instskip(NEXT) | instid1(VALU_DEP_4)
	v_pk_fma_f32 v[150:151], v[142:143], v[134:135], v[152:153] op_sel_hi:[1,0,1]
	v_mov_b32_e32 v133, v139
	s_delay_alu instid0(VALU_DEP_4) | instskip(SKIP_2) | instid1(VALU_DEP_3)
	v_pk_add_f32 v[130:131], v[130:131], 0 op_sel_hi:[1,0]
	v_pk_mul_f32 v[138:139], v[154:155], v[138:139] op_sel_hi:[1,0]
	v_pk_fma_f32 v[134:135], v[142:143], v[134:135], v[152:153] neg_lo:[0,0,1] neg_hi:[0,0,1]
	v_pk_add_f32 v[130:131], v[130:131], v[132:133]
	s_delay_alu instid0(VALU_DEP_3) | instskip(SKIP_2) | instid1(VALU_DEP_3)
	v_pk_fma_f32 v[132:133], v[144:145], v[136:137], v[138:139] op_sel_hi:[1,0,1]
	v_mov_b32_e32 v135, v151
	v_pk_fma_f32 v[136:137], v[144:145], v[136:137], v[138:139] neg_lo:[0,0,1] neg_hi:[0,0,1]
	v_mov_b32_e32 v137, v133
	s_delay_alu instid0(VALU_DEP_3) | instskip(NEXT) | instid1(VALU_DEP_1)
	v_pk_add_f32 v[130:131], v[130:131], v[134:135]
	v_pk_add_f32 v[130:131], v[130:131], v[136:137]
	s_wait_loadcnt 0x0
	s_delay_alu instid0(VALU_DEP_1)
	v_pk_add_f32 v[130:131], v[146:147], v[130:131] neg_lo:[0,1] neg_hi:[0,1]
	scratch_store_b64 off, v[130:131], off offset:472
	s_wait_xcnt 0x0
	v_cmpx_lt_u32_e32 58, v0
	s_cbranch_execz .LBB127_281
; %bb.280:
	scratch_load_b64 v[130:131], off, off offset:464
	v_mov_b64_e32 v[132:133], 0
	scratch_store_b64 off, v[132:133], off offset:464
	s_wait_loadcnt 0x0
	ds_store_b64 v1, v[130:131]
.LBB127_281:
	s_wait_xcnt 0x0
	s_or_b32 exec_lo, exec_lo, s0
	s_wait_storecnt_dscnt 0x0
	s_barrier_signal -1
	s_barrier_wait -1
	s_clause 0x3
	scratch_load_b128 v[130:133], off, off offset:472
	scratch_load_b128 v[134:137], off, off offset:488
	scratch_load_b64 v[146:147], off, off offset:504
	scratch_load_b64 v[148:149], off, off offset:464
	v_mov_b32_e32 v7, 0
	ds_load_2addr_b64 v[138:141], v7 offset0:123 offset1:124
	ds_load_2addr_b64 v[142:145], v7 offset0:125 offset1:126
	s_mov_b32 s0, exec_lo
	s_wait_dscnt 0x1
	v_dual_mov_b32 v150, v141 :: v_dual_mov_b32 v151, v140
	ds_load_b64 v[156:157], v7 offset:1016
	s_wait_dscnt 0x1
	v_dual_mov_b32 v158, v145 :: v_dual_mov_b32 v159, v144
	s_wait_loadcnt 0x3
	v_pk_mul_f32 v[152:153], v[138:139], v[130:131] op_sel:[1,1] op_sel_hi:[0,1]
	v_mov_b32_e32 v154, v133
	s_delay_alu instid0(VALU_DEP_2) | instskip(NEXT) | instid1(VALU_DEP_2)
	v_pk_fma_f32 v[160:161], v[138:139], v[130:131], v[152:153] op_sel_hi:[1,0,1]
	v_pk_mul_f32 v[150:151], v[150:151], v[154:155] op_sel_hi:[1,0]
	v_pk_fma_f32 v[130:131], v[138:139], v[130:131], v[152:153] neg_lo:[0,0,1] neg_hi:[0,0,1]
	s_wait_loadcnt 0x2
	v_pk_mul_f32 v[154:155], v[142:143], v[134:135] op_sel:[1,1] op_sel_hi:[0,1]
	v_dual_mov_b32 v160, v137 :: v_dual_mov_b32 v131, v161
	v_pk_fma_f32 v[138:139], v[140:141], v[132:133], v[150:151] op_sel_hi:[1,0,1]
	v_pk_fma_f32 v[132:133], v[140:141], v[132:133], v[150:151] neg_lo:[0,0,1] neg_hi:[0,0,1]
	s_delay_alu instid0(VALU_DEP_4) | instskip(NEXT) | instid1(VALU_DEP_4)
	v_pk_fma_f32 v[152:153], v[142:143], v[134:135], v[154:155] op_sel_hi:[1,0,1]
	v_pk_mul_f32 v[158:159], v[158:159], v[160:161] op_sel_hi:[1,0]
	v_pk_add_f32 v[130:131], v[130:131], 0 op_sel_hi:[1,0]
	v_mov_b32_e32 v133, v139
	v_pk_fma_f32 v[134:135], v[142:143], v[134:135], v[154:155] neg_lo:[0,0,1] neg_hi:[0,0,1]
	v_mov_b32_e32 v135, v153
	v_pk_fma_f32 v[138:139], v[144:145], v[136:137], v[158:159] op_sel_hi:[1,0,1]
	v_pk_fma_f32 v[136:137], v[144:145], v[136:137], v[158:159] neg_lo:[0,0,1] neg_hi:[0,0,1]
	v_pk_add_f32 v[130:131], v[130:131], v[132:133]
	s_wait_loadcnt_dscnt 0x100
	v_pk_mul_f32 v[132:133], v[156:157], v[146:147] op_sel:[1,1] op_sel_hi:[0,1]
	s_delay_alu instid0(VALU_DEP_2) | instskip(NEXT) | instid1(VALU_DEP_2)
	v_pk_add_f32 v[130:131], v[130:131], v[134:135]
	v_pk_fma_f32 v[134:135], v[156:157], v[146:147], v[132:133] op_sel_hi:[1,0,1]
	v_mov_b32_e32 v137, v139
	v_pk_fma_f32 v[132:133], v[156:157], v[146:147], v[132:133] neg_lo:[0,0,1] neg_hi:[0,0,1]
	s_delay_alu instid0(VALU_DEP_3) | instskip(NEXT) | instid1(VALU_DEP_3)
	v_mov_b32_e32 v133, v135
	v_pk_add_f32 v[130:131], v[130:131], v[136:137]
	s_delay_alu instid0(VALU_DEP_1) | instskip(SKIP_1) | instid1(VALU_DEP_1)
	v_pk_add_f32 v[130:131], v[130:131], v[132:133]
	s_wait_loadcnt 0x0
	v_pk_add_f32 v[130:131], v[148:149], v[130:131] neg_lo:[0,1] neg_hi:[0,1]
	scratch_store_b64 off, v[130:131], off offset:464
	s_wait_xcnt 0x0
	v_cmpx_lt_u32_e32 57, v0
	s_cbranch_execz .LBB127_283
; %bb.282:
	scratch_load_b64 v[130:131], off, off offset:456
	v_mov_b64_e32 v[132:133], 0
	scratch_store_b64 off, v[132:133], off offset:456
	s_wait_loadcnt 0x0
	ds_store_b64 v1, v[130:131]
.LBB127_283:
	s_wait_xcnt 0x0
	s_or_b32 exec_lo, exec_lo, s0
	s_wait_storecnt_dscnt 0x0
	s_barrier_signal -1
	s_barrier_wait -1
	s_clause 0x3
	scratch_load_b128 v[130:133], off, off offset:464
	scratch_load_b128 v[134:137], off, off offset:480
	;; [unrolled: 1-line block ×3, first 2 shown]
	scratch_load_b64 v[154:155], off, off offset:456
	ds_load_b128 v[142:145], v7 offset:976
	ds_load_b128 v[146:149], v7 offset:992
	;; [unrolled: 1-line block ×3, first 2 shown]
	s_mov_b32 s0, exec_lo
	s_wait_dscnt 0x2
	v_dual_mov_b32 v156, v145 :: v_dual_mov_b32 v157, v144
	s_wait_dscnt 0x1
	v_dual_mov_b32 v158, v149 :: v_dual_mov_b32 v159, v148
	;; [unrolled: 2-line block ×3, first 2 shown]
	s_wait_loadcnt 0x3
	v_pk_mul_f32 v[160:161], v[142:143], v[130:131] op_sel:[1,1] op_sel_hi:[0,1]
	v_mov_b32_e32 v162, v133
	s_delay_alu instid0(VALU_DEP_2) | instskip(NEXT) | instid1(VALU_DEP_2)
	v_pk_fma_f32 v[166:167], v[142:143], v[130:131], v[160:161] op_sel_hi:[1,0,1]
	v_pk_mul_f32 v[156:157], v[156:157], v[162:163] op_sel_hi:[1,0]
	v_pk_fma_f32 v[130:131], v[142:143], v[130:131], v[160:161] neg_lo:[0,0,1] neg_hi:[0,0,1]
	s_wait_loadcnt 0x2
	v_pk_mul_f32 v[162:163], v[146:147], v[134:135] op_sel:[1,1] op_sel_hi:[0,1]
	v_mov_b32_e32 v166, v137
	v_pk_fma_f32 v[142:143], v[144:145], v[132:133], v[156:157] op_sel_hi:[1,0,1]
	v_mov_b32_e32 v131, v167
	v_pk_fma_f32 v[132:133], v[144:145], v[132:133], v[156:157] neg_lo:[0,0,1] neg_hi:[0,0,1]
	v_pk_fma_f32 v[160:161], v[146:147], v[134:135], v[162:163] op_sel_hi:[1,0,1]
	v_pk_mul_f32 v[158:159], v[158:159], v[166:167] op_sel_hi:[1,0]
	v_mov_b32_e32 v133, v143
	v_pk_add_f32 v[130:131], v[130:131], 0 op_sel_hi:[1,0]
	v_pk_fma_f32 v[134:135], v[146:147], v[134:135], v[162:163] neg_lo:[0,0,1] neg_hi:[0,0,1]
	s_wait_loadcnt 0x1
	v_pk_mul_f32 v[142:143], v[150:151], v[138:139] op_sel:[1,1] op_sel_hi:[0,1]
	v_mov_b32_e32 v135, v161
	v_pk_fma_f32 v[144:145], v[148:149], v[136:137], v[158:159] op_sel_hi:[1,0,1]
	v_pk_add_f32 v[130:131], v[130:131], v[132:133]
	v_mov_b32_e32 v132, v141
	v_pk_fma_f32 v[136:137], v[148:149], v[136:137], v[158:159] neg_lo:[0,0,1] neg_hi:[0,0,1]
	v_pk_fma_f32 v[146:147], v[150:151], v[138:139], v[142:143] op_sel_hi:[1,0,1]
	v_mov_b32_e32 v137, v145
	v_pk_add_f32 v[130:131], v[130:131], v[134:135]
	v_pk_mul_f32 v[132:133], v[164:165], v[132:133] op_sel_hi:[1,0]
	v_pk_fma_f32 v[134:135], v[150:151], v[138:139], v[142:143] neg_lo:[0,0,1] neg_hi:[0,0,1]
	v_mov_b32_e32 v135, v147
	s_delay_alu instid0(VALU_DEP_4) | instskip(NEXT) | instid1(VALU_DEP_4)
	v_pk_add_f32 v[130:131], v[130:131], v[136:137]
	v_pk_fma_f32 v[136:137], v[152:153], v[140:141], v[132:133] op_sel_hi:[1,0,1]
	v_pk_fma_f32 v[132:133], v[152:153], v[140:141], v[132:133] neg_lo:[0,0,1] neg_hi:[0,0,1]
	s_delay_alu instid0(VALU_DEP_3) | instskip(NEXT) | instid1(VALU_DEP_3)
	v_pk_add_f32 v[130:131], v[130:131], v[134:135]
	v_mov_b32_e32 v133, v137
	s_delay_alu instid0(VALU_DEP_1) | instskip(SKIP_1) | instid1(VALU_DEP_1)
	v_pk_add_f32 v[130:131], v[130:131], v[132:133]
	s_wait_loadcnt 0x0
	v_pk_add_f32 v[130:131], v[154:155], v[130:131] neg_lo:[0,1] neg_hi:[0,1]
	scratch_store_b64 off, v[130:131], off offset:456
	s_wait_xcnt 0x0
	v_cmpx_lt_u32_e32 56, v0
	s_cbranch_execz .LBB127_285
; %bb.284:
	scratch_load_b64 v[130:131], off, off offset:448
	v_mov_b64_e32 v[132:133], 0
	scratch_store_b64 off, v[132:133], off offset:448
	s_wait_loadcnt 0x0
	ds_store_b64 v1, v[130:131]
.LBB127_285:
	s_wait_xcnt 0x0
	s_or_b32 exec_lo, exec_lo, s0
	s_wait_storecnt_dscnt 0x0
	s_barrier_signal -1
	s_barrier_wait -1
	s_clause 0x4
	scratch_load_b128 v[130:133], off, off offset:456
	scratch_load_b128 v[134:137], off, off offset:472
	;; [unrolled: 1-line block ×3, first 2 shown]
	scratch_load_b64 v[154:155], off, off offset:504
	scratch_load_b64 v[156:157], off, off offset:448
	v_mov_b32_e32 v7, 0
	ds_load_2addr_b64 v[142:145], v7 offset0:121 offset1:122
	ds_load_2addr_b64 v[146:149], v7 offset0:123 offset1:124
	;; [unrolled: 1-line block ×3, first 2 shown]
	ds_load_b64 v[158:159], v7 offset:1016
	s_mov_b32 s0, exec_lo
	s_wait_dscnt 0x3
	v_dual_mov_b32 v160, v145 :: v_dual_mov_b32 v161, v144
	s_wait_dscnt 0x2
	v_dual_mov_b32 v162, v149 :: v_dual_mov_b32 v163, v148
	s_wait_dscnt 0x1
	v_dual_mov_b32 v168, v153 :: v_dual_mov_b32 v169, v152
	s_wait_loadcnt 0x4
	v_pk_mul_f32 v[164:165], v[142:143], v[130:131] op_sel:[1,1] op_sel_hi:[0,1]
	v_mov_b32_e32 v166, v133
	s_wait_loadcnt 0x3
	v_pk_mul_f32 v[170:171], v[146:147], v[134:135] op_sel:[1,1] op_sel_hi:[0,1]
	s_wait_loadcnt 0x2
	v_pk_mul_f32 v[174:175], v[150:151], v[138:139] op_sel:[1,1] op_sel_hi:[0,1]
	v_pk_fma_f32 v[172:173], v[142:143], v[130:131], v[164:165] op_sel_hi:[1,0,1]
	v_pk_mul_f32 v[160:161], v[160:161], v[166:167] op_sel_hi:[1,0]
	v_pk_fma_f32 v[130:131], v[142:143], v[130:131], v[164:165] neg_lo:[0,0,1] neg_hi:[0,0,1]
	v_mov_b32_e32 v166, v137
	v_pk_fma_f32 v[164:165], v[146:147], v[134:135], v[170:171] op_sel_hi:[1,0,1]
	v_mov_b32_e32 v131, v173
	v_pk_fma_f32 v[142:143], v[144:145], v[132:133], v[160:161] op_sel_hi:[1,0,1]
	v_pk_fma_f32 v[132:133], v[144:145], v[132:133], v[160:161] neg_lo:[0,0,1] neg_hi:[0,0,1]
	v_pk_mul_f32 v[162:163], v[162:163], v[166:167] op_sel_hi:[1,0]
	v_pk_fma_f32 v[134:135], v[146:147], v[134:135], v[170:171] neg_lo:[0,0,1] neg_hi:[0,0,1]
	v_pk_add_f32 v[130:131], v[130:131], 0 op_sel_hi:[1,0]
	v_dual_mov_b32 v133, v143 :: v_dual_mov_b32 v142, v141
	s_delay_alu instid0(VALU_DEP_4) | instskip(SKIP_2) | instid1(VALU_DEP_4)
	v_pk_fma_f32 v[144:145], v[148:149], v[136:137], v[162:163] op_sel_hi:[1,0,1]
	v_mov_b32_e32 v135, v165
	v_pk_fma_f32 v[136:137], v[148:149], v[136:137], v[162:163] neg_lo:[0,0,1] neg_hi:[0,0,1]
	v_pk_add_f32 v[130:131], v[130:131], v[132:133]
	v_pk_fma_f32 v[132:133], v[150:151], v[138:139], v[174:175] op_sel_hi:[1,0,1]
	v_pk_mul_f32 v[142:143], v[168:169], v[142:143] op_sel_hi:[1,0]
	v_mov_b32_e32 v137, v145
	s_delay_alu instid0(VALU_DEP_4)
	v_pk_add_f32 v[130:131], v[130:131], v[134:135]
	v_pk_fma_f32 v[134:135], v[150:151], v[138:139], v[174:175] neg_lo:[0,0,1] neg_hi:[0,0,1]
	v_mov_b32_e32 v135, v133
	v_pk_fma_f32 v[132:133], v[152:153], v[140:141], v[142:143] op_sel_hi:[1,0,1]
	v_pk_fma_f32 v[138:139], v[152:153], v[140:141], v[142:143] neg_lo:[0,0,1] neg_hi:[0,0,1]
	v_pk_add_f32 v[130:131], v[130:131], v[136:137]
	s_wait_loadcnt_dscnt 0x100
	v_pk_mul_f32 v[136:137], v[158:159], v[154:155] op_sel:[1,1] op_sel_hi:[0,1]
	v_mov_b32_e32 v139, v133
	s_delay_alu instid0(VALU_DEP_3) | instskip(NEXT) | instid1(VALU_DEP_3)
	v_pk_add_f32 v[130:131], v[130:131], v[134:135]
	v_pk_fma_f32 v[132:133], v[158:159], v[154:155], v[136:137] op_sel_hi:[1,0,1]
	v_pk_fma_f32 v[134:135], v[158:159], v[154:155], v[136:137] neg_lo:[0,0,1] neg_hi:[0,0,1]
	s_delay_alu instid0(VALU_DEP_3) | instskip(NEXT) | instid1(VALU_DEP_3)
	v_pk_add_f32 v[130:131], v[130:131], v[138:139]
	v_mov_b32_e32 v135, v133
	s_delay_alu instid0(VALU_DEP_1) | instskip(SKIP_1) | instid1(VALU_DEP_1)
	v_pk_add_f32 v[130:131], v[130:131], v[134:135]
	s_wait_loadcnt 0x0
	v_pk_add_f32 v[130:131], v[156:157], v[130:131] neg_lo:[0,1] neg_hi:[0,1]
	scratch_store_b64 off, v[130:131], off offset:448
	s_wait_xcnt 0x0
	v_cmpx_lt_u32_e32 55, v0
	s_cbranch_execz .LBB127_287
; %bb.286:
	scratch_load_b64 v[130:131], off, off offset:440
	v_mov_b64_e32 v[132:133], 0
	scratch_store_b64 off, v[132:133], off offset:440
	s_wait_loadcnt 0x0
	ds_store_b64 v1, v[130:131]
.LBB127_287:
	s_wait_xcnt 0x0
	s_or_b32 exec_lo, exec_lo, s0
	s_wait_storecnt_dscnt 0x0
	s_barrier_signal -1
	s_barrier_wait -1
	s_clause 0x4
	scratch_load_b128 v[130:133], off, off offset:448
	scratch_load_b128 v[134:137], off, off offset:464
	;; [unrolled: 1-line block ×4, first 2 shown]
	scratch_load_b64 v[162:163], off, off offset:440
	ds_load_b128 v[146:149], v7 offset:960
	ds_load_b128 v[150:153], v7 offset:976
	;; [unrolled: 1-line block ×4, first 2 shown]
	s_mov_b32 s0, exec_lo
	s_wait_dscnt 0x3
	v_dual_mov_b32 v164, v149 :: v_dual_mov_b32 v165, v148
	s_wait_dscnt 0x2
	v_dual_mov_b32 v166, v153 :: v_dual_mov_b32 v167, v152
	;; [unrolled: 2-line block ×3, first 2 shown]
	v_dual_mov_b32 v169, v156 :: v_dual_mov_b32 v174, v161
	s_wait_loadcnt 0x4
	v_mov_b32_e32 v172, v133
	v_pk_mul_f32 v[170:171], v[146:147], v[130:131] op_sel:[1,1] op_sel_hi:[0,1]
	s_wait_loadcnt 0x3
	v_pk_mul_f32 v[176:177], v[150:151], v[134:135] op_sel:[1,1] op_sel_hi:[0,1]
	s_wait_loadcnt 0x2
	v_pk_mul_f32 v[180:181], v[154:155], v[138:139] op_sel:[1,1] op_sel_hi:[0,1]
	v_pk_mul_f32 v[164:165], v[164:165], v[172:173] op_sel_hi:[1,0]
	v_pk_fma_f32 v[178:179], v[146:147], v[130:131], v[170:171] op_sel_hi:[1,0,1]
	v_pk_fma_f32 v[130:131], v[146:147], v[130:131], v[170:171] neg_lo:[0,0,1] neg_hi:[0,0,1]
	v_mov_b32_e32 v172, v137
	v_pk_fma_f32 v[170:171], v[150:151], v[134:135], v[176:177] op_sel_hi:[1,0,1]
	v_pk_fma_f32 v[146:147], v[148:149], v[132:133], v[164:165] op_sel_hi:[1,0,1]
	v_mov_b32_e32 v131, v179
	v_pk_fma_f32 v[132:133], v[148:149], v[132:133], v[164:165] neg_lo:[0,0,1] neg_hi:[0,0,1]
	v_pk_mul_f32 v[166:167], v[166:167], v[172:173] op_sel_hi:[1,0]
	s_delay_alu instid0(VALU_DEP_4) | instskip(NEXT) | instid1(VALU_DEP_4)
	v_dual_mov_b32 v146, v141 :: v_dual_mov_b32 v133, v147
	v_pk_add_f32 v[130:131], v[130:131], 0 op_sel_hi:[1,0]
	v_pk_fma_f32 v[134:135], v[150:151], v[134:135], v[176:177] neg_lo:[0,0,1] neg_hi:[0,0,1]
	v_mov_b32_e32 v135, v171
	v_pk_fma_f32 v[148:149], v[152:153], v[136:137], v[166:167] op_sel_hi:[1,0,1]
	v_pk_mul_f32 v[146:147], v[168:169], v[146:147] op_sel_hi:[1,0]
	v_pk_add_f32 v[130:131], v[130:131], v[132:133]
	v_pk_fma_f32 v[132:133], v[154:155], v[138:139], v[180:181] op_sel_hi:[1,0,1]
	v_pk_fma_f32 v[136:137], v[152:153], v[136:137], v[166:167] neg_lo:[0,0,1] neg_hi:[0,0,1]
	v_mov_b32_e32 v137, v149
	v_pk_fma_f32 v[138:139], v[154:155], v[138:139], v[180:181] neg_lo:[0,0,1] neg_hi:[0,0,1]
	v_pk_add_f32 v[130:131], v[130:131], v[134:135]
	v_mov_b32_e32 v139, v133
	v_pk_fma_f32 v[132:133], v[156:157], v[140:141], v[146:147] op_sel_hi:[1,0,1]
	s_wait_loadcnt 0x1
	v_pk_mul_f32 v[134:135], v[158:159], v[142:143] op_sel:[1,1] op_sel_hi:[0,1]
	v_mov_b32_e32 v132, v145
	v_pk_add_f32 v[130:131], v[130:131], v[136:137]
	v_pk_fma_f32 v[140:141], v[156:157], v[140:141], v[146:147] neg_lo:[0,0,1] neg_hi:[0,0,1]
	v_mov_b32_e32 v141, v133
	v_pk_fma_f32 v[136:137], v[158:159], v[142:143], v[134:135] op_sel_hi:[1,0,1]
	v_pk_mul_f32 v[132:133], v[174:175], v[132:133] op_sel_hi:[1,0]
	v_pk_add_f32 v[130:131], v[130:131], v[138:139]
	v_pk_fma_f32 v[134:135], v[158:159], v[142:143], v[134:135] neg_lo:[0,0,1] neg_hi:[0,0,1]
	s_delay_alu instid0(VALU_DEP_4) | instskip(NEXT) | instid1(VALU_DEP_4)
	v_mov_b32_e32 v135, v137
	v_pk_fma_f32 v[136:137], v[160:161], v[144:145], v[132:133] op_sel_hi:[1,0,1]
	s_delay_alu instid0(VALU_DEP_4) | instskip(SKIP_1) | instid1(VALU_DEP_3)
	v_pk_add_f32 v[130:131], v[130:131], v[140:141]
	v_pk_fma_f32 v[132:133], v[160:161], v[144:145], v[132:133] neg_lo:[0,0,1] neg_hi:[0,0,1]
	v_mov_b32_e32 v133, v137
	s_delay_alu instid0(VALU_DEP_3) | instskip(NEXT) | instid1(VALU_DEP_1)
	v_pk_add_f32 v[130:131], v[130:131], v[134:135]
	v_pk_add_f32 v[130:131], v[130:131], v[132:133]
	s_wait_loadcnt 0x0
	s_delay_alu instid0(VALU_DEP_1)
	v_pk_add_f32 v[130:131], v[162:163], v[130:131] neg_lo:[0,1] neg_hi:[0,1]
	scratch_store_b64 off, v[130:131], off offset:440
	s_wait_xcnt 0x0
	v_cmpx_lt_u32_e32 54, v0
	s_cbranch_execz .LBB127_289
; %bb.288:
	scratch_load_b64 v[130:131], off, off offset:432
	v_mov_b64_e32 v[132:133], 0
	scratch_store_b64 off, v[132:133], off offset:432
	s_wait_loadcnt 0x0
	ds_store_b64 v1, v[130:131]
.LBB127_289:
	s_wait_xcnt 0x0
	s_or_b32 exec_lo, exec_lo, s0
	s_wait_storecnt_dscnt 0x0
	s_barrier_signal -1
	s_barrier_wait -1
	s_clause 0x5
	scratch_load_b128 v[130:133], off, off offset:440
	scratch_load_b128 v[134:137], off, off offset:456
	scratch_load_b128 v[138:141], off, off offset:472
	scratch_load_b128 v[142:145], off, off offset:488
	scratch_load_b64 v[162:163], off, off offset:504
	scratch_load_b64 v[164:165], off, off offset:432
	v_mov_b32_e32 v7, 0
	ds_load_2addr_b64 v[146:149], v7 offset0:119 offset1:120
	ds_load_2addr_b64 v[150:153], v7 offset0:121 offset1:122
	;; [unrolled: 1-line block ×4, first 2 shown]
	ds_load_b64 v[166:167], v7 offset:1016
	s_mov_b32 s0, exec_lo
	s_wait_dscnt 0x4
	v_dual_mov_b32 v168, v149 :: v_dual_mov_b32 v169, v148
	s_wait_dscnt 0x1
	v_dual_mov_b32 v170, v153 :: v_dual_mov_b32 v175, v160
	v_dual_mov_b32 v171, v152 :: v_dual_mov_b32 v172, v157
	;; [unrolled: 1-line block ×3, first 2 shown]
	s_wait_loadcnt 0x5
	v_dual_mov_b32 v176, v133 :: v_dual_mul_f32 v177, v146, v131
	v_mul_f32_e32 v9, v147, v131
	s_wait_loadcnt 0x4
	v_pk_mul_f32 v[178:179], v[150:151], v[134:135] op_sel:[1,1] op_sel_hi:[0,1]
	v_mov_b32_e32 v180, v137
	s_wait_loadcnt 0x3
	v_pk_mul_f32 v[182:183], v[154:155], v[138:139] op_sel:[1,1] op_sel_hi:[0,1]
	v_pk_mul_f32 v[168:169], v[168:169], v[176:177] op_sel_hi:[1,0]
	v_fmac_f32_e32 v177, v147, v130
	v_dual_fma_f32 v176, v146, v130, -v9 :: v_dual_mov_b32 v130, v141
	v_pk_fma_f32 v[184:185], v[150:151], v[134:135], v[178:179] op_sel_hi:[1,0,1]
	s_delay_alu instid0(VALU_DEP_4)
	v_pk_fma_f32 v[146:147], v[148:149], v[132:133], v[168:169] op_sel_hi:[1,0,1]
	v_pk_fma_f32 v[132:133], v[148:149], v[132:133], v[168:169] neg_lo:[0,0,1] neg_hi:[0,0,1]
	v_pk_mul_f32 v[170:171], v[170:171], v[180:181] op_sel_hi:[1,0]
	v_pk_add_f32 v[176:177], v[176:177], 0 op_sel_hi:[1,0]
	v_pk_fma_f32 v[134:135], v[150:151], v[134:135], v[178:179] neg_lo:[0,0,1] neg_hi:[0,0,1]
	v_dual_mov_b32 v133, v147 :: v_dual_mov_b32 v135, v185
	s_delay_alu instid0(VALU_DEP_4) | instskip(SKIP_2) | instid1(VALU_DEP_4)
	v_pk_fma_f32 v[148:149], v[152:153], v[136:137], v[170:171] op_sel_hi:[1,0,1]
	v_pk_fma_f32 v[136:137], v[152:153], v[136:137], v[170:171] neg_lo:[0,0,1] neg_hi:[0,0,1]
	v_pk_fma_f32 v[150:151], v[154:155], v[138:139], v[182:183] op_sel_hi:[1,0,1]
	v_pk_add_f32 v[132:133], v[176:177], v[132:133]
	v_pk_mul_f32 v[130:131], v[172:173], v[130:131] op_sel_hi:[1,0]
	v_mov_b32_e32 v137, v149
	v_pk_fma_f32 v[138:139], v[154:155], v[138:139], v[182:183] neg_lo:[0,0,1] neg_hi:[0,0,1]
	s_wait_loadcnt 0x2
	v_pk_mul_f32 v[146:147], v[158:159], v[142:143] op_sel:[1,1] op_sel_hi:[0,1]
	v_pk_add_f32 v[132:133], v[132:133], v[134:135]
	v_mov_b32_e32 v134, v145
	v_pk_fma_f32 v[148:149], v[156:157], v[140:141], v[130:131] op_sel_hi:[1,0,1]
	v_mov_b32_e32 v139, v151
	v_pk_fma_f32 v[130:131], v[156:157], v[140:141], v[130:131] neg_lo:[0,0,1] neg_hi:[0,0,1]
	v_pk_add_f32 v[132:133], v[132:133], v[136:137]
	v_pk_fma_f32 v[136:137], v[158:159], v[142:143], v[146:147] op_sel_hi:[1,0,1]
	v_pk_mul_f32 v[134:135], v[174:175], v[134:135] op_sel_hi:[1,0]
	v_mov_b32_e32 v131, v149
	s_delay_alu instid0(VALU_DEP_4)
	v_pk_add_f32 v[132:133], v[132:133], v[138:139]
	v_pk_fma_f32 v[138:139], v[158:159], v[142:143], v[146:147] neg_lo:[0,0,1] neg_hi:[0,0,1]
	v_mov_b32_e32 v139, v137
	v_pk_fma_f32 v[136:137], v[160:161], v[144:145], v[134:135] op_sel_hi:[1,0,1]
	v_pk_fma_f32 v[134:135], v[160:161], v[144:145], v[134:135] neg_lo:[0,0,1] neg_hi:[0,0,1]
	v_pk_add_f32 v[130:131], v[132:133], v[130:131]
	s_wait_loadcnt_dscnt 0x100
	v_pk_mul_f32 v[132:133], v[166:167], v[162:163] op_sel:[1,1] op_sel_hi:[0,1]
	v_mov_b32_e32 v135, v137
	s_delay_alu instid0(VALU_DEP_3) | instskip(NEXT) | instid1(VALU_DEP_3)
	v_pk_add_f32 v[130:131], v[130:131], v[138:139]
	v_pk_fma_f32 v[136:137], v[166:167], v[162:163], v[132:133] op_sel_hi:[1,0,1]
	v_pk_fma_f32 v[132:133], v[166:167], v[162:163], v[132:133] neg_lo:[0,0,1] neg_hi:[0,0,1]
	s_delay_alu instid0(VALU_DEP_3) | instskip(NEXT) | instid1(VALU_DEP_3)
	v_pk_add_f32 v[130:131], v[130:131], v[134:135]
	v_mov_b32_e32 v133, v137
	s_delay_alu instid0(VALU_DEP_1) | instskip(SKIP_1) | instid1(VALU_DEP_1)
	v_pk_add_f32 v[130:131], v[130:131], v[132:133]
	s_wait_loadcnt 0x0
	v_pk_add_f32 v[130:131], v[164:165], v[130:131] neg_lo:[0,1] neg_hi:[0,1]
	scratch_store_b64 off, v[130:131], off offset:432
	s_wait_xcnt 0x0
	v_cmpx_lt_u32_e32 53, v0
	s_cbranch_execz .LBB127_291
; %bb.290:
	scratch_load_b64 v[130:131], off, off offset:424
	v_mov_b64_e32 v[132:133], 0
	scratch_store_b64 off, v[132:133], off offset:424
	s_wait_loadcnt 0x0
	ds_store_b64 v1, v[130:131]
.LBB127_291:
	s_wait_xcnt 0x0
	s_or_b32 exec_lo, exec_lo, s0
	s_wait_storecnt_dscnt 0x0
	s_barrier_signal -1
	s_barrier_wait -1
	s_clause 0x5
	scratch_load_b128 v[130:133], off, off offset:432
	scratch_load_b128 v[134:137], off, off offset:448
	;; [unrolled: 1-line block ×5, first 2 shown]
	scratch_load_b64 v[170:171], off, off offset:424
	ds_load_b128 v[150:153], v7 offset:960
	ds_load_b128 v[154:157], v7 offset:976
	;; [unrolled: 1-line block ×5, first 2 shown]
	s_mov_b32 s0, exec_lo
	s_wait_dscnt 0x4
	v_dual_mov_b32 v172, v153 :: v_dual_mov_b32 v173, v152
	s_wait_dscnt 0x3
	v_dual_mov_b32 v174, v157 :: v_dual_mov_b32 v175, v156
	;; [unrolled: 2-line block ×4, first 2 shown]
	s_wait_loadcnt_dscnt 0x500
	v_dual_mul_f32 v181, v166, v131 :: v_dual_mul_f32 v183, v168, v133
	v_dual_mul_f32 v7, v167, v131 :: v_dual_mul_f32 v9, v169, v133
	s_wait_loadcnt 0x4
	v_pk_mul_f32 v[184:185], v[150:151], v[134:135] op_sel:[1,1] op_sel_hi:[0,1]
	s_wait_loadcnt 0x3
	v_dual_mov_b32 v186, v137 :: v_dual_mov_b32 v190, v141
	v_dual_fmac_f32 v181, v167, v130 :: v_dual_fma_f32 v180, v166, v130, -v7
	v_dual_fmac_f32 v183, v169, v132 :: v_dual_fma_f32 v182, v168, v132, -v9
	v_pk_fma_f32 v[130:131], v[150:151], v[134:135], v[184:185] op_sel_hi:[1,0,1]
	s_delay_alu instid0(VALU_DEP_4) | instskip(NEXT) | instid1(VALU_DEP_4)
	v_pk_mul_f32 v[132:133], v[172:173], v[186:187] op_sel_hi:[1,0]
	v_pk_add_f32 v[166:167], v[180:181], 0 op_sel_hi:[1,0]
	v_pk_fma_f32 v[134:135], v[150:151], v[134:135], v[184:185] neg_lo:[0,0,1] neg_hi:[0,0,1]
	v_pk_mul_f32 v[188:189], v[154:155], v[138:139] op_sel:[1,1] op_sel_hi:[0,1]
	v_mov_b32_e32 v135, v131
	v_pk_fma_f32 v[130:131], v[152:153], v[136:137], v[132:133] op_sel_hi:[1,0,1]
	v_pk_add_f32 v[150:151], v[166:167], v[182:183]
	v_pk_fma_f32 v[132:133], v[152:153], v[136:137], v[132:133] neg_lo:[0,0,1] neg_hi:[0,0,1]
	v_pk_fma_f32 v[166:167], v[154:155], v[138:139], v[188:189] op_sel_hi:[1,0,1]
	v_pk_mul_f32 v[172:173], v[174:175], v[190:191] op_sel_hi:[1,0]
	v_mov_b32_e32 v133, v131
	v_pk_add_f32 v[130:131], v[150:151], v[134:135]
	s_wait_loadcnt 0x2
	v_pk_mul_f32 v[168:169], v[158:159], v[142:143] op_sel:[1,1] op_sel_hi:[0,1]
	v_mov_b32_e32 v134, v145
	v_pk_fma_f32 v[136:137], v[154:155], v[138:139], v[188:189] neg_lo:[0,0,1] neg_hi:[0,0,1]
	v_mov_b32_e32 v137, v167
	v_pk_fma_f32 v[138:139], v[156:157], v[140:141], v[172:173] op_sel_hi:[1,0,1]
	v_pk_add_f32 v[130:131], v[130:131], v[132:133]
	v_pk_fma_f32 v[132:133], v[158:159], v[142:143], v[168:169] op_sel_hi:[1,0,1]
	v_pk_mul_f32 v[134:135], v[176:177], v[134:135] op_sel_hi:[1,0]
	v_pk_fma_f32 v[140:141], v[156:157], v[140:141], v[172:173] neg_lo:[0,0,1] neg_hi:[0,0,1]
	v_mov_b32_e32 v141, v139
	v_pk_add_f32 v[130:131], v[130:131], v[136:137]
	v_pk_fma_f32 v[138:139], v[158:159], v[142:143], v[168:169] neg_lo:[0,0,1] neg_hi:[0,0,1]
	v_mov_b32_e32 v139, v133
	v_pk_fma_f32 v[132:133], v[160:161], v[144:145], v[134:135] op_sel_hi:[1,0,1]
	s_wait_loadcnt 0x1
	v_pk_mul_f32 v[136:137], v[162:163], v[146:147] op_sel:[1,1] op_sel_hi:[0,1]
	v_pk_add_f32 v[130:131], v[130:131], v[140:141]
	v_mov_b32_e32 v132, v149
	v_pk_fma_f32 v[134:135], v[160:161], v[144:145], v[134:135] neg_lo:[0,0,1] neg_hi:[0,0,1]
	v_mov_b32_e32 v135, v133
	v_pk_fma_f32 v[140:141], v[162:163], v[146:147], v[136:137] op_sel_hi:[1,0,1]
	v_pk_add_f32 v[130:131], v[130:131], v[138:139]
	v_pk_mul_f32 v[132:133], v[178:179], v[132:133] op_sel_hi:[1,0]
	v_pk_fma_f32 v[136:137], v[162:163], v[146:147], v[136:137] neg_lo:[0,0,1] neg_hi:[0,0,1]
	s_delay_alu instid0(VALU_DEP_3) | instskip(NEXT) | instid1(VALU_DEP_3)
	v_pk_add_f32 v[130:131], v[130:131], v[134:135]
	v_pk_fma_f32 v[134:135], v[164:165], v[148:149], v[132:133] op_sel_hi:[1,0,1]
	v_mov_b32_e32 v137, v141
	v_pk_fma_f32 v[132:133], v[164:165], v[148:149], v[132:133] neg_lo:[0,0,1] neg_hi:[0,0,1]
	s_delay_alu instid0(VALU_DEP_3) | instskip(NEXT) | instid1(VALU_DEP_3)
	v_mov_b32_e32 v133, v135
	v_pk_add_f32 v[130:131], v[130:131], v[136:137]
	s_delay_alu instid0(VALU_DEP_1) | instskip(SKIP_1) | instid1(VALU_DEP_1)
	v_pk_add_f32 v[130:131], v[130:131], v[132:133]
	s_wait_loadcnt 0x0
	v_pk_add_f32 v[130:131], v[170:171], v[130:131] neg_lo:[0,1] neg_hi:[0,1]
	scratch_store_b64 off, v[130:131], off offset:424
	s_wait_xcnt 0x0
	v_cmpx_lt_u32_e32 52, v0
	s_cbranch_execz .LBB127_293
; %bb.292:
	scratch_load_b64 v[130:131], off, off offset:416
	v_mov_b64_e32 v[132:133], 0
	scratch_store_b64 off, v[132:133], off offset:416
	s_wait_loadcnt 0x0
	ds_store_b64 v1, v[130:131]
.LBB127_293:
	s_wait_xcnt 0x0
	s_or_b32 exec_lo, exec_lo, s0
	s_wait_storecnt_dscnt 0x0
	s_barrier_signal -1
	s_barrier_wait -1
	s_clause 0x6
	scratch_load_b128 v[130:133], off, off offset:424
	scratch_load_b128 v[134:137], off, off offset:440
	;; [unrolled: 1-line block ×5, first 2 shown]
	scratch_load_b64 v[170:171], off, off offset:504
	scratch_load_b64 v[172:173], off, off offset:416
	v_mov_b32_e32 v7, 0
	ds_load_2addr_b64 v[150:153], v7 offset0:119 offset1:120
	ds_load_2addr_b64 v[154:157], v7 offset0:121 offset1:122
	;; [unrolled: 1-line block ×5, first 2 shown]
	ds_load_b64 v[174:175], v7 offset:1016
	s_mov_b32 s0, exec_lo
	s_wait_dscnt 0x5
	v_dual_mov_b32 v176, v153 :: v_dual_mov_b32 v177, v152
	s_wait_dscnt 0x2
	v_dual_mov_b32 v178, v157 :: v_dual_mov_b32 v183, v164
	v_dual_mov_b32 v179, v156 :: v_dual_mov_b32 v180, v161
	;; [unrolled: 1-line block ×3, first 2 shown]
	s_wait_loadcnt_dscnt 0x601
	v_dual_mul_f32 v9, v166, v131 :: v_dual_mul_f32 v11, v167, v131
	v_dual_mul_f32 v13, v169, v133 :: v_dual_mul_f32 v185, v168, v133
	s_wait_loadcnt 0x5
	v_dual_mul_f32 v187, v150, v135 :: v_dual_mul_f32 v15, v151, v135
	s_wait_loadcnt 0x4
	v_dual_mov_b32 v186, v137 :: v_dual_mov_b32 v190, v141
	v_dual_fmac_f32 v9, v167, v130 :: v_dual_fma_f32 v11, v166, v130, -v11
	v_fmac_f32_e32 v185, v169, v132
	v_pk_mul_f32 v[188:189], v[154:155], v[138:139] op_sel:[1,1] op_sel_hi:[0,1]
	s_delay_alu instid0(VALU_DEP_3)
	v_dual_fma_f32 v184, v168, v132, -v13 :: v_dual_add_f32 v133, 0, v9
	v_pk_mul_f32 v[130:131], v[176:177], v[186:187] op_sel_hi:[1,0]
	s_wait_loadcnt 0x3
	v_dual_add_f32 v132, 0, v11 :: v_dual_mov_b32 v166, v145
	v_fmac_f32_e32 v187, v151, v134
	v_fma_f32 v186, v150, v134, -v15
	v_pk_fma_f32 v[134:135], v[152:153], v[136:137], v[130:131] op_sel_hi:[1,0,1]
	s_delay_alu instid0(VALU_DEP_4) | instskip(SKIP_4) | instid1(VALU_DEP_4)
	v_pk_add_f32 v[132:133], v[132:133], v[184:185]
	v_pk_fma_f32 v[150:151], v[154:155], v[138:139], v[188:189] op_sel_hi:[1,0,1]
	v_pk_fma_f32 v[130:131], v[152:153], v[136:137], v[130:131] neg_lo:[0,0,1] neg_hi:[0,0,1]
	v_pk_fma_f32 v[136:137], v[154:155], v[138:139], v[188:189] neg_lo:[0,0,1] neg_hi:[0,0,1]
	v_pk_mul_f32 v[168:169], v[178:179], v[190:191] op_sel_hi:[1,0]
	v_dual_mov_b32 v131, v135 :: v_dual_mov_b32 v137, v151
	v_pk_add_f32 v[132:133], v[132:133], v[186:187]
	v_pk_mul_f32 v[192:193], v[158:159], v[142:143] op_sel:[1,1] op_sel_hi:[0,1]
	s_delay_alu instid0(VALU_DEP_4)
	v_pk_fma_f32 v[138:139], v[156:157], v[140:141], v[168:169] op_sel_hi:[1,0,1]
	v_pk_fma_f32 v[140:141], v[156:157], v[140:141], v[168:169] neg_lo:[0,0,1] neg_hi:[0,0,1]
	v_pk_mul_f32 v[150:151], v[180:181], v[166:167] op_sel_hi:[1,0]
	v_pk_add_f32 v[130:131], v[132:133], v[130:131]
	v_pk_fma_f32 v[132:133], v[158:159], v[142:143], v[192:193] op_sel_hi:[1,0,1]
	s_wait_loadcnt 0x2
	v_dual_mov_b32 v141, v139 :: v_dual_mov_b32 v132, v149
	v_pk_mul_f32 v[134:135], v[162:163], v[146:147] op_sel:[1,1] op_sel_hi:[0,1]
	v_pk_add_f32 v[130:131], v[130:131], v[136:137]
	v_pk_fma_f32 v[136:137], v[158:159], v[142:143], v[192:193] neg_lo:[0,0,1] neg_hi:[0,0,1]
	v_pk_fma_f32 v[138:139], v[160:161], v[144:145], v[150:151] op_sel_hi:[1,0,1]
	v_mov_b32_e32 v137, v133
	v_pk_fma_f32 v[142:143], v[160:161], v[144:145], v[150:151] neg_lo:[0,0,1] neg_hi:[0,0,1]
	v_pk_add_f32 v[130:131], v[130:131], v[140:141]
	v_pk_fma_f32 v[140:141], v[162:163], v[146:147], v[134:135] op_sel_hi:[1,0,1]
	v_pk_mul_f32 v[132:133], v[182:183], v[132:133] op_sel_hi:[1,0]
	v_mov_b32_e32 v143, v139
	v_pk_fma_f32 v[134:135], v[162:163], v[146:147], v[134:135] neg_lo:[0,0,1] neg_hi:[0,0,1]
	v_pk_add_f32 v[130:131], v[130:131], v[136:137]
	s_wait_loadcnt_dscnt 0x100
	v_pk_mul_f32 v[138:139], v[174:175], v[170:171] op_sel:[1,1] op_sel_hi:[0,1]
	v_pk_fma_f32 v[136:137], v[164:165], v[148:149], v[132:133] op_sel_hi:[1,0,1]
	v_mov_b32_e32 v135, v141
	v_pk_fma_f32 v[132:133], v[164:165], v[148:149], v[132:133] neg_lo:[0,0,1] neg_hi:[0,0,1]
	v_pk_add_f32 v[130:131], v[130:131], v[142:143]
	s_delay_alu instid0(VALU_DEP_4) | instskip(SKIP_1) | instid1(VALU_DEP_3)
	v_mov_b32_e32 v133, v137
	v_pk_fma_f32 v[136:137], v[174:175], v[170:171], v[138:139] neg_lo:[0,0,1] neg_hi:[0,0,1]
	v_pk_add_f32 v[130:131], v[130:131], v[134:135]
	v_pk_fma_f32 v[134:135], v[174:175], v[170:171], v[138:139] op_sel_hi:[1,0,1]
	s_delay_alu instid0(VALU_DEP_2) | instskip(NEXT) | instid1(VALU_DEP_2)
	v_pk_add_f32 v[130:131], v[130:131], v[132:133]
	v_mov_b32_e32 v137, v135
	s_delay_alu instid0(VALU_DEP_1) | instskip(SKIP_1) | instid1(VALU_DEP_1)
	v_pk_add_f32 v[130:131], v[130:131], v[136:137]
	s_wait_loadcnt 0x0
	v_pk_add_f32 v[130:131], v[172:173], v[130:131] neg_lo:[0,1] neg_hi:[0,1]
	scratch_store_b64 off, v[130:131], off offset:416
	s_wait_xcnt 0x0
	v_cmpx_lt_u32_e32 51, v0
	s_cbranch_execz .LBB127_295
; %bb.294:
	scratch_load_b64 v[130:131], off, off offset:408
	v_mov_b64_e32 v[132:133], 0
	scratch_store_b64 off, v[132:133], off offset:408
	s_wait_loadcnt 0x0
	ds_store_b64 v1, v[130:131]
.LBB127_295:
	s_wait_xcnt 0x0
	s_or_b32 exec_lo, exec_lo, s0
	s_wait_storecnt_dscnt 0x0
	s_barrier_signal -1
	s_barrier_wait -1
	s_clause 0x6
	scratch_load_b128 v[130:133], off, off offset:416
	scratch_load_b128 v[134:137], off, off offset:432
	;; [unrolled: 1-line block ×6, first 2 shown]
	scratch_load_b64 v[178:179], off, off offset:408
	ds_load_b128 v[154:157], v7 offset:960
	ds_load_b128 v[158:161], v7 offset:976
	;; [unrolled: 1-line block ×6, first 2 shown]
	s_mov_b32 s0, exec_lo
	s_wait_dscnt 0x5
	v_dual_mov_b32 v180, v157 :: v_dual_mov_b32 v181, v156
	s_wait_dscnt 0x4
	v_dual_mov_b32 v182, v161 :: v_dual_mov_b32 v183, v160
	;; [unrolled: 2-line block ×4, first 2 shown]
	s_wait_loadcnt_dscnt 0x601
	v_dual_mul_f32 v7, v170, v131 :: v_dual_mul_f32 v9, v172, v133
	v_dual_mul_f32 v11, v171, v131 :: v_dual_mul_f32 v13, v173, v133
	s_wait_loadcnt 0x4
	s_delay_alu instid0(VALU_DEP_2)
	v_dual_mov_b32 v194, v141 :: v_dual_fmac_f32 v7, v171, v130
	s_wait_dscnt 0x0
	v_dual_mul_f32 v189, v174, v135 :: v_dual_mul_f32 v191, v176, v137
	v_dual_fma_f32 v11, v170, v130, -v11 :: v_dual_fmac_f32 v9, v173, v132
	v_dual_mul_f32 v15, v175, v135 :: v_dual_mul_f32 v17, v177, v137
	v_dual_fma_f32 v13, v172, v132, -v13 :: v_dual_add_f32 v7, 0, v7
	s_wait_loadcnt 0x3
	s_delay_alu instid0(VALU_DEP_3) | instskip(SKIP_3) | instid1(VALU_DEP_4)
	v_dual_add_f32 v11, 0, v11 :: v_dual_mov_b32 v132, v145
	v_pk_mul_f32 v[192:193], v[154:155], v[138:139] op_sel:[1,1] op_sel_hi:[0,1]
	v_dual_fmac_f32 v189, v175, v134 :: v_dual_fma_f32 v188, v174, v134, -v15
	v_dual_add_f32 v135, v7, v9 :: v_dual_fmac_f32 v191, v177, v136
	v_dual_add_f32 v134, v11, v13 :: v_dual_fma_f32 v190, v176, v136, -v17
	s_delay_alu instid0(VALU_DEP_4) | instskip(SKIP_2) | instid1(VALU_DEP_4)
	v_pk_fma_f32 v[136:137], v[154:155], v[138:139], v[192:193] op_sel_hi:[1,0,1]
	v_pk_mul_f32 v[170:171], v[180:181], v[194:195] op_sel_hi:[1,0]
	v_pk_fma_f32 v[138:139], v[154:155], v[138:139], v[192:193] neg_lo:[0,0,1] neg_hi:[0,0,1]
	v_pk_add_f32 v[134:135], v[134:135], v[188:189]
	v_pk_mul_f32 v[130:131], v[158:159], v[142:143] op_sel:[1,1] op_sel_hi:[0,1]
	v_mov_b32_e32 v139, v137
	v_pk_fma_f32 v[136:137], v[156:157], v[140:141], v[170:171] op_sel_hi:[1,0,1]
	v_pk_fma_f32 v[140:141], v[156:157], v[140:141], v[170:171] neg_lo:[0,0,1] neg_hi:[0,0,1]
	v_pk_add_f32 v[134:135], v[134:135], v[190:191]
	v_pk_fma_f32 v[154:155], v[158:159], v[142:143], v[130:131] op_sel_hi:[1,0,1]
	v_pk_mul_f32 v[132:133], v[182:183], v[132:133] op_sel_hi:[1,0]
	v_mov_b32_e32 v141, v137
	v_pk_fma_f32 v[130:131], v[158:159], v[142:143], v[130:131] neg_lo:[0,0,1] neg_hi:[0,0,1]
	v_pk_add_f32 v[134:135], v[134:135], v[138:139]
	s_wait_loadcnt 0x2
	v_pk_mul_f32 v[172:173], v[162:163], v[146:147] op_sel:[1,1] op_sel_hi:[0,1]
	v_dual_mov_b32 v136, v149 :: v_dual_mov_b32 v131, v155
	v_pk_fma_f32 v[138:139], v[160:161], v[144:145], v[132:133] op_sel_hi:[1,0,1]
	v_pk_add_f32 v[134:135], v[134:135], v[140:141]
	v_pk_fma_f32 v[132:133], v[160:161], v[144:145], v[132:133] neg_lo:[0,0,1] neg_hi:[0,0,1]
	v_pk_fma_f32 v[140:141], v[162:163], v[146:147], v[172:173] op_sel_hi:[1,0,1]
	v_pk_mul_f32 v[136:137], v[184:185], v[136:137] op_sel_hi:[1,0]
	v_mov_b32_e32 v133, v139
	v_pk_add_f32 v[130:131], v[134:135], v[130:131]
	v_pk_fma_f32 v[138:139], v[162:163], v[146:147], v[172:173] neg_lo:[0,0,1] neg_hi:[0,0,1]
	s_wait_loadcnt 0x1
	v_pk_mul_f32 v[134:135], v[166:167], v[150:151] op_sel:[1,1] op_sel_hi:[0,1]
	v_mov_b32_e32 v139, v141
	v_pk_fma_f32 v[140:141], v[164:165], v[148:149], v[136:137] op_sel_hi:[1,0,1]
	v_pk_add_f32 v[130:131], v[130:131], v[132:133]
	v_mov_b32_e32 v132, v153
	v_pk_fma_f32 v[136:137], v[164:165], v[148:149], v[136:137] neg_lo:[0,0,1] neg_hi:[0,0,1]
	v_pk_fma_f32 v[142:143], v[166:167], v[150:151], v[134:135] op_sel_hi:[1,0,1]
	v_mov_b32_e32 v137, v141
	v_pk_add_f32 v[130:131], v[130:131], v[138:139]
	v_pk_mul_f32 v[132:133], v[186:187], v[132:133] op_sel_hi:[1,0]
	v_pk_fma_f32 v[134:135], v[166:167], v[150:151], v[134:135] neg_lo:[0,0,1] neg_hi:[0,0,1]
	s_delay_alu instid0(VALU_DEP_3) | instskip(NEXT) | instid1(VALU_DEP_3)
	v_pk_add_f32 v[130:131], v[130:131], v[136:137]
	v_pk_fma_f32 v[136:137], v[168:169], v[152:153], v[132:133] op_sel_hi:[1,0,1]
	v_mov_b32_e32 v135, v143
	v_pk_fma_f32 v[132:133], v[168:169], v[152:153], v[132:133] neg_lo:[0,0,1] neg_hi:[0,0,1]
	s_delay_alu instid0(VALU_DEP_3) | instskip(NEXT) | instid1(VALU_DEP_3)
	v_mov_b32_e32 v133, v137
	v_pk_add_f32 v[130:131], v[130:131], v[134:135]
	s_delay_alu instid0(VALU_DEP_1) | instskip(SKIP_1) | instid1(VALU_DEP_1)
	v_pk_add_f32 v[130:131], v[130:131], v[132:133]
	s_wait_loadcnt 0x0
	v_pk_add_f32 v[130:131], v[178:179], v[130:131] neg_lo:[0,1] neg_hi:[0,1]
	scratch_store_b64 off, v[130:131], off offset:408
	s_wait_xcnt 0x0
	v_cmpx_lt_u32_e32 50, v0
	s_cbranch_execz .LBB127_297
; %bb.296:
	scratch_load_b64 v[130:131], off, off offset:400
	v_mov_b64_e32 v[132:133], 0
	scratch_store_b64 off, v[132:133], off offset:400
	s_wait_loadcnt 0x0
	ds_store_b64 v1, v[130:131]
.LBB127_297:
	s_wait_xcnt 0x0
	s_or_b32 exec_lo, exec_lo, s0
	s_wait_storecnt_dscnt 0x0
	s_barrier_signal -1
	s_barrier_wait -1
	s_clause 0x7
	scratch_load_b128 v[130:133], off, off offset:408
	scratch_load_b128 v[134:137], off, off offset:424
	;; [unrolled: 1-line block ×6, first 2 shown]
	scratch_load_b64 v[178:179], off, off offset:504
	scratch_load_b64 v[180:181], off, off offset:400
	v_mov_b32_e32 v7, 0
	ds_load_2addr_b64 v[154:157], v7 offset0:119 offset1:120
	ds_load_2addr_b64 v[158:161], v7 offset0:121 offset1:122
	;; [unrolled: 1-line block ×6, first 2 shown]
	ds_load_b64 v[182:183], v7 offset:1016
	s_mov_b32 s0, exec_lo
	s_wait_dscnt 0x6
	v_dual_mov_b32 v184, v157 :: v_dual_mov_b32 v185, v156
	s_wait_dscnt 0x3
	v_dual_mov_b32 v186, v161 :: v_dual_mov_b32 v191, v168
	v_dual_mov_b32 v187, v160 :: v_dual_mov_b32 v188, v165
	;; [unrolled: 1-line block ×3, first 2 shown]
	s_wait_loadcnt_dscnt 0x702
	v_dual_mul_f32 v9, v170, v131 :: v_dual_mul_f32 v15, v171, v131
	v_dual_mul_f32 v17, v173, v133 :: v_dual_mul_f32 v11, v172, v133
	s_wait_loadcnt_dscnt 0x601
	s_delay_alu instid0(VALU_DEP_2) | instskip(NEXT) | instid1(VALU_DEP_3)
	v_dual_mul_f32 v13, v174, v135 :: v_dual_fmac_f32 v9, v171, v130
	v_dual_fma_f32 v15, v170, v130, -v15 :: v_dual_mul_f32 v19, v175, v135
	v_mul_f32_e32 v21, v177, v137
	s_wait_loadcnt 0x4
	v_dual_mov_b32 v130, v145 :: v_dual_fma_f32 v17, v172, v132, -v17
	v_dual_fmac_f32 v11, v173, v132 :: v_dual_add_f32 v9, 0, v9
	v_dual_add_f32 v15, 0, v15 :: v_dual_fmac_f32 v13, v175, v134
	v_dual_mul_f32 v193, v176, v137 :: v_dual_mul_f32 v195, v154, v139
	v_dual_mul_f32 v23, v155, v139 :: v_dual_mov_b32 v194, v141
	s_delay_alu instid0(VALU_DEP_4) | instskip(NEXT) | instid1(VALU_DEP_3)
	v_dual_fma_f32 v19, v174, v134, -v19 :: v_dual_add_f32 v9, v9, v11
	v_dual_add_f32 v11, v15, v17 :: v_dual_fmac_f32 v193, v177, v136
	v_pk_mul_f32 v[196:197], v[158:159], v[142:143] op_sel:[1,1] op_sel_hi:[0,1]
	s_delay_alu instid0(VALU_DEP_3)
	v_dual_fma_f32 v192, v176, v136, -v21 :: v_dual_add_f32 v137, v9, v13
	v_pk_mul_f32 v[134:135], v[184:185], v[194:195] op_sel_hi:[1,0]
	s_wait_loadcnt 0x3
	v_dual_add_f32 v136, v11, v19 :: v_dual_mov_b32 v170, v149
	v_fmac_f32_e32 v195, v155, v138
	v_fma_f32 v194, v154, v138, -v23
	v_pk_fma_f32 v[138:139], v[156:157], v[140:141], v[134:135] op_sel_hi:[1,0,1]
	s_delay_alu instid0(VALU_DEP_4) | instskip(SKIP_4) | instid1(VALU_DEP_4)
	v_pk_add_f32 v[136:137], v[136:137], v[192:193]
	v_pk_fma_f32 v[154:155], v[158:159], v[142:143], v[196:197] op_sel_hi:[1,0,1]
	v_pk_fma_f32 v[134:135], v[156:157], v[140:141], v[134:135] neg_lo:[0,0,1] neg_hi:[0,0,1]
	v_pk_fma_f32 v[140:141], v[158:159], v[142:143], v[196:197] neg_lo:[0,0,1] neg_hi:[0,0,1]
	v_pk_mul_f32 v[130:131], v[186:187], v[130:131] op_sel_hi:[1,0]
	v_dual_mov_b32 v135, v139 :: v_dual_mov_b32 v141, v155
	v_pk_add_f32 v[136:137], v[136:137], v[194:195]
	v_pk_mul_f32 v[132:133], v[162:163], v[146:147] op_sel:[1,1] op_sel_hi:[0,1]
	s_delay_alu instid0(VALU_DEP_4)
	v_pk_fma_f32 v[142:143], v[160:161], v[144:145], v[130:131] op_sel_hi:[1,0,1]
	v_pk_fma_f32 v[130:131], v[160:161], v[144:145], v[130:131] neg_lo:[0,0,1] neg_hi:[0,0,1]
	v_pk_mul_f32 v[154:155], v[188:189], v[170:171] op_sel_hi:[1,0]
	v_pk_add_f32 v[134:135], v[136:137], v[134:135]
	v_pk_fma_f32 v[136:137], v[162:163], v[146:147], v[132:133] op_sel_hi:[1,0,1]
	s_wait_loadcnt 0x2
	v_dual_mov_b32 v131, v143 :: v_dual_mov_b32 v136, v153
	v_pk_fma_f32 v[132:133], v[162:163], v[146:147], v[132:133] neg_lo:[0,0,1] neg_hi:[0,0,1]
	v_pk_add_f32 v[134:135], v[134:135], v[140:141]
	v_pk_mul_f32 v[138:139], v[166:167], v[150:151] op_sel:[1,1] op_sel_hi:[0,1]
	v_pk_fma_f32 v[140:141], v[164:165], v[148:149], v[154:155] op_sel_hi:[1,0,1]
	v_mov_b32_e32 v133, v137
	v_pk_fma_f32 v[142:143], v[164:165], v[148:149], v[154:155] neg_lo:[0,0,1] neg_hi:[0,0,1]
	v_pk_add_f32 v[130:131], v[134:135], v[130:131]
	v_pk_fma_f32 v[134:135], v[166:167], v[150:151], v[138:139] op_sel_hi:[1,0,1]
	v_pk_mul_f32 v[136:137], v[190:191], v[136:137] op_sel_hi:[1,0]
	v_mov_b32_e32 v143, v141
	s_delay_alu instid0(VALU_DEP_4)
	v_pk_add_f32 v[130:131], v[130:131], v[132:133]
	v_pk_fma_f32 v[132:133], v[166:167], v[150:151], v[138:139] neg_lo:[0,0,1] neg_hi:[0,0,1]
	v_mov_b32_e32 v133, v135
	v_pk_fma_f32 v[134:135], v[168:169], v[152:153], v[136:137] op_sel_hi:[1,0,1]
	s_wait_loadcnt_dscnt 0x100
	v_pk_mul_f32 v[138:139], v[182:183], v[178:179] op_sel:[1,1] op_sel_hi:[0,1]
	v_pk_add_f32 v[130:131], v[130:131], v[142:143]
	v_pk_fma_f32 v[136:137], v[168:169], v[152:153], v[136:137] neg_lo:[0,0,1] neg_hi:[0,0,1]
	v_mov_b32_e32 v137, v135
	s_delay_alu instid0(VALU_DEP_4) | instskip(NEXT) | instid1(VALU_DEP_4)
	v_pk_fma_f32 v[134:135], v[182:183], v[178:179], v[138:139] neg_lo:[0,0,1] neg_hi:[0,0,1]
	v_pk_add_f32 v[130:131], v[130:131], v[132:133]
	v_pk_fma_f32 v[132:133], v[182:183], v[178:179], v[138:139] op_sel_hi:[1,0,1]
	s_delay_alu instid0(VALU_DEP_2) | instskip(NEXT) | instid1(VALU_DEP_2)
	v_pk_add_f32 v[130:131], v[130:131], v[136:137]
	v_mov_b32_e32 v135, v133
	s_delay_alu instid0(VALU_DEP_1) | instskip(SKIP_1) | instid1(VALU_DEP_1)
	v_pk_add_f32 v[130:131], v[130:131], v[134:135]
	s_wait_loadcnt 0x0
	v_pk_add_f32 v[130:131], v[180:181], v[130:131] neg_lo:[0,1] neg_hi:[0,1]
	scratch_store_b64 off, v[130:131], off offset:400
	s_wait_xcnt 0x0
	v_cmpx_lt_u32_e32 49, v0
	s_cbranch_execz .LBB127_299
; %bb.298:
	scratch_load_b64 v[130:131], off, off offset:392
	v_mov_b64_e32 v[132:133], 0
	scratch_store_b64 off, v[132:133], off offset:392
	s_wait_loadcnt 0x0
	ds_store_b64 v1, v[130:131]
.LBB127_299:
	s_wait_xcnt 0x0
	s_or_b32 exec_lo, exec_lo, s0
	s_wait_storecnt_dscnt 0x0
	s_barrier_signal -1
	s_barrier_wait -1
	s_clause 0x7
	scratch_load_b128 v[130:133], off, off offset:400
	scratch_load_b128 v[134:137], off, off offset:416
	;; [unrolled: 1-line block ×7, first 2 shown]
	scratch_load_b64 v[186:187], off, off offset:392
	ds_load_b128 v[158:161], v7 offset:960
	ds_load_b128 v[162:165], v7 offset:976
	;; [unrolled: 1-line block ×7, first 2 shown]
	s_mov_b32 s0, exec_lo
	s_wait_dscnt 0x6
	v_dual_mov_b32 v188, v161 :: v_dual_mov_b32 v189, v160
	s_wait_dscnt 0x5
	v_dual_mov_b32 v190, v165 :: v_dual_mov_b32 v191, v164
	;; [unrolled: 2-line block ×4, first 2 shown]
	s_wait_loadcnt_dscnt 0x702
	v_dual_mul_f32 v7, v174, v131 :: v_dual_mul_f32 v9, v176, v133
	v_dual_mul_f32 v15, v175, v131 :: v_dual_mul_f32 v17, v177, v133
	s_wait_loadcnt_dscnt 0x601
	v_dual_mul_f32 v11, v178, v135 :: v_dual_mul_f32 v13, v180, v137
	s_delay_alu instid0(VALU_DEP_3) | instskip(NEXT) | instid1(VALU_DEP_3)
	v_dual_fmac_f32 v7, v175, v130 :: v_dual_fmac_f32 v9, v177, v132
	v_dual_fma_f32 v15, v174, v130, -v15 :: v_dual_fma_f32 v17, v176, v132, -v17
	v_dual_mul_f32 v19, v179, v135 :: v_dual_mul_f32 v21, v181, v137
	s_wait_loadcnt 0x4
	s_delay_alu instid0(VALU_DEP_3) | instskip(NEXT) | instid1(VALU_DEP_3)
	v_dual_add_f32 v7, 0, v7 :: v_dual_mov_b32 v132, v145
	v_dual_add_f32 v15, 0, v15 :: v_dual_fmac_f32 v11, v179, v134
	s_delay_alu instid0(VALU_DEP_2) | instskip(SKIP_2) | instid1(VALU_DEP_3)
	v_dual_fma_f32 v19, v178, v134, -v19 :: v_dual_add_f32 v7, v7, v9
	s_wait_dscnt 0x0
	v_dual_mul_f32 v197, v182, v139 :: v_dual_mul_f32 v199, v184, v141
	v_dual_add_f32 v9, v15, v17 :: v_dual_fmac_f32 v13, v181, v136
	v_dual_mul_f32 v23, v183, v139 :: v_dual_mul_f32 v25, v185, v141
	v_dual_fma_f32 v15, v180, v136, -v21 :: v_dual_add_f32 v7, v7, v11
	s_delay_alu instid0(VALU_DEP_3) | instskip(SKIP_3) | instid1(VALU_DEP_3)
	v_dual_add_f32 v9, v9, v19 :: v_dual_fmac_f32 v197, v183, v138
	v_pk_mul_f32 v[130:131], v[158:159], v[142:143] op_sel:[1,1] op_sel_hi:[0,1]
	s_wait_loadcnt 0x3
	v_dual_mov_b32 v136, v149 :: v_dual_fma_f32 v196, v182, v138, -v23
	v_dual_add_f32 v139, v7, v13 :: v_dual_add_f32 v138, v9, v15
	v_dual_fmac_f32 v199, v185, v140 :: v_dual_fma_f32 v198, v184, v140, -v25
	v_pk_fma_f32 v[140:141], v[158:159], v[142:143], v[130:131] op_sel_hi:[1,0,1]
	v_pk_mul_f32 v[132:133], v[188:189], v[132:133] op_sel_hi:[1,0]
	s_delay_alu instid0(VALU_DEP_4)
	v_pk_add_f32 v[138:139], v[138:139], v[196:197]
	v_pk_fma_f32 v[130:131], v[158:159], v[142:143], v[130:131] neg_lo:[0,0,1] neg_hi:[0,0,1]
	v_pk_mul_f32 v[134:135], v[162:163], v[146:147] op_sel:[1,1] op_sel_hi:[0,1]
	v_mov_b32_e32 v131, v141
	v_pk_fma_f32 v[140:141], v[160:161], v[144:145], v[132:133] op_sel_hi:[1,0,1]
	v_pk_add_f32 v[138:139], v[138:139], v[198:199]
	v_pk_fma_f32 v[132:133], v[160:161], v[144:145], v[132:133] neg_lo:[0,0,1] neg_hi:[0,0,1]
	v_pk_fma_f32 v[142:143], v[162:163], v[146:147], v[134:135] op_sel_hi:[1,0,1]
	v_pk_mul_f32 v[136:137], v[190:191], v[136:137] op_sel_hi:[1,0]
	v_mov_b32_e32 v133, v141
	v_pk_add_f32 v[130:131], v[138:139], v[130:131]
	s_wait_loadcnt 0x2
	v_pk_mul_f32 v[174:175], v[166:167], v[150:151] op_sel:[1,1] op_sel_hi:[0,1]
	v_mov_b32_e32 v138, v153
	v_pk_fma_f32 v[134:135], v[162:163], v[146:147], v[134:135] neg_lo:[0,0,1] neg_hi:[0,0,1]
	v_mov_b32_e32 v135, v143
	v_pk_fma_f32 v[140:141], v[164:165], v[148:149], v[136:137] op_sel_hi:[1,0,1]
	v_pk_add_f32 v[130:131], v[130:131], v[132:133]
	v_pk_fma_f32 v[132:133], v[166:167], v[150:151], v[174:175] op_sel_hi:[1,0,1]
	v_pk_mul_f32 v[138:139], v[192:193], v[138:139] op_sel_hi:[1,0]
	v_pk_fma_f32 v[136:137], v[164:165], v[148:149], v[136:137] neg_lo:[0,0,1] neg_hi:[0,0,1]
	v_mov_b32_e32 v137, v141
	v_pk_add_f32 v[130:131], v[130:131], v[134:135]
	v_pk_fma_f32 v[140:141], v[166:167], v[150:151], v[174:175] neg_lo:[0,0,1] neg_hi:[0,0,1]
	v_mov_b32_e32 v141, v133
	v_pk_fma_f32 v[132:133], v[168:169], v[152:153], v[138:139] op_sel_hi:[1,0,1]
	s_wait_loadcnt 0x1
	v_pk_mul_f32 v[134:135], v[170:171], v[154:155] op_sel:[1,1] op_sel_hi:[0,1]
	v_pk_add_f32 v[130:131], v[130:131], v[136:137]
	v_mov_b32_e32 v132, v157
	v_pk_fma_f32 v[138:139], v[168:169], v[152:153], v[138:139] neg_lo:[0,0,1] neg_hi:[0,0,1]
	v_mov_b32_e32 v139, v133
	v_pk_fma_f32 v[136:137], v[170:171], v[154:155], v[134:135] op_sel_hi:[1,0,1]
	v_pk_add_f32 v[130:131], v[130:131], v[140:141]
	v_pk_mul_f32 v[132:133], v[194:195], v[132:133] op_sel_hi:[1,0]
	v_pk_fma_f32 v[134:135], v[170:171], v[154:155], v[134:135] neg_lo:[0,0,1] neg_hi:[0,0,1]
	s_delay_alu instid0(VALU_DEP_4) | instskip(NEXT) | instid1(VALU_DEP_4)
	v_mov_b32_e32 v135, v137
	v_pk_add_f32 v[130:131], v[130:131], v[138:139]
	s_delay_alu instid0(VALU_DEP_4) | instskip(SKIP_1) | instid1(VALU_DEP_2)
	v_pk_fma_f32 v[136:137], v[172:173], v[156:157], v[132:133] op_sel_hi:[1,0,1]
	v_pk_fma_f32 v[132:133], v[172:173], v[156:157], v[132:133] neg_lo:[0,0,1] neg_hi:[0,0,1]
	v_mov_b32_e32 v133, v137
	s_delay_alu instid0(VALU_DEP_4) | instskip(NEXT) | instid1(VALU_DEP_1)
	v_pk_add_f32 v[130:131], v[130:131], v[134:135]
	v_pk_add_f32 v[130:131], v[130:131], v[132:133]
	s_wait_loadcnt 0x0
	s_delay_alu instid0(VALU_DEP_1)
	v_pk_add_f32 v[130:131], v[186:187], v[130:131] neg_lo:[0,1] neg_hi:[0,1]
	scratch_store_b64 off, v[130:131], off offset:392
	s_wait_xcnt 0x0
	v_cmpx_lt_u32_e32 48, v0
	s_cbranch_execz .LBB127_301
; %bb.300:
	scratch_load_b64 v[130:131], off, off offset:384
	v_mov_b64_e32 v[132:133], 0
	scratch_store_b64 off, v[132:133], off offset:384
	s_wait_loadcnt 0x0
	ds_store_b64 v1, v[130:131]
.LBB127_301:
	s_wait_xcnt 0x0
	s_or_b32 exec_lo, exec_lo, s0
	s_wait_storecnt_dscnt 0x0
	s_barrier_signal -1
	s_barrier_wait -1
	s_clause 0x8
	scratch_load_b128 v[130:133], off, off offset:392
	scratch_load_b128 v[134:137], off, off offset:408
	;; [unrolled: 1-line block ×7, first 2 shown]
	scratch_load_b64 v[186:187], off, off offset:504
	scratch_load_b64 v[188:189], off, off offset:384
	v_mov_b32_e32 v7, 0
	ds_load_2addr_b64 v[158:161], v7 offset0:119 offset1:120
	ds_load_2addr_b64 v[162:165], v7 offset0:121 offset1:122
	;; [unrolled: 1-line block ×7, first 2 shown]
	ds_load_b64 v[190:191], v7 offset:1016
	s_mov_b32 s0, exec_lo
	s_wait_dscnt 0x7
	v_dual_mov_b32 v192, v161 :: v_dual_mov_b32 v193, v160
	s_wait_dscnt 0x4
	v_dual_mov_b32 v194, v165 :: v_dual_mov_b32 v199, v172
	v_dual_mov_b32 v195, v164 :: v_dual_mov_b32 v196, v169
	;; [unrolled: 1-line block ×3, first 2 shown]
	s_wait_loadcnt_dscnt 0x803
	v_dual_mul_f32 v9, v174, v131 :: v_dual_mul_f32 v19, v175, v131
	v_dual_mul_f32 v21, v177, v133 :: v_dual_mul_f32 v11, v176, v133
	s_wait_loadcnt_dscnt 0x702
	v_mul_f32_e32 v13, v178, v135
	s_wait_loadcnt 0x5
	v_dual_mul_f32 v31, v159, v143 :: v_dual_fma_f32 v19, v174, v130, -v19
	v_dual_fmac_f32 v9, v175, v130 :: v_dual_mov_b32 v130, v145
	v_dual_mul_f32 v23, v179, v135 :: v_dual_mul_f32 v25, v181, v137
	v_dual_fmac_f32 v11, v177, v132 :: v_dual_fma_f32 v21, v176, v132, -v21
	s_delay_alu instid0(VALU_DEP_3) | instskip(SKIP_3) | instid1(VALU_DEP_3)
	v_dual_add_f32 v9, 0, v9 :: v_dual_add_f32 v19, 0, v19
	s_wait_dscnt 0x1
	v_dual_mul_f32 v15, v180, v137 :: v_dual_mul_f32 v17, v182, v139
	v_dual_fmac_f32 v13, v179, v134 :: v_dual_fma_f32 v23, v178, v134, -v23
	v_dual_add_f32 v9, v9, v11 :: v_dual_add_f32 v11, v19, v21
	v_dual_mul_f32 v27, v183, v139 :: v_dual_mul_f32 v29, v185, v141
	s_wait_loadcnt 0x4
	v_dual_mov_b32 v134, v149 :: v_dual_fma_f32 v19, v180, v136, -v25
	s_delay_alu instid0(VALU_DEP_3) | instskip(SKIP_2) | instid1(VALU_DEP_2)
	v_dual_fmac_f32 v15, v181, v136 :: v_dual_add_f32 v11, v11, v23
	v_dual_add_f32 v9, v9, v13 :: v_dual_fmac_f32 v17, v183, v138
	v_dual_mul_f32 v201, v184, v141 :: v_dual_mul_f32 v203, v158, v143
	v_dual_fma_f32 v13, v182, v138, -v27 :: v_dual_add_f32 v9, v9, v15
	s_delay_alu instid0(VALU_DEP_2) | instskip(SKIP_1) | instid1(VALU_DEP_3)
	v_dual_add_f32 v11, v11, v19 :: v_dual_fmac_f32 v201, v185, v140
	v_pk_mul_f32 v[132:133], v[162:163], v[146:147] op_sel:[1,1] op_sel_hi:[0,1]
	v_dual_fma_f32 v200, v184, v140, -v29 :: v_dual_add_f32 v139, v9, v17
	v_pk_mul_f32 v[130:131], v[192:193], v[130:131] op_sel_hi:[1,0]
	s_wait_loadcnt 0x3
	v_dual_add_f32 v138, v11, v13 :: v_dual_mov_b32 v140, v153
	v_fmac_f32_e32 v203, v159, v142
	v_fma_f32 v202, v158, v142, -v31
	v_pk_fma_f32 v[142:143], v[160:161], v[144:145], v[130:131] op_sel_hi:[1,0,1]
	s_delay_alu instid0(VALU_DEP_4) | instskip(SKIP_4) | instid1(VALU_DEP_4)
	v_pk_add_f32 v[138:139], v[138:139], v[200:201]
	v_pk_fma_f32 v[158:159], v[162:163], v[146:147], v[132:133] op_sel_hi:[1,0,1]
	v_pk_fma_f32 v[130:131], v[160:161], v[144:145], v[130:131] neg_lo:[0,0,1] neg_hi:[0,0,1]
	v_pk_fma_f32 v[132:133], v[162:163], v[146:147], v[132:133] neg_lo:[0,0,1] neg_hi:[0,0,1]
	v_pk_mul_f32 v[134:135], v[194:195], v[134:135] op_sel_hi:[1,0]
	v_dual_mov_b32 v131, v143 :: v_dual_mov_b32 v133, v159
	v_pk_add_f32 v[138:139], v[138:139], v[202:203]
	v_pk_mul_f32 v[136:137], v[166:167], v[150:151] op_sel:[1,1] op_sel_hi:[0,1]
	s_delay_alu instid0(VALU_DEP_4)
	v_pk_fma_f32 v[144:145], v[164:165], v[148:149], v[134:135] op_sel_hi:[1,0,1]
	v_pk_fma_f32 v[134:135], v[164:165], v[148:149], v[134:135] neg_lo:[0,0,1] neg_hi:[0,0,1]
	v_pk_mul_f32 v[140:141], v[196:197], v[140:141] op_sel_hi:[1,0]
	v_pk_add_f32 v[130:131], v[138:139], v[130:131]
	v_pk_fma_f32 v[138:139], v[166:167], v[150:151], v[136:137] op_sel_hi:[1,0,1]
	v_mov_b32_e32 v135, v145
	v_pk_fma_f32 v[136:137], v[166:167], v[150:151], v[136:137] neg_lo:[0,0,1] neg_hi:[0,0,1]
	s_wait_loadcnt 0x2
	v_pk_mul_f32 v[142:143], v[170:171], v[154:155] op_sel:[1,1] op_sel_hi:[0,1]
	v_pk_add_f32 v[130:131], v[130:131], v[132:133]
	v_dual_mov_b32 v132, v157 :: v_dual_mov_b32 v137, v139
	v_pk_fma_f32 v[138:139], v[168:169], v[152:153], v[140:141] op_sel_hi:[1,0,1]
	v_pk_fma_f32 v[140:141], v[168:169], v[152:153], v[140:141] neg_lo:[0,0,1] neg_hi:[0,0,1]
	s_delay_alu instid0(VALU_DEP_4)
	v_pk_add_f32 v[130:131], v[130:131], v[134:135]
	v_pk_fma_f32 v[134:135], v[170:171], v[154:155], v[142:143] op_sel_hi:[1,0,1]
	v_pk_mul_f32 v[132:133], v[198:199], v[132:133] op_sel_hi:[1,0]
	v_mov_b32_e32 v141, v139
	s_wait_loadcnt_dscnt 0x100
	v_pk_mul_f32 v[138:139], v[190:191], v[186:187] op_sel:[1,1] op_sel_hi:[0,1]
	v_pk_add_f32 v[130:131], v[130:131], v[136:137]
	v_pk_fma_f32 v[136:137], v[170:171], v[154:155], v[142:143] neg_lo:[0,0,1] neg_hi:[0,0,1]
	v_mov_b32_e32 v137, v135
	v_pk_fma_f32 v[134:135], v[172:173], v[156:157], v[132:133] op_sel_hi:[1,0,1]
	v_pk_fma_f32 v[132:133], v[172:173], v[156:157], v[132:133] neg_lo:[0,0,1] neg_hi:[0,0,1]
	v_pk_add_f32 v[130:131], v[130:131], v[140:141]
	s_delay_alu instid0(VALU_DEP_3) | instskip(SKIP_1) | instid1(VALU_DEP_3)
	v_mov_b32_e32 v133, v135
	v_pk_fma_f32 v[134:135], v[190:191], v[186:187], v[138:139] op_sel_hi:[1,0,1]
	v_pk_add_f32 v[130:131], v[130:131], v[136:137]
	v_pk_fma_f32 v[136:137], v[190:191], v[186:187], v[138:139] neg_lo:[0,0,1] neg_hi:[0,0,1]
	s_delay_alu instid0(VALU_DEP_3) | instskip(NEXT) | instid1(VALU_DEP_3)
	v_mov_b32_e32 v137, v135
	v_pk_add_f32 v[130:131], v[130:131], v[132:133]
	s_delay_alu instid0(VALU_DEP_1) | instskip(SKIP_1) | instid1(VALU_DEP_1)
	v_pk_add_f32 v[130:131], v[130:131], v[136:137]
	s_wait_loadcnt 0x0
	v_pk_add_f32 v[130:131], v[188:189], v[130:131] neg_lo:[0,1] neg_hi:[0,1]
	scratch_store_b64 off, v[130:131], off offset:384
	s_wait_xcnt 0x0
	v_cmpx_lt_u32_e32 47, v0
	s_cbranch_execz .LBB127_303
; %bb.302:
	scratch_load_b64 v[130:131], off, off offset:376
	v_mov_b64_e32 v[132:133], 0
	scratch_store_b64 off, v[132:133], off offset:376
	s_wait_loadcnt 0x0
	ds_store_b64 v1, v[130:131]
.LBB127_303:
	s_wait_xcnt 0x0
	s_or_b32 exec_lo, exec_lo, s0
	s_wait_storecnt_dscnt 0x0
	s_barrier_signal -1
	s_barrier_wait -1
	s_clause 0x8
	scratch_load_b128 v[130:133], off, off offset:384
	scratch_load_b128 v[134:137], off, off offset:400
	;; [unrolled: 1-line block ×8, first 2 shown]
	scratch_load_b64 v[194:195], off, off offset:376
	ds_load_b128 v[162:165], v7 offset:960
	ds_load_b128 v[166:169], v7 offset:976
	;; [unrolled: 1-line block ×8, first 2 shown]
	s_mov_b32 s0, exec_lo
	s_wait_dscnt 0x7
	v_dual_mov_b32 v196, v165 :: v_dual_mov_b32 v197, v164
	s_wait_dscnt 0x6
	v_dual_mov_b32 v198, v169 :: v_dual_mov_b32 v199, v168
	;; [unrolled: 2-line block ×4, first 2 shown]
	s_wait_loadcnt_dscnt 0x803
	v_dual_mul_f32 v7, v178, v131 :: v_dual_mul_f32 v9, v180, v133
	v_dual_mul_f32 v19, v179, v131 :: v_dual_mul_f32 v21, v181, v133
	s_wait_loadcnt_dscnt 0x702
	v_dual_mul_f32 v11, v182, v135 :: v_dual_mul_f32 v13, v184, v137
	s_delay_alu instid0(VALU_DEP_3) | instskip(SKIP_3) | instid1(VALU_DEP_3)
	v_dual_fmac_f32 v7, v179, v130 :: v_dual_fmac_f32 v9, v181, v132
	s_wait_loadcnt_dscnt 0x500
	v_dual_fma_f32 v19, v178, v130, -v19 :: v_dual_mul_f32 v31, v191, v143
	v_dual_mul_f32 v23, v183, v135 :: v_dual_mul_f32 v25, v185, v137
	v_dual_fma_f32 v21, v180, v132, -v21 :: v_dual_add_f32 v7, 0, v7
	s_delay_alu instid0(VALU_DEP_3) | instskip(SKIP_1) | instid1(VALU_DEP_3)
	v_dual_add_f32 v19, 0, v19 :: v_dual_mul_f32 v33, v193, v145
	v_dual_fmac_f32 v11, v183, v134 :: v_dual_fmac_f32 v13, v185, v136
	v_dual_fma_f32 v23, v182, v134, -v23 :: v_dual_add_f32 v7, v7, v9
	s_delay_alu instid0(VALU_DEP_3) | instskip(SKIP_4) | instid1(VALU_DEP_3)
	v_dual_add_f32 v9, v19, v21 :: v_dual_fma_f32 v19, v184, v136, -v25
	v_dual_mul_f32 v15, v186, v139 :: v_dual_mul_f32 v17, v188, v141
	v_dual_mul_f32 v27, v187, v139 :: v_dual_mul_f32 v29, v189, v141
	s_wait_loadcnt 0x4
	v_dual_add_f32 v7, v7, v11 :: v_dual_mov_b32 v132, v149
	v_dual_add_f32 v9, v9, v23 :: v_dual_fmac_f32 v15, v187, v138
	s_delay_alu instid0(VALU_DEP_2) | instskip(SKIP_1) | instid1(VALU_DEP_3)
	v_dual_fma_f32 v11, v186, v138, -v27 :: v_dual_add_f32 v7, v7, v13
	v_dual_mul_f32 v205, v190, v143 :: v_dual_mul_f32 v207, v192, v145
	v_dual_add_f32 v9, v9, v19 :: v_dual_fma_f32 v13, v188, v140, -v29
	s_delay_alu instid0(VALU_DEP_3) | instskip(SKIP_1) | instid1(VALU_DEP_3)
	v_dual_fmac_f32 v17, v189, v140 :: v_dual_add_f32 v7, v7, v15
	v_pk_mul_f32 v[130:131], v[162:163], v[146:147] op_sel:[1,1] op_sel_hi:[0,1]
	v_dual_add_f32 v9, v9, v11 :: v_dual_fmac_f32 v205, v191, v142
	s_wait_loadcnt 0x3
	v_dual_mov_b32 v136, v153 :: v_dual_fma_f32 v204, v190, v142, -v31
	v_dual_add_f32 v139, v7, v17 :: v_dual_fmac_f32 v207, v193, v144
	s_delay_alu instid0(VALU_DEP_3) | instskip(SKIP_3) | instid1(VALU_DEP_4)
	v_dual_add_f32 v138, v9, v13 :: v_dual_fma_f32 v206, v192, v144, -v33
	v_pk_fma_f32 v[140:141], v[162:163], v[146:147], v[130:131] op_sel_hi:[1,0,1]
	v_pk_mul_f32 v[132:133], v[196:197], v[132:133] op_sel_hi:[1,0]
	v_pk_fma_f32 v[130:131], v[162:163], v[146:147], v[130:131] neg_lo:[0,0,1] neg_hi:[0,0,1]
	v_pk_add_f32 v[138:139], v[138:139], v[204:205]
	v_pk_mul_f32 v[134:135], v[166:167], v[150:151] op_sel:[1,1] op_sel_hi:[0,1]
	v_mov_b32_e32 v131, v141
	v_pk_fma_f32 v[140:141], v[164:165], v[148:149], v[132:133] op_sel_hi:[1,0,1]
	v_pk_fma_f32 v[132:133], v[164:165], v[148:149], v[132:133] neg_lo:[0,0,1] neg_hi:[0,0,1]
	v_pk_add_f32 v[138:139], v[138:139], v[206:207]
	v_pk_fma_f32 v[144:145], v[166:167], v[150:151], v[134:135] op_sel_hi:[1,0,1]
	v_pk_mul_f32 v[136:137], v[198:199], v[136:137] op_sel_hi:[1,0]
	v_mov_b32_e32 v133, v141
	s_wait_loadcnt 0x2
	v_pk_mul_f32 v[142:143], v[170:171], v[154:155] op_sel:[1,1] op_sel_hi:[0,1]
	v_pk_add_f32 v[130:131], v[138:139], v[130:131]
	v_mov_b32_e32 v138, v157
	v_pk_fma_f32 v[134:135], v[166:167], v[150:151], v[134:135] neg_lo:[0,0,1] neg_hi:[0,0,1]
	v_mov_b32_e32 v135, v145
	v_pk_fma_f32 v[140:141], v[168:169], v[152:153], v[136:137] op_sel_hi:[1,0,1]
	v_pk_add_f32 v[130:131], v[130:131], v[132:133]
	v_pk_fma_f32 v[132:133], v[170:171], v[154:155], v[142:143] op_sel_hi:[1,0,1]
	v_pk_mul_f32 v[138:139], v[200:201], v[138:139] op_sel_hi:[1,0]
	v_pk_fma_f32 v[136:137], v[168:169], v[152:153], v[136:137] neg_lo:[0,0,1] neg_hi:[0,0,1]
	v_mov_b32_e32 v137, v141
	v_pk_add_f32 v[130:131], v[130:131], v[134:135]
	v_pk_fma_f32 v[140:141], v[170:171], v[154:155], v[142:143] neg_lo:[0,0,1] neg_hi:[0,0,1]
	v_mov_b32_e32 v141, v133
	v_pk_fma_f32 v[132:133], v[172:173], v[156:157], v[138:139] op_sel_hi:[1,0,1]
	s_wait_loadcnt 0x1
	v_pk_mul_f32 v[134:135], v[174:175], v[158:159] op_sel:[1,1] op_sel_hi:[0,1]
	v_pk_add_f32 v[130:131], v[130:131], v[136:137]
	v_mov_b32_e32 v132, v161
	v_pk_fma_f32 v[138:139], v[172:173], v[156:157], v[138:139] neg_lo:[0,0,1] neg_hi:[0,0,1]
	v_mov_b32_e32 v139, v133
	v_pk_fma_f32 v[136:137], v[174:175], v[158:159], v[134:135] op_sel_hi:[1,0,1]
	v_pk_add_f32 v[130:131], v[130:131], v[140:141]
	v_pk_mul_f32 v[132:133], v[202:203], v[132:133] op_sel_hi:[1,0]
	v_pk_fma_f32 v[134:135], v[174:175], v[158:159], v[134:135] neg_lo:[0,0,1] neg_hi:[0,0,1]
	s_delay_alu instid0(VALU_DEP_4) | instskip(NEXT) | instid1(VALU_DEP_4)
	v_mov_b32_e32 v135, v137
	v_pk_add_f32 v[130:131], v[130:131], v[138:139]
	s_delay_alu instid0(VALU_DEP_4) | instskip(SKIP_1) | instid1(VALU_DEP_2)
	v_pk_fma_f32 v[136:137], v[176:177], v[160:161], v[132:133] op_sel_hi:[1,0,1]
	v_pk_fma_f32 v[132:133], v[176:177], v[160:161], v[132:133] neg_lo:[0,0,1] neg_hi:[0,0,1]
	v_mov_b32_e32 v133, v137
	s_delay_alu instid0(VALU_DEP_4) | instskip(NEXT) | instid1(VALU_DEP_1)
	v_pk_add_f32 v[130:131], v[130:131], v[134:135]
	v_pk_add_f32 v[130:131], v[130:131], v[132:133]
	s_wait_loadcnt 0x0
	s_delay_alu instid0(VALU_DEP_1)
	v_pk_add_f32 v[130:131], v[194:195], v[130:131] neg_lo:[0,1] neg_hi:[0,1]
	scratch_store_b64 off, v[130:131], off offset:376
	s_wait_xcnt 0x0
	v_cmpx_lt_u32_e32 46, v0
	s_cbranch_execz .LBB127_305
; %bb.304:
	scratch_load_b64 v[130:131], off, off offset:368
	v_mov_b64_e32 v[132:133], 0
	scratch_store_b64 off, v[132:133], off offset:368
	s_wait_loadcnt 0x0
	ds_store_b64 v1, v[130:131]
.LBB127_305:
	s_wait_xcnt 0x0
	s_or_b32 exec_lo, exec_lo, s0
	s_wait_storecnt_dscnt 0x0
	s_barrier_signal -1
	s_barrier_wait -1
	s_clause 0x9
	scratch_load_b128 v[130:133], off, off offset:376
	scratch_load_b128 v[134:137], off, off offset:392
	;; [unrolled: 1-line block ×8, first 2 shown]
	scratch_load_b64 v[194:195], off, off offset:504
	scratch_load_b64 v[196:197], off, off offset:368
	v_mov_b32_e32 v7, 0
	ds_load_2addr_b64 v[162:165], v7 offset0:119 offset1:120
	ds_load_2addr_b64 v[166:169], v7 offset0:121 offset1:122
	;; [unrolled: 1-line block ×8, first 2 shown]
	ds_load_b64 v[198:199], v7 offset:1016
	s_mov_b32 s0, exec_lo
	s_wait_dscnt 0x8
	v_dual_mov_b32 v200, v165 :: v_dual_mov_b32 v201, v164
	s_wait_dscnt 0x5
	v_dual_mov_b32 v202, v169 :: v_dual_mov_b32 v207, v176
	v_dual_mov_b32 v203, v168 :: v_dual_mov_b32 v204, v173
	;; [unrolled: 1-line block ×3, first 2 shown]
	s_wait_loadcnt_dscnt 0x904
	v_dual_mul_f32 v9, v178, v131 :: v_dual_mul_f32 v23, v179, v131
	v_dual_mul_f32 v25, v181, v133 :: v_dual_mul_f32 v11, v180, v133
	s_wait_loadcnt_dscnt 0x803
	v_mul_f32_e32 v13, v182, v135
	s_wait_loadcnt_dscnt 0x601
	v_dual_mul_f32 v35, v191, v143 :: v_dual_fma_f32 v23, v178, v130, -v23
	v_dual_fmac_f32 v9, v179, v130 :: v_dual_mul_f32 v37, v193, v145
	v_dual_mul_f32 v27, v183, v135 :: v_dual_mul_f32 v29, v185, v137
	v_dual_fmac_f32 v11, v181, v132 :: v_dual_fma_f32 v25, v180, v132, -v25
	s_delay_alu instid0(VALU_DEP_3) | instskip(SKIP_3) | instid1(VALU_DEP_3)
	v_dual_add_f32 v9, 0, v9 :: v_dual_add_f32 v23, 0, v23
	v_dual_mul_f32 v15, v184, v137 :: v_dual_mul_f32 v17, v186, v139
	s_wait_loadcnt 0x5
	v_dual_mul_f32 v39, v163, v147 :: v_dual_fma_f32 v27, v182, v134, -v27
	v_dual_fmac_f32 v13, v183, v134 :: v_dual_add_f32 v9, v9, v11
	v_dual_add_f32 v11, v23, v25 :: v_dual_mov_b32 v130, v149
	v_dual_mul_f32 v31, v187, v139 :: v_dual_mul_f32 v33, v189, v141
	v_dual_fmac_f32 v15, v185, v136 :: v_dual_fma_f32 v23, v184, v136, -v29
	s_delay_alu instid0(VALU_DEP_3) | instskip(SKIP_1) | instid1(VALU_DEP_4)
	v_dual_add_f32 v9, v9, v13 :: v_dual_add_f32 v11, v11, v27
	v_dual_mul_f32 v19, v188, v141 :: v_dual_mul_f32 v21, v190, v143
	v_dual_fmac_f32 v17, v187, v138 :: v_dual_fma_f32 v13, v186, v138, -v31
	s_delay_alu instid0(VALU_DEP_3) | instskip(SKIP_3) | instid1(VALU_DEP_3)
	v_dual_add_f32 v9, v9, v15 :: v_dual_fma_f32 v15, v188, v140, -v33
	s_wait_loadcnt 0x4
	v_dual_add_f32 v11, v11, v23 :: v_dual_mov_b32 v134, v153
	v_fmac_f32_e32 v19, v189, v140
	v_dual_add_f32 v9, v9, v17 :: v_dual_fmac_f32 v21, v191, v142
	s_delay_alu instid0(VALU_DEP_3) | instskip(SKIP_1) | instid1(VALU_DEP_3)
	v_add_f32_e32 v11, v11, v13
	v_dual_mul_f32 v209, v192, v145 :: v_dual_mul_f32 v211, v162, v147
	v_dual_fma_f32 v13, v190, v142, -v35 :: v_dual_add_f32 v9, v9, v19
	s_delay_alu instid0(VALU_DEP_2) | instskip(SKIP_1) | instid1(VALU_DEP_3)
	v_dual_add_f32 v11, v11, v15 :: v_dual_fmac_f32 v209, v193, v144
	v_pk_mul_f32 v[132:133], v[166:167], v[150:151] op_sel:[1,1] op_sel_hi:[0,1]
	v_dual_fma_f32 v208, v192, v144, -v37 :: v_dual_add_f32 v139, v9, v21
	v_pk_mul_f32 v[130:131], v[200:201], v[130:131] op_sel_hi:[1,0]
	s_wait_loadcnt 0x3
	v_dual_add_f32 v138, v11, v13 :: v_dual_mov_b32 v140, v157
	v_pk_fma_f32 v[144:145], v[166:167], v[150:151], v[132:133] op_sel_hi:[1,0,1]
	v_fmac_f32_e32 v211, v163, v146
	v_pk_fma_f32 v[142:143], v[164:165], v[148:149], v[130:131] op_sel_hi:[1,0,1]
	v_fma_f32 v210, v162, v146, -v39
	v_pk_add_f32 v[138:139], v[138:139], v[208:209]
	v_pk_fma_f32 v[130:131], v[164:165], v[148:149], v[130:131] neg_lo:[0,0,1] neg_hi:[0,0,1]
	v_pk_fma_f32 v[132:133], v[166:167], v[150:151], v[132:133] neg_lo:[0,0,1] neg_hi:[0,0,1]
	v_pk_mul_f32 v[134:135], v[202:203], v[134:135] op_sel_hi:[1,0]
	v_dual_mov_b32 v131, v143 :: v_dual_mov_b32 v133, v145
	v_pk_add_f32 v[138:139], v[138:139], v[210:211]
	v_pk_mul_f32 v[136:137], v[170:171], v[154:155] op_sel:[1,1] op_sel_hi:[0,1]
	s_delay_alu instid0(VALU_DEP_4)
	v_pk_fma_f32 v[144:145], v[168:169], v[152:153], v[134:135] op_sel_hi:[1,0,1]
	v_pk_fma_f32 v[134:135], v[168:169], v[152:153], v[134:135] neg_lo:[0,0,1] neg_hi:[0,0,1]
	v_pk_mul_f32 v[140:141], v[204:205], v[140:141] op_sel_hi:[1,0]
	v_pk_add_f32 v[130:131], v[138:139], v[130:131]
	v_pk_fma_f32 v[138:139], v[170:171], v[154:155], v[136:137] op_sel_hi:[1,0,1]
	v_mov_b32_e32 v135, v145
	v_pk_fma_f32 v[136:137], v[170:171], v[154:155], v[136:137] neg_lo:[0,0,1] neg_hi:[0,0,1]
	s_wait_loadcnt 0x2
	v_pk_mul_f32 v[142:143], v[174:175], v[158:159] op_sel:[1,1] op_sel_hi:[0,1]
	v_pk_add_f32 v[130:131], v[130:131], v[132:133]
	v_dual_mov_b32 v132, v161 :: v_dual_mov_b32 v137, v139
	v_pk_fma_f32 v[138:139], v[172:173], v[156:157], v[140:141] op_sel_hi:[1,0,1]
	v_pk_fma_f32 v[140:141], v[172:173], v[156:157], v[140:141] neg_lo:[0,0,1] neg_hi:[0,0,1]
	s_delay_alu instid0(VALU_DEP_4)
	v_pk_add_f32 v[130:131], v[130:131], v[134:135]
	v_pk_fma_f32 v[134:135], v[174:175], v[158:159], v[142:143] op_sel_hi:[1,0,1]
	v_pk_mul_f32 v[132:133], v[206:207], v[132:133] op_sel_hi:[1,0]
	v_mov_b32_e32 v141, v139
	s_wait_loadcnt_dscnt 0x100
	v_pk_mul_f32 v[138:139], v[198:199], v[194:195] op_sel:[1,1] op_sel_hi:[0,1]
	v_pk_add_f32 v[130:131], v[130:131], v[136:137]
	v_pk_fma_f32 v[136:137], v[174:175], v[158:159], v[142:143] neg_lo:[0,0,1] neg_hi:[0,0,1]
	v_mov_b32_e32 v137, v135
	v_pk_fma_f32 v[134:135], v[176:177], v[160:161], v[132:133] op_sel_hi:[1,0,1]
	v_pk_fma_f32 v[132:133], v[176:177], v[160:161], v[132:133] neg_lo:[0,0,1] neg_hi:[0,0,1]
	v_pk_add_f32 v[130:131], v[130:131], v[140:141]
	s_delay_alu instid0(VALU_DEP_3) | instskip(SKIP_1) | instid1(VALU_DEP_3)
	v_mov_b32_e32 v133, v135
	v_pk_fma_f32 v[134:135], v[198:199], v[194:195], v[138:139] op_sel_hi:[1,0,1]
	v_pk_add_f32 v[130:131], v[130:131], v[136:137]
	v_pk_fma_f32 v[136:137], v[198:199], v[194:195], v[138:139] neg_lo:[0,0,1] neg_hi:[0,0,1]
	s_delay_alu instid0(VALU_DEP_3) | instskip(NEXT) | instid1(VALU_DEP_3)
	v_mov_b32_e32 v137, v135
	v_pk_add_f32 v[130:131], v[130:131], v[132:133]
	s_delay_alu instid0(VALU_DEP_1) | instskip(SKIP_1) | instid1(VALU_DEP_1)
	v_pk_add_f32 v[130:131], v[130:131], v[136:137]
	s_wait_loadcnt 0x0
	v_pk_add_f32 v[130:131], v[196:197], v[130:131] neg_lo:[0,1] neg_hi:[0,1]
	scratch_store_b64 off, v[130:131], off offset:368
	s_wait_xcnt 0x0
	v_cmpx_lt_u32_e32 45, v0
	s_cbranch_execz .LBB127_307
; %bb.306:
	scratch_load_b64 v[130:131], off, off offset:360
	v_mov_b64_e32 v[132:133], 0
	scratch_store_b64 off, v[132:133], off offset:360
	s_wait_loadcnt 0x0
	ds_store_b64 v1, v[130:131]
.LBB127_307:
	s_wait_xcnt 0x0
	s_or_b32 exec_lo, exec_lo, s0
	s_wait_storecnt_dscnt 0x0
	s_barrier_signal -1
	s_barrier_wait -1
	s_clause 0x9
	scratch_load_b128 v[130:133], off, off offset:368
	scratch_load_b128 v[134:137], off, off offset:384
	;; [unrolled: 1-line block ×9, first 2 shown]
	scratch_load_b64 v[202:203], off, off offset:360
	ds_load_b128 v[166:169], v7 offset:960
	ds_load_b128 v[170:173], v7 offset:976
	;; [unrolled: 1-line block ×9, first 2 shown]
	s_mov_b32 s0, exec_lo
	s_wait_dscnt 0x8
	v_dual_mov_b32 v204, v169 :: v_dual_mov_b32 v205, v168
	s_wait_dscnt 0x7
	v_dual_mov_b32 v206, v173 :: v_dual_mov_b32 v207, v172
	;; [unrolled: 2-line block ×4, first 2 shown]
	s_wait_loadcnt_dscnt 0x904
	v_dual_mul_f32 v7, v182, v131 :: v_dual_mul_f32 v9, v184, v133
	v_dual_mul_f32 v23, v183, v131 :: v_dual_mul_f32 v25, v185, v133
	s_wait_loadcnt_dscnt 0x803
	v_dual_mul_f32 v11, v186, v135 :: v_dual_mul_f32 v13, v188, v137
	s_delay_alu instid0(VALU_DEP_3) | instskip(SKIP_3) | instid1(VALU_DEP_3)
	v_dual_fmac_f32 v7, v183, v130 :: v_dual_fmac_f32 v9, v185, v132
	s_wait_loadcnt_dscnt 0x601
	v_dual_fma_f32 v23, v182, v130, -v23 :: v_dual_mul_f32 v35, v195, v143
	v_dual_mul_f32 v27, v187, v135 :: v_dual_mul_f32 v29, v189, v137
	v_dual_fma_f32 v25, v184, v132, -v25 :: v_dual_add_f32 v7, 0, v7
	s_delay_alu instid0(VALU_DEP_3) | instskip(SKIP_1) | instid1(VALU_DEP_3)
	v_dual_add_f32 v23, 0, v23 :: v_dual_mul_f32 v37, v197, v145
	v_dual_fmac_f32 v11, v187, v134 :: v_dual_fmac_f32 v13, v189, v136
	v_dual_fma_f32 v27, v186, v134, -v27 :: v_dual_add_f32 v7, v7, v9
	s_delay_alu instid0(VALU_DEP_3) | instskip(SKIP_2) | instid1(VALU_DEP_4)
	v_dual_add_f32 v9, v23, v25 :: v_dual_fma_f32 v25, v188, v136, -v29
	v_dual_mul_f32 v15, v190, v139 :: v_dual_mul_f32 v17, v192, v141
	v_dual_mul_f32 v31, v191, v139 :: v_dual_mul_f32 v33, v193, v141
	v_add_f32_e32 v7, v7, v11
	s_delay_alu instid0(VALU_DEP_3) | instskip(NEXT) | instid1(VALU_DEP_3)
	v_dual_add_f32 v9, v9, v27 :: v_dual_fmac_f32 v15, v191, v138
	v_fma_f32 v27, v190, v138, -v31
	v_dual_mul_f32 v19, v194, v143 :: v_dual_mul_f32 v21, v196, v145
	s_delay_alu instid0(VALU_DEP_4) | instskip(NEXT) | instid1(VALU_DEP_4)
	v_dual_add_f32 v7, v7, v13 :: v_dual_fmac_f32 v17, v193, v140
	v_dual_add_f32 v9, v9, v25 :: v_dual_fma_f32 v13, v192, v140, -v33
	s_wait_loadcnt 0x4
	s_delay_alu instid0(VALU_DEP_2) | instskip(NEXT) | instid1(VALU_DEP_2)
	v_dual_mov_b32 v132, v153 :: v_dual_add_f32 v7, v7, v15
	v_dual_fmac_f32 v19, v195, v142 :: v_dual_add_f32 v9, v9, v27
	v_fma_f32 v15, v194, v142, -v35
	s_wait_dscnt 0x0
	v_dual_mul_f32 v213, v198, v147 :: v_dual_mul_f32 v215, v200, v149
	v_add_f32_e32 v7, v7, v17
	v_dual_add_f32 v9, v9, v13 :: v_dual_fma_f32 v13, v196, v144, -v37
	v_dual_mul_f32 v23, v199, v147 :: v_dual_mul_f32 v11, v201, v149
	s_delay_alu instid0(VALU_DEP_3) | instskip(NEXT) | instid1(VALU_DEP_3)
	v_dual_fmac_f32 v21, v197, v144 :: v_dual_add_f32 v7, v7, v19
	v_dual_add_f32 v9, v9, v15 :: v_dual_fmac_f32 v213, v199, v146
	v_pk_mul_f32 v[130:131], v[166:167], v[150:151] op_sel:[1,1] op_sel_hi:[0,1]
	s_wait_loadcnt 0x3
	v_dual_mov_b32 v136, v157 :: v_dual_fma_f32 v212, v198, v146, -v23
	v_dual_add_f32 v139, v7, v21 :: v_dual_fmac_f32 v215, v201, v148
	v_dual_add_f32 v138, v9, v13 :: v_dual_fma_f32 v214, v200, v148, -v11
	v_pk_fma_f32 v[140:141], v[166:167], v[150:151], v[130:131] op_sel_hi:[1,0,1]
	v_pk_mul_f32 v[132:133], v[204:205], v[132:133] op_sel_hi:[1,0]
	v_pk_fma_f32 v[130:131], v[166:167], v[150:151], v[130:131] neg_lo:[0,0,1] neg_hi:[0,0,1]
	s_delay_alu instid0(VALU_DEP_4)
	v_pk_add_f32 v[138:139], v[138:139], v[212:213]
	v_pk_mul_f32 v[134:135], v[170:171], v[154:155] op_sel:[1,1] op_sel_hi:[0,1]
	v_mov_b32_e32 v131, v141
	v_pk_fma_f32 v[140:141], v[168:169], v[152:153], v[132:133] op_sel_hi:[1,0,1]
	v_pk_fma_f32 v[132:133], v[168:169], v[152:153], v[132:133] neg_lo:[0,0,1] neg_hi:[0,0,1]
	v_pk_add_f32 v[138:139], v[138:139], v[214:215]
	v_pk_fma_f32 v[144:145], v[170:171], v[154:155], v[134:135] op_sel_hi:[1,0,1]
	v_pk_mul_f32 v[136:137], v[206:207], v[136:137] op_sel_hi:[1,0]
	v_mov_b32_e32 v133, v141
	s_wait_loadcnt 0x2
	v_pk_mul_f32 v[142:143], v[174:175], v[158:159] op_sel:[1,1] op_sel_hi:[0,1]
	v_pk_add_f32 v[130:131], v[138:139], v[130:131]
	v_mov_b32_e32 v138, v161
	v_pk_fma_f32 v[134:135], v[170:171], v[154:155], v[134:135] neg_lo:[0,0,1] neg_hi:[0,0,1]
	v_mov_b32_e32 v135, v145
	v_pk_fma_f32 v[140:141], v[172:173], v[156:157], v[136:137] op_sel_hi:[1,0,1]
	v_pk_add_f32 v[130:131], v[130:131], v[132:133]
	v_pk_fma_f32 v[132:133], v[174:175], v[158:159], v[142:143] op_sel_hi:[1,0,1]
	v_pk_mul_f32 v[138:139], v[208:209], v[138:139] op_sel_hi:[1,0]
	v_pk_fma_f32 v[136:137], v[172:173], v[156:157], v[136:137] neg_lo:[0,0,1] neg_hi:[0,0,1]
	v_mov_b32_e32 v137, v141
	v_pk_add_f32 v[130:131], v[130:131], v[134:135]
	v_pk_fma_f32 v[140:141], v[174:175], v[158:159], v[142:143] neg_lo:[0,0,1] neg_hi:[0,0,1]
	v_mov_b32_e32 v141, v133
	v_pk_fma_f32 v[132:133], v[176:177], v[160:161], v[138:139] op_sel_hi:[1,0,1]
	s_wait_loadcnt 0x1
	v_pk_mul_f32 v[134:135], v[178:179], v[162:163] op_sel:[1,1] op_sel_hi:[0,1]
	v_pk_add_f32 v[130:131], v[130:131], v[136:137]
	v_mov_b32_e32 v132, v165
	v_pk_fma_f32 v[138:139], v[176:177], v[160:161], v[138:139] neg_lo:[0,0,1] neg_hi:[0,0,1]
	v_mov_b32_e32 v139, v133
	v_pk_fma_f32 v[136:137], v[178:179], v[162:163], v[134:135] op_sel_hi:[1,0,1]
	v_pk_add_f32 v[130:131], v[130:131], v[140:141]
	v_pk_mul_f32 v[132:133], v[210:211], v[132:133] op_sel_hi:[1,0]
	v_pk_fma_f32 v[134:135], v[178:179], v[162:163], v[134:135] neg_lo:[0,0,1] neg_hi:[0,0,1]
	s_delay_alu instid0(VALU_DEP_4) | instskip(NEXT) | instid1(VALU_DEP_4)
	v_mov_b32_e32 v135, v137
	v_pk_add_f32 v[130:131], v[130:131], v[138:139]
	s_delay_alu instid0(VALU_DEP_4) | instskip(SKIP_1) | instid1(VALU_DEP_2)
	v_pk_fma_f32 v[136:137], v[180:181], v[164:165], v[132:133] op_sel_hi:[1,0,1]
	v_pk_fma_f32 v[132:133], v[180:181], v[164:165], v[132:133] neg_lo:[0,0,1] neg_hi:[0,0,1]
	v_mov_b32_e32 v133, v137
	s_delay_alu instid0(VALU_DEP_4) | instskip(NEXT) | instid1(VALU_DEP_1)
	v_pk_add_f32 v[130:131], v[130:131], v[134:135]
	v_pk_add_f32 v[130:131], v[130:131], v[132:133]
	s_wait_loadcnt 0x0
	s_delay_alu instid0(VALU_DEP_1)
	v_pk_add_f32 v[130:131], v[202:203], v[130:131] neg_lo:[0,1] neg_hi:[0,1]
	scratch_store_b64 off, v[130:131], off offset:360
	s_wait_xcnt 0x0
	v_cmpx_lt_u32_e32 44, v0
	s_cbranch_execz .LBB127_309
; %bb.308:
	scratch_load_b64 v[130:131], off, off offset:352
	v_mov_b64_e32 v[132:133], 0
	scratch_store_b64 off, v[132:133], off offset:352
	s_wait_loadcnt 0x0
	ds_store_b64 v1, v[130:131]
.LBB127_309:
	s_wait_xcnt 0x0
	s_or_b32 exec_lo, exec_lo, s0
	s_wait_storecnt_dscnt 0x0
	s_barrier_signal -1
	s_barrier_wait -1
	s_clause 0xa
	scratch_load_b128 v[130:133], off, off offset:360
	scratch_load_b128 v[134:137], off, off offset:376
	;; [unrolled: 1-line block ×9, first 2 shown]
	scratch_load_b64 v[202:203], off, off offset:504
	scratch_load_b64 v[204:205], off, off offset:352
	v_mov_b32_e32 v7, 0
	ds_load_2addr_b64 v[166:169], v7 offset0:119 offset1:120
	ds_load_2addr_b64 v[170:173], v7 offset0:121 offset1:122
	;; [unrolled: 1-line block ×9, first 2 shown]
	ds_load_b64 v[206:207], v7 offset:1016
	s_mov_b32 s0, exec_lo
	s_wait_dscnt 0x9
	v_dual_mov_b32 v208, v169 :: v_dual_mov_b32 v209, v168
	s_wait_dscnt 0x6
	v_dual_mov_b32 v210, v173 :: v_dual_mov_b32 v215, v180
	v_dual_mov_b32 v211, v172 :: v_dual_mov_b32 v212, v177
	;; [unrolled: 1-line block ×3, first 2 shown]
	s_wait_loadcnt_dscnt 0xa05
	v_dual_mul_f32 v9, v182, v131 :: v_dual_mul_f32 v27, v183, v131
	v_dual_mul_f32 v29, v185, v133 :: v_dual_mul_f32 v11, v184, v133
	s_wait_loadcnt_dscnt 0x904
	v_mul_f32_e32 v13, v186, v135
	s_wait_loadcnt_dscnt 0x702
	v_dual_mul_f32 v39, v195, v143 :: v_dual_fma_f32 v27, v182, v130, -v27
	v_dual_fmac_f32 v9, v183, v130 :: v_dual_mul_f32 v41, v197, v145
	v_dual_mul_f32 v31, v187, v135 :: v_dual_mul_f32 v33, v189, v137
	v_dual_fmac_f32 v11, v185, v132 :: v_dual_fma_f32 v29, v184, v132, -v29
	s_delay_alu instid0(VALU_DEP_3) | instskip(SKIP_3) | instid1(VALU_DEP_3)
	v_dual_add_f32 v9, 0, v9 :: v_dual_add_f32 v27, 0, v27
	v_dual_mul_f32 v15, v188, v137 :: v_dual_mul_f32 v17, v190, v139
	s_wait_loadcnt_dscnt 0x601
	v_dual_mul_f32 v43, v199, v147 :: v_dual_fma_f32 v31, v186, v134, -v31
	v_dual_fmac_f32 v13, v187, v134 :: v_dual_add_f32 v9, v9, v11
	s_delay_alu instid0(VALU_DEP_3) | instskip(SKIP_2) | instid1(VALU_DEP_3)
	v_dual_add_f32 v11, v27, v29 :: v_dual_fmac_f32 v15, v189, v136
	v_dual_mul_f32 v35, v191, v139 :: v_dual_mul_f32 v37, v193, v141
	v_dual_mul_f32 v27, v201, v149 :: v_dual_fma_f32 v29, v188, v136, -v33
	v_dual_add_f32 v9, v9, v13 :: v_dual_add_f32 v11, v11, v31
	v_dual_mul_f32 v19, v192, v141 :: v_dual_mul_f32 v21, v194, v143
	s_wait_loadcnt 0x5
	v_dual_mul_f32 v13, v167, v151 :: v_dual_fma_f32 v31, v190, v138, -v35
	s_delay_alu instid0(VALU_DEP_3) | instskip(SKIP_2) | instid1(VALU_DEP_2)
	v_dual_fmac_f32 v17, v191, v138 :: v_dual_add_f32 v9, v9, v15
	v_dual_add_f32 v11, v11, v29 :: v_dual_mov_b32 v130, v153
	v_dual_fmac_f32 v19, v193, v140 :: v_dual_fma_f32 v15, v192, v140, -v37
	v_dual_add_f32 v9, v9, v17 :: v_dual_add_f32 v11, v11, v31
	v_dual_mul_f32 v23, v196, v145 :: v_dual_mul_f32 v25, v198, v147
	v_dual_fmac_f32 v21, v195, v142 :: v_dual_fma_f32 v17, v194, v142, -v39
	s_delay_alu instid0(VALU_DEP_3) | instskip(SKIP_3) | instid1(VALU_DEP_3)
	v_add_f32_e32 v9, v9, v19
	s_wait_loadcnt 0x4
	v_dual_add_f32 v11, v11, v15 :: v_dual_mov_b32 v134, v157
	v_dual_fmac_f32 v23, v197, v144 :: v_dual_fma_f32 v15, v196, v144, -v41
	v_dual_add_f32 v9, v9, v21 :: v_dual_fmac_f32 v25, v199, v146
	s_delay_alu instid0(VALU_DEP_3) | instskip(SKIP_1) | instid1(VALU_DEP_3)
	v_add_f32_e32 v11, v11, v17
	v_dual_mul_f32 v217, v200, v149 :: v_dual_mul_f32 v219, v166, v151
	v_dual_fma_f32 v17, v198, v146, -v43 :: v_dual_add_f32 v9, v9, v23
	s_delay_alu instid0(VALU_DEP_2) | instskip(SKIP_2) | instid1(VALU_DEP_4)
	v_dual_add_f32 v11, v11, v15 :: v_dual_fmac_f32 v217, v201, v148
	v_fma_f32 v216, v200, v148, -v27
	v_pk_mul_f32 v[130:131], v[208:209], v[130:131] op_sel_hi:[1,0]
	v_add_f32_e32 v139, v9, v25
	s_wait_loadcnt 0x3
	v_dual_add_f32 v138, v11, v17 :: v_dual_mov_b32 v140, v161
	v_pk_mul_f32 v[132:133], v[170:171], v[154:155] op_sel:[1,1] op_sel_hi:[0,1]
	v_dual_fmac_f32 v219, v167, v150 :: v_dual_fma_f32 v218, v166, v150, -v13
	v_pk_fma_f32 v[142:143], v[168:169], v[152:153], v[130:131] op_sel_hi:[1,0,1]
	s_delay_alu instid0(VALU_DEP_4)
	v_pk_add_f32 v[138:139], v[138:139], v[216:217]
	v_pk_fma_f32 v[130:131], v[168:169], v[152:153], v[130:131] neg_lo:[0,0,1] neg_hi:[0,0,1]
	v_pk_fma_f32 v[144:145], v[170:171], v[154:155], v[132:133] op_sel_hi:[1,0,1]
	v_pk_mul_f32 v[134:135], v[210:211], v[134:135] op_sel_hi:[1,0]
	v_mov_b32_e32 v131, v143
	v_pk_add_f32 v[138:139], v[138:139], v[218:219]
	v_pk_fma_f32 v[132:133], v[170:171], v[154:155], v[132:133] neg_lo:[0,0,1] neg_hi:[0,0,1]
	v_pk_mul_f32 v[136:137], v[174:175], v[158:159] op_sel:[1,1] op_sel_hi:[0,1]
	v_mov_b32_e32 v133, v145
	v_pk_fma_f32 v[144:145], v[172:173], v[156:157], v[134:135] op_sel_hi:[1,0,1]
	v_pk_add_f32 v[130:131], v[138:139], v[130:131]
	v_pk_fma_f32 v[134:135], v[172:173], v[156:157], v[134:135] neg_lo:[0,0,1] neg_hi:[0,0,1]
	v_pk_fma_f32 v[138:139], v[174:175], v[158:159], v[136:137] op_sel_hi:[1,0,1]
	v_pk_mul_f32 v[140:141], v[212:213], v[140:141] op_sel_hi:[1,0]
	v_mov_b32_e32 v135, v145
	v_pk_add_f32 v[130:131], v[130:131], v[132:133]
	v_pk_fma_f32 v[136:137], v[174:175], v[158:159], v[136:137] neg_lo:[0,0,1] neg_hi:[0,0,1]
	s_wait_loadcnt 0x2
	v_pk_mul_f32 v[142:143], v[178:179], v[162:163] op_sel:[1,1] op_sel_hi:[0,1]
	v_dual_mov_b32 v132, v165 :: v_dual_mov_b32 v137, v139
	v_pk_fma_f32 v[138:139], v[176:177], v[160:161], v[140:141] op_sel_hi:[1,0,1]
	v_pk_add_f32 v[130:131], v[130:131], v[134:135]
	v_pk_fma_f32 v[140:141], v[176:177], v[160:161], v[140:141] neg_lo:[0,0,1] neg_hi:[0,0,1]
	v_pk_fma_f32 v[134:135], v[178:179], v[162:163], v[142:143] op_sel_hi:[1,0,1]
	v_pk_mul_f32 v[132:133], v[214:215], v[132:133] op_sel_hi:[1,0]
	v_mov_b32_e32 v141, v139
	v_pk_add_f32 v[130:131], v[130:131], v[136:137]
	v_pk_fma_f32 v[136:137], v[178:179], v[162:163], v[142:143] neg_lo:[0,0,1] neg_hi:[0,0,1]
	v_mov_b32_e32 v137, v135
	v_pk_fma_f32 v[134:135], v[180:181], v[164:165], v[132:133] op_sel_hi:[1,0,1]
	s_wait_loadcnt_dscnt 0x100
	v_pk_mul_f32 v[138:139], v[206:207], v[202:203] op_sel:[1,1] op_sel_hi:[0,1]
	v_pk_add_f32 v[130:131], v[130:131], v[140:141]
	v_pk_fma_f32 v[132:133], v[180:181], v[164:165], v[132:133] neg_lo:[0,0,1] neg_hi:[0,0,1]
	v_mov_b32_e32 v133, v135
	s_delay_alu instid0(VALU_DEP_4) | instskip(NEXT) | instid1(VALU_DEP_4)
	v_pk_fma_f32 v[134:135], v[206:207], v[202:203], v[138:139] op_sel_hi:[1,0,1]
	v_pk_add_f32 v[130:131], v[130:131], v[136:137]
	v_pk_fma_f32 v[136:137], v[206:207], v[202:203], v[138:139] neg_lo:[0,0,1] neg_hi:[0,0,1]
	s_delay_alu instid0(VALU_DEP_3) | instskip(NEXT) | instid1(VALU_DEP_3)
	v_mov_b32_e32 v137, v135
	v_pk_add_f32 v[130:131], v[130:131], v[132:133]
	s_delay_alu instid0(VALU_DEP_1) | instskip(SKIP_1) | instid1(VALU_DEP_1)
	v_pk_add_f32 v[130:131], v[130:131], v[136:137]
	s_wait_loadcnt 0x0
	v_pk_add_f32 v[130:131], v[204:205], v[130:131] neg_lo:[0,1] neg_hi:[0,1]
	scratch_store_b64 off, v[130:131], off offset:352
	s_wait_xcnt 0x0
	v_cmpx_lt_u32_e32 43, v0
	s_cbranch_execz .LBB127_311
; %bb.310:
	scratch_load_b64 v[130:131], off, off offset:344
	v_mov_b64_e32 v[132:133], 0
	scratch_store_b64 off, v[132:133], off offset:344
	s_wait_loadcnt 0x0
	ds_store_b64 v1, v[130:131]
.LBB127_311:
	s_wait_xcnt 0x0
	s_or_b32 exec_lo, exec_lo, s0
	s_wait_storecnt_dscnt 0x0
	s_barrier_signal -1
	s_barrier_wait -1
	s_clause 0xa
	scratch_load_b128 v[130:133], off, off offset:352
	scratch_load_b128 v[134:137], off, off offset:368
	;; [unrolled: 1-line block ×10, first 2 shown]
	scratch_load_b64 v[210:211], off, off offset:344
	ds_load_b128 v[170:173], v7 offset:960
	ds_load_b128 v[174:177], v7 offset:976
	;; [unrolled: 1-line block ×10, first 2 shown]
	s_mov_b32 s0, exec_lo
	s_wait_dscnt 0x9
	v_dual_mov_b32 v212, v173 :: v_dual_mov_b32 v213, v172
	s_wait_dscnt 0x8
	v_dual_mov_b32 v214, v177 :: v_dual_mov_b32 v215, v176
	;; [unrolled: 2-line block ×4, first 2 shown]
	s_wait_loadcnt_dscnt 0xa05
	v_dual_mul_f32 v7, v186, v131 :: v_dual_mul_f32 v9, v188, v133
	v_dual_mul_f32 v27, v187, v131 :: v_dual_mul_f32 v29, v189, v133
	s_wait_loadcnt_dscnt 0x904
	v_dual_mul_f32 v11, v190, v135 :: v_dual_mul_f32 v13, v192, v137
	s_delay_alu instid0(VALU_DEP_3) | instskip(SKIP_3) | instid1(VALU_DEP_3)
	v_dual_fmac_f32 v7, v187, v130 :: v_dual_fmac_f32 v9, v189, v132
	s_wait_loadcnt_dscnt 0x702
	v_dual_fma_f32 v27, v186, v130, -v27 :: v_dual_mul_f32 v39, v199, v143
	v_dual_mul_f32 v31, v191, v135 :: v_dual_mul_f32 v33, v193, v137
	v_dual_fma_f32 v29, v188, v132, -v29 :: v_dual_add_f32 v7, 0, v7
	s_delay_alu instid0(VALU_DEP_3) | instskip(SKIP_1) | instid1(VALU_DEP_3)
	v_dual_add_f32 v27, 0, v27 :: v_dual_mul_f32 v41, v201, v145
	v_dual_fmac_f32 v11, v191, v134 :: v_dual_fmac_f32 v13, v193, v136
	v_dual_fma_f32 v31, v190, v134, -v31 :: v_dual_add_f32 v7, v7, v9
	s_delay_alu instid0(VALU_DEP_3) | instskip(SKIP_2) | instid1(VALU_DEP_4)
	v_dual_add_f32 v9, v27, v29 :: v_dual_fma_f32 v29, v192, v136, -v33
	v_dual_mul_f32 v15, v194, v139 :: v_dual_mul_f32 v17, v196, v141
	v_dual_mul_f32 v35, v195, v139 :: v_dual_mul_f32 v37, v197, v141
	v_add_f32_e32 v7, v7, v11
	s_delay_alu instid0(VALU_DEP_3) | instskip(NEXT) | instid1(VALU_DEP_3)
	v_dual_add_f32 v9, v9, v31 :: v_dual_fmac_f32 v15, v195, v138
	v_fma_f32 v31, v194, v138, -v35
	v_dual_mul_f32 v19, v198, v143 :: v_dual_mul_f32 v21, v200, v145
	s_delay_alu instid0(VALU_DEP_4) | instskip(SKIP_2) | instid1(VALU_DEP_2)
	v_dual_add_f32 v7, v7, v13 :: v_dual_fmac_f32 v17, v197, v140
	s_wait_loadcnt_dscnt 0x500
	v_dual_add_f32 v9, v9, v29 :: v_dual_mul_f32 v13, v207, v151
	v_dual_fma_f32 v29, v196, v140, -v37 :: v_dual_add_f32 v7, v7, v15
	v_mul_f32_e32 v15, v209, v153
	s_delay_alu instid0(VALU_DEP_3) | instskip(NEXT) | instid1(VALU_DEP_3)
	v_dual_add_f32 v9, v9, v31 :: v_dual_fmac_f32 v19, v199, v142
	v_dual_fma_f32 v31, v198, v142, -v39 :: v_dual_add_f32 v7, v7, v17
	v_fmac_f32_e32 v21, v201, v144
	s_delay_alu instid0(VALU_DEP_3) | instskip(SKIP_4) | instid1(VALU_DEP_3)
	v_dual_add_f32 v9, v9, v29 :: v_dual_fma_f32 v17, v200, v144, -v41
	v_dual_mul_f32 v23, v202, v147 :: v_dual_mul_f32 v25, v204, v149
	v_dual_mul_f32 v27, v203, v147 :: v_dual_mul_f32 v11, v205, v149
	s_wait_loadcnt 0x4
	v_dual_add_f32 v7, v7, v19 :: v_dual_mov_b32 v132, v157
	v_dual_add_f32 v9, v9, v31 :: v_dual_fmac_f32 v23, v203, v146
	s_delay_alu instid0(VALU_DEP_2) | instskip(SKIP_1) | instid1(VALU_DEP_3)
	v_dual_fma_f32 v19, v202, v146, -v27 :: v_dual_add_f32 v7, v7, v21
	v_dual_mul_f32 v221, v206, v151 :: v_dual_mul_f32 v223, v208, v153
	v_dual_add_f32 v9, v9, v17 :: v_dual_fma_f32 v11, v204, v148, -v11
	s_delay_alu instid0(VALU_DEP_3) | instskip(SKIP_1) | instid1(VALU_DEP_3)
	v_dual_fmac_f32 v25, v205, v148 :: v_dual_add_f32 v7, v7, v23
	v_pk_mul_f32 v[130:131], v[170:171], v[154:155] op_sel:[1,1] op_sel_hi:[0,1]
	v_dual_add_f32 v9, v9, v19 :: v_dual_fmac_f32 v221, v207, v150
	s_wait_loadcnt 0x3
	v_dual_mov_b32 v136, v161 :: v_dual_fma_f32 v220, v206, v150, -v13
	s_delay_alu instid0(VALU_DEP_2)
	v_dual_add_f32 v139, v7, v25 :: v_dual_add_f32 v138, v9, v11
	v_fmac_f32_e32 v223, v209, v152
	v_pk_fma_f32 v[140:141], v[170:171], v[154:155], v[130:131] op_sel_hi:[1,0,1]
	v_fma_f32 v222, v208, v152, -v15
	v_pk_mul_f32 v[132:133], v[212:213], v[132:133] op_sel_hi:[1,0]
	v_pk_add_f32 v[138:139], v[138:139], v[220:221]
	v_pk_fma_f32 v[130:131], v[170:171], v[154:155], v[130:131] neg_lo:[0,0,1] neg_hi:[0,0,1]
	v_pk_mul_f32 v[134:135], v[174:175], v[158:159] op_sel:[1,1] op_sel_hi:[0,1]
	v_mov_b32_e32 v131, v141
	v_pk_fma_f32 v[140:141], v[172:173], v[156:157], v[132:133] op_sel_hi:[1,0,1]
	v_pk_add_f32 v[138:139], v[138:139], v[222:223]
	v_pk_fma_f32 v[132:133], v[172:173], v[156:157], v[132:133] neg_lo:[0,0,1] neg_hi:[0,0,1]
	v_pk_fma_f32 v[144:145], v[174:175], v[158:159], v[134:135] op_sel_hi:[1,0,1]
	v_pk_mul_f32 v[136:137], v[214:215], v[136:137] op_sel_hi:[1,0]
	v_mov_b32_e32 v133, v141
	v_pk_add_f32 v[130:131], v[138:139], v[130:131]
	s_wait_loadcnt 0x2
	v_pk_mul_f32 v[142:143], v[178:179], v[162:163] op_sel:[1,1] op_sel_hi:[0,1]
	v_mov_b32_e32 v138, v165
	v_pk_fma_f32 v[134:135], v[174:175], v[158:159], v[134:135] neg_lo:[0,0,1] neg_hi:[0,0,1]
	v_pk_fma_f32 v[140:141], v[176:177], v[160:161], v[136:137] op_sel_hi:[1,0,1]
	v_mov_b32_e32 v135, v145
	v_pk_add_f32 v[130:131], v[130:131], v[132:133]
	v_pk_fma_f32 v[132:133], v[178:179], v[162:163], v[142:143] op_sel_hi:[1,0,1]
	v_pk_mul_f32 v[138:139], v[216:217], v[138:139] op_sel_hi:[1,0]
	v_pk_fma_f32 v[136:137], v[176:177], v[160:161], v[136:137] neg_lo:[0,0,1] neg_hi:[0,0,1]
	v_mov_b32_e32 v137, v141
	v_pk_add_f32 v[130:131], v[130:131], v[134:135]
	v_pk_fma_f32 v[140:141], v[178:179], v[162:163], v[142:143] neg_lo:[0,0,1] neg_hi:[0,0,1]
	v_mov_b32_e32 v141, v133
	v_pk_fma_f32 v[132:133], v[180:181], v[164:165], v[138:139] op_sel_hi:[1,0,1]
	s_wait_loadcnt 0x1
	v_pk_mul_f32 v[134:135], v[182:183], v[166:167] op_sel:[1,1] op_sel_hi:[0,1]
	v_pk_add_f32 v[130:131], v[130:131], v[136:137]
	v_mov_b32_e32 v132, v169
	v_pk_fma_f32 v[138:139], v[180:181], v[164:165], v[138:139] neg_lo:[0,0,1] neg_hi:[0,0,1]
	s_delay_alu instid0(VALU_DEP_4)
	v_pk_fma_f32 v[136:137], v[182:183], v[166:167], v[134:135] op_sel_hi:[1,0,1]
	v_mov_b32_e32 v139, v133
	v_pk_add_f32 v[130:131], v[130:131], v[140:141]
	v_pk_mul_f32 v[132:133], v[218:219], v[132:133] op_sel_hi:[1,0]
	v_pk_fma_f32 v[134:135], v[182:183], v[166:167], v[134:135] neg_lo:[0,0,1] neg_hi:[0,0,1]
	v_mov_b32_e32 v135, v137
	s_delay_alu instid0(VALU_DEP_4) | instskip(NEXT) | instid1(VALU_DEP_4)
	v_pk_add_f32 v[130:131], v[130:131], v[138:139]
	v_pk_fma_f32 v[136:137], v[184:185], v[168:169], v[132:133] op_sel_hi:[1,0,1]
	v_pk_fma_f32 v[132:133], v[184:185], v[168:169], v[132:133] neg_lo:[0,0,1] neg_hi:[0,0,1]
	s_delay_alu instid0(VALU_DEP_3) | instskip(NEXT) | instid1(VALU_DEP_3)
	v_pk_add_f32 v[130:131], v[130:131], v[134:135]
	v_mov_b32_e32 v133, v137
	s_delay_alu instid0(VALU_DEP_1) | instskip(SKIP_1) | instid1(VALU_DEP_1)
	v_pk_add_f32 v[130:131], v[130:131], v[132:133]
	s_wait_loadcnt 0x0
	v_pk_add_f32 v[130:131], v[210:211], v[130:131] neg_lo:[0,1] neg_hi:[0,1]
	scratch_store_b64 off, v[130:131], off offset:344
	s_wait_xcnt 0x0
	v_cmpx_lt_u32_e32 42, v0
	s_cbranch_execz .LBB127_313
; %bb.312:
	scratch_load_b64 v[130:131], off, off offset:336
	v_mov_b64_e32 v[132:133], 0
	scratch_store_b64 off, v[132:133], off offset:336
	s_wait_loadcnt 0x0
	ds_store_b64 v1, v[130:131]
.LBB127_313:
	s_wait_xcnt 0x0
	s_or_b32 exec_lo, exec_lo, s0
	s_wait_storecnt_dscnt 0x0
	s_barrier_signal -1
	s_barrier_wait -1
	s_clause 0xb
	scratch_load_b128 v[130:133], off, off offset:344
	scratch_load_b128 v[134:137], off, off offset:360
	;; [unrolled: 1-line block ×10, first 2 shown]
	scratch_load_b64 v[210:211], off, off offset:504
	scratch_load_b64 v[212:213], off, off offset:336
	v_mov_b32_e32 v7, 0
	ds_load_2addr_b64 v[170:173], v7 offset0:119 offset1:120
	ds_load_2addr_b64 v[174:177], v7 offset0:121 offset1:122
	;; [unrolled: 1-line block ×10, first 2 shown]
	ds_load_b64 v[214:215], v7 offset:1016
	s_mov_b32 s0, exec_lo
	s_wait_dscnt 0xa
	v_dual_mov_b32 v216, v173 :: v_dual_mov_b32 v217, v172
	s_wait_dscnt 0x7
	v_dual_mov_b32 v218, v177 :: v_dual_mov_b32 v223, v184
	v_dual_mov_b32 v219, v176 :: v_dual_mov_b32 v220, v181
	;; [unrolled: 1-line block ×3, first 2 shown]
	s_wait_loadcnt_dscnt 0xb06
	v_dual_mul_f32 v9, v186, v131 :: v_dual_mul_f32 v31, v187, v131
	v_dual_mul_f32 v33, v189, v133 :: v_dual_mul_f32 v11, v188, v133
	s_wait_loadcnt_dscnt 0xa05
	v_mul_f32_e32 v13, v190, v135
	s_wait_loadcnt_dscnt 0x803
	v_dual_mul_f32 v43, v199, v143 :: v_dual_fma_f32 v31, v186, v130, -v31
	v_dual_fmac_f32 v9, v187, v130 :: v_dual_mul_f32 v45, v201, v145
	v_dual_mul_f32 v35, v191, v135 :: v_dual_mul_f32 v37, v193, v137
	v_dual_fmac_f32 v11, v189, v132 :: v_dual_fma_f32 v33, v188, v132, -v33
	s_delay_alu instid0(VALU_DEP_3) | instskip(SKIP_3) | instid1(VALU_DEP_3)
	v_dual_add_f32 v9, 0, v9 :: v_dual_add_f32 v31, 0, v31
	v_dual_mul_f32 v15, v192, v137 :: v_dual_mul_f32 v17, v194, v139
	s_wait_loadcnt_dscnt 0x702
	v_dual_mul_f32 v47, v203, v147 :: v_dual_fma_f32 v35, v190, v134, -v35
	v_dual_fmac_f32 v13, v191, v134 :: v_dual_add_f32 v9, v9, v11
	s_delay_alu instid0(VALU_DEP_3) | instskip(SKIP_2) | instid1(VALU_DEP_3)
	v_dual_add_f32 v11, v31, v33 :: v_dual_fmac_f32 v15, v193, v136
	v_dual_mul_f32 v39, v195, v139 :: v_dual_mul_f32 v41, v197, v141
	v_dual_mul_f32 v31, v205, v149 :: v_dual_fma_f32 v33, v192, v136, -v37
	v_dual_add_f32 v9, v9, v13 :: v_dual_add_f32 v11, v11, v35
	v_dual_mul_f32 v19, v196, v141 :: v_dual_mul_f32 v21, v198, v143
	s_wait_loadcnt_dscnt 0x601
	v_dual_mul_f32 v13, v207, v151 :: v_dual_fma_f32 v35, v194, v138, -v39
	s_delay_alu instid0(VALU_DEP_3) | instskip(NEXT) | instid1(VALU_DEP_3)
	v_dual_fmac_f32 v17, v195, v138 :: v_dual_add_f32 v9, v9, v15
	v_dual_add_f32 v11, v11, v33 :: v_dual_fmac_f32 v19, v197, v140
	v_dual_mul_f32 v15, v209, v153 :: v_dual_fma_f32 v33, v196, v140, -v41
	s_delay_alu instid0(VALU_DEP_2) | instskip(SKIP_3) | instid1(VALU_DEP_3)
	v_dual_add_f32 v9, v9, v17 :: v_dual_add_f32 v11, v11, v35
	v_dual_mul_f32 v23, v200, v145 :: v_dual_mul_f32 v25, v202, v147
	s_wait_loadcnt 0x5
	v_dual_mul_f32 v17, v171, v155 :: v_dual_fma_f32 v35, v198, v142, -v43
	v_dual_fmac_f32 v21, v199, v142 :: v_dual_add_f32 v9, v9, v19
	v_dual_add_f32 v11, v11, v33 :: v_dual_mov_b32 v130, v157
	v_dual_fmac_f32 v23, v201, v144 :: v_dual_fma_f32 v19, v200, v144, -v45
	s_delay_alu instid0(VALU_DEP_2) | instskip(SKIP_2) | instid1(VALU_DEP_3)
	v_dual_add_f32 v9, v9, v21 :: v_dual_add_f32 v11, v11, v35
	v_dual_mul_f32 v27, v204, v149 :: v_dual_mul_f32 v29, v206, v151
	v_dual_fmac_f32 v25, v203, v146 :: v_dual_fma_f32 v21, v202, v146, -v47
	v_add_f32_e32 v9, v9, v23
	s_wait_loadcnt 0x4
	v_dual_add_f32 v11, v11, v19 :: v_dual_mov_b32 v134, v161
	v_fmac_f32_e32 v27, v205, v148
	s_delay_alu instid0(VALU_DEP_3) | instskip(SKIP_1) | instid1(VALU_DEP_4)
	v_dual_fma_f32 v19, v204, v148, -v31 :: v_dual_add_f32 v9, v9, v25
	v_fmac_f32_e32 v29, v207, v150
	v_add_f32_e32 v11, v11, v21
	v_dual_mul_f32 v225, v208, v153 :: v_dual_mul_f32 v227, v170, v155
	s_delay_alu instid0(VALU_DEP_4) | instskip(NEXT) | instid1(VALU_DEP_2)
	v_dual_fma_f32 v13, v206, v150, -v13 :: v_dual_add_f32 v9, v9, v27
	v_dual_add_f32 v11, v11, v19 :: v_dual_fmac_f32 v225, v209, v152
	v_fma_f32 v224, v208, v152, -v15
	v_pk_mul_f32 v[130:131], v[216:217], v[130:131] op_sel_hi:[1,0]
	s_delay_alu instid0(VALU_DEP_4)
	v_add_f32_e32 v139, v9, v29
	s_wait_loadcnt 0x3
	v_dual_add_f32 v138, v11, v13 :: v_dual_mov_b32 v140, v165
	v_pk_mul_f32 v[132:133], v[174:175], v[158:159] op_sel:[1,1] op_sel_hi:[0,1]
	v_dual_fmac_f32 v227, v171, v154 :: v_dual_fma_f32 v226, v170, v154, -v17
	v_pk_fma_f32 v[142:143], v[172:173], v[156:157], v[130:131] op_sel_hi:[1,0,1]
	s_delay_alu instid0(VALU_DEP_4)
	v_pk_add_f32 v[138:139], v[138:139], v[224:225]
	v_pk_fma_f32 v[130:131], v[172:173], v[156:157], v[130:131] neg_lo:[0,0,1] neg_hi:[0,0,1]
	v_pk_fma_f32 v[144:145], v[174:175], v[158:159], v[132:133] op_sel_hi:[1,0,1]
	v_pk_mul_f32 v[134:135], v[218:219], v[134:135] op_sel_hi:[1,0]
	v_mov_b32_e32 v131, v143
	v_pk_add_f32 v[138:139], v[138:139], v[226:227]
	v_pk_fma_f32 v[132:133], v[174:175], v[158:159], v[132:133] neg_lo:[0,0,1] neg_hi:[0,0,1]
	v_pk_mul_f32 v[136:137], v[178:179], v[162:163] op_sel:[1,1] op_sel_hi:[0,1]
	v_mov_b32_e32 v133, v145
	v_pk_fma_f32 v[144:145], v[176:177], v[160:161], v[134:135] op_sel_hi:[1,0,1]
	v_pk_add_f32 v[130:131], v[138:139], v[130:131]
	v_pk_fma_f32 v[134:135], v[176:177], v[160:161], v[134:135] neg_lo:[0,0,1] neg_hi:[0,0,1]
	v_pk_fma_f32 v[138:139], v[178:179], v[162:163], v[136:137] op_sel_hi:[1,0,1]
	v_pk_mul_f32 v[140:141], v[220:221], v[140:141] op_sel_hi:[1,0]
	v_mov_b32_e32 v135, v145
	v_pk_add_f32 v[130:131], v[130:131], v[132:133]
	v_pk_fma_f32 v[136:137], v[178:179], v[162:163], v[136:137] neg_lo:[0,0,1] neg_hi:[0,0,1]
	s_wait_loadcnt 0x2
	v_pk_mul_f32 v[142:143], v[182:183], v[166:167] op_sel:[1,1] op_sel_hi:[0,1]
	v_dual_mov_b32 v132, v169 :: v_dual_mov_b32 v137, v139
	v_pk_fma_f32 v[138:139], v[180:181], v[164:165], v[140:141] op_sel_hi:[1,0,1]
	v_pk_add_f32 v[130:131], v[130:131], v[134:135]
	v_pk_fma_f32 v[140:141], v[180:181], v[164:165], v[140:141] neg_lo:[0,0,1] neg_hi:[0,0,1]
	v_pk_fma_f32 v[134:135], v[182:183], v[166:167], v[142:143] op_sel_hi:[1,0,1]
	v_pk_mul_f32 v[132:133], v[222:223], v[132:133] op_sel_hi:[1,0]
	v_mov_b32_e32 v141, v139
	v_pk_add_f32 v[130:131], v[130:131], v[136:137]
	v_pk_fma_f32 v[136:137], v[182:183], v[166:167], v[142:143] neg_lo:[0,0,1] neg_hi:[0,0,1]
	v_mov_b32_e32 v137, v135
	v_pk_fma_f32 v[134:135], v[184:185], v[168:169], v[132:133] op_sel_hi:[1,0,1]
	s_wait_loadcnt_dscnt 0x100
	v_pk_mul_f32 v[138:139], v[214:215], v[210:211] op_sel:[1,1] op_sel_hi:[0,1]
	v_pk_add_f32 v[130:131], v[130:131], v[140:141]
	v_pk_fma_f32 v[132:133], v[184:185], v[168:169], v[132:133] neg_lo:[0,0,1] neg_hi:[0,0,1]
	v_mov_b32_e32 v133, v135
	s_delay_alu instid0(VALU_DEP_4) | instskip(NEXT) | instid1(VALU_DEP_4)
	v_pk_fma_f32 v[134:135], v[214:215], v[210:211], v[138:139] op_sel_hi:[1,0,1]
	v_pk_add_f32 v[130:131], v[130:131], v[136:137]
	v_pk_fma_f32 v[136:137], v[214:215], v[210:211], v[138:139] neg_lo:[0,0,1] neg_hi:[0,0,1]
	s_delay_alu instid0(VALU_DEP_3) | instskip(NEXT) | instid1(VALU_DEP_3)
	v_mov_b32_e32 v137, v135
	v_pk_add_f32 v[130:131], v[130:131], v[132:133]
	s_delay_alu instid0(VALU_DEP_1) | instskip(SKIP_1) | instid1(VALU_DEP_1)
	v_pk_add_f32 v[130:131], v[130:131], v[136:137]
	s_wait_loadcnt 0x0
	v_pk_add_f32 v[130:131], v[212:213], v[130:131] neg_lo:[0,1] neg_hi:[0,1]
	scratch_store_b64 off, v[130:131], off offset:336
	s_wait_xcnt 0x0
	v_cmpx_lt_u32_e32 41, v0
	s_cbranch_execz .LBB127_315
; %bb.314:
	scratch_load_b64 v[130:131], off, off offset:328
	v_mov_b64_e32 v[132:133], 0
	scratch_store_b64 off, v[132:133], off offset:328
	s_wait_loadcnt 0x0
	ds_store_b64 v1, v[130:131]
.LBB127_315:
	s_wait_xcnt 0x0
	s_or_b32 exec_lo, exec_lo, s0
	s_wait_storecnt_dscnt 0x0
	s_barrier_signal -1
	s_barrier_wait -1
	s_clause 0xb
	scratch_load_b128 v[130:133], off, off offset:336
	scratch_load_b128 v[134:137], off, off offset:352
	;; [unrolled: 1-line block ×11, first 2 shown]
	scratch_load_b64 v[218:219], off, off offset:328
	ds_load_b128 v[174:177], v7 offset:960
	ds_load_b128 v[178:181], v7 offset:976
	;; [unrolled: 1-line block ×11, first 2 shown]
	s_mov_b32 s0, exec_lo
	s_wait_dscnt 0xa
	v_dual_mov_b32 v220, v177 :: v_dual_mov_b32 v221, v176
	s_wait_dscnt 0x9
	v_dual_mov_b32 v222, v181 :: v_dual_mov_b32 v223, v180
	;; [unrolled: 2-line block ×4, first 2 shown]
	s_wait_loadcnt_dscnt 0xb06
	v_dual_mul_f32 v7, v190, v131 :: v_dual_mul_f32 v9, v192, v133
	v_dual_mul_f32 v31, v191, v131 :: v_dual_mul_f32 v33, v193, v133
	s_wait_loadcnt_dscnt 0xa05
	v_dual_mul_f32 v11, v194, v135 :: v_dual_mul_f32 v13, v196, v137
	s_delay_alu instid0(VALU_DEP_3) | instskip(SKIP_3) | instid1(VALU_DEP_3)
	v_dual_fmac_f32 v7, v191, v130 :: v_dual_fmac_f32 v9, v193, v132
	s_wait_loadcnt_dscnt 0x803
	v_dual_fma_f32 v31, v190, v130, -v31 :: v_dual_mul_f32 v43, v203, v143
	v_dual_mul_f32 v35, v195, v135 :: v_dual_mul_f32 v37, v197, v137
	v_dual_fma_f32 v33, v192, v132, -v33 :: v_dual_add_f32 v7, 0, v7
	s_delay_alu instid0(VALU_DEP_3) | instskip(SKIP_1) | instid1(VALU_DEP_3)
	v_dual_add_f32 v31, 0, v31 :: v_dual_mul_f32 v45, v205, v145
	v_dual_fmac_f32 v11, v195, v134 :: v_dual_fmac_f32 v13, v197, v136
	v_dual_fma_f32 v35, v194, v134, -v35 :: v_dual_add_f32 v7, v7, v9
	s_delay_alu instid0(VALU_DEP_3) | instskip(SKIP_2) | instid1(VALU_DEP_4)
	v_dual_add_f32 v9, v31, v33 :: v_dual_fma_f32 v33, v196, v136, -v37
	v_dual_mul_f32 v15, v198, v139 :: v_dual_mul_f32 v17, v200, v141
	v_dual_mul_f32 v39, v199, v139 :: v_dual_mul_f32 v41, v201, v141
	v_add_f32_e32 v7, v7, v11
	s_delay_alu instid0(VALU_DEP_3) | instskip(NEXT) | instid1(VALU_DEP_3)
	v_dual_add_f32 v9, v9, v35 :: v_dual_fmac_f32 v15, v199, v138
	v_fma_f32 v35, v198, v138, -v39
	v_dual_mul_f32 v19, v202, v143 :: v_dual_mul_f32 v21, v204, v145
	s_delay_alu instid0(VALU_DEP_4) | instskip(SKIP_2) | instid1(VALU_DEP_2)
	v_dual_add_f32 v7, v7, v13 :: v_dual_fmac_f32 v17, v201, v140
	s_wait_loadcnt_dscnt 0x601
	v_dual_add_f32 v9, v9, v33 :: v_dual_mul_f32 v13, v211, v151
	v_dual_fma_f32 v33, v200, v140, -v41 :: v_dual_add_f32 v7, v7, v15
	v_mul_f32_e32 v15, v213, v153
	s_delay_alu instid0(VALU_DEP_3) | instskip(NEXT) | instid1(VALU_DEP_3)
	v_dual_add_f32 v9, v9, v35 :: v_dual_fmac_f32 v19, v203, v142
	v_dual_fma_f32 v35, v202, v142, -v43 :: v_dual_add_f32 v7, v7, v17
	v_fmac_f32_e32 v21, v205, v144
	s_wait_loadcnt_dscnt 0x500
	s_delay_alu instid0(VALU_DEP_3) | instskip(SKIP_3) | instid1(VALU_DEP_3)
	v_dual_add_f32 v9, v9, v33 :: v_dual_mul_f32 v17, v215, v155
	v_dual_mul_f32 v23, v206, v147 :: v_dual_mul_f32 v25, v208, v149
	v_dual_mul_f32 v31, v207, v147 :: v_dual_mul_f32 v11, v209, v149
	v_dual_fma_f32 v33, v204, v144, -v45 :: v_dual_add_f32 v7, v7, v19
	v_dual_add_f32 v9, v9, v35 :: v_dual_fmac_f32 v23, v207, v146
	s_delay_alu instid0(VALU_DEP_3) | instskip(NEXT) | instid1(VALU_DEP_3)
	v_dual_mul_f32 v19, v217, v157 :: v_dual_fma_f32 v31, v206, v146, -v31
	v_dual_add_f32 v7, v7, v21 :: v_dual_fmac_f32 v25, v209, v148
	s_delay_alu instid0(VALU_DEP_3) | instskip(SKIP_2) | instid1(VALU_DEP_3)
	v_dual_add_f32 v9, v9, v33 :: v_dual_fma_f32 v11, v208, v148, -v11
	v_dual_mul_f32 v27, v210, v151 :: v_dual_mul_f32 v29, v212, v153
	s_wait_loadcnt 0x4
	v_dual_add_f32 v7, v7, v23 :: v_dual_mov_b32 v132, v161
	s_delay_alu instid0(VALU_DEP_2) | instskip(NEXT) | instid1(VALU_DEP_2)
	v_dual_add_f32 v9, v9, v31 :: v_dual_fmac_f32 v27, v211, v150
	v_dual_fma_f32 v13, v210, v150, -v13 :: v_dual_add_f32 v7, v7, v25
	v_dual_mul_f32 v229, v214, v155 :: v_dual_mul_f32 v231, v216, v157
	s_delay_alu instid0(VALU_DEP_3) | instskip(NEXT) | instid1(VALU_DEP_3)
	v_dual_add_f32 v9, v9, v11 :: v_dual_fma_f32 v11, v212, v152, -v15
	v_dual_fmac_f32 v29, v213, v152 :: v_dual_add_f32 v7, v7, v27
	v_pk_mul_f32 v[130:131], v[174:175], v[158:159] op_sel:[1,1] op_sel_hi:[0,1]
	s_delay_alu instid0(VALU_DEP_3) | instskip(SKIP_2) | instid1(VALU_DEP_2)
	v_dual_add_f32 v9, v9, v13 :: v_dual_fmac_f32 v229, v215, v154
	s_wait_loadcnt 0x3
	v_dual_mov_b32 v136, v165 :: v_dual_fma_f32 v228, v214, v154, -v17
	v_dual_add_f32 v139, v7, v29 :: v_dual_add_f32 v138, v9, v11
	v_fmac_f32_e32 v231, v217, v156
	v_pk_fma_f32 v[140:141], v[174:175], v[158:159], v[130:131] op_sel_hi:[1,0,1]
	v_fma_f32 v230, v216, v156, -v19
	v_pk_mul_f32 v[132:133], v[220:221], v[132:133] op_sel_hi:[1,0]
	v_pk_add_f32 v[138:139], v[138:139], v[228:229]
	v_pk_fma_f32 v[130:131], v[174:175], v[158:159], v[130:131] neg_lo:[0,0,1] neg_hi:[0,0,1]
	v_pk_mul_f32 v[134:135], v[178:179], v[162:163] op_sel:[1,1] op_sel_hi:[0,1]
	v_mov_b32_e32 v131, v141
	v_pk_fma_f32 v[140:141], v[176:177], v[160:161], v[132:133] op_sel_hi:[1,0,1]
	v_pk_add_f32 v[138:139], v[138:139], v[230:231]
	v_pk_fma_f32 v[132:133], v[176:177], v[160:161], v[132:133] neg_lo:[0,0,1] neg_hi:[0,0,1]
	v_pk_fma_f32 v[144:145], v[178:179], v[162:163], v[134:135] op_sel_hi:[1,0,1]
	v_pk_mul_f32 v[136:137], v[222:223], v[136:137] op_sel_hi:[1,0]
	v_mov_b32_e32 v133, v141
	v_pk_add_f32 v[130:131], v[138:139], v[130:131]
	s_wait_loadcnt 0x2
	v_pk_mul_f32 v[142:143], v[182:183], v[166:167] op_sel:[1,1] op_sel_hi:[0,1]
	v_mov_b32_e32 v138, v169
	v_pk_fma_f32 v[134:135], v[178:179], v[162:163], v[134:135] neg_lo:[0,0,1] neg_hi:[0,0,1]
	v_pk_fma_f32 v[140:141], v[180:181], v[164:165], v[136:137] op_sel_hi:[1,0,1]
	v_mov_b32_e32 v135, v145
	v_pk_add_f32 v[130:131], v[130:131], v[132:133]
	v_pk_fma_f32 v[132:133], v[182:183], v[166:167], v[142:143] op_sel_hi:[1,0,1]
	v_pk_mul_f32 v[138:139], v[224:225], v[138:139] op_sel_hi:[1,0]
	v_pk_fma_f32 v[136:137], v[180:181], v[164:165], v[136:137] neg_lo:[0,0,1] neg_hi:[0,0,1]
	v_mov_b32_e32 v137, v141
	v_pk_add_f32 v[130:131], v[130:131], v[134:135]
	v_pk_fma_f32 v[140:141], v[182:183], v[166:167], v[142:143] neg_lo:[0,0,1] neg_hi:[0,0,1]
	v_mov_b32_e32 v141, v133
	v_pk_fma_f32 v[132:133], v[184:185], v[168:169], v[138:139] op_sel_hi:[1,0,1]
	s_wait_loadcnt 0x1
	v_pk_mul_f32 v[134:135], v[186:187], v[170:171] op_sel:[1,1] op_sel_hi:[0,1]
	v_pk_add_f32 v[130:131], v[130:131], v[136:137]
	v_mov_b32_e32 v132, v173
	v_pk_fma_f32 v[138:139], v[184:185], v[168:169], v[138:139] neg_lo:[0,0,1] neg_hi:[0,0,1]
	s_delay_alu instid0(VALU_DEP_4)
	v_pk_fma_f32 v[136:137], v[186:187], v[170:171], v[134:135] op_sel_hi:[1,0,1]
	v_mov_b32_e32 v139, v133
	v_pk_add_f32 v[130:131], v[130:131], v[140:141]
	v_pk_mul_f32 v[132:133], v[226:227], v[132:133] op_sel_hi:[1,0]
	v_pk_fma_f32 v[134:135], v[186:187], v[170:171], v[134:135] neg_lo:[0,0,1] neg_hi:[0,0,1]
	v_mov_b32_e32 v135, v137
	s_delay_alu instid0(VALU_DEP_4) | instskip(NEXT) | instid1(VALU_DEP_4)
	v_pk_add_f32 v[130:131], v[130:131], v[138:139]
	v_pk_fma_f32 v[136:137], v[188:189], v[172:173], v[132:133] op_sel_hi:[1,0,1]
	v_pk_fma_f32 v[132:133], v[188:189], v[172:173], v[132:133] neg_lo:[0,0,1] neg_hi:[0,0,1]
	s_delay_alu instid0(VALU_DEP_3) | instskip(NEXT) | instid1(VALU_DEP_3)
	v_pk_add_f32 v[130:131], v[130:131], v[134:135]
	v_mov_b32_e32 v133, v137
	s_delay_alu instid0(VALU_DEP_1) | instskip(SKIP_1) | instid1(VALU_DEP_1)
	v_pk_add_f32 v[130:131], v[130:131], v[132:133]
	s_wait_loadcnt 0x0
	v_pk_add_f32 v[130:131], v[218:219], v[130:131] neg_lo:[0,1] neg_hi:[0,1]
	scratch_store_b64 off, v[130:131], off offset:328
	s_wait_xcnt 0x0
	v_cmpx_lt_u32_e32 40, v0
	s_cbranch_execz .LBB127_317
; %bb.316:
	scratch_load_b64 v[130:131], off, off offset:320
	v_mov_b64_e32 v[132:133], 0
	scratch_store_b64 off, v[132:133], off offset:320
	s_wait_loadcnt 0x0
	ds_store_b64 v1, v[130:131]
.LBB127_317:
	s_wait_xcnt 0x0
	s_or_b32 exec_lo, exec_lo, s0
	s_wait_storecnt_dscnt 0x0
	s_barrier_signal -1
	s_barrier_wait -1
	s_clause 0xc
	scratch_load_b128 v[130:133], off, off offset:328
	scratch_load_b128 v[134:137], off, off offset:344
	;; [unrolled: 1-line block ×11, first 2 shown]
	scratch_load_b64 v[218:219], off, off offset:504
	scratch_load_b64 v[220:221], off, off offset:320
	v_mov_b32_e32 v7, 0
	ds_load_2addr_b64 v[174:177], v7 offset0:119 offset1:120
	ds_load_2addr_b64 v[178:181], v7 offset0:121 offset1:122
	ds_load_2addr_b64 v[182:185], v7 offset0:123 offset1:124
	ds_load_2addr_b64 v[186:189], v7 offset0:125 offset1:126
	ds_load_2addr_b64 v[190:193], v7 offset0:105 offset1:106
	ds_load_2addr_b64 v[194:197], v7 offset0:107 offset1:108
	ds_load_2addr_b64 v[198:201], v7 offset0:109 offset1:110
	ds_load_2addr_b64 v[202:205], v7 offset0:111 offset1:112
	ds_load_2addr_b64 v[206:209], v7 offset0:113 offset1:114
	ds_load_2addr_b64 v[210:213], v7 offset0:117 offset1:118
	ds_load_2addr_b64 v[214:217], v7 offset0:115 offset1:116
	ds_load_b64 v[222:223], v7 offset:1016
	s_mov_b32 s0, exec_lo
	s_wait_dscnt 0xb
	v_dual_mov_b32 v224, v177 :: v_dual_mov_b32 v225, v176
	s_wait_dscnt 0x8
	v_dual_mov_b32 v226, v181 :: v_dual_mov_b32 v231, v188
	v_dual_mov_b32 v227, v180 :: v_dual_mov_b32 v228, v185
	;; [unrolled: 1-line block ×3, first 2 shown]
	s_wait_loadcnt_dscnt 0xc07
	v_dual_mul_f32 v9, v190, v131 :: v_dual_mul_f32 v35, v191, v131
	v_dual_mul_f32 v37, v193, v133 :: v_dual_mul_f32 v11, v192, v133
	s_wait_loadcnt_dscnt 0xb06
	v_mul_f32_e32 v13, v194, v135
	s_wait_loadcnt_dscnt 0x904
	v_dual_mul_f32 v47, v203, v143 :: v_dual_fma_f32 v35, v190, v130, -v35
	v_dual_fmac_f32 v9, v191, v130 :: v_dual_mul_f32 v49, v205, v145
	v_dual_mul_f32 v39, v195, v135 :: v_dual_mul_f32 v41, v197, v137
	v_dual_fmac_f32 v11, v193, v132 :: v_dual_fma_f32 v37, v192, v132, -v37
	s_delay_alu instid0(VALU_DEP_3) | instskip(SKIP_3) | instid1(VALU_DEP_3)
	v_dual_add_f32 v9, 0, v9 :: v_dual_add_f32 v35, 0, v35
	v_dual_mul_f32 v15, v196, v137 :: v_dual_mul_f32 v17, v198, v139
	s_wait_loadcnt_dscnt 0x803
	v_dual_mul_f32 v51, v207, v147 :: v_dual_fma_f32 v39, v194, v134, -v39
	v_dual_fmac_f32 v13, v195, v134 :: v_dual_add_f32 v9, v9, v11
	s_delay_alu instid0(VALU_DEP_3) | instskip(SKIP_2) | instid1(VALU_DEP_3)
	v_dual_add_f32 v11, v35, v37 :: v_dual_fmac_f32 v15, v197, v136
	v_dual_mul_f32 v43, v199, v139 :: v_dual_mul_f32 v45, v201, v141
	v_dual_mul_f32 v35, v209, v149 :: v_dual_fma_f32 v37, v196, v136, -v41
	v_dual_add_f32 v9, v9, v13 :: v_dual_add_f32 v11, v11, v39
	v_dual_mul_f32 v19, v200, v141 :: v_dual_mul_f32 v21, v202, v143
	s_wait_loadcnt_dscnt 0x701
	v_dual_mul_f32 v13, v215, v151 :: v_dual_fma_f32 v39, v198, v138, -v43
	s_delay_alu instid0(VALU_DEP_3) | instskip(NEXT) | instid1(VALU_DEP_3)
	v_dual_fmac_f32 v17, v199, v138 :: v_dual_add_f32 v9, v9, v15
	v_dual_add_f32 v11, v11, v37 :: v_dual_fmac_f32 v19, v201, v140
	v_dual_mul_f32 v15, v217, v153 :: v_dual_fma_f32 v37, v200, v140, -v45
	s_delay_alu instid0(VALU_DEP_2) | instskip(SKIP_3) | instid1(VALU_DEP_3)
	v_dual_add_f32 v9, v9, v17 :: v_dual_add_f32 v11, v11, v39
	v_dual_mul_f32 v23, v204, v145 :: v_dual_mul_f32 v25, v206, v147
	s_wait_loadcnt 0x6
	v_dual_mul_f32 v17, v211, v155 :: v_dual_fma_f32 v39, v202, v142, -v47
	v_dual_fmac_f32 v21, v203, v142 :: v_dual_add_f32 v9, v9, v19
	s_delay_alu instid0(VALU_DEP_3) | instskip(SKIP_1) | instid1(VALU_DEP_2)
	v_dual_add_f32 v11, v11, v37 :: v_dual_fmac_f32 v23, v205, v144
	v_dual_mul_f32 v19, v213, v157 :: v_dual_fma_f32 v37, v204, v144, -v49
	v_dual_add_f32 v9, v9, v21 :: v_dual_add_f32 v11, v11, v39
	v_dual_mul_f32 v27, v208, v149 :: v_dual_mul_f32 v29, v214, v151
	s_wait_loadcnt 0x5
	v_dual_mul_f32 v21, v175, v159 :: v_dual_fma_f32 v39, v206, v146, -v51
	s_delay_alu instid0(VALU_DEP_3) | instskip(SKIP_2) | instid1(VALU_DEP_3)
	v_dual_fmac_f32 v25, v207, v146 :: v_dual_add_f32 v9, v9, v23
	v_dual_add_f32 v11, v11, v37 :: v_dual_mov_b32 v130, v161
	v_fmac_f32_e32 v27, v209, v148
	v_dual_fma_f32 v23, v208, v148, -v35 :: v_dual_add_f32 v9, v9, v25
	s_delay_alu instid0(VALU_DEP_3) | instskip(SKIP_1) | instid1(VALU_DEP_3)
	v_dual_add_f32 v11, v11, v39 :: v_dual_mul_f32 v31, v216, v153
	v_dual_mul_f32 v33, v210, v155 :: v_dual_fmac_f32 v29, v215, v150
	v_dual_add_f32 v9, v9, v27 :: v_dual_fma_f32 v13, v214, v150, -v13
	s_wait_loadcnt 0x4
	s_delay_alu instid0(VALU_DEP_3) | instskip(SKIP_3) | instid1(VALU_DEP_4)
	v_dual_add_f32 v11, v11, v23 :: v_dual_mov_b32 v134, v165
	v_fma_f32 v15, v216, v152, -v15
	v_fmac_f32_e32 v31, v217, v152
	v_dual_add_f32 v9, v9, v29 :: v_dual_fmac_f32 v33, v211, v154
	v_add_f32_e32 v11, v11, v13
	v_dual_mul_f32 v233, v212, v157 :: v_dual_mul_f32 v235, v174, v159
	s_delay_alu instid0(VALU_DEP_3) | instskip(NEXT) | instid1(VALU_DEP_2)
	v_dual_fma_f32 v13, v210, v154, -v17 :: v_dual_add_f32 v9, v9, v31
	v_dual_add_f32 v11, v11, v15 :: v_dual_fmac_f32 v233, v213, v156
	v_fma_f32 v232, v212, v156, -v19
	v_pk_mul_f32 v[130:131], v[224:225], v[130:131] op_sel_hi:[1,0]
	s_delay_alu instid0(VALU_DEP_4)
	v_add_f32_e32 v139, v9, v33
	s_wait_loadcnt 0x3
	v_dual_add_f32 v138, v11, v13 :: v_dual_mov_b32 v140, v169
	v_pk_mul_f32 v[132:133], v[178:179], v[162:163] op_sel:[1,1] op_sel_hi:[0,1]
	v_dual_fmac_f32 v235, v175, v158 :: v_dual_fma_f32 v234, v174, v158, -v21
	v_pk_fma_f32 v[142:143], v[176:177], v[160:161], v[130:131] op_sel_hi:[1,0,1]
	s_delay_alu instid0(VALU_DEP_4)
	v_pk_add_f32 v[138:139], v[138:139], v[232:233]
	v_pk_fma_f32 v[130:131], v[176:177], v[160:161], v[130:131] neg_lo:[0,0,1] neg_hi:[0,0,1]
	v_pk_fma_f32 v[144:145], v[178:179], v[162:163], v[132:133] op_sel_hi:[1,0,1]
	v_pk_mul_f32 v[134:135], v[226:227], v[134:135] op_sel_hi:[1,0]
	v_mov_b32_e32 v131, v143
	v_pk_add_f32 v[138:139], v[138:139], v[234:235]
	v_pk_fma_f32 v[132:133], v[178:179], v[162:163], v[132:133] neg_lo:[0,0,1] neg_hi:[0,0,1]
	v_pk_mul_f32 v[136:137], v[182:183], v[166:167] op_sel:[1,1] op_sel_hi:[0,1]
	v_mov_b32_e32 v133, v145
	v_pk_fma_f32 v[144:145], v[180:181], v[164:165], v[134:135] op_sel_hi:[1,0,1]
	v_pk_add_f32 v[130:131], v[138:139], v[130:131]
	v_pk_fma_f32 v[134:135], v[180:181], v[164:165], v[134:135] neg_lo:[0,0,1] neg_hi:[0,0,1]
	v_pk_fma_f32 v[138:139], v[182:183], v[166:167], v[136:137] op_sel_hi:[1,0,1]
	v_pk_mul_f32 v[140:141], v[228:229], v[140:141] op_sel_hi:[1,0]
	v_mov_b32_e32 v135, v145
	v_pk_add_f32 v[130:131], v[130:131], v[132:133]
	v_pk_fma_f32 v[136:137], v[182:183], v[166:167], v[136:137] neg_lo:[0,0,1] neg_hi:[0,0,1]
	s_wait_loadcnt 0x2
	v_pk_mul_f32 v[142:143], v[186:187], v[170:171] op_sel:[1,1] op_sel_hi:[0,1]
	v_dual_mov_b32 v132, v173 :: v_dual_mov_b32 v137, v139
	v_pk_fma_f32 v[138:139], v[184:185], v[168:169], v[140:141] op_sel_hi:[1,0,1]
	v_pk_add_f32 v[130:131], v[130:131], v[134:135]
	v_pk_fma_f32 v[140:141], v[184:185], v[168:169], v[140:141] neg_lo:[0,0,1] neg_hi:[0,0,1]
	v_pk_fma_f32 v[134:135], v[186:187], v[170:171], v[142:143] op_sel_hi:[1,0,1]
	v_pk_mul_f32 v[132:133], v[230:231], v[132:133] op_sel_hi:[1,0]
	v_mov_b32_e32 v141, v139
	v_pk_add_f32 v[130:131], v[130:131], v[136:137]
	v_pk_fma_f32 v[136:137], v[186:187], v[170:171], v[142:143] neg_lo:[0,0,1] neg_hi:[0,0,1]
	v_mov_b32_e32 v137, v135
	v_pk_fma_f32 v[134:135], v[188:189], v[172:173], v[132:133] op_sel_hi:[1,0,1]
	s_wait_loadcnt_dscnt 0x100
	v_pk_mul_f32 v[138:139], v[222:223], v[218:219] op_sel:[1,1] op_sel_hi:[0,1]
	v_pk_add_f32 v[130:131], v[130:131], v[140:141]
	v_pk_fma_f32 v[132:133], v[188:189], v[172:173], v[132:133] neg_lo:[0,0,1] neg_hi:[0,0,1]
	v_mov_b32_e32 v133, v135
	s_delay_alu instid0(VALU_DEP_4) | instskip(NEXT) | instid1(VALU_DEP_4)
	v_pk_fma_f32 v[134:135], v[222:223], v[218:219], v[138:139] op_sel_hi:[1,0,1]
	v_pk_add_f32 v[130:131], v[130:131], v[136:137]
	v_pk_fma_f32 v[136:137], v[222:223], v[218:219], v[138:139] neg_lo:[0,0,1] neg_hi:[0,0,1]
	s_delay_alu instid0(VALU_DEP_3) | instskip(NEXT) | instid1(VALU_DEP_3)
	v_mov_b32_e32 v137, v135
	v_pk_add_f32 v[130:131], v[130:131], v[132:133]
	s_delay_alu instid0(VALU_DEP_1) | instskip(SKIP_1) | instid1(VALU_DEP_1)
	v_pk_add_f32 v[130:131], v[130:131], v[136:137]
	s_wait_loadcnt 0x0
	v_pk_add_f32 v[130:131], v[220:221], v[130:131] neg_lo:[0,1] neg_hi:[0,1]
	scratch_store_b64 off, v[130:131], off offset:320
	s_wait_xcnt 0x0
	v_cmpx_lt_u32_e32 39, v0
	s_cbranch_execz .LBB127_319
; %bb.318:
	scratch_load_b64 v[130:131], off, off offset:312
	v_mov_b64_e32 v[132:133], 0
	scratch_store_b64 off, v[132:133], off offset:312
	s_wait_loadcnt 0x0
	ds_store_b64 v1, v[130:131]
.LBB127_319:
	s_wait_xcnt 0x0
	s_or_b32 exec_lo, exec_lo, s0
	s_wait_storecnt_dscnt 0x0
	s_barrier_signal -1
	s_barrier_wait -1
	s_clause 0xc
	scratch_load_b128 v[130:133], off, off offset:320
	scratch_load_b128 v[134:137], off, off offset:336
	;; [unrolled: 1-line block ×12, first 2 shown]
	scratch_load_b64 v[226:227], off, off offset:312
	ds_load_b128 v[178:181], v7 offset:960
	ds_load_b128 v[182:185], v7 offset:976
	;; [unrolled: 1-line block ×12, first 2 shown]
	s_mov_b32 s0, exec_lo
	s_wait_dscnt 0xb
	v_dual_mov_b32 v228, v181 :: v_dual_mov_b32 v229, v180
	s_wait_dscnt 0xa
	v_dual_mov_b32 v230, v185 :: v_dual_mov_b32 v231, v184
	;; [unrolled: 2-line block ×4, first 2 shown]
	s_wait_loadcnt_dscnt 0xc07
	v_dual_mul_f32 v7, v194, v131 :: v_dual_mul_f32 v9, v196, v133
	v_dual_mul_f32 v35, v195, v131 :: v_dual_mul_f32 v37, v197, v133
	s_wait_loadcnt_dscnt 0xb06
	v_dual_mul_f32 v11, v198, v135 :: v_dual_mul_f32 v13, v200, v137
	s_delay_alu instid0(VALU_DEP_3) | instskip(SKIP_3) | instid1(VALU_DEP_3)
	v_dual_fmac_f32 v7, v195, v130 :: v_dual_fmac_f32 v9, v197, v132
	s_wait_loadcnt_dscnt 0x904
	v_dual_fma_f32 v35, v194, v130, -v35 :: v_dual_mul_f32 v47, v207, v143
	v_dual_mul_f32 v39, v199, v135 :: v_dual_mul_f32 v41, v201, v137
	v_dual_fma_f32 v37, v196, v132, -v37 :: v_dual_add_f32 v7, 0, v7
	s_delay_alu instid0(VALU_DEP_3) | instskip(SKIP_1) | instid1(VALU_DEP_3)
	v_dual_add_f32 v35, 0, v35 :: v_dual_mul_f32 v49, v209, v145
	v_dual_fmac_f32 v11, v199, v134 :: v_dual_fmac_f32 v13, v201, v136
	v_dual_fma_f32 v39, v198, v134, -v39 :: v_dual_add_f32 v7, v7, v9
	s_delay_alu instid0(VALU_DEP_3) | instskip(SKIP_2) | instid1(VALU_DEP_4)
	v_dual_add_f32 v9, v35, v37 :: v_dual_fma_f32 v37, v200, v136, -v41
	v_dual_mul_f32 v15, v202, v139 :: v_dual_mul_f32 v17, v204, v141
	v_dual_mul_f32 v43, v203, v139 :: v_dual_mul_f32 v45, v205, v141
	v_add_f32_e32 v7, v7, v11
	s_delay_alu instid0(VALU_DEP_3) | instskip(NEXT) | instid1(VALU_DEP_3)
	v_dual_add_f32 v9, v9, v39 :: v_dual_fmac_f32 v15, v203, v138
	v_fma_f32 v39, v202, v138, -v43
	v_dual_mul_f32 v19, v206, v143 :: v_dual_mul_f32 v21, v208, v145
	s_delay_alu instid0(VALU_DEP_4) | instskip(SKIP_2) | instid1(VALU_DEP_2)
	v_dual_add_f32 v7, v7, v13 :: v_dual_fmac_f32 v17, v205, v140
	s_wait_loadcnt_dscnt 0x702
	v_dual_add_f32 v9, v9, v37 :: v_dual_mul_f32 v13, v215, v151
	v_dual_fma_f32 v37, v204, v140, -v45 :: v_dual_add_f32 v7, v7, v15
	v_mul_f32_e32 v15, v217, v153
	s_delay_alu instid0(VALU_DEP_3) | instskip(NEXT) | instid1(VALU_DEP_3)
	v_dual_add_f32 v9, v9, v39 :: v_dual_fmac_f32 v19, v207, v142
	v_dual_fma_f32 v39, v206, v142, -v47 :: v_dual_add_f32 v7, v7, v17
	v_fmac_f32_e32 v21, v209, v144
	s_wait_loadcnt_dscnt 0x601
	s_delay_alu instid0(VALU_DEP_3) | instskip(SKIP_3) | instid1(VALU_DEP_3)
	v_dual_add_f32 v9, v9, v37 :: v_dual_mul_f32 v17, v219, v155
	v_dual_mul_f32 v23, v210, v147 :: v_dual_mul_f32 v25, v212, v149
	v_dual_mul_f32 v35, v211, v147 :: v_dual_mul_f32 v11, v213, v149
	v_dual_fma_f32 v37, v208, v144, -v49 :: v_dual_add_f32 v7, v7, v19
	v_dual_add_f32 v9, v9, v39 :: v_dual_fmac_f32 v23, v211, v146
	s_delay_alu instid0(VALU_DEP_3) | instskip(NEXT) | instid1(VALU_DEP_3)
	v_dual_mul_f32 v19, v221, v157 :: v_dual_fma_f32 v35, v210, v146, -v35
	v_dual_add_f32 v7, v7, v21 :: v_dual_fmac_f32 v25, v213, v148
	s_wait_loadcnt_dscnt 0x500
	s_delay_alu instid0(VALU_DEP_3) | instskip(SKIP_1) | instid1(VALU_DEP_3)
	v_dual_add_f32 v9, v9, v37 :: v_dual_mul_f32 v21, v223, v159
	v_dual_mul_f32 v27, v214, v151 :: v_dual_mul_f32 v29, v216, v153
	v_dual_fma_f32 v11, v212, v148, -v11 :: v_dual_add_f32 v7, v7, v23
	s_delay_alu instid0(VALU_DEP_2) | instskip(SKIP_1) | instid1(VALU_DEP_2)
	v_dual_add_f32 v9, v9, v35 :: v_dual_fmac_f32 v27, v215, v150
	v_dual_mul_f32 v23, v225, v161 :: v_dual_fma_f32 v13, v214, v150, -v13
	v_dual_add_f32 v7, v7, v25 :: v_dual_add_f32 v9, v9, v11
	v_dual_mul_f32 v31, v218, v155 :: v_dual_mul_f32 v33, v220, v157
	v_dual_fmac_f32 v29, v217, v152 :: v_dual_fma_f32 v11, v216, v152, -v15
	s_delay_alu instid0(VALU_DEP_3) | instskip(SKIP_1) | instid1(VALU_DEP_3)
	v_dual_add_f32 v7, v7, v27 :: v_dual_add_f32 v9, v9, v13
	s_wait_loadcnt 0x4
	v_dual_mov_b32 v132, v165 :: v_dual_fmac_f32 v31, v219, v154
	s_delay_alu instid0(VALU_DEP_2) | instskip(NEXT) | instid1(VALU_DEP_3)
	v_dual_fma_f32 v13, v218, v154, -v17 :: v_dual_add_f32 v7, v7, v29
	v_dual_add_f32 v9, v9, v11 :: v_dual_fma_f32 v11, v220, v156, -v19
	v_dual_mul_f32 v237, v222, v159 :: v_dual_mul_f32 v239, v224, v161
	s_delay_alu instid0(VALU_DEP_3) | instskip(NEXT) | instid1(VALU_DEP_2)
	v_dual_fmac_f32 v33, v221, v156 :: v_dual_add_f32 v7, v7, v31
	v_dual_add_f32 v9, v9, v13 :: v_dual_fmac_f32 v237, v223, v158
	v_pk_mul_f32 v[130:131], v[178:179], v[162:163] op_sel:[1,1] op_sel_hi:[0,1]
	s_wait_loadcnt 0x3
	v_dual_mov_b32 v136, v169 :: v_dual_fma_f32 v236, v222, v158, -v21
	s_delay_alu instid0(VALU_DEP_3)
	v_dual_add_f32 v139, v7, v33 :: v_dual_add_f32 v138, v9, v11
	v_fmac_f32_e32 v239, v225, v160
	v_pk_fma_f32 v[140:141], v[178:179], v[162:163], v[130:131] op_sel_hi:[1,0,1]
	v_fma_f32 v238, v224, v160, -v23
	v_pk_mul_f32 v[132:133], v[228:229], v[132:133] op_sel_hi:[1,0]
	v_pk_add_f32 v[138:139], v[138:139], v[236:237]
	v_pk_fma_f32 v[130:131], v[178:179], v[162:163], v[130:131] neg_lo:[0,0,1] neg_hi:[0,0,1]
	v_pk_mul_f32 v[134:135], v[182:183], v[166:167] op_sel:[1,1] op_sel_hi:[0,1]
	v_mov_b32_e32 v131, v141
	v_pk_fma_f32 v[140:141], v[180:181], v[164:165], v[132:133] op_sel_hi:[1,0,1]
	v_pk_add_f32 v[138:139], v[138:139], v[238:239]
	v_pk_fma_f32 v[132:133], v[180:181], v[164:165], v[132:133] neg_lo:[0,0,1] neg_hi:[0,0,1]
	v_pk_fma_f32 v[144:145], v[182:183], v[166:167], v[134:135] op_sel_hi:[1,0,1]
	v_pk_mul_f32 v[136:137], v[230:231], v[136:137] op_sel_hi:[1,0]
	v_mov_b32_e32 v133, v141
	v_pk_add_f32 v[130:131], v[138:139], v[130:131]
	s_wait_loadcnt 0x2
	v_pk_mul_f32 v[142:143], v[186:187], v[170:171] op_sel:[1,1] op_sel_hi:[0,1]
	v_mov_b32_e32 v138, v173
	v_pk_fma_f32 v[134:135], v[182:183], v[166:167], v[134:135] neg_lo:[0,0,1] neg_hi:[0,0,1]
	v_pk_fma_f32 v[140:141], v[184:185], v[168:169], v[136:137] op_sel_hi:[1,0,1]
	v_mov_b32_e32 v135, v145
	v_pk_add_f32 v[130:131], v[130:131], v[132:133]
	v_pk_fma_f32 v[132:133], v[186:187], v[170:171], v[142:143] op_sel_hi:[1,0,1]
	v_pk_mul_f32 v[138:139], v[232:233], v[138:139] op_sel_hi:[1,0]
	v_pk_fma_f32 v[136:137], v[184:185], v[168:169], v[136:137] neg_lo:[0,0,1] neg_hi:[0,0,1]
	v_mov_b32_e32 v137, v141
	v_pk_add_f32 v[130:131], v[130:131], v[134:135]
	v_pk_fma_f32 v[140:141], v[186:187], v[170:171], v[142:143] neg_lo:[0,0,1] neg_hi:[0,0,1]
	v_mov_b32_e32 v141, v133
	v_pk_fma_f32 v[132:133], v[188:189], v[172:173], v[138:139] op_sel_hi:[1,0,1]
	s_wait_loadcnt 0x1
	v_pk_mul_f32 v[134:135], v[190:191], v[174:175] op_sel:[1,1] op_sel_hi:[0,1]
	v_pk_add_f32 v[130:131], v[130:131], v[136:137]
	v_mov_b32_e32 v132, v177
	v_pk_fma_f32 v[138:139], v[188:189], v[172:173], v[138:139] neg_lo:[0,0,1] neg_hi:[0,0,1]
	s_delay_alu instid0(VALU_DEP_4)
	v_pk_fma_f32 v[136:137], v[190:191], v[174:175], v[134:135] op_sel_hi:[1,0,1]
	v_mov_b32_e32 v139, v133
	v_pk_add_f32 v[130:131], v[130:131], v[140:141]
	v_pk_mul_f32 v[132:133], v[234:235], v[132:133] op_sel_hi:[1,0]
	v_pk_fma_f32 v[134:135], v[190:191], v[174:175], v[134:135] neg_lo:[0,0,1] neg_hi:[0,0,1]
	v_mov_b32_e32 v135, v137
	s_delay_alu instid0(VALU_DEP_4) | instskip(NEXT) | instid1(VALU_DEP_4)
	v_pk_add_f32 v[130:131], v[130:131], v[138:139]
	v_pk_fma_f32 v[136:137], v[192:193], v[176:177], v[132:133] op_sel_hi:[1,0,1]
	v_pk_fma_f32 v[132:133], v[192:193], v[176:177], v[132:133] neg_lo:[0,0,1] neg_hi:[0,0,1]
	s_delay_alu instid0(VALU_DEP_3) | instskip(NEXT) | instid1(VALU_DEP_3)
	v_pk_add_f32 v[130:131], v[130:131], v[134:135]
	v_mov_b32_e32 v133, v137
	s_delay_alu instid0(VALU_DEP_1) | instskip(SKIP_1) | instid1(VALU_DEP_1)
	v_pk_add_f32 v[130:131], v[130:131], v[132:133]
	s_wait_loadcnt 0x0
	v_pk_add_f32 v[130:131], v[226:227], v[130:131] neg_lo:[0,1] neg_hi:[0,1]
	scratch_store_b64 off, v[130:131], off offset:312
	s_wait_xcnt 0x0
	v_cmpx_lt_u32_e32 38, v0
	s_cbranch_execz .LBB127_321
; %bb.320:
	scratch_load_b64 v[130:131], off, off offset:304
	v_mov_b64_e32 v[132:133], 0
	scratch_store_b64 off, v[132:133], off offset:304
	s_wait_loadcnt 0x0
	ds_store_b64 v1, v[130:131]
.LBB127_321:
	s_wait_xcnt 0x0
	s_or_b32 exec_lo, exec_lo, s0
	s_wait_storecnt_dscnt 0x0
	s_barrier_signal -1
	s_barrier_wait -1
	s_clause 0xd
	scratch_load_b128 v[130:133], off, off offset:312
	scratch_load_b128 v[134:137], off, off offset:328
	;; [unrolled: 1-line block ×12, first 2 shown]
	scratch_load_b64 v[226:227], off, off offset:504
	scratch_load_b64 v[228:229], off, off offset:304
	v_mov_b32_e32 v7, 0
	ds_load_2addr_b64 v[178:181], v7 offset0:119 offset1:120
	ds_load_2addr_b64 v[182:185], v7 offset0:121 offset1:122
	;; [unrolled: 1-line block ×12, first 2 shown]
	ds_load_b64 v[230:231], v7 offset:1016
	s_mov_b32 s0, exec_lo
	s_wait_dscnt 0xc
	v_dual_mov_b32 v232, v181 :: v_dual_mov_b32 v233, v180
	s_wait_dscnt 0x9
	v_dual_mov_b32 v234, v185 :: v_dual_mov_b32 v239, v192
	v_dual_mov_b32 v235, v184 :: v_dual_mov_b32 v236, v189
	;; [unrolled: 1-line block ×3, first 2 shown]
	s_wait_loadcnt_dscnt 0xd08
	v_dual_mul_f32 v9, v194, v131 :: v_dual_mul_f32 v39, v195, v131
	v_dual_mul_f32 v41, v197, v133 :: v_dual_mul_f32 v11, v196, v133
	s_wait_loadcnt_dscnt 0xc07
	v_mul_f32_e32 v13, v198, v135
	s_wait_loadcnt_dscnt 0xa05
	v_dual_mul_f32 v51, v207, v143 :: v_dual_fma_f32 v39, v194, v130, -v39
	v_dual_fmac_f32 v9, v195, v130 :: v_dual_mul_f32 v53, v209, v145
	v_dual_mul_f32 v43, v199, v135 :: v_dual_mul_f32 v45, v201, v137
	v_dual_fmac_f32 v11, v197, v132 :: v_dual_fma_f32 v41, v196, v132, -v41
	s_delay_alu instid0(VALU_DEP_3) | instskip(SKIP_3) | instid1(VALU_DEP_3)
	v_dual_add_f32 v9, 0, v9 :: v_dual_add_f32 v39, 0, v39
	v_dual_mul_f32 v15, v200, v137 :: v_dual_mul_f32 v17, v202, v139
	s_wait_loadcnt_dscnt 0x904
	v_dual_mul_f32 v55, v211, v147 :: v_dual_fma_f32 v43, v198, v134, -v43
	v_dual_fmac_f32 v13, v199, v134 :: v_dual_add_f32 v9, v9, v11
	s_delay_alu instid0(VALU_DEP_3) | instskip(SKIP_2) | instid1(VALU_DEP_3)
	v_dual_add_f32 v11, v39, v41 :: v_dual_fmac_f32 v15, v201, v136
	v_dual_mul_f32 v47, v203, v139 :: v_dual_mul_f32 v49, v205, v141
	v_dual_mul_f32 v39, v213, v149 :: v_dual_fma_f32 v41, v200, v136, -v45
	v_dual_add_f32 v9, v9, v13 :: v_dual_add_f32 v11, v11, v43
	v_dual_mul_f32 v19, v204, v141 :: v_dual_mul_f32 v21, v206, v143
	s_wait_loadcnt_dscnt 0x803
	v_dual_mul_f32 v13, v215, v151 :: v_dual_fma_f32 v43, v202, v138, -v47
	s_delay_alu instid0(VALU_DEP_3) | instskip(NEXT) | instid1(VALU_DEP_3)
	v_dual_fmac_f32 v17, v203, v138 :: v_dual_add_f32 v9, v9, v15
	v_dual_add_f32 v11, v11, v41 :: v_dual_fmac_f32 v19, v205, v140
	v_dual_mul_f32 v15, v217, v153 :: v_dual_fma_f32 v41, v204, v140, -v49
	s_delay_alu instid0(VALU_DEP_2) | instskip(SKIP_3) | instid1(VALU_DEP_3)
	v_dual_add_f32 v9, v9, v17 :: v_dual_add_f32 v11, v11, v43
	v_dual_mul_f32 v23, v208, v145 :: v_dual_mul_f32 v25, v210, v147
	s_wait_loadcnt_dscnt 0x702
	v_dual_mul_f32 v17, v219, v155 :: v_dual_fma_f32 v43, v206, v142, -v51
	v_dual_fmac_f32 v21, v207, v142 :: v_dual_add_f32 v9, v9, v19
	s_delay_alu instid0(VALU_DEP_3) | instskip(SKIP_1) | instid1(VALU_DEP_2)
	v_dual_add_f32 v11, v11, v41 :: v_dual_fmac_f32 v23, v209, v144
	v_dual_mul_f32 v19, v221, v157 :: v_dual_fma_f32 v41, v208, v144, -v53
	v_dual_add_f32 v9, v9, v21 :: v_dual_add_f32 v11, v11, v43
	v_dual_mul_f32 v27, v212, v149 :: v_dual_mul_f32 v29, v214, v151
	s_wait_loadcnt_dscnt 0x601
	v_dual_mul_f32 v21, v223, v159 :: v_dual_fma_f32 v43, v210, v146, -v55
	s_delay_alu instid0(VALU_DEP_3) | instskip(NEXT) | instid1(VALU_DEP_3)
	v_dual_fmac_f32 v25, v211, v146 :: v_dual_add_f32 v9, v9, v23
	v_dual_add_f32 v11, v11, v41 :: v_dual_fmac_f32 v27, v213, v148
	v_dual_mul_f32 v23, v225, v161 :: v_dual_fma_f32 v39, v212, v148, -v39
	s_delay_alu instid0(VALU_DEP_2) | instskip(SKIP_3) | instid1(VALU_DEP_3)
	v_dual_add_f32 v9, v9, v25 :: v_dual_add_f32 v11, v11, v43
	v_dual_mul_f32 v31, v216, v153 :: v_dual_mul_f32 v33, v218, v155
	s_wait_loadcnt 0x5
	v_dual_mul_f32 v25, v179, v163 :: v_dual_fma_f32 v13, v214, v150, -v13
	v_dual_fmac_f32 v29, v215, v150 :: v_dual_add_f32 v9, v9, v27
	v_dual_add_f32 v11, v11, v39 :: v_dual_mov_b32 v130, v165
	v_fmac_f32_e32 v31, v217, v152
	s_delay_alu instid0(VALU_DEP_3) | instskip(NEXT) | instid1(VALU_DEP_3)
	v_dual_fma_f32 v15, v216, v152, -v15 :: v_dual_add_f32 v9, v9, v29
	v_add_f32_e32 v11, v11, v13
	v_dual_mul_f32 v35, v220, v157 :: v_dual_mul_f32 v37, v222, v159
	s_delay_alu instid0(VALU_DEP_3) | instskip(NEXT) | instid1(VALU_DEP_3)
	v_dual_fmac_f32 v33, v219, v154 :: v_dual_add_f32 v9, v9, v31
	v_dual_fma_f32 v13, v218, v154, -v17 :: v_dual_add_f32 v11, v11, v15
	s_wait_loadcnt 0x4
	v_dual_mov_b32 v134, v169 :: v_dual_fma_f32 v15, v220, v156, -v19
	v_fmac_f32_e32 v35, v221, v156
	v_dual_add_f32 v9, v9, v33 :: v_dual_fmac_f32 v37, v223, v158
	v_add_f32_e32 v11, v11, v13
	v_dual_mul_f32 v241, v224, v161 :: v_dual_mul_f32 v243, v178, v163
	s_delay_alu instid0(VALU_DEP_3) | instskip(NEXT) | instid1(VALU_DEP_2)
	v_dual_fma_f32 v13, v222, v158, -v21 :: v_dual_add_f32 v9, v9, v35
	v_dual_add_f32 v11, v11, v15 :: v_dual_fmac_f32 v241, v225, v160
	v_fma_f32 v240, v224, v160, -v23
	v_pk_mul_f32 v[130:131], v[232:233], v[130:131] op_sel_hi:[1,0]
	s_delay_alu instid0(VALU_DEP_4)
	v_add_f32_e32 v139, v9, v37
	s_wait_loadcnt 0x3
	v_dual_add_f32 v138, v11, v13 :: v_dual_mov_b32 v140, v173
	v_pk_mul_f32 v[132:133], v[182:183], v[166:167] op_sel:[1,1] op_sel_hi:[0,1]
	v_dual_fmac_f32 v243, v179, v162 :: v_dual_fma_f32 v242, v178, v162, -v25
	v_pk_fma_f32 v[142:143], v[180:181], v[164:165], v[130:131] op_sel_hi:[1,0,1]
	s_delay_alu instid0(VALU_DEP_4)
	v_pk_add_f32 v[138:139], v[138:139], v[240:241]
	v_pk_fma_f32 v[130:131], v[180:181], v[164:165], v[130:131] neg_lo:[0,0,1] neg_hi:[0,0,1]
	v_pk_fma_f32 v[144:145], v[182:183], v[166:167], v[132:133] op_sel_hi:[1,0,1]
	v_pk_mul_f32 v[134:135], v[234:235], v[134:135] op_sel_hi:[1,0]
	v_mov_b32_e32 v131, v143
	v_pk_add_f32 v[138:139], v[138:139], v[242:243]
	v_pk_fma_f32 v[132:133], v[182:183], v[166:167], v[132:133] neg_lo:[0,0,1] neg_hi:[0,0,1]
	v_pk_mul_f32 v[136:137], v[186:187], v[170:171] op_sel:[1,1] op_sel_hi:[0,1]
	v_mov_b32_e32 v133, v145
	v_pk_fma_f32 v[144:145], v[184:185], v[168:169], v[134:135] op_sel_hi:[1,0,1]
	v_pk_add_f32 v[130:131], v[138:139], v[130:131]
	v_pk_fma_f32 v[134:135], v[184:185], v[168:169], v[134:135] neg_lo:[0,0,1] neg_hi:[0,0,1]
	v_pk_fma_f32 v[138:139], v[186:187], v[170:171], v[136:137] op_sel_hi:[1,0,1]
	v_pk_mul_f32 v[140:141], v[236:237], v[140:141] op_sel_hi:[1,0]
	v_mov_b32_e32 v135, v145
	v_pk_add_f32 v[130:131], v[130:131], v[132:133]
	v_pk_fma_f32 v[136:137], v[186:187], v[170:171], v[136:137] neg_lo:[0,0,1] neg_hi:[0,0,1]
	s_wait_loadcnt 0x2
	v_pk_mul_f32 v[142:143], v[190:191], v[174:175] op_sel:[1,1] op_sel_hi:[0,1]
	v_dual_mov_b32 v132, v177 :: v_dual_mov_b32 v137, v139
	v_pk_fma_f32 v[138:139], v[188:189], v[172:173], v[140:141] op_sel_hi:[1,0,1]
	v_pk_add_f32 v[130:131], v[130:131], v[134:135]
	v_pk_fma_f32 v[140:141], v[188:189], v[172:173], v[140:141] neg_lo:[0,0,1] neg_hi:[0,0,1]
	v_pk_fma_f32 v[134:135], v[190:191], v[174:175], v[142:143] op_sel_hi:[1,0,1]
	v_pk_mul_f32 v[132:133], v[238:239], v[132:133] op_sel_hi:[1,0]
	v_mov_b32_e32 v141, v139
	v_pk_add_f32 v[130:131], v[130:131], v[136:137]
	v_pk_fma_f32 v[136:137], v[190:191], v[174:175], v[142:143] neg_lo:[0,0,1] neg_hi:[0,0,1]
	v_mov_b32_e32 v137, v135
	v_pk_fma_f32 v[134:135], v[192:193], v[176:177], v[132:133] op_sel_hi:[1,0,1]
	s_wait_loadcnt_dscnt 0x100
	v_pk_mul_f32 v[138:139], v[230:231], v[226:227] op_sel:[1,1] op_sel_hi:[0,1]
	v_pk_add_f32 v[130:131], v[130:131], v[140:141]
	v_pk_fma_f32 v[132:133], v[192:193], v[176:177], v[132:133] neg_lo:[0,0,1] neg_hi:[0,0,1]
	v_mov_b32_e32 v133, v135
	s_delay_alu instid0(VALU_DEP_4) | instskip(NEXT) | instid1(VALU_DEP_4)
	v_pk_fma_f32 v[134:135], v[230:231], v[226:227], v[138:139] op_sel_hi:[1,0,1]
	v_pk_add_f32 v[130:131], v[130:131], v[136:137]
	v_pk_fma_f32 v[136:137], v[230:231], v[226:227], v[138:139] neg_lo:[0,0,1] neg_hi:[0,0,1]
	s_delay_alu instid0(VALU_DEP_3) | instskip(NEXT) | instid1(VALU_DEP_3)
	v_mov_b32_e32 v137, v135
	v_pk_add_f32 v[130:131], v[130:131], v[132:133]
	s_delay_alu instid0(VALU_DEP_1) | instskip(SKIP_1) | instid1(VALU_DEP_1)
	v_pk_add_f32 v[130:131], v[130:131], v[136:137]
	s_wait_loadcnt 0x0
	v_pk_add_f32 v[130:131], v[228:229], v[130:131] neg_lo:[0,1] neg_hi:[0,1]
	scratch_store_b64 off, v[130:131], off offset:304
	s_wait_xcnt 0x0
	v_cmpx_lt_u32_e32 37, v0
	s_cbranch_execz .LBB127_323
; %bb.322:
	scratch_load_b64 v[130:131], off, off offset:296
	v_mov_b64_e32 v[132:133], 0
	scratch_store_b64 off, v[132:133], off offset:296
	s_wait_loadcnt 0x0
	ds_store_b64 v1, v[130:131]
.LBB127_323:
	s_wait_xcnt 0x0
	s_or_b32 exec_lo, exec_lo, s0
	s_wait_storecnt_dscnt 0x0
	s_barrier_signal -1
	s_barrier_wait -1
	s_clause 0xd
	scratch_load_b128 v[130:133], off, off offset:304
	scratch_load_b128 v[134:137], off, off offset:320
	scratch_load_b128 v[138:141], off, off offset:336
	scratch_load_b128 v[142:145], off, off offset:352
	scratch_load_b128 v[146:149], off, off offset:368
	scratch_load_b128 v[150:153], off, off offset:384
	scratch_load_b128 v[154:157], off, off offset:400
	scratch_load_b128 v[158:161], off, off offset:416
	scratch_load_b128 v[162:165], off, off offset:432
	scratch_load_b128 v[166:169], off, off offset:448
	scratch_load_b128 v[170:173], off, off offset:464
	scratch_load_b128 v[174:177], off, off offset:480
	scratch_load_b128 v[178:181], off, off offset:496
	scratch_load_b64 v[234:235], off, off offset:296
	ds_load_b128 v[182:185], v7 offset:960
	ds_load_b128 v[186:189], v7 offset:976
	;; [unrolled: 1-line block ×13, first 2 shown]
	s_mov_b32 s0, exec_lo
	s_wait_dscnt 0xc
	v_dual_mov_b32 v236, v185 :: v_dual_mov_b32 v237, v184
	s_wait_dscnt 0xb
	v_dual_mov_b32 v238, v189 :: v_dual_mov_b32 v239, v188
	;; [unrolled: 2-line block ×4, first 2 shown]
	s_wait_loadcnt_dscnt 0xd08
	v_dual_mul_f32 v7, v198, v131 :: v_dual_mul_f32 v9, v200, v133
	v_dual_mul_f32 v39, v199, v131 :: v_dual_mul_f32 v41, v201, v133
	s_wait_loadcnt_dscnt 0xc07
	v_dual_mul_f32 v11, v202, v135 :: v_dual_mul_f32 v13, v204, v137
	s_delay_alu instid0(VALU_DEP_3) | instskip(SKIP_3) | instid1(VALU_DEP_3)
	v_dual_fmac_f32 v7, v199, v130 :: v_dual_fmac_f32 v9, v201, v132
	s_wait_loadcnt_dscnt 0xa05
	v_dual_fma_f32 v39, v198, v130, -v39 :: v_dual_mul_f32 v51, v211, v143
	v_dual_mul_f32 v43, v203, v135 :: v_dual_mul_f32 v45, v205, v137
	v_dual_fma_f32 v41, v200, v132, -v41 :: v_dual_add_f32 v7, 0, v7
	s_delay_alu instid0(VALU_DEP_3) | instskip(SKIP_1) | instid1(VALU_DEP_3)
	v_dual_add_f32 v39, 0, v39 :: v_dual_mul_f32 v53, v213, v145
	v_dual_fmac_f32 v11, v203, v134 :: v_dual_fmac_f32 v13, v205, v136
	v_dual_fma_f32 v43, v202, v134, -v43 :: v_dual_add_f32 v7, v7, v9
	s_delay_alu instid0(VALU_DEP_3) | instskip(SKIP_2) | instid1(VALU_DEP_4)
	v_dual_add_f32 v9, v39, v41 :: v_dual_fma_f32 v41, v204, v136, -v45
	v_dual_mul_f32 v15, v206, v139 :: v_dual_mul_f32 v17, v208, v141
	v_dual_mul_f32 v47, v207, v139 :: v_dual_mul_f32 v49, v209, v141
	v_add_f32_e32 v7, v7, v11
	s_delay_alu instid0(VALU_DEP_3) | instskip(NEXT) | instid1(VALU_DEP_3)
	v_dual_add_f32 v9, v9, v43 :: v_dual_fmac_f32 v15, v207, v138
	v_fma_f32 v43, v206, v138, -v47
	v_dual_mul_f32 v19, v210, v143 :: v_dual_mul_f32 v21, v212, v145
	s_delay_alu instid0(VALU_DEP_4) | instskip(SKIP_2) | instid1(VALU_DEP_2)
	v_dual_add_f32 v7, v7, v13 :: v_dual_fmac_f32 v17, v209, v140
	s_wait_loadcnt_dscnt 0x802
	v_dual_add_f32 v9, v9, v41 :: v_dual_mul_f32 v13, v223, v151
	v_dual_fma_f32 v41, v208, v140, -v49 :: v_dual_add_f32 v7, v7, v15
	v_mul_f32_e32 v15, v225, v153
	s_delay_alu instid0(VALU_DEP_3) | instskip(NEXT) | instid1(VALU_DEP_3)
	v_dual_add_f32 v9, v9, v43 :: v_dual_fmac_f32 v19, v211, v142
	v_dual_fma_f32 v43, v210, v142, -v51 :: v_dual_add_f32 v7, v7, v17
	v_fmac_f32_e32 v21, v213, v144
	s_wait_loadcnt_dscnt 0x701
	s_delay_alu instid0(VALU_DEP_3) | instskip(SKIP_3) | instid1(VALU_DEP_3)
	v_dual_add_f32 v9, v9, v41 :: v_dual_mul_f32 v17, v227, v155
	v_dual_mul_f32 v23, v218, v147 :: v_dual_mul_f32 v25, v220, v149
	v_dual_mul_f32 v39, v219, v147 :: v_dual_mul_f32 v11, v221, v149
	v_dual_fma_f32 v41, v212, v144, -v53 :: v_dual_add_f32 v7, v7, v19
	v_dual_add_f32 v9, v9, v43 :: v_dual_fmac_f32 v23, v219, v146
	s_delay_alu instid0(VALU_DEP_3) | instskip(NEXT) | instid1(VALU_DEP_3)
	v_dual_mul_f32 v19, v229, v157 :: v_dual_fma_f32 v39, v218, v146, -v39
	v_dual_add_f32 v7, v7, v21 :: v_dual_fmac_f32 v25, v221, v148
	s_wait_loadcnt_dscnt 0x600
	s_delay_alu instid0(VALU_DEP_3) | instskip(SKIP_1) | instid1(VALU_DEP_3)
	v_dual_add_f32 v9, v9, v41 :: v_dual_mul_f32 v21, v231, v159
	v_dual_mul_f32 v27, v222, v151 :: v_dual_mul_f32 v29, v224, v153
	v_dual_fma_f32 v11, v220, v148, -v11 :: v_dual_add_f32 v7, v7, v23
	s_delay_alu instid0(VALU_DEP_2) | instskip(SKIP_1) | instid1(VALU_DEP_2)
	v_dual_add_f32 v9, v9, v39 :: v_dual_fmac_f32 v27, v223, v150
	v_dual_mul_f32 v23, v233, v161 :: v_dual_fma_f32 v13, v222, v150, -v13
	v_dual_add_f32 v7, v7, v25 :: v_dual_add_f32 v9, v9, v11
	v_dual_mul_f32 v31, v226, v155 :: v_dual_mul_f32 v33, v228, v157
	s_wait_loadcnt 0x5
	v_dual_mul_f32 v11, v215, v163 :: v_dual_fmac_f32 v29, v225, v152
	s_delay_alu instid0(VALU_DEP_3) | instskip(NEXT) | instid1(VALU_DEP_3)
	v_dual_fma_f32 v15, v224, v152, -v15 :: v_dual_add_f32 v7, v7, v27
	v_dual_add_f32 v9, v9, v13 :: v_dual_fmac_f32 v31, v227, v154
	v_dual_mul_f32 v13, v217, v165 :: v_dual_fma_f32 v17, v226, v154, -v17
	s_delay_alu instid0(VALU_DEP_2) | instskip(SKIP_2) | instid1(VALU_DEP_3)
	v_dual_add_f32 v7, v7, v29 :: v_dual_add_f32 v9, v9, v15
	v_dual_mul_f32 v35, v230, v159 :: v_dual_mul_f32 v37, v232, v161
	v_dual_fmac_f32 v33, v229, v156 :: v_dual_fma_f32 v15, v228, v156, -v19
	v_dual_add_f32 v7, v7, v31 :: v_dual_add_f32 v9, v9, v17
	s_wait_loadcnt 0x4
	s_delay_alu instid0(VALU_DEP_3) | instskip(NEXT) | instid1(VALU_DEP_2)
	v_dual_mov_b32 v132, v169 :: v_dual_fmac_f32 v35, v231, v158
	v_dual_fma_f32 v17, v230, v158, -v21 :: v_dual_add_f32 v7, v7, v33
	s_delay_alu instid0(VALU_DEP_3) | instskip(SKIP_1) | instid1(VALU_DEP_3)
	v_dual_add_f32 v9, v9, v15 :: v_dual_fma_f32 v15, v232, v160, -v23
	v_dual_mul_f32 v245, v214, v163 :: v_dual_mul_f32 v247, v216, v165
	v_dual_fmac_f32 v37, v233, v160 :: v_dual_add_f32 v7, v7, v35
	s_delay_alu instid0(VALU_DEP_2) | instskip(SKIP_3) | instid1(VALU_DEP_3)
	v_dual_add_f32 v9, v9, v17 :: v_dual_fmac_f32 v245, v215, v162
	v_pk_mul_f32 v[130:131], v[182:183], v[166:167] op_sel:[1,1] op_sel_hi:[0,1]
	s_wait_loadcnt 0x3
	v_dual_mov_b32 v136, v173 :: v_dual_fma_f32 v244, v214, v162, -v11
	v_dual_add_f32 v139, v7, v37 :: v_dual_add_f32 v138, v9, v15
	v_dual_fmac_f32 v247, v217, v164 :: v_dual_fma_f32 v246, v216, v164, -v13
	v_pk_fma_f32 v[140:141], v[182:183], v[166:167], v[130:131] op_sel_hi:[1,0,1]
	v_pk_mul_f32 v[132:133], v[236:237], v[132:133] op_sel_hi:[1,0]
	s_delay_alu instid0(VALU_DEP_4)
	v_pk_add_f32 v[138:139], v[138:139], v[244:245]
	v_pk_fma_f32 v[130:131], v[182:183], v[166:167], v[130:131] neg_lo:[0,0,1] neg_hi:[0,0,1]
	v_pk_mul_f32 v[134:135], v[186:187], v[170:171] op_sel:[1,1] op_sel_hi:[0,1]
	v_mov_b32_e32 v131, v141
	v_pk_fma_f32 v[140:141], v[184:185], v[168:169], v[132:133] op_sel_hi:[1,0,1]
	v_pk_add_f32 v[138:139], v[138:139], v[246:247]
	v_pk_fma_f32 v[132:133], v[184:185], v[168:169], v[132:133] neg_lo:[0,0,1] neg_hi:[0,0,1]
	v_pk_fma_f32 v[144:145], v[186:187], v[170:171], v[134:135] op_sel_hi:[1,0,1]
	v_pk_mul_f32 v[136:137], v[238:239], v[136:137] op_sel_hi:[1,0]
	v_mov_b32_e32 v133, v141
	v_pk_add_f32 v[130:131], v[138:139], v[130:131]
	s_wait_loadcnt 0x2
	v_pk_mul_f32 v[142:143], v[190:191], v[174:175] op_sel:[1,1] op_sel_hi:[0,1]
	v_mov_b32_e32 v138, v177
	v_pk_fma_f32 v[134:135], v[186:187], v[170:171], v[134:135] neg_lo:[0,0,1] neg_hi:[0,0,1]
	v_mov_b32_e32 v135, v145
	v_pk_fma_f32 v[140:141], v[188:189], v[172:173], v[136:137] op_sel_hi:[1,0,1]
	v_pk_add_f32 v[130:131], v[130:131], v[132:133]
	v_pk_fma_f32 v[132:133], v[190:191], v[174:175], v[142:143] op_sel_hi:[1,0,1]
	v_pk_mul_f32 v[138:139], v[240:241], v[138:139] op_sel_hi:[1,0]
	v_pk_fma_f32 v[136:137], v[188:189], v[172:173], v[136:137] neg_lo:[0,0,1] neg_hi:[0,0,1]
	v_mov_b32_e32 v137, v141
	v_pk_add_f32 v[130:131], v[130:131], v[134:135]
	v_pk_fma_f32 v[140:141], v[190:191], v[174:175], v[142:143] neg_lo:[0,0,1] neg_hi:[0,0,1]
	v_mov_b32_e32 v141, v133
	v_pk_fma_f32 v[132:133], v[192:193], v[176:177], v[138:139] op_sel_hi:[1,0,1]
	s_wait_loadcnt 0x1
	v_pk_mul_f32 v[134:135], v[194:195], v[178:179] op_sel:[1,1] op_sel_hi:[0,1]
	v_pk_add_f32 v[130:131], v[130:131], v[136:137]
	v_mov_b32_e32 v132, v181
	v_pk_fma_f32 v[138:139], v[192:193], v[176:177], v[138:139] neg_lo:[0,0,1] neg_hi:[0,0,1]
	v_mov_b32_e32 v139, v133
	v_pk_fma_f32 v[136:137], v[194:195], v[178:179], v[134:135] op_sel_hi:[1,0,1]
	v_pk_add_f32 v[130:131], v[130:131], v[140:141]
	v_pk_mul_f32 v[132:133], v[242:243], v[132:133] op_sel_hi:[1,0]
	v_pk_fma_f32 v[134:135], v[194:195], v[178:179], v[134:135] neg_lo:[0,0,1] neg_hi:[0,0,1]
	s_delay_alu instid0(VALU_DEP_4) | instskip(NEXT) | instid1(VALU_DEP_4)
	v_mov_b32_e32 v135, v137
	v_pk_add_f32 v[130:131], v[130:131], v[138:139]
	s_delay_alu instid0(VALU_DEP_4) | instskip(SKIP_1) | instid1(VALU_DEP_2)
	v_pk_fma_f32 v[136:137], v[196:197], v[180:181], v[132:133] op_sel_hi:[1,0,1]
	v_pk_fma_f32 v[132:133], v[196:197], v[180:181], v[132:133] neg_lo:[0,0,1] neg_hi:[0,0,1]
	v_mov_b32_e32 v133, v137
	s_delay_alu instid0(VALU_DEP_4) | instskip(NEXT) | instid1(VALU_DEP_1)
	v_pk_add_f32 v[130:131], v[130:131], v[134:135]
	v_pk_add_f32 v[130:131], v[130:131], v[132:133]
	s_wait_loadcnt 0x0
	s_delay_alu instid0(VALU_DEP_1)
	v_pk_add_f32 v[130:131], v[234:235], v[130:131] neg_lo:[0,1] neg_hi:[0,1]
	scratch_store_b64 off, v[130:131], off offset:296
	s_wait_xcnt 0x0
	v_cmpx_lt_u32_e32 36, v0
	s_cbranch_execz .LBB127_325
; %bb.324:
	scratch_load_b64 v[130:131], off, off offset:288
	v_mov_b64_e32 v[132:133], 0
	scratch_store_b64 off, v[132:133], off offset:288
	s_wait_loadcnt 0x0
	ds_store_b64 v1, v[130:131]
.LBB127_325:
	s_wait_xcnt 0x0
	s_or_b32 exec_lo, exec_lo, s0
	s_wait_storecnt_dscnt 0x0
	s_barrier_signal -1
	s_barrier_wait -1
	s_clause 0xe
	scratch_load_b128 v[130:133], off, off offset:296
	scratch_load_b128 v[134:137], off, off offset:312
	;; [unrolled: 1-line block ×13, first 2 shown]
	scratch_load_b64 v[234:235], off, off offset:504
	scratch_load_b64 v[236:237], off, off offset:288
	v_mov_b32_e32 v7, 0
	ds_load_2addr_b64 v[182:185], v7 offset0:119 offset1:120
	ds_load_2addr_b64 v[186:189], v7 offset0:121 offset1:122
	;; [unrolled: 1-line block ×13, first 2 shown]
	ds_load_b64 v[238:239], v7 offset:1016
	s_mov_b32 s0, exec_lo
	s_wait_dscnt 0xd
	v_dual_mov_b32 v240, v185 :: v_dual_mov_b32 v241, v184
	s_wait_dscnt 0xa
	v_dual_mov_b32 v242, v189 :: v_dual_mov_b32 v247, v196
	v_dual_mov_b32 v243, v188 :: v_dual_mov_b32 v244, v193
	;; [unrolled: 1-line block ×3, first 2 shown]
	s_wait_loadcnt_dscnt 0xe09
	v_dual_mul_f32 v9, v198, v131 :: v_dual_mul_f32 v43, v199, v131
	v_dual_mul_f32 v45, v201, v133 :: v_dual_mul_f32 v11, v200, v133
	s_wait_loadcnt_dscnt 0xd08
	v_mul_f32_e32 v13, v202, v135
	s_wait_loadcnt_dscnt 0xb05
	v_dual_mul_f32 v55, v215, v143 :: v_dual_fma_f32 v43, v198, v130, -v43
	v_dual_fmac_f32 v9, v199, v130 :: v_dual_mul_f32 v57, v217, v145
	v_dual_mul_f32 v47, v203, v135 :: v_dual_mul_f32 v49, v205, v137
	v_dual_fmac_f32 v11, v201, v132 :: v_dual_fma_f32 v45, v200, v132, -v45
	s_delay_alu instid0(VALU_DEP_3) | instskip(SKIP_3) | instid1(VALU_DEP_3)
	v_dual_add_f32 v9, 0, v9 :: v_dual_add_f32 v43, 0, v43
	v_dual_mul_f32 v15, v204, v137 :: v_dual_mul_f32 v17, v206, v139
	s_wait_loadcnt_dscnt 0xa04
	v_dual_mul_f32 v59, v219, v147 :: v_dual_fma_f32 v47, v202, v134, -v47
	v_dual_fmac_f32 v13, v203, v134 :: v_dual_add_f32 v9, v9, v11
	s_delay_alu instid0(VALU_DEP_3) | instskip(SKIP_2) | instid1(VALU_DEP_3)
	v_dual_add_f32 v11, v43, v45 :: v_dual_fmac_f32 v15, v205, v136
	v_dual_mul_f32 v51, v207, v139 :: v_dual_mul_f32 v53, v209, v141
	v_dual_mul_f32 v43, v221, v149 :: v_dual_fma_f32 v45, v204, v136, -v49
	v_dual_add_f32 v9, v9, v13 :: v_dual_add_f32 v11, v11, v47
	v_dual_mul_f32 v19, v208, v141 :: v_dual_mul_f32 v21, v214, v143
	s_wait_loadcnt_dscnt 0x903
	v_dual_mul_f32 v13, v223, v151 :: v_dual_fma_f32 v47, v206, v138, -v51
	s_delay_alu instid0(VALU_DEP_3) | instskip(NEXT) | instid1(VALU_DEP_3)
	v_dual_fmac_f32 v17, v207, v138 :: v_dual_add_f32 v9, v9, v15
	v_dual_add_f32 v11, v11, v45 :: v_dual_fmac_f32 v19, v209, v140
	v_dual_mul_f32 v15, v225, v153 :: v_dual_fma_f32 v45, v208, v140, -v53
	s_delay_alu instid0(VALU_DEP_2) | instskip(SKIP_3) | instid1(VALU_DEP_3)
	v_dual_add_f32 v9, v9, v17 :: v_dual_add_f32 v11, v11, v47
	v_dual_mul_f32 v23, v216, v145 :: v_dual_mul_f32 v25, v218, v147
	s_wait_loadcnt_dscnt 0x802
	v_dual_mul_f32 v17, v227, v155 :: v_dual_fma_f32 v47, v214, v142, -v55
	v_dual_fmac_f32 v21, v215, v142 :: v_dual_add_f32 v9, v9, v19
	s_delay_alu instid0(VALU_DEP_3) | instskip(SKIP_1) | instid1(VALU_DEP_2)
	v_dual_add_f32 v11, v11, v45 :: v_dual_fmac_f32 v23, v217, v144
	v_dual_mul_f32 v19, v229, v157 :: v_dual_fma_f32 v45, v216, v144, -v57
	v_dual_add_f32 v9, v9, v21 :: v_dual_add_f32 v11, v11, v47
	v_dual_mul_f32 v27, v220, v149 :: v_dual_mul_f32 v29, v222, v151
	s_wait_loadcnt_dscnt 0x701
	v_dual_mul_f32 v21, v231, v159 :: v_dual_fma_f32 v47, v218, v146, -v59
	s_delay_alu instid0(VALU_DEP_3) | instskip(NEXT) | instid1(VALU_DEP_3)
	v_dual_fmac_f32 v25, v219, v146 :: v_dual_add_f32 v9, v9, v23
	v_dual_add_f32 v11, v11, v45 :: v_dual_fmac_f32 v27, v221, v148
	v_dual_mul_f32 v23, v233, v161 :: v_dual_fma_f32 v43, v220, v148, -v43
	s_delay_alu instid0(VALU_DEP_2) | instskip(SKIP_3) | instid1(VALU_DEP_3)
	v_dual_add_f32 v9, v9, v25 :: v_dual_add_f32 v11, v11, v47
	v_dual_mul_f32 v31, v224, v153 :: v_dual_mul_f32 v33, v226, v155
	s_wait_loadcnt 0x6
	v_dual_mul_f32 v25, v211, v163 :: v_dual_fma_f32 v13, v222, v150, -v13
	v_dual_fmac_f32 v29, v223, v150 :: v_dual_add_f32 v9, v9, v27
	v_dual_add_f32 v11, v11, v43 :: v_dual_mul_f32 v27, v213, v165
	v_fmac_f32_e32 v31, v225, v152
	s_delay_alu instid0(VALU_DEP_3) | instskip(NEXT) | instid1(VALU_DEP_3)
	v_dual_fma_f32 v15, v224, v152, -v15 :: v_dual_add_f32 v9, v9, v29
	v_add_f32_e32 v11, v11, v13
	v_dual_mul_f32 v35, v228, v157 :: v_dual_mul_f32 v37, v230, v159
	s_wait_loadcnt 0x5
	v_dual_mul_f32 v13, v183, v167 :: v_dual_fma_f32 v17, v226, v154, -v17
	v_dual_fmac_f32 v33, v227, v154 :: v_dual_add_f32 v9, v9, v31
	v_dual_add_f32 v11, v11, v15 :: v_dual_mov_b32 v130, v169
	v_fmac_f32_e32 v35, v229, v156
	s_delay_alu instid0(VALU_DEP_3) | instskip(NEXT) | instid1(VALU_DEP_3)
	v_dual_fma_f32 v15, v228, v156, -v19 :: v_dual_add_f32 v9, v9, v33
	v_add_f32_e32 v11, v11, v17
	v_dual_mul_f32 v39, v232, v161 :: v_dual_mul_f32 v41, v210, v163
	s_delay_alu instid0(VALU_DEP_3) | instskip(NEXT) | instid1(VALU_DEP_3)
	v_dual_fmac_f32 v37, v231, v158 :: v_dual_add_f32 v9, v9, v35
	v_dual_fma_f32 v17, v230, v158, -v21 :: v_dual_add_f32 v11, v11, v15
	s_wait_loadcnt 0x4
	v_dual_mov_b32 v134, v173 :: v_dual_fma_f32 v15, v232, v160, -v23
	v_fmac_f32_e32 v39, v233, v160
	v_dual_add_f32 v9, v9, v37 :: v_dual_fmac_f32 v41, v211, v162
	v_add_f32_e32 v11, v11, v17
	v_dual_mul_f32 v249, v212, v165 :: v_dual_mul_f32 v251, v182, v167
	s_delay_alu instid0(VALU_DEP_3) | instskip(NEXT) | instid1(VALU_DEP_2)
	v_dual_fma_f32 v17, v210, v162, -v25 :: v_dual_add_f32 v9, v9, v39
	v_dual_add_f32 v11, v11, v15 :: v_dual_fmac_f32 v249, v213, v164
	v_fma_f32 v248, v212, v164, -v27
	v_pk_mul_f32 v[130:131], v[240:241], v[130:131] op_sel_hi:[1,0]
	s_delay_alu instid0(VALU_DEP_4)
	v_add_f32_e32 v139, v9, v41
	s_wait_loadcnt 0x3
	v_dual_add_f32 v138, v11, v17 :: v_dual_mov_b32 v140, v177
	v_pk_mul_f32 v[132:133], v[186:187], v[170:171] op_sel:[1,1] op_sel_hi:[0,1]
	v_dual_fmac_f32 v251, v183, v166 :: v_dual_fma_f32 v250, v182, v166, -v13
	v_pk_fma_f32 v[142:143], v[184:185], v[168:169], v[130:131] op_sel_hi:[1,0,1]
	s_delay_alu instid0(VALU_DEP_4)
	v_pk_add_f32 v[138:139], v[138:139], v[248:249]
	v_pk_fma_f32 v[130:131], v[184:185], v[168:169], v[130:131] neg_lo:[0,0,1] neg_hi:[0,0,1]
	v_pk_fma_f32 v[144:145], v[186:187], v[170:171], v[132:133] op_sel_hi:[1,0,1]
	v_pk_mul_f32 v[134:135], v[242:243], v[134:135] op_sel_hi:[1,0]
	v_mov_b32_e32 v131, v143
	v_pk_add_f32 v[138:139], v[138:139], v[250:251]
	v_pk_fma_f32 v[132:133], v[186:187], v[170:171], v[132:133] neg_lo:[0,0,1] neg_hi:[0,0,1]
	v_pk_mul_f32 v[136:137], v[190:191], v[174:175] op_sel:[1,1] op_sel_hi:[0,1]
	v_mov_b32_e32 v133, v145
	v_pk_fma_f32 v[144:145], v[188:189], v[172:173], v[134:135] op_sel_hi:[1,0,1]
	v_pk_add_f32 v[130:131], v[138:139], v[130:131]
	v_pk_fma_f32 v[134:135], v[188:189], v[172:173], v[134:135] neg_lo:[0,0,1] neg_hi:[0,0,1]
	v_pk_fma_f32 v[138:139], v[190:191], v[174:175], v[136:137] op_sel_hi:[1,0,1]
	v_pk_mul_f32 v[140:141], v[244:245], v[140:141] op_sel_hi:[1,0]
	v_mov_b32_e32 v135, v145
	v_pk_add_f32 v[130:131], v[130:131], v[132:133]
	v_pk_fma_f32 v[136:137], v[190:191], v[174:175], v[136:137] neg_lo:[0,0,1] neg_hi:[0,0,1]
	s_wait_loadcnt 0x2
	v_pk_mul_f32 v[142:143], v[194:195], v[178:179] op_sel:[1,1] op_sel_hi:[0,1]
	v_dual_mov_b32 v132, v181 :: v_dual_mov_b32 v137, v139
	v_pk_fma_f32 v[138:139], v[192:193], v[176:177], v[140:141] op_sel_hi:[1,0,1]
	v_pk_add_f32 v[130:131], v[130:131], v[134:135]
	v_pk_fma_f32 v[140:141], v[192:193], v[176:177], v[140:141] neg_lo:[0,0,1] neg_hi:[0,0,1]
	v_pk_fma_f32 v[134:135], v[194:195], v[178:179], v[142:143] op_sel_hi:[1,0,1]
	v_pk_mul_f32 v[132:133], v[246:247], v[132:133] op_sel_hi:[1,0]
	v_mov_b32_e32 v141, v139
	v_pk_add_f32 v[130:131], v[130:131], v[136:137]
	v_pk_fma_f32 v[136:137], v[194:195], v[178:179], v[142:143] neg_lo:[0,0,1] neg_hi:[0,0,1]
	v_mov_b32_e32 v137, v135
	v_pk_fma_f32 v[134:135], v[196:197], v[180:181], v[132:133] op_sel_hi:[1,0,1]
	s_wait_loadcnt_dscnt 0x100
	v_pk_mul_f32 v[138:139], v[238:239], v[234:235] op_sel:[1,1] op_sel_hi:[0,1]
	v_pk_add_f32 v[130:131], v[130:131], v[140:141]
	v_pk_fma_f32 v[132:133], v[196:197], v[180:181], v[132:133] neg_lo:[0,0,1] neg_hi:[0,0,1]
	v_mov_b32_e32 v133, v135
	s_delay_alu instid0(VALU_DEP_4) | instskip(NEXT) | instid1(VALU_DEP_4)
	v_pk_fma_f32 v[134:135], v[238:239], v[234:235], v[138:139] op_sel_hi:[1,0,1]
	v_pk_add_f32 v[130:131], v[130:131], v[136:137]
	v_pk_fma_f32 v[136:137], v[238:239], v[234:235], v[138:139] neg_lo:[0,0,1] neg_hi:[0,0,1]
	s_delay_alu instid0(VALU_DEP_3) | instskip(NEXT) | instid1(VALU_DEP_3)
	v_mov_b32_e32 v137, v135
	v_pk_add_f32 v[130:131], v[130:131], v[132:133]
	s_delay_alu instid0(VALU_DEP_1) | instskip(SKIP_1) | instid1(VALU_DEP_1)
	v_pk_add_f32 v[130:131], v[130:131], v[136:137]
	s_wait_loadcnt 0x0
	v_pk_add_f32 v[130:131], v[236:237], v[130:131] neg_lo:[0,1] neg_hi:[0,1]
	scratch_store_b64 off, v[130:131], off offset:288
	s_wait_xcnt 0x0
	v_cmpx_lt_u32_e32 35, v0
	s_cbranch_execz .LBB127_327
; %bb.326:
	scratch_load_b64 v[130:131], off, off offset:280
	v_mov_b64_e32 v[132:133], 0
	scratch_store_b64 off, v[132:133], off offset:280
	s_wait_loadcnt 0x0
	ds_store_b64 v1, v[130:131]
.LBB127_327:
	s_wait_xcnt 0x0
	s_or_b32 exec_lo, exec_lo, s0
	s_wait_storecnt_dscnt 0x0
	s_barrier_signal -1
	s_barrier_wait -1
	s_clause 0xe
	scratch_load_b128 v[130:133], off, off offset:288
	scratch_load_b128 v[134:137], off, off offset:304
	;; [unrolled: 1-line block ×14, first 2 shown]
	scratch_load_b64 v[242:243], off, off offset:280
	ds_load_b128 v[186:189], v7 offset:960
	ds_load_b128 v[190:193], v7 offset:976
	;; [unrolled: 1-line block ×14, first 2 shown]
	s_mov_b32 s0, exec_lo
	s_wait_dscnt 0xd
	v_dual_mov_b32 v244, v189 :: v_dual_mov_b32 v245, v188
	s_wait_dscnt 0xc
	v_dual_mov_b32 v246, v193 :: v_dual_mov_b32 v247, v192
	;; [unrolled: 2-line block ×4, first 2 shown]
	s_wait_loadcnt_dscnt 0xe09
	v_dual_mul_f32 v7, v202, v131 :: v_dual_mul_f32 v9, v204, v133
	v_dual_mul_f32 v43, v203, v131 :: v_dual_mul_f32 v45, v205, v133
	s_wait_loadcnt_dscnt 0xd08
	v_dual_mul_f32 v11, v206, v135 :: v_dual_mul_f32 v13, v208, v137
	s_delay_alu instid0(VALU_DEP_3) | instskip(SKIP_3) | instid1(VALU_DEP_3)
	v_dual_fmac_f32 v7, v203, v130 :: v_dual_fmac_f32 v9, v205, v132
	s_wait_loadcnt_dscnt 0xb06
	v_dual_fma_f32 v43, v202, v130, -v43 :: v_dual_mul_f32 v55, v215, v143
	v_dual_mul_f32 v47, v207, v135 :: v_dual_mul_f32 v49, v209, v137
	v_dual_fma_f32 v45, v204, v132, -v45 :: v_dual_add_f32 v7, 0, v7
	s_delay_alu instid0(VALU_DEP_3) | instskip(SKIP_1) | instid1(VALU_DEP_3)
	v_dual_add_f32 v43, 0, v43 :: v_dual_mul_f32 v57, v217, v145
	v_dual_fmac_f32 v11, v207, v134 :: v_dual_fmac_f32 v13, v209, v136
	v_dual_fma_f32 v47, v206, v134, -v47 :: v_dual_add_f32 v7, v7, v9
	s_delay_alu instid0(VALU_DEP_3) | instskip(SKIP_2) | instid1(VALU_DEP_4)
	v_dual_add_f32 v9, v43, v45 :: v_dual_fma_f32 v45, v208, v136, -v49
	v_dual_mul_f32 v15, v210, v139 :: v_dual_mul_f32 v17, v212, v141
	v_dual_mul_f32 v51, v211, v139 :: v_dual_mul_f32 v53, v213, v141
	v_add_f32_e32 v7, v7, v11
	s_delay_alu instid0(VALU_DEP_3) | instskip(NEXT) | instid1(VALU_DEP_3)
	v_dual_add_f32 v9, v9, v47 :: v_dual_fmac_f32 v15, v211, v138
	v_fma_f32 v47, v210, v138, -v51
	v_dual_mul_f32 v19, v214, v143 :: v_dual_mul_f32 v21, v216, v145
	s_delay_alu instid0(VALU_DEP_4) | instskip(SKIP_2) | instid1(VALU_DEP_2)
	v_dual_add_f32 v7, v7, v13 :: v_dual_fmac_f32 v17, v213, v140
	s_wait_loadcnt_dscnt 0x904
	v_dual_add_f32 v9, v9, v45 :: v_dual_mul_f32 v13, v223, v151
	v_dual_fma_f32 v45, v212, v140, -v53 :: v_dual_add_f32 v7, v7, v15
	v_mul_f32_e32 v15, v225, v153
	s_delay_alu instid0(VALU_DEP_3) | instskip(NEXT) | instid1(VALU_DEP_3)
	v_dual_add_f32 v9, v9, v47 :: v_dual_fmac_f32 v19, v215, v142
	v_dual_fma_f32 v47, v214, v142, -v55 :: v_dual_add_f32 v7, v7, v17
	v_fmac_f32_e32 v21, v217, v144
	s_wait_loadcnt_dscnt 0x803
	s_delay_alu instid0(VALU_DEP_3) | instskip(SKIP_3) | instid1(VALU_DEP_3)
	v_dual_add_f32 v9, v9, v45 :: v_dual_mul_f32 v17, v227, v155
	v_dual_mul_f32 v23, v218, v147 :: v_dual_mul_f32 v25, v220, v149
	v_dual_mul_f32 v43, v219, v147 :: v_dual_mul_f32 v11, v221, v149
	v_dual_fma_f32 v45, v216, v144, -v57 :: v_dual_add_f32 v7, v7, v19
	v_dual_add_f32 v9, v9, v47 :: v_dual_fmac_f32 v23, v219, v146
	s_delay_alu instid0(VALU_DEP_3) | instskip(NEXT) | instid1(VALU_DEP_3)
	v_dual_mul_f32 v19, v229, v157 :: v_dual_fma_f32 v43, v218, v146, -v43
	v_dual_add_f32 v7, v7, v21 :: v_dual_fmac_f32 v25, v221, v148
	s_wait_loadcnt_dscnt 0x702
	s_delay_alu instid0(VALU_DEP_3) | instskip(SKIP_1) | instid1(VALU_DEP_3)
	v_dual_add_f32 v9, v9, v45 :: v_dual_mul_f32 v21, v231, v159
	v_dual_mul_f32 v27, v222, v151 :: v_dual_mul_f32 v29, v224, v153
	v_dual_fma_f32 v11, v220, v148, -v11 :: v_dual_add_f32 v7, v7, v23
	s_delay_alu instid0(VALU_DEP_2) | instskip(SKIP_1) | instid1(VALU_DEP_2)
	v_dual_add_f32 v9, v9, v43 :: v_dual_fmac_f32 v27, v223, v150
	v_dual_mul_f32 v23, v233, v161 :: v_dual_fma_f32 v13, v222, v150, -v13
	v_dual_add_f32 v7, v7, v25 :: v_dual_add_f32 v9, v9, v11
	v_dual_mul_f32 v31, v226, v155 :: v_dual_mul_f32 v33, v228, v157
	s_wait_loadcnt_dscnt 0x601
	v_dual_mul_f32 v11, v235, v163 :: v_dual_fmac_f32 v29, v225, v152
	s_delay_alu instid0(VALU_DEP_3) | instskip(NEXT) | instid1(VALU_DEP_3)
	v_dual_fma_f32 v15, v224, v152, -v15 :: v_dual_add_f32 v7, v7, v27
	v_dual_add_f32 v9, v9, v13 :: v_dual_fmac_f32 v31, v227, v154
	v_dual_mul_f32 v13, v237, v165 :: v_dual_fma_f32 v17, v226, v154, -v17
	s_delay_alu instid0(VALU_DEP_2) | instskip(SKIP_3) | instid1(VALU_DEP_3)
	v_dual_add_f32 v7, v7, v29 :: v_dual_add_f32 v9, v9, v15
	v_dual_mul_f32 v35, v230, v159 :: v_dual_mul_f32 v37, v232, v161
	s_wait_loadcnt_dscnt 0x500
	v_dual_mul_f32 v15, v239, v167 :: v_dual_fmac_f32 v33, v229, v156
	v_dual_fma_f32 v19, v228, v156, -v19 :: v_dual_add_f32 v7, v7, v31
	s_delay_alu instid0(VALU_DEP_3) | instskip(SKIP_1) | instid1(VALU_DEP_2)
	v_dual_add_f32 v9, v9, v17 :: v_dual_fmac_f32 v35, v231, v158
	v_dual_mul_f32 v17, v241, v169 :: v_dual_fma_f32 v21, v230, v158, -v21
	v_dual_add_f32 v7, v7, v33 :: v_dual_add_f32 v9, v9, v19
	v_dual_mul_f32 v39, v234, v163 :: v_dual_mul_f32 v41, v236, v165
	v_dual_fmac_f32 v37, v233, v160 :: v_dual_fma_f32 v19, v232, v160, -v23
	s_delay_alu instid0(VALU_DEP_3) | instskip(SKIP_1) | instid1(VALU_DEP_3)
	v_dual_add_f32 v7, v7, v35 :: v_dual_add_f32 v9, v9, v21
	s_wait_loadcnt 0x4
	v_dual_mov_b32 v132, v173 :: v_dual_fmac_f32 v39, v235, v162
	s_delay_alu instid0(VALU_DEP_2) | instskip(NEXT) | instid1(VALU_DEP_3)
	v_dual_fma_f32 v11, v234, v162, -v11 :: v_dual_add_f32 v7, v7, v37
	v_dual_add_f32 v9, v9, v19 :: v_dual_fma_f32 v13, v236, v164, -v13
	v_dual_mul_f32 v253, v238, v167 :: v_dual_mul_f32 v255, v240, v169
	s_delay_alu instid0(VALU_DEP_3) | instskip(NEXT) | instid1(VALU_DEP_2)
	v_dual_fmac_f32 v41, v237, v164 :: v_dual_add_f32 v7, v7, v39
	v_dual_add_f32 v9, v9, v11 :: v_dual_fmac_f32 v253, v239, v166
	v_pk_mul_f32 v[130:131], v[186:187], v[170:171] op_sel:[1,1] op_sel_hi:[0,1]
	s_wait_loadcnt 0x3
	v_dual_mov_b32 v136, v177 :: v_dual_fma_f32 v252, v238, v166, -v15
	v_dual_add_f32 v139, v7, v41 :: v_dual_fmac_f32 v255, v241, v168
	v_dual_add_f32 v138, v9, v13 :: v_dual_fma_f32 v254, v240, v168, -v17
	v_pk_fma_f32 v[140:141], v[186:187], v[170:171], v[130:131] op_sel_hi:[1,0,1]
	v_pk_mul_f32 v[132:133], v[244:245], v[132:133] op_sel_hi:[1,0]
	v_pk_fma_f32 v[130:131], v[186:187], v[170:171], v[130:131] neg_lo:[0,0,1] neg_hi:[0,0,1]
	s_delay_alu instid0(VALU_DEP_4)
	v_pk_add_f32 v[138:139], v[138:139], v[252:253]
	v_pk_mul_f32 v[134:135], v[190:191], v[174:175] op_sel:[1,1] op_sel_hi:[0,1]
	v_mov_b32_e32 v131, v141
	v_pk_fma_f32 v[140:141], v[188:189], v[172:173], v[132:133] op_sel_hi:[1,0,1]
	v_pk_fma_f32 v[132:133], v[188:189], v[172:173], v[132:133] neg_lo:[0,0,1] neg_hi:[0,0,1]
	v_pk_add_f32 v[138:139], v[138:139], v[254:255]
	v_pk_fma_f32 v[144:145], v[190:191], v[174:175], v[134:135] op_sel_hi:[1,0,1]
	v_pk_mul_f32 v[136:137], v[246:247], v[136:137] op_sel_hi:[1,0]
	v_mov_b32_e32 v133, v141
	s_wait_loadcnt 0x2
	v_pk_mul_f32 v[142:143], v[194:195], v[178:179] op_sel:[1,1] op_sel_hi:[0,1]
	v_pk_add_f32 v[130:131], v[138:139], v[130:131]
	v_mov_b32_e32 v138, v181
	v_pk_fma_f32 v[134:135], v[190:191], v[174:175], v[134:135] neg_lo:[0,0,1] neg_hi:[0,0,1]
	v_mov_b32_e32 v135, v145
	v_pk_fma_f32 v[140:141], v[192:193], v[176:177], v[136:137] op_sel_hi:[1,0,1]
	v_pk_add_f32 v[130:131], v[130:131], v[132:133]
	v_pk_fma_f32 v[132:133], v[194:195], v[178:179], v[142:143] op_sel_hi:[1,0,1]
	v_pk_mul_f32 v[138:139], v[248:249], v[138:139] op_sel_hi:[1,0]
	v_pk_fma_f32 v[136:137], v[192:193], v[176:177], v[136:137] neg_lo:[0,0,1] neg_hi:[0,0,1]
	v_mov_b32_e32 v137, v141
	v_pk_add_f32 v[130:131], v[130:131], v[134:135]
	v_pk_fma_f32 v[140:141], v[194:195], v[178:179], v[142:143] neg_lo:[0,0,1] neg_hi:[0,0,1]
	v_mov_b32_e32 v141, v133
	v_pk_fma_f32 v[132:133], v[196:197], v[180:181], v[138:139] op_sel_hi:[1,0,1]
	s_wait_loadcnt 0x1
	v_pk_mul_f32 v[134:135], v[198:199], v[182:183] op_sel:[1,1] op_sel_hi:[0,1]
	v_pk_add_f32 v[130:131], v[130:131], v[136:137]
	v_mov_b32_e32 v132, v185
	v_pk_fma_f32 v[138:139], v[196:197], v[180:181], v[138:139] neg_lo:[0,0,1] neg_hi:[0,0,1]
	v_mov_b32_e32 v139, v133
	v_pk_fma_f32 v[136:137], v[198:199], v[182:183], v[134:135] op_sel_hi:[1,0,1]
	v_pk_add_f32 v[130:131], v[130:131], v[140:141]
	v_pk_mul_f32 v[132:133], v[250:251], v[132:133] op_sel_hi:[1,0]
	v_pk_fma_f32 v[134:135], v[198:199], v[182:183], v[134:135] neg_lo:[0,0,1] neg_hi:[0,0,1]
	s_delay_alu instid0(VALU_DEP_4) | instskip(NEXT) | instid1(VALU_DEP_4)
	v_mov_b32_e32 v135, v137
	v_pk_add_f32 v[130:131], v[130:131], v[138:139]
	s_delay_alu instid0(VALU_DEP_4) | instskip(SKIP_1) | instid1(VALU_DEP_2)
	v_pk_fma_f32 v[136:137], v[200:201], v[184:185], v[132:133] op_sel_hi:[1,0,1]
	v_pk_fma_f32 v[132:133], v[200:201], v[184:185], v[132:133] neg_lo:[0,0,1] neg_hi:[0,0,1]
	v_mov_b32_e32 v133, v137
	s_delay_alu instid0(VALU_DEP_4) | instskip(NEXT) | instid1(VALU_DEP_1)
	v_pk_add_f32 v[130:131], v[130:131], v[134:135]
	v_pk_add_f32 v[130:131], v[130:131], v[132:133]
	s_wait_loadcnt 0x0
	s_delay_alu instid0(VALU_DEP_1)
	v_pk_add_f32 v[130:131], v[242:243], v[130:131] neg_lo:[0,1] neg_hi:[0,1]
	scratch_store_b64 off, v[130:131], off offset:280
	s_wait_xcnt 0x0
	v_cmpx_lt_u32_e32 34, v0
	s_cbranch_execz .LBB127_329
; %bb.328:
	scratch_load_b64 v[130:131], off, off offset:272
	v_mov_b64_e32 v[132:133], 0
	scratch_store_b64 off, v[132:133], off offset:272
	s_wait_loadcnt 0x0
	ds_store_b64 v1, v[130:131]
.LBB127_329:
	s_wait_xcnt 0x0
	s_or_b32 exec_lo, exec_lo, s0
	s_wait_storecnt_dscnt 0x0
	s_barrier_signal -1
	s_barrier_wait -1
	s_clause 0xf
	scratch_load_b128 v[130:133], off, off offset:280
	scratch_load_b128 v[134:137], off, off offset:296
	scratch_load_b128 v[138:141], off, off offset:312
	scratch_load_b128 v[142:145], off, off offset:328
	scratch_load_b128 v[146:149], off, off offset:344
	scratch_load_b128 v[150:153], off, off offset:360
	scratch_load_b128 v[154:157], off, off offset:376
	scratch_load_b128 v[158:161], off, off offset:392
	scratch_load_b128 v[162:165], off, off offset:408
	scratch_load_b128 v[166:169], off, off offset:424
	scratch_load_b128 v[170:173], off, off offset:440
	scratch_load_b128 v[174:177], off, off offset:456
	scratch_load_b128 v[178:181], off, off offset:472
	scratch_load_b128 v[182:185], off, off offset:488
	scratch_load_b64 v[242:243], off, off offset:504
	scratch_load_b64 v[244:245], off, off offset:272
	v_mov_b32_e32 v7, 0
	ds_load_2addr_b64 v[186:189], v7 offset0:119 offset1:120
	ds_load_2addr_b64 v[190:193], v7 offset0:121 offset1:122
	;; [unrolled: 1-line block ×14, first 2 shown]
	ds_load_b64 v[246:247], v7 offset:1016
	s_mov_b32 s0, exec_lo
	s_wait_dscnt 0xe
	v_dual_mov_b32 v248, v189 :: v_dual_mov_b32 v249, v188
	s_wait_dscnt 0xb
	v_dual_mov_b32 v250, v193 :: v_dual_mov_b32 v255, v200
	v_dual_mov_b32 v251, v192 :: v_dual_mov_b32 v252, v197
	;; [unrolled: 1-line block ×3, first 2 shown]
	s_wait_loadcnt_dscnt 0xf0a
	v_dual_mul_f32 v9, v202, v131 :: v_dual_mul_f32 v47, v203, v131
	v_dual_mul_f32 v49, v205, v133 :: v_dual_mul_f32 v11, v204, v133
	s_wait_loadcnt_dscnt 0xe09
	v_mul_f32_e32 v13, v206, v135
	s_wait_loadcnt_dscnt 0xc07
	v_dual_mul_f32 v59, v215, v143 :: v_dual_fma_f32 v47, v202, v130, -v47
	v_dual_fmac_f32 v9, v203, v130 :: v_dual_mul_f32 v61, v217, v145
	v_dual_mul_f32 v51, v207, v135 :: v_dual_mul_f32 v53, v209, v137
	v_dual_fmac_f32 v11, v205, v132 :: v_dual_fma_f32 v49, v204, v132, -v49
	s_delay_alu instid0(VALU_DEP_3) | instskip(SKIP_3) | instid1(VALU_DEP_3)
	v_dual_add_f32 v9, 0, v9 :: v_dual_add_f32 v47, 0, v47
	v_dual_mul_f32 v15, v208, v137 :: v_dual_mul_f32 v17, v210, v139
	s_wait_loadcnt_dscnt 0xb06
	v_dual_mul_f32 v63, v219, v147 :: v_dual_fma_f32 v51, v206, v134, -v51
	v_dual_fmac_f32 v13, v207, v134 :: v_dual_add_f32 v9, v9, v11
	s_delay_alu instid0(VALU_DEP_3) | instskip(SKIP_2) | instid1(VALU_DEP_3)
	v_dual_add_f32 v11, v47, v49 :: v_dual_fmac_f32 v15, v209, v136
	v_dual_mul_f32 v55, v211, v139 :: v_dual_mul_f32 v57, v213, v141
	v_dual_mul_f32 v47, v221, v149 :: v_dual_fma_f32 v49, v208, v136, -v53
	v_dual_add_f32 v9, v9, v13 :: v_dual_add_f32 v11, v11, v51
	v_dual_mul_f32 v19, v212, v141 :: v_dual_mul_f32 v21, v214, v143
	s_wait_loadcnt_dscnt 0xa05
	v_dual_mul_f32 v13, v223, v151 :: v_dual_fma_f32 v51, v210, v138, -v55
	s_delay_alu instid0(VALU_DEP_3) | instskip(NEXT) | instid1(VALU_DEP_3)
	v_dual_fmac_f32 v17, v211, v138 :: v_dual_add_f32 v9, v9, v15
	v_dual_add_f32 v11, v11, v49 :: v_dual_fmac_f32 v19, v213, v140
	v_dual_mul_f32 v15, v225, v153 :: v_dual_fma_f32 v49, v212, v140, -v57
	s_delay_alu instid0(VALU_DEP_2) | instskip(SKIP_3) | instid1(VALU_DEP_3)
	v_dual_add_f32 v9, v9, v17 :: v_dual_add_f32 v11, v11, v51
	v_dual_mul_f32 v23, v216, v145 :: v_dual_mul_f32 v25, v218, v147
	s_wait_loadcnt_dscnt 0x904
	v_dual_mul_f32 v17, v227, v155 :: v_dual_fma_f32 v51, v214, v142, -v59
	v_dual_fmac_f32 v21, v215, v142 :: v_dual_add_f32 v9, v9, v19
	s_delay_alu instid0(VALU_DEP_3) | instskip(SKIP_1) | instid1(VALU_DEP_2)
	v_dual_add_f32 v11, v11, v49 :: v_dual_fmac_f32 v23, v217, v144
	v_dual_mul_f32 v19, v229, v157 :: v_dual_fma_f32 v49, v216, v144, -v61
	v_dual_add_f32 v9, v9, v21 :: v_dual_add_f32 v11, v11, v51
	v_dual_mul_f32 v27, v220, v149 :: v_dual_mul_f32 v29, v222, v151
	s_wait_loadcnt_dscnt 0x803
	v_dual_mul_f32 v21, v231, v159 :: v_dual_fma_f32 v51, v218, v146, -v63
	s_delay_alu instid0(VALU_DEP_3) | instskip(NEXT) | instid1(VALU_DEP_3)
	v_dual_fmac_f32 v25, v219, v146 :: v_dual_add_f32 v9, v9, v23
	v_dual_add_f32 v11, v11, v49 :: v_dual_fmac_f32 v27, v221, v148
	v_dual_mul_f32 v23, v233, v161 :: v_dual_fma_f32 v47, v220, v148, -v47
	s_delay_alu instid0(VALU_DEP_2) | instskip(SKIP_3) | instid1(VALU_DEP_3)
	v_dual_add_f32 v9, v9, v25 :: v_dual_add_f32 v11, v11, v51
	v_dual_mul_f32 v31, v224, v153 :: v_dual_mul_f32 v33, v226, v155
	s_wait_loadcnt_dscnt 0x702
	v_dual_mul_f32 v25, v235, v163 :: v_dual_fma_f32 v13, v222, v150, -v13
	v_dual_fmac_f32 v29, v223, v150 :: v_dual_add_f32 v9, v9, v27
	v_dual_add_f32 v11, v11, v47 :: v_dual_mul_f32 v27, v237, v165
	v_fmac_f32_e32 v31, v225, v152
	s_delay_alu instid0(VALU_DEP_3) | instskip(NEXT) | instid1(VALU_DEP_3)
	v_dual_fma_f32 v15, v224, v152, -v15 :: v_dual_add_f32 v9, v9, v29
	v_add_f32_e32 v11, v11, v13
	v_dual_mul_f32 v35, v228, v157 :: v_dual_mul_f32 v37, v230, v159
	s_wait_loadcnt_dscnt 0x601
	v_dual_mul_f32 v13, v239, v167 :: v_dual_fma_f32 v17, v226, v154, -v17
	v_dual_fmac_f32 v33, v227, v154 :: v_dual_add_f32 v9, v9, v31
	v_dual_add_f32 v11, v11, v15 :: v_dual_mul_f32 v15, v241, v169
	v_fmac_f32_e32 v35, v229, v156
	s_delay_alu instid0(VALU_DEP_3) | instskip(NEXT) | instid1(VALU_DEP_3)
	v_dual_fma_f32 v19, v228, v156, -v19 :: v_dual_add_f32 v9, v9, v33
	v_add_f32_e32 v11, v11, v17
	v_dual_mul_f32 v39, v232, v161 :: v_dual_mul_f32 v41, v234, v163
	s_wait_loadcnt 0x5
	v_dual_mul_f32 v17, v187, v171 :: v_dual_fma_f32 v21, v230, v158, -v21
	v_dual_fmac_f32 v37, v231, v158 :: v_dual_add_f32 v9, v9, v35
	v_dual_add_f32 v11, v11, v19 :: v_dual_mov_b32 v130, v173
	v_fmac_f32_e32 v39, v233, v160
	s_delay_alu instid0(VALU_DEP_3) | instskip(NEXT) | instid1(VALU_DEP_3)
	v_dual_fma_f32 v19, v232, v160, -v23 :: v_dual_add_f32 v9, v9, v37
	v_add_f32_e32 v11, v11, v21
	v_dual_mul_f32 v43, v236, v165 :: v_dual_mul_f32 v45, v238, v167
	s_delay_alu instid0(VALU_DEP_3) | instskip(NEXT) | instid1(VALU_DEP_3)
	v_dual_fmac_f32 v41, v235, v162 :: v_dual_add_f32 v9, v9, v39
	v_dual_fma_f32 v21, v234, v162, -v25 :: v_dual_add_f32 v11, v11, v19
	s_wait_loadcnt 0x4
	v_dual_mov_b32 v134, v177 :: v_dual_fma_f32 v19, v236, v164, -v27
	v_fmac_f32_e32 v43, v237, v164
	v_dual_add_f32 v9, v9, v41 :: v_dual_fmac_f32 v45, v239, v166
	v_add_f32_e32 v11, v11, v21
	s_set_vgpr_msb 64                       ;  msbs: dst=1 src0=0 src1=0 src2=0
	v_dual_mul_f32 v1 /*v257*/, v240, v169 :: v_dual_mul_f32 v3 /*v259*/, v186, v171
	s_set_vgpr_msb 0                        ;  msbs: dst=0 src0=0 src1=0 src2=0
	v_dual_fma_f32 v13, v238, v166, -v13 :: v_dual_add_f32 v9, v9, v43
	v_add_f32_e32 v11, v11, v19
	s_set_vgpr_msb 64                       ;  msbs: dst=1 src0=0 src1=0 src2=0
	v_dual_fmac_f32 v1 /*v257*/, v241, v168 :: v_dual_fmac_f32 v3 /*v259*/, v187, v170
	v_dual_fma_f32 v0 /*v256*/, v240, v168, -v15 :: v_dual_fma_f32 v2 /*v258*/, v186, v170, -v17
	s_set_vgpr_msb 0                        ;  msbs: dst=0 src0=0 src1=0 src2=0
	v_pk_mul_f32 v[130:131], v[248:249], v[130:131] op_sel_hi:[1,0]
	v_add_f32_e32 v139, v9, v45
	s_wait_loadcnt 0x3
	v_dual_add_f32 v138, v11, v13 :: v_dual_mov_b32 v140, v181
	v_pk_mul_f32 v[132:133], v[190:191], v[174:175] op_sel:[1,1] op_sel_hi:[0,1]
	v_pk_fma_f32 v[142:143], v[188:189], v[172:173], v[130:131] op_sel_hi:[1,0,1]
	v_pk_fma_f32 v[130:131], v[188:189], v[172:173], v[130:131] neg_lo:[0,0,1] neg_hi:[0,0,1]
	s_set_vgpr_msb 4                        ;  msbs: dst=0 src0=0 src1=1 src2=0
	v_pk_add_f32 v[138:139], v[138:139], v[0:1] /*v[256:257]*/
	s_set_vgpr_msb 0                        ;  msbs: dst=0 src0=0 src1=0 src2=0
	v_pk_mul_f32 v[134:135], v[250:251], v[134:135] op_sel_hi:[1,0]
	v_pk_fma_f32 v[144:145], v[190:191], v[174:175], v[132:133] op_sel_hi:[1,0,1]
	v_mov_b32_e32 v131, v143
	v_pk_fma_f32 v[132:133], v[190:191], v[174:175], v[132:133] neg_lo:[0,0,1] neg_hi:[0,0,1]
	s_set_vgpr_msb 4                        ;  msbs: dst=0 src0=0 src1=1 src2=0
	v_pk_add_f32 v[138:139], v[138:139], v[2:3] /*v[258:259]*/
	s_set_vgpr_msb 0                        ;  msbs: dst=0 src0=0 src1=0 src2=0
	v_pk_mul_f32 v[136:137], v[194:195], v[178:179] op_sel:[1,1] op_sel_hi:[0,1]
	v_mov_b32_e32 v133, v145
	v_pk_fma_f32 v[144:145], v[192:193], v[176:177], v[134:135] op_sel_hi:[1,0,1]
	v_pk_fma_f32 v[134:135], v[192:193], v[176:177], v[134:135] neg_lo:[0,0,1] neg_hi:[0,0,1]
	v_pk_add_f32 v[130:131], v[138:139], v[130:131]
	v_pk_fma_f32 v[138:139], v[194:195], v[178:179], v[136:137] op_sel_hi:[1,0,1]
	v_pk_mul_f32 v[140:141], v[252:253], v[140:141] op_sel_hi:[1,0]
	v_mov_b32_e32 v135, v145
	v_pk_fma_f32 v[136:137], v[194:195], v[178:179], v[136:137] neg_lo:[0,0,1] neg_hi:[0,0,1]
	v_pk_add_f32 v[130:131], v[130:131], v[132:133]
	s_wait_loadcnt 0x2
	v_pk_mul_f32 v[142:143], v[198:199], v[182:183] op_sel:[1,1] op_sel_hi:[0,1]
	v_dual_mov_b32 v132, v185 :: v_dual_mov_b32 v137, v139
	v_pk_fma_f32 v[138:139], v[196:197], v[180:181], v[140:141] op_sel_hi:[1,0,1]
	v_pk_add_f32 v[130:131], v[130:131], v[134:135]
	v_pk_fma_f32 v[140:141], v[196:197], v[180:181], v[140:141] neg_lo:[0,0,1] neg_hi:[0,0,1]
	v_pk_fma_f32 v[134:135], v[198:199], v[182:183], v[142:143] op_sel_hi:[1,0,1]
	v_pk_mul_f32 v[132:133], v[254:255], v[132:133] op_sel_hi:[1,0]
	v_mov_b32_e32 v141, v139
	v_pk_add_f32 v[130:131], v[130:131], v[136:137]
	v_pk_fma_f32 v[136:137], v[198:199], v[182:183], v[142:143] neg_lo:[0,0,1] neg_hi:[0,0,1]
	v_mov_b32_e32 v137, v135
	v_pk_fma_f32 v[134:135], v[200:201], v[184:185], v[132:133] op_sel_hi:[1,0,1]
	s_wait_loadcnt_dscnt 0x100
	v_pk_mul_f32 v[138:139], v[246:247], v[242:243] op_sel:[1,1] op_sel_hi:[0,1]
	v_pk_add_f32 v[130:131], v[130:131], v[140:141]
	v_pk_fma_f32 v[132:133], v[200:201], v[184:185], v[132:133] neg_lo:[0,0,1] neg_hi:[0,0,1]
	v_mov_b32_e32 v133, v135
	s_delay_alu instid0(VALU_DEP_4) | instskip(NEXT) | instid1(VALU_DEP_4)
	v_pk_fma_f32 v[134:135], v[246:247], v[242:243], v[138:139] op_sel_hi:[1,0,1]
	v_pk_add_f32 v[130:131], v[130:131], v[136:137]
	v_pk_fma_f32 v[136:137], v[246:247], v[242:243], v[138:139] neg_lo:[0,0,1] neg_hi:[0,0,1]
	s_delay_alu instid0(VALU_DEP_3) | instskip(NEXT) | instid1(VALU_DEP_3)
	v_mov_b32_e32 v137, v135
	v_pk_add_f32 v[130:131], v[130:131], v[132:133]
	s_delay_alu instid0(VALU_DEP_1) | instskip(SKIP_1) | instid1(VALU_DEP_1)
	v_pk_add_f32 v[130:131], v[130:131], v[136:137]
	s_wait_loadcnt 0x0
	v_pk_add_f32 v[130:131], v[244:245], v[130:131] neg_lo:[0,1] neg_hi:[0,1]
	scratch_store_b64 off, v[130:131], off offset:272
	s_wait_xcnt 0x0
	v_cmpx_lt_u32_e32 33, v0
	s_cbranch_execz .LBB127_331
; %bb.330:
	scratch_load_b64 v[130:131], off, off offset:264
	v_mov_b64_e32 v[132:133], 0
	scratch_store_b64 off, v[132:133], off offset:264
	s_wait_loadcnt 0x0
	ds_store_b64 v1, v[130:131]
.LBB127_331:
	s_wait_xcnt 0x0
	s_or_b32 exec_lo, exec_lo, s0
	s_wait_storecnt_dscnt 0x0
	s_barrier_signal -1
	s_barrier_wait -1
	s_clause 0xf
	scratch_load_b128 v[130:133], off, off offset:272
	scratch_load_b128 v[134:137], off, off offset:288
	;; [unrolled: 1-line block ×15, first 2 shown]
	scratch_load_b64 v[250:251], off, off offset:264
	ds_load_b128 v[190:193], v7 offset:960
	ds_load_b128 v[194:197], v7 offset:976
	;; [unrolled: 1-line block ×15, first 2 shown]
	s_mov_b32 s0, exec_lo
	s_wait_dscnt 0xe
	v_dual_mov_b32 v252, v193 :: v_dual_mov_b32 v253, v192
	s_wait_dscnt 0xd
	v_dual_mov_b32 v254, v197 :: v_dual_mov_b32 v255, v196
	s_wait_dscnt 0xc
	s_set_vgpr_msb 64                       ;  msbs: dst=1 src0=0 src1=0 src2=0
	v_dual_mov_b32 v0 /*v256*/, v201 :: v_dual_mov_b32 v1 /*v257*/, v200
	s_wait_dscnt 0xb
	v_dual_mov_b32 v2 /*v258*/, v205 :: v_dual_mov_b32 v3 /*v259*/, v204
	s_wait_loadcnt_dscnt 0xf0a
	s_set_vgpr_msb 0                        ;  msbs: dst=0 src0=0 src1=0 src2=0
	v_dual_mul_f32 v7, v206, v131 :: v_dual_mul_f32 v9, v208, v133
	v_dual_mul_f32 v47, v207, v131 :: v_dual_mul_f32 v49, v209, v133
	s_wait_loadcnt_dscnt 0xe09
	v_dual_mul_f32 v11, v210, v135 :: v_dual_mul_f32 v13, v212, v137
	s_delay_alu instid0(VALU_DEP_3) | instskip(SKIP_3) | instid1(VALU_DEP_3)
	v_dual_fmac_f32 v7, v207, v130 :: v_dual_fmac_f32 v9, v209, v132
	s_wait_loadcnt_dscnt 0xc06
	v_dual_fma_f32 v47, v206, v130, -v47 :: v_dual_mul_f32 v59, v223, v143
	v_dual_mul_f32 v51, v211, v135 :: v_dual_mul_f32 v53, v213, v137
	v_dual_fma_f32 v49, v208, v132, -v49 :: v_dual_add_f32 v7, 0, v7
	s_delay_alu instid0(VALU_DEP_3) | instskip(SKIP_1) | instid1(VALU_DEP_3)
	v_dual_add_f32 v47, 0, v47 :: v_dual_mul_f32 v61, v225, v145
	v_dual_fmac_f32 v11, v211, v134 :: v_dual_fmac_f32 v13, v213, v136
	v_dual_fma_f32 v51, v210, v134, -v51 :: v_dual_add_f32 v7, v7, v9
	s_delay_alu instid0(VALU_DEP_3) | instskip(SKIP_2) | instid1(VALU_DEP_4)
	v_dual_add_f32 v9, v47, v49 :: v_dual_fma_f32 v49, v212, v136, -v53
	v_dual_mul_f32 v15, v218, v139 :: v_dual_mul_f32 v17, v220, v141
	v_dual_mul_f32 v55, v219, v139 :: v_dual_mul_f32 v57, v221, v141
	v_add_f32_e32 v7, v7, v11
	s_delay_alu instid0(VALU_DEP_3) | instskip(NEXT) | instid1(VALU_DEP_3)
	v_dual_add_f32 v9, v9, v51 :: v_dual_fmac_f32 v15, v219, v138
	v_fma_f32 v51, v218, v138, -v55
	v_dual_mul_f32 v19, v222, v143 :: v_dual_mul_f32 v21, v224, v145
	s_delay_alu instid0(VALU_DEP_4) | instskip(SKIP_2) | instid1(VALU_DEP_2)
	v_dual_add_f32 v7, v7, v13 :: v_dual_fmac_f32 v17, v221, v140
	s_wait_loadcnt_dscnt 0xa04
	v_dual_add_f32 v9, v9, v49 :: v_dual_mul_f32 v13, v231, v151
	v_dual_fma_f32 v49, v220, v140, -v57 :: v_dual_add_f32 v7, v7, v15
	v_mul_f32_e32 v15, v233, v153
	s_delay_alu instid0(VALU_DEP_3) | instskip(NEXT) | instid1(VALU_DEP_3)
	v_dual_add_f32 v9, v9, v51 :: v_dual_fmac_f32 v19, v223, v142
	v_dual_fma_f32 v51, v222, v142, -v59 :: v_dual_add_f32 v7, v7, v17
	v_fmac_f32_e32 v21, v225, v144
	s_wait_loadcnt_dscnt 0x903
	s_delay_alu instid0(VALU_DEP_3) | instskip(SKIP_3) | instid1(VALU_DEP_3)
	v_dual_add_f32 v9, v9, v49 :: v_dual_mul_f32 v17, v235, v155
	v_dual_mul_f32 v23, v226, v147 :: v_dual_mul_f32 v25, v228, v149
	v_dual_mul_f32 v47, v227, v147 :: v_dual_mul_f32 v11, v229, v149
	v_dual_fma_f32 v49, v224, v144, -v61 :: v_dual_add_f32 v7, v7, v19
	v_dual_add_f32 v9, v9, v51 :: v_dual_fmac_f32 v23, v227, v146
	s_delay_alu instid0(VALU_DEP_3) | instskip(NEXT) | instid1(VALU_DEP_3)
	v_dual_mul_f32 v19, v237, v157 :: v_dual_fma_f32 v47, v226, v146, -v47
	v_dual_add_f32 v7, v7, v21 :: v_dual_fmac_f32 v25, v229, v148
	s_wait_loadcnt_dscnt 0x802
	s_delay_alu instid0(VALU_DEP_3) | instskip(SKIP_1) | instid1(VALU_DEP_3)
	v_dual_add_f32 v9, v9, v49 :: v_dual_mul_f32 v21, v239, v159
	v_dual_mul_f32 v27, v230, v151 :: v_dual_mul_f32 v29, v232, v153
	v_dual_fma_f32 v11, v228, v148, -v11 :: v_dual_add_f32 v7, v7, v23
	s_delay_alu instid0(VALU_DEP_2) | instskip(SKIP_1) | instid1(VALU_DEP_2)
	v_dual_add_f32 v9, v9, v47 :: v_dual_fmac_f32 v27, v231, v150
	v_dual_mul_f32 v23, v241, v161 :: v_dual_fma_f32 v13, v230, v150, -v13
	v_dual_add_f32 v7, v7, v25 :: v_dual_add_f32 v9, v9, v11
	v_dual_mul_f32 v31, v234, v155 :: v_dual_mul_f32 v33, v236, v157
	s_wait_loadcnt_dscnt 0x701
	v_dual_mul_f32 v11, v243, v163 :: v_dual_fmac_f32 v29, v233, v152
	s_delay_alu instid0(VALU_DEP_3) | instskip(NEXT) | instid1(VALU_DEP_3)
	v_dual_fma_f32 v15, v232, v152, -v15 :: v_dual_add_f32 v7, v7, v27
	v_dual_add_f32 v9, v9, v13 :: v_dual_fmac_f32 v31, v235, v154
	v_dual_mul_f32 v13, v245, v165 :: v_dual_fma_f32 v17, v234, v154, -v17
	s_delay_alu instid0(VALU_DEP_2) | instskip(SKIP_3) | instid1(VALU_DEP_3)
	v_dual_add_f32 v7, v7, v29 :: v_dual_add_f32 v9, v9, v15
	v_dual_mul_f32 v35, v238, v159 :: v_dual_mul_f32 v37, v240, v161
	s_wait_loadcnt_dscnt 0x600
	v_dual_mul_f32 v15, v247, v167 :: v_dual_fmac_f32 v33, v237, v156
	v_dual_fma_f32 v19, v236, v156, -v19 :: v_dual_add_f32 v7, v7, v31
	s_delay_alu instid0(VALU_DEP_3) | instskip(SKIP_1) | instid1(VALU_DEP_2)
	v_dual_add_f32 v9, v9, v17 :: v_dual_fmac_f32 v35, v239, v158
	v_dual_mul_f32 v17, v249, v169 :: v_dual_fma_f32 v21, v238, v158, -v21
	v_dual_add_f32 v7, v7, v33 :: v_dual_add_f32 v9, v9, v19
	v_dual_mul_f32 v39, v242, v163 :: v_dual_mul_f32 v41, v244, v165
	s_wait_loadcnt 0x5
	v_dual_mul_f32 v19, v215, v171 :: v_dual_fmac_f32 v37, v241, v160
	s_delay_alu instid0(VALU_DEP_3) | instskip(NEXT) | instid1(VALU_DEP_3)
	v_dual_fma_f32 v23, v240, v160, -v23 :: v_dual_add_f32 v7, v7, v35
	v_dual_add_f32 v9, v9, v21 :: v_dual_fmac_f32 v39, v243, v162
	v_dual_mul_f32 v21, v217, v173 :: v_dual_fma_f32 v11, v242, v162, -v11
	s_delay_alu instid0(VALU_DEP_2) | instskip(SKIP_1) | instid1(VALU_DEP_2)
	v_dual_add_f32 v7, v7, v37 :: v_dual_add_f32 v9, v9, v23
	v_dual_mul_f32 v43, v246, v167 :: v_dual_mul_f32 v45, v248, v169
	v_dual_fmac_f32 v41, v245, v164 :: v_dual_add_f32 v7, v7, v39
	s_delay_alu instid0(VALU_DEP_3) | instskip(SKIP_1) | instid1(VALU_DEP_3)
	v_dual_fma_f32 v13, v244, v164, -v13 :: v_dual_add_f32 v9, v9, v11
	s_wait_loadcnt 0x4
	v_dual_mov_b32 v132, v177 :: v_dual_fmac_f32 v43, v247, v166
	s_delay_alu instid0(VALU_DEP_3) | instskip(NEXT) | instid1(VALU_DEP_3)
	v_dual_fma_f32 v11, v246, v166, -v15 :: v_dual_add_f32 v7, v7, v41
	v_dual_add_f32 v9, v9, v13 :: v_dual_fma_f32 v13, v248, v168, -v17
	s_set_vgpr_msb 64                       ;  msbs: dst=1 src0=0 src1=0 src2=0
	v_dual_mul_f32 v5 /*v261*/, v214, v171 :: v_dual_mul_f32 v7 /*v263*/, v216, v173
	s_set_vgpr_msb 0                        ;  msbs: dst=0 src0=0 src1=0 src2=0
	v_dual_fmac_f32 v45, v249, v168 :: v_dual_add_f32 v7, v7, v43
	v_add_f32_e32 v9, v9, v11
	v_pk_mul_f32 v[130:131], v[190:191], v[174:175] op_sel:[1,1] op_sel_hi:[0,1]
	s_set_vgpr_msb 64                       ;  msbs: dst=1 src0=0 src1=0 src2=0
	v_dual_fmac_f32 v5 /*v261*/, v215, v170 :: v_dual_fmac_f32 v7 /*v263*/, v217, v172
	v_dual_fma_f32 v4 /*v260*/, v214, v170, -v19 :: v_dual_fma_f32 v6 /*v262*/, v216, v172, -v21
	s_set_vgpr_msb 0                        ;  msbs: dst=0 src0=0 src1=0 src2=0
	v_add_f32_e32 v139, v7, v45
	v_add_f32_e32 v138, v9, v13
	v_pk_fma_f32 v[140:141], v[190:191], v[174:175], v[130:131] op_sel_hi:[1,0,1]
	v_pk_mul_f32 v[132:133], v[252:253], v[132:133] op_sel_hi:[1,0]
	v_pk_fma_f32 v[130:131], v[190:191], v[174:175], v[130:131] neg_lo:[0,0,1] neg_hi:[0,0,1]
	s_wait_loadcnt 0x3
	v_pk_mul_f32 v[134:135], v[194:195], v[178:179] op_sel:[1,1] op_sel_hi:[0,1]
	s_set_vgpr_msb 4                        ;  msbs: dst=0 src0=0 src1=1 src2=0
	v_pk_add_f32 v[138:139], v[138:139], v[4:5] /*v[260:261]*/
	v_dual_mov_b32 v136, v181 :: v_dual_mov_b32 v131, v141
	s_set_vgpr_msb 0                        ;  msbs: dst=0 src0=0 src1=0 src2=0
	v_pk_fma_f32 v[140:141], v[192:193], v[176:177], v[132:133] op_sel_hi:[1,0,1]
	v_pk_fma_f32 v[132:133], v[192:193], v[176:177], v[132:133] neg_lo:[0,0,1] neg_hi:[0,0,1]
	s_set_vgpr_msb 4                        ;  msbs: dst=0 src0=0 src1=1 src2=0
	v_pk_add_f32 v[138:139], v[138:139], v[6:7] /*v[262:263]*/
	s_set_vgpr_msb 0                        ;  msbs: dst=0 src0=0 src1=0 src2=0
	v_pk_fma_f32 v[144:145], v[194:195], v[178:179], v[134:135] op_sel_hi:[1,0,1]
	v_pk_mul_f32 v[136:137], v[254:255], v[136:137] op_sel_hi:[1,0]
	v_mov_b32_e32 v133, v141
	s_wait_loadcnt 0x2
	v_pk_mul_f32 v[142:143], v[198:199], v[182:183] op_sel:[1,1] op_sel_hi:[0,1]
	v_pk_add_f32 v[130:131], v[138:139], v[130:131]
	v_mov_b32_e32 v138, v185
	v_pk_fma_f32 v[134:135], v[194:195], v[178:179], v[134:135] neg_lo:[0,0,1] neg_hi:[0,0,1]
	v_pk_fma_f32 v[140:141], v[196:197], v[180:181], v[136:137] op_sel_hi:[1,0,1]
	v_mov_b32_e32 v135, v145
	v_pk_add_f32 v[130:131], v[130:131], v[132:133]
	v_pk_fma_f32 v[132:133], v[198:199], v[182:183], v[142:143] op_sel_hi:[1,0,1]
	s_set_vgpr_msb 1                        ;  msbs: dst=0 src0=1 src1=0 src2=0
	v_pk_mul_f32 v[138:139], v[0:1] /*v[256:257]*/, v[138:139] op_sel_hi:[1,0]
	s_set_vgpr_msb 0                        ;  msbs: dst=0 src0=0 src1=0 src2=0
	v_pk_fma_f32 v[136:137], v[196:197], v[180:181], v[136:137] neg_lo:[0,0,1] neg_hi:[0,0,1]
	v_mov_b32_e32 v137, v141
	v_pk_add_f32 v[130:131], v[130:131], v[134:135]
	v_pk_fma_f32 v[140:141], v[198:199], v[182:183], v[142:143] neg_lo:[0,0,1] neg_hi:[0,0,1]
	v_mov_b32_e32 v141, v133
	v_pk_fma_f32 v[132:133], v[200:201], v[184:185], v[138:139] op_sel_hi:[1,0,1]
	s_wait_loadcnt 0x1
	v_pk_mul_f32 v[134:135], v[202:203], v[186:187] op_sel:[1,1] op_sel_hi:[0,1]
	v_pk_add_f32 v[130:131], v[130:131], v[136:137]
	v_mov_b32_e32 v132, v189
	v_pk_fma_f32 v[138:139], v[200:201], v[184:185], v[138:139] neg_lo:[0,0,1] neg_hi:[0,0,1]
	s_delay_alu instid0(VALU_DEP_4)
	v_pk_fma_f32 v[136:137], v[202:203], v[186:187], v[134:135] op_sel_hi:[1,0,1]
	v_mov_b32_e32 v139, v133
	v_pk_add_f32 v[130:131], v[130:131], v[140:141]
	s_set_vgpr_msb 1                        ;  msbs: dst=0 src0=1 src1=0 src2=0
	v_pk_mul_f32 v[132:133], v[2:3] /*v[258:259]*/, v[132:133] op_sel_hi:[1,0]
	s_set_vgpr_msb 0                        ;  msbs: dst=0 src0=0 src1=0 src2=0
	v_pk_fma_f32 v[134:135], v[202:203], v[186:187], v[134:135] neg_lo:[0,0,1] neg_hi:[0,0,1]
	v_mov_b32_e32 v135, v137
	v_pk_add_f32 v[130:131], v[130:131], v[138:139]
	v_pk_fma_f32 v[136:137], v[204:205], v[188:189], v[132:133] op_sel_hi:[1,0,1]
	v_pk_fma_f32 v[132:133], v[204:205], v[188:189], v[132:133] neg_lo:[0,0,1] neg_hi:[0,0,1]
	s_delay_alu instid0(VALU_DEP_3) | instskip(NEXT) | instid1(VALU_DEP_3)
	v_pk_add_f32 v[130:131], v[130:131], v[134:135]
	v_mov_b32_e32 v133, v137
	s_delay_alu instid0(VALU_DEP_1) | instskip(SKIP_1) | instid1(VALU_DEP_1)
	v_pk_add_f32 v[130:131], v[130:131], v[132:133]
	s_wait_loadcnt 0x0
	v_pk_add_f32 v[130:131], v[250:251], v[130:131] neg_lo:[0,1] neg_hi:[0,1]
	scratch_store_b64 off, v[130:131], off offset:264
	s_wait_xcnt 0x0
	v_cmpx_lt_u32_e32 32, v0
	s_cbranch_execz .LBB127_333
; %bb.332:
	scratch_load_b64 v[130:131], off, off offset:256
	v_mov_b64_e32 v[132:133], 0
	scratch_store_b64 off, v[132:133], off offset:256
	s_wait_loadcnt 0x0
	ds_store_b64 v1, v[130:131]
.LBB127_333:
	s_wait_xcnt 0x0
	s_or_b32 exec_lo, exec_lo, s0
	s_wait_storecnt_dscnt 0x0
	s_barrier_signal -1
	s_barrier_wait -1
	s_clause 0x10
	scratch_load_b128 v[130:133], off, off offset:264
	scratch_load_b128 v[134:137], off, off offset:280
	;; [unrolled: 1-line block ×15, first 2 shown]
	scratch_load_b64 v[250:251], off, off offset:504
	scratch_load_b64 v[252:253], off, off offset:256
	v_mov_b32_e32 v7, 0
	ds_load_2addr_b64 v[190:193], v7 offset0:119 offset1:120
	ds_load_2addr_b64 v[194:197], v7 offset0:121 offset1:122
	;; [unrolled: 1-line block ×15, first 2 shown]
	ds_load_b64 v[254:255], v7 offset:1016
	s_mov_b32 s0, exec_lo
	s_wait_dscnt 0xf
	s_set_vgpr_msb 64                       ;  msbs: dst=1 src0=0 src1=0 src2=0
	v_dual_mov_b32 v0 /*v256*/, v193 :: v_dual_mov_b32 v1 /*v257*/, v192
	s_wait_dscnt 0xe
	v_dual_mov_b32 v2 /*v258*/, v197 :: v_dual_mov_b32 v3 /*v259*/, v196
	s_wait_dscnt 0xd
	;; [unrolled: 2-line block ×3, first 2 shown]
	v_dual_mov_b32 v6 /*v262*/, v205 :: v_dual_mov_b32 v7 /*v263*/, v204
	s_wait_loadcnt_dscnt 0x100b
	s_set_vgpr_msb 0                        ;  msbs: dst=0 src0=0 src1=0 src2=0
	v_dual_mul_f32 v9, v206, v131 :: v_dual_mul_f32 v51, v207, v131
	v_dual_mul_f32 v53, v209, v133 :: v_dual_mul_f32 v11, v208, v133
	s_wait_loadcnt_dscnt 0xf09
	v_mul_f32_e32 v13, v214, v135
	s_wait_loadcnt_dscnt 0xd07
	v_dual_mul_f32 v63, v223, v143 :: v_dual_fma_f32 v51, v206, v130, -v51
	v_dual_fmac_f32 v9, v207, v130 :: v_dual_mul_f32 v65, v225, v145
	v_dual_mul_f32 v55, v215, v135 :: v_dual_mul_f32 v57, v217, v137
	v_dual_fmac_f32 v11, v209, v132 :: v_dual_fma_f32 v53, v208, v132, -v53
	s_delay_alu instid0(VALU_DEP_3) | instskip(SKIP_3) | instid1(VALU_DEP_3)
	v_dual_add_f32 v9, 0, v9 :: v_dual_add_f32 v51, 0, v51
	v_dual_mul_f32 v15, v216, v137 :: v_dual_mul_f32 v17, v218, v139
	s_wait_loadcnt_dscnt 0xc06
	v_dual_mul_f32 v67, v227, v147 :: v_dual_fma_f32 v55, v214, v134, -v55
	v_dual_fmac_f32 v13, v215, v134 :: v_dual_add_f32 v9, v9, v11
	s_delay_alu instid0(VALU_DEP_3) | instskip(SKIP_2) | instid1(VALU_DEP_3)
	v_dual_add_f32 v11, v51, v53 :: v_dual_fmac_f32 v15, v217, v136
	v_dual_mul_f32 v59, v219, v139 :: v_dual_mul_f32 v61, v221, v141
	v_dual_mul_f32 v51, v229, v149 :: v_dual_fma_f32 v53, v216, v136, -v57
	v_dual_add_f32 v9, v9, v13 :: v_dual_add_f32 v11, v11, v55
	v_dual_mul_f32 v19, v220, v141 :: v_dual_mul_f32 v21, v222, v143
	s_wait_loadcnt_dscnt 0xb05
	v_dual_mul_f32 v13, v231, v151 :: v_dual_fma_f32 v55, v218, v138, -v59
	s_delay_alu instid0(VALU_DEP_3) | instskip(NEXT) | instid1(VALU_DEP_3)
	v_dual_fmac_f32 v17, v219, v138 :: v_dual_add_f32 v9, v9, v15
	v_dual_add_f32 v11, v11, v53 :: v_dual_fmac_f32 v19, v221, v140
	v_dual_mul_f32 v15, v233, v153 :: v_dual_fma_f32 v53, v220, v140, -v61
	s_delay_alu instid0(VALU_DEP_2) | instskip(SKIP_3) | instid1(VALU_DEP_3)
	v_dual_add_f32 v9, v9, v17 :: v_dual_add_f32 v11, v11, v55
	v_dual_mul_f32 v23, v224, v145 :: v_dual_mul_f32 v25, v226, v147
	s_wait_loadcnt_dscnt 0xa04
	v_dual_mul_f32 v17, v235, v155 :: v_dual_fma_f32 v55, v222, v142, -v63
	v_dual_fmac_f32 v21, v223, v142 :: v_dual_add_f32 v9, v9, v19
	s_delay_alu instid0(VALU_DEP_3) | instskip(SKIP_1) | instid1(VALU_DEP_2)
	v_dual_add_f32 v11, v11, v53 :: v_dual_fmac_f32 v23, v225, v144
	v_dual_mul_f32 v19, v237, v157 :: v_dual_fma_f32 v53, v224, v144, -v65
	v_dual_add_f32 v9, v9, v21 :: v_dual_add_f32 v11, v11, v55
	v_dual_mul_f32 v27, v228, v149 :: v_dual_mul_f32 v29, v230, v151
	s_wait_loadcnt_dscnt 0x903
	v_dual_mul_f32 v21, v239, v159 :: v_dual_fma_f32 v55, v226, v146, -v67
	s_delay_alu instid0(VALU_DEP_3) | instskip(NEXT) | instid1(VALU_DEP_3)
	v_dual_fmac_f32 v25, v227, v146 :: v_dual_add_f32 v9, v9, v23
	v_dual_add_f32 v11, v11, v53 :: v_dual_fmac_f32 v27, v229, v148
	v_dual_mul_f32 v23, v241, v161 :: v_dual_fma_f32 v51, v228, v148, -v51
	s_delay_alu instid0(VALU_DEP_2) | instskip(SKIP_3) | instid1(VALU_DEP_3)
	v_dual_add_f32 v9, v9, v25 :: v_dual_add_f32 v11, v11, v55
	v_dual_mul_f32 v31, v232, v153 :: v_dual_mul_f32 v33, v234, v155
	s_wait_loadcnt_dscnt 0x802
	v_dual_mul_f32 v25, v243, v163 :: v_dual_fma_f32 v13, v230, v150, -v13
	v_dual_fmac_f32 v29, v231, v150 :: v_dual_add_f32 v9, v9, v27
	v_dual_add_f32 v11, v11, v51 :: v_dual_mul_f32 v27, v245, v165
	v_fmac_f32_e32 v31, v233, v152
	s_delay_alu instid0(VALU_DEP_3) | instskip(NEXT) | instid1(VALU_DEP_3)
	v_dual_fma_f32 v15, v232, v152, -v15 :: v_dual_add_f32 v9, v9, v29
	v_add_f32_e32 v11, v11, v13
	v_dual_mul_f32 v35, v236, v157 :: v_dual_mul_f32 v37, v238, v159
	s_wait_loadcnt_dscnt 0x701
	v_dual_mul_f32 v13, v247, v167 :: v_dual_fma_f32 v17, v234, v154, -v17
	v_dual_fmac_f32 v33, v235, v154 :: v_dual_add_f32 v9, v9, v31
	v_dual_add_f32 v11, v11, v15 :: v_dual_mul_f32 v15, v249, v169
	v_fmac_f32_e32 v35, v237, v156
	s_delay_alu instid0(VALU_DEP_3) | instskip(NEXT) | instid1(VALU_DEP_3)
	v_dual_fma_f32 v19, v236, v156, -v19 :: v_dual_add_f32 v9, v9, v33
	v_add_f32_e32 v11, v11, v17
	v_dual_mul_f32 v39, v240, v161 :: v_dual_mul_f32 v41, v242, v163
	s_wait_loadcnt 0x6
	v_dual_mul_f32 v17, v211, v171 :: v_dual_fma_f32 v21, v238, v158, -v21
	v_dual_fmac_f32 v37, v239, v158 :: v_dual_add_f32 v9, v9, v35
	v_dual_add_f32 v11, v11, v19 :: v_dual_mul_f32 v19, v213, v173
	v_fmac_f32_e32 v39, v241, v160
	s_delay_alu instid0(VALU_DEP_3) | instskip(NEXT) | instid1(VALU_DEP_3)
	v_dual_fma_f32 v23, v240, v160, -v23 :: v_dual_add_f32 v9, v9, v37
	v_add_f32_e32 v11, v11, v21
	v_dual_mul_f32 v43, v244, v165 :: v_dual_mul_f32 v45, v246, v167
	s_wait_loadcnt 0x5
	v_dual_mul_f32 v21, v191, v175 :: v_dual_fma_f32 v25, v242, v162, -v25
	v_dual_fmac_f32 v41, v243, v162 :: v_dual_add_f32 v9, v9, v39
	v_dual_add_f32 v11, v11, v23 :: v_dual_mov_b32 v130, v177
	v_fmac_f32_e32 v43, v245, v164
	s_delay_alu instid0(VALU_DEP_3) | instskip(NEXT) | instid1(VALU_DEP_3)
	v_dual_fma_f32 v23, v244, v164, -v27 :: v_dual_add_f32 v9, v9, v41
	v_add_f32_e32 v11, v11, v25
	v_dual_mul_f32 v47, v248, v169 :: v_dual_mul_f32 v49, v210, v171
	s_delay_alu instid0(VALU_DEP_3) | instskip(NEXT) | instid1(VALU_DEP_3)
	v_dual_fmac_f32 v45, v247, v166 :: v_dual_add_f32 v9, v9, v43
	v_dual_fma_f32 v13, v246, v166, -v13 :: v_dual_add_f32 v11, v11, v23
	s_wait_loadcnt 0x4
	v_dual_mov_b32 v134, v181 :: v_dual_fma_f32 v15, v248, v168, -v15
	v_fmac_f32_e32 v47, v249, v168
	v_dual_add_f32 v9, v9, v45 :: v_dual_fmac_f32 v49, v211, v170
	v_add_f32_e32 v11, v11, v13
	s_set_vgpr_msb 64                       ;  msbs: dst=1 src0=0 src1=0 src2=0
	v_dual_mul_f32 v9 /*v265*/, v212, v173 :: v_dual_mul_f32 v11 /*v267*/, v190, v175
	s_set_vgpr_msb 0                        ;  msbs: dst=0 src0=0 src1=0 src2=0
	v_dual_fma_f32 v13, v210, v170, -v17 :: v_dual_add_f32 v9, v9, v47
	v_add_f32_e32 v11, v11, v15
	s_set_vgpr_msb 64                       ;  msbs: dst=1 src0=0 src1=0 src2=0
	v_dual_fmac_f32 v9 /*v265*/, v213, v172 :: v_dual_fmac_f32 v11 /*v267*/, v191, v174
	v_dual_fma_f32 v8 /*v264*/, v212, v172, -v19 :: v_dual_fma_f32 v10 /*v266*/, v190, v174, -v21
	s_set_vgpr_msb 1                        ;  msbs: dst=0 src0=1 src1=0 src2=0
	v_pk_mul_f32 v[130:131], v[0:1] /*v[256:257]*/, v[130:131] op_sel_hi:[1,0]
	s_set_vgpr_msb 0                        ;  msbs: dst=0 src0=0 src1=0 src2=0
	v_add_f32_e32 v139, v9, v49
	s_wait_loadcnt 0x3
	v_dual_add_f32 v138, v11, v13 :: v_dual_mov_b32 v140, v185
	v_pk_mul_f32 v[132:133], v[194:195], v[178:179] op_sel:[1,1] op_sel_hi:[0,1]
	v_pk_fma_f32 v[142:143], v[192:193], v[176:177], v[130:131] op_sel_hi:[1,0,1]
	v_pk_fma_f32 v[130:131], v[192:193], v[176:177], v[130:131] neg_lo:[0,0,1] neg_hi:[0,0,1]
	s_set_vgpr_msb 4                        ;  msbs: dst=0 src0=0 src1=1 src2=0
	v_pk_add_f32 v[138:139], v[138:139], v[8:9] /*v[264:265]*/
	s_set_vgpr_msb 1                        ;  msbs: dst=0 src0=1 src1=0 src2=0
	v_pk_mul_f32 v[134:135], v[2:3] /*v[258:259]*/, v[134:135] op_sel_hi:[1,0]
	s_set_vgpr_msb 0                        ;  msbs: dst=0 src0=0 src1=0 src2=0
	v_pk_fma_f32 v[144:145], v[194:195], v[178:179], v[132:133] op_sel_hi:[1,0,1]
	v_mov_b32_e32 v131, v143
	v_pk_fma_f32 v[132:133], v[194:195], v[178:179], v[132:133] neg_lo:[0,0,1] neg_hi:[0,0,1]
	s_set_vgpr_msb 4                        ;  msbs: dst=0 src0=0 src1=1 src2=0
	v_pk_add_f32 v[138:139], v[138:139], v[10:11] /*v[266:267]*/
	s_set_vgpr_msb 0                        ;  msbs: dst=0 src0=0 src1=0 src2=0
	v_pk_mul_f32 v[136:137], v[198:199], v[182:183] op_sel:[1,1] op_sel_hi:[0,1]
	v_mov_b32_e32 v133, v145
	v_pk_fma_f32 v[144:145], v[196:197], v[180:181], v[134:135] op_sel_hi:[1,0,1]
	v_pk_fma_f32 v[134:135], v[196:197], v[180:181], v[134:135] neg_lo:[0,0,1] neg_hi:[0,0,1]
	v_pk_add_f32 v[130:131], v[138:139], v[130:131]
	v_pk_fma_f32 v[138:139], v[198:199], v[182:183], v[136:137] op_sel_hi:[1,0,1]
	s_set_vgpr_msb 1                        ;  msbs: dst=0 src0=1 src1=0 src2=0
	v_pk_mul_f32 v[140:141], v[4:5] /*v[260:261]*/, v[140:141] op_sel_hi:[1,0]
	s_set_vgpr_msb 0                        ;  msbs: dst=0 src0=0 src1=0 src2=0
	v_mov_b32_e32 v135, v145
	v_pk_fma_f32 v[136:137], v[198:199], v[182:183], v[136:137] neg_lo:[0,0,1] neg_hi:[0,0,1]
	v_pk_add_f32 v[130:131], v[130:131], v[132:133]
	s_wait_loadcnt 0x2
	v_pk_mul_f32 v[142:143], v[202:203], v[186:187] op_sel:[1,1] op_sel_hi:[0,1]
	v_dual_mov_b32 v132, v189 :: v_dual_mov_b32 v137, v139
	v_pk_fma_f32 v[138:139], v[200:201], v[184:185], v[140:141] op_sel_hi:[1,0,1]
	v_pk_add_f32 v[130:131], v[130:131], v[134:135]
	v_pk_fma_f32 v[140:141], v[200:201], v[184:185], v[140:141] neg_lo:[0,0,1] neg_hi:[0,0,1]
	v_pk_fma_f32 v[134:135], v[202:203], v[186:187], v[142:143] op_sel_hi:[1,0,1]
	s_set_vgpr_msb 1                        ;  msbs: dst=0 src0=1 src1=0 src2=0
	v_pk_mul_f32 v[132:133], v[6:7] /*v[262:263]*/, v[132:133] op_sel_hi:[1,0]
	s_set_vgpr_msb 0                        ;  msbs: dst=0 src0=0 src1=0 src2=0
	v_mov_b32_e32 v141, v139
	v_pk_add_f32 v[130:131], v[130:131], v[136:137]
	v_pk_fma_f32 v[136:137], v[202:203], v[186:187], v[142:143] neg_lo:[0,0,1] neg_hi:[0,0,1]
	v_mov_b32_e32 v137, v135
	v_pk_fma_f32 v[134:135], v[204:205], v[188:189], v[132:133] op_sel_hi:[1,0,1]
	s_wait_loadcnt_dscnt 0x100
	v_pk_mul_f32 v[138:139], v[254:255], v[250:251] op_sel:[1,1] op_sel_hi:[0,1]
	v_pk_add_f32 v[130:131], v[130:131], v[140:141]
	v_pk_fma_f32 v[132:133], v[204:205], v[188:189], v[132:133] neg_lo:[0,0,1] neg_hi:[0,0,1]
	v_mov_b32_e32 v133, v135
	s_delay_alu instid0(VALU_DEP_4) | instskip(NEXT) | instid1(VALU_DEP_4)
	v_pk_fma_f32 v[134:135], v[254:255], v[250:251], v[138:139] op_sel_hi:[1,0,1]
	v_pk_add_f32 v[130:131], v[130:131], v[136:137]
	v_pk_fma_f32 v[136:137], v[254:255], v[250:251], v[138:139] neg_lo:[0,0,1] neg_hi:[0,0,1]
	s_delay_alu instid0(VALU_DEP_3) | instskip(NEXT) | instid1(VALU_DEP_3)
	v_mov_b32_e32 v137, v135
	v_pk_add_f32 v[130:131], v[130:131], v[132:133]
	s_delay_alu instid0(VALU_DEP_1) | instskip(SKIP_1) | instid1(VALU_DEP_1)
	v_pk_add_f32 v[130:131], v[130:131], v[136:137]
	s_wait_loadcnt 0x0
	v_pk_add_f32 v[130:131], v[252:253], v[130:131] neg_lo:[0,1] neg_hi:[0,1]
	scratch_store_b64 off, v[130:131], off offset:256
	s_wait_xcnt 0x0
	v_cmpx_lt_u32_e32 31, v0
	s_cbranch_execz .LBB127_335
; %bb.334:
	scratch_load_b64 v[130:131], off, off offset:248
	v_mov_b64_e32 v[132:133], 0
	scratch_store_b64 off, v[132:133], off offset:248
	s_wait_loadcnt 0x0
	ds_store_b64 v1, v[130:131]
.LBB127_335:
	s_wait_xcnt 0x0
	s_or_b32 exec_lo, exec_lo, s0
	s_wait_storecnt_dscnt 0x0
	s_barrier_signal -1
	s_barrier_wait -1
	s_clause 0x11
	scratch_load_b128 v[130:133], off, off offset:256
	scratch_load_b128 v[134:137], off, off offset:272
	;; [unrolled: 1-line block ×16, first 2 shown]
	s_set_vgpr_msb 64                       ;  msbs: dst=1 src0=0 src1=0 src2=0
	scratch_load_b64 v[2:3] /*v[258:259]*/, off, off offset:248
	s_set_vgpr_msb 0                        ;  msbs: dst=0 src0=0 src1=0 src2=0
	ds_load_b128 v[194:197], v7 offset:960
	ds_load_b128 v[198:201], v7 offset:976
	;; [unrolled: 1-line block ×16, first 2 shown]
	s_mov_b32 s0, exec_lo
	s_wait_dscnt 0xf
	s_set_vgpr_msb 64                       ;  msbs: dst=1 src0=0 src1=0 src2=0
	v_dual_mov_b32 v4 /*v260*/, v197 :: v_dual_mov_b32 v5 /*v261*/, v196
	s_wait_dscnt 0xe
	v_dual_mov_b32 v6 /*v262*/, v201 :: v_dual_mov_b32 v7 /*v263*/, v200
	s_wait_dscnt 0xd
	;; [unrolled: 2-line block ×3, first 2 shown]
	v_dual_mov_b32 v10 /*v266*/, v209 :: v_dual_mov_b32 v11 /*v267*/, v208
	s_wait_loadcnt_dscnt 0x100b
	s_set_vgpr_msb 0                        ;  msbs: dst=0 src0=0 src1=0 src2=0
	v_dual_mul_f32 v7, v210, v131 :: v_dual_mul_f32 v9, v212, v133
	v_dual_mul_f32 v51, v211, v131 :: v_dual_mul_f32 v53, v213, v133
	s_wait_loadcnt_dscnt 0xf0a
	v_dual_mul_f32 v11, v214, v135 :: v_dual_mul_f32 v13, v216, v137
	s_delay_alu instid0(VALU_DEP_3) | instskip(SKIP_3) | instid1(VALU_DEP_3)
	v_dual_fmac_f32 v7, v211, v130 :: v_dual_fmac_f32 v9, v213, v132
	s_wait_loadcnt_dscnt 0xd08
	v_dual_fma_f32 v51, v210, v130, -v51 :: v_dual_mul_f32 v63, v223, v143
	v_dual_mul_f32 v55, v215, v135 :: v_dual_mul_f32 v57, v217, v137
	v_dual_fma_f32 v53, v212, v132, -v53 :: v_dual_add_f32 v7, 0, v7
	s_delay_alu instid0(VALU_DEP_3) | instskip(SKIP_1) | instid1(VALU_DEP_3)
	v_dual_add_f32 v51, 0, v51 :: v_dual_mul_f32 v65, v225, v145
	v_dual_fmac_f32 v11, v215, v134 :: v_dual_fmac_f32 v13, v217, v136
	v_dual_fma_f32 v55, v214, v134, -v55 :: v_dual_add_f32 v7, v7, v9
	s_delay_alu instid0(VALU_DEP_3) | instskip(SKIP_2) | instid1(VALU_DEP_4)
	v_dual_add_f32 v9, v51, v53 :: v_dual_fma_f32 v53, v216, v136, -v57
	v_dual_mul_f32 v15, v218, v139 :: v_dual_mul_f32 v17, v220, v141
	v_dual_mul_f32 v59, v219, v139 :: v_dual_mul_f32 v61, v221, v141
	v_add_f32_e32 v7, v7, v11
	s_delay_alu instid0(VALU_DEP_3) | instskip(NEXT) | instid1(VALU_DEP_3)
	v_dual_add_f32 v9, v9, v55 :: v_dual_fmac_f32 v15, v219, v138
	v_fma_f32 v55, v218, v138, -v59
	v_dual_mul_f32 v19, v222, v143 :: v_dual_mul_f32 v21, v224, v145
	s_delay_alu instid0(VALU_DEP_4) | instskip(SKIP_2) | instid1(VALU_DEP_2)
	v_dual_add_f32 v7, v7, v13 :: v_dual_fmac_f32 v17, v221, v140
	s_wait_loadcnt_dscnt 0xb06
	v_dual_add_f32 v9, v9, v53 :: v_dual_mul_f32 v13, v231, v151
	v_dual_fma_f32 v53, v220, v140, -v61 :: v_dual_add_f32 v7, v7, v15
	v_mul_f32_e32 v15, v233, v153
	s_delay_alu instid0(VALU_DEP_3) | instskip(NEXT) | instid1(VALU_DEP_3)
	v_dual_add_f32 v9, v9, v55 :: v_dual_fmac_f32 v19, v223, v142
	v_dual_fma_f32 v55, v222, v142, -v63 :: v_dual_add_f32 v7, v7, v17
	v_fmac_f32_e32 v21, v225, v144
	s_wait_loadcnt_dscnt 0xa05
	s_delay_alu instid0(VALU_DEP_3) | instskip(SKIP_3) | instid1(VALU_DEP_3)
	v_dual_add_f32 v9, v9, v53 :: v_dual_mul_f32 v17, v235, v155
	v_dual_mul_f32 v23, v226, v147 :: v_dual_mul_f32 v25, v228, v149
	v_dual_mul_f32 v51, v227, v147 :: v_dual_mul_f32 v11, v229, v149
	v_dual_fma_f32 v53, v224, v144, -v65 :: v_dual_add_f32 v7, v7, v19
	v_dual_add_f32 v9, v9, v55 :: v_dual_fmac_f32 v23, v227, v146
	s_delay_alu instid0(VALU_DEP_3) | instskip(NEXT) | instid1(VALU_DEP_3)
	v_dual_mul_f32 v19, v237, v157 :: v_dual_fma_f32 v51, v226, v146, -v51
	v_dual_add_f32 v7, v7, v21 :: v_dual_fmac_f32 v25, v229, v148
	s_wait_loadcnt_dscnt 0x904
	s_delay_alu instid0(VALU_DEP_3) | instskip(SKIP_1) | instid1(VALU_DEP_3)
	v_dual_add_f32 v9, v9, v53 :: v_dual_mul_f32 v21, v239, v159
	v_dual_mul_f32 v27, v230, v151 :: v_dual_mul_f32 v29, v232, v153
	v_dual_fma_f32 v11, v228, v148, -v11 :: v_dual_add_f32 v7, v7, v23
	s_delay_alu instid0(VALU_DEP_2) | instskip(SKIP_1) | instid1(VALU_DEP_2)
	v_dual_add_f32 v9, v9, v51 :: v_dual_fmac_f32 v27, v231, v150
	v_dual_mul_f32 v23, v241, v161 :: v_dual_fma_f32 v13, v230, v150, -v13
	v_dual_add_f32 v7, v7, v25 :: v_dual_add_f32 v9, v9, v11
	v_dual_mul_f32 v31, v234, v155 :: v_dual_mul_f32 v33, v236, v157
	s_wait_loadcnt_dscnt 0x803
	v_dual_mul_f32 v11, v243, v163 :: v_dual_fmac_f32 v29, v233, v152
	s_delay_alu instid0(VALU_DEP_3) | instskip(NEXT) | instid1(VALU_DEP_3)
	v_dual_fma_f32 v15, v232, v152, -v15 :: v_dual_add_f32 v7, v7, v27
	v_dual_add_f32 v9, v9, v13 :: v_dual_fmac_f32 v31, v235, v154
	v_dual_mul_f32 v13, v245, v165 :: v_dual_fma_f32 v17, v234, v154, -v17
	s_delay_alu instid0(VALU_DEP_2) | instskip(SKIP_3) | instid1(VALU_DEP_3)
	v_dual_add_f32 v7, v7, v29 :: v_dual_add_f32 v9, v9, v15
	v_dual_mul_f32 v35, v238, v159 :: v_dual_mul_f32 v37, v240, v161
	s_wait_loadcnt_dscnt 0x702
	v_dual_mul_f32 v15, v247, v167 :: v_dual_fmac_f32 v33, v237, v156
	v_dual_fma_f32 v19, v236, v156, -v19 :: v_dual_add_f32 v7, v7, v31
	s_delay_alu instid0(VALU_DEP_3) | instskip(SKIP_1) | instid1(VALU_DEP_2)
	v_dual_add_f32 v9, v9, v17 :: v_dual_fmac_f32 v35, v239, v158
	v_dual_mul_f32 v17, v249, v169 :: v_dual_fma_f32 v21, v238, v158, -v21
	v_dual_add_f32 v7, v7, v33 :: v_dual_add_f32 v9, v9, v19
	v_dual_mul_f32 v39, v242, v163 :: v_dual_mul_f32 v41, v244, v165
	s_wait_loadcnt_dscnt 0x601
	v_dual_mul_f32 v19, v251, v171 :: v_dual_fmac_f32 v37, v241, v160
	s_delay_alu instid0(VALU_DEP_3) | instskip(NEXT) | instid1(VALU_DEP_3)
	v_dual_fma_f32 v23, v240, v160, -v23 :: v_dual_add_f32 v7, v7, v35
	v_dual_add_f32 v9, v9, v21 :: v_dual_fmac_f32 v39, v243, v162
	v_dual_mul_f32 v21, v253, v173 :: v_dual_fma_f32 v11, v242, v162, -v11
	s_delay_alu instid0(VALU_DEP_2) | instskip(SKIP_3) | instid1(VALU_DEP_3)
	v_dual_add_f32 v7, v7, v37 :: v_dual_add_f32 v9, v9, v23
	v_dual_mul_f32 v43, v246, v167 :: v_dual_mul_f32 v45, v248, v169
	s_wait_loadcnt_dscnt 0x500
	v_dual_mul_f32 v23, v255, v175 :: v_dual_fmac_f32 v41, v245, v164
	v_dual_fma_f32 v13, v244, v164, -v13 :: v_dual_add_f32 v7, v7, v39
	s_delay_alu instid0(VALU_DEP_3) | instskip(SKIP_2) | instid1(VALU_DEP_4)
	v_dual_add_f32 v9, v9, v11 :: v_dual_fmac_f32 v43, v247, v166
	v_fma_f32 v15, v246, v166, -v15
	v_dual_mul_f32 v47, v250, v171 :: v_dual_mul_f32 v49, v252, v173
	v_add_f32_e32 v7, v7, v41
	s_delay_alu instid0(VALU_DEP_4) | instskip(SKIP_2) | instid1(VALU_DEP_3)
	v_dual_add_f32 v9, v9, v13 :: v_dual_fma_f32 v13, v248, v168, -v17
	v_fmac_f32_e32 v45, v249, v168
	s_wait_loadcnt 0x4
	v_dual_mov_b32 v132, v181 :: v_dual_add_f32 v7, v7, v43
	s_delay_alu instid0(VALU_DEP_3)
	v_dual_add_f32 v9, v9, v15 :: v_dual_fmac_f32 v47, v251, v170
	v_fma_f32 v15, v250, v170, -v19
	s_set_vgpr_msb 64                       ;  msbs: dst=1 src0=0 src1=0 src2=0
	v_dual_mul_f32 v13 /*v269*/, v254, v175 :: v_dual_fma_f32 v12 /*v268*/, v254, v174, -v23
	s_set_vgpr_msb 0                        ;  msbs: dst=0 src0=0 src1=0 src2=0
	v_dual_add_f32 v7, v7, v45 :: v_dual_fmac_f32 v49, v253, v172
	v_dual_add_f32 v9, v9, v13 :: v_dual_fma_f32 v13, v252, v172, -v21
	s_wait_loadcnt 0x3
	s_delay_alu instid0(VALU_DEP_2)
	v_dual_mov_b32 v136, v185 :: v_dual_add_f32 v7, v7, v47
	s_set_vgpr_msb 1                        ;  msbs: dst=0 src0=1 src1=0 src2=0
	v_mul_f32_e32 v11, v1 /*v257*/, v177
	s_set_vgpr_msb 0                        ;  msbs: dst=0 src0=0 src1=0 src2=0
	v_add_f32_e32 v9, v9, v15
	s_set_vgpr_msb 0x41                     ;  msbs: dst=1 src0=1 src1=0 src2=0
	v_mul_f32_e32 v15 /*v271*/, v0 /*v256*/, v177
	s_set_vgpr_msb 0                        ;  msbs: dst=0 src0=0 src1=0 src2=0
	v_pk_mul_f32 v[130:131], v[194:195], v[178:179] op_sel:[1,1] op_sel_hi:[0,1]
	s_set_vgpr_msb 64                       ;  msbs: dst=1 src0=0 src1=0 src2=0
	v_fmac_f32_e32 v13 /*v269*/, v255, v174
	s_set_vgpr_msb 0                        ;  msbs: dst=0 src0=0 src1=0 src2=0
	v_add_f32_e32 v139, v7, v49
	v_add_f32_e32 v138, v9, v13
	s_set_vgpr_msb 0x41                     ;  msbs: dst=1 src0=1 src1=0 src2=0
	v_fma_f32 v14 /*v270*/, v0 /*v256*/, v176, -v11
	v_fmac_f32_e32 v15 /*v271*/, v1 /*v257*/, v176
	s_set_vgpr_msb 0                        ;  msbs: dst=0 src0=0 src1=0 src2=0
	v_pk_fma_f32 v[140:141], v[194:195], v[178:179], v[130:131] op_sel_hi:[1,0,1]
	s_set_vgpr_msb 1                        ;  msbs: dst=0 src0=1 src1=0 src2=0
	v_pk_mul_f32 v[132:133], v[4:5] /*v[260:261]*/, v[132:133] op_sel_hi:[1,0]
	s_set_vgpr_msb 4                        ;  msbs: dst=0 src0=0 src1=1 src2=0
	v_pk_add_f32 v[138:139], v[138:139], v[12:13] /*v[268:269]*/
	s_set_vgpr_msb 0                        ;  msbs: dst=0 src0=0 src1=0 src2=0
	v_pk_fma_f32 v[130:131], v[194:195], v[178:179], v[130:131] neg_lo:[0,0,1] neg_hi:[0,0,1]
	v_pk_mul_f32 v[134:135], v[198:199], v[182:183] op_sel:[1,1] op_sel_hi:[0,1]
	v_mov_b32_e32 v131, v141
	v_pk_fma_f32 v[140:141], v[196:197], v[180:181], v[132:133] op_sel_hi:[1,0,1]
	s_set_vgpr_msb 4                        ;  msbs: dst=0 src0=0 src1=1 src2=0
	v_pk_add_f32 v[138:139], v[138:139], v[14:15] /*v[270:271]*/
	s_set_vgpr_msb 0                        ;  msbs: dst=0 src0=0 src1=0 src2=0
	v_pk_fma_f32 v[132:133], v[196:197], v[180:181], v[132:133] neg_lo:[0,0,1] neg_hi:[0,0,1]
	v_pk_fma_f32 v[144:145], v[198:199], v[182:183], v[134:135] op_sel_hi:[1,0,1]
	s_set_vgpr_msb 1                        ;  msbs: dst=0 src0=1 src1=0 src2=0
	v_pk_mul_f32 v[136:137], v[6:7] /*v[262:263]*/, v[136:137] op_sel_hi:[1,0]
	s_set_vgpr_msb 0                        ;  msbs: dst=0 src0=0 src1=0 src2=0
	v_mov_b32_e32 v133, v141
	v_pk_add_f32 v[130:131], v[138:139], v[130:131]
	s_wait_loadcnt 0x2
	v_pk_mul_f32 v[142:143], v[202:203], v[186:187] op_sel:[1,1] op_sel_hi:[0,1]
	v_mov_b32_e32 v138, v189
	v_pk_fma_f32 v[134:135], v[198:199], v[182:183], v[134:135] neg_lo:[0,0,1] neg_hi:[0,0,1]
	v_mov_b32_e32 v135, v145
	v_pk_fma_f32 v[140:141], v[200:201], v[184:185], v[136:137] op_sel_hi:[1,0,1]
	v_pk_add_f32 v[130:131], v[130:131], v[132:133]
	v_pk_fma_f32 v[132:133], v[202:203], v[186:187], v[142:143] op_sel_hi:[1,0,1]
	s_set_vgpr_msb 1                        ;  msbs: dst=0 src0=1 src1=0 src2=0
	v_pk_mul_f32 v[138:139], v[8:9] /*v[264:265]*/, v[138:139] op_sel_hi:[1,0]
	s_set_vgpr_msb 0                        ;  msbs: dst=0 src0=0 src1=0 src2=0
	v_pk_fma_f32 v[136:137], v[200:201], v[184:185], v[136:137] neg_lo:[0,0,1] neg_hi:[0,0,1]
	v_mov_b32_e32 v137, v141
	v_pk_add_f32 v[130:131], v[130:131], v[134:135]
	v_pk_fma_f32 v[140:141], v[202:203], v[186:187], v[142:143] neg_lo:[0,0,1] neg_hi:[0,0,1]
	v_mov_b32_e32 v141, v133
	v_pk_fma_f32 v[132:133], v[204:205], v[188:189], v[138:139] op_sel_hi:[1,0,1]
	s_wait_loadcnt 0x1
	v_pk_mul_f32 v[134:135], v[206:207], v[190:191] op_sel:[1,1] op_sel_hi:[0,1]
	v_pk_add_f32 v[130:131], v[130:131], v[136:137]
	v_mov_b32_e32 v132, v193
	v_pk_fma_f32 v[138:139], v[204:205], v[188:189], v[138:139] neg_lo:[0,0,1] neg_hi:[0,0,1]
	v_mov_b32_e32 v139, v133
	v_pk_fma_f32 v[136:137], v[206:207], v[190:191], v[134:135] op_sel_hi:[1,0,1]
	v_pk_add_f32 v[130:131], v[130:131], v[140:141]
	s_set_vgpr_msb 1                        ;  msbs: dst=0 src0=1 src1=0 src2=0
	v_pk_mul_f32 v[132:133], v[10:11] /*v[266:267]*/, v[132:133] op_sel_hi:[1,0]
	s_set_vgpr_msb 0                        ;  msbs: dst=0 src0=0 src1=0 src2=0
	v_pk_fma_f32 v[134:135], v[206:207], v[190:191], v[134:135] neg_lo:[0,0,1] neg_hi:[0,0,1]
	v_mov_b32_e32 v135, v137
	v_pk_add_f32 v[130:131], v[130:131], v[138:139]
	v_pk_fma_f32 v[136:137], v[208:209], v[192:193], v[132:133] op_sel_hi:[1,0,1]
	v_pk_fma_f32 v[132:133], v[208:209], v[192:193], v[132:133] neg_lo:[0,0,1] neg_hi:[0,0,1]
	s_delay_alu instid0(VALU_DEP_2) | instskip(NEXT) | instid1(VALU_DEP_4)
	v_mov_b32_e32 v133, v137
	v_pk_add_f32 v[130:131], v[130:131], v[134:135]
	s_delay_alu instid0(VALU_DEP_1) | instskip(SKIP_2) | instid1(VALU_DEP_1)
	v_pk_add_f32 v[130:131], v[130:131], v[132:133]
	s_wait_loadcnt 0x0
	s_set_vgpr_msb 1                        ;  msbs: dst=0 src0=1 src1=0 src2=0
	v_pk_add_f32 v[130:131], v[2:3] /*v[258:259]*/, v[130:131] neg_lo:[0,1] neg_hi:[0,1]
	scratch_store_b64 off, v[130:131], off offset:248
	s_wait_xcnt 0x0
	v_cmpx_lt_u32_e32 30, v0
	s_set_vgpr_msb 0                        ;  msbs: dst=0 src0=0 src1=0 src2=0
	s_cbranch_execz .LBB127_337
; %bb.336:
	scratch_load_b64 v[130:131], off, off offset:240
	v_mov_b64_e32 v[132:133], 0
	scratch_store_b64 off, v[132:133], off offset:240
	s_wait_loadcnt 0x0
	ds_store_b64 v1, v[130:131]
.LBB127_337:
	s_wait_xcnt 0x0
	s_or_b32 exec_lo, exec_lo, s0
	s_wait_storecnt_dscnt 0x0
	s_barrier_signal -1
	s_barrier_wait -1
	s_clause 0x12
	scratch_load_b128 v[130:133], off, off offset:248
	scratch_load_b128 v[134:137], off, off offset:264
	;; [unrolled: 1-line block ×16, first 2 shown]
	s_set_vgpr_msb 64                       ;  msbs: dst=1 src0=0 src1=0 src2=0
	scratch_load_b64 v[2:3] /*v[258:259]*/, off, off offset:504
	scratch_load_b64 v[4:5] /*v[260:261]*/, off, off offset:240
	s_set_vgpr_msb 0                        ;  msbs: dst=0 src0=0 src1=0 src2=0
	v_mov_b32_e32 v7, 0
	ds_load_2addr_b64 v[194:197], v7 offset0:119 offset1:120
	ds_load_2addr_b64 v[198:201], v7 offset0:121 offset1:122
	;; [unrolled: 1-line block ×16, first 2 shown]
	s_set_vgpr_msb 64                       ;  msbs: dst=1 src0=0 src1=0 src2=0
	ds_load_b64 v[6:7] /*v[262:263]*/, v7 offset:1016
	s_mov_b32 s0, exec_lo
	s_wait_dscnt 0x10
	v_dual_mov_b32 v8 /*v264*/, v197 :: v_dual_mov_b32 v9 /*v265*/, v196
	s_wait_dscnt 0xf
	v_dual_mov_b32 v10 /*v266*/, v201 :: v_dual_mov_b32 v11 /*v267*/, v200
	;; [unrolled: 2-line block ×4, first 2 shown]
	s_wait_loadcnt_dscnt 0x110c
	s_set_vgpr_msb 0                        ;  msbs: dst=0 src0=0 src1=0 src2=0
	v_dual_mul_f32 v9, v210, v131 :: v_dual_mul_f32 v55, v211, v131
	v_dual_mul_f32 v57, v213, v133 :: v_dual_mul_f32 v11, v212, v133
	s_wait_loadcnt_dscnt 0x100b
	v_mul_f32_e32 v13, v214, v135
	s_wait_loadcnt_dscnt 0xe09
	v_dual_mul_f32 v67, v223, v143 :: v_dual_fma_f32 v55, v210, v130, -v55
	v_dual_fmac_f32 v9, v211, v130 :: v_dual_mul_f32 v69, v225, v145
	v_dual_mul_f32 v59, v215, v135 :: v_dual_mul_f32 v61, v217, v137
	v_dual_fmac_f32 v11, v213, v132 :: v_dual_fma_f32 v57, v212, v132, -v57
	s_delay_alu instid0(VALU_DEP_3) | instskip(SKIP_3) | instid1(VALU_DEP_3)
	v_dual_add_f32 v9, 0, v9 :: v_dual_add_f32 v55, 0, v55
	v_dual_mul_f32 v15, v216, v137 :: v_dual_mul_f32 v17, v218, v139
	s_wait_loadcnt_dscnt 0xd08
	v_dual_mul_f32 v71, v227, v147 :: v_dual_fma_f32 v59, v214, v134, -v59
	v_dual_fmac_f32 v13, v215, v134 :: v_dual_add_f32 v9, v9, v11
	s_delay_alu instid0(VALU_DEP_3) | instskip(SKIP_2) | instid1(VALU_DEP_3)
	v_dual_add_f32 v11, v55, v57 :: v_dual_fmac_f32 v15, v217, v136
	v_dual_mul_f32 v63, v219, v139 :: v_dual_mul_f32 v65, v221, v141
	v_dual_mul_f32 v55, v229, v149 :: v_dual_fma_f32 v57, v216, v136, -v61
	v_dual_add_f32 v9, v9, v13 :: v_dual_add_f32 v11, v11, v59
	v_dual_mul_f32 v19, v220, v141 :: v_dual_mul_f32 v21, v222, v143
	s_wait_loadcnt_dscnt 0xc07
	v_dual_mul_f32 v13, v231, v151 :: v_dual_fma_f32 v59, v218, v138, -v63
	s_delay_alu instid0(VALU_DEP_3) | instskip(NEXT) | instid1(VALU_DEP_3)
	v_dual_fmac_f32 v17, v219, v138 :: v_dual_add_f32 v9, v9, v15
	v_dual_add_f32 v11, v11, v57 :: v_dual_fmac_f32 v19, v221, v140
	v_dual_mul_f32 v15, v233, v153 :: v_dual_fma_f32 v57, v220, v140, -v65
	s_delay_alu instid0(VALU_DEP_2) | instskip(SKIP_3) | instid1(VALU_DEP_3)
	v_dual_add_f32 v9, v9, v17 :: v_dual_add_f32 v11, v11, v59
	v_dual_mul_f32 v23, v224, v145 :: v_dual_mul_f32 v25, v226, v147
	s_wait_loadcnt_dscnt 0xb06
	v_dual_mul_f32 v17, v235, v155 :: v_dual_fma_f32 v59, v222, v142, -v67
	v_dual_fmac_f32 v21, v223, v142 :: v_dual_add_f32 v9, v9, v19
	s_delay_alu instid0(VALU_DEP_3) | instskip(SKIP_1) | instid1(VALU_DEP_2)
	v_dual_add_f32 v11, v11, v57 :: v_dual_fmac_f32 v23, v225, v144
	v_dual_mul_f32 v19, v237, v157 :: v_dual_fma_f32 v57, v224, v144, -v69
	v_dual_add_f32 v9, v9, v21 :: v_dual_add_f32 v11, v11, v59
	v_dual_mul_f32 v27, v228, v149 :: v_dual_mul_f32 v29, v230, v151
	s_wait_loadcnt_dscnt 0xa05
	v_dual_mul_f32 v21, v239, v159 :: v_dual_fma_f32 v59, v226, v146, -v71
	s_delay_alu instid0(VALU_DEP_3) | instskip(NEXT) | instid1(VALU_DEP_3)
	v_dual_fmac_f32 v25, v227, v146 :: v_dual_add_f32 v9, v9, v23
	v_dual_add_f32 v11, v11, v57 :: v_dual_fmac_f32 v27, v229, v148
	v_dual_mul_f32 v23, v241, v161 :: v_dual_fma_f32 v55, v228, v148, -v55
	s_delay_alu instid0(VALU_DEP_2) | instskip(SKIP_3) | instid1(VALU_DEP_3)
	v_dual_add_f32 v9, v9, v25 :: v_dual_add_f32 v11, v11, v59
	v_dual_mul_f32 v31, v232, v153 :: v_dual_mul_f32 v33, v234, v155
	s_wait_loadcnt_dscnt 0x904
	v_dual_mul_f32 v25, v243, v163 :: v_dual_fma_f32 v13, v230, v150, -v13
	v_dual_fmac_f32 v29, v231, v150 :: v_dual_add_f32 v9, v9, v27
	v_dual_add_f32 v11, v11, v55 :: v_dual_mul_f32 v27, v245, v165
	v_fmac_f32_e32 v31, v233, v152
	s_delay_alu instid0(VALU_DEP_3) | instskip(NEXT) | instid1(VALU_DEP_3)
	v_dual_fma_f32 v15, v232, v152, -v15 :: v_dual_add_f32 v9, v9, v29
	v_add_f32_e32 v11, v11, v13
	v_dual_mul_f32 v35, v236, v157 :: v_dual_mul_f32 v37, v238, v159
	s_wait_loadcnt_dscnt 0x803
	v_dual_mul_f32 v13, v247, v167 :: v_dual_fma_f32 v17, v234, v154, -v17
	v_dual_fmac_f32 v33, v235, v154 :: v_dual_add_f32 v9, v9, v31
	v_dual_add_f32 v11, v11, v15 :: v_dual_mul_f32 v15, v249, v169
	v_fmac_f32_e32 v35, v237, v156
	s_delay_alu instid0(VALU_DEP_3) | instskip(NEXT) | instid1(VALU_DEP_3)
	v_dual_fma_f32 v19, v236, v156, -v19 :: v_dual_add_f32 v9, v9, v33
	v_add_f32_e32 v11, v11, v17
	;; [unrolled: 9-line block ×3, first 2 shown]
	v_dual_mul_f32 v43, v244, v165 :: v_dual_mul_f32 v45, v246, v167
	s_wait_loadcnt_dscnt 0x601
	v_dual_mul_f32 v21, v255, v175 :: v_dual_fma_f32 v25, v242, v162, -v25
	v_dual_fmac_f32 v41, v243, v162 :: v_dual_add_f32 v9, v9, v39
	s_delay_alu instid0(VALU_DEP_3) | instskip(SKIP_2) | instid1(VALU_DEP_4)
	v_dual_add_f32 v11, v11, v23 :: v_dual_fmac_f32 v43, v245, v164
	v_fma_f32 v27, v244, v164, -v27
	v_dual_mul_f32 v47, v248, v169 :: v_dual_mul_f32 v49, v250, v171
	v_add_f32_e32 v9, v9, v41
	s_delay_alu instid0(VALU_DEP_4) | instskip(NEXT) | instid1(VALU_DEP_3)
	v_dual_add_f32 v11, v11, v25 :: v_dual_fma_f32 v13, v246, v166, -v13
	v_dual_fmac_f32 v45, v247, v166 :: v_dual_fmac_f32 v47, v249, v168
	s_delay_alu instid0(VALU_DEP_3) | instskip(NEXT) | instid1(VALU_DEP_3)
	v_add_f32_e32 v9, v9, v43
	v_dual_add_f32 v11, v11, v27 :: v_dual_fma_f32 v15, v248, v168, -v15
	v_dual_mul_f32 v51, v252, v173 :: v_dual_mul_f32 v53, v254, v175
	s_delay_alu instid0(VALU_DEP_3) | instskip(NEXT) | instid1(VALU_DEP_3)
	v_add_f32_e32 v9, v9, v45
	v_dual_add_f32 v11, v11, v13 :: v_dual_fma_f32 v13, v250, v170, -v17
	v_fmac_f32_e32 v49, v251, v170
	s_wait_loadcnt 0x5
	v_dual_mul_f32 v25, v195, v179 :: v_dual_mov_b32 v130, v181
	v_add_f32_e32 v9, v9, v47
	s_wait_loadcnt 0x4
	v_dual_add_f32 v11, v11, v15 :: v_dual_mov_b32 v134, v185
	v_fmac_f32_e32 v51, v253, v172
	s_delay_alu instid0(VALU_DEP_3) | instskip(NEXT) | instid1(VALU_DEP_3)
	v_dual_fma_f32 v15, v252, v172, -v19 :: v_dual_add_f32 v9, v9, v49
	v_add_f32_e32 v11, v11, v13
	s_set_vgpr_msb 1                        ;  msbs: dst=0 src0=1 src1=0 src2=0
	v_mul_f32_e32 v23, v1 /*v257*/, v177
	s_set_vgpr_msb 0x41                     ;  msbs: dst=1 src0=1 src1=0 src2=0
	v_mul_f32_e32 v17 /*v273*/, v0 /*v256*/, v177
	s_set_vgpr_msb 0                        ;  msbs: dst=0 src0=0 src1=0 src2=0
	v_dual_fmac_f32 v53, v255, v174 :: v_dual_add_f32 v9, v9, v51
	v_dual_fma_f32 v13, v254, v174, -v21 :: v_dual_add_f32 v11, v11, v15
	s_set_vgpr_msb 1                        ;  msbs: dst=0 src0=1 src1=0 src2=0
	v_pk_mul_f32 v[130:131], v[8:9] /*v[264:265]*/, v[130:131] op_sel_hi:[1,0]
	s_set_vgpr_msb 64                       ;  msbs: dst=1 src0=0 src1=0 src2=0
	v_dual_mul_f32 v19 /*v275*/, v194, v179 :: v_dual_fma_f32 v18 /*v274*/, v194, v178, -v25
	s_set_vgpr_msb 0x41                     ;  msbs: dst=1 src0=1 src1=0 src2=0
	v_fma_f32 v16 /*v272*/, v0 /*v256*/, v176, -v23
	v_fmac_f32_e32 v17 /*v273*/, v1 /*v257*/, v176
	s_wait_loadcnt 0x3
	s_set_vgpr_msb 0                        ;  msbs: dst=0 src0=0 src1=0 src2=0
	v_dual_add_f32 v138, v11, v13 :: v_dual_mov_b32 v140, v189
	v_pk_fma_f32 v[142:143], v[196:197], v[180:181], v[130:131] op_sel_hi:[1,0,1]
	v_add_f32_e32 v139, v9, v53
	v_pk_fma_f32 v[130:131], v[196:197], v[180:181], v[130:131] neg_lo:[0,0,1] neg_hi:[0,0,1]
	v_pk_mul_f32 v[132:133], v[198:199], v[182:183] op_sel:[1,1] op_sel_hi:[0,1]
	s_set_vgpr_msb 64                       ;  msbs: dst=1 src0=0 src1=0 src2=0
	v_fmac_f32_e32 v19 /*v275*/, v195, v178
	s_set_vgpr_msb 4                        ;  msbs: dst=0 src0=0 src1=1 src2=0
	v_mov_b32_e32 v131, v143
	v_pk_add_f32 v[138:139], v[138:139], v[16:17] /*v[272:273]*/
	s_set_vgpr_msb 1                        ;  msbs: dst=0 src0=1 src1=0 src2=0
	v_pk_mul_f32 v[134:135], v[10:11] /*v[266:267]*/, v[134:135] op_sel_hi:[1,0]
	s_set_vgpr_msb 0                        ;  msbs: dst=0 src0=0 src1=0 src2=0
	v_pk_fma_f32 v[144:145], v[198:199], v[182:183], v[132:133] op_sel_hi:[1,0,1]
	v_pk_fma_f32 v[132:133], v[198:199], v[182:183], v[132:133] neg_lo:[0,0,1] neg_hi:[0,0,1]
	v_pk_mul_f32 v[136:137], v[202:203], v[186:187] op_sel:[1,1] op_sel_hi:[0,1]
	s_set_vgpr_msb 4                        ;  msbs: dst=0 src0=0 src1=1 src2=0
	v_pk_add_f32 v[138:139], v[138:139], v[18:19] /*v[274:275]*/
	s_set_vgpr_msb 1                        ;  msbs: dst=0 src0=1 src1=0 src2=0
	v_pk_mul_f32 v[140:141], v[12:13] /*v[268:269]*/, v[140:141] op_sel_hi:[1,0]
	s_set_vgpr_msb 0                        ;  msbs: dst=0 src0=0 src1=0 src2=0
	v_mov_b32_e32 v133, v145
	v_pk_fma_f32 v[144:145], v[200:201], v[184:185], v[134:135] op_sel_hi:[1,0,1]
	v_pk_fma_f32 v[134:135], v[200:201], v[184:185], v[134:135] neg_lo:[0,0,1] neg_hi:[0,0,1]
	v_pk_add_f32 v[130:131], v[138:139], v[130:131]
	v_pk_fma_f32 v[138:139], v[202:203], v[186:187], v[136:137] op_sel_hi:[1,0,1]
	v_pk_fma_f32 v[136:137], v[202:203], v[186:187], v[136:137] neg_lo:[0,0,1] neg_hi:[0,0,1]
	v_mov_b32_e32 v135, v145
	s_wait_loadcnt 0x2
	v_pk_mul_f32 v[142:143], v[206:207], v[190:191] op_sel:[1,1] op_sel_hi:[0,1]
	v_pk_add_f32 v[130:131], v[130:131], v[132:133]
	v_dual_mov_b32 v132, v193 :: v_dual_mov_b32 v137, v139
	v_pk_fma_f32 v[138:139], v[204:205], v[188:189], v[140:141] op_sel_hi:[1,0,1]
	v_pk_fma_f32 v[140:141], v[204:205], v[188:189], v[140:141] neg_lo:[0,0,1] neg_hi:[0,0,1]
	s_delay_alu instid0(VALU_DEP_4)
	v_pk_add_f32 v[130:131], v[130:131], v[134:135]
	v_pk_fma_f32 v[134:135], v[206:207], v[190:191], v[142:143] op_sel_hi:[1,0,1]
	s_set_vgpr_msb 1                        ;  msbs: dst=0 src0=1 src1=0 src2=0
	v_pk_mul_f32 v[132:133], v[14:15] /*v[270:271]*/, v[132:133] op_sel_hi:[1,0]
	s_set_vgpr_msb 0                        ;  msbs: dst=0 src0=0 src1=0 src2=0
	v_mov_b32_e32 v141, v139
	s_wait_loadcnt_dscnt 0x100
	s_set_vgpr_msb 5                        ;  msbs: dst=0 src0=1 src1=1 src2=0
	v_pk_mul_f32 v[138:139], v[6:7] /*v[262:263]*/, v[2:3] /*v[258:259]*/ op_sel:[1,1] op_sel_hi:[0,1]
	s_set_vgpr_msb 0                        ;  msbs: dst=0 src0=0 src1=0 src2=0
	v_pk_add_f32 v[130:131], v[130:131], v[136:137]
	v_pk_fma_f32 v[136:137], v[206:207], v[190:191], v[142:143] neg_lo:[0,0,1] neg_hi:[0,0,1]
	v_mov_b32_e32 v137, v135
	v_pk_fma_f32 v[134:135], v[208:209], v[192:193], v[132:133] op_sel_hi:[1,0,1]
	v_pk_fma_f32 v[132:133], v[208:209], v[192:193], v[132:133] neg_lo:[0,0,1] neg_hi:[0,0,1]
	v_pk_add_f32 v[130:131], v[130:131], v[140:141]
	s_delay_alu instid0(VALU_DEP_3)
	v_mov_b32_e32 v133, v135
	s_set_vgpr_msb 5                        ;  msbs: dst=0 src0=1 src1=1 src2=0
	v_pk_fma_f32 v[134:135], v[6:7] /*v[262:263]*/, v[2:3] /*v[258:259]*/, v[138:139] op_sel_hi:[1,0,1]
	s_set_vgpr_msb 0                        ;  msbs: dst=0 src0=0 src1=0 src2=0
	v_pk_add_f32 v[130:131], v[130:131], v[136:137]
	s_set_vgpr_msb 5                        ;  msbs: dst=0 src0=1 src1=1 src2=0
	v_pk_fma_f32 v[136:137], v[6:7] /*v[262:263]*/, v[2:3] /*v[258:259]*/, v[138:139] neg_lo:[0,0,1] neg_hi:[0,0,1]
	s_set_vgpr_msb 0                        ;  msbs: dst=0 src0=0 src1=0 src2=0
	v_mov_b32_e32 v137, v135
	v_pk_add_f32 v[130:131], v[130:131], v[132:133]
	s_delay_alu instid0(VALU_DEP_1) | instskip(SKIP_2) | instid1(VALU_DEP_1)
	v_pk_add_f32 v[130:131], v[130:131], v[136:137]
	s_wait_loadcnt 0x0
	s_set_vgpr_msb 1                        ;  msbs: dst=0 src0=1 src1=0 src2=0
	v_pk_add_f32 v[130:131], v[4:5] /*v[260:261]*/, v[130:131] neg_lo:[0,1] neg_hi:[0,1]
	scratch_store_b64 off, v[130:131], off offset:240
	s_wait_xcnt 0x0
	v_cmpx_lt_u32_e32 29, v0
	s_set_vgpr_msb 0                        ;  msbs: dst=0 src0=0 src1=0 src2=0
	s_cbranch_execz .LBB127_339
; %bb.338:
	scratch_load_b64 v[130:131], off, off offset:232
	v_mov_b64_e32 v[132:133], 0
	scratch_store_b64 off, v[132:133], off offset:232
	s_wait_loadcnt 0x0
	ds_store_b64 v1, v[130:131]
.LBB127_339:
	s_wait_xcnt 0x0
	s_or_b32 exec_lo, exec_lo, s0
	s_wait_storecnt_dscnt 0x0
	s_barrier_signal -1
	s_barrier_wait -1
	s_clause 0x12
	scratch_load_b128 v[130:133], off, off offset:240
	scratch_load_b128 v[134:137], off, off offset:256
	;; [unrolled: 1-line block ×17, first 2 shown]
	s_set_vgpr_msb 64                       ;  msbs: dst=1 src0=0 src1=0 src2=0
	scratch_load_b64 v[10:11] /*v[266:267]*/, off, off offset:232
	s_set_vgpr_msb 0                        ;  msbs: dst=0 src0=0 src1=0 src2=0
	ds_load_b128 v[198:201], v7 offset:960
	ds_load_b128 v[202:205], v7 offset:976
	;; [unrolled: 1-line block ×15, first 2 shown]
	s_set_vgpr_msb 64                       ;  msbs: dst=1 src0=0 src1=0 src2=0
	ds_load_b128 v[2:5] /*v[258:261]*/, v7 offset:912
	ds_load_b128 v[6:9] /*v[262:265]*/, v7 offset:928
	s_mov_b32 s0, exec_lo
	s_wait_dscnt 0x10
	v_dual_mov_b32 v12 /*v268*/, v201 :: v_dual_mov_b32 v13 /*v269*/, v200
	s_wait_dscnt 0xf
	v_dual_mov_b32 v14 /*v270*/, v205 :: v_dual_mov_b32 v15 /*v271*/, v204
	;; [unrolled: 2-line block ×4, first 2 shown]
	s_wait_loadcnt_dscnt 0x110b
	s_set_vgpr_msb 0                        ;  msbs: dst=0 src0=0 src1=0 src2=0
	v_dual_mul_f32 v7, v218, v131 :: v_dual_mul_f32 v9, v220, v133
	s_wait_loadcnt_dscnt 0x100a
	v_dual_mul_f32 v55, v219, v131 :: v_dual_mul_f32 v61, v225, v137
	s_wait_loadcnt_dscnt 0xf09
	v_dual_mul_f32 v63, v227, v139 :: v_dual_mul_f32 v57, v221, v133
	v_dual_fmac_f32 v7, v219, v130 :: v_dual_fmac_f32 v9, v221, v132
	s_delay_alu instid0(VALU_DEP_3)
	v_fma_f32 v55, v218, v130, -v55
	s_wait_loadcnt_dscnt 0x802
	v_mul_f32_e32 v43, v254, v167
	v_dual_mul_f32 v11, v222, v135 :: v_dual_mul_f32 v13, v224, v137
	s_wait_loadcnt_dscnt 0x600
	s_set_vgpr_msb 1                        ;  msbs: dst=0 src0=1 src1=0 src2=0
	v_dual_mul_f32 v53, v8 /*v264*/, v177 :: v_dual_add_f32 v7, 0, v7
	s_set_vgpr_msb 0                        ;  msbs: dst=0 src0=0 src1=0 src2=0
	v_dual_mul_f32 v59, v223, v135 :: v_dual_mul_f32 v65, v229, v141
	v_dual_mul_f32 v67, v231, v143 :: v_dual_fma_f32 v57, v220, v132, -v57
	v_dual_add_f32 v55, 0, v55 :: v_dual_mul_f32 v69, v233, v145
	v_dual_fmac_f32 v11, v223, v134 :: v_dual_fmac_f32 v13, v225, v136
	s_delay_alu instid0(VALU_DEP_4) | instskip(NEXT) | instid1(VALU_DEP_3)
	v_dual_fma_f32 v59, v222, v134, -v59 :: v_dual_add_f32 v7, v7, v9
	v_dual_add_f32 v9, v55, v57 :: v_dual_fma_f32 v57, v224, v136, -v61
	v_dual_mul_f32 v15, v226, v139 :: v_dual_mul_f32 v17, v228, v141
	s_delay_alu instid0(VALU_DEP_3) | instskip(NEXT) | instid1(VALU_DEP_3)
	v_add_f32_e32 v7, v7, v11
	v_dual_add_f32 v9, v9, v59 :: v_dual_fma_f32 v59, v226, v138, -v63
	s_delay_alu instid0(VALU_DEP_3) | instskip(SKIP_1) | instid1(VALU_DEP_4)
	v_dual_fmac_f32 v15, v227, v138 :: v_dual_mul_f32 v19, v230, v143
	v_mul_f32_e32 v21, v232, v145
	v_dual_add_f32 v7, v7, v13 :: v_dual_fmac_f32 v17, v229, v140
	s_delay_alu instid0(VALU_DEP_4) | instskip(NEXT) | instid1(VALU_DEP_2)
	v_dual_add_f32 v9, v9, v57 :: v_dual_mul_f32 v13, v239, v151
	v_dual_fma_f32 v57, v228, v140, -v65 :: v_dual_add_f32 v7, v7, v15
	v_mul_f32_e32 v15, v241, v153
	s_delay_alu instid0(VALU_DEP_3) | instskip(NEXT) | instid1(VALU_DEP_3)
	v_dual_add_f32 v9, v9, v59 :: v_dual_fmac_f32 v19, v231, v142
	v_dual_fma_f32 v59, v230, v142, -v67 :: v_dual_add_f32 v7, v7, v17
	v_fmac_f32_e32 v21, v233, v144
	s_delay_alu instid0(VALU_DEP_3) | instskip(SKIP_3) | instid1(VALU_DEP_3)
	v_dual_add_f32 v9, v9, v57 :: v_dual_mul_f32 v17, v243, v155
	v_dual_mul_f32 v23, v234, v147 :: v_dual_mul_f32 v25, v236, v149
	v_dual_mul_f32 v55, v235, v147 :: v_dual_mul_f32 v11, v237, v149
	v_dual_fma_f32 v57, v232, v144, -v69 :: v_dual_add_f32 v7, v7, v19
	v_dual_add_f32 v9, v9, v59 :: v_dual_fmac_f32 v23, v235, v146
	s_delay_alu instid0(VALU_DEP_3) | instskip(NEXT) | instid1(VALU_DEP_3)
	v_dual_mul_f32 v19, v245, v157 :: v_dual_fma_f32 v55, v234, v146, -v55
	v_dual_add_f32 v7, v7, v21 :: v_dual_fmac_f32 v25, v237, v148
	s_delay_alu instid0(VALU_DEP_3) | instskip(SKIP_1) | instid1(VALU_DEP_3)
	v_dual_add_f32 v9, v9, v57 :: v_dual_mul_f32 v21, v247, v159
	v_dual_mul_f32 v27, v238, v151 :: v_dual_mul_f32 v29, v240, v153
	v_dual_fma_f32 v11, v236, v148, -v11 :: v_dual_add_f32 v7, v7, v23
	s_delay_alu instid0(VALU_DEP_2) | instskip(SKIP_1) | instid1(VALU_DEP_2)
	v_dual_add_f32 v9, v9, v55 :: v_dual_fmac_f32 v27, v239, v150
	v_dual_mul_f32 v23, v249, v161 :: v_dual_fma_f32 v13, v238, v150, -v13
	v_dual_add_f32 v7, v7, v25 :: v_dual_add_f32 v9, v9, v11
	v_dual_mul_f32 v31, v242, v155 :: v_dual_mul_f32 v33, v244, v157
	v_dual_mul_f32 v11, v251, v163 :: v_dual_fmac_f32 v29, v241, v152
	s_delay_alu instid0(VALU_DEP_3) | instskip(NEXT) | instid1(VALU_DEP_3)
	v_dual_fma_f32 v15, v240, v152, -v15 :: v_dual_add_f32 v7, v7, v27
	v_dual_add_f32 v9, v9, v13 :: v_dual_fmac_f32 v31, v243, v154
	v_dual_mul_f32 v13, v253, v165 :: v_dual_fma_f32 v17, v242, v154, -v17
	s_delay_alu instid0(VALU_DEP_2) | instskip(SKIP_2) | instid1(VALU_DEP_3)
	v_dual_add_f32 v7, v7, v29 :: v_dual_add_f32 v9, v9, v15
	v_dual_mul_f32 v35, v246, v159 :: v_dual_mul_f32 v37, v248, v161
	v_dual_mul_f32 v15, v255, v167 :: v_dual_fmac_f32 v33, v245, v156
	v_dual_fma_f32 v19, v244, v156, -v19 :: v_dual_add_f32 v7, v7, v31
	s_delay_alu instid0(VALU_DEP_3) | instskip(SKIP_2) | instid1(VALU_DEP_3)
	v_dual_add_f32 v9, v9, v17 :: v_dual_fmac_f32 v35, v247, v158
	v_fma_f32 v21, v246, v158, -v21
	v_dual_mul_f32 v39, v250, v163 :: v_dual_mul_f32 v41, v252, v165
	v_dual_add_f32 v7, v7, v33 :: v_dual_add_f32 v9, v9, v19
	v_dual_fma_f32 v23, v248, v160, -v23 :: v_dual_fmac_f32 v37, v249, v160
	s_delay_alu instid0(VALU_DEP_3) | instskip(NEXT) | instid1(VALU_DEP_3)
	v_fmac_f32_e32 v39, v251, v162
	v_dual_add_f32 v7, v7, v35 :: v_dual_add_f32 v9, v9, v21
	v_dual_fma_f32 v11, v250, v162, -v11 :: v_dual_fma_f32 v13, v252, v164, -v13
	s_set_vgpr_msb 1                        ;  msbs: dst=0 src0=1 src1=0 src2=0
	v_dual_mul_f32 v45, v0 /*v256*/, v169 :: v_dual_mul_f32 v47, v2 /*v258*/, v171
	s_set_vgpr_msb 0                        ;  msbs: dst=0 src0=0 src1=0 src2=0
	v_dual_add_f32 v7, v7, v37 :: v_dual_add_f32 v9, v9, v23
	v_fmac_f32_e32 v41, v253, v164
	s_set_vgpr_msb 1                        ;  msbs: dst=0 src0=1 src1=0 src2=0
	v_dual_mul_f32 v17, v1 /*v257*/, v169 :: v_dual_mul_f32 v19, v3 /*v259*/, v171
	s_set_vgpr_msb 0                        ;  msbs: dst=0 src0=0 src1=0 src2=0
	v_add_f32_e32 v7, v7, v39
	v_dual_add_f32 v9, v9, v11 :: v_dual_fmac_f32 v43, v255, v166
	v_fma_f32 v15, v254, v166, -v15
	s_set_vgpr_msb 1                        ;  msbs: dst=0 src0=1 src1=0 src2=0
	v_dual_mul_f32 v11, v9 /*v265*/, v177 :: v_dual_fma_f32 v17, v0 /*v256*/, v168, -v17
	s_set_vgpr_msb 0                        ;  msbs: dst=0 src0=0 src1=0 src2=0
	v_add_f32_e32 v7, v7, v41
	s_wait_loadcnt 0x5
	v_dual_add_f32 v9, v9, v13 :: v_dual_mul_f32 v13, v215, v179
	s_set_vgpr_msb 1                        ;  msbs: dst=0 src0=1 src1=0 src2=0
	v_dual_fmac_f32 v45, v1 /*v257*/, v168 :: v_dual_fmac_f32 v47, v3 /*v259*/, v170
	s_set_vgpr_msb 0                        ;  msbs: dst=0 src0=0 src1=0 src2=0
	v_add_f32_e32 v7, v7, v43
	v_add_f32_e32 v9, v9, v15
	s_set_vgpr_msb 1                        ;  msbs: dst=0 src0=1 src1=0 src2=0
	v_dual_mul_f32 v49, v4 /*v260*/, v173 :: v_dual_mul_f32 v51, v6 /*v262*/, v175
	v_dual_mul_f32 v21, v5 /*v261*/, v173 :: v_dual_mul_f32 v23, v7 /*v263*/, v175
	s_set_vgpr_msb 0                        ;  msbs: dst=0 src0=0 src1=0 src2=0
	v_mul_f32_e32 v15, v217, v181
	s_set_vgpr_msb 1                        ;  msbs: dst=0 src0=1 src1=0 src2=0
	v_dual_fma_f32 v19, v2 /*v258*/, v170, -v19 :: v_dual_fmac_f32 v49, v5 /*v261*/, v172
	s_set_vgpr_msb 0                        ;  msbs: dst=0 src0=0 src1=0 src2=0
	v_add_f32_e32 v7, v7, v45
	v_add_f32_e32 v9, v9, v17
	s_set_vgpr_msb 1                        ;  msbs: dst=0 src0=1 src1=0 src2=0
	v_dual_fma_f32 v17, v4 /*v260*/, v172, -v21 :: v_dual_fmac_f32 v51, v7 /*v263*/, v174
	s_set_vgpr_msb 64                       ;  msbs: dst=1 src0=0 src1=0 src2=0
	v_dual_mul_f32 v21 /*v277*/, v214, v179 :: v_dual_mul_f32 v23 /*v279*/, v216, v181
	s_set_vgpr_msb 0                        ;  msbs: dst=0 src0=0 src1=0 src2=0
	v_add_f32_e32 v7, v7, v47
	v_add_f32_e32 v9, v9, v19
	s_set_vgpr_msb 1                        ;  msbs: dst=0 src0=1 src1=0 src2=0
	v_dual_fma_f32 v19, v6 /*v262*/, v174, -v23 :: v_dual_fmac_f32 v53, v9 /*v265*/, v176
	v_fma_f32 v11, v8 /*v264*/, v176, -v11
	s_set_vgpr_msb 0                        ;  msbs: dst=0 src0=0 src1=0 src2=0
	v_add_f32_e32 v7, v7, v49
	v_add_f32_e32 v9, v9, v17
	s_wait_loadcnt 0x4
	v_mov_b32_e32 v132, v185
	v_pk_mul_f32 v[130:131], v[198:199], v[182:183] op_sel:[1,1] op_sel_hi:[0,1]
	s_set_vgpr_msb 64                       ;  msbs: dst=1 src0=0 src1=0 src2=0
	v_dual_fmac_f32 v21 /*v277*/, v215, v178 :: v_dual_fmac_f32 v23 /*v279*/, v217, v180
	s_set_vgpr_msb 0                        ;  msbs: dst=0 src0=0 src1=0 src2=0
	v_add_f32_e32 v7, v7, v51
	v_add_f32_e32 v9, v9, v19
	s_set_vgpr_msb 64                       ;  msbs: dst=1 src0=0 src1=0 src2=0
	v_dual_fma_f32 v20 /*v276*/, v214, v178, -v13 :: v_dual_fma_f32 v22 /*v278*/, v216, v180, -v15
	s_set_vgpr_msb 0                        ;  msbs: dst=0 src0=0 src1=0 src2=0
	v_pk_fma_f32 v[140:141], v[198:199], v[182:183], v[130:131] op_sel_hi:[1,0,1]
	v_dual_add_f32 v139, v7, v53 :: v_dual_add_f32 v138, v9, v11
	s_set_vgpr_msb 1                        ;  msbs: dst=0 src0=1 src1=0 src2=0
	v_pk_mul_f32 v[132:133], v[12:13] /*v[268:269]*/, v[132:133] op_sel_hi:[1,0]
	s_set_vgpr_msb 0                        ;  msbs: dst=0 src0=0 src1=0 src2=0
	v_pk_fma_f32 v[130:131], v[198:199], v[182:183], v[130:131] neg_lo:[0,0,1] neg_hi:[0,0,1]
	s_wait_loadcnt 0x3
	v_pk_mul_f32 v[134:135], v[202:203], v[186:187] op_sel:[1,1] op_sel_hi:[0,1]
	v_dual_mov_b32 v136, v189 :: v_dual_mov_b32 v131, v141
	s_set_vgpr_msb 4                        ;  msbs: dst=0 src0=0 src1=1 src2=0
	v_pk_add_f32 v[138:139], v[138:139], v[20:21] /*v[276:277]*/
	s_set_vgpr_msb 0                        ;  msbs: dst=0 src0=0 src1=0 src2=0
	v_pk_fma_f32 v[140:141], v[200:201], v[184:185], v[132:133] op_sel_hi:[1,0,1]
	v_pk_fma_f32 v[132:133], v[200:201], v[184:185], v[132:133] neg_lo:[0,0,1] neg_hi:[0,0,1]
	v_pk_fma_f32 v[144:145], v[202:203], v[186:187], v[134:135] op_sel_hi:[1,0,1]
	s_set_vgpr_msb 1                        ;  msbs: dst=0 src0=1 src1=0 src2=0
	v_pk_mul_f32 v[136:137], v[14:15] /*v[270:271]*/, v[136:137] op_sel_hi:[1,0]
	s_set_vgpr_msb 4                        ;  msbs: dst=0 src0=0 src1=1 src2=0
	v_pk_add_f32 v[138:139], v[138:139], v[22:23] /*v[278:279]*/
	v_mov_b32_e32 v133, v141
	s_wait_loadcnt 0x2
	s_set_vgpr_msb 0                        ;  msbs: dst=0 src0=0 src1=0 src2=0
	v_pk_mul_f32 v[142:143], v[206:207], v[190:191] op_sel:[1,1] op_sel_hi:[0,1]
	v_pk_fma_f32 v[134:135], v[202:203], v[186:187], v[134:135] neg_lo:[0,0,1] neg_hi:[0,0,1]
	v_pk_fma_f32 v[140:141], v[204:205], v[188:189], v[136:137] op_sel_hi:[1,0,1]
	v_pk_add_f32 v[130:131], v[138:139], v[130:131]
	v_dual_mov_b32 v138, v193 :: v_dual_mov_b32 v135, v145
	v_pk_fma_f32 v[136:137], v[204:205], v[188:189], v[136:137] neg_lo:[0,0,1] neg_hi:[0,0,1]
	s_delay_alu instid0(VALU_DEP_4) | instskip(NEXT) | instid1(VALU_DEP_4)
	v_mov_b32_e32 v137, v141
	v_pk_add_f32 v[130:131], v[130:131], v[132:133]
	v_pk_fma_f32 v[132:133], v[206:207], v[190:191], v[142:143] op_sel_hi:[1,0,1]
	s_set_vgpr_msb 1                        ;  msbs: dst=0 src0=1 src1=0 src2=0
	v_pk_mul_f32 v[138:139], v[16:17] /*v[272:273]*/, v[138:139] op_sel_hi:[1,0]
	s_set_vgpr_msb 0                        ;  msbs: dst=0 src0=0 src1=0 src2=0
	v_pk_fma_f32 v[140:141], v[206:207], v[190:191], v[142:143] neg_lo:[0,0,1] neg_hi:[0,0,1]
	v_pk_add_f32 v[130:131], v[130:131], v[134:135]
	v_mov_b32_e32 v141, v133
	v_pk_fma_f32 v[132:133], v[208:209], v[192:193], v[138:139] op_sel_hi:[1,0,1]
	s_wait_loadcnt 0x1
	v_pk_mul_f32 v[134:135], v[210:211], v[194:195] op_sel:[1,1] op_sel_hi:[0,1]
	v_mov_b32_e32 v132, v197
	v_pk_add_f32 v[130:131], v[130:131], v[136:137]
	v_pk_fma_f32 v[138:139], v[208:209], v[192:193], v[138:139] neg_lo:[0,0,1] neg_hi:[0,0,1]
	s_delay_alu instid0(VALU_DEP_4) | instskip(SKIP_1) | instid1(VALU_DEP_4)
	v_pk_fma_f32 v[136:137], v[210:211], v[194:195], v[134:135] op_sel_hi:[1,0,1]
	v_mov_b32_e32 v139, v133
	v_pk_add_f32 v[130:131], v[130:131], v[140:141]
	s_set_vgpr_msb 1                        ;  msbs: dst=0 src0=1 src1=0 src2=0
	v_pk_mul_f32 v[132:133], v[18:19] /*v[274:275]*/, v[132:133] op_sel_hi:[1,0]
	s_set_vgpr_msb 0                        ;  msbs: dst=0 src0=0 src1=0 src2=0
	v_pk_fma_f32 v[134:135], v[210:211], v[194:195], v[134:135] neg_lo:[0,0,1] neg_hi:[0,0,1]
	v_mov_b32_e32 v135, v137
	v_pk_add_f32 v[130:131], v[130:131], v[138:139]
	v_pk_fma_f32 v[136:137], v[212:213], v[196:197], v[132:133] op_sel_hi:[1,0,1]
	v_pk_fma_f32 v[132:133], v[212:213], v[196:197], v[132:133] neg_lo:[0,0,1] neg_hi:[0,0,1]
	s_delay_alu instid0(VALU_DEP_3) | instskip(NEXT) | instid1(VALU_DEP_3)
	v_pk_add_f32 v[130:131], v[130:131], v[134:135]
	v_mov_b32_e32 v133, v137
	s_delay_alu instid0(VALU_DEP_1) | instskip(SKIP_2) | instid1(VALU_DEP_1)
	v_pk_add_f32 v[130:131], v[130:131], v[132:133]
	s_wait_loadcnt 0x0
	s_set_vgpr_msb 1                        ;  msbs: dst=0 src0=1 src1=0 src2=0
	v_pk_add_f32 v[130:131], v[10:11] /*v[266:267]*/, v[130:131] neg_lo:[0,1] neg_hi:[0,1]
	scratch_store_b64 off, v[130:131], off offset:232
	s_wait_xcnt 0x0
	v_cmpx_lt_u32_e32 28, v0
	s_set_vgpr_msb 0                        ;  msbs: dst=0 src0=0 src1=0 src2=0
	s_cbranch_execz .LBB127_341
; %bb.340:
	scratch_load_b64 v[130:131], off, off offset:224
	v_mov_b64_e32 v[132:133], 0
	scratch_store_b64 off, v[132:133], off offset:224
	s_wait_loadcnt 0x0
	ds_store_b64 v1, v[130:131]
.LBB127_341:
	s_wait_xcnt 0x0
	s_or_b32 exec_lo, exec_lo, s0
	s_wait_storecnt_dscnt 0x0
	s_barrier_signal -1
	s_barrier_wait -1
	s_clause 0x13
	scratch_load_b128 v[130:133], off, off offset:232
	scratch_load_b128 v[134:137], off, off offset:248
	;; [unrolled: 1-line block ×17, first 2 shown]
	s_set_vgpr_msb 64                       ;  msbs: dst=1 src0=0 src1=0 src2=0
	scratch_load_b64 v[10:11] /*v[266:267]*/, off, off offset:504
	scratch_load_b64 v[12:13] /*v[268:269]*/, off, off offset:224
	s_set_vgpr_msb 0                        ;  msbs: dst=0 src0=0 src1=0 src2=0
	v_mov_b32_e32 v7, 0
	ds_load_2addr_b64 v[198:201], v7 offset0:119 offset1:120
	ds_load_2addr_b64 v[202:205], v7 offset0:121 offset1:122
	;; [unrolled: 1-line block ×15, first 2 shown]
	s_set_vgpr_msb 64                       ;  msbs: dst=1 src0=0 src1=0 src2=0
	ds_load_2addr_b64 v[2:5] /*v[258:261]*/, v7 offset0:113 offset1:114
	ds_load_2addr_b64 v[6:9] /*v[262:265]*/, v7 offset0:115 offset1:116
	ds_load_b64 v[14:15] /*v[270:271]*/, v7 offset:1016
	s_mov_b32 s0, exec_lo
	s_wait_dscnt 0x11
	v_dual_mov_b32 v16 /*v272*/, v201 :: v_dual_mov_b32 v17 /*v273*/, v200
	s_wait_dscnt 0x10
	v_dual_mov_b32 v18 /*v274*/, v205 :: v_dual_mov_b32 v19 /*v275*/, v204
	;; [unrolled: 2-line block ×4, first 2 shown]
	s_wait_loadcnt_dscnt 0x120c
	s_set_vgpr_msb 0                        ;  msbs: dst=0 src0=0 src1=0 src2=0
	v_dual_mul_f32 v9, v218, v131 :: v_dual_mul_f32 v59, v219, v131
	s_wait_loadcnt_dscnt 0x110b
	v_mul_f32_e32 v65, v225, v137
	v_dual_mul_f32 v11, v220, v133 :: v_dual_mul_f32 v13, v222, v135
	s_wait_loadcnt_dscnt 0x100a
	v_dual_mul_f32 v67, v227, v139 :: v_dual_fma_f32 v59, v218, v130, -v59
	s_delay_alu instid0(VALU_DEP_2)
	v_dual_fmac_f32 v9, v219, v130 :: v_dual_fmac_f32 v11, v221, v132
	v_dual_mul_f32 v61, v221, v133 :: v_dual_mul_f32 v63, v223, v135
	s_wait_loadcnt 0x6
	v_dual_mul_f32 v69, v229, v141 :: v_dual_mul_f32 v57, v210, v179
	s_wait_dscnt 0x1
	s_set_vgpr_msb 1                        ;  msbs: dst=0 src0=1 src1=0 src2=0
	v_dual_mul_f32 v55, v8 /*v264*/, v177 :: v_dual_add_f32 v59, 0, v59
	s_set_vgpr_msb 0                        ;  msbs: dst=0 src0=0 src1=0 src2=0
	v_dual_fma_f32 v61, v220, v132, -v61 :: v_dual_add_f32 v9, 0, v9
	v_dual_mul_f32 v15, v224, v137 :: v_dual_mul_f32 v17, v226, v139
	v_dual_mul_f32 v75, v235, v147 :: v_dual_fma_f32 v63, v222, v134, -v63
	s_delay_alu instid0(VALU_DEP_3) | instskip(NEXT) | instid1(VALU_DEP_3)
	v_dual_fmac_f32 v13, v223, v134 :: v_dual_add_f32 v9, v9, v11
	v_dual_add_f32 v11, v59, v61 :: v_dual_fmac_f32 v15, v225, v136
	v_dual_mul_f32 v59, v237, v149 :: v_dual_fma_f32 v61, v224, v136, -v65
	s_delay_alu instid0(VALU_DEP_2) | instskip(SKIP_2) | instid1(VALU_DEP_3)
	v_dual_add_f32 v9, v9, v13 :: v_dual_add_f32 v11, v11, v63
	v_dual_mul_f32 v19, v228, v141 :: v_dual_mul_f32 v21, v230, v143
	v_dual_mul_f32 v13, v239, v151 :: v_dual_fma_f32 v63, v226, v138, -v67
	v_dual_fmac_f32 v17, v227, v138 :: v_dual_add_f32 v9, v9, v15
	s_delay_alu instid0(VALU_DEP_3) | instskip(SKIP_2) | instid1(VALU_DEP_3)
	v_dual_add_f32 v11, v11, v61 :: v_dual_fmac_f32 v19, v229, v140
	v_dual_mul_f32 v71, v231, v143 :: v_dual_mul_f32 v73, v233, v145
	v_dual_mul_f32 v15, v241, v153 :: v_dual_fma_f32 v61, v228, v140, -v69
	v_dual_add_f32 v9, v9, v17 :: v_dual_add_f32 v11, v11, v63
	v_dual_mul_f32 v23, v232, v145 :: v_dual_mul_f32 v25, v234, v147
	s_delay_alu instid0(VALU_DEP_4) | instskip(NEXT) | instid1(VALU_DEP_3)
	v_dual_mul_f32 v17, v243, v155 :: v_dual_fma_f32 v63, v230, v142, -v71
	v_dual_fmac_f32 v21, v231, v142 :: v_dual_add_f32 v9, v9, v19
	s_delay_alu instid0(VALU_DEP_3) | instskip(SKIP_1) | instid1(VALU_DEP_2)
	v_dual_add_f32 v11, v11, v61 :: v_dual_fmac_f32 v23, v233, v144
	v_dual_mul_f32 v19, v245, v157 :: v_dual_fma_f32 v61, v232, v144, -v73
	v_dual_add_f32 v9, v9, v21 :: v_dual_add_f32 v11, v11, v63
	v_dual_mul_f32 v27, v236, v149 :: v_dual_mul_f32 v29, v238, v151
	v_dual_mul_f32 v21, v247, v159 :: v_dual_fma_f32 v63, v234, v146, -v75
	s_delay_alu instid0(VALU_DEP_3) | instskip(NEXT) | instid1(VALU_DEP_3)
	v_dual_fmac_f32 v25, v235, v146 :: v_dual_add_f32 v9, v9, v23
	v_dual_add_f32 v11, v11, v61 :: v_dual_fmac_f32 v27, v237, v148
	v_dual_mul_f32 v23, v249, v161 :: v_dual_fma_f32 v59, v236, v148, -v59
	s_delay_alu instid0(VALU_DEP_2) | instskip(SKIP_2) | instid1(VALU_DEP_3)
	v_dual_add_f32 v9, v9, v25 :: v_dual_add_f32 v11, v11, v63
	v_dual_mul_f32 v31, v240, v153 :: v_dual_mul_f32 v33, v242, v155
	v_dual_mul_f32 v25, v251, v163 :: v_dual_fma_f32 v13, v238, v150, -v13
	v_dual_fmac_f32 v29, v239, v150 :: v_dual_add_f32 v9, v9, v27
	s_delay_alu instid0(VALU_DEP_4) | instskip(NEXT) | instid1(VALU_DEP_4)
	v_dual_add_f32 v11, v11, v59 :: v_dual_mul_f32 v27, v253, v165
	v_fmac_f32_e32 v31, v241, v152
	s_delay_alu instid0(VALU_DEP_3) | instskip(NEXT) | instid1(VALU_DEP_3)
	v_dual_fma_f32 v15, v240, v152, -v15 :: v_dual_add_f32 v9, v9, v29
	v_add_f32_e32 v11, v11, v13
	v_dual_mul_f32 v35, v244, v157 :: v_dual_mul_f32 v37, v246, v159
	v_dual_mul_f32 v13, v255, v167 :: v_dual_fma_f32 v17, v242, v154, -v17
	s_delay_alu instid0(VALU_DEP_4) | instskip(NEXT) | instid1(VALU_DEP_3)
	v_dual_fmac_f32 v33, v243, v154 :: v_dual_add_f32 v9, v9, v31
	v_dual_add_f32 v11, v11, v15 :: v_dual_fmac_f32 v35, v245, v156
	v_fma_f32 v19, v244, v156, -v19
	v_dual_mul_f32 v39, v248, v161 :: v_dual_mul_f32 v41, v250, v163
	s_delay_alu instid0(VALU_DEP_4) | instskip(NEXT) | instid1(VALU_DEP_4)
	v_add_f32_e32 v9, v9, v33
	v_dual_add_f32 v11, v11, v17 :: v_dual_fma_f32 v21, v246, v158, -v21
	s_delay_alu instid0(VALU_DEP_3) | instskip(NEXT) | instid1(VALU_DEP_3)
	v_dual_fmac_f32 v37, v247, v158 :: v_dual_fmac_f32 v39, v249, v160
	v_add_f32_e32 v9, v9, v35
	s_delay_alu instid0(VALU_DEP_3) | instskip(SKIP_1) | instid1(VALU_DEP_3)
	v_dual_add_f32 v11, v11, v19 :: v_dual_fma_f32 v23, v248, v160, -v23
	v_dual_mul_f32 v43, v252, v165 :: v_dual_mul_f32 v45, v254, v167
	v_add_f32_e32 v9, v9, v37
	s_delay_alu instid0(VALU_DEP_3) | instskip(NEXT) | instid1(VALU_DEP_3)
	v_dual_add_f32 v11, v11, v21 :: v_dual_fma_f32 v25, v250, v162, -v25
	v_dual_fmac_f32 v41, v251, v162 :: v_dual_fmac_f32 v43, v253, v164
	s_delay_alu instid0(VALU_DEP_3) | instskip(NEXT) | instid1(VALU_DEP_3)
	v_add_f32_e32 v9, v9, v39
	v_dual_add_f32 v11, v11, v23 :: v_dual_fma_f32 v27, v252, v164, -v27
	s_set_vgpr_msb 1                        ;  msbs: dst=0 src0=1 src1=0 src2=0
	v_dual_mul_f32 v47, v0 /*v256*/, v169 :: v_dual_mul_f32 v49, v2 /*v258*/, v171
	s_set_vgpr_msb 0                        ;  msbs: dst=0 src0=0 src1=0 src2=0
	v_add_f32_e32 v9, v9, v41
	v_dual_add_f32 v11, v11, v25 :: v_dual_fma_f32 v13, v254, v166, -v13
	s_set_vgpr_msb 1                        ;  msbs: dst=0 src0=1 src1=0 src2=0
	v_dual_mul_f32 v15, v1 /*v257*/, v169 :: v_dual_mul_f32 v17, v3 /*v259*/, v171
	s_set_vgpr_msb 0                        ;  msbs: dst=0 src0=0 src1=0 src2=0
	v_dual_fmac_f32 v45, v255, v166 :: v_dual_add_f32 v9, v9, v43
	v_add_f32_e32 v11, v11, v27
	s_set_vgpr_msb 1                        ;  msbs: dst=0 src0=1 src1=0 src2=0
	v_dual_mul_f32 v23, v9 /*v265*/, v177 :: v_dual_fma_f32 v15, v0 /*v256*/, v168, -v15
	v_dual_fmac_f32 v47, v1 /*v257*/, v168 :: v_dual_fmac_f32 v49, v3 /*v259*/, v170
	s_set_vgpr_msb 0                        ;  msbs: dst=0 src0=0 src1=0 src2=0
	v_add_f32_e32 v9, v9, v45
	v_add_f32_e32 v11, v11, v13
	s_set_vgpr_msb 1                        ;  msbs: dst=0 src0=1 src1=0 src2=0
	v_dual_mul_f32 v51, v4 /*v260*/, v173 :: v_dual_mul_f32 v53, v6 /*v262*/, v175
	v_dual_mul_f32 v19, v5 /*v261*/, v173 :: v_dual_mul_f32 v21, v7 /*v263*/, v175
	s_delay_alu instid0(VALU_DEP_2)
	v_dual_fma_f32 v17, v2 /*v258*/, v170, -v17 :: v_dual_fmac_f32 v51, v5 /*v261*/, v172
	s_set_vgpr_msb 0                        ;  msbs: dst=0 src0=0 src1=0 src2=0
	v_add_f32_e32 v9, v9, v47
	v_add_f32_e32 v11, v11, v15
	s_set_vgpr_msb 1                        ;  msbs: dst=0 src0=1 src1=0 src2=0
	v_dual_fma_f32 v15, v4 /*v260*/, v172, -v19 :: v_dual_fmac_f32 v53, v7 /*v263*/, v174
	s_set_vgpr_msb 0                        ;  msbs: dst=0 src0=0 src1=0 src2=0
	v_dual_mul_f32 v25, v211, v179 :: v_dual_mul_f32 v27, v213, v181
	v_add_f32_e32 v9, v9, v49
	v_add_f32_e32 v11, v11, v17
	s_set_vgpr_msb 1                        ;  msbs: dst=0 src0=1 src1=0 src2=0
	v_dual_fma_f32 v17, v6 /*v262*/, v174, -v21 :: v_dual_fmac_f32 v55, v9 /*v265*/, v176
	s_wait_loadcnt 0x4
	s_set_vgpr_msb 0                        ;  msbs: dst=0 src0=0 src1=0 src2=0
	v_mov_b32_e32 v134, v189
	v_add_f32_e32 v9, v9, v51
	v_add_f32_e32 v11, v11, v15
	s_set_vgpr_msb 1                        ;  msbs: dst=0 src0=1 src1=0 src2=0
	v_fma_f32 v15, v8 /*v264*/, v176, -v23
	s_set_vgpr_msb 64                       ;  msbs: dst=1 src0=0 src1=0 src2=0
	v_dual_mul_f32 v25 /*v281*/, v212, v181 :: v_dual_mul_f32 v27 /*v283*/, v198, v183
	s_set_vgpr_msb 0                        ;  msbs: dst=0 src0=0 src1=0 src2=0
	v_dual_add_f32 v9, v9, v53 :: v_dual_fmac_f32 v57, v211, v178
	v_dual_add_f32 v11, v11, v17 :: v_dual_fma_f32 v17, v210, v178, -v25
	v_dual_mul_f32 v13, v199, v183 :: v_dual_mov_b32 v130, v185
	s_set_vgpr_msb 64                       ;  msbs: dst=1 src0=0 src1=0 src2=0
	v_dual_fmac_f32 v25 /*v281*/, v213, v180 :: v_dual_fmac_f32 v27 /*v283*/, v199, v182
	s_set_vgpr_msb 0                        ;  msbs: dst=0 src0=0 src1=0 src2=0
	v_add_f32_e32 v11, v11, v15
	v_add_f32_e32 v9, v9, v55
	s_set_vgpr_msb 64                       ;  msbs: dst=1 src0=0 src1=0 src2=0
	v_dual_fma_f32 v24 /*v280*/, v212, v180, -v27 :: v_dual_fma_f32 v26 /*v282*/, v198, v182, -v13
	s_set_vgpr_msb 1                        ;  msbs: dst=0 src0=1 src1=0 src2=0
	v_pk_mul_f32 v[130:131], v[16:17] /*v[272:273]*/, v[130:131] op_sel_hi:[1,0]
	s_set_vgpr_msb 0                        ;  msbs: dst=0 src0=0 src1=0 src2=0
	v_add_f32_e32 v138, v11, v17
	v_add_f32_e32 v139, v9, v57
	v_pk_mul_f32 v[132:133], v[202:203], v[186:187] op_sel:[1,1] op_sel_hi:[0,1]
	s_set_vgpr_msb 1                        ;  msbs: dst=0 src0=1 src1=0 src2=0
	v_pk_mul_f32 v[134:135], v[18:19] /*v[274:275]*/, v[134:135] op_sel_hi:[1,0]
	s_set_vgpr_msb 0                        ;  msbs: dst=0 src0=0 src1=0 src2=0
	v_pk_fma_f32 v[142:143], v[200:201], v[184:185], v[130:131] op_sel_hi:[1,0,1]
	v_pk_fma_f32 v[130:131], v[200:201], v[184:185], v[130:131] neg_lo:[0,0,1] neg_hi:[0,0,1]
	s_set_vgpr_msb 4                        ;  msbs: dst=0 src0=0 src1=1 src2=0
	v_pk_add_f32 v[138:139], v[138:139], v[24:25] /*v[280:281]*/
	s_wait_loadcnt 0x3
	v_mov_b32_e32 v140, v193
	s_set_vgpr_msb 0                        ;  msbs: dst=0 src0=0 src1=0 src2=0
	v_pk_fma_f32 v[144:145], v[202:203], v[186:187], v[132:133] op_sel_hi:[1,0,1]
	v_mov_b32_e32 v131, v143
	v_pk_fma_f32 v[132:133], v[202:203], v[186:187], v[132:133] neg_lo:[0,0,1] neg_hi:[0,0,1]
	s_set_vgpr_msb 4                        ;  msbs: dst=0 src0=0 src1=1 src2=0
	v_pk_add_f32 v[138:139], v[138:139], v[26:27] /*v[282:283]*/
	s_set_vgpr_msb 0                        ;  msbs: dst=0 src0=0 src1=0 src2=0
	v_pk_mul_f32 v[136:137], v[206:207], v[190:191] op_sel:[1,1] op_sel_hi:[0,1]
	v_mov_b32_e32 v133, v145
	v_pk_fma_f32 v[144:145], v[204:205], v[188:189], v[134:135] op_sel_hi:[1,0,1]
	v_pk_fma_f32 v[134:135], v[204:205], v[188:189], v[134:135] neg_lo:[0,0,1] neg_hi:[0,0,1]
	v_pk_add_f32 v[130:131], v[138:139], v[130:131]
	v_pk_fma_f32 v[138:139], v[206:207], v[190:191], v[136:137] op_sel_hi:[1,0,1]
	s_set_vgpr_msb 1                        ;  msbs: dst=0 src0=1 src1=0 src2=0
	v_pk_mul_f32 v[140:141], v[20:21] /*v[276:277]*/, v[140:141] op_sel_hi:[1,0]
	s_set_vgpr_msb 0                        ;  msbs: dst=0 src0=0 src1=0 src2=0
	v_mov_b32_e32 v135, v145
	v_pk_fma_f32 v[136:137], v[206:207], v[190:191], v[136:137] neg_lo:[0,0,1] neg_hi:[0,0,1]
	v_pk_add_f32 v[130:131], v[130:131], v[132:133]
	s_wait_loadcnt 0x2
	v_pk_mul_f32 v[142:143], v[214:215], v[194:195] op_sel:[1,1] op_sel_hi:[0,1]
	v_dual_mov_b32 v132, v197 :: v_dual_mov_b32 v137, v139
	v_pk_fma_f32 v[138:139], v[208:209], v[192:193], v[140:141] op_sel_hi:[1,0,1]
	v_pk_add_f32 v[130:131], v[130:131], v[134:135]
	v_pk_fma_f32 v[140:141], v[208:209], v[192:193], v[140:141] neg_lo:[0,0,1] neg_hi:[0,0,1]
	v_pk_fma_f32 v[134:135], v[214:215], v[194:195], v[142:143] op_sel_hi:[1,0,1]
	s_set_vgpr_msb 1                        ;  msbs: dst=0 src0=1 src1=0 src2=0
	v_pk_mul_f32 v[132:133], v[22:23] /*v[278:279]*/, v[132:133] op_sel_hi:[1,0]
	s_set_vgpr_msb 0                        ;  msbs: dst=0 src0=0 src1=0 src2=0
	v_mov_b32_e32 v141, v139
	v_pk_add_f32 v[130:131], v[130:131], v[136:137]
	v_pk_fma_f32 v[136:137], v[214:215], v[194:195], v[142:143] neg_lo:[0,0,1] neg_hi:[0,0,1]
	v_mov_b32_e32 v137, v135
	v_pk_fma_f32 v[134:135], v[216:217], v[196:197], v[132:133] op_sel_hi:[1,0,1]
	s_wait_loadcnt_dscnt 0x100
	s_set_vgpr_msb 5                        ;  msbs: dst=0 src0=1 src1=1 src2=0
	v_pk_mul_f32 v[138:139], v[14:15] /*v[270:271]*/, v[10:11] /*v[266:267]*/ op_sel:[1,1] op_sel_hi:[0,1]
	s_set_vgpr_msb 0                        ;  msbs: dst=0 src0=0 src1=0 src2=0
	v_pk_add_f32 v[130:131], v[130:131], v[140:141]
	v_pk_fma_f32 v[132:133], v[216:217], v[196:197], v[132:133] neg_lo:[0,0,1] neg_hi:[0,0,1]
	v_mov_b32_e32 v133, v135
	s_set_vgpr_msb 5                        ;  msbs: dst=0 src0=1 src1=1 src2=0
	v_pk_fma_f32 v[134:135], v[14:15] /*v[270:271]*/, v[10:11] /*v[266:267]*/, v[138:139] op_sel_hi:[1,0,1]
	s_set_vgpr_msb 0                        ;  msbs: dst=0 src0=0 src1=0 src2=0
	v_pk_add_f32 v[130:131], v[130:131], v[136:137]
	s_set_vgpr_msb 5                        ;  msbs: dst=0 src0=1 src1=1 src2=0
	v_pk_fma_f32 v[136:137], v[14:15] /*v[270:271]*/, v[10:11] /*v[266:267]*/, v[138:139] neg_lo:[0,0,1] neg_hi:[0,0,1]
	s_set_vgpr_msb 0                        ;  msbs: dst=0 src0=0 src1=0 src2=0
	v_mov_b32_e32 v137, v135
	v_pk_add_f32 v[130:131], v[130:131], v[132:133]
	s_delay_alu instid0(VALU_DEP_1) | instskip(SKIP_2) | instid1(VALU_DEP_1)
	v_pk_add_f32 v[130:131], v[130:131], v[136:137]
	s_wait_loadcnt 0x0
	s_set_vgpr_msb 1                        ;  msbs: dst=0 src0=1 src1=0 src2=0
	v_pk_add_f32 v[130:131], v[12:13] /*v[268:269]*/, v[130:131] neg_lo:[0,1] neg_hi:[0,1]
	scratch_store_b64 off, v[130:131], off offset:224
	s_wait_xcnt 0x0
	v_cmpx_lt_u32_e32 27, v0
	s_set_vgpr_msb 0                        ;  msbs: dst=0 src0=0 src1=0 src2=0
	s_cbranch_execz .LBB127_343
; %bb.342:
	scratch_load_b64 v[130:131], off, off offset:216
	v_mov_b64_e32 v[132:133], 0
	scratch_store_b64 off, v[132:133], off offset:216
	s_wait_loadcnt 0x0
	ds_store_b64 v1, v[130:131]
.LBB127_343:
	s_wait_xcnt 0x0
	s_or_b32 exec_lo, exec_lo, s0
	s_wait_storecnt_dscnt 0x0
	s_barrier_signal -1
	s_barrier_wait -1
	s_clause 0x13
	scratch_load_b128 v[130:133], off, off offset:224
	scratch_load_b128 v[134:137], off, off offset:240
	;; [unrolled: 1-line block ×18, first 2 shown]
	s_set_vgpr_msb 64                       ;  msbs: dst=1 src0=0 src1=0 src2=0
	scratch_load_b64 v[18:19] /*v[274:275]*/, off, off offset:216
	s_set_vgpr_msb 0                        ;  msbs: dst=0 src0=0 src1=0 src2=0
	ds_load_b128 v[202:205], v7 offset:960
	ds_load_b128 v[206:209], v7 offset:976
	;; [unrolled: 1-line block ×14, first 2 shown]
	s_set_vgpr_msb 64                       ;  msbs: dst=1 src0=0 src1=0 src2=0
	ds_load_b128 v[2:5] /*v[258:261]*/, v7 offset:896
	ds_load_b128 v[6:9] /*v[262:265]*/, v7 offset:912
	;; [unrolled: 1-line block ×4, first 2 shown]
	s_mov_b32 s0, exec_lo
	s_wait_dscnt 0x11
	v_dual_mov_b32 v20 /*v276*/, v205 :: v_dual_mov_b32 v21 /*v277*/, v204
	s_wait_dscnt 0x10
	v_dual_mov_b32 v22 /*v278*/, v209 :: v_dual_mov_b32 v23 /*v279*/, v208
	;; [unrolled: 2-line block ×4, first 2 shown]
	s_wait_loadcnt_dscnt 0x120d
	s_set_vgpr_msb 0                        ;  msbs: dst=0 src0=0 src1=0 src2=0
	v_dual_mul_f32 v7, v218, v131 :: v_dual_mul_f32 v9, v220, v133
	s_wait_loadcnt_dscnt 0x110c
	v_dual_mul_f32 v59, v219, v131 :: v_dual_mul_f32 v65, v225, v137
	v_dual_mul_f32 v11, v222, v135 :: v_dual_mul_f32 v13, v224, v137
	s_delay_alu instid0(VALU_DEP_3)
	v_dual_fmac_f32 v7, v219, v130 :: v_dual_fmac_f32 v9, v221, v132
	s_wait_loadcnt_dscnt 0x904
	v_dual_mul_f32 v61, v221, v133 :: v_dual_mul_f32 v43, v254, v167
	v_dual_mul_f32 v63, v223, v135 :: v_dual_mul_f32 v69, v229, v141
	s_wait_loadcnt_dscnt 0x601
	s_set_vgpr_msb 1                        ;  msbs: dst=0 src0=1 src1=0 src2=0
	v_dual_mul_f32 v57, v12 /*v268*/, v181 :: v_dual_add_f32 v7, 0, v7
	s_set_vgpr_msb 0                        ;  msbs: dst=0 src0=0 src1=0 src2=0
	v_dual_mul_f32 v67, v227, v139 :: v_dual_fma_f32 v59, v218, v130, -v59
	v_dual_mul_f32 v71, v231, v143 :: v_dual_fma_f32 v61, v220, v132, -v61
	v_dual_fmac_f32 v11, v223, v134 :: v_dual_fmac_f32 v13, v225, v136
	s_delay_alu instid0(VALU_DEP_3) | instskip(SKIP_2) | instid1(VALU_DEP_3)
	v_dual_add_f32 v59, 0, v59 :: v_dual_mul_f32 v73, v233, v145
	v_dual_fma_f32 v63, v222, v134, -v63 :: v_dual_add_f32 v7, v7, v9
	v_dual_mul_f32 v15, v226, v139 :: v_dual_mul_f32 v17, v228, v141
	v_dual_add_f32 v9, v59, v61 :: v_dual_fma_f32 v61, v224, v136, -v65
	s_delay_alu instid0(VALU_DEP_3) | instskip(NEXT) | instid1(VALU_DEP_3)
	v_add_f32_e32 v7, v7, v11
	v_dual_fmac_f32 v15, v227, v138 :: v_dual_mul_f32 v19, v230, v143
	s_delay_alu instid0(VALU_DEP_3) | instskip(NEXT) | instid1(VALU_DEP_3)
	v_dual_mul_f32 v21, v232, v145 :: v_dual_add_f32 v9, v9, v63
	v_dual_fma_f32 v63, v226, v138, -v67 :: v_dual_add_f32 v7, v7, v13
	v_dual_fmac_f32 v17, v229, v140 :: v_dual_mul_f32 v13, v239, v151
	s_delay_alu instid0(VALU_DEP_3) | instskip(NEXT) | instid1(VALU_DEP_3)
	v_dual_add_f32 v9, v9, v61 :: v_dual_fma_f32 v61, v228, v140, -v69
	v_add_f32_e32 v7, v7, v15
	v_dual_fmac_f32 v19, v231, v142 :: v_dual_mul_f32 v23, v234, v147
	s_delay_alu instid0(VALU_DEP_3) | instskip(NEXT) | instid1(VALU_DEP_3)
	v_dual_mul_f32 v25, v236, v149 :: v_dual_add_f32 v9, v9, v63
	v_dual_add_f32 v7, v7, v17 :: v_dual_fmac_f32 v21, v233, v144
	v_dual_mul_f32 v15, v241, v153 :: v_dual_fma_f32 v63, v230, v142, -v71
	s_delay_alu instid0(VALU_DEP_3) | instskip(NEXT) | instid1(VALU_DEP_3)
	v_dual_add_f32 v9, v9, v61 :: v_dual_mul_f32 v17, v243, v155
	v_dual_fma_f32 v61, v232, v144, -v73 :: v_dual_add_f32 v7, v7, v19
	v_dual_mul_f32 v59, v235, v147 :: v_dual_mul_f32 v11, v237, v149
	s_delay_alu instid0(VALU_DEP_3) | instskip(NEXT) | instid1(VALU_DEP_3)
	v_dual_add_f32 v9, v9, v63 :: v_dual_fmac_f32 v23, v235, v146
	v_dual_add_f32 v7, v7, v21 :: v_dual_fmac_f32 v25, v237, v148
	v_dual_mul_f32 v27, v238, v151 :: v_dual_mul_f32 v29, v240, v153
	s_delay_alu instid0(VALU_DEP_4) | instskip(NEXT) | instid1(VALU_DEP_4)
	v_dual_mul_f32 v19, v245, v157 :: v_dual_fma_f32 v59, v234, v146, -v59
	v_dual_add_f32 v9, v9, v61 :: v_dual_mul_f32 v21, v247, v159
	s_delay_alu instid0(VALU_DEP_4) | instskip(NEXT) | instid1(VALU_DEP_2)
	v_dual_fma_f32 v11, v236, v148, -v11 :: v_dual_add_f32 v7, v7, v23
	v_dual_fmac_f32 v27, v239, v150 :: v_dual_add_f32 v9, v9, v59
	v_dual_mul_f32 v31, v242, v155 :: v_dual_mul_f32 v33, v244, v157
	s_delay_alu instid0(VALU_DEP_3) | instskip(SKIP_1) | instid1(VALU_DEP_4)
	v_add_f32_e32 v7, v7, v25
	v_dual_mul_f32 v23, v249, v161 :: v_dual_fma_f32 v13, v238, v150, -v13
	v_add_f32_e32 v9, v9, v11
	v_dual_mul_f32 v11, v251, v163 :: v_dual_fmac_f32 v29, v241, v152
	s_delay_alu instid0(VALU_DEP_4) | instskip(NEXT) | instid1(VALU_DEP_3)
	v_dual_fma_f32 v15, v240, v152, -v15 :: v_dual_add_f32 v7, v7, v27
	v_dual_add_f32 v9, v9, v13 :: v_dual_fmac_f32 v31, v243, v154
	v_dual_mul_f32 v35, v246, v159 :: v_dual_mul_f32 v37, v248, v161
	s_delay_alu instid0(VALU_DEP_2) | instskip(SKIP_2) | instid1(VALU_DEP_3)
	v_dual_add_f32 v7, v7, v29 :: v_dual_add_f32 v9, v9, v15
	v_dual_mul_f32 v13, v253, v165 :: v_dual_fma_f32 v17, v242, v154, -v17
	v_dual_mul_f32 v15, v255, v167 :: v_dual_fmac_f32 v33, v245, v156
	v_dual_fma_f32 v19, v244, v156, -v19 :: v_dual_add_f32 v7, v7, v31
	s_delay_alu instid0(VALU_DEP_3) | instskip(SKIP_2) | instid1(VALU_DEP_3)
	v_dual_add_f32 v9, v9, v17 :: v_dual_fmac_f32 v35, v247, v158
	v_fma_f32 v21, v246, v158, -v21
	v_dual_mul_f32 v39, v250, v163 :: v_dual_mul_f32 v41, v252, v165
	v_dual_add_f32 v7, v7, v33 :: v_dual_add_f32 v9, v9, v19
	v_dual_fma_f32 v23, v248, v160, -v23 :: v_dual_fmac_f32 v37, v249, v160
	s_delay_alu instid0(VALU_DEP_3) | instskip(NEXT) | instid1(VALU_DEP_3)
	v_fmac_f32_e32 v39, v251, v162
	v_dual_add_f32 v7, v7, v35 :: v_dual_add_f32 v9, v9, v21
	v_fma_f32 v11, v250, v162, -v11
	s_set_vgpr_msb 1                        ;  msbs: dst=0 src0=1 src1=0 src2=0
	v_dual_mul_f32 v45, v0 /*v256*/, v169 :: v_dual_mul_f32 v47, v2 /*v258*/, v171
	s_set_vgpr_msb 0                        ;  msbs: dst=0 src0=0 src1=0 src2=0
	v_dual_add_f32 v7, v7, v37 :: v_dual_add_f32 v9, v9, v23
	v_fma_f32 v13, v252, v164, -v13
	v_dual_fmac_f32 v41, v253, v164 :: v_dual_fmac_f32 v43, v255, v166
	s_delay_alu instid0(VALU_DEP_3) | instskip(NEXT) | instid1(VALU_DEP_4)
	v_add_f32_e32 v7, v7, v39
	v_dual_add_f32 v9, v9, v11 :: v_dual_fma_f32 v15, v254, v166, -v15
	s_set_vgpr_msb 1                        ;  msbs: dst=0 src0=1 src1=0 src2=0
	v_dual_mul_f32 v17, v1 /*v257*/, v169 :: v_dual_mul_f32 v19, v3 /*v259*/, v171
	s_set_vgpr_msb 0                        ;  msbs: dst=0 src0=0 src1=0 src2=0
	v_add_f32_e32 v7, v7, v41
	v_add_f32_e32 v9, v9, v13
	s_set_vgpr_msb 1                        ;  msbs: dst=0 src0=1 src1=0 src2=0
	v_dual_fmac_f32 v45, v1 /*v257*/, v168 :: v_dual_fmac_f32 v47, v3 /*v259*/, v170
	v_dual_mul_f32 v49, v4 /*v260*/, v173 :: v_dual_mul_f32 v51, v6 /*v262*/, v175
	s_set_vgpr_msb 0                        ;  msbs: dst=0 src0=0 src1=0 src2=0
	v_add_f32_e32 v7, v7, v43
	s_set_vgpr_msb 1                        ;  msbs: dst=0 src0=1 src1=0 src2=0
	v_fma_f32 v17, v0 /*v256*/, v168, -v17
	s_set_vgpr_msb 0                        ;  msbs: dst=0 src0=0 src1=0 src2=0
	v_add_f32_e32 v9, v9, v15
	s_set_vgpr_msb 1                        ;  msbs: dst=0 src0=1 src1=0 src2=0
	v_dual_mul_f32 v21, v5 /*v261*/, v173 :: v_dual_mul_f32 v23, v7 /*v263*/, v175
	s_set_vgpr_msb 0                        ;  msbs: dst=0 src0=0 src1=0 src2=0
	v_add_f32_e32 v7, v7, v45
	s_set_vgpr_msb 1                        ;  msbs: dst=0 src0=1 src1=0 src2=0
	v_dual_mul_f32 v15, v13 /*v269*/, v181 :: v_dual_fma_f32 v19, v2 /*v258*/, v170, -v19
	s_set_vgpr_msb 0                        ;  msbs: dst=0 src0=0 src1=0 src2=0
	v_add_f32_e32 v9, v9, v17
	s_set_vgpr_msb 1                        ;  msbs: dst=0 src0=1 src1=0 src2=0
	v_dual_fmac_f32 v49, v5 /*v261*/, v172 :: v_dual_fmac_f32 v51, v7 /*v263*/, v174
	s_set_vgpr_msb 0                        ;  msbs: dst=0 src0=0 src1=0 src2=0
	v_add_f32_e32 v7, v7, v47
	s_set_vgpr_msb 1                        ;  msbs: dst=0 src0=1 src1=0 src2=0
	v_dual_mul_f32 v53, v8 /*v264*/, v177 :: v_dual_mul_f32 v55, v10 /*v266*/, v179
	s_wait_loadcnt_dscnt 0x500
	v_dual_mul_f32 v17, v15 /*v271*/, v183 :: v_dual_fma_f32 v21, v4 /*v260*/, v172, -v21
	s_set_vgpr_msb 0                        ;  msbs: dst=0 src0=0 src1=0 src2=0
	v_dual_add_f32 v9, v9, v19 :: v_dual_add_f32 v7, v7, v49
	s_set_vgpr_msb 1                        ;  msbs: dst=0 src0=1 src1=0 src2=0
	v_dual_mul_f32 v11, v9 /*v265*/, v177 :: v_dual_mul_f32 v13, v11 /*v267*/, v179
	v_dual_mul_f32 v19, v17 /*v273*/, v185 :: v_dual_fma_f32 v23, v6 /*v262*/, v174, -v23
	v_fmac_f32_e32 v53, v9 /*v265*/, v176
	s_set_vgpr_msb 0                        ;  msbs: dst=0 src0=0 src1=0 src2=0
	v_dual_add_f32 v9, v9, v21 :: v_dual_add_f32 v7, v7, v51
	s_set_vgpr_msb 1                        ;  msbs: dst=0 src0=1 src1=0 src2=0
	v_dual_fma_f32 v11, v8 /*v264*/, v176, -v11 :: v_dual_fma_f32 v13, v10 /*v266*/, v178, -v13
	v_dual_fmac_f32 v55, v11 /*v267*/, v178 :: v_dual_fmac_f32 v57, v13 /*v269*/, v180
	s_set_vgpr_msb 0                        ;  msbs: dst=0 src0=0 src1=0 src2=0
	v_dual_add_f32 v9, v9, v23 :: v_dual_add_f32 v7, v7, v53
	s_wait_loadcnt 0x4
	v_mov_b32_e32 v132, v189
	s_set_vgpr_msb 0x41                     ;  msbs: dst=1 src0=1 src1=0 src2=0
	v_dual_mul_f32 v29 /*v285*/, v14 /*v270*/, v183 :: v_dual_mul_f32 v31 /*v287*/, v16 /*v272*/, v185
	s_set_vgpr_msb 0                        ;  msbs: dst=0 src0=0 src1=0 src2=0
	v_pk_mul_f32 v[130:131], v[202:203], v[186:187] op_sel:[1,1] op_sel_hi:[0,1]
	v_add_f32_e32 v7, v7, v55
	v_add_f32_e32 v9, v9, v11
	s_set_vgpr_msb 1                        ;  msbs: dst=0 src0=1 src1=0 src2=0
	v_fma_f32 v11, v12 /*v268*/, v180, -v15
	s_set_vgpr_msb 0x41                     ;  msbs: dst=1 src0=1 src1=0 src2=0
	v_dual_fmac_f32 v29 /*v285*/, v15 /*v271*/, v182 :: v_dual_fmac_f32 v31 /*v287*/, v17 /*v273*/, v184
	s_set_vgpr_msb 0                        ;  msbs: dst=0 src0=0 src1=0 src2=0
	v_add_f32_e32 v139, v7, v57
	v_add_f32_e32 v9, v9, v13
	s_set_vgpr_msb 0x41                     ;  msbs: dst=1 src0=1 src1=0 src2=0
	v_dual_fma_f32 v28 /*v284*/, v14 /*v270*/, v182, -v17 :: v_dual_fma_f32 v30 /*v286*/, v16 /*v272*/, v184, -v19
	s_set_vgpr_msb 0                        ;  msbs: dst=0 src0=0 src1=0 src2=0
	v_pk_fma_f32 v[140:141], v[202:203], v[186:187], v[130:131] op_sel_hi:[1,0,1]
	s_set_vgpr_msb 1                        ;  msbs: dst=0 src0=1 src1=0 src2=0
	v_pk_mul_f32 v[132:133], v[20:21] /*v[276:277]*/, v[132:133] op_sel_hi:[1,0]
	s_set_vgpr_msb 0                        ;  msbs: dst=0 src0=0 src1=0 src2=0
	v_add_f32_e32 v138, v9, v11
	v_pk_fma_f32 v[130:131], v[202:203], v[186:187], v[130:131] neg_lo:[0,0,1] neg_hi:[0,0,1]
	s_wait_loadcnt 0x3
	v_pk_mul_f32 v[134:135], v[206:207], v[190:191] op_sel:[1,1] op_sel_hi:[0,1]
	v_dual_mov_b32 v136, v193 :: v_dual_mov_b32 v131, v141
	s_set_vgpr_msb 4                        ;  msbs: dst=0 src0=0 src1=1 src2=0
	v_pk_add_f32 v[138:139], v[138:139], v[28:29] /*v[284:285]*/
	s_set_vgpr_msb 0                        ;  msbs: dst=0 src0=0 src1=0 src2=0
	v_pk_fma_f32 v[140:141], v[204:205], v[188:189], v[132:133] op_sel_hi:[1,0,1]
	v_pk_fma_f32 v[132:133], v[204:205], v[188:189], v[132:133] neg_lo:[0,0,1] neg_hi:[0,0,1]
	v_pk_fma_f32 v[144:145], v[206:207], v[190:191], v[134:135] op_sel_hi:[1,0,1]
	s_set_vgpr_msb 1                        ;  msbs: dst=0 src0=1 src1=0 src2=0
	v_pk_mul_f32 v[136:137], v[22:23] /*v[278:279]*/, v[136:137] op_sel_hi:[1,0]
	s_set_vgpr_msb 4                        ;  msbs: dst=0 src0=0 src1=1 src2=0
	v_pk_add_f32 v[138:139], v[138:139], v[30:31] /*v[286:287]*/
	v_mov_b32_e32 v133, v141
	s_wait_loadcnt 0x2
	s_set_vgpr_msb 0                        ;  msbs: dst=0 src0=0 src1=0 src2=0
	v_pk_mul_f32 v[142:143], v[210:211], v[194:195] op_sel:[1,1] op_sel_hi:[0,1]
	v_pk_fma_f32 v[134:135], v[206:207], v[190:191], v[134:135] neg_lo:[0,0,1] neg_hi:[0,0,1]
	v_pk_fma_f32 v[140:141], v[208:209], v[192:193], v[136:137] op_sel_hi:[1,0,1]
	v_pk_add_f32 v[130:131], v[138:139], v[130:131]
	v_dual_mov_b32 v138, v197 :: v_dual_mov_b32 v135, v145
	v_pk_fma_f32 v[136:137], v[208:209], v[192:193], v[136:137] neg_lo:[0,0,1] neg_hi:[0,0,1]
	s_delay_alu instid0(VALU_DEP_4) | instskip(NEXT) | instid1(VALU_DEP_4)
	v_mov_b32_e32 v137, v141
	v_pk_add_f32 v[130:131], v[130:131], v[132:133]
	v_pk_fma_f32 v[132:133], v[210:211], v[194:195], v[142:143] op_sel_hi:[1,0,1]
	s_set_vgpr_msb 1                        ;  msbs: dst=0 src0=1 src1=0 src2=0
	v_pk_mul_f32 v[138:139], v[24:25] /*v[280:281]*/, v[138:139] op_sel_hi:[1,0]
	s_set_vgpr_msb 0                        ;  msbs: dst=0 src0=0 src1=0 src2=0
	v_pk_fma_f32 v[140:141], v[210:211], v[194:195], v[142:143] neg_lo:[0,0,1] neg_hi:[0,0,1]
	v_pk_add_f32 v[130:131], v[130:131], v[134:135]
	v_mov_b32_e32 v141, v133
	v_pk_fma_f32 v[132:133], v[212:213], v[196:197], v[138:139] op_sel_hi:[1,0,1]
	s_wait_loadcnt 0x1
	v_pk_mul_f32 v[134:135], v[214:215], v[198:199] op_sel:[1,1] op_sel_hi:[0,1]
	v_mov_b32_e32 v132, v201
	v_pk_add_f32 v[130:131], v[130:131], v[136:137]
	v_pk_fma_f32 v[138:139], v[212:213], v[196:197], v[138:139] neg_lo:[0,0,1] neg_hi:[0,0,1]
	s_delay_alu instid0(VALU_DEP_4) | instskip(SKIP_1) | instid1(VALU_DEP_4)
	v_pk_fma_f32 v[136:137], v[214:215], v[198:199], v[134:135] op_sel_hi:[1,0,1]
	v_mov_b32_e32 v139, v133
	v_pk_add_f32 v[130:131], v[130:131], v[140:141]
	s_set_vgpr_msb 1                        ;  msbs: dst=0 src0=1 src1=0 src2=0
	v_pk_mul_f32 v[132:133], v[26:27] /*v[282:283]*/, v[132:133] op_sel_hi:[1,0]
	s_set_vgpr_msb 0                        ;  msbs: dst=0 src0=0 src1=0 src2=0
	v_pk_fma_f32 v[134:135], v[214:215], v[198:199], v[134:135] neg_lo:[0,0,1] neg_hi:[0,0,1]
	v_mov_b32_e32 v135, v137
	v_pk_add_f32 v[130:131], v[130:131], v[138:139]
	v_pk_fma_f32 v[136:137], v[216:217], v[200:201], v[132:133] op_sel_hi:[1,0,1]
	v_pk_fma_f32 v[132:133], v[216:217], v[200:201], v[132:133] neg_lo:[0,0,1] neg_hi:[0,0,1]
	s_delay_alu instid0(VALU_DEP_3) | instskip(NEXT) | instid1(VALU_DEP_3)
	v_pk_add_f32 v[130:131], v[130:131], v[134:135]
	v_mov_b32_e32 v133, v137
	s_delay_alu instid0(VALU_DEP_1) | instskip(SKIP_2) | instid1(VALU_DEP_1)
	v_pk_add_f32 v[130:131], v[130:131], v[132:133]
	s_wait_loadcnt 0x0
	s_set_vgpr_msb 1                        ;  msbs: dst=0 src0=1 src1=0 src2=0
	v_pk_add_f32 v[130:131], v[18:19] /*v[274:275]*/, v[130:131] neg_lo:[0,1] neg_hi:[0,1]
	scratch_store_b64 off, v[130:131], off offset:216
	s_wait_xcnt 0x0
	v_cmpx_lt_u32_e32 26, v0
	s_set_vgpr_msb 0                        ;  msbs: dst=0 src0=0 src1=0 src2=0
	s_cbranch_execz .LBB127_345
; %bb.344:
	scratch_load_b64 v[130:131], off, off offset:208
	v_mov_b64_e32 v[132:133], 0
	scratch_store_b64 off, v[132:133], off offset:208
	s_wait_loadcnt 0x0
	ds_store_b64 v1, v[130:131]
.LBB127_345:
	s_wait_xcnt 0x0
	s_or_b32 exec_lo, exec_lo, s0
	s_wait_storecnt_dscnt 0x0
	s_barrier_signal -1
	s_barrier_wait -1
	s_clause 0xd
	scratch_load_b128 v[134:137], off, off offset:216
	scratch_load_b128 v[142:145], off, off offset:232
	;; [unrolled: 1-line block ×14, first 2 shown]
	v_mov_b32_e32 v7, 0
	scratch_load_b128 v[246:249], off, off offset:440
	s_mov_b32 s0, exec_lo
	ds_load_2addr_b64 v[130:133], v7 offset0:91 offset1:92
	ds_load_2addr_b64 v[138:141], v7 offset0:93 offset1:94
	s_wait_loadcnt_dscnt 0xe01
	v_dual_mul_f32 v9, v130, v135 :: v_dual_mul_f32 v11, v132, v137
	ds_load_2addr_b64 v[146:149], v7 offset0:95 offset1:96
	ds_load_2addr_b64 v[154:157], v7 offset0:97 offset1:98
	;; [unrolled: 1-line block ×4, first 2 shown]
	v_dual_fmac_f32 v9, v131, v134 :: v_dual_fmac_f32 v11, v133, v136
	ds_load_2addr_b64 v[162:165], v7 offset0:99 offset1:100
	ds_load_2addr_b64 v[170:173], v7 offset0:101 offset1:102
	;; [unrolled: 1-line block ×3, first 2 shown]
	v_add_f32_e32 v9, 0, v9
	ds_load_2addr_b64 v[178:181], v7 offset0:103 offset1:104
	ds_load_2addr_b64 v[186:189], v7 offset0:105 offset1:106
	;; [unrolled: 1-line block ×4, first 2 shown]
	v_add_f32_e32 v9, v9, v11
	s_wait_loadcnt_dscnt 0xd0b
	v_mul_f32_e32 v11, v138, v143
	ds_load_2addr_b64 v[210:213], v7 offset0:111 offset1:112
	ds_load_2addr_b64 v[218:221], v7 offset0:113 offset1:114
	s_clause 0x4
	scratch_load_b128 v[250:253], off, off offset:456
	scratch_load_b128 v[254:257], off, off offset:472
	s_set_vgpr_msb 64                       ;  msbs: dst=1 src0=0 src1=0 src2=0
	scratch_load_b128 v[2:5] /*v[258:261]*/, off, off offset:488
	scratch_load_b64 v[12:13] /*v[268:269]*/, off, off offset:504
	s_set_vgpr_msb 0                        ;  msbs: dst=0 src0=0 src1=0 src2=0
	v_fmac_f32_e32 v11, v139, v142
	s_wait_loadcnt_dscnt 0x509
	s_set_vgpr_msb 64                       ;  msbs: dst=1 src0=0 src1=0 src2=0
	v_mul_f32_e32 v9 /*v265*/, v236, v241
	s_set_vgpr_msb 0                        ;  msbs: dst=0 src0=0 src1=0 src2=0
	v_dual_add_f32 v9, v9, v11 :: v_dual_mul_f32 v11, v140, v145
	s_wait_loadcnt_dscnt 0x406
	s_set_vgpr_msb 64                       ;  msbs: dst=1 src0=0 src1=0 src2=0
	v_dual_fmac_f32 v9 /*v265*/, v237, v240 :: v_dual_mul_f32 v11 /*v267*/, v242, v247
	s_set_vgpr_msb 0                        ;  msbs: dst=0 src0=0 src1=0 src2=0
	v_fmac_f32_e32 v11, v141, v144
	s_delay_alu instid0(VALU_DEP_1) | instskip(SKIP_1) | instid1(VALU_DEP_1)
	v_add_f32_e32 v9, v9, v11
	v_mul_f32_e32 v11, v146, v151
	v_fmac_f32_e32 v11, v147, v150
	s_delay_alu instid0(VALU_DEP_1) | instskip(NEXT) | instid1(VALU_DEP_1)
	v_dual_add_f32 v9, v9, v11 :: v_dual_mul_f32 v11, v148, v153
	v_fmac_f32_e32 v11, v149, v152
	s_delay_alu instid0(VALU_DEP_1) | instskip(SKIP_1) | instid1(VALU_DEP_1)
	v_add_f32_e32 v9, v9, v11
	v_mul_f32_e32 v11, v154, v159
	v_fmac_f32_e32 v11, v155, v158
	s_delay_alu instid0(VALU_DEP_1) | instskip(NEXT) | instid1(VALU_DEP_1)
	v_dual_add_f32 v9, v9, v11 :: v_dual_mul_f32 v11, v156, v161
	;; [unrolled: 7-line block ×4, first 2 shown]
	v_fmac_f32_e32 v11, v173, v176
	s_delay_alu instid0(VALU_DEP_1) | instskip(SKIP_2) | instid1(VALU_DEP_1)
	v_add_f32_e32 v9, v9, v11
	s_wait_dscnt 0x5
	v_mul_f32_e32 v11, v178, v183
	v_fmac_f32_e32 v11, v179, v182
	s_delay_alu instid0(VALU_DEP_1) | instskip(NEXT) | instid1(VALU_DEP_1)
	v_dual_add_f32 v9, v9, v11 :: v_dual_mul_f32 v11, v180, v185
	v_fmac_f32_e32 v11, v181, v184
	s_delay_alu instid0(VALU_DEP_1) | instskip(SKIP_2) | instid1(VALU_DEP_1)
	v_add_f32_e32 v9, v9, v11
	s_wait_dscnt 0x4
	v_mul_f32_e32 v11, v186, v191
	v_fmac_f32_e32 v11, v187, v190
	s_delay_alu instid0(VALU_DEP_1) | instskip(NEXT) | instid1(VALU_DEP_1)
	v_dual_add_f32 v9, v9, v11 :: v_dual_mul_f32 v11, v188, v193
	;; [unrolled: 8-line block ×6, first 2 shown]
	v_fmac_f32_e32 v11, v221, v224
	s_delay_alu instid0(VALU_DEP_1) | instskip(SKIP_1) | instid1(VALU_DEP_1)
	v_add_f32_e32 v9, v9, v11
	v_mul_f32_e32 v11, v226, v231
	v_fmac_f32_e32 v11, v227, v230
	s_delay_alu instid0(VALU_DEP_1) | instskip(NEXT) | instid1(VALU_DEP_1)
	v_dual_add_f32 v9, v9, v11 :: v_dual_mul_f32 v11, v228, v233
	v_fmac_f32_e32 v11, v229, v232
	s_delay_alu instid0(VALU_DEP_1) | instskip(SKIP_1) | instid1(VALU_DEP_1)
	v_add_f32_e32 v9, v9, v11
	v_mul_f32_e32 v11, v234, v239
	v_fmac_f32_e32 v11, v235, v238
	s_set_vgpr_msb 64                       ;  msbs: dst=1 src0=0 src1=0 src2=0
	s_delay_alu instid0(VALU_DEP_1) | instskip(SKIP_2) | instid1(VALU_DEP_1)
	v_add_f32_e32 v7 /*v263*/, v9, v11
	s_set_vgpr_msb 0                        ;  msbs: dst=0 src0=0 src1=0 src2=0
	v_dual_mul_f32 v9, v131, v135 :: v_dual_mul_f32 v11, v133, v137
	v_dual_fma_f32 v9, v130, v134, -v9 :: v_dual_fma_f32 v11, v132, v136, -v11
	s_delay_alu instid0(VALU_DEP_1) | instskip(NEXT) | instid1(VALU_DEP_1)
	v_add_f32_e32 v9, 0, v9
	v_add_f32_e32 v9, v9, v11
	v_mul_f32_e32 v11, v139, v143
	s_delay_alu instid0(VALU_DEP_1) | instskip(NEXT) | instid1(VALU_DEP_1)
	v_fma_f32 v11, v138, v142, -v11
	v_add_f32_e32 v9, v9, v11
	v_mul_f32_e32 v11, v141, v145
	s_delay_alu instid0(VALU_DEP_1)
	v_fma_f32 v11, v140, v144, -v11
	ds_load_2addr_b64 v[130:133], v7 offset0:121 offset1:122
	ds_load_2addr_b64 v[134:137], v7 offset0:123 offset1:124
	;; [unrolled: 1-line block ×3, first 2 shown]
	ds_load_b64 v[142:143], v7 offset:1016
	v_add_f32_e32 v9, v9, v11
	v_dual_mul_f32 v11, v147, v151 :: v_dual_mov_b32 v147, v244
	s_delay_alu instid0(VALU_DEP_1) | instskip(NEXT) | instid1(VALU_DEP_1)
	v_dual_fma_f32 v11, v146, v150, -v11 :: v_dual_mov_b32 v146, v245
	v_add_f32_e32 v9, v9, v11
	v_mul_f32_e32 v11, v149, v153
	s_delay_alu instid0(VALU_DEP_1) | instskip(NEXT) | instid1(VALU_DEP_1)
	v_dual_fma_f32 v11, v148, v152, -v11 :: v_dual_mov_b32 v148, v249
	v_add_f32_e32 v9, v9, v11
	v_mul_f32_e32 v11, v155, v159
	s_delay_alu instid0(VALU_DEP_3) | instskip(NEXT) | instid1(VALU_DEP_2)
	v_pk_mul_f32 v[146:147], v[146:147], v[148:149] op_sel_hi:[1,0]
	v_fma_f32 v11, v154, v158, -v11
	s_delay_alu instid0(VALU_DEP_2) | instskip(SKIP_1) | instid1(VALU_DEP_3)
	v_pk_fma_f32 v[148:149], v[244:245], v[248:249], v[146:147] neg_lo:[0,0,1] neg_hi:[0,0,1]
	v_pk_fma_f32 v[146:147], v[244:245], v[248:249], v[146:147] op_sel_hi:[1,0,1]
	v_add_f32_e32 v9, v9, v11
	s_delay_alu instid0(VALU_DEP_2) | instskip(SKIP_2) | instid1(VALU_DEP_2)
	v_dual_mul_f32 v11, v157, v161 :: v_dual_mov_b32 v149, v147
	s_wait_loadcnt_dscnt 0x303
	v_pk_mul_f32 v[146:147], v[130:131], v[250:251] op_sel:[1,1] op_sel_hi:[0,1]
	v_fma_f32 v11, v156, v160, -v11
	s_delay_alu instid0(VALU_DEP_1) | instskip(SKIP_1) | instid1(VALU_DEP_1)
	v_add_f32_e32 v9, v9, v11
	v_mul_f32_e32 v11, v163, v167
	v_fma_f32 v11, v162, v166, -v11
	s_delay_alu instid0(VALU_DEP_1) | instskip(SKIP_1) | instid1(VALU_DEP_1)
	v_add_f32_e32 v9, v9, v11
	v_mul_f32_e32 v11, v165, v169
	v_fma_f32 v11, v164, v168, -v11
	s_delay_alu instid0(VALU_DEP_1) | instskip(SKIP_1) | instid1(VALU_DEP_1)
	v_add_f32_e32 v9, v9, v11
	v_mul_f32_e32 v11, v171, v175
	v_fma_f32 v11, v170, v174, -v11
	s_delay_alu instid0(VALU_DEP_1) | instskip(SKIP_1) | instid1(VALU_DEP_1)
	v_add_f32_e32 v9, v9, v11
	v_mul_f32_e32 v11, v173, v177
	v_fma_f32 v11, v172, v176, -v11
	s_delay_alu instid0(VALU_DEP_1) | instskip(SKIP_1) | instid1(VALU_DEP_1)
	v_add_f32_e32 v9, v9, v11
	v_mul_f32_e32 v11, v179, v183
	v_fma_f32 v11, v178, v182, -v11
	s_delay_alu instid0(VALU_DEP_1) | instskip(SKIP_1) | instid1(VALU_DEP_1)
	v_add_f32_e32 v9, v9, v11
	v_mul_f32_e32 v11, v181, v185
	v_fma_f32 v11, v180, v184, -v11
	s_delay_alu instid0(VALU_DEP_1) | instskip(SKIP_1) | instid1(VALU_DEP_1)
	v_add_f32_e32 v9, v9, v11
	v_mul_f32_e32 v11, v187, v191
	v_fma_f32 v11, v186, v190, -v11
	s_delay_alu instid0(VALU_DEP_1) | instskip(SKIP_1) | instid1(VALU_DEP_1)
	v_add_f32_e32 v9, v9, v11
	v_mul_f32_e32 v11, v189, v193
	v_fma_f32 v11, v188, v192, -v11
	s_delay_alu instid0(VALU_DEP_1) | instskip(SKIP_1) | instid1(VALU_DEP_1)
	v_add_f32_e32 v9, v9, v11
	v_mul_f32_e32 v11, v195, v199
	v_fma_f32 v11, v194, v198, -v11
	s_delay_alu instid0(VALU_DEP_1) | instskip(SKIP_1) | instid1(VALU_DEP_1)
	v_add_f32_e32 v9, v9, v11
	v_mul_f32_e32 v11, v197, v201
	v_fma_f32 v11, v196, v200, -v11
	s_delay_alu instid0(VALU_DEP_1) | instskip(SKIP_1) | instid1(VALU_DEP_1)
	v_add_f32_e32 v9, v9, v11
	v_mul_f32_e32 v11, v203, v207
	v_fma_f32 v11, v202, v206, -v11
	s_delay_alu instid0(VALU_DEP_1) | instskip(SKIP_1) | instid1(VALU_DEP_1)
	v_add_f32_e32 v9, v9, v11
	v_mul_f32_e32 v11, v205, v209
	v_fma_f32 v11, v204, v208, -v11
	s_delay_alu instid0(VALU_DEP_1) | instskip(SKIP_1) | instid1(VALU_DEP_1)
	v_add_f32_e32 v9, v9, v11
	v_mul_f32_e32 v11, v211, v215
	v_fma_f32 v11, v210, v214, -v11
	s_delay_alu instid0(VALU_DEP_1) | instskip(SKIP_1) | instid1(VALU_DEP_1)
	v_add_f32_e32 v9, v9, v11
	v_mul_f32_e32 v11, v213, v217
	v_fma_f32 v11, v212, v216, -v11
	s_delay_alu instid0(VALU_DEP_1) | instskip(SKIP_1) | instid1(VALU_DEP_1)
	v_add_f32_e32 v9, v9, v11
	v_mul_f32_e32 v11, v219, v223
	v_fma_f32 v11, v218, v222, -v11
	s_delay_alu instid0(VALU_DEP_1) | instskip(SKIP_1) | instid1(VALU_DEP_1)
	v_add_f32_e32 v9, v9, v11
	v_mul_f32_e32 v11, v221, v225
	v_fma_f32 v11, v220, v224, -v11
	s_delay_alu instid0(VALU_DEP_1) | instskip(SKIP_1) | instid1(VALU_DEP_1)
	v_add_f32_e32 v9, v9, v11
	v_mul_f32_e32 v11, v227, v231
	v_fma_f32 v11, v226, v230, -v11
	s_delay_alu instid0(VALU_DEP_1) | instskip(SKIP_1) | instid1(VALU_DEP_1)
	v_add_f32_e32 v9, v9, v11
	v_mul_f32_e32 v11, v229, v233
	v_fma_f32 v11, v228, v232, -v11
	s_delay_alu instid0(VALU_DEP_1) | instskip(SKIP_1) | instid1(VALU_DEP_1)
	v_add_f32_e32 v9, v9, v11
	v_mul_f32_e32 v11, v235, v239
	v_fma_f32 v11, v234, v238, -v11
	s_set_vgpr_msb 64                       ;  msbs: dst=1 src0=0 src1=0 src2=0
	s_delay_alu instid0(VALU_DEP_1) | instskip(SKIP_3) | instid1(VALU_DEP_1)
	v_dual_fmac_f32 v11 /*v267*/, v243, v246 :: v_dual_add_f32 v6 /*v262*/, v9, v11
	s_set_vgpr_msb 0                        ;  msbs: dst=0 src0=0 src1=0 src2=0
	v_mul_f32_e32 v9, v237, v241
	s_set_vgpr_msb 64                       ;  msbs: dst=1 src0=0 src1=0 src2=0
	v_fma_f32 v8 /*v264*/, v236, v240, -v9
	s_set_vgpr_msb 0                        ;  msbs: dst=0 src0=0 src1=0 src2=0
	v_mul_f32_e32 v9, v243, v247
	s_set_vgpr_msb 64                       ;  msbs: dst=1 src0=0 src1=0 src2=0
	s_delay_alu instid0(VALU_DEP_1) | instskip(SKIP_3) | instid1(VALU_DEP_1)
	v_fma_f32 v10 /*v266*/, v242, v246, -v9
	s_set_vgpr_msb 5                        ;  msbs: dst=0 src0=1 src1=1 src2=0
	v_pk_add_f32 v[144:145], v[6:7] /*v[262:263]*/, v[8:9] /*v[264:265]*/
	s_set_vgpr_msb 4                        ;  msbs: dst=0 src0=0 src1=1 src2=0
	v_pk_add_f32 v[144:145], v[144:145], v[10:11] /*v[266:267]*/
	s_set_vgpr_msb 0                        ;  msbs: dst=0 src0=0 src1=0 src2=0
	s_delay_alu instid0(VALU_DEP_1) | instskip(SKIP_2) | instid1(VALU_DEP_1)
	v_pk_add_f32 v[144:145], v[144:145], v[148:149]
	v_pk_fma_f32 v[148:149], v[130:131], v[250:251], v[146:147] neg_lo:[0,0,1] neg_hi:[0,0,1]
	v_pk_fma_f32 v[130:131], v[130:131], v[250:251], v[146:147] op_sel_hi:[1,0,1]
	v_dual_mov_b32 v146, v253 :: v_dual_mov_b32 v149, v131
	s_delay_alu instid0(VALU_DEP_1) | instskip(SKIP_1) | instid1(VALU_DEP_1)
	v_pk_add_f32 v[130:131], v[144:145], v[148:149]
	v_dual_mov_b32 v144, v133 :: v_dual_mov_b32 v145, v132
	v_pk_mul_f32 v[144:145], v[144:145], v[146:147] op_sel_hi:[1,0]
	s_delay_alu instid0(VALU_DEP_1) | instskip(SKIP_1) | instid1(VALU_DEP_1)
	v_pk_fma_f32 v[146:147], v[132:133], v[252:253], v[144:145] neg_lo:[0,0,1] neg_hi:[0,0,1]
	v_pk_fma_f32 v[132:133], v[132:133], v[252:253], v[144:145] op_sel_hi:[1,0,1]
	v_mov_b32_e32 v147, v133
	s_wait_loadcnt_dscnt 0x202
	v_pk_mul_f32 v[132:133], v[134:135], v[254:255] op_sel:[1,1] op_sel_hi:[0,1]
	s_delay_alu instid0(VALU_DEP_2) | instskip(NEXT) | instid1(VALU_DEP_2)
	v_pk_add_f32 v[130:131], v[130:131], v[146:147]
	v_pk_fma_f32 v[144:145], v[134:135], v[254:255], v[132:133] neg_lo:[0,0,1] neg_hi:[0,0,1]
	v_pk_fma_f32 v[132:133], v[134:135], v[254:255], v[132:133] op_sel_hi:[1,0,1]
	v_mov_b32_e32 v132, v137
	s_set_vgpr_msb 1                        ;  msbs: dst=0 src0=1 src1=0 src2=0
	v_mov_b32_e32 v134, v1 /*v257*/
	s_set_vgpr_msb 0                        ;  msbs: dst=0 src0=0 src1=0 src2=0
	v_dual_mov_b32 v145, v133 :: v_dual_mov_b32 v133, v136
	s_delay_alu instid0(VALU_DEP_1) | instskip(NEXT) | instid1(VALU_DEP_2)
	v_pk_add_f32 v[130:131], v[130:131], v[144:145]
	v_pk_mul_f32 v[132:133], v[132:133], v[134:135] op_sel_hi:[1,0]
	s_set_vgpr_msb 4                        ;  msbs: dst=0 src0=0 src1=1 src2=0
	s_delay_alu instid0(VALU_DEP_1) | instskip(SKIP_1) | instid1(VALU_DEP_1)
	v_pk_fma_f32 v[134:135], v[136:137], v[0:1] /*v[256:257]*/, v[132:133] neg_lo:[0,0,1] neg_hi:[0,0,1]
	v_pk_fma_f32 v[132:133], v[136:137], v[0:1] /*v[256:257]*/, v[132:133] op_sel_hi:[1,0,1]
	v_mov_b32_e32 v135, v133
	s_wait_loadcnt_dscnt 0x101
	v_pk_mul_f32 v[132:133], v[138:139], v[2:3] /*v[258:259]*/ op_sel:[1,1] op_sel_hi:[0,1]
	s_set_vgpr_msb 0                        ;  msbs: dst=0 src0=0 src1=0 src2=0
	s_delay_alu instid0(VALU_DEP_2) | instskip(SKIP_1) | instid1(VALU_DEP_2)
	v_pk_add_f32 v[130:131], v[130:131], v[134:135]
	s_set_vgpr_msb 4                        ;  msbs: dst=0 src0=0 src1=1 src2=0
	v_pk_fma_f32 v[134:135], v[138:139], v[2:3] /*v[258:259]*/, v[132:133] neg_lo:[0,0,1] neg_hi:[0,0,1]
	v_pk_fma_f32 v[132:133], v[138:139], v[2:3] /*v[258:259]*/, v[132:133] op_sel_hi:[1,0,1]
	s_delay_alu instid0(VALU_DEP_1) | instskip(SKIP_2) | instid1(VALU_DEP_2)
	v_dual_mov_b32 v132, v141 :: v_dual_mov_b32 v135, v133
	v_mov_b32_e32 v133, v140
	s_set_vgpr_msb 0                        ;  msbs: dst=0 src0=0 src1=0 src2=0
	v_pk_add_f32 v[130:131], v[130:131], v[134:135]
	s_set_vgpr_msb 1                        ;  msbs: dst=0 src0=1 src1=0 src2=0
	v_mov_b32_e32 v134, v5 /*v261*/
	s_set_vgpr_msb 0                        ;  msbs: dst=0 src0=0 src1=0 src2=0
	s_delay_alu instid0(VALU_DEP_1) | instskip(SKIP_1) | instid1(VALU_DEP_1)
	v_pk_mul_f32 v[132:133], v[132:133], v[134:135] op_sel_hi:[1,0]
	s_set_vgpr_msb 4                        ;  msbs: dst=0 src0=0 src1=1 src2=0
	v_pk_fma_f32 v[134:135], v[140:141], v[4:5] /*v[260:261]*/, v[132:133] neg_lo:[0,0,1] neg_hi:[0,0,1]
	v_pk_fma_f32 v[132:133], v[140:141], v[4:5] /*v[260:261]*/, v[132:133] op_sel_hi:[1,0,1]
	s_delay_alu instid0(VALU_DEP_1) | instskip(SKIP_3) | instid1(VALU_DEP_2)
	v_mov_b32_e32 v135, v133
	s_wait_loadcnt_dscnt 0x0
	v_pk_mul_f32 v[132:133], v[142:143], v[12:13] /*v[268:269]*/ op_sel:[1,1] op_sel_hi:[0,1]
	s_set_vgpr_msb 0                        ;  msbs: dst=0 src0=0 src1=0 src2=0
	v_pk_add_f32 v[130:131], v[130:131], v[134:135]
	s_set_vgpr_msb 4                        ;  msbs: dst=0 src0=0 src1=1 src2=0
	s_delay_alu instid0(VALU_DEP_2) | instskip(SKIP_1) | instid1(VALU_DEP_1)
	v_pk_fma_f32 v[134:135], v[142:143], v[12:13] /*v[268:269]*/, v[132:133] neg_lo:[0,0,1] neg_hi:[0,0,1]
	v_pk_fma_f32 v[132:133], v[142:143], v[12:13] /*v[268:269]*/, v[132:133] op_sel_hi:[1,0,1]
	v_mov_b32_e32 v135, v133
	scratch_load_b64 v[132:133], off, off offset:208
	s_set_vgpr_msb 0                        ;  msbs: dst=0 src0=0 src1=0 src2=0
	v_pk_add_f32 v[130:131], v[130:131], v[134:135]
	s_wait_loadcnt 0x0
	s_delay_alu instid0(VALU_DEP_1)
	v_pk_add_f32 v[130:131], v[132:133], v[130:131] neg_lo:[0,1] neg_hi:[0,1]
	scratch_store_b64 off, v[130:131], off offset:208
	s_wait_xcnt 0x0
	v_cmpx_lt_u32_e32 25, v0
	s_cbranch_execz .LBB127_347
; %bb.346:
	scratch_load_b64 v[130:131], off, off offset:200
	v_mov_b64_e32 v[132:133], 0
	scratch_store_b64 off, v[132:133], off offset:200
	s_wait_loadcnt 0x0
	ds_store_b64 v1, v[130:131]
.LBB127_347:
	s_wait_xcnt 0x0
	s_or_b32 exec_lo, exec_lo, s0
	s_wait_storecnt_dscnt 0x0
	s_barrier_signal -1
	s_barrier_wait -1
	ds_load_b128 v[130:133], v7 offset:720
	ds_load_b128 v[134:137], v7 offset:736
	;; [unrolled: 1-line block ×4, first 2 shown]
	s_clause 0xe
	scratch_load_b128 v[146:149], off, off offset:208
	scratch_load_b128 v[150:153], off, off offset:224
	;; [unrolled: 1-line block ×15, first 2 shown]
	ds_load_b128 v[162:165], v7 offset:784
	ds_load_b128 v[170:173], v7 offset:800
	;; [unrolled: 1-line block ×11, first 2 shown]
	s_clause 0x4
	scratch_load_b128 v[250:253], off, off offset:448
	scratch_load_b128 v[254:257], off, off offset:464
	s_set_vgpr_msb 64                       ;  msbs: dst=1 src0=0 src1=0 src2=0
	scratch_load_b128 v[2:5] /*v[258:261]*/, off, off offset:480
	scratch_load_b128 v[6:9] /*v[262:265]*/, off, off offset:496
	s_mov_b32 s0, exec_lo
	s_wait_loadcnt_dscnt 0x120e
	s_set_vgpr_msb 0                        ;  msbs: dst=0 src0=0 src1=0 src2=0
	v_dual_mul_f32 v9, v130, v147 :: v_dual_mul_f32 v11, v132, v149
	s_delay_alu instid0(VALU_DEP_1) | instskip(NEXT) | instid1(VALU_DEP_1)
	v_dual_fmac_f32 v9, v131, v146 :: v_dual_fmac_f32 v11, v133, v148
	v_add_f32_e32 v9, 0, v9
	s_wait_loadcnt_dscnt 0x408
	s_set_vgpr_msb 64                       ;  msbs: dst=1 src0=0 src1=0 src2=0
	v_dual_mul_f32 v13 /*v269*/, v242, v247 :: v_dual_mul_f32 v15 /*v271*/, v244, v249
	s_set_vgpr_msb 0                        ;  msbs: dst=0 src0=0 src1=0 src2=0
	v_add_f32_e32 v9, v9, v11
	v_mul_f32_e32 v11, v134, v151
	s_set_vgpr_msb 64                       ;  msbs: dst=1 src0=0 src1=0 src2=0
	v_dual_fmac_f32 v13 /*v269*/, v243, v246 :: v_dual_fmac_f32 v15 /*v271*/, v245, v248
	s_set_vgpr_msb 0                        ;  msbs: dst=0 src0=0 src1=0 src2=0
	s_delay_alu instid0(VALU_DEP_2) | instskip(NEXT) | instid1(VALU_DEP_1)
	v_fmac_f32_e32 v11, v135, v150
	v_dual_add_f32 v9, v9, v11 :: v_dual_mul_f32 v11, v136, v153
	s_delay_alu instid0(VALU_DEP_1) | instskip(NEXT) | instid1(VALU_DEP_1)
	v_fmac_f32_e32 v11, v137, v152
	v_add_f32_e32 v9, v9, v11
	v_mul_f32_e32 v11, v138, v155
	s_delay_alu instid0(VALU_DEP_1) | instskip(NEXT) | instid1(VALU_DEP_1)
	v_fmac_f32_e32 v11, v139, v154
	v_dual_add_f32 v9, v9, v11 :: v_dual_mul_f32 v11, v140, v157
	s_delay_alu instid0(VALU_DEP_1) | instskip(NEXT) | instid1(VALU_DEP_1)
	v_fmac_f32_e32 v11, v141, v156
	v_add_f32_e32 v9, v9, v11
	v_mul_f32_e32 v11, v142, v159
	s_delay_alu instid0(VALU_DEP_1) | instskip(NEXT) | instid1(VALU_DEP_1)
	;; [unrolled: 7-line block ×4, first 2 shown]
	v_fmac_f32_e32 v11, v171, v174
	v_dual_add_f32 v9, v9, v11 :: v_dual_mul_f32 v11, v172, v177
	s_delay_alu instid0(VALU_DEP_1) | instskip(NEXT) | instid1(VALU_DEP_1)
	v_fmac_f32_e32 v11, v173, v176
	v_add_f32_e32 v9, v9, v11
	s_wait_dscnt 0x7
	v_mul_f32_e32 v11, v178, v183
	s_delay_alu instid0(VALU_DEP_1) | instskip(NEXT) | instid1(VALU_DEP_1)
	v_fmac_f32_e32 v11, v179, v182
	v_dual_add_f32 v9, v9, v11 :: v_dual_mul_f32 v11, v180, v185
	s_delay_alu instid0(VALU_DEP_1) | instskip(NEXT) | instid1(VALU_DEP_1)
	v_fmac_f32_e32 v11, v181, v184
	v_add_f32_e32 v9, v9, v11
	s_wait_dscnt 0x6
	v_mul_f32_e32 v11, v186, v191
	s_delay_alu instid0(VALU_DEP_1) | instskip(NEXT) | instid1(VALU_DEP_1)
	v_fmac_f32_e32 v11, v187, v190
	v_dual_add_f32 v9, v9, v11 :: v_dual_mul_f32 v11, v188, v193
	s_delay_alu instid0(VALU_DEP_1) | instskip(NEXT) | instid1(VALU_DEP_1)
	v_fmac_f32_e32 v11, v189, v192
	v_add_f32_e32 v9, v9, v11
	s_wait_dscnt 0x5
	v_mul_f32_e32 v11, v194, v199
	s_delay_alu instid0(VALU_DEP_1) | instskip(NEXT) | instid1(VALU_DEP_1)
	v_fmac_f32_e32 v11, v195, v198
	v_dual_add_f32 v9, v9, v11 :: v_dual_mul_f32 v11, v196, v201
	s_delay_alu instid0(VALU_DEP_1) | instskip(NEXT) | instid1(VALU_DEP_1)
	v_fmac_f32_e32 v11, v197, v200
	v_add_f32_e32 v9, v9, v11
	s_wait_dscnt 0x4
	v_mul_f32_e32 v11, v202, v207
	s_delay_alu instid0(VALU_DEP_1) | instskip(NEXT) | instid1(VALU_DEP_1)
	v_fmac_f32_e32 v11, v203, v206
	v_dual_add_f32 v9, v9, v11 :: v_dual_mul_f32 v11, v204, v209
	s_delay_alu instid0(VALU_DEP_1) | instskip(NEXT) | instid1(VALU_DEP_1)
	v_fmac_f32_e32 v11, v205, v208
	v_add_f32_e32 v9, v9, v11
	s_wait_dscnt 0x3
	v_mul_f32_e32 v11, v210, v215
	s_delay_alu instid0(VALU_DEP_1) | instskip(NEXT) | instid1(VALU_DEP_1)
	v_fmac_f32_e32 v11, v211, v214
	v_dual_add_f32 v9, v9, v11 :: v_dual_mul_f32 v11, v212, v217
	s_delay_alu instid0(VALU_DEP_1) | instskip(NEXT) | instid1(VALU_DEP_1)
	v_fmac_f32_e32 v11, v213, v216
	v_add_f32_e32 v9, v9, v11
	s_wait_dscnt 0x2
	v_mul_f32_e32 v11, v218, v223
	s_delay_alu instid0(VALU_DEP_1) | instskip(NEXT) | instid1(VALU_DEP_1)
	v_fmac_f32_e32 v11, v219, v222
	v_dual_add_f32 v9, v9, v11 :: v_dual_mul_f32 v11, v220, v225
	s_delay_alu instid0(VALU_DEP_1) | instskip(NEXT) | instid1(VALU_DEP_1)
	v_fmac_f32_e32 v11, v221, v224
	v_add_f32_e32 v9, v9, v11
	s_wait_dscnt 0x1
	v_mul_f32_e32 v11, v226, v231
	s_delay_alu instid0(VALU_DEP_1) | instskip(NEXT) | instid1(VALU_DEP_1)
	v_fmac_f32_e32 v11, v227, v230
	v_dual_add_f32 v9, v9, v11 :: v_dual_mul_f32 v11, v228, v233
	s_delay_alu instid0(VALU_DEP_1) | instskip(NEXT) | instid1(VALU_DEP_1)
	v_fmac_f32_e32 v11, v229, v232
	v_add_f32_e32 v9, v9, v11
	s_wait_dscnt 0x0
	v_mul_f32_e32 v11, v234, v239
	s_delay_alu instid0(VALU_DEP_1) | instskip(NEXT) | instid1(VALU_DEP_1)
	v_fmac_f32_e32 v11, v235, v238
	v_dual_add_f32 v9, v9, v11 :: v_dual_mul_f32 v11, v236, v241
	s_delay_alu instid0(VALU_DEP_1) | instskip(SKIP_1) | instid1(VALU_DEP_1)
	v_fmac_f32_e32 v11, v237, v240
	s_set_vgpr_msb 64                       ;  msbs: dst=1 src0=0 src1=0 src2=0
	v_add_f32_e32 v11 /*v267*/, v9, v11
	s_set_vgpr_msb 0                        ;  msbs: dst=0 src0=0 src1=0 src2=0
	v_dual_mul_f32 v9, v131, v147 :: v_dual_mul_f32 v11, v133, v149
	s_delay_alu instid0(VALU_DEP_1) | instskip(NEXT) | instid1(VALU_DEP_1)
	v_dual_fma_f32 v9, v130, v146, -v9 :: v_dual_fma_f32 v11, v132, v148, -v11
	v_add_f32_e32 v9, 0, v9
	s_delay_alu instid0(VALU_DEP_1) | instskip(SKIP_1) | instid1(VALU_DEP_1)
	v_add_f32_e32 v9, v9, v11
	v_mul_f32_e32 v11, v135, v151
	v_fma_f32 v11, v134, v150, -v11
	s_delay_alu instid0(VALU_DEP_1) | instskip(SKIP_1) | instid1(VALU_DEP_1)
	v_add_f32_e32 v9, v9, v11
	v_mul_f32_e32 v11, v137, v153
	v_fma_f32 v11, v136, v152, -v11
	;; [unrolled: 4-line block ×6, first 2 shown]
	ds_load_b128 v[130:133], v7 offset:960
	ds_load_b128 v[134:137], v7 offset:976
	;; [unrolled: 1-line block ×4, first 2 shown]
	v_add_f32_e32 v9, v9, v11
	v_mul_f32_e32 v11, v163, v167
	s_delay_alu instid0(VALU_DEP_1) | instskip(NEXT) | instid1(VALU_DEP_1)
	v_fma_f32 v11, v162, v166, -v11
	v_add_f32_e32 v9, v9, v11
	v_mul_f32_e32 v11, v165, v169
	s_wait_loadcnt_dscnt 0x303
	v_pk_mul_f32 v[148:149], v[130:131], v[250:251] op_sel:[1,1] op_sel_hi:[0,1]
	s_delay_alu instid0(VALU_DEP_2) | instskip(NEXT) | instid1(VALU_DEP_2)
	v_fma_f32 v11, v164, v168, -v11
	v_pk_fma_f32 v[150:151], v[130:131], v[250:251], v[148:149] neg_lo:[0,0,1] neg_hi:[0,0,1]
	v_pk_fma_f32 v[130:131], v[130:131], v[250:251], v[148:149] op_sel_hi:[1,0,1]
	v_mov_b32_e32 v148, v253
	s_delay_alu instid0(VALU_DEP_4) | instskip(SKIP_1) | instid1(VALU_DEP_1)
	v_add_f32_e32 v9, v9, v11
	v_mul_f32_e32 v11, v171, v175
	v_dual_mov_b32 v151, v131 :: v_dual_fma_f32 v11, v170, v174, -v11
	s_delay_alu instid0(VALU_DEP_1) | instskip(SKIP_1) | instid1(VALU_DEP_1)
	v_add_f32_e32 v9, v9, v11
	v_mul_f32_e32 v11, v173, v177
	v_fma_f32 v11, v172, v176, -v11
	s_delay_alu instid0(VALU_DEP_1) | instskip(SKIP_1) | instid1(VALU_DEP_1)
	v_add_f32_e32 v9, v9, v11
	v_mul_f32_e32 v11, v179, v183
	v_fma_f32 v11, v178, v182, -v11
	;; [unrolled: 4-line block ×17, first 2 shown]
	s_set_vgpr_msb 64                       ;  msbs: dst=1 src0=0 src1=0 src2=0
	s_delay_alu instid0(VALU_DEP_1) | instskip(SKIP_3) | instid1(VALU_DEP_1)
	v_add_f32_e32 v10 /*v266*/, v9, v11
	s_set_vgpr_msb 0                        ;  msbs: dst=0 src0=0 src1=0 src2=0
	v_mul_f32_e32 v9, v243, v247
	s_set_vgpr_msb 64                       ;  msbs: dst=1 src0=0 src1=0 src2=0
	v_fma_f32 v12 /*v268*/, v242, v246, -v9
	s_set_vgpr_msb 0                        ;  msbs: dst=0 src0=0 src1=0 src2=0
	v_mul_f32_e32 v9, v245, v249
	s_set_vgpr_msb 5                        ;  msbs: dst=0 src0=1 src1=1 src2=0
	s_delay_alu instid0(VALU_DEP_2) | instskip(SKIP_1) | instid1(VALU_DEP_2)
	v_pk_add_f32 v[146:147], v[10:11] /*v[266:267]*/, v[12:13] /*v[268:269]*/
	s_set_vgpr_msb 64                       ;  msbs: dst=1 src0=0 src1=0 src2=0
	v_fma_f32 v14 /*v270*/, v244, v248, -v9
	s_set_vgpr_msb 4                        ;  msbs: dst=0 src0=0 src1=1 src2=0
	s_delay_alu instid0(VALU_DEP_1) | instskip(SKIP_1) | instid1(VALU_DEP_1)
	v_pk_add_f32 v[146:147], v[146:147], v[14:15] /*v[270:271]*/
	s_set_vgpr_msb 0                        ;  msbs: dst=0 src0=0 src1=0 src2=0
	v_pk_add_f32 v[130:131], v[146:147], v[150:151]
	v_dual_mov_b32 v146, v133 :: v_dual_mov_b32 v147, v132
	s_delay_alu instid0(VALU_DEP_1) | instskip(NEXT) | instid1(VALU_DEP_1)
	v_pk_mul_f32 v[146:147], v[146:147], v[148:149] op_sel_hi:[1,0]
	v_pk_fma_f32 v[148:149], v[132:133], v[252:253], v[146:147] neg_lo:[0,0,1] neg_hi:[0,0,1]
	v_pk_fma_f32 v[132:133], v[132:133], v[252:253], v[146:147] op_sel_hi:[1,0,1]
	s_delay_alu instid0(VALU_DEP_1) | instskip(SKIP_2) | instid1(VALU_DEP_2)
	v_mov_b32_e32 v149, v133
	s_wait_loadcnt_dscnt 0x202
	v_pk_mul_f32 v[132:133], v[134:135], v[254:255] op_sel:[1,1] op_sel_hi:[0,1]
	v_pk_add_f32 v[130:131], v[130:131], v[148:149]
	s_delay_alu instid0(VALU_DEP_2)
	v_pk_fma_f32 v[146:147], v[134:135], v[254:255], v[132:133] neg_lo:[0,0,1] neg_hi:[0,0,1]
	v_pk_fma_f32 v[132:133], v[134:135], v[254:255], v[132:133] op_sel_hi:[1,0,1]
	v_mov_b32_e32 v132, v137
	s_set_vgpr_msb 1                        ;  msbs: dst=0 src0=1 src1=0 src2=0
	v_mov_b32_e32 v134, v1 /*v257*/
	s_set_vgpr_msb 0                        ;  msbs: dst=0 src0=0 src1=0 src2=0
	v_dual_mov_b32 v147, v133 :: v_dual_mov_b32 v133, v136
	s_delay_alu instid0(VALU_DEP_1) | instskip(NEXT) | instid1(VALU_DEP_2)
	v_pk_add_f32 v[130:131], v[130:131], v[146:147]
	v_pk_mul_f32 v[132:133], v[132:133], v[134:135] op_sel_hi:[1,0]
	s_set_vgpr_msb 4                        ;  msbs: dst=0 src0=0 src1=1 src2=0
	s_delay_alu instid0(VALU_DEP_1) | instskip(SKIP_1) | instid1(VALU_DEP_1)
	v_pk_fma_f32 v[134:135], v[136:137], v[0:1] /*v[256:257]*/, v[132:133] neg_lo:[0,0,1] neg_hi:[0,0,1]
	v_pk_fma_f32 v[132:133], v[136:137], v[0:1] /*v[256:257]*/, v[132:133] op_sel_hi:[1,0,1]
	v_mov_b32_e32 v135, v133
	s_wait_loadcnt_dscnt 0x101
	v_pk_mul_f32 v[132:133], v[138:139], v[2:3] /*v[258:259]*/ op_sel:[1,1] op_sel_hi:[0,1]
	s_set_vgpr_msb 0                        ;  msbs: dst=0 src0=0 src1=0 src2=0
	s_delay_alu instid0(VALU_DEP_2) | instskip(SKIP_1) | instid1(VALU_DEP_2)
	v_pk_add_f32 v[130:131], v[130:131], v[134:135]
	s_set_vgpr_msb 4                        ;  msbs: dst=0 src0=0 src1=1 src2=0
	v_pk_fma_f32 v[134:135], v[138:139], v[2:3] /*v[258:259]*/, v[132:133] neg_lo:[0,0,1] neg_hi:[0,0,1]
	v_pk_fma_f32 v[132:133], v[138:139], v[2:3] /*v[258:259]*/, v[132:133] op_sel_hi:[1,0,1]
	s_delay_alu instid0(VALU_DEP_1) | instskip(SKIP_2) | instid1(VALU_DEP_2)
	v_dual_mov_b32 v132, v141 :: v_dual_mov_b32 v135, v133
	v_mov_b32_e32 v133, v140
	s_set_vgpr_msb 0                        ;  msbs: dst=0 src0=0 src1=0 src2=0
	v_pk_add_f32 v[130:131], v[130:131], v[134:135]
	s_set_vgpr_msb 1                        ;  msbs: dst=0 src0=1 src1=0 src2=0
	v_mov_b32_e32 v134, v5 /*v261*/
	s_set_vgpr_msb 0                        ;  msbs: dst=0 src0=0 src1=0 src2=0
	s_delay_alu instid0(VALU_DEP_1) | instskip(SKIP_1) | instid1(VALU_DEP_1)
	v_pk_mul_f32 v[132:133], v[132:133], v[134:135] op_sel_hi:[1,0]
	s_set_vgpr_msb 4                        ;  msbs: dst=0 src0=0 src1=1 src2=0
	v_pk_fma_f32 v[134:135], v[140:141], v[4:5] /*v[260:261]*/, v[132:133] neg_lo:[0,0,1] neg_hi:[0,0,1]
	v_pk_fma_f32 v[132:133], v[140:141], v[4:5] /*v[260:261]*/, v[132:133] op_sel_hi:[1,0,1]
	s_delay_alu instid0(VALU_DEP_1) | instskip(SKIP_3) | instid1(VALU_DEP_2)
	v_mov_b32_e32 v135, v133
	s_wait_loadcnt_dscnt 0x0
	v_pk_mul_f32 v[132:133], v[142:143], v[6:7] /*v[262:263]*/ op_sel:[1,1] op_sel_hi:[0,1]
	s_set_vgpr_msb 0                        ;  msbs: dst=0 src0=0 src1=0 src2=0
	v_pk_add_f32 v[130:131], v[130:131], v[134:135]
	s_set_vgpr_msb 4                        ;  msbs: dst=0 src0=0 src1=1 src2=0
	s_delay_alu instid0(VALU_DEP_2) | instskip(SKIP_1) | instid1(VALU_DEP_1)
	v_pk_fma_f32 v[134:135], v[142:143], v[6:7] /*v[262:263]*/, v[132:133] neg_lo:[0,0,1] neg_hi:[0,0,1]
	v_pk_fma_f32 v[132:133], v[142:143], v[6:7] /*v[262:263]*/, v[132:133] op_sel_hi:[1,0,1]
	v_dual_mov_b32 v132, v145 :: v_dual_mov_b32 v135, v133
	v_mov_b32_e32 v133, v144
	s_set_vgpr_msb 0                        ;  msbs: dst=0 src0=0 src1=0 src2=0
	s_delay_alu instid0(VALU_DEP_2) | instskip(SKIP_3) | instid1(VALU_DEP_1)
	v_pk_add_f32 v[130:131], v[130:131], v[134:135]
	s_set_vgpr_msb 1                        ;  msbs: dst=0 src0=1 src1=0 src2=0
	v_mov_b32_e32 v134, v9 /*v265*/
	s_set_vgpr_msb 0                        ;  msbs: dst=0 src0=0 src1=0 src2=0
	v_pk_mul_f32 v[132:133], v[132:133], v[134:135] op_sel_hi:[1,0]
	s_set_vgpr_msb 4                        ;  msbs: dst=0 src0=0 src1=1 src2=0
	s_delay_alu instid0(VALU_DEP_1) | instskip(SKIP_1) | instid1(VALU_DEP_1)
	v_pk_fma_f32 v[134:135], v[144:145], v[8:9] /*v[264:265]*/, v[132:133] neg_lo:[0,0,1] neg_hi:[0,0,1]
	v_pk_fma_f32 v[132:133], v[144:145], v[8:9] /*v[264:265]*/, v[132:133] op_sel_hi:[1,0,1]
	v_mov_b32_e32 v135, v133
	scratch_load_b64 v[132:133], off, off offset:200
	s_set_vgpr_msb 0                        ;  msbs: dst=0 src0=0 src1=0 src2=0
	v_pk_add_f32 v[130:131], v[130:131], v[134:135]
	s_wait_loadcnt 0x0
	s_delay_alu instid0(VALU_DEP_1)
	v_pk_add_f32 v[130:131], v[132:133], v[130:131] neg_lo:[0,1] neg_hi:[0,1]
	scratch_store_b64 off, v[130:131], off offset:200
	s_wait_xcnt 0x0
	v_cmpx_lt_u32_e32 24, v0
	s_cbranch_execz .LBB127_349
; %bb.348:
	scratch_load_b64 v[130:131], off, off offset:192
	v_mov_b64_e32 v[132:133], 0
	scratch_store_b64 off, v[132:133], off offset:192
	s_wait_loadcnt 0x0
	ds_store_b64 v1, v[130:131]
.LBB127_349:
	s_wait_xcnt 0x0
	s_or_b32 exec_lo, exec_lo, s0
	s_wait_storecnt_dscnt 0x0
	s_barrier_signal -1
	s_barrier_wait -1
	s_clause 0xf
	scratch_load_b128 v[134:137], off, off offset:200
	scratch_load_b128 v[142:145], off, off offset:216
	;; [unrolled: 1-line block ×16, first 2 shown]
	v_mov_b32_e32 v7, 0
	s_mov_b32 s0, exec_lo
	ds_load_2addr_b64 v[130:133], v7 offset0:89 offset1:90
	ds_load_2addr_b64 v[138:141], v7 offset0:91 offset1:92
	s_wait_loadcnt_dscnt 0xf01
	v_dual_mul_f32 v9, v130, v135 :: v_dual_mul_f32 v11, v132, v137
	ds_load_2addr_b64 v[146:149], v7 offset0:93 offset1:94
	ds_load_2addr_b64 v[154:157], v7 offset0:95 offset1:96
	;; [unrolled: 1-line block ×4, first 2 shown]
	v_dual_fmac_f32 v9, v131, v134 :: v_dual_fmac_f32 v11, v133, v136
	ds_load_2addr_b64 v[162:165], v7 offset0:97 offset1:98
	ds_load_2addr_b64 v[170:173], v7 offset0:99 offset1:100
	;; [unrolled: 1-line block ×4, first 2 shown]
	v_add_f32_e32 v9, 0, v9
	ds_load_2addr_b64 v[194:197], v7 offset0:105 offset1:106
	ds_load_2addr_b64 v[202:205], v7 offset0:107 offset1:108
	;; [unrolled: 1-line block ×4, first 2 shown]
	v_add_f32_e32 v9, v9, v11
	s_wait_loadcnt_dscnt 0xe0c
	v_mul_f32_e32 v11, v138, v143
	ds_load_2addr_b64 v[226:229], v7 offset0:113 offset1:114
	ds_load_2addr_b64 v[234:237], v7 offset0:115 offset1:116
	s_set_vgpr_msb 64                       ;  msbs: dst=1 src0=0 src1=0 src2=0
	s_clause 0x3
	scratch_load_b128 v[2:5] /*v[258:261]*/, off, off offset:456
	scratch_load_b128 v[6:9] /*v[262:265]*/, off, off offset:472
	;; [unrolled: 1-line block ×3, first 2 shown]
	scratch_load_b64 v[20:21] /*v[276:277]*/, off, off offset:504
	s_set_vgpr_msb 0                        ;  msbs: dst=0 src0=0 src1=0 src2=0
	v_fmac_f32_e32 v11, v139, v142
	s_wait_loadcnt_dscnt 0x40a
	s_set_vgpr_msb 64                       ;  msbs: dst=1 src0=0 src1=0 src2=0
	v_dual_mul_f32 v17 /*v273*/, v244, v249 :: v_dual_mul_f32 v19 /*v275*/, v250, v255
	s_set_vgpr_msb 0                        ;  msbs: dst=0 src0=0 src1=0 src2=0
	v_dual_add_f32 v9, v9, v11 :: v_dual_mul_f32 v11, v140, v145
	s_set_vgpr_msb 64                       ;  msbs: dst=1 src0=0 src1=0 src2=0
	s_delay_alu instid0(VALU_DEP_2) | instskip(SKIP_1) | instid1(VALU_DEP_2)
	v_fmac_f32_e32 v17 /*v273*/, v245, v248
	s_set_vgpr_msb 0                        ;  msbs: dst=0 src0=0 src1=0 src2=0
	v_fmac_f32_e32 v11, v141, v144
	s_delay_alu instid0(VALU_DEP_1) | instskip(SKIP_1) | instid1(VALU_DEP_1)
	v_add_f32_e32 v9, v9, v11
	v_mul_f32_e32 v11, v146, v151
	v_fmac_f32_e32 v11, v147, v150
	s_delay_alu instid0(VALU_DEP_1) | instskip(NEXT) | instid1(VALU_DEP_1)
	v_dual_add_f32 v9, v9, v11 :: v_dual_mul_f32 v11, v148, v153
	v_fmac_f32_e32 v11, v149, v152
	s_delay_alu instid0(VALU_DEP_1) | instskip(SKIP_1) | instid1(VALU_DEP_1)
	v_add_f32_e32 v9, v9, v11
	v_mul_f32_e32 v11, v154, v159
	v_fmac_f32_e32 v11, v155, v158
	s_delay_alu instid0(VALU_DEP_1) | instskip(NEXT) | instid1(VALU_DEP_1)
	v_dual_add_f32 v9, v9, v11 :: v_dual_mul_f32 v11, v156, v161
	v_fmac_f32_e32 v11, v157, v160
	s_delay_alu instid0(VALU_DEP_1) | instskip(SKIP_2) | instid1(VALU_DEP_1)
	v_add_f32_e32 v9, v9, v11
	s_wait_dscnt 0x9
	v_mul_f32_e32 v11, v162, v167
	v_fmac_f32_e32 v11, v163, v166
	s_delay_alu instid0(VALU_DEP_1) | instskip(NEXT) | instid1(VALU_DEP_1)
	v_dual_add_f32 v9, v9, v11 :: v_dual_mul_f32 v11, v164, v169
	v_fmac_f32_e32 v11, v165, v168
	s_delay_alu instid0(VALU_DEP_1) | instskip(SKIP_2) | instid1(VALU_DEP_1)
	v_add_f32_e32 v9, v9, v11
	s_wait_dscnt 0x8
	;; [unrolled: 8-line block ×10, first 2 shown]
	v_mul_f32_e32 v11, v234, v239
	v_fmac_f32_e32 v11, v235, v238
	s_delay_alu instid0(VALU_DEP_1) | instskip(NEXT) | instid1(VALU_DEP_1)
	v_dual_add_f32 v9, v9, v11 :: v_dual_mul_f32 v11, v236, v241
	v_fmac_f32_e32 v11, v237, v240
	s_delay_alu instid0(VALU_DEP_1) | instskip(SKIP_1) | instid1(VALU_DEP_1)
	v_add_f32_e32 v9, v9, v11
	v_mul_f32_e32 v11, v242, v247
	v_fmac_f32_e32 v11, v243, v246
	s_set_vgpr_msb 64                       ;  msbs: dst=1 src0=0 src1=0 src2=0
	s_delay_alu instid0(VALU_DEP_1) | instskip(SKIP_2) | instid1(VALU_DEP_1)
	v_add_f32_e32 v15 /*v271*/, v9, v11
	s_set_vgpr_msb 0                        ;  msbs: dst=0 src0=0 src1=0 src2=0
	v_dual_mul_f32 v9, v131, v135 :: v_dual_mul_f32 v11, v133, v137
	v_dual_fma_f32 v9, v130, v134, -v9 :: v_dual_fma_f32 v11, v132, v136, -v11
	s_delay_alu instid0(VALU_DEP_1) | instskip(NEXT) | instid1(VALU_DEP_1)
	v_add_f32_e32 v9, 0, v9
	v_add_f32_e32 v9, v9, v11
	v_mul_f32_e32 v11, v139, v143
	s_delay_alu instid0(VALU_DEP_1) | instskip(NEXT) | instid1(VALU_DEP_1)
	v_fma_f32 v11, v138, v142, -v11
	v_add_f32_e32 v9, v9, v11
	v_mul_f32_e32 v11, v141, v145
	s_delay_alu instid0(VALU_DEP_1)
	v_fma_f32 v11, v140, v144, -v11
	ds_load_2addr_b64 v[130:133], v7 offset0:121 offset1:122
	ds_load_2addr_b64 v[134:137], v7 offset0:123 offset1:124
	;; [unrolled: 1-line block ×3, first 2 shown]
	ds_load_b64 v[142:143], v7 offset:1016
	v_add_f32_e32 v9, v9, v11
	v_dual_mul_f32 v11, v147, v151 :: v_dual_mov_b32 v147, v252
	s_delay_alu instid0(VALU_DEP_1) | instskip(NEXT) | instid1(VALU_DEP_1)
	v_dual_fma_f32 v11, v146, v150, -v11 :: v_dual_mov_b32 v146, v253
	v_add_f32_e32 v9, v9, v11
	v_mul_f32_e32 v11, v149, v153
	s_delay_alu instid0(VALU_DEP_1) | instskip(SKIP_3) | instid1(VALU_DEP_2)
	v_fma_f32 v11, v148, v152, -v11
	s_set_vgpr_msb 1                        ;  msbs: dst=0 src0=1 src1=0 src2=0
	v_mov_b32_e32 v148, v1 /*v257*/
	s_set_vgpr_msb 0                        ;  msbs: dst=0 src0=0 src1=0 src2=0
	v_add_f32_e32 v9, v9, v11
	v_mul_f32_e32 v11, v155, v159
	s_delay_alu instid0(VALU_DEP_3) | instskip(NEXT) | instid1(VALU_DEP_2)
	v_pk_mul_f32 v[146:147], v[146:147], v[148:149] op_sel_hi:[1,0]
	v_fma_f32 v11, v154, v158, -v11
	s_set_vgpr_msb 4                        ;  msbs: dst=0 src0=0 src1=1 src2=0
	s_delay_alu instid0(VALU_DEP_2) | instskip(SKIP_3) | instid1(VALU_DEP_2)
	v_pk_fma_f32 v[148:149], v[252:253], v[0:1] /*v[256:257]*/, v[146:147] neg_lo:[0,0,1] neg_hi:[0,0,1]
	v_pk_fma_f32 v[146:147], v[252:253], v[0:1] /*v[256:257]*/, v[146:147] op_sel_hi:[1,0,1]
	s_set_vgpr_msb 0                        ;  msbs: dst=0 src0=0 src1=0 src2=0
	v_add_f32_e32 v9, v9, v11
	v_dual_mul_f32 v11, v157, v161 :: v_dual_mov_b32 v149, v147
	s_wait_loadcnt_dscnt 0x303
	s_set_vgpr_msb 4                        ;  msbs: dst=0 src0=0 src1=1 src2=0
	v_pk_mul_f32 v[146:147], v[130:131], v[2:3] /*v[258:259]*/ op_sel:[1,1] op_sel_hi:[0,1]
	s_set_vgpr_msb 0                        ;  msbs: dst=0 src0=0 src1=0 src2=0
	v_fma_f32 v11, v156, v160, -v11
	s_delay_alu instid0(VALU_DEP_1) | instskip(SKIP_1) | instid1(VALU_DEP_1)
	v_add_f32_e32 v9, v9, v11
	v_mul_f32_e32 v11, v163, v167
	v_fma_f32 v11, v162, v166, -v11
	s_delay_alu instid0(VALU_DEP_1) | instskip(SKIP_1) | instid1(VALU_DEP_1)
	v_add_f32_e32 v9, v9, v11
	v_mul_f32_e32 v11, v165, v169
	;; [unrolled: 4-line block ×21, first 2 shown]
	v_fma_f32 v11, v242, v246, -v11
	s_set_vgpr_msb 64                       ;  msbs: dst=1 src0=0 src1=0 src2=0
	s_delay_alu instid0(VALU_DEP_1) | instskip(SKIP_3) | instid1(VALU_DEP_1)
	v_dual_fmac_f32 v19 /*v275*/, v251, v254 :: v_dual_add_f32 v14 /*v270*/, v9, v11
	s_set_vgpr_msb 0                        ;  msbs: dst=0 src0=0 src1=0 src2=0
	v_mul_f32_e32 v9, v245, v249
	s_set_vgpr_msb 64                       ;  msbs: dst=1 src0=0 src1=0 src2=0
	v_fma_f32 v16 /*v272*/, v244, v248, -v9
	s_set_vgpr_msb 0                        ;  msbs: dst=0 src0=0 src1=0 src2=0
	v_mul_f32_e32 v9, v251, v255
	s_set_vgpr_msb 64                       ;  msbs: dst=1 src0=0 src1=0 src2=0
	s_delay_alu instid0(VALU_DEP_1) | instskip(SKIP_3) | instid1(VALU_DEP_1)
	v_fma_f32 v18 /*v274*/, v250, v254, -v9
	s_set_vgpr_msb 5                        ;  msbs: dst=0 src0=1 src1=1 src2=0
	v_pk_add_f32 v[144:145], v[14:15] /*v[270:271]*/, v[16:17] /*v[272:273]*/
	s_set_vgpr_msb 4                        ;  msbs: dst=0 src0=0 src1=1 src2=0
	v_pk_add_f32 v[144:145], v[144:145], v[18:19] /*v[274:275]*/
	s_set_vgpr_msb 0                        ;  msbs: dst=0 src0=0 src1=0 src2=0
	s_delay_alu instid0(VALU_DEP_1)
	v_pk_add_f32 v[144:145], v[144:145], v[148:149]
	s_set_vgpr_msb 4                        ;  msbs: dst=0 src0=0 src1=1 src2=0
	v_pk_fma_f32 v[148:149], v[130:131], v[2:3] /*v[258:259]*/, v[146:147] neg_lo:[0,0,1] neg_hi:[0,0,1]
	v_pk_fma_f32 v[130:131], v[130:131], v[2:3] /*v[258:259]*/, v[146:147] op_sel_hi:[1,0,1]
	s_set_vgpr_msb 1                        ;  msbs: dst=0 src0=1 src1=0 src2=0
	v_mov_b32_e32 v146, v5 /*v261*/
	s_set_vgpr_msb 0                        ;  msbs: dst=0 src0=0 src1=0 src2=0
	s_delay_alu instid0(VALU_DEP_2) | instskip(NEXT) | instid1(VALU_DEP_1)
	v_mov_b32_e32 v149, v131
	v_pk_add_f32 v[130:131], v[144:145], v[148:149]
	v_dual_mov_b32 v144, v133 :: v_dual_mov_b32 v145, v132
	s_delay_alu instid0(VALU_DEP_1) | instskip(SKIP_1) | instid1(VALU_DEP_1)
	v_pk_mul_f32 v[144:145], v[144:145], v[146:147] op_sel_hi:[1,0]
	s_set_vgpr_msb 4                        ;  msbs: dst=0 src0=0 src1=1 src2=0
	v_pk_fma_f32 v[146:147], v[132:133], v[4:5] /*v[260:261]*/, v[144:145] neg_lo:[0,0,1] neg_hi:[0,0,1]
	v_pk_fma_f32 v[132:133], v[132:133], v[4:5] /*v[260:261]*/, v[144:145] op_sel_hi:[1,0,1]
	s_delay_alu instid0(VALU_DEP_1) | instskip(SKIP_3) | instid1(VALU_DEP_2)
	v_mov_b32_e32 v147, v133
	s_wait_loadcnt_dscnt 0x202
	v_pk_mul_f32 v[132:133], v[134:135], v[6:7] /*v[262:263]*/ op_sel:[1,1] op_sel_hi:[0,1]
	s_set_vgpr_msb 0                        ;  msbs: dst=0 src0=0 src1=0 src2=0
	v_pk_add_f32 v[130:131], v[130:131], v[146:147]
	s_set_vgpr_msb 4                        ;  msbs: dst=0 src0=0 src1=1 src2=0
	s_delay_alu instid0(VALU_DEP_2)
	v_pk_fma_f32 v[144:145], v[134:135], v[6:7] /*v[262:263]*/, v[132:133] neg_lo:[0,0,1] neg_hi:[0,0,1]
	v_pk_fma_f32 v[132:133], v[134:135], v[6:7] /*v[262:263]*/, v[132:133] op_sel_hi:[1,0,1]
	v_mov_b32_e32 v132, v137
	s_set_vgpr_msb 1                        ;  msbs: dst=0 src0=1 src1=0 src2=0
	v_mov_b32_e32 v134, v9 /*v265*/
	s_set_vgpr_msb 0                        ;  msbs: dst=0 src0=0 src1=0 src2=0
	v_dual_mov_b32 v145, v133 :: v_dual_mov_b32 v133, v136
	s_delay_alu instid0(VALU_DEP_1) | instskip(NEXT) | instid1(VALU_DEP_2)
	v_pk_add_f32 v[130:131], v[130:131], v[144:145]
	v_pk_mul_f32 v[132:133], v[132:133], v[134:135] op_sel_hi:[1,0]
	s_set_vgpr_msb 4                        ;  msbs: dst=0 src0=0 src1=1 src2=0
	s_delay_alu instid0(VALU_DEP_1) | instskip(SKIP_1) | instid1(VALU_DEP_1)
	v_pk_fma_f32 v[134:135], v[136:137], v[8:9] /*v[264:265]*/, v[132:133] neg_lo:[0,0,1] neg_hi:[0,0,1]
	v_pk_fma_f32 v[132:133], v[136:137], v[8:9] /*v[264:265]*/, v[132:133] op_sel_hi:[1,0,1]
	v_mov_b32_e32 v135, v133
	s_wait_loadcnt_dscnt 0x101
	v_pk_mul_f32 v[132:133], v[138:139], v[10:11] /*v[266:267]*/ op_sel:[1,1] op_sel_hi:[0,1]
	s_set_vgpr_msb 0                        ;  msbs: dst=0 src0=0 src1=0 src2=0
	s_delay_alu instid0(VALU_DEP_2) | instskip(SKIP_1) | instid1(VALU_DEP_2)
	v_pk_add_f32 v[130:131], v[130:131], v[134:135]
	s_set_vgpr_msb 4                        ;  msbs: dst=0 src0=0 src1=1 src2=0
	v_pk_fma_f32 v[134:135], v[138:139], v[10:11] /*v[266:267]*/, v[132:133] neg_lo:[0,0,1] neg_hi:[0,0,1]
	v_pk_fma_f32 v[132:133], v[138:139], v[10:11] /*v[266:267]*/, v[132:133] op_sel_hi:[1,0,1]
	s_delay_alu instid0(VALU_DEP_1) | instskip(SKIP_2) | instid1(VALU_DEP_2)
	v_dual_mov_b32 v132, v141 :: v_dual_mov_b32 v135, v133
	v_mov_b32_e32 v133, v140
	s_set_vgpr_msb 0                        ;  msbs: dst=0 src0=0 src1=0 src2=0
	v_pk_add_f32 v[130:131], v[130:131], v[134:135]
	s_set_vgpr_msb 1                        ;  msbs: dst=0 src0=1 src1=0 src2=0
	v_mov_b32_e32 v134, v13 /*v269*/
	s_set_vgpr_msb 0                        ;  msbs: dst=0 src0=0 src1=0 src2=0
	s_delay_alu instid0(VALU_DEP_1) | instskip(SKIP_1) | instid1(VALU_DEP_1)
	v_pk_mul_f32 v[132:133], v[132:133], v[134:135] op_sel_hi:[1,0]
	s_set_vgpr_msb 4                        ;  msbs: dst=0 src0=0 src1=1 src2=0
	v_pk_fma_f32 v[134:135], v[140:141], v[12:13] /*v[268:269]*/, v[132:133] neg_lo:[0,0,1] neg_hi:[0,0,1]
	v_pk_fma_f32 v[132:133], v[140:141], v[12:13] /*v[268:269]*/, v[132:133] op_sel_hi:[1,0,1]
	s_delay_alu instid0(VALU_DEP_1) | instskip(SKIP_3) | instid1(VALU_DEP_2)
	v_mov_b32_e32 v135, v133
	s_wait_loadcnt_dscnt 0x0
	v_pk_mul_f32 v[132:133], v[142:143], v[20:21] /*v[276:277]*/ op_sel:[1,1] op_sel_hi:[0,1]
	s_set_vgpr_msb 0                        ;  msbs: dst=0 src0=0 src1=0 src2=0
	v_pk_add_f32 v[130:131], v[130:131], v[134:135]
	s_set_vgpr_msb 4                        ;  msbs: dst=0 src0=0 src1=1 src2=0
	s_delay_alu instid0(VALU_DEP_2) | instskip(SKIP_1) | instid1(VALU_DEP_1)
	v_pk_fma_f32 v[134:135], v[142:143], v[20:21] /*v[276:277]*/, v[132:133] neg_lo:[0,0,1] neg_hi:[0,0,1]
	v_pk_fma_f32 v[132:133], v[142:143], v[20:21] /*v[276:277]*/, v[132:133] op_sel_hi:[1,0,1]
	v_mov_b32_e32 v135, v133
	scratch_load_b64 v[132:133], off, off offset:192
	s_set_vgpr_msb 0                        ;  msbs: dst=0 src0=0 src1=0 src2=0
	v_pk_add_f32 v[130:131], v[130:131], v[134:135]
	s_wait_loadcnt 0x0
	s_delay_alu instid0(VALU_DEP_1)
	v_pk_add_f32 v[130:131], v[132:133], v[130:131] neg_lo:[0,1] neg_hi:[0,1]
	scratch_store_b64 off, v[130:131], off offset:192
	s_wait_xcnt 0x0
	v_cmpx_lt_u32_e32 23, v0
	s_cbranch_execz .LBB127_351
; %bb.350:
	scratch_load_b64 v[130:131], off, off offset:184
	v_mov_b64_e32 v[132:133], 0
	scratch_store_b64 off, v[132:133], off offset:184
	s_wait_loadcnt 0x0
	ds_store_b64 v1, v[130:131]
.LBB127_351:
	s_wait_xcnt 0x0
	s_or_b32 exec_lo, exec_lo, s0
	s_wait_storecnt_dscnt 0x0
	s_barrier_signal -1
	s_barrier_wait -1
	ds_load_b128 v[130:133], v7 offset:704
	ds_load_b128 v[134:137], v7 offset:720
	;; [unrolled: 1-line block ×4, first 2 shown]
	s_clause 0xf
	scratch_load_b128 v[146:149], off, off offset:192
	scratch_load_b128 v[150:153], off, off offset:208
	;; [unrolled: 1-line block ×16, first 2 shown]
	ds_load_b128 v[162:165], v7 offset:768
	ds_load_b128 v[170:173], v7 offset:784
	;; [unrolled: 1-line block ×12, first 2 shown]
	s_set_vgpr_msb 64                       ;  msbs: dst=1 src0=0 src1=0 src2=0
	s_clause 0x3
	scratch_load_b128 v[2:5] /*v[258:261]*/, off, off offset:448
	scratch_load_b128 v[6:9] /*v[262:265]*/, off, off offset:464
	;; [unrolled: 1-line block ×4, first 2 shown]
	s_mov_b32 s0, exec_lo
	s_wait_loadcnt_dscnt 0x130f
	s_set_vgpr_msb 0                        ;  msbs: dst=0 src0=0 src1=0 src2=0
	v_dual_mul_f32 v9, v130, v147 :: v_dual_mul_f32 v11, v132, v149
	s_delay_alu instid0(VALU_DEP_1) | instskip(NEXT) | instid1(VALU_DEP_1)
	v_dual_fmac_f32 v9, v131, v146 :: v_dual_fmac_f32 v11, v133, v148
	v_add_f32_e32 v9, 0, v9
	s_delay_alu instid0(VALU_DEP_1)
	v_add_f32_e32 v9, v9, v11
	s_wait_loadcnt_dscnt 0x120e
	v_mul_f32_e32 v11, v134, v151
	s_wait_loadcnt_dscnt 0x408
	s_set_vgpr_msb 64                       ;  msbs: dst=1 src0=0 src1=0 src2=0
	v_mul_f32_e32 v21 /*v277*/, v250, v255
	s_set_vgpr_msb 0                        ;  msbs: dst=0 src0=0 src1=0 src2=0
	v_fmac_f32_e32 v11, v135, v150
	s_delay_alu instid0(VALU_DEP_1) | instskip(NEXT) | instid1(VALU_DEP_1)
	v_dual_add_f32 v9, v9, v11 :: v_dual_mul_f32 v11, v136, v153
	v_fmac_f32_e32 v11, v137, v152
	s_delay_alu instid0(VALU_DEP_1) | instskip(SKIP_1) | instid1(VALU_DEP_1)
	v_add_f32_e32 v9, v9, v11
	v_mul_f32_e32 v11, v138, v155
	v_fmac_f32_e32 v11, v139, v154
	s_delay_alu instid0(VALU_DEP_1) | instskip(NEXT) | instid1(VALU_DEP_1)
	v_dual_add_f32 v9, v9, v11 :: v_dual_mul_f32 v11, v140, v157
	v_fmac_f32_e32 v11, v141, v156
	s_delay_alu instid0(VALU_DEP_1) | instskip(SKIP_1) | instid1(VALU_DEP_1)
	v_add_f32_e32 v9, v9, v11
	v_mul_f32_e32 v11, v142, v159
	;; [unrolled: 7-line block ×4, first 2 shown]
	v_fmac_f32_e32 v11, v171, v174
	s_delay_alu instid0(VALU_DEP_1) | instskip(NEXT) | instid1(VALU_DEP_1)
	v_dual_add_f32 v9, v9, v11 :: v_dual_mul_f32 v11, v172, v177
	v_fmac_f32_e32 v11, v173, v176
	s_delay_alu instid0(VALU_DEP_1) | instskip(SKIP_2) | instid1(VALU_DEP_1)
	v_add_f32_e32 v9, v9, v11
	s_wait_dscnt 0x7
	v_mul_f32_e32 v11, v178, v183
	v_fmac_f32_e32 v11, v179, v182
	s_delay_alu instid0(VALU_DEP_1) | instskip(NEXT) | instid1(VALU_DEP_1)
	v_dual_add_f32 v9, v9, v11 :: v_dual_mul_f32 v11, v180, v185
	v_fmac_f32_e32 v11, v181, v184
	s_delay_alu instid0(VALU_DEP_1) | instskip(SKIP_2) | instid1(VALU_DEP_1)
	v_add_f32_e32 v9, v9, v11
	s_wait_dscnt 0x6
	v_mul_f32_e32 v11, v186, v191
	;; [unrolled: 8-line block ×8, first 2 shown]
	v_fmac_f32_e32 v11, v235, v238
	s_delay_alu instid0(VALU_DEP_1) | instskip(NEXT) | instid1(VALU_DEP_1)
	v_dual_add_f32 v9, v9, v11 :: v_dual_mul_f32 v11, v236, v241
	v_fmac_f32_e32 v11, v237, v240
	s_delay_alu instid0(VALU_DEP_1) | instskip(SKIP_1) | instid1(VALU_DEP_1)
	v_add_f32_e32 v9, v9, v11
	v_mul_f32_e32 v11, v242, v247
	v_fmac_f32_e32 v11, v243, v246
	s_delay_alu instid0(VALU_DEP_1) | instskip(NEXT) | instid1(VALU_DEP_1)
	v_dual_add_f32 v9, v9, v11 :: v_dual_mul_f32 v11, v244, v249
	v_fmac_f32_e32 v11, v245, v248
	s_set_vgpr_msb 64                       ;  msbs: dst=1 src0=0 src1=0 src2=0
	s_delay_alu instid0(VALU_DEP_1) | instskip(SKIP_2) | instid1(VALU_DEP_1)
	v_add_f32_e32 v19 /*v275*/, v9, v11
	s_set_vgpr_msb 0                        ;  msbs: dst=0 src0=0 src1=0 src2=0
	v_dual_mul_f32 v9, v131, v147 :: v_dual_mul_f32 v11, v133, v149
	v_dual_fma_f32 v9, v130, v146, -v9 :: v_dual_fma_f32 v11, v132, v148, -v11
	s_delay_alu instid0(VALU_DEP_1) | instskip(NEXT) | instid1(VALU_DEP_1)
	v_add_f32_e32 v9, 0, v9
	v_add_f32_e32 v9, v9, v11
	v_mul_f32_e32 v11, v135, v151
	s_delay_alu instid0(VALU_DEP_1) | instskip(NEXT) | instid1(VALU_DEP_1)
	v_fma_f32 v11, v134, v150, -v11
	v_add_f32_e32 v9, v9, v11
	v_mul_f32_e32 v11, v137, v153
	s_delay_alu instid0(VALU_DEP_1) | instskip(NEXT) | instid1(VALU_DEP_1)
	v_fma_f32 v11, v136, v152, -v11
	;; [unrolled: 4-line block ×5, first 2 shown]
	v_add_f32_e32 v9, v9, v11
	v_mul_f32_e32 v11, v145, v161
	s_delay_alu instid0(VALU_DEP_1)
	v_fma_f32 v11, v144, v160, -v11
	ds_load_b128 v[130:133], v7 offset:960
	ds_load_b128 v[134:137], v7 offset:976
	;; [unrolled: 1-line block ×4, first 2 shown]
	v_add_f32_e32 v9, v9, v11
	v_mul_f32_e32 v11, v163, v167
	s_delay_alu instid0(VALU_DEP_1) | instskip(NEXT) | instid1(VALU_DEP_1)
	v_fma_f32 v11, v162, v166, -v11
	v_add_f32_e32 v9, v9, v11
	v_mul_f32_e32 v11, v165, v169
	s_wait_loadcnt_dscnt 0x303
	s_set_vgpr_msb 4                        ;  msbs: dst=0 src0=0 src1=1 src2=0
	v_pk_mul_f32 v[148:149], v[130:131], v[2:3] /*v[258:259]*/ op_sel:[1,1] op_sel_hi:[0,1]
	s_set_vgpr_msb 0                        ;  msbs: dst=0 src0=0 src1=0 src2=0
	v_fma_f32 v11, v164, v168, -v11
	s_set_vgpr_msb 4                        ;  msbs: dst=0 src0=0 src1=1 src2=0
	s_delay_alu instid0(VALU_DEP_2)
	v_pk_fma_f32 v[150:151], v[130:131], v[2:3] /*v[258:259]*/, v[148:149] neg_lo:[0,0,1] neg_hi:[0,0,1]
	v_pk_fma_f32 v[130:131], v[130:131], v[2:3] /*v[258:259]*/, v[148:149] op_sel_hi:[1,0,1]
	s_set_vgpr_msb 1                        ;  msbs: dst=0 src0=1 src1=0 src2=0
	v_mov_b32_e32 v148, v5 /*v261*/
	s_set_vgpr_msb 0                        ;  msbs: dst=0 src0=0 src1=0 src2=0
	v_add_f32_e32 v9, v9, v11
	v_mul_f32_e32 v11, v171, v175
	s_delay_alu instid0(VALU_DEP_1) | instskip(NEXT) | instid1(VALU_DEP_1)
	v_dual_mov_b32 v151, v131 :: v_dual_fma_f32 v11, v170, v174, -v11
	v_add_f32_e32 v9, v9, v11
	v_mul_f32_e32 v11, v173, v177
	s_delay_alu instid0(VALU_DEP_1) | instskip(NEXT) | instid1(VALU_DEP_1)
	v_fma_f32 v11, v172, v176, -v11
	v_add_f32_e32 v9, v9, v11
	v_mul_f32_e32 v11, v179, v183
	s_delay_alu instid0(VALU_DEP_1) | instskip(NEXT) | instid1(VALU_DEP_1)
	v_fma_f32 v11, v178, v182, -v11
	;; [unrolled: 4-line block ×18, first 2 shown]
	v_add_f32_e32 v9, v9, v11
	v_mul_f32_e32 v11, v245, v249
	s_delay_alu instid0(VALU_DEP_1) | instskip(SKIP_1) | instid1(VALU_DEP_1)
	v_fma_f32 v11, v244, v248, -v11
	s_set_vgpr_msb 64                       ;  msbs: dst=1 src0=0 src1=0 src2=0
	v_add_f32_e32 v18 /*v274*/, v9, v11
	s_set_vgpr_msb 0                        ;  msbs: dst=0 src0=0 src1=0 src2=0
	v_mul_f32_e32 v9, v251, v255
	s_set_vgpr_msb 64                       ;  msbs: dst=1 src0=0 src1=0 src2=0
	s_delay_alu instid0(VALU_DEP_1)
	v_fma_f32 v20 /*v276*/, v250, v254, -v9
	v_fmac_f32_e32 v21 /*v277*/, v251, v254
	s_set_vgpr_msb 4                        ;  msbs: dst=0 src0=0 src1=1 src2=0
	v_mul_f32_e32 v9, v253, v1 /*v257*/
	s_set_vgpr_msb 0x44                     ;  msbs: dst=1 src0=0 src1=1 src2=0
	v_mul_f32_e32 v23 /*v279*/, v252, v1 /*v257*/
	s_set_vgpr_msb 5                        ;  msbs: dst=0 src0=1 src1=1 src2=0
	v_pk_add_f32 v[146:147], v[18:19] /*v[274:275]*/, v[20:21] /*v[276:277]*/
	s_set_vgpr_msb 0x44                     ;  msbs: dst=1 src0=0 src1=1 src2=0
	v_fma_f32 v22 /*v278*/, v252, v0 /*v256*/, -v9
	v_fmac_f32_e32 v23 /*v279*/, v253, v0 /*v256*/
	s_set_vgpr_msb 4                        ;  msbs: dst=0 src0=0 src1=1 src2=0
	s_delay_alu instid0(VALU_DEP_1) | instskip(SKIP_1) | instid1(VALU_DEP_1)
	v_pk_add_f32 v[146:147], v[146:147], v[22:23] /*v[278:279]*/
	s_set_vgpr_msb 0                        ;  msbs: dst=0 src0=0 src1=0 src2=0
	v_pk_add_f32 v[130:131], v[146:147], v[150:151]
	v_dual_mov_b32 v146, v133 :: v_dual_mov_b32 v147, v132
	s_delay_alu instid0(VALU_DEP_1) | instskip(SKIP_1) | instid1(VALU_DEP_1)
	v_pk_mul_f32 v[146:147], v[146:147], v[148:149] op_sel_hi:[1,0]
	s_set_vgpr_msb 4                        ;  msbs: dst=0 src0=0 src1=1 src2=0
	v_pk_fma_f32 v[148:149], v[132:133], v[4:5] /*v[260:261]*/, v[146:147] neg_lo:[0,0,1] neg_hi:[0,0,1]
	v_pk_fma_f32 v[132:133], v[132:133], v[4:5] /*v[260:261]*/, v[146:147] op_sel_hi:[1,0,1]
	s_delay_alu instid0(VALU_DEP_1) | instskip(SKIP_3) | instid1(VALU_DEP_2)
	v_mov_b32_e32 v149, v133
	s_wait_loadcnt_dscnt 0x202
	v_pk_mul_f32 v[132:133], v[134:135], v[6:7] /*v[262:263]*/ op_sel:[1,1] op_sel_hi:[0,1]
	s_set_vgpr_msb 0                        ;  msbs: dst=0 src0=0 src1=0 src2=0
	v_pk_add_f32 v[130:131], v[130:131], v[148:149]
	s_set_vgpr_msb 4                        ;  msbs: dst=0 src0=0 src1=1 src2=0
	s_delay_alu instid0(VALU_DEP_2)
	v_pk_fma_f32 v[146:147], v[134:135], v[6:7] /*v[262:263]*/, v[132:133] neg_lo:[0,0,1] neg_hi:[0,0,1]
	v_pk_fma_f32 v[132:133], v[134:135], v[6:7] /*v[262:263]*/, v[132:133] op_sel_hi:[1,0,1]
	v_mov_b32_e32 v132, v137
	s_set_vgpr_msb 1                        ;  msbs: dst=0 src0=1 src1=0 src2=0
	v_mov_b32_e32 v134, v9 /*v265*/
	s_set_vgpr_msb 0                        ;  msbs: dst=0 src0=0 src1=0 src2=0
	v_dual_mov_b32 v147, v133 :: v_dual_mov_b32 v133, v136
	s_delay_alu instid0(VALU_DEP_1) | instskip(NEXT) | instid1(VALU_DEP_2)
	v_pk_add_f32 v[130:131], v[130:131], v[146:147]
	v_pk_mul_f32 v[132:133], v[132:133], v[134:135] op_sel_hi:[1,0]
	s_set_vgpr_msb 4                        ;  msbs: dst=0 src0=0 src1=1 src2=0
	s_delay_alu instid0(VALU_DEP_1) | instskip(SKIP_1) | instid1(VALU_DEP_1)
	v_pk_fma_f32 v[134:135], v[136:137], v[8:9] /*v[264:265]*/, v[132:133] neg_lo:[0,0,1] neg_hi:[0,0,1]
	v_pk_fma_f32 v[132:133], v[136:137], v[8:9] /*v[264:265]*/, v[132:133] op_sel_hi:[1,0,1]
	v_mov_b32_e32 v135, v133
	s_wait_loadcnt_dscnt 0x101
	v_pk_mul_f32 v[132:133], v[138:139], v[10:11] /*v[266:267]*/ op_sel:[1,1] op_sel_hi:[0,1]
	s_set_vgpr_msb 0                        ;  msbs: dst=0 src0=0 src1=0 src2=0
	s_delay_alu instid0(VALU_DEP_2) | instskip(SKIP_1) | instid1(VALU_DEP_2)
	v_pk_add_f32 v[130:131], v[130:131], v[134:135]
	s_set_vgpr_msb 4                        ;  msbs: dst=0 src0=0 src1=1 src2=0
	v_pk_fma_f32 v[134:135], v[138:139], v[10:11] /*v[266:267]*/, v[132:133] neg_lo:[0,0,1] neg_hi:[0,0,1]
	v_pk_fma_f32 v[132:133], v[138:139], v[10:11] /*v[266:267]*/, v[132:133] op_sel_hi:[1,0,1]
	s_delay_alu instid0(VALU_DEP_1) | instskip(SKIP_2) | instid1(VALU_DEP_2)
	v_dual_mov_b32 v132, v141 :: v_dual_mov_b32 v135, v133
	v_mov_b32_e32 v133, v140
	s_set_vgpr_msb 0                        ;  msbs: dst=0 src0=0 src1=0 src2=0
	v_pk_add_f32 v[130:131], v[130:131], v[134:135]
	s_set_vgpr_msb 1                        ;  msbs: dst=0 src0=1 src1=0 src2=0
	v_mov_b32_e32 v134, v13 /*v269*/
	s_set_vgpr_msb 0                        ;  msbs: dst=0 src0=0 src1=0 src2=0
	s_delay_alu instid0(VALU_DEP_1) | instskip(SKIP_1) | instid1(VALU_DEP_1)
	v_pk_mul_f32 v[132:133], v[132:133], v[134:135] op_sel_hi:[1,0]
	s_set_vgpr_msb 4                        ;  msbs: dst=0 src0=0 src1=1 src2=0
	v_pk_fma_f32 v[134:135], v[140:141], v[12:13] /*v[268:269]*/, v[132:133] neg_lo:[0,0,1] neg_hi:[0,0,1]
	v_pk_fma_f32 v[132:133], v[140:141], v[12:13] /*v[268:269]*/, v[132:133] op_sel_hi:[1,0,1]
	s_delay_alu instid0(VALU_DEP_1) | instskip(SKIP_3) | instid1(VALU_DEP_2)
	v_mov_b32_e32 v135, v133
	s_wait_loadcnt_dscnt 0x0
	v_pk_mul_f32 v[132:133], v[142:143], v[14:15] /*v[270:271]*/ op_sel:[1,1] op_sel_hi:[0,1]
	s_set_vgpr_msb 0                        ;  msbs: dst=0 src0=0 src1=0 src2=0
	v_pk_add_f32 v[130:131], v[130:131], v[134:135]
	s_set_vgpr_msb 4                        ;  msbs: dst=0 src0=0 src1=1 src2=0
	s_delay_alu instid0(VALU_DEP_2) | instskip(SKIP_1) | instid1(VALU_DEP_1)
	v_pk_fma_f32 v[134:135], v[142:143], v[14:15] /*v[270:271]*/, v[132:133] neg_lo:[0,0,1] neg_hi:[0,0,1]
	v_pk_fma_f32 v[132:133], v[142:143], v[14:15] /*v[270:271]*/, v[132:133] op_sel_hi:[1,0,1]
	v_dual_mov_b32 v132, v145 :: v_dual_mov_b32 v135, v133
	v_mov_b32_e32 v133, v144
	s_set_vgpr_msb 0                        ;  msbs: dst=0 src0=0 src1=0 src2=0
	s_delay_alu instid0(VALU_DEP_2) | instskip(SKIP_3) | instid1(VALU_DEP_1)
	v_pk_add_f32 v[130:131], v[130:131], v[134:135]
	s_set_vgpr_msb 1                        ;  msbs: dst=0 src0=1 src1=0 src2=0
	v_mov_b32_e32 v134, v17 /*v273*/
	s_set_vgpr_msb 0                        ;  msbs: dst=0 src0=0 src1=0 src2=0
	v_pk_mul_f32 v[132:133], v[132:133], v[134:135] op_sel_hi:[1,0]
	s_set_vgpr_msb 4                        ;  msbs: dst=0 src0=0 src1=1 src2=0
	s_delay_alu instid0(VALU_DEP_1) | instskip(SKIP_1) | instid1(VALU_DEP_1)
	v_pk_fma_f32 v[134:135], v[144:145], v[16:17] /*v[272:273]*/, v[132:133] neg_lo:[0,0,1] neg_hi:[0,0,1]
	v_pk_fma_f32 v[132:133], v[144:145], v[16:17] /*v[272:273]*/, v[132:133] op_sel_hi:[1,0,1]
	v_mov_b32_e32 v135, v133
	scratch_load_b64 v[132:133], off, off offset:184
	s_set_vgpr_msb 0                        ;  msbs: dst=0 src0=0 src1=0 src2=0
	v_pk_add_f32 v[130:131], v[130:131], v[134:135]
	s_wait_loadcnt 0x0
	s_delay_alu instid0(VALU_DEP_1)
	v_pk_add_f32 v[130:131], v[132:133], v[130:131] neg_lo:[0,1] neg_hi:[0,1]
	scratch_store_b64 off, v[130:131], off offset:184
	s_wait_xcnt 0x0
	v_cmpx_lt_u32_e32 22, v0
	s_cbranch_execz .LBB127_353
; %bb.352:
	scratch_load_b64 v[130:131], off, off offset:176
	v_mov_b64_e32 v[132:133], 0
	scratch_store_b64 off, v[132:133], off offset:176
	s_wait_loadcnt 0x0
	ds_store_b64 v1, v[130:131]
.LBB127_353:
	s_wait_xcnt 0x0
	s_or_b32 exec_lo, exec_lo, s0
	s_wait_storecnt_dscnt 0x0
	s_barrier_signal -1
	s_barrier_wait -1
	s_clause 0xf
	scratch_load_b128 v[134:137], off, off offset:184
	scratch_load_b128 v[142:145], off, off offset:200
	;; [unrolled: 1-line block ×16, first 2 shown]
	v_mov_b32_e32 v7, 0
	s_set_vgpr_msb 64                       ;  msbs: dst=1 src0=0 src1=0 src2=0
	scratch_load_b128 v[6:9] /*v[262:265]*/, off, off offset:440
	s_mov_b32 s0, exec_lo
	s_set_vgpr_msb 0                        ;  msbs: dst=0 src0=0 src1=0 src2=0
	ds_load_2addr_b64 v[130:133], v7 offset0:87 offset1:88
	ds_load_2addr_b64 v[138:141], v7 offset0:89 offset1:90
	s_wait_loadcnt_dscnt 0x1001
	v_dual_mul_f32 v9, v130, v135 :: v_dual_mul_f32 v11, v132, v137
	ds_load_2addr_b64 v[146:149], v7 offset0:91 offset1:92
	ds_load_2addr_b64 v[154:157], v7 offset0:93 offset1:94
	;; [unrolled: 1-line block ×4, first 2 shown]
	v_dual_fmac_f32 v9, v131, v134 :: v_dual_fmac_f32 v11, v133, v136
	ds_load_2addr_b64 v[178:181], v7 offset0:99 offset1:100
	ds_load_2addr_b64 v[186:189], v7 offset0:101 offset1:102
	;; [unrolled: 1-line block ×4, first 2 shown]
	v_add_f32_e32 v9, 0, v9
	ds_load_2addr_b64 v[210:213], v7 offset0:107 offset1:108
	ds_load_2addr_b64 v[218:221], v7 offset0:109 offset1:110
	;; [unrolled: 1-line block ×4, first 2 shown]
	v_add_f32_e32 v9, v9, v11
	s_wait_loadcnt_dscnt 0xf0c
	v_mul_f32_e32 v11, v138, v143
	ds_load_2addr_b64 v[242:245], v7 offset0:115 offset1:116
	ds_load_2addr_b64 v[250:253], v7 offset0:117 offset1:118
	s_set_vgpr_msb 64                       ;  msbs: dst=1 src0=0 src1=0 src2=0
	ds_load_2addr_b64 v[2:5] /*v[258:261]*/, v7 offset0:119 offset1:120
	s_clause 0x3
	scratch_load_b128 v[10:13] /*v[266:269]*/, off, off offset:456
	scratch_load_b128 v[14:17] /*v[270:273]*/, off, off offset:472
	;; [unrolled: 1-line block ×3, first 2 shown]
	scratch_load_b64 v[28:29] /*v[284:285]*/, off, off offset:504
	s_set_vgpr_msb 0                        ;  msbs: dst=0 src0=0 src1=0 src2=0
	v_fmac_f32_e32 v11, v139, v142
	s_delay_alu instid0(VALU_DEP_1) | instskip(NEXT) | instid1(VALU_DEP_1)
	v_dual_add_f32 v9, v9, v11 :: v_dual_mul_f32 v11, v140, v145
	v_fmac_f32_e32 v11, v141, v144
	s_delay_alu instid0(VALU_DEP_1) | instskip(SKIP_2) | instid1(VALU_DEP_1)
	v_add_f32_e32 v9, v9, v11
	s_wait_loadcnt_dscnt 0x120e
	v_mul_f32_e32 v11, v146, v151
	v_fmac_f32_e32 v11, v147, v150
	s_delay_alu instid0(VALU_DEP_1) | instskip(NEXT) | instid1(VALU_DEP_1)
	v_dual_add_f32 v9, v9, v11 :: v_dual_mul_f32 v11, v148, v153
	v_fmac_f32_e32 v11, v149, v152
	s_delay_alu instid0(VALU_DEP_1) | instskip(SKIP_2) | instid1(VALU_DEP_1)
	v_add_f32_e32 v9, v9, v11
	s_wait_loadcnt_dscnt 0x110d
	v_mul_f32_e32 v11, v154, v159
	;; [unrolled: 8-line block ×14, first 2 shown]
	v_fmac_f32_e32 v11, v251, v254
	s_set_vgpr_msb 64                       ;  msbs: dst=1 src0=0 src1=0 src2=0
	s_delay_alu instid0(VALU_DEP_1) | instskip(SKIP_2) | instid1(VALU_DEP_1)
	v_add_f32_e32 v23 /*v279*/, v9, v11
	s_set_vgpr_msb 0                        ;  msbs: dst=0 src0=0 src1=0 src2=0
	v_dual_mul_f32 v9, v131, v135 :: v_dual_mul_f32 v11, v133, v137
	v_dual_fma_f32 v9, v130, v134, -v9 :: v_dual_fma_f32 v11, v132, v136, -v11
	s_delay_alu instid0(VALU_DEP_1) | instskip(NEXT) | instid1(VALU_DEP_1)
	v_add_f32_e32 v9, 0, v9
	v_add_f32_e32 v9, v9, v11
	v_mul_f32_e32 v11, v139, v143
	s_delay_alu instid0(VALU_DEP_1) | instskip(NEXT) | instid1(VALU_DEP_1)
	v_fma_f32 v11, v138, v142, -v11
	v_add_f32_e32 v9, v9, v11
	v_mul_f32_e32 v11, v141, v145
	s_delay_alu instid0(VALU_DEP_1)
	v_fma_f32 v11, v140, v144, -v11
	ds_load_2addr_b64 v[130:133], v7 offset0:121 offset1:122
	ds_load_2addr_b64 v[134:137], v7 offset0:123 offset1:124
	;; [unrolled: 1-line block ×3, first 2 shown]
	ds_load_b64 v[142:143], v7 offset:1016
	v_add_f32_e32 v9, v9, v11
	v_mul_f32_e32 v11, v147, v151
	s_wait_dscnt 0x4
	s_set_vgpr_msb 1                        ;  msbs: dst=0 src0=1 src1=0 src2=0
	v_mov_b32_e32 v147, v4 /*v260*/
	s_set_vgpr_msb 0                        ;  msbs: dst=0 src0=0 src1=0 src2=0
	v_fma_f32 v11, v146, v150, -v11
	s_set_vgpr_msb 1                        ;  msbs: dst=0 src0=1 src1=0 src2=0
	v_mov_b32_e32 v146, v5 /*v261*/
	s_set_vgpr_msb 0                        ;  msbs: dst=0 src0=0 src1=0 src2=0
	s_delay_alu instid0(VALU_DEP_2) | instskip(SKIP_1) | instid1(VALU_DEP_1)
	v_add_f32_e32 v9, v9, v11
	v_mul_f32_e32 v11, v149, v153
	v_fma_f32 v11, v148, v152, -v11
	s_wait_loadcnt 0x4
	s_set_vgpr_msb 1                        ;  msbs: dst=0 src0=1 src1=0 src2=0
	v_mov_b32_e32 v148, v9 /*v265*/
	s_set_vgpr_msb 0                        ;  msbs: dst=0 src0=0 src1=0 src2=0
	v_add_f32_e32 v9, v9, v11
	v_mul_f32_e32 v11, v155, v159
	s_delay_alu instid0(VALU_DEP_3) | instskip(NEXT) | instid1(VALU_DEP_2)
	v_pk_mul_f32 v[146:147], v[146:147], v[148:149] op_sel_hi:[1,0]
	v_fma_f32 v11, v154, v158, -v11
	s_set_vgpr_msb 5                        ;  msbs: dst=0 src0=1 src1=1 src2=0
	s_delay_alu instid0(VALU_DEP_2) | instskip(SKIP_3) | instid1(VALU_DEP_2)
	v_pk_fma_f32 v[148:149], v[4:5] /*v[260:261]*/, v[8:9] /*v[264:265]*/, v[146:147] neg_lo:[0,0,1] neg_hi:[0,0,1]
	v_pk_fma_f32 v[146:147], v[4:5] /*v[260:261]*/, v[8:9] /*v[264:265]*/, v[146:147] op_sel_hi:[1,0,1]
	s_set_vgpr_msb 0                        ;  msbs: dst=0 src0=0 src1=0 src2=0
	v_add_f32_e32 v9, v9, v11
	v_dual_mul_f32 v11, v157, v161 :: v_dual_mov_b32 v149, v147
	s_wait_loadcnt_dscnt 0x303
	s_set_vgpr_msb 4                        ;  msbs: dst=0 src0=0 src1=1 src2=0
	v_pk_mul_f32 v[146:147], v[130:131], v[10:11] /*v[266:267]*/ op_sel:[1,1] op_sel_hi:[0,1]
	s_set_vgpr_msb 0                        ;  msbs: dst=0 src0=0 src1=0 src2=0
	v_fma_f32 v11, v156, v160, -v11
	s_delay_alu instid0(VALU_DEP_1) | instskip(SKIP_1) | instid1(VALU_DEP_1)
	v_add_f32_e32 v9, v9, v11
	v_mul_f32_e32 v11, v163, v167
	v_fma_f32 v11, v162, v166, -v11
	s_delay_alu instid0(VALU_DEP_1) | instskip(SKIP_1) | instid1(VALU_DEP_1)
	v_add_f32_e32 v9, v9, v11
	v_mul_f32_e32 v11, v165, v169
	;; [unrolled: 4-line block ×23, first 2 shown]
	v_fma_f32 v11, v250, v254, -v11
	s_set_vgpr_msb 64                       ;  msbs: dst=1 src0=0 src1=0 src2=0
	s_delay_alu instid0(VALU_DEP_1) | instskip(SKIP_3) | instid1(VALU_DEP_1)
	v_add_f32_e32 v22 /*v278*/, v9, v11
	s_set_vgpr_msb 4                        ;  msbs: dst=0 src0=0 src1=1 src2=0
	v_mul_f32_e32 v9, v253, v1 /*v257*/
	s_set_vgpr_msb 0x44                     ;  msbs: dst=1 src0=0 src1=1 src2=0
	v_dual_mul_f32 v25 /*v281*/, v252, v1 /*v257*/ :: v_dual_fma_f32 v24 /*v280*/, v252, v0 /*v256*/, -v9
	s_set_vgpr_msb 5                        ;  msbs: dst=0 src0=1 src1=1 src2=0
	v_mul_f32_e32 v9, v3 /*v259*/, v7 /*v263*/
	s_set_vgpr_msb 0x44                     ;  msbs: dst=1 src0=0 src1=1 src2=0
	s_delay_alu instid0(VALU_DEP_2) | instskip(SKIP_1) | instid1(VALU_DEP_2)
	v_fmac_f32_e32 v25 /*v281*/, v253, v0 /*v256*/
	s_set_vgpr_msb 0x45                     ;  msbs: dst=1 src0=1 src1=1 src2=0
	v_dual_mul_f32 v27 /*v283*/, v2 /*v258*/, v7 /*v263*/ :: v_dual_fma_f32 v26 /*v282*/, v2 /*v258*/, v6 /*v262*/, -v9
	s_set_vgpr_msb 5                        ;  msbs: dst=0 src0=1 src1=1 src2=0
	s_delay_alu instid0(VALU_DEP_2) | instskip(SKIP_1) | instid1(VALU_DEP_2)
	v_pk_add_f32 v[144:145], v[22:23] /*v[278:279]*/, v[24:25] /*v[280:281]*/
	s_set_vgpr_msb 0x45                     ;  msbs: dst=1 src0=1 src1=1 src2=0
	v_fmac_f32_e32 v27 /*v283*/, v3 /*v259*/, v6 /*v262*/
	s_set_vgpr_msb 4                        ;  msbs: dst=0 src0=0 src1=1 src2=0
	s_delay_alu instid0(VALU_DEP_1) | instskip(SKIP_1) | instid1(VALU_DEP_1)
	v_pk_add_f32 v[144:145], v[144:145], v[26:27] /*v[282:283]*/
	s_set_vgpr_msb 0                        ;  msbs: dst=0 src0=0 src1=0 src2=0
	v_pk_add_f32 v[144:145], v[144:145], v[148:149]
	s_set_vgpr_msb 4                        ;  msbs: dst=0 src0=0 src1=1 src2=0
	v_pk_fma_f32 v[148:149], v[130:131], v[10:11] /*v[266:267]*/, v[146:147] neg_lo:[0,0,1] neg_hi:[0,0,1]
	v_pk_fma_f32 v[130:131], v[130:131], v[10:11] /*v[266:267]*/, v[146:147] op_sel_hi:[1,0,1]
	s_set_vgpr_msb 1                        ;  msbs: dst=0 src0=1 src1=0 src2=0
	v_mov_b32_e32 v146, v13 /*v269*/
	s_set_vgpr_msb 0                        ;  msbs: dst=0 src0=0 src1=0 src2=0
	s_delay_alu instid0(VALU_DEP_2) | instskip(NEXT) | instid1(VALU_DEP_1)
	v_mov_b32_e32 v149, v131
	v_pk_add_f32 v[130:131], v[144:145], v[148:149]
	v_dual_mov_b32 v144, v133 :: v_dual_mov_b32 v145, v132
	s_delay_alu instid0(VALU_DEP_1) | instskip(SKIP_1) | instid1(VALU_DEP_1)
	v_pk_mul_f32 v[144:145], v[144:145], v[146:147] op_sel_hi:[1,0]
	s_set_vgpr_msb 4                        ;  msbs: dst=0 src0=0 src1=1 src2=0
	v_pk_fma_f32 v[146:147], v[132:133], v[12:13] /*v[268:269]*/, v[144:145] neg_lo:[0,0,1] neg_hi:[0,0,1]
	v_pk_fma_f32 v[132:133], v[132:133], v[12:13] /*v[268:269]*/, v[144:145] op_sel_hi:[1,0,1]
	s_delay_alu instid0(VALU_DEP_1) | instskip(SKIP_3) | instid1(VALU_DEP_2)
	v_mov_b32_e32 v147, v133
	s_wait_loadcnt_dscnt 0x202
	v_pk_mul_f32 v[132:133], v[134:135], v[14:15] /*v[270:271]*/ op_sel:[1,1] op_sel_hi:[0,1]
	s_set_vgpr_msb 0                        ;  msbs: dst=0 src0=0 src1=0 src2=0
	v_pk_add_f32 v[130:131], v[130:131], v[146:147]
	s_set_vgpr_msb 4                        ;  msbs: dst=0 src0=0 src1=1 src2=0
	s_delay_alu instid0(VALU_DEP_2)
	v_pk_fma_f32 v[144:145], v[134:135], v[14:15] /*v[270:271]*/, v[132:133] neg_lo:[0,0,1] neg_hi:[0,0,1]
	v_pk_fma_f32 v[132:133], v[134:135], v[14:15] /*v[270:271]*/, v[132:133] op_sel_hi:[1,0,1]
	v_mov_b32_e32 v132, v137
	s_set_vgpr_msb 1                        ;  msbs: dst=0 src0=1 src1=0 src2=0
	v_mov_b32_e32 v134, v17 /*v273*/
	s_set_vgpr_msb 0                        ;  msbs: dst=0 src0=0 src1=0 src2=0
	v_dual_mov_b32 v145, v133 :: v_dual_mov_b32 v133, v136
	s_delay_alu instid0(VALU_DEP_1) | instskip(NEXT) | instid1(VALU_DEP_2)
	v_pk_add_f32 v[130:131], v[130:131], v[144:145]
	v_pk_mul_f32 v[132:133], v[132:133], v[134:135] op_sel_hi:[1,0]
	s_set_vgpr_msb 4                        ;  msbs: dst=0 src0=0 src1=1 src2=0
	s_delay_alu instid0(VALU_DEP_1) | instskip(SKIP_1) | instid1(VALU_DEP_1)
	v_pk_fma_f32 v[134:135], v[136:137], v[16:17] /*v[272:273]*/, v[132:133] neg_lo:[0,0,1] neg_hi:[0,0,1]
	v_pk_fma_f32 v[132:133], v[136:137], v[16:17] /*v[272:273]*/, v[132:133] op_sel_hi:[1,0,1]
	v_mov_b32_e32 v135, v133
	s_wait_loadcnt_dscnt 0x101
	v_pk_mul_f32 v[132:133], v[138:139], v[18:19] /*v[274:275]*/ op_sel:[1,1] op_sel_hi:[0,1]
	s_set_vgpr_msb 0                        ;  msbs: dst=0 src0=0 src1=0 src2=0
	s_delay_alu instid0(VALU_DEP_2) | instskip(SKIP_1) | instid1(VALU_DEP_2)
	v_pk_add_f32 v[130:131], v[130:131], v[134:135]
	s_set_vgpr_msb 4                        ;  msbs: dst=0 src0=0 src1=1 src2=0
	v_pk_fma_f32 v[134:135], v[138:139], v[18:19] /*v[274:275]*/, v[132:133] neg_lo:[0,0,1] neg_hi:[0,0,1]
	v_pk_fma_f32 v[132:133], v[138:139], v[18:19] /*v[274:275]*/, v[132:133] op_sel_hi:[1,0,1]
	s_delay_alu instid0(VALU_DEP_1) | instskip(SKIP_2) | instid1(VALU_DEP_2)
	v_dual_mov_b32 v132, v141 :: v_dual_mov_b32 v135, v133
	v_mov_b32_e32 v133, v140
	s_set_vgpr_msb 0                        ;  msbs: dst=0 src0=0 src1=0 src2=0
	v_pk_add_f32 v[130:131], v[130:131], v[134:135]
	s_set_vgpr_msb 1                        ;  msbs: dst=0 src0=1 src1=0 src2=0
	v_mov_b32_e32 v134, v21 /*v277*/
	s_set_vgpr_msb 0                        ;  msbs: dst=0 src0=0 src1=0 src2=0
	s_delay_alu instid0(VALU_DEP_1) | instskip(SKIP_1) | instid1(VALU_DEP_1)
	v_pk_mul_f32 v[132:133], v[132:133], v[134:135] op_sel_hi:[1,0]
	s_set_vgpr_msb 4                        ;  msbs: dst=0 src0=0 src1=1 src2=0
	v_pk_fma_f32 v[134:135], v[140:141], v[20:21] /*v[276:277]*/, v[132:133] neg_lo:[0,0,1] neg_hi:[0,0,1]
	v_pk_fma_f32 v[132:133], v[140:141], v[20:21] /*v[276:277]*/, v[132:133] op_sel_hi:[1,0,1]
	s_delay_alu instid0(VALU_DEP_1) | instskip(SKIP_3) | instid1(VALU_DEP_2)
	v_mov_b32_e32 v135, v133
	s_wait_loadcnt_dscnt 0x0
	v_pk_mul_f32 v[132:133], v[142:143], v[28:29] /*v[284:285]*/ op_sel:[1,1] op_sel_hi:[0,1]
	s_set_vgpr_msb 0                        ;  msbs: dst=0 src0=0 src1=0 src2=0
	v_pk_add_f32 v[130:131], v[130:131], v[134:135]
	s_set_vgpr_msb 4                        ;  msbs: dst=0 src0=0 src1=1 src2=0
	s_delay_alu instid0(VALU_DEP_2) | instskip(SKIP_1) | instid1(VALU_DEP_1)
	v_pk_fma_f32 v[134:135], v[142:143], v[28:29] /*v[284:285]*/, v[132:133] neg_lo:[0,0,1] neg_hi:[0,0,1]
	v_pk_fma_f32 v[132:133], v[142:143], v[28:29] /*v[284:285]*/, v[132:133] op_sel_hi:[1,0,1]
	v_mov_b32_e32 v135, v133
	scratch_load_b64 v[132:133], off, off offset:176
	s_set_vgpr_msb 0                        ;  msbs: dst=0 src0=0 src1=0 src2=0
	v_pk_add_f32 v[130:131], v[130:131], v[134:135]
	s_wait_loadcnt 0x0
	s_delay_alu instid0(VALU_DEP_1)
	v_pk_add_f32 v[130:131], v[132:133], v[130:131] neg_lo:[0,1] neg_hi:[0,1]
	scratch_store_b64 off, v[130:131], off offset:176
	s_wait_xcnt 0x0
	v_cmpx_lt_u32_e32 21, v0
	s_cbranch_execz .LBB127_355
; %bb.354:
	scratch_load_b64 v[130:131], off, off offset:168
	v_mov_b64_e32 v[132:133], 0
	scratch_store_b64 off, v[132:133], off offset:168
	s_wait_loadcnt 0x0
	ds_store_b64 v1, v[130:131]
.LBB127_355:
	s_wait_xcnt 0x0
	s_or_b32 exec_lo, exec_lo, s0
	s_wait_storecnt_dscnt 0x0
	s_barrier_signal -1
	s_barrier_wait -1
	ds_load_b128 v[130:133], v7 offset:688
	ds_load_b128 v[134:137], v7 offset:704
	;; [unrolled: 1-line block ×4, first 2 shown]
	s_clause 0xf
	scratch_load_b128 v[146:149], off, off offset:176
	scratch_load_b128 v[150:153], off, off offset:192
	;; [unrolled: 1-line block ×16, first 2 shown]
	ds_load_b128 v[162:165], v7 offset:752
	ds_load_b128 v[170:173], v7 offset:768
	;; [unrolled: 1-line block ×12, first 2 shown]
	s_set_vgpr_msb 64                       ;  msbs: dst=1 src0=0 src1=0 src2=0
	scratch_load_b128 v[6:9] /*v[262:265]*/, off, off offset:432
	ds_load_b128 v[2:5] /*v[258:261]*/, v7 offset:944
	s_clause 0x3
	scratch_load_b128 v[10:13] /*v[266:269]*/, off, off offset:448
	scratch_load_b128 v[14:17] /*v[270:273]*/, off, off offset:464
	;; [unrolled: 1-line block ×4, first 2 shown]
	s_mov_b32 s0, exec_lo
	s_wait_loadcnt_dscnt 0x1410
	s_set_vgpr_msb 0                        ;  msbs: dst=0 src0=0 src1=0 src2=0
	v_dual_mul_f32 v9, v130, v147 :: v_dual_mul_f32 v11, v132, v149
	s_delay_alu instid0(VALU_DEP_1) | instskip(NEXT) | instid1(VALU_DEP_1)
	v_dual_fmac_f32 v9, v131, v146 :: v_dual_fmac_f32 v11, v133, v148
	v_add_f32_e32 v9, 0, v9
	s_delay_alu instid0(VALU_DEP_1) | instskip(SKIP_2) | instid1(VALU_DEP_1)
	v_add_f32_e32 v9, v9, v11
	s_wait_loadcnt_dscnt 0x130f
	v_mul_f32_e32 v11, v134, v151
	v_fmac_f32_e32 v11, v135, v150
	s_delay_alu instid0(VALU_DEP_1)
	v_dual_add_f32 v9, v9, v11 :: v_dual_mul_f32 v11, v136, v153
	s_wait_loadcnt_dscnt 0x400
	s_set_vgpr_msb 0x45                     ;  msbs: dst=1 src0=1 src1=1 src2=0
	v_dual_mul_f32 v29 /*v285*/, v2 /*v258*/, v7 /*v263*/ :: v_dual_mul_f32 v31 /*v287*/, v4 /*v260*/, v9 /*v265*/
	s_set_vgpr_msb 0                        ;  msbs: dst=0 src0=0 src1=0 src2=0
	v_fmac_f32_e32 v11, v137, v152
	s_set_vgpr_msb 0x45                     ;  msbs: dst=1 src0=1 src1=1 src2=0
	s_delay_alu instid0(VALU_DEP_2) | instskip(SKIP_1) | instid1(VALU_DEP_2)
	v_dual_fmac_f32 v29 /*v285*/, v3 /*v259*/, v6 /*v262*/ :: v_dual_fmac_f32 v31 /*v287*/, v5 /*v261*/, v8 /*v264*/
	s_set_vgpr_msb 0                        ;  msbs: dst=0 src0=0 src1=0 src2=0
	v_add_f32_e32 v9, v9, v11
	v_mul_f32_e32 v11, v138, v155
	s_delay_alu instid0(VALU_DEP_1) | instskip(NEXT) | instid1(VALU_DEP_1)
	v_fmac_f32_e32 v11, v139, v154
	v_dual_add_f32 v9, v9, v11 :: v_dual_mul_f32 v11, v140, v157
	s_delay_alu instid0(VALU_DEP_1) | instskip(NEXT) | instid1(VALU_DEP_1)
	v_fmac_f32_e32 v11, v141, v156
	v_add_f32_e32 v9, v9, v11
	v_mul_f32_e32 v11, v142, v159
	s_delay_alu instid0(VALU_DEP_1) | instskip(NEXT) | instid1(VALU_DEP_1)
	v_fmac_f32_e32 v11, v143, v158
	v_dual_add_f32 v9, v9, v11 :: v_dual_mul_f32 v11, v144, v161
	s_delay_alu instid0(VALU_DEP_1) | instskip(NEXT) | instid1(VALU_DEP_1)
	v_fmac_f32_e32 v11, v145, v160
	;; [unrolled: 7-line block ×13, first 2 shown]
	v_add_f32_e32 v9, v9, v11
	v_mul_f32_e32 v11, v250, v255
	s_delay_alu instid0(VALU_DEP_1) | instskip(NEXT) | instid1(VALU_DEP_1)
	v_fmac_f32_e32 v11, v251, v254
	v_add_f32_e32 v9, v9, v11
	s_set_vgpr_msb 4                        ;  msbs: dst=0 src0=0 src1=1 src2=0
	v_mul_f32_e32 v11, v252, v1 /*v257*/
	s_delay_alu instid0(VALU_DEP_1) | instskip(SKIP_1) | instid1(VALU_DEP_1)
	v_fmac_f32_e32 v11, v253, v0 /*v256*/
	s_set_vgpr_msb 64                       ;  msbs: dst=1 src0=0 src1=0 src2=0
	v_add_f32_e32 v27 /*v283*/, v9, v11
	s_set_vgpr_msb 0                        ;  msbs: dst=0 src0=0 src1=0 src2=0
	v_dual_mul_f32 v9, v131, v147 :: v_dual_mul_f32 v11, v133, v149
	s_delay_alu instid0(VALU_DEP_1) | instskip(NEXT) | instid1(VALU_DEP_1)
	v_dual_fma_f32 v9, v130, v146, -v9 :: v_dual_fma_f32 v11, v132, v148, -v11
	v_add_f32_e32 v9, 0, v9
	s_delay_alu instid0(VALU_DEP_1) | instskip(SKIP_1) | instid1(VALU_DEP_1)
	v_add_f32_e32 v9, v9, v11
	v_mul_f32_e32 v11, v135, v151
	v_fma_f32 v11, v134, v150, -v11
	s_delay_alu instid0(VALU_DEP_1) | instskip(SKIP_1) | instid1(VALU_DEP_1)
	v_add_f32_e32 v9, v9, v11
	v_mul_f32_e32 v11, v137, v153
	v_fma_f32 v11, v136, v152, -v11
	;; [unrolled: 4-line block ×6, first 2 shown]
	ds_load_b128 v[130:133], v7 offset:960
	ds_load_b128 v[134:137], v7 offset:976
	;; [unrolled: 1-line block ×4, first 2 shown]
	v_add_f32_e32 v9, v9, v11
	v_mul_f32_e32 v11, v163, v167
	s_delay_alu instid0(VALU_DEP_1) | instskip(NEXT) | instid1(VALU_DEP_1)
	v_fma_f32 v11, v162, v166, -v11
	v_add_f32_e32 v9, v9, v11
	v_mul_f32_e32 v11, v165, v169
	s_wait_loadcnt_dscnt 0x303
	s_set_vgpr_msb 4                        ;  msbs: dst=0 src0=0 src1=1 src2=0
	v_pk_mul_f32 v[148:149], v[130:131], v[10:11] /*v[266:267]*/ op_sel:[1,1] op_sel_hi:[0,1]
	s_set_vgpr_msb 0                        ;  msbs: dst=0 src0=0 src1=0 src2=0
	v_fma_f32 v11, v164, v168, -v11
	s_set_vgpr_msb 4                        ;  msbs: dst=0 src0=0 src1=1 src2=0
	s_delay_alu instid0(VALU_DEP_2)
	v_pk_fma_f32 v[150:151], v[130:131], v[10:11] /*v[266:267]*/, v[148:149] neg_lo:[0,0,1] neg_hi:[0,0,1]
	v_pk_fma_f32 v[130:131], v[130:131], v[10:11] /*v[266:267]*/, v[148:149] op_sel_hi:[1,0,1]
	s_set_vgpr_msb 1                        ;  msbs: dst=0 src0=1 src1=0 src2=0
	v_mov_b32_e32 v148, v13 /*v269*/
	s_set_vgpr_msb 0                        ;  msbs: dst=0 src0=0 src1=0 src2=0
	v_add_f32_e32 v9, v9, v11
	v_mul_f32_e32 v11, v171, v175
	s_delay_alu instid0(VALU_DEP_1) | instskip(NEXT) | instid1(VALU_DEP_1)
	v_dual_mov_b32 v151, v131 :: v_dual_fma_f32 v11, v170, v174, -v11
	v_add_f32_e32 v9, v9, v11
	v_mul_f32_e32 v11, v173, v177
	s_delay_alu instid0(VALU_DEP_1) | instskip(NEXT) | instid1(VALU_DEP_1)
	v_fma_f32 v11, v172, v176, -v11
	v_add_f32_e32 v9, v9, v11
	v_mul_f32_e32 v11, v179, v183
	s_delay_alu instid0(VALU_DEP_1) | instskip(NEXT) | instid1(VALU_DEP_1)
	v_fma_f32 v11, v178, v182, -v11
	;; [unrolled: 4-line block ×20, first 2 shown]
	v_add_f32_e32 v9, v9, v11
	s_set_vgpr_msb 4                        ;  msbs: dst=0 src0=0 src1=1 src2=0
	v_mul_f32_e32 v11, v253, v1 /*v257*/
	s_delay_alu instid0(VALU_DEP_1) | instskip(SKIP_1) | instid1(VALU_DEP_1)
	v_fma_f32 v11, v252, v0 /*v256*/, -v11
	s_set_vgpr_msb 64                       ;  msbs: dst=1 src0=0 src1=0 src2=0
	v_add_f32_e32 v26 /*v282*/, v9, v11
	s_set_vgpr_msb 5                        ;  msbs: dst=0 src0=1 src1=1 src2=0
	v_mul_f32_e32 v9, v3 /*v259*/, v7 /*v263*/
	s_set_vgpr_msb 0x45                     ;  msbs: dst=1 src0=1 src1=1 src2=0
	s_delay_alu instid0(VALU_DEP_1) | instskip(SKIP_3) | instid1(VALU_DEP_1)
	v_fma_f32 v28 /*v284*/, v2 /*v258*/, v6 /*v262*/, -v9
	s_set_vgpr_msb 5                        ;  msbs: dst=0 src0=1 src1=1 src2=0
	v_mul_f32_e32 v9, v5 /*v261*/, v9 /*v265*/
	s_set_vgpr_msb 0x45                     ;  msbs: dst=1 src0=1 src1=1 src2=0
	v_fma_f32 v30 /*v286*/, v4 /*v260*/, v8 /*v264*/, -v9
	s_set_vgpr_msb 5                        ;  msbs: dst=0 src0=1 src1=1 src2=0
	v_pk_add_f32 v[146:147], v[26:27] /*v[282:283]*/, v[28:29] /*v[284:285]*/
	s_set_vgpr_msb 4                        ;  msbs: dst=0 src0=0 src1=1 src2=0
	s_delay_alu instid0(VALU_DEP_1) | instskip(SKIP_1) | instid1(VALU_DEP_1)
	v_pk_add_f32 v[146:147], v[146:147], v[30:31] /*v[286:287]*/
	s_set_vgpr_msb 0                        ;  msbs: dst=0 src0=0 src1=0 src2=0
	v_pk_add_f32 v[130:131], v[146:147], v[150:151]
	v_dual_mov_b32 v146, v133 :: v_dual_mov_b32 v147, v132
	s_delay_alu instid0(VALU_DEP_1) | instskip(SKIP_1) | instid1(VALU_DEP_1)
	v_pk_mul_f32 v[146:147], v[146:147], v[148:149] op_sel_hi:[1,0]
	s_set_vgpr_msb 4                        ;  msbs: dst=0 src0=0 src1=1 src2=0
	v_pk_fma_f32 v[148:149], v[132:133], v[12:13] /*v[268:269]*/, v[146:147] neg_lo:[0,0,1] neg_hi:[0,0,1]
	v_pk_fma_f32 v[132:133], v[132:133], v[12:13] /*v[268:269]*/, v[146:147] op_sel_hi:[1,0,1]
	s_delay_alu instid0(VALU_DEP_1) | instskip(SKIP_3) | instid1(VALU_DEP_2)
	v_mov_b32_e32 v149, v133
	s_wait_loadcnt_dscnt 0x202
	v_pk_mul_f32 v[132:133], v[134:135], v[14:15] /*v[270:271]*/ op_sel:[1,1] op_sel_hi:[0,1]
	s_set_vgpr_msb 0                        ;  msbs: dst=0 src0=0 src1=0 src2=0
	v_pk_add_f32 v[130:131], v[130:131], v[148:149]
	s_set_vgpr_msb 4                        ;  msbs: dst=0 src0=0 src1=1 src2=0
	s_delay_alu instid0(VALU_DEP_2)
	v_pk_fma_f32 v[146:147], v[134:135], v[14:15] /*v[270:271]*/, v[132:133] neg_lo:[0,0,1] neg_hi:[0,0,1]
	v_pk_fma_f32 v[132:133], v[134:135], v[14:15] /*v[270:271]*/, v[132:133] op_sel_hi:[1,0,1]
	v_mov_b32_e32 v132, v137
	s_set_vgpr_msb 1                        ;  msbs: dst=0 src0=1 src1=0 src2=0
	v_mov_b32_e32 v134, v17 /*v273*/
	s_set_vgpr_msb 0                        ;  msbs: dst=0 src0=0 src1=0 src2=0
	v_dual_mov_b32 v147, v133 :: v_dual_mov_b32 v133, v136
	s_delay_alu instid0(VALU_DEP_1) | instskip(NEXT) | instid1(VALU_DEP_2)
	v_pk_add_f32 v[130:131], v[130:131], v[146:147]
	v_pk_mul_f32 v[132:133], v[132:133], v[134:135] op_sel_hi:[1,0]
	s_set_vgpr_msb 4                        ;  msbs: dst=0 src0=0 src1=1 src2=0
	s_delay_alu instid0(VALU_DEP_1) | instskip(SKIP_1) | instid1(VALU_DEP_1)
	v_pk_fma_f32 v[134:135], v[136:137], v[16:17] /*v[272:273]*/, v[132:133] neg_lo:[0,0,1] neg_hi:[0,0,1]
	v_pk_fma_f32 v[132:133], v[136:137], v[16:17] /*v[272:273]*/, v[132:133] op_sel_hi:[1,0,1]
	v_mov_b32_e32 v135, v133
	s_wait_loadcnt_dscnt 0x101
	v_pk_mul_f32 v[132:133], v[138:139], v[18:19] /*v[274:275]*/ op_sel:[1,1] op_sel_hi:[0,1]
	s_set_vgpr_msb 0                        ;  msbs: dst=0 src0=0 src1=0 src2=0
	s_delay_alu instid0(VALU_DEP_2) | instskip(SKIP_1) | instid1(VALU_DEP_2)
	v_pk_add_f32 v[130:131], v[130:131], v[134:135]
	s_set_vgpr_msb 4                        ;  msbs: dst=0 src0=0 src1=1 src2=0
	v_pk_fma_f32 v[134:135], v[138:139], v[18:19] /*v[274:275]*/, v[132:133] neg_lo:[0,0,1] neg_hi:[0,0,1]
	v_pk_fma_f32 v[132:133], v[138:139], v[18:19] /*v[274:275]*/, v[132:133] op_sel_hi:[1,0,1]
	s_delay_alu instid0(VALU_DEP_1) | instskip(SKIP_2) | instid1(VALU_DEP_2)
	v_dual_mov_b32 v132, v141 :: v_dual_mov_b32 v135, v133
	v_mov_b32_e32 v133, v140
	s_set_vgpr_msb 0                        ;  msbs: dst=0 src0=0 src1=0 src2=0
	v_pk_add_f32 v[130:131], v[130:131], v[134:135]
	s_set_vgpr_msb 1                        ;  msbs: dst=0 src0=1 src1=0 src2=0
	v_mov_b32_e32 v134, v21 /*v277*/
	s_set_vgpr_msb 0                        ;  msbs: dst=0 src0=0 src1=0 src2=0
	s_delay_alu instid0(VALU_DEP_1) | instskip(SKIP_1) | instid1(VALU_DEP_1)
	v_pk_mul_f32 v[132:133], v[132:133], v[134:135] op_sel_hi:[1,0]
	s_set_vgpr_msb 4                        ;  msbs: dst=0 src0=0 src1=1 src2=0
	v_pk_fma_f32 v[134:135], v[140:141], v[20:21] /*v[276:277]*/, v[132:133] neg_lo:[0,0,1] neg_hi:[0,0,1]
	v_pk_fma_f32 v[132:133], v[140:141], v[20:21] /*v[276:277]*/, v[132:133] op_sel_hi:[1,0,1]
	s_delay_alu instid0(VALU_DEP_1) | instskip(SKIP_3) | instid1(VALU_DEP_2)
	v_mov_b32_e32 v135, v133
	s_wait_loadcnt_dscnt 0x0
	v_pk_mul_f32 v[132:133], v[142:143], v[22:23] /*v[278:279]*/ op_sel:[1,1] op_sel_hi:[0,1]
	s_set_vgpr_msb 0                        ;  msbs: dst=0 src0=0 src1=0 src2=0
	v_pk_add_f32 v[130:131], v[130:131], v[134:135]
	s_set_vgpr_msb 4                        ;  msbs: dst=0 src0=0 src1=1 src2=0
	s_delay_alu instid0(VALU_DEP_2) | instskip(SKIP_1) | instid1(VALU_DEP_1)
	v_pk_fma_f32 v[134:135], v[142:143], v[22:23] /*v[278:279]*/, v[132:133] neg_lo:[0,0,1] neg_hi:[0,0,1]
	v_pk_fma_f32 v[132:133], v[142:143], v[22:23] /*v[278:279]*/, v[132:133] op_sel_hi:[1,0,1]
	v_dual_mov_b32 v132, v145 :: v_dual_mov_b32 v135, v133
	v_mov_b32_e32 v133, v144
	s_set_vgpr_msb 0                        ;  msbs: dst=0 src0=0 src1=0 src2=0
	s_delay_alu instid0(VALU_DEP_2) | instskip(SKIP_3) | instid1(VALU_DEP_1)
	v_pk_add_f32 v[130:131], v[130:131], v[134:135]
	s_set_vgpr_msb 1                        ;  msbs: dst=0 src0=1 src1=0 src2=0
	v_mov_b32_e32 v134, v25 /*v281*/
	s_set_vgpr_msb 0                        ;  msbs: dst=0 src0=0 src1=0 src2=0
	v_pk_mul_f32 v[132:133], v[132:133], v[134:135] op_sel_hi:[1,0]
	s_set_vgpr_msb 4                        ;  msbs: dst=0 src0=0 src1=1 src2=0
	s_delay_alu instid0(VALU_DEP_1) | instskip(SKIP_1) | instid1(VALU_DEP_1)
	v_pk_fma_f32 v[134:135], v[144:145], v[24:25] /*v[280:281]*/, v[132:133] neg_lo:[0,0,1] neg_hi:[0,0,1]
	v_pk_fma_f32 v[132:133], v[144:145], v[24:25] /*v[280:281]*/, v[132:133] op_sel_hi:[1,0,1]
	v_mov_b32_e32 v135, v133
	scratch_load_b64 v[132:133], off, off offset:168
	s_set_vgpr_msb 0                        ;  msbs: dst=0 src0=0 src1=0 src2=0
	v_pk_add_f32 v[130:131], v[130:131], v[134:135]
	s_wait_loadcnt 0x0
	s_delay_alu instid0(VALU_DEP_1)
	v_pk_add_f32 v[130:131], v[132:133], v[130:131] neg_lo:[0,1] neg_hi:[0,1]
	scratch_store_b64 off, v[130:131], off offset:168
	s_wait_xcnt 0x0
	v_cmpx_lt_u32_e32 20, v0
	s_cbranch_execz .LBB127_357
; %bb.356:
	scratch_load_b64 v[130:131], off, off offset:160
	v_mov_b64_e32 v[132:133], 0
	scratch_store_b64 off, v[132:133], off offset:160
	s_wait_loadcnt 0x0
	ds_store_b64 v1, v[130:131]
.LBB127_357:
	s_wait_xcnt 0x0
	s_or_b32 exec_lo, exec_lo, s0
	s_wait_storecnt_dscnt 0x0
	s_barrier_signal -1
	s_barrier_wait -1
	s_clause 0xf
	scratch_load_b128 v[134:137], off, off offset:168
	scratch_load_b128 v[142:145], off, off offset:184
	;; [unrolled: 1-line block ×16, first 2 shown]
	v_mov_b32_e32 v7, 0
	s_set_vgpr_msb 64                       ;  msbs: dst=1 src0=0 src1=0 src2=0
	s_clause 0x1
	scratch_load_b128 v[6:9] /*v[262:265]*/, off, off offset:424
	scratch_load_b128 v[14:17] /*v[270:273]*/, off, off offset:440
	s_mov_b32 s0, exec_lo
	s_set_vgpr_msb 0                        ;  msbs: dst=0 src0=0 src1=0 src2=0
	ds_load_2addr_b64 v[130:133], v7 offset0:85 offset1:86
	ds_load_2addr_b64 v[138:141], v7 offset0:87 offset1:88
	s_wait_loadcnt_dscnt 0x1101
	v_dual_mul_f32 v9, v130, v135 :: v_dual_mul_f32 v11, v132, v137
	ds_load_2addr_b64 v[146:149], v7 offset0:89 offset1:90
	ds_load_2addr_b64 v[154:157], v7 offset0:91 offset1:92
	;; [unrolled: 1-line block ×4, first 2 shown]
	v_dual_fmac_f32 v9, v131, v134 :: v_dual_fmac_f32 v11, v133, v136
	ds_load_2addr_b64 v[178:181], v7 offset0:97 offset1:98
	ds_load_2addr_b64 v[186:189], v7 offset0:99 offset1:100
	;; [unrolled: 1-line block ×4, first 2 shown]
	v_add_f32_e32 v9, 0, v9
	ds_load_2addr_b64 v[210:213], v7 offset0:105 offset1:106
	ds_load_2addr_b64 v[218:221], v7 offset0:107 offset1:108
	;; [unrolled: 1-line block ×4, first 2 shown]
	v_add_f32_e32 v9, v9, v11
	s_wait_loadcnt_dscnt 0x100c
	v_mul_f32_e32 v11, v138, v143
	ds_load_2addr_b64 v[242:245], v7 offset0:113 offset1:114
	ds_load_2addr_b64 v[250:253], v7 offset0:115 offset1:116
	s_set_vgpr_msb 64                       ;  msbs: dst=1 src0=0 src1=0 src2=0
	ds_load_2addr_b64 v[2:5] /*v[258:261]*/, v7 offset0:117 offset1:118
	ds_load_2addr_b64 v[10:13] /*v[266:269]*/, v7 offset0:119 offset1:120
	s_set_vgpr_msb 0                        ;  msbs: dst=0 src0=0 src1=0 src2=0
	v_fmac_f32_e32 v11, v139, v142
	s_set_vgpr_msb 64                       ;  msbs: dst=1 src0=0 src1=0 src2=0
	s_clause 0x3
	scratch_load_b128 v[18:21] /*v[274:277]*/, off, off offset:456
	scratch_load_b128 v[22:25] /*v[278:281]*/, off, off offset:472
	;; [unrolled: 1-line block ×3, first 2 shown]
	scratch_load_b64 v[36:37] /*v[292:293]*/, off, off offset:504
	s_set_vgpr_msb 0                        ;  msbs: dst=0 src0=0 src1=0 src2=0
	v_dual_add_f32 v9, v9, v11 :: v_dual_mul_f32 v11, v140, v145
	s_delay_alu instid0(VALU_DEP_1) | instskip(NEXT) | instid1(VALU_DEP_1)
	v_fmac_f32_e32 v11, v141, v144
	v_add_f32_e32 v9, v9, v11
	s_wait_loadcnt_dscnt 0x130f
	v_mul_f32_e32 v11, v146, v151
	s_wait_loadcnt_dscnt 0x400
	s_set_vgpr_msb 0x45                     ;  msbs: dst=1 src0=1 src1=1 src2=0
	v_dual_mul_f32 v33 /*v289*/, v4 /*v260*/, v9 /*v265*/ :: v_dual_mul_f32 v35 /*v291*/, v10 /*v266*/, v15 /*v271*/
	s_set_vgpr_msb 0                        ;  msbs: dst=0 src0=0 src1=0 src2=0
	v_fmac_f32_e32 v11, v147, v150
	s_set_vgpr_msb 0x45                     ;  msbs: dst=1 src0=1 src1=1 src2=0
	s_delay_alu instid0(VALU_DEP_2) | instskip(SKIP_1) | instid1(VALU_DEP_2)
	v_dual_fmac_f32 v33 /*v289*/, v5 /*v261*/, v8 /*v264*/ :: v_dual_fmac_f32 v35 /*v291*/, v11 /*v267*/, v14 /*v270*/
	s_set_vgpr_msb 0                        ;  msbs: dst=0 src0=0 src1=0 src2=0
	v_dual_add_f32 v9, v9, v11 :: v_dual_mul_f32 v11, v148, v153
	s_delay_alu instid0(VALU_DEP_1) | instskip(NEXT) | instid1(VALU_DEP_1)
	v_fmac_f32_e32 v11, v149, v152
	v_add_f32_e32 v9, v9, v11
	v_mul_f32_e32 v11, v154, v159
	s_delay_alu instid0(VALU_DEP_1) | instskip(NEXT) | instid1(VALU_DEP_1)
	v_fmac_f32_e32 v11, v155, v158
	v_dual_add_f32 v9, v9, v11 :: v_dual_mul_f32 v11, v156, v161
	s_delay_alu instid0(VALU_DEP_1) | instskip(NEXT) | instid1(VALU_DEP_1)
	v_fmac_f32_e32 v11, v157, v160
	v_add_f32_e32 v9, v9, v11
	v_mul_f32_e32 v11, v162, v167
	s_delay_alu instid0(VALU_DEP_1) | instskip(NEXT) | instid1(VALU_DEP_1)
	v_fmac_f32_e32 v11, v163, v166
	v_dual_add_f32 v9, v9, v11 :: v_dual_mul_f32 v11, v164, v169
	s_delay_alu instid0(VALU_DEP_1) | instskip(NEXT) | instid1(VALU_DEP_1)
	v_fmac_f32_e32 v11, v165, v168
	v_add_f32_e32 v9, v9, v11
	v_mul_f32_e32 v11, v170, v175
	s_delay_alu instid0(VALU_DEP_1) | instskip(NEXT) | instid1(VALU_DEP_1)
	v_fmac_f32_e32 v11, v171, v174
	v_dual_add_f32 v9, v9, v11 :: v_dual_mul_f32 v11, v172, v177
	s_delay_alu instid0(VALU_DEP_1) | instskip(NEXT) | instid1(VALU_DEP_1)
	v_fmac_f32_e32 v11, v173, v176
	v_add_f32_e32 v9, v9, v11
	v_mul_f32_e32 v11, v178, v183
	s_delay_alu instid0(VALU_DEP_1) | instskip(NEXT) | instid1(VALU_DEP_1)
	v_fmac_f32_e32 v11, v179, v182
	v_dual_add_f32 v9, v9, v11 :: v_dual_mul_f32 v11, v180, v185
	s_delay_alu instid0(VALU_DEP_1) | instskip(NEXT) | instid1(VALU_DEP_1)
	v_fmac_f32_e32 v11, v181, v184
	v_add_f32_e32 v9, v9, v11
	v_mul_f32_e32 v11, v186, v191
	s_delay_alu instid0(VALU_DEP_1) | instskip(NEXT) | instid1(VALU_DEP_1)
	v_fmac_f32_e32 v11, v187, v190
	v_dual_add_f32 v9, v9, v11 :: v_dual_mul_f32 v11, v188, v193
	s_delay_alu instid0(VALU_DEP_1) | instskip(NEXT) | instid1(VALU_DEP_1)
	v_fmac_f32_e32 v11, v189, v192
	v_add_f32_e32 v9, v9, v11
	v_mul_f32_e32 v11, v194, v199
	s_delay_alu instid0(VALU_DEP_1) | instskip(NEXT) | instid1(VALU_DEP_1)
	v_fmac_f32_e32 v11, v195, v198
	v_dual_add_f32 v9, v9, v11 :: v_dual_mul_f32 v11, v196, v201
	s_delay_alu instid0(VALU_DEP_1) | instskip(NEXT) | instid1(VALU_DEP_1)
	v_fmac_f32_e32 v11, v197, v200
	v_add_f32_e32 v9, v9, v11
	v_mul_f32_e32 v11, v202, v207
	s_delay_alu instid0(VALU_DEP_1) | instskip(NEXT) | instid1(VALU_DEP_1)
	v_fmac_f32_e32 v11, v203, v206
	v_dual_add_f32 v9, v9, v11 :: v_dual_mul_f32 v11, v204, v209
	s_delay_alu instid0(VALU_DEP_1) | instskip(NEXT) | instid1(VALU_DEP_1)
	v_fmac_f32_e32 v11, v205, v208
	v_add_f32_e32 v9, v9, v11
	v_mul_f32_e32 v11, v210, v215
	s_delay_alu instid0(VALU_DEP_1) | instskip(NEXT) | instid1(VALU_DEP_1)
	v_fmac_f32_e32 v11, v211, v214
	v_dual_add_f32 v9, v9, v11 :: v_dual_mul_f32 v11, v212, v217
	s_delay_alu instid0(VALU_DEP_1) | instskip(NEXT) | instid1(VALU_DEP_1)
	v_fmac_f32_e32 v11, v213, v216
	v_add_f32_e32 v9, v9, v11
	v_mul_f32_e32 v11, v218, v223
	s_delay_alu instid0(VALU_DEP_1) | instskip(NEXT) | instid1(VALU_DEP_1)
	v_fmac_f32_e32 v11, v219, v222
	v_dual_add_f32 v9, v9, v11 :: v_dual_mul_f32 v11, v220, v225
	s_delay_alu instid0(VALU_DEP_1) | instskip(NEXT) | instid1(VALU_DEP_1)
	v_fmac_f32_e32 v11, v221, v224
	v_add_f32_e32 v9, v9, v11
	v_mul_f32_e32 v11, v226, v231
	s_delay_alu instid0(VALU_DEP_1) | instskip(NEXT) | instid1(VALU_DEP_1)
	v_fmac_f32_e32 v11, v227, v230
	v_dual_add_f32 v9, v9, v11 :: v_dual_mul_f32 v11, v228, v233
	s_delay_alu instid0(VALU_DEP_1) | instskip(NEXT) | instid1(VALU_DEP_1)
	v_fmac_f32_e32 v11, v229, v232
	v_add_f32_e32 v9, v9, v11
	v_mul_f32_e32 v11, v234, v239
	s_delay_alu instid0(VALU_DEP_1) | instskip(NEXT) | instid1(VALU_DEP_1)
	v_fmac_f32_e32 v11, v235, v238
	v_dual_add_f32 v9, v9, v11 :: v_dual_mul_f32 v11, v236, v241
	s_delay_alu instid0(VALU_DEP_1) | instskip(NEXT) | instid1(VALU_DEP_1)
	v_fmac_f32_e32 v11, v237, v240
	v_add_f32_e32 v9, v9, v11
	v_mul_f32_e32 v11, v242, v247
	s_delay_alu instid0(VALU_DEP_1) | instskip(NEXT) | instid1(VALU_DEP_1)
	v_fmac_f32_e32 v11, v243, v246
	v_dual_add_f32 v9, v9, v11 :: v_dual_mul_f32 v11, v244, v249
	s_delay_alu instid0(VALU_DEP_1) | instskip(NEXT) | instid1(VALU_DEP_1)
	v_fmac_f32_e32 v11, v245, v248
	v_add_f32_e32 v9, v9, v11
	v_mul_f32_e32 v11, v250, v255
	s_delay_alu instid0(VALU_DEP_1) | instskip(NEXT) | instid1(VALU_DEP_1)
	v_fmac_f32_e32 v11, v251, v254
	v_add_f32_e32 v9, v9, v11
	s_set_vgpr_msb 4                        ;  msbs: dst=0 src0=0 src1=1 src2=0
	v_mul_f32_e32 v11, v252, v1 /*v257*/
	s_delay_alu instid0(VALU_DEP_1) | instskip(SKIP_1) | instid1(VALU_DEP_1)
	v_fmac_f32_e32 v11, v253, v0 /*v256*/
	s_set_vgpr_msb 0                        ;  msbs: dst=0 src0=0 src1=0 src2=0
	v_add_f32_e32 v9, v9, v11
	s_set_vgpr_msb 5                        ;  msbs: dst=0 src0=1 src1=1 src2=0
	v_mul_f32_e32 v11, v2 /*v258*/, v7 /*v263*/
	s_delay_alu instid0(VALU_DEP_1) | instskip(SKIP_1) | instid1(VALU_DEP_1)
	v_fmac_f32_e32 v11, v3 /*v259*/, v6 /*v262*/
	s_set_vgpr_msb 64                       ;  msbs: dst=1 src0=0 src1=0 src2=0
	v_add_f32_e32 v31 /*v287*/, v9, v11
	s_set_vgpr_msb 0                        ;  msbs: dst=0 src0=0 src1=0 src2=0
	v_dual_mul_f32 v9, v131, v135 :: v_dual_mul_f32 v11, v133, v137
	s_delay_alu instid0(VALU_DEP_1) | instskip(NEXT) | instid1(VALU_DEP_1)
	v_dual_fma_f32 v9, v130, v134, -v9 :: v_dual_fma_f32 v11, v132, v136, -v11
	v_add_f32_e32 v9, 0, v9
	s_delay_alu instid0(VALU_DEP_1) | instskip(SKIP_1) | instid1(VALU_DEP_1)
	v_add_f32_e32 v9, v9, v11
	v_mul_f32_e32 v11, v139, v143
	v_fma_f32 v11, v138, v142, -v11
	s_delay_alu instid0(VALU_DEP_1) | instskip(SKIP_1) | instid1(VALU_DEP_1)
	v_add_f32_e32 v9, v9, v11
	v_mul_f32_e32 v11, v141, v145
	v_fma_f32 v11, v140, v144, -v11
	ds_load_2addr_b64 v[130:133], v7 offset0:121 offset1:122
	ds_load_2addr_b64 v[134:137], v7 offset0:123 offset1:124
	;; [unrolled: 1-line block ×3, first 2 shown]
	ds_load_b64 v[142:143], v7 offset:1016
	v_add_f32_e32 v9, v9, v11
	v_mul_f32_e32 v11, v147, v151
	s_set_vgpr_msb 1                        ;  msbs: dst=0 src0=1 src1=0 src2=0
	v_mov_b32_e32 v147, v12 /*v268*/
	s_set_vgpr_msb 0                        ;  msbs: dst=0 src0=0 src1=0 src2=0
	s_delay_alu instid0(VALU_DEP_2) | instskip(SKIP_3) | instid1(VALU_DEP_2)
	v_fma_f32 v11, v146, v150, -v11
	s_set_vgpr_msb 1                        ;  msbs: dst=0 src0=1 src1=0 src2=0
	v_mov_b32_e32 v146, v13 /*v269*/
	s_set_vgpr_msb 0                        ;  msbs: dst=0 src0=0 src1=0 src2=0
	v_add_f32_e32 v9, v9, v11
	v_mul_f32_e32 v11, v149, v153
	s_delay_alu instid0(VALU_DEP_1) | instskip(SKIP_3) | instid1(VALU_DEP_2)
	v_fma_f32 v11, v148, v152, -v11
	s_set_vgpr_msb 1                        ;  msbs: dst=0 src0=1 src1=0 src2=0
	v_mov_b32_e32 v148, v17 /*v273*/
	s_set_vgpr_msb 0                        ;  msbs: dst=0 src0=0 src1=0 src2=0
	v_add_f32_e32 v9, v9, v11
	v_mul_f32_e32 v11, v155, v159
	s_delay_alu instid0(VALU_DEP_3) | instskip(NEXT) | instid1(VALU_DEP_2)
	v_pk_mul_f32 v[146:147], v[146:147], v[148:149] op_sel_hi:[1,0]
	v_fma_f32 v11, v154, v158, -v11
	s_set_vgpr_msb 5                        ;  msbs: dst=0 src0=1 src1=1 src2=0
	s_delay_alu instid0(VALU_DEP_2) | instskip(SKIP_3) | instid1(VALU_DEP_2)
	v_pk_fma_f32 v[148:149], v[12:13] /*v[268:269]*/, v[16:17] /*v[272:273]*/, v[146:147] neg_lo:[0,0,1] neg_hi:[0,0,1]
	v_pk_fma_f32 v[146:147], v[12:13] /*v[268:269]*/, v[16:17] /*v[272:273]*/, v[146:147] op_sel_hi:[1,0,1]
	s_set_vgpr_msb 0                        ;  msbs: dst=0 src0=0 src1=0 src2=0
	v_add_f32_e32 v9, v9, v11
	v_dual_mul_f32 v11, v157, v161 :: v_dual_mov_b32 v149, v147
	s_wait_loadcnt_dscnt 0x303
	s_set_vgpr_msb 4                        ;  msbs: dst=0 src0=0 src1=1 src2=0
	v_pk_mul_f32 v[146:147], v[130:131], v[18:19] /*v[274:275]*/ op_sel:[1,1] op_sel_hi:[0,1]
	s_set_vgpr_msb 0                        ;  msbs: dst=0 src0=0 src1=0 src2=0
	v_fma_f32 v11, v156, v160, -v11
	s_delay_alu instid0(VALU_DEP_1) | instskip(SKIP_1) | instid1(VALU_DEP_1)
	v_add_f32_e32 v9, v9, v11
	v_mul_f32_e32 v11, v163, v167
	v_fma_f32 v11, v162, v166, -v11
	s_delay_alu instid0(VALU_DEP_1) | instskip(SKIP_1) | instid1(VALU_DEP_1)
	v_add_f32_e32 v9, v9, v11
	v_mul_f32_e32 v11, v165, v169
	v_fma_f32 v11, v164, v168, -v11
	s_delay_alu instid0(VALU_DEP_1) | instskip(SKIP_1) | instid1(VALU_DEP_1)
	v_add_f32_e32 v9, v9, v11
	v_mul_f32_e32 v11, v171, v175
	v_fma_f32 v11, v170, v174, -v11
	s_delay_alu instid0(VALU_DEP_1) | instskip(SKIP_1) | instid1(VALU_DEP_1)
	v_add_f32_e32 v9, v9, v11
	v_mul_f32_e32 v11, v173, v177
	v_fma_f32 v11, v172, v176, -v11
	s_delay_alu instid0(VALU_DEP_1) | instskip(SKIP_1) | instid1(VALU_DEP_1)
	v_add_f32_e32 v9, v9, v11
	v_mul_f32_e32 v11, v179, v183
	v_fma_f32 v11, v178, v182, -v11
	s_delay_alu instid0(VALU_DEP_1) | instskip(SKIP_1) | instid1(VALU_DEP_1)
	v_add_f32_e32 v9, v9, v11
	v_mul_f32_e32 v11, v181, v185
	v_fma_f32 v11, v180, v184, -v11
	s_delay_alu instid0(VALU_DEP_1) | instskip(SKIP_1) | instid1(VALU_DEP_1)
	v_add_f32_e32 v9, v9, v11
	v_mul_f32_e32 v11, v187, v191
	v_fma_f32 v11, v186, v190, -v11
	s_delay_alu instid0(VALU_DEP_1) | instskip(SKIP_1) | instid1(VALU_DEP_1)
	v_add_f32_e32 v9, v9, v11
	v_mul_f32_e32 v11, v189, v193
	v_fma_f32 v11, v188, v192, -v11
	s_delay_alu instid0(VALU_DEP_1) | instskip(SKIP_1) | instid1(VALU_DEP_1)
	v_add_f32_e32 v9, v9, v11
	v_mul_f32_e32 v11, v195, v199
	v_fma_f32 v11, v194, v198, -v11
	s_delay_alu instid0(VALU_DEP_1) | instskip(SKIP_1) | instid1(VALU_DEP_1)
	v_add_f32_e32 v9, v9, v11
	v_mul_f32_e32 v11, v197, v201
	v_fma_f32 v11, v196, v200, -v11
	s_delay_alu instid0(VALU_DEP_1) | instskip(SKIP_1) | instid1(VALU_DEP_1)
	v_add_f32_e32 v9, v9, v11
	v_mul_f32_e32 v11, v203, v207
	v_fma_f32 v11, v202, v206, -v11
	s_delay_alu instid0(VALU_DEP_1) | instskip(SKIP_1) | instid1(VALU_DEP_1)
	v_add_f32_e32 v9, v9, v11
	v_mul_f32_e32 v11, v205, v209
	v_fma_f32 v11, v204, v208, -v11
	s_delay_alu instid0(VALU_DEP_1) | instskip(SKIP_1) | instid1(VALU_DEP_1)
	v_add_f32_e32 v9, v9, v11
	v_mul_f32_e32 v11, v211, v215
	v_fma_f32 v11, v210, v214, -v11
	s_delay_alu instid0(VALU_DEP_1) | instskip(SKIP_1) | instid1(VALU_DEP_1)
	v_add_f32_e32 v9, v9, v11
	v_mul_f32_e32 v11, v213, v217
	v_fma_f32 v11, v212, v216, -v11
	s_delay_alu instid0(VALU_DEP_1) | instskip(SKIP_1) | instid1(VALU_DEP_1)
	v_add_f32_e32 v9, v9, v11
	v_mul_f32_e32 v11, v219, v223
	v_fma_f32 v11, v218, v222, -v11
	s_delay_alu instid0(VALU_DEP_1) | instskip(SKIP_1) | instid1(VALU_DEP_1)
	v_add_f32_e32 v9, v9, v11
	v_mul_f32_e32 v11, v221, v225
	v_fma_f32 v11, v220, v224, -v11
	s_delay_alu instid0(VALU_DEP_1) | instskip(SKIP_1) | instid1(VALU_DEP_1)
	v_add_f32_e32 v9, v9, v11
	v_mul_f32_e32 v11, v227, v231
	v_fma_f32 v11, v226, v230, -v11
	s_delay_alu instid0(VALU_DEP_1) | instskip(SKIP_1) | instid1(VALU_DEP_1)
	v_add_f32_e32 v9, v9, v11
	v_mul_f32_e32 v11, v229, v233
	v_fma_f32 v11, v228, v232, -v11
	s_delay_alu instid0(VALU_DEP_1) | instskip(SKIP_1) | instid1(VALU_DEP_1)
	v_add_f32_e32 v9, v9, v11
	v_mul_f32_e32 v11, v235, v239
	v_fma_f32 v11, v234, v238, -v11
	s_delay_alu instid0(VALU_DEP_1) | instskip(SKIP_1) | instid1(VALU_DEP_1)
	v_add_f32_e32 v9, v9, v11
	v_mul_f32_e32 v11, v237, v241
	v_fma_f32 v11, v236, v240, -v11
	s_delay_alu instid0(VALU_DEP_1) | instskip(SKIP_1) | instid1(VALU_DEP_1)
	v_add_f32_e32 v9, v9, v11
	v_mul_f32_e32 v11, v243, v247
	v_fma_f32 v11, v242, v246, -v11
	s_delay_alu instid0(VALU_DEP_1) | instskip(SKIP_1) | instid1(VALU_DEP_1)
	v_add_f32_e32 v9, v9, v11
	v_mul_f32_e32 v11, v245, v249
	v_fma_f32 v11, v244, v248, -v11
	s_delay_alu instid0(VALU_DEP_1) | instskip(SKIP_1) | instid1(VALU_DEP_1)
	v_add_f32_e32 v9, v9, v11
	v_mul_f32_e32 v11, v251, v255
	v_fma_f32 v11, v250, v254, -v11
	s_delay_alu instid0(VALU_DEP_1) | instskip(SKIP_2) | instid1(VALU_DEP_1)
	v_add_f32_e32 v9, v9, v11
	s_set_vgpr_msb 4                        ;  msbs: dst=0 src0=0 src1=1 src2=0
	v_mul_f32_e32 v11, v253, v1 /*v257*/
	v_fma_f32 v11, v252, v0 /*v256*/, -v11
	s_set_vgpr_msb 0                        ;  msbs: dst=0 src0=0 src1=0 src2=0
	s_delay_alu instid0(VALU_DEP_1) | instskip(SKIP_2) | instid1(VALU_DEP_1)
	v_add_f32_e32 v9, v9, v11
	s_set_vgpr_msb 5                        ;  msbs: dst=0 src0=1 src1=1 src2=0
	v_mul_f32_e32 v11, v3 /*v259*/, v7 /*v263*/
	v_fma_f32 v11, v2 /*v258*/, v6 /*v262*/, -v11
	s_set_vgpr_msb 64                       ;  msbs: dst=1 src0=0 src1=0 src2=0
	s_delay_alu instid0(VALU_DEP_1) | instskip(SKIP_3) | instid1(VALU_DEP_1)
	v_add_f32_e32 v30 /*v286*/, v9, v11
	s_set_vgpr_msb 5                        ;  msbs: dst=0 src0=1 src1=1 src2=0
	v_mul_f32_e32 v9, v5 /*v261*/, v9 /*v265*/
	s_set_vgpr_msb 0x45                     ;  msbs: dst=1 src0=1 src1=1 src2=0
	v_fma_f32 v32 /*v288*/, v4 /*v260*/, v8 /*v264*/, -v9
	s_set_vgpr_msb 5                        ;  msbs: dst=0 src0=1 src1=1 src2=0
	v_mul_f32_e32 v9, v11 /*v267*/, v15 /*v271*/
	s_set_vgpr_msb 0x45                     ;  msbs: dst=1 src0=1 src1=1 src2=0
	s_delay_alu instid0(VALU_DEP_1) | instskip(SKIP_3) | instid1(VALU_DEP_1)
	v_fma_f32 v34 /*v290*/, v10 /*v266*/, v14 /*v270*/, -v9
	s_set_vgpr_msb 5                        ;  msbs: dst=0 src0=1 src1=1 src2=0
	v_pk_add_f32 v[144:145], v[30:31] /*v[286:287]*/, v[32:33] /*v[288:289]*/
	s_set_vgpr_msb 4                        ;  msbs: dst=0 src0=0 src1=1 src2=0
	v_pk_add_f32 v[144:145], v[144:145], v[34:35] /*v[290:291]*/
	s_set_vgpr_msb 0                        ;  msbs: dst=0 src0=0 src1=0 src2=0
	s_delay_alu instid0(VALU_DEP_1)
	v_pk_add_f32 v[144:145], v[144:145], v[148:149]
	s_set_vgpr_msb 4                        ;  msbs: dst=0 src0=0 src1=1 src2=0
	v_pk_fma_f32 v[148:149], v[130:131], v[18:19] /*v[274:275]*/, v[146:147] neg_lo:[0,0,1] neg_hi:[0,0,1]
	v_pk_fma_f32 v[130:131], v[130:131], v[18:19] /*v[274:275]*/, v[146:147] op_sel_hi:[1,0,1]
	s_set_vgpr_msb 1                        ;  msbs: dst=0 src0=1 src1=0 src2=0
	v_mov_b32_e32 v146, v21 /*v277*/
	s_set_vgpr_msb 0                        ;  msbs: dst=0 src0=0 src1=0 src2=0
	s_delay_alu instid0(VALU_DEP_2) | instskip(NEXT) | instid1(VALU_DEP_1)
	v_mov_b32_e32 v149, v131
	v_pk_add_f32 v[130:131], v[144:145], v[148:149]
	v_dual_mov_b32 v144, v133 :: v_dual_mov_b32 v145, v132
	s_delay_alu instid0(VALU_DEP_1) | instskip(SKIP_1) | instid1(VALU_DEP_1)
	v_pk_mul_f32 v[144:145], v[144:145], v[146:147] op_sel_hi:[1,0]
	s_set_vgpr_msb 4                        ;  msbs: dst=0 src0=0 src1=1 src2=0
	v_pk_fma_f32 v[146:147], v[132:133], v[20:21] /*v[276:277]*/, v[144:145] neg_lo:[0,0,1] neg_hi:[0,0,1]
	v_pk_fma_f32 v[132:133], v[132:133], v[20:21] /*v[276:277]*/, v[144:145] op_sel_hi:[1,0,1]
	s_delay_alu instid0(VALU_DEP_1) | instskip(SKIP_3) | instid1(VALU_DEP_2)
	v_mov_b32_e32 v147, v133
	s_wait_loadcnt_dscnt 0x202
	v_pk_mul_f32 v[132:133], v[134:135], v[22:23] /*v[278:279]*/ op_sel:[1,1] op_sel_hi:[0,1]
	s_set_vgpr_msb 0                        ;  msbs: dst=0 src0=0 src1=0 src2=0
	v_pk_add_f32 v[130:131], v[130:131], v[146:147]
	s_set_vgpr_msb 4                        ;  msbs: dst=0 src0=0 src1=1 src2=0
	s_delay_alu instid0(VALU_DEP_2)
	v_pk_fma_f32 v[144:145], v[134:135], v[22:23] /*v[278:279]*/, v[132:133] neg_lo:[0,0,1] neg_hi:[0,0,1]
	v_pk_fma_f32 v[132:133], v[134:135], v[22:23] /*v[278:279]*/, v[132:133] op_sel_hi:[1,0,1]
	v_mov_b32_e32 v132, v137
	s_set_vgpr_msb 1                        ;  msbs: dst=0 src0=1 src1=0 src2=0
	v_mov_b32_e32 v134, v25 /*v281*/
	s_set_vgpr_msb 0                        ;  msbs: dst=0 src0=0 src1=0 src2=0
	v_dual_mov_b32 v145, v133 :: v_dual_mov_b32 v133, v136
	s_delay_alu instid0(VALU_DEP_1) | instskip(NEXT) | instid1(VALU_DEP_2)
	v_pk_add_f32 v[130:131], v[130:131], v[144:145]
	v_pk_mul_f32 v[132:133], v[132:133], v[134:135] op_sel_hi:[1,0]
	s_set_vgpr_msb 4                        ;  msbs: dst=0 src0=0 src1=1 src2=0
	s_delay_alu instid0(VALU_DEP_1) | instskip(SKIP_1) | instid1(VALU_DEP_1)
	v_pk_fma_f32 v[134:135], v[136:137], v[24:25] /*v[280:281]*/, v[132:133] neg_lo:[0,0,1] neg_hi:[0,0,1]
	v_pk_fma_f32 v[132:133], v[136:137], v[24:25] /*v[280:281]*/, v[132:133] op_sel_hi:[1,0,1]
	v_mov_b32_e32 v135, v133
	s_wait_loadcnt_dscnt 0x101
	v_pk_mul_f32 v[132:133], v[138:139], v[26:27] /*v[282:283]*/ op_sel:[1,1] op_sel_hi:[0,1]
	s_set_vgpr_msb 0                        ;  msbs: dst=0 src0=0 src1=0 src2=0
	s_delay_alu instid0(VALU_DEP_2) | instskip(SKIP_1) | instid1(VALU_DEP_2)
	v_pk_add_f32 v[130:131], v[130:131], v[134:135]
	s_set_vgpr_msb 4                        ;  msbs: dst=0 src0=0 src1=1 src2=0
	v_pk_fma_f32 v[134:135], v[138:139], v[26:27] /*v[282:283]*/, v[132:133] neg_lo:[0,0,1] neg_hi:[0,0,1]
	v_pk_fma_f32 v[132:133], v[138:139], v[26:27] /*v[282:283]*/, v[132:133] op_sel_hi:[1,0,1]
	s_delay_alu instid0(VALU_DEP_1) | instskip(SKIP_2) | instid1(VALU_DEP_2)
	v_dual_mov_b32 v132, v141 :: v_dual_mov_b32 v135, v133
	v_mov_b32_e32 v133, v140
	s_set_vgpr_msb 0                        ;  msbs: dst=0 src0=0 src1=0 src2=0
	v_pk_add_f32 v[130:131], v[130:131], v[134:135]
	s_set_vgpr_msb 1                        ;  msbs: dst=0 src0=1 src1=0 src2=0
	v_mov_b32_e32 v134, v29 /*v285*/
	s_set_vgpr_msb 0                        ;  msbs: dst=0 src0=0 src1=0 src2=0
	s_delay_alu instid0(VALU_DEP_1) | instskip(SKIP_1) | instid1(VALU_DEP_1)
	v_pk_mul_f32 v[132:133], v[132:133], v[134:135] op_sel_hi:[1,0]
	s_set_vgpr_msb 4                        ;  msbs: dst=0 src0=0 src1=1 src2=0
	v_pk_fma_f32 v[134:135], v[140:141], v[28:29] /*v[284:285]*/, v[132:133] neg_lo:[0,0,1] neg_hi:[0,0,1]
	v_pk_fma_f32 v[132:133], v[140:141], v[28:29] /*v[284:285]*/, v[132:133] op_sel_hi:[1,0,1]
	s_delay_alu instid0(VALU_DEP_1) | instskip(SKIP_3) | instid1(VALU_DEP_2)
	v_mov_b32_e32 v135, v133
	s_wait_loadcnt_dscnt 0x0
	v_pk_mul_f32 v[132:133], v[142:143], v[36:37] /*v[292:293]*/ op_sel:[1,1] op_sel_hi:[0,1]
	s_set_vgpr_msb 0                        ;  msbs: dst=0 src0=0 src1=0 src2=0
	v_pk_add_f32 v[130:131], v[130:131], v[134:135]
	s_set_vgpr_msb 4                        ;  msbs: dst=0 src0=0 src1=1 src2=0
	s_delay_alu instid0(VALU_DEP_2) | instskip(SKIP_1) | instid1(VALU_DEP_1)
	v_pk_fma_f32 v[134:135], v[142:143], v[36:37] /*v[292:293]*/, v[132:133] neg_lo:[0,0,1] neg_hi:[0,0,1]
	v_pk_fma_f32 v[132:133], v[142:143], v[36:37] /*v[292:293]*/, v[132:133] op_sel_hi:[1,0,1]
	v_mov_b32_e32 v135, v133
	scratch_load_b64 v[132:133], off, off offset:160
	s_set_vgpr_msb 0                        ;  msbs: dst=0 src0=0 src1=0 src2=0
	v_pk_add_f32 v[130:131], v[130:131], v[134:135]
	s_wait_loadcnt 0x0
	s_delay_alu instid0(VALU_DEP_1)
	v_pk_add_f32 v[130:131], v[132:133], v[130:131] neg_lo:[0,1] neg_hi:[0,1]
	scratch_store_b64 off, v[130:131], off offset:160
	s_wait_xcnt 0x0
	v_cmpx_lt_u32_e32 19, v0
	s_cbranch_execz .LBB127_359
; %bb.358:
	scratch_load_b64 v[130:131], off, off offset:152
	v_mov_b64_e32 v[132:133], 0
	scratch_store_b64 off, v[132:133], off offset:152
	s_wait_loadcnt 0x0
	ds_store_b64 v1, v[130:131]
.LBB127_359:
	s_wait_xcnt 0x0
	s_or_b32 exec_lo, exec_lo, s0
	s_wait_storecnt_dscnt 0x0
	s_barrier_signal -1
	s_barrier_wait -1
	ds_load_b128 v[130:133], v7 offset:672
	ds_load_b128 v[134:137], v7 offset:688
	;; [unrolled: 1-line block ×4, first 2 shown]
	s_clause 0x12
	scratch_load_b128 v[146:149], off, off offset:160
	scratch_load_b128 v[150:153], off, off offset:176
	;; [unrolled: 1-line block ×16, first 2 shown]
	s_set_vgpr_msb 64                       ;  msbs: dst=1 src0=0 src1=0 src2=0
	scratch_load_b128 v[6:9] /*v[262:265]*/, off, off offset:416
	scratch_load_b128 v[14:17] /*v[270:273]*/, off, off offset:432
	s_set_vgpr_msb 0                        ;  msbs: dst=0 src0=0 src1=0 src2=0
	ds_load_b128 v[162:165], v7 offset:736
	ds_load_b128 v[170:173], v7 offset:752
	;; [unrolled: 1-line block ×12, first 2 shown]
	s_set_vgpr_msb 64                       ;  msbs: dst=1 src0=0 src1=0 src2=0
	ds_load_b128 v[2:5] /*v[258:261]*/, v7 offset:928
	ds_load_b128 v[10:13] /*v[266:269]*/, v7 offset:944
	s_clause 0x3
	scratch_load_b128 v[18:21] /*v[274:277]*/, off, off offset:448
	scratch_load_b128 v[22:25] /*v[278:281]*/, off, off offset:464
	;; [unrolled: 1-line block ×4, first 2 shown]
	s_mov_b32 s0, exec_lo
	s_wait_loadcnt_dscnt 0x1511
	s_set_vgpr_msb 0                        ;  msbs: dst=0 src0=0 src1=0 src2=0
	v_dual_mul_f32 v9, v130, v147 :: v_dual_mul_f32 v11, v132, v149
	s_delay_alu instid0(VALU_DEP_1) | instskip(NEXT) | instid1(VALU_DEP_1)
	v_dual_fmac_f32 v9, v131, v146 :: v_dual_fmac_f32 v11, v133, v148
	v_add_f32_e32 v9, 0, v9
	s_delay_alu instid0(VALU_DEP_1)
	v_add_f32_e32 v9, v9, v11
	s_wait_loadcnt_dscnt 0x1410
	v_mul_f32_e32 v11, v134, v151
	s_wait_loadcnt_dscnt 0x400
	s_set_vgpr_msb 0x45                     ;  msbs: dst=1 src0=1 src1=1 src2=0
	v_dual_mul_f32 v37 /*v293*/, v10 /*v266*/, v15 /*v271*/ :: v_dual_mul_f32 v39 /*v295*/, v12 /*v268*/, v17 /*v273*/
	s_set_vgpr_msb 0                        ;  msbs: dst=0 src0=0 src1=0 src2=0
	v_fmac_f32_e32 v11, v135, v150
	s_set_vgpr_msb 0x45                     ;  msbs: dst=1 src0=1 src1=1 src2=0
	s_delay_alu instid0(VALU_DEP_2) | instskip(SKIP_1) | instid1(VALU_DEP_2)
	v_dual_fmac_f32 v37 /*v293*/, v11 /*v267*/, v14 /*v270*/ :: v_dual_fmac_f32 v39 /*v295*/, v13 /*v269*/, v16 /*v272*/
	s_set_vgpr_msb 0                        ;  msbs: dst=0 src0=0 src1=0 src2=0
	v_dual_add_f32 v9, v9, v11 :: v_dual_mul_f32 v11, v136, v153
	s_delay_alu instid0(VALU_DEP_1) | instskip(NEXT) | instid1(VALU_DEP_1)
	v_fmac_f32_e32 v11, v137, v152
	v_add_f32_e32 v9, v9, v11
	v_mul_f32_e32 v11, v138, v155
	s_delay_alu instid0(VALU_DEP_1) | instskip(NEXT) | instid1(VALU_DEP_1)
	v_fmac_f32_e32 v11, v139, v154
	v_dual_add_f32 v9, v9, v11 :: v_dual_mul_f32 v11, v140, v157
	s_delay_alu instid0(VALU_DEP_1) | instskip(NEXT) | instid1(VALU_DEP_1)
	v_fmac_f32_e32 v11, v141, v156
	v_add_f32_e32 v9, v9, v11
	v_mul_f32_e32 v11, v142, v159
	s_delay_alu instid0(VALU_DEP_1) | instskip(NEXT) | instid1(VALU_DEP_1)
	v_fmac_f32_e32 v11, v143, v158
	;; [unrolled: 7-line block ×14, first 2 shown]
	v_add_f32_e32 v9, v9, v11
	s_set_vgpr_msb 4                        ;  msbs: dst=0 src0=0 src1=1 src2=0
	v_mul_f32_e32 v11, v252, v1 /*v257*/
	s_delay_alu instid0(VALU_DEP_1) | instskip(SKIP_1) | instid1(VALU_DEP_1)
	v_fmac_f32_e32 v11, v253, v0 /*v256*/
	s_set_vgpr_msb 0                        ;  msbs: dst=0 src0=0 src1=0 src2=0
	v_add_f32_e32 v9, v9, v11
	s_set_vgpr_msb 5                        ;  msbs: dst=0 src0=1 src1=1 src2=0
	v_mul_f32_e32 v11, v2 /*v258*/, v7 /*v263*/
	s_delay_alu instid0(VALU_DEP_1) | instskip(SKIP_1) | instid1(VALU_DEP_1)
	v_fmac_f32_e32 v11, v3 /*v259*/, v6 /*v262*/
	s_set_vgpr_msb 0                        ;  msbs: dst=0 src0=0 src1=0 src2=0
	v_add_f32_e32 v9, v9, v11
	s_set_vgpr_msb 5                        ;  msbs: dst=0 src0=1 src1=1 src2=0
	v_mul_f32_e32 v11, v4 /*v260*/, v9 /*v265*/
	s_delay_alu instid0(VALU_DEP_1) | instskip(SKIP_1) | instid1(VALU_DEP_1)
	v_fmac_f32_e32 v11, v5 /*v261*/, v8 /*v264*/
	s_set_vgpr_msb 64                       ;  msbs: dst=1 src0=0 src1=0 src2=0
	v_add_f32_e32 v35 /*v291*/, v9, v11
	s_set_vgpr_msb 0                        ;  msbs: dst=0 src0=0 src1=0 src2=0
	v_dual_mul_f32 v9, v131, v147 :: v_dual_mul_f32 v11, v133, v149
	s_delay_alu instid0(VALU_DEP_1) | instskip(NEXT) | instid1(VALU_DEP_1)
	v_dual_fma_f32 v9, v130, v146, -v9 :: v_dual_fma_f32 v11, v132, v148, -v11
	v_add_f32_e32 v9, 0, v9
	s_delay_alu instid0(VALU_DEP_1) | instskip(SKIP_1) | instid1(VALU_DEP_1)
	v_add_f32_e32 v9, v9, v11
	v_mul_f32_e32 v11, v135, v151
	v_fma_f32 v11, v134, v150, -v11
	s_delay_alu instid0(VALU_DEP_1) | instskip(SKIP_1) | instid1(VALU_DEP_1)
	v_add_f32_e32 v9, v9, v11
	v_mul_f32_e32 v11, v137, v153
	v_fma_f32 v11, v136, v152, -v11
	s_delay_alu instid0(VALU_DEP_1) | instskip(SKIP_1) | instid1(VALU_DEP_1)
	v_add_f32_e32 v9, v9, v11
	v_mul_f32_e32 v11, v139, v155
	v_fma_f32 v11, v138, v154, -v11
	s_delay_alu instid0(VALU_DEP_1) | instskip(SKIP_1) | instid1(VALU_DEP_1)
	v_add_f32_e32 v9, v9, v11
	v_mul_f32_e32 v11, v141, v157
	v_fma_f32 v11, v140, v156, -v11
	s_delay_alu instid0(VALU_DEP_1) | instskip(SKIP_1) | instid1(VALU_DEP_1)
	v_add_f32_e32 v9, v9, v11
	v_mul_f32_e32 v11, v143, v159
	v_fma_f32 v11, v142, v158, -v11
	s_delay_alu instid0(VALU_DEP_1) | instskip(SKIP_1) | instid1(VALU_DEP_1)
	v_add_f32_e32 v9, v9, v11
	v_mul_f32_e32 v11, v145, v161
	v_fma_f32 v11, v144, v160, -v11
	ds_load_b128 v[130:133], v7 offset:960
	ds_load_b128 v[134:137], v7 offset:976
	;; [unrolled: 1-line block ×4, first 2 shown]
	v_add_f32_e32 v9, v9, v11
	v_mul_f32_e32 v11, v163, v167
	s_delay_alu instid0(VALU_DEP_1) | instskip(NEXT) | instid1(VALU_DEP_1)
	v_fma_f32 v11, v162, v166, -v11
	v_add_f32_e32 v9, v9, v11
	v_mul_f32_e32 v11, v165, v169
	s_wait_loadcnt_dscnt 0x303
	s_set_vgpr_msb 4                        ;  msbs: dst=0 src0=0 src1=1 src2=0
	v_pk_mul_f32 v[148:149], v[130:131], v[18:19] /*v[274:275]*/ op_sel:[1,1] op_sel_hi:[0,1]
	s_set_vgpr_msb 0                        ;  msbs: dst=0 src0=0 src1=0 src2=0
	v_fma_f32 v11, v164, v168, -v11
	s_set_vgpr_msb 4                        ;  msbs: dst=0 src0=0 src1=1 src2=0
	s_delay_alu instid0(VALU_DEP_2)
	v_pk_fma_f32 v[150:151], v[130:131], v[18:19] /*v[274:275]*/, v[148:149] neg_lo:[0,0,1] neg_hi:[0,0,1]
	v_pk_fma_f32 v[130:131], v[130:131], v[18:19] /*v[274:275]*/, v[148:149] op_sel_hi:[1,0,1]
	s_set_vgpr_msb 1                        ;  msbs: dst=0 src0=1 src1=0 src2=0
	v_mov_b32_e32 v148, v21 /*v277*/
	s_set_vgpr_msb 0                        ;  msbs: dst=0 src0=0 src1=0 src2=0
	v_add_f32_e32 v9, v9, v11
	v_mul_f32_e32 v11, v171, v175
	s_delay_alu instid0(VALU_DEP_1) | instskip(NEXT) | instid1(VALU_DEP_1)
	v_dual_mov_b32 v151, v131 :: v_dual_fma_f32 v11, v170, v174, -v11
	v_add_f32_e32 v9, v9, v11
	v_mul_f32_e32 v11, v173, v177
	s_delay_alu instid0(VALU_DEP_1) | instskip(NEXT) | instid1(VALU_DEP_1)
	v_fma_f32 v11, v172, v176, -v11
	v_add_f32_e32 v9, v9, v11
	v_mul_f32_e32 v11, v179, v183
	s_delay_alu instid0(VALU_DEP_1) | instskip(NEXT) | instid1(VALU_DEP_1)
	v_fma_f32 v11, v178, v182, -v11
	;; [unrolled: 4-line block ×20, first 2 shown]
	v_add_f32_e32 v9, v9, v11
	s_set_vgpr_msb 4                        ;  msbs: dst=0 src0=0 src1=1 src2=0
	v_mul_f32_e32 v11, v253, v1 /*v257*/
	s_delay_alu instid0(VALU_DEP_1) | instskip(SKIP_1) | instid1(VALU_DEP_1)
	v_fma_f32 v11, v252, v0 /*v256*/, -v11
	s_set_vgpr_msb 0                        ;  msbs: dst=0 src0=0 src1=0 src2=0
	v_add_f32_e32 v9, v9, v11
	s_set_vgpr_msb 5                        ;  msbs: dst=0 src0=1 src1=1 src2=0
	v_mul_f32_e32 v11, v3 /*v259*/, v7 /*v263*/
	s_delay_alu instid0(VALU_DEP_1) | instskip(SKIP_1) | instid1(VALU_DEP_1)
	v_fma_f32 v11, v2 /*v258*/, v6 /*v262*/, -v11
	s_set_vgpr_msb 0                        ;  msbs: dst=0 src0=0 src1=0 src2=0
	v_add_f32_e32 v9, v9, v11
	s_set_vgpr_msb 5                        ;  msbs: dst=0 src0=1 src1=1 src2=0
	v_mul_f32_e32 v11, v5 /*v261*/, v9 /*v265*/
	s_delay_alu instid0(VALU_DEP_1) | instskip(SKIP_1) | instid1(VALU_DEP_1)
	v_fma_f32 v11, v4 /*v260*/, v8 /*v264*/, -v11
	s_set_vgpr_msb 64                       ;  msbs: dst=1 src0=0 src1=0 src2=0
	v_add_f32_e32 v34 /*v290*/, v9, v11
	s_set_vgpr_msb 5                        ;  msbs: dst=0 src0=1 src1=1 src2=0
	v_mul_f32_e32 v9, v11 /*v267*/, v15 /*v271*/
	s_set_vgpr_msb 0x45                     ;  msbs: dst=1 src0=1 src1=1 src2=0
	s_delay_alu instid0(VALU_DEP_1) | instskip(SKIP_3) | instid1(VALU_DEP_1)
	v_fma_f32 v36 /*v292*/, v10 /*v266*/, v14 /*v270*/, -v9
	s_set_vgpr_msb 5                        ;  msbs: dst=0 src0=1 src1=1 src2=0
	v_mul_f32_e32 v9, v13 /*v269*/, v17 /*v273*/
	s_set_vgpr_msb 0x45                     ;  msbs: dst=1 src0=1 src1=1 src2=0
	v_fma_f32 v38 /*v294*/, v12 /*v268*/, v16 /*v272*/, -v9
	s_set_vgpr_msb 5                        ;  msbs: dst=0 src0=1 src1=1 src2=0
	v_pk_add_f32 v[146:147], v[34:35] /*v[290:291]*/, v[36:37] /*v[292:293]*/
	s_set_vgpr_msb 4                        ;  msbs: dst=0 src0=0 src1=1 src2=0
	s_delay_alu instid0(VALU_DEP_1) | instskip(SKIP_1) | instid1(VALU_DEP_1)
	v_pk_add_f32 v[146:147], v[146:147], v[38:39] /*v[294:295]*/
	s_set_vgpr_msb 0                        ;  msbs: dst=0 src0=0 src1=0 src2=0
	v_pk_add_f32 v[130:131], v[146:147], v[150:151]
	v_dual_mov_b32 v146, v133 :: v_dual_mov_b32 v147, v132
	s_delay_alu instid0(VALU_DEP_1) | instskip(SKIP_1) | instid1(VALU_DEP_1)
	v_pk_mul_f32 v[146:147], v[146:147], v[148:149] op_sel_hi:[1,0]
	s_set_vgpr_msb 4                        ;  msbs: dst=0 src0=0 src1=1 src2=0
	v_pk_fma_f32 v[148:149], v[132:133], v[20:21] /*v[276:277]*/, v[146:147] neg_lo:[0,0,1] neg_hi:[0,0,1]
	v_pk_fma_f32 v[132:133], v[132:133], v[20:21] /*v[276:277]*/, v[146:147] op_sel_hi:[1,0,1]
	s_delay_alu instid0(VALU_DEP_1) | instskip(SKIP_3) | instid1(VALU_DEP_2)
	v_mov_b32_e32 v149, v133
	s_wait_loadcnt_dscnt 0x202
	v_pk_mul_f32 v[132:133], v[134:135], v[22:23] /*v[278:279]*/ op_sel:[1,1] op_sel_hi:[0,1]
	s_set_vgpr_msb 0                        ;  msbs: dst=0 src0=0 src1=0 src2=0
	v_pk_add_f32 v[130:131], v[130:131], v[148:149]
	s_set_vgpr_msb 4                        ;  msbs: dst=0 src0=0 src1=1 src2=0
	s_delay_alu instid0(VALU_DEP_2)
	v_pk_fma_f32 v[146:147], v[134:135], v[22:23] /*v[278:279]*/, v[132:133] neg_lo:[0,0,1] neg_hi:[0,0,1]
	v_pk_fma_f32 v[132:133], v[134:135], v[22:23] /*v[278:279]*/, v[132:133] op_sel_hi:[1,0,1]
	v_mov_b32_e32 v132, v137
	s_set_vgpr_msb 1                        ;  msbs: dst=0 src0=1 src1=0 src2=0
	v_mov_b32_e32 v134, v25 /*v281*/
	s_set_vgpr_msb 0                        ;  msbs: dst=0 src0=0 src1=0 src2=0
	v_dual_mov_b32 v147, v133 :: v_dual_mov_b32 v133, v136
	s_delay_alu instid0(VALU_DEP_1) | instskip(NEXT) | instid1(VALU_DEP_2)
	v_pk_add_f32 v[130:131], v[130:131], v[146:147]
	v_pk_mul_f32 v[132:133], v[132:133], v[134:135] op_sel_hi:[1,0]
	s_set_vgpr_msb 4                        ;  msbs: dst=0 src0=0 src1=1 src2=0
	s_delay_alu instid0(VALU_DEP_1) | instskip(SKIP_1) | instid1(VALU_DEP_1)
	v_pk_fma_f32 v[134:135], v[136:137], v[24:25] /*v[280:281]*/, v[132:133] neg_lo:[0,0,1] neg_hi:[0,0,1]
	v_pk_fma_f32 v[132:133], v[136:137], v[24:25] /*v[280:281]*/, v[132:133] op_sel_hi:[1,0,1]
	v_mov_b32_e32 v135, v133
	s_wait_loadcnt_dscnt 0x101
	v_pk_mul_f32 v[132:133], v[138:139], v[26:27] /*v[282:283]*/ op_sel:[1,1] op_sel_hi:[0,1]
	s_set_vgpr_msb 0                        ;  msbs: dst=0 src0=0 src1=0 src2=0
	s_delay_alu instid0(VALU_DEP_2) | instskip(SKIP_1) | instid1(VALU_DEP_2)
	v_pk_add_f32 v[130:131], v[130:131], v[134:135]
	s_set_vgpr_msb 4                        ;  msbs: dst=0 src0=0 src1=1 src2=0
	v_pk_fma_f32 v[134:135], v[138:139], v[26:27] /*v[282:283]*/, v[132:133] neg_lo:[0,0,1] neg_hi:[0,0,1]
	v_pk_fma_f32 v[132:133], v[138:139], v[26:27] /*v[282:283]*/, v[132:133] op_sel_hi:[1,0,1]
	s_delay_alu instid0(VALU_DEP_1) | instskip(SKIP_2) | instid1(VALU_DEP_2)
	v_dual_mov_b32 v132, v141 :: v_dual_mov_b32 v135, v133
	v_mov_b32_e32 v133, v140
	s_set_vgpr_msb 0                        ;  msbs: dst=0 src0=0 src1=0 src2=0
	v_pk_add_f32 v[130:131], v[130:131], v[134:135]
	s_set_vgpr_msb 1                        ;  msbs: dst=0 src0=1 src1=0 src2=0
	v_mov_b32_e32 v134, v29 /*v285*/
	s_set_vgpr_msb 0                        ;  msbs: dst=0 src0=0 src1=0 src2=0
	s_delay_alu instid0(VALU_DEP_1) | instskip(SKIP_1) | instid1(VALU_DEP_1)
	v_pk_mul_f32 v[132:133], v[132:133], v[134:135] op_sel_hi:[1,0]
	s_set_vgpr_msb 4                        ;  msbs: dst=0 src0=0 src1=1 src2=0
	v_pk_fma_f32 v[134:135], v[140:141], v[28:29] /*v[284:285]*/, v[132:133] neg_lo:[0,0,1] neg_hi:[0,0,1]
	v_pk_fma_f32 v[132:133], v[140:141], v[28:29] /*v[284:285]*/, v[132:133] op_sel_hi:[1,0,1]
	s_delay_alu instid0(VALU_DEP_1) | instskip(SKIP_3) | instid1(VALU_DEP_2)
	v_mov_b32_e32 v135, v133
	s_wait_loadcnt_dscnt 0x0
	v_pk_mul_f32 v[132:133], v[142:143], v[30:31] /*v[286:287]*/ op_sel:[1,1] op_sel_hi:[0,1]
	s_set_vgpr_msb 0                        ;  msbs: dst=0 src0=0 src1=0 src2=0
	v_pk_add_f32 v[130:131], v[130:131], v[134:135]
	s_set_vgpr_msb 4                        ;  msbs: dst=0 src0=0 src1=1 src2=0
	s_delay_alu instid0(VALU_DEP_2) | instskip(SKIP_1) | instid1(VALU_DEP_1)
	v_pk_fma_f32 v[134:135], v[142:143], v[30:31] /*v[286:287]*/, v[132:133] neg_lo:[0,0,1] neg_hi:[0,0,1]
	v_pk_fma_f32 v[132:133], v[142:143], v[30:31] /*v[286:287]*/, v[132:133] op_sel_hi:[1,0,1]
	v_dual_mov_b32 v132, v145 :: v_dual_mov_b32 v135, v133
	v_mov_b32_e32 v133, v144
	s_set_vgpr_msb 0                        ;  msbs: dst=0 src0=0 src1=0 src2=0
	s_delay_alu instid0(VALU_DEP_2) | instskip(SKIP_3) | instid1(VALU_DEP_1)
	v_pk_add_f32 v[130:131], v[130:131], v[134:135]
	s_set_vgpr_msb 1                        ;  msbs: dst=0 src0=1 src1=0 src2=0
	v_mov_b32_e32 v134, v33 /*v289*/
	s_set_vgpr_msb 0                        ;  msbs: dst=0 src0=0 src1=0 src2=0
	v_pk_mul_f32 v[132:133], v[132:133], v[134:135] op_sel_hi:[1,0]
	s_set_vgpr_msb 4                        ;  msbs: dst=0 src0=0 src1=1 src2=0
	s_delay_alu instid0(VALU_DEP_1) | instskip(SKIP_1) | instid1(VALU_DEP_1)
	v_pk_fma_f32 v[134:135], v[144:145], v[32:33] /*v[288:289]*/, v[132:133] neg_lo:[0,0,1] neg_hi:[0,0,1]
	v_pk_fma_f32 v[132:133], v[144:145], v[32:33] /*v[288:289]*/, v[132:133] op_sel_hi:[1,0,1]
	v_mov_b32_e32 v135, v133
	scratch_load_b64 v[132:133], off, off offset:152
	s_set_vgpr_msb 0                        ;  msbs: dst=0 src0=0 src1=0 src2=0
	v_pk_add_f32 v[130:131], v[130:131], v[134:135]
	s_wait_loadcnt 0x0
	s_delay_alu instid0(VALU_DEP_1)
	v_pk_add_f32 v[130:131], v[132:133], v[130:131] neg_lo:[0,1] neg_hi:[0,1]
	scratch_store_b64 off, v[130:131], off offset:152
	s_wait_xcnt 0x0
	v_cmpx_lt_u32_e32 18, v0
	s_cbranch_execz .LBB127_361
; %bb.360:
	scratch_load_b64 v[130:131], off, off offset:144
	v_mov_b64_e32 v[132:133], 0
	scratch_store_b64 off, v[132:133], off offset:144
	s_wait_loadcnt 0x0
	ds_store_b64 v1, v[130:131]
.LBB127_361:
	s_wait_xcnt 0x0
	s_or_b32 exec_lo, exec_lo, s0
	s_wait_storecnt_dscnt 0x0
	s_barrier_signal -1
	s_barrier_wait -1
	s_clause 0xf
	scratch_load_b128 v[134:137], off, off offset:152
	scratch_load_b128 v[142:145], off, off offset:168
	;; [unrolled: 1-line block ×16, first 2 shown]
	v_mov_b32_e32 v7, 0
	s_set_vgpr_msb 64                       ;  msbs: dst=1 src0=0 src1=0 src2=0
	s_clause 0x2
	scratch_load_b128 v[6:9] /*v[262:265]*/, off, off offset:408
	scratch_load_b128 v[14:17] /*v[270:273]*/, off, off offset:424
	;; [unrolled: 1-line block ×3, first 2 shown]
	s_mov_b32 s0, exec_lo
	s_set_vgpr_msb 0                        ;  msbs: dst=0 src0=0 src1=0 src2=0
	ds_load_2addr_b64 v[130:133], v7 offset0:83 offset1:84
	ds_load_2addr_b64 v[138:141], v7 offset0:85 offset1:86
	s_wait_loadcnt_dscnt 0x1201
	v_dual_mul_f32 v9, v130, v135 :: v_dual_mul_f32 v11, v132, v137
	ds_load_2addr_b64 v[146:149], v7 offset0:87 offset1:88
	ds_load_2addr_b64 v[154:157], v7 offset0:89 offset1:90
	;; [unrolled: 1-line block ×4, first 2 shown]
	v_dual_fmac_f32 v9, v131, v134 :: v_dual_fmac_f32 v11, v133, v136
	ds_load_2addr_b64 v[178:181], v7 offset0:95 offset1:96
	ds_load_2addr_b64 v[186:189], v7 offset0:97 offset1:98
	;; [unrolled: 1-line block ×4, first 2 shown]
	v_add_f32_e32 v9, 0, v9
	ds_load_2addr_b64 v[210:213], v7 offset0:103 offset1:104
	ds_load_2addr_b64 v[218:221], v7 offset0:105 offset1:106
	;; [unrolled: 1-line block ×4, first 2 shown]
	v_add_f32_e32 v9, v9, v11
	s_wait_loadcnt_dscnt 0x110c
	v_mul_f32_e32 v11, v138, v143
	ds_load_2addr_b64 v[242:245], v7 offset0:111 offset1:112
	ds_load_2addr_b64 v[250:253], v7 offset0:113 offset1:114
	s_set_vgpr_msb 64                       ;  msbs: dst=1 src0=0 src1=0 src2=0
	ds_load_2addr_b64 v[2:5] /*v[258:261]*/, v7 offset0:115 offset1:116
	ds_load_2addr_b64 v[10:13] /*v[266:269]*/, v7 offset0:117 offset1:118
	s_set_vgpr_msb 0                        ;  msbs: dst=0 src0=0 src1=0 src2=0
	v_fmac_f32_e32 v11, v139, v142
	s_set_vgpr_msb 64                       ;  msbs: dst=1 src0=0 src1=0 src2=0
	ds_load_2addr_b64 v[18:21] /*v[274:277]*/, v7 offset0:119 offset1:120
	s_clause 0x3
	scratch_load_b128 v[26:29] /*v[282:285]*/, off, off offset:456
	scratch_load_b128 v[30:33] /*v[286:289]*/, off, off offset:472
	;; [unrolled: 1-line block ×3, first 2 shown]
	scratch_load_b64 v[44:45] /*v[300:301]*/, off, off offset:504
	s_set_vgpr_msb 0                        ;  msbs: dst=0 src0=0 src1=0 src2=0
	v_dual_add_f32 v9, v9, v11 :: v_dual_mul_f32 v11, v140, v145
	s_delay_alu instid0(VALU_DEP_1) | instskip(NEXT) | instid1(VALU_DEP_1)
	v_fmac_f32_e32 v11, v141, v144
	v_add_f32_e32 v9, v9, v11
	s_wait_loadcnt_dscnt 0x1410
	v_mul_f32_e32 v11, v146, v151
	s_wait_loadcnt_dscnt 0x400
	s_set_vgpr_msb 0x45                     ;  msbs: dst=1 src0=1 src1=1 src2=0
	v_dual_mul_f32 v41 /*v297*/, v12 /*v268*/, v17 /*v273*/ :: v_dual_mul_f32 v43 /*v299*/, v18 /*v274*/, v23 /*v279*/
	s_set_vgpr_msb 0                        ;  msbs: dst=0 src0=0 src1=0 src2=0
	v_fmac_f32_e32 v11, v147, v150
	s_set_vgpr_msb 0x45                     ;  msbs: dst=1 src0=1 src1=1 src2=0
	s_delay_alu instid0(VALU_DEP_2) | instskip(SKIP_1) | instid1(VALU_DEP_2)
	v_dual_fmac_f32 v41 /*v297*/, v13 /*v269*/, v16 /*v272*/ :: v_dual_fmac_f32 v43 /*v299*/, v19 /*v275*/, v22 /*v278*/
	s_set_vgpr_msb 0                        ;  msbs: dst=0 src0=0 src1=0 src2=0
	v_dual_add_f32 v9, v9, v11 :: v_dual_mul_f32 v11, v148, v153
	s_delay_alu instid0(VALU_DEP_1) | instskip(NEXT) | instid1(VALU_DEP_1)
	v_fmac_f32_e32 v11, v149, v152
	v_add_f32_e32 v9, v9, v11
	v_mul_f32_e32 v11, v154, v159
	s_delay_alu instid0(VALU_DEP_1) | instskip(NEXT) | instid1(VALU_DEP_1)
	v_fmac_f32_e32 v11, v155, v158
	v_dual_add_f32 v9, v9, v11 :: v_dual_mul_f32 v11, v156, v161
	s_delay_alu instid0(VALU_DEP_1) | instskip(NEXT) | instid1(VALU_DEP_1)
	v_fmac_f32_e32 v11, v157, v160
	v_add_f32_e32 v9, v9, v11
	v_mul_f32_e32 v11, v162, v167
	s_delay_alu instid0(VALU_DEP_1) | instskip(NEXT) | instid1(VALU_DEP_1)
	v_fmac_f32_e32 v11, v163, v166
	;; [unrolled: 7-line block ×13, first 2 shown]
	v_add_f32_e32 v9, v9, v11
	s_set_vgpr_msb 4                        ;  msbs: dst=0 src0=0 src1=1 src2=0
	v_mul_f32_e32 v11, v252, v1 /*v257*/
	s_delay_alu instid0(VALU_DEP_1) | instskip(SKIP_1) | instid1(VALU_DEP_1)
	v_fmac_f32_e32 v11, v253, v0 /*v256*/
	s_set_vgpr_msb 0                        ;  msbs: dst=0 src0=0 src1=0 src2=0
	v_add_f32_e32 v9, v9, v11
	s_set_vgpr_msb 5                        ;  msbs: dst=0 src0=1 src1=1 src2=0
	v_mul_f32_e32 v11, v2 /*v258*/, v7 /*v263*/
	s_delay_alu instid0(VALU_DEP_1) | instskip(SKIP_1) | instid1(VALU_DEP_1)
	v_fmac_f32_e32 v11, v3 /*v259*/, v6 /*v262*/
	s_set_vgpr_msb 0                        ;  msbs: dst=0 src0=0 src1=0 src2=0
	v_add_f32_e32 v9, v9, v11
	s_set_vgpr_msb 5                        ;  msbs: dst=0 src0=1 src1=1 src2=0
	v_mul_f32_e32 v11, v4 /*v260*/, v9 /*v265*/
	s_delay_alu instid0(VALU_DEP_1) | instskip(SKIP_1) | instid1(VALU_DEP_1)
	v_fmac_f32_e32 v11, v5 /*v261*/, v8 /*v264*/
	;; [unrolled: 6-line block ×3, first 2 shown]
	s_set_vgpr_msb 64                       ;  msbs: dst=1 src0=0 src1=0 src2=0
	v_add_f32_e32 v39 /*v295*/, v9, v11
	s_set_vgpr_msb 0                        ;  msbs: dst=0 src0=0 src1=0 src2=0
	v_dual_mul_f32 v9, v131, v135 :: v_dual_mul_f32 v11, v133, v137
	s_delay_alu instid0(VALU_DEP_1) | instskip(NEXT) | instid1(VALU_DEP_1)
	v_dual_fma_f32 v9, v130, v134, -v9 :: v_dual_fma_f32 v11, v132, v136, -v11
	v_add_f32_e32 v9, 0, v9
	s_delay_alu instid0(VALU_DEP_1) | instskip(SKIP_1) | instid1(VALU_DEP_1)
	v_add_f32_e32 v9, v9, v11
	v_mul_f32_e32 v11, v139, v143
	v_fma_f32 v11, v138, v142, -v11
	s_delay_alu instid0(VALU_DEP_1) | instskip(SKIP_1) | instid1(VALU_DEP_1)
	v_add_f32_e32 v9, v9, v11
	v_mul_f32_e32 v11, v141, v145
	v_fma_f32 v11, v140, v144, -v11
	ds_load_2addr_b64 v[130:133], v7 offset0:121 offset1:122
	ds_load_2addr_b64 v[134:137], v7 offset0:123 offset1:124
	;; [unrolled: 1-line block ×3, first 2 shown]
	ds_load_b64 v[142:143], v7 offset:1016
	v_add_f32_e32 v9, v9, v11
	v_mul_f32_e32 v11, v147, v151
	s_set_vgpr_msb 1                        ;  msbs: dst=0 src0=1 src1=0 src2=0
	v_mov_b32_e32 v147, v20 /*v276*/
	s_set_vgpr_msb 0                        ;  msbs: dst=0 src0=0 src1=0 src2=0
	s_delay_alu instid0(VALU_DEP_2) | instskip(SKIP_3) | instid1(VALU_DEP_2)
	v_fma_f32 v11, v146, v150, -v11
	s_set_vgpr_msb 1                        ;  msbs: dst=0 src0=1 src1=0 src2=0
	v_mov_b32_e32 v146, v21 /*v277*/
	s_set_vgpr_msb 0                        ;  msbs: dst=0 src0=0 src1=0 src2=0
	v_add_f32_e32 v9, v9, v11
	v_mul_f32_e32 v11, v149, v153
	s_delay_alu instid0(VALU_DEP_1) | instskip(SKIP_3) | instid1(VALU_DEP_2)
	v_fma_f32 v11, v148, v152, -v11
	s_set_vgpr_msb 1                        ;  msbs: dst=0 src0=1 src1=0 src2=0
	v_mov_b32_e32 v148, v25 /*v281*/
	s_set_vgpr_msb 0                        ;  msbs: dst=0 src0=0 src1=0 src2=0
	v_add_f32_e32 v9, v9, v11
	v_mul_f32_e32 v11, v155, v159
	s_delay_alu instid0(VALU_DEP_3) | instskip(NEXT) | instid1(VALU_DEP_2)
	v_pk_mul_f32 v[146:147], v[146:147], v[148:149] op_sel_hi:[1,0]
	v_fma_f32 v11, v154, v158, -v11
	s_set_vgpr_msb 5                        ;  msbs: dst=0 src0=1 src1=1 src2=0
	s_delay_alu instid0(VALU_DEP_2) | instskip(SKIP_3) | instid1(VALU_DEP_2)
	v_pk_fma_f32 v[148:149], v[20:21] /*v[276:277]*/, v[24:25] /*v[280:281]*/, v[146:147] neg_lo:[0,0,1] neg_hi:[0,0,1]
	v_pk_fma_f32 v[146:147], v[20:21] /*v[276:277]*/, v[24:25] /*v[280:281]*/, v[146:147] op_sel_hi:[1,0,1]
	s_set_vgpr_msb 0                        ;  msbs: dst=0 src0=0 src1=0 src2=0
	v_add_f32_e32 v9, v9, v11
	v_dual_mul_f32 v11, v157, v161 :: v_dual_mov_b32 v149, v147
	s_wait_loadcnt_dscnt 0x303
	s_set_vgpr_msb 4                        ;  msbs: dst=0 src0=0 src1=1 src2=0
	v_pk_mul_f32 v[146:147], v[130:131], v[26:27] /*v[282:283]*/ op_sel:[1,1] op_sel_hi:[0,1]
	s_set_vgpr_msb 0                        ;  msbs: dst=0 src0=0 src1=0 src2=0
	v_fma_f32 v11, v156, v160, -v11
	s_delay_alu instid0(VALU_DEP_1) | instskip(SKIP_1) | instid1(VALU_DEP_1)
	v_add_f32_e32 v9, v9, v11
	v_mul_f32_e32 v11, v163, v167
	v_fma_f32 v11, v162, v166, -v11
	s_delay_alu instid0(VALU_DEP_1) | instskip(SKIP_1) | instid1(VALU_DEP_1)
	v_add_f32_e32 v9, v9, v11
	v_mul_f32_e32 v11, v165, v169
	;; [unrolled: 4-line block ×23, first 2 shown]
	v_fma_f32 v11, v250, v254, -v11
	s_delay_alu instid0(VALU_DEP_1) | instskip(SKIP_2) | instid1(VALU_DEP_1)
	v_add_f32_e32 v9, v9, v11
	s_set_vgpr_msb 4                        ;  msbs: dst=0 src0=0 src1=1 src2=0
	v_mul_f32_e32 v11, v253, v1 /*v257*/
	v_fma_f32 v11, v252, v0 /*v256*/, -v11
	s_set_vgpr_msb 0                        ;  msbs: dst=0 src0=0 src1=0 src2=0
	s_delay_alu instid0(VALU_DEP_1) | instskip(SKIP_2) | instid1(VALU_DEP_1)
	v_add_f32_e32 v9, v9, v11
	s_set_vgpr_msb 5                        ;  msbs: dst=0 src0=1 src1=1 src2=0
	v_mul_f32_e32 v11, v3 /*v259*/, v7 /*v263*/
	v_fma_f32 v11, v2 /*v258*/, v6 /*v262*/, -v11
	s_set_vgpr_msb 0                        ;  msbs: dst=0 src0=0 src1=0 src2=0
	s_delay_alu instid0(VALU_DEP_1) | instskip(SKIP_2) | instid1(VALU_DEP_1)
	v_add_f32_e32 v9, v9, v11
	s_set_vgpr_msb 5                        ;  msbs: dst=0 src0=1 src1=1 src2=0
	v_mul_f32_e32 v11, v5 /*v261*/, v9 /*v265*/
	v_fma_f32 v11, v4 /*v260*/, v8 /*v264*/, -v11
	;; [unrolled: 6-line block ×3, first 2 shown]
	s_set_vgpr_msb 64                       ;  msbs: dst=1 src0=0 src1=0 src2=0
	s_delay_alu instid0(VALU_DEP_1) | instskip(SKIP_3) | instid1(VALU_DEP_1)
	v_add_f32_e32 v38 /*v294*/, v9, v11
	s_set_vgpr_msb 5                        ;  msbs: dst=0 src0=1 src1=1 src2=0
	v_mul_f32_e32 v9, v13 /*v269*/, v17 /*v273*/
	s_set_vgpr_msb 0x45                     ;  msbs: dst=1 src0=1 src1=1 src2=0
	v_fma_f32 v40 /*v296*/, v12 /*v268*/, v16 /*v272*/, -v9
	s_set_vgpr_msb 5                        ;  msbs: dst=0 src0=1 src1=1 src2=0
	v_mul_f32_e32 v9, v19 /*v275*/, v23 /*v279*/
	s_set_vgpr_msb 0x45                     ;  msbs: dst=1 src0=1 src1=1 src2=0
	s_delay_alu instid0(VALU_DEP_1) | instskip(SKIP_3) | instid1(VALU_DEP_1)
	v_fma_f32 v42 /*v298*/, v18 /*v274*/, v22 /*v278*/, -v9
	s_set_vgpr_msb 5                        ;  msbs: dst=0 src0=1 src1=1 src2=0
	v_pk_add_f32 v[144:145], v[38:39] /*v[294:295]*/, v[40:41] /*v[296:297]*/
	s_set_vgpr_msb 4                        ;  msbs: dst=0 src0=0 src1=1 src2=0
	v_pk_add_f32 v[144:145], v[144:145], v[42:43] /*v[298:299]*/
	s_set_vgpr_msb 0                        ;  msbs: dst=0 src0=0 src1=0 src2=0
	s_delay_alu instid0(VALU_DEP_1)
	v_pk_add_f32 v[144:145], v[144:145], v[148:149]
	s_set_vgpr_msb 4                        ;  msbs: dst=0 src0=0 src1=1 src2=0
	v_pk_fma_f32 v[148:149], v[130:131], v[26:27] /*v[282:283]*/, v[146:147] neg_lo:[0,0,1] neg_hi:[0,0,1]
	v_pk_fma_f32 v[130:131], v[130:131], v[26:27] /*v[282:283]*/, v[146:147] op_sel_hi:[1,0,1]
	s_set_vgpr_msb 1                        ;  msbs: dst=0 src0=1 src1=0 src2=0
	v_mov_b32_e32 v146, v29 /*v285*/
	s_set_vgpr_msb 0                        ;  msbs: dst=0 src0=0 src1=0 src2=0
	s_delay_alu instid0(VALU_DEP_2) | instskip(NEXT) | instid1(VALU_DEP_1)
	v_mov_b32_e32 v149, v131
	v_pk_add_f32 v[130:131], v[144:145], v[148:149]
	v_dual_mov_b32 v144, v133 :: v_dual_mov_b32 v145, v132
	s_delay_alu instid0(VALU_DEP_1) | instskip(SKIP_1) | instid1(VALU_DEP_1)
	v_pk_mul_f32 v[144:145], v[144:145], v[146:147] op_sel_hi:[1,0]
	s_set_vgpr_msb 4                        ;  msbs: dst=0 src0=0 src1=1 src2=0
	v_pk_fma_f32 v[146:147], v[132:133], v[28:29] /*v[284:285]*/, v[144:145] neg_lo:[0,0,1] neg_hi:[0,0,1]
	v_pk_fma_f32 v[132:133], v[132:133], v[28:29] /*v[284:285]*/, v[144:145] op_sel_hi:[1,0,1]
	s_delay_alu instid0(VALU_DEP_1) | instskip(SKIP_3) | instid1(VALU_DEP_2)
	v_mov_b32_e32 v147, v133
	s_wait_loadcnt_dscnt 0x202
	v_pk_mul_f32 v[132:133], v[134:135], v[30:31] /*v[286:287]*/ op_sel:[1,1] op_sel_hi:[0,1]
	s_set_vgpr_msb 0                        ;  msbs: dst=0 src0=0 src1=0 src2=0
	v_pk_add_f32 v[130:131], v[130:131], v[146:147]
	s_set_vgpr_msb 4                        ;  msbs: dst=0 src0=0 src1=1 src2=0
	s_delay_alu instid0(VALU_DEP_2)
	v_pk_fma_f32 v[144:145], v[134:135], v[30:31] /*v[286:287]*/, v[132:133] neg_lo:[0,0,1] neg_hi:[0,0,1]
	v_pk_fma_f32 v[132:133], v[134:135], v[30:31] /*v[286:287]*/, v[132:133] op_sel_hi:[1,0,1]
	v_mov_b32_e32 v132, v137
	s_set_vgpr_msb 1                        ;  msbs: dst=0 src0=1 src1=0 src2=0
	v_mov_b32_e32 v134, v33 /*v289*/
	s_set_vgpr_msb 0                        ;  msbs: dst=0 src0=0 src1=0 src2=0
	v_dual_mov_b32 v145, v133 :: v_dual_mov_b32 v133, v136
	s_delay_alu instid0(VALU_DEP_1) | instskip(NEXT) | instid1(VALU_DEP_2)
	v_pk_add_f32 v[130:131], v[130:131], v[144:145]
	v_pk_mul_f32 v[132:133], v[132:133], v[134:135] op_sel_hi:[1,0]
	s_set_vgpr_msb 4                        ;  msbs: dst=0 src0=0 src1=1 src2=0
	s_delay_alu instid0(VALU_DEP_1) | instskip(SKIP_1) | instid1(VALU_DEP_1)
	v_pk_fma_f32 v[134:135], v[136:137], v[32:33] /*v[288:289]*/, v[132:133] neg_lo:[0,0,1] neg_hi:[0,0,1]
	v_pk_fma_f32 v[132:133], v[136:137], v[32:33] /*v[288:289]*/, v[132:133] op_sel_hi:[1,0,1]
	v_mov_b32_e32 v135, v133
	s_wait_loadcnt_dscnt 0x101
	v_pk_mul_f32 v[132:133], v[138:139], v[34:35] /*v[290:291]*/ op_sel:[1,1] op_sel_hi:[0,1]
	s_set_vgpr_msb 0                        ;  msbs: dst=0 src0=0 src1=0 src2=0
	s_delay_alu instid0(VALU_DEP_2) | instskip(SKIP_1) | instid1(VALU_DEP_2)
	v_pk_add_f32 v[130:131], v[130:131], v[134:135]
	s_set_vgpr_msb 4                        ;  msbs: dst=0 src0=0 src1=1 src2=0
	v_pk_fma_f32 v[134:135], v[138:139], v[34:35] /*v[290:291]*/, v[132:133] neg_lo:[0,0,1] neg_hi:[0,0,1]
	v_pk_fma_f32 v[132:133], v[138:139], v[34:35] /*v[290:291]*/, v[132:133] op_sel_hi:[1,0,1]
	s_delay_alu instid0(VALU_DEP_1) | instskip(SKIP_2) | instid1(VALU_DEP_2)
	v_dual_mov_b32 v132, v141 :: v_dual_mov_b32 v135, v133
	v_mov_b32_e32 v133, v140
	s_set_vgpr_msb 0                        ;  msbs: dst=0 src0=0 src1=0 src2=0
	v_pk_add_f32 v[130:131], v[130:131], v[134:135]
	s_set_vgpr_msb 1                        ;  msbs: dst=0 src0=1 src1=0 src2=0
	v_mov_b32_e32 v134, v37 /*v293*/
	s_set_vgpr_msb 0                        ;  msbs: dst=0 src0=0 src1=0 src2=0
	s_delay_alu instid0(VALU_DEP_1) | instskip(SKIP_1) | instid1(VALU_DEP_1)
	v_pk_mul_f32 v[132:133], v[132:133], v[134:135] op_sel_hi:[1,0]
	s_set_vgpr_msb 4                        ;  msbs: dst=0 src0=0 src1=1 src2=0
	v_pk_fma_f32 v[134:135], v[140:141], v[36:37] /*v[292:293]*/, v[132:133] neg_lo:[0,0,1] neg_hi:[0,0,1]
	v_pk_fma_f32 v[132:133], v[140:141], v[36:37] /*v[292:293]*/, v[132:133] op_sel_hi:[1,0,1]
	s_delay_alu instid0(VALU_DEP_1) | instskip(SKIP_3) | instid1(VALU_DEP_2)
	v_mov_b32_e32 v135, v133
	s_wait_loadcnt_dscnt 0x0
	v_pk_mul_f32 v[132:133], v[142:143], v[44:45] /*v[300:301]*/ op_sel:[1,1] op_sel_hi:[0,1]
	s_set_vgpr_msb 0                        ;  msbs: dst=0 src0=0 src1=0 src2=0
	v_pk_add_f32 v[130:131], v[130:131], v[134:135]
	s_set_vgpr_msb 4                        ;  msbs: dst=0 src0=0 src1=1 src2=0
	s_delay_alu instid0(VALU_DEP_2) | instskip(SKIP_1) | instid1(VALU_DEP_1)
	v_pk_fma_f32 v[134:135], v[142:143], v[44:45] /*v[300:301]*/, v[132:133] neg_lo:[0,0,1] neg_hi:[0,0,1]
	v_pk_fma_f32 v[132:133], v[142:143], v[44:45] /*v[300:301]*/, v[132:133] op_sel_hi:[1,0,1]
	v_mov_b32_e32 v135, v133
	scratch_load_b64 v[132:133], off, off offset:144
	s_set_vgpr_msb 0                        ;  msbs: dst=0 src0=0 src1=0 src2=0
	v_pk_add_f32 v[130:131], v[130:131], v[134:135]
	s_wait_loadcnt 0x0
	s_delay_alu instid0(VALU_DEP_1)
	v_pk_add_f32 v[130:131], v[132:133], v[130:131] neg_lo:[0,1] neg_hi:[0,1]
	scratch_store_b64 off, v[130:131], off offset:144
	s_wait_xcnt 0x0
	v_cmpx_lt_u32_e32 17, v0
	s_cbranch_execz .LBB127_363
; %bb.362:
	scratch_load_b64 v[130:131], off, off offset:136
	v_mov_b64_e32 v[132:133], 0
	scratch_store_b64 off, v[132:133], off offset:136
	s_wait_loadcnt 0x0
	ds_store_b64 v1, v[130:131]
.LBB127_363:
	s_wait_xcnt 0x0
	s_or_b32 exec_lo, exec_lo, s0
	s_wait_storecnt_dscnt 0x0
	s_barrier_signal -1
	s_barrier_wait -1
	ds_load_b128 v[130:133], v7 offset:656
	ds_load_b128 v[134:137], v7 offset:672
	;; [unrolled: 1-line block ×4, first 2 shown]
	s_clause 0x12
	scratch_load_b128 v[146:149], off, off offset:144
	scratch_load_b128 v[150:153], off, off offset:160
	;; [unrolled: 1-line block ×16, first 2 shown]
	s_set_vgpr_msb 64                       ;  msbs: dst=1 src0=0 src1=0 src2=0
	scratch_load_b128 v[6:9] /*v[262:265]*/, off, off offset:400
	scratch_load_b128 v[14:17] /*v[270:273]*/, off, off offset:416
	s_set_vgpr_msb 0                        ;  msbs: dst=0 src0=0 src1=0 src2=0
	ds_load_b128 v[162:165], v7 offset:720
	ds_load_b128 v[170:173], v7 offset:736
	ds_load_b128 v[178:181], v7 offset:752
	ds_load_b128 v[186:189], v7 offset:768
	ds_load_b128 v[194:197], v7 offset:784
	ds_load_b128 v[202:205], v7 offset:800
	ds_load_b128 v[210:213], v7 offset:816
	ds_load_b128 v[218:221], v7 offset:832
	ds_load_b128 v[226:229], v7 offset:848
	ds_load_b128 v[234:237], v7 offset:864
	ds_load_b128 v[242:245], v7 offset:880
	ds_load_b128 v[250:253], v7 offset:896
	s_set_vgpr_msb 64                       ;  msbs: dst=1 src0=0 src1=0 src2=0
	ds_load_b128 v[2:5] /*v[258:261]*/, v7 offset:912
	ds_load_b128 v[10:13] /*v[266:269]*/, v7 offset:928
	;; [unrolled: 1-line block ×3, first 2 shown]
	s_clause 0x4
	scratch_load_b128 v[22:25] /*v[278:281]*/, off, off offset:432
	scratch_load_b128 v[26:29] /*v[282:285]*/, off, off offset:448
	;; [unrolled: 1-line block ×5, first 2 shown]
	s_mov_b32 s0, exec_lo
	s_wait_loadcnt_dscnt 0x1612
	s_set_vgpr_msb 0                        ;  msbs: dst=0 src0=0 src1=0 src2=0
	v_dual_mul_f32 v9, v130, v147 :: v_dual_mul_f32 v11, v132, v149
	s_delay_alu instid0(VALU_DEP_1) | instskip(NEXT) | instid1(VALU_DEP_1)
	v_dual_fmac_f32 v9, v131, v146 :: v_dual_fmac_f32 v11, v133, v148
	v_add_f32_e32 v9, 0, v9
	s_delay_alu instid0(VALU_DEP_1) | instskip(SKIP_2) | instid1(VALU_DEP_1)
	v_add_f32_e32 v9, v9, v11
	s_wait_loadcnt_dscnt 0x1511
	v_mul_f32_e32 v11, v134, v151
	v_fmac_f32_e32 v11, v135, v150
	s_delay_alu instid0(VALU_DEP_1) | instskip(NEXT) | instid1(VALU_DEP_1)
	v_dual_add_f32 v9, v9, v11 :: v_dual_mul_f32 v11, v136, v153
	v_fmac_f32_e32 v11, v137, v152
	s_wait_loadcnt_dscnt 0x400
	s_set_vgpr_msb 0x45                     ;  msbs: dst=1 src0=1 src1=1 src2=0
	v_dual_mul_f32 v45 /*v301*/, v18 /*v274*/, v23 /*v279*/ :: v_dual_mul_f32 v47 /*v303*/, v20 /*v276*/, v25 /*v281*/
	s_set_vgpr_msb 0                        ;  msbs: dst=0 src0=0 src1=0 src2=0
	v_add_f32_e32 v9, v9, v11
	v_mul_f32_e32 v11, v138, v155
	s_set_vgpr_msb 0x45                     ;  msbs: dst=1 src0=1 src1=1 src2=0
	v_dual_fmac_f32 v45 /*v301*/, v19 /*v275*/, v22 /*v278*/ :: v_dual_fmac_f32 v47 /*v303*/, v21 /*v277*/, v24 /*v280*/
	s_set_vgpr_msb 0                        ;  msbs: dst=0 src0=0 src1=0 src2=0
	s_delay_alu instid0(VALU_DEP_2) | instskip(NEXT) | instid1(VALU_DEP_1)
	v_fmac_f32_e32 v11, v139, v154
	v_dual_add_f32 v9, v9, v11 :: v_dual_mul_f32 v11, v140, v157
	s_delay_alu instid0(VALU_DEP_1) | instskip(NEXT) | instid1(VALU_DEP_1)
	v_fmac_f32_e32 v11, v141, v156
	v_add_f32_e32 v9, v9, v11
	v_mul_f32_e32 v11, v142, v159
	s_delay_alu instid0(VALU_DEP_1) | instskip(NEXT) | instid1(VALU_DEP_1)
	v_fmac_f32_e32 v11, v143, v158
	v_dual_add_f32 v9, v9, v11 :: v_dual_mul_f32 v11, v144, v161
	s_delay_alu instid0(VALU_DEP_1) | instskip(NEXT) | instid1(VALU_DEP_1)
	v_fmac_f32_e32 v11, v145, v160
	v_add_f32_e32 v9, v9, v11
	v_mul_f32_e32 v11, v162, v167
	s_delay_alu instid0(VALU_DEP_1) | instskip(NEXT) | instid1(VALU_DEP_1)
	;; [unrolled: 7-line block ×13, first 2 shown]
	v_fmac_f32_e32 v11, v251, v254
	v_add_f32_e32 v9, v9, v11
	s_set_vgpr_msb 4                        ;  msbs: dst=0 src0=0 src1=1 src2=0
	v_mul_f32_e32 v11, v252, v1 /*v257*/
	s_delay_alu instid0(VALU_DEP_1) | instskip(SKIP_1) | instid1(VALU_DEP_1)
	v_fmac_f32_e32 v11, v253, v0 /*v256*/
	s_set_vgpr_msb 0                        ;  msbs: dst=0 src0=0 src1=0 src2=0
	v_add_f32_e32 v9, v9, v11
	s_set_vgpr_msb 5                        ;  msbs: dst=0 src0=1 src1=1 src2=0
	v_mul_f32_e32 v11, v2 /*v258*/, v7 /*v263*/
	s_delay_alu instid0(VALU_DEP_1) | instskip(SKIP_1) | instid1(VALU_DEP_1)
	v_fmac_f32_e32 v11, v3 /*v259*/, v6 /*v262*/
	s_set_vgpr_msb 0                        ;  msbs: dst=0 src0=0 src1=0 src2=0
	v_add_f32_e32 v9, v9, v11
	s_set_vgpr_msb 5                        ;  msbs: dst=0 src0=1 src1=1 src2=0
	v_mul_f32_e32 v11, v4 /*v260*/, v9 /*v265*/
	s_delay_alu instid0(VALU_DEP_1) | instskip(SKIP_1) | instid1(VALU_DEP_1)
	v_fmac_f32_e32 v11, v5 /*v261*/, v8 /*v264*/
	;; [unrolled: 6-line block ×4, first 2 shown]
	s_set_vgpr_msb 64                       ;  msbs: dst=1 src0=0 src1=0 src2=0
	v_add_f32_e32 v43 /*v299*/, v9, v11
	s_set_vgpr_msb 0                        ;  msbs: dst=0 src0=0 src1=0 src2=0
	v_dual_mul_f32 v9, v131, v147 :: v_dual_mul_f32 v11, v133, v149
	s_delay_alu instid0(VALU_DEP_1) | instskip(NEXT) | instid1(VALU_DEP_1)
	v_dual_fma_f32 v9, v130, v146, -v9 :: v_dual_fma_f32 v11, v132, v148, -v11
	v_add_f32_e32 v9, 0, v9
	s_delay_alu instid0(VALU_DEP_1) | instskip(SKIP_1) | instid1(VALU_DEP_1)
	v_add_f32_e32 v9, v9, v11
	v_mul_f32_e32 v11, v135, v151
	v_fma_f32 v11, v134, v150, -v11
	s_delay_alu instid0(VALU_DEP_1) | instskip(SKIP_1) | instid1(VALU_DEP_1)
	v_add_f32_e32 v9, v9, v11
	v_mul_f32_e32 v11, v137, v153
	v_fma_f32 v11, v136, v152, -v11
	;; [unrolled: 4-line block ×6, first 2 shown]
	ds_load_b128 v[130:133], v7 offset:960
	ds_load_b128 v[134:137], v7 offset:976
	;; [unrolled: 1-line block ×4, first 2 shown]
	v_add_f32_e32 v9, v9, v11
	v_mul_f32_e32 v11, v163, v167
	s_delay_alu instid0(VALU_DEP_1) | instskip(NEXT) | instid1(VALU_DEP_1)
	v_fma_f32 v11, v162, v166, -v11
	v_add_f32_e32 v9, v9, v11
	v_mul_f32_e32 v11, v165, v169
	s_wait_loadcnt_dscnt 0x303
	s_set_vgpr_msb 4                        ;  msbs: dst=0 src0=0 src1=1 src2=0
	v_pk_mul_f32 v[148:149], v[130:131], v[26:27] /*v[282:283]*/ op_sel:[1,1] op_sel_hi:[0,1]
	s_set_vgpr_msb 0                        ;  msbs: dst=0 src0=0 src1=0 src2=0
	v_fma_f32 v11, v164, v168, -v11
	s_set_vgpr_msb 4                        ;  msbs: dst=0 src0=0 src1=1 src2=0
	s_delay_alu instid0(VALU_DEP_2)
	v_pk_fma_f32 v[150:151], v[130:131], v[26:27] /*v[282:283]*/, v[148:149] neg_lo:[0,0,1] neg_hi:[0,0,1]
	v_pk_fma_f32 v[130:131], v[130:131], v[26:27] /*v[282:283]*/, v[148:149] op_sel_hi:[1,0,1]
	s_set_vgpr_msb 1                        ;  msbs: dst=0 src0=1 src1=0 src2=0
	v_mov_b32_e32 v148, v29 /*v285*/
	s_set_vgpr_msb 0                        ;  msbs: dst=0 src0=0 src1=0 src2=0
	v_add_f32_e32 v9, v9, v11
	v_mul_f32_e32 v11, v171, v175
	s_delay_alu instid0(VALU_DEP_1) | instskip(NEXT) | instid1(VALU_DEP_1)
	v_dual_mov_b32 v151, v131 :: v_dual_fma_f32 v11, v170, v174, -v11
	v_add_f32_e32 v9, v9, v11
	v_mul_f32_e32 v11, v173, v177
	s_delay_alu instid0(VALU_DEP_1) | instskip(NEXT) | instid1(VALU_DEP_1)
	v_fma_f32 v11, v172, v176, -v11
	v_add_f32_e32 v9, v9, v11
	v_mul_f32_e32 v11, v179, v183
	s_delay_alu instid0(VALU_DEP_1) | instskip(NEXT) | instid1(VALU_DEP_1)
	v_fma_f32 v11, v178, v182, -v11
	;; [unrolled: 4-line block ×20, first 2 shown]
	v_add_f32_e32 v9, v9, v11
	s_set_vgpr_msb 4                        ;  msbs: dst=0 src0=0 src1=1 src2=0
	v_mul_f32_e32 v11, v253, v1 /*v257*/
	s_delay_alu instid0(VALU_DEP_1) | instskip(SKIP_1) | instid1(VALU_DEP_1)
	v_fma_f32 v11, v252, v0 /*v256*/, -v11
	s_set_vgpr_msb 0                        ;  msbs: dst=0 src0=0 src1=0 src2=0
	v_add_f32_e32 v9, v9, v11
	s_set_vgpr_msb 5                        ;  msbs: dst=0 src0=1 src1=1 src2=0
	v_mul_f32_e32 v11, v3 /*v259*/, v7 /*v263*/
	s_delay_alu instid0(VALU_DEP_1) | instskip(SKIP_1) | instid1(VALU_DEP_1)
	v_fma_f32 v11, v2 /*v258*/, v6 /*v262*/, -v11
	s_set_vgpr_msb 0                        ;  msbs: dst=0 src0=0 src1=0 src2=0
	v_add_f32_e32 v9, v9, v11
	s_set_vgpr_msb 5                        ;  msbs: dst=0 src0=1 src1=1 src2=0
	v_mul_f32_e32 v11, v5 /*v261*/, v9 /*v265*/
	s_delay_alu instid0(VALU_DEP_1) | instskip(SKIP_1) | instid1(VALU_DEP_1)
	v_fma_f32 v11, v4 /*v260*/, v8 /*v264*/, -v11
	;; [unrolled: 6-line block ×4, first 2 shown]
	s_set_vgpr_msb 64                       ;  msbs: dst=1 src0=0 src1=0 src2=0
	v_add_f32_e32 v42 /*v298*/, v9, v11
	s_set_vgpr_msb 5                        ;  msbs: dst=0 src0=1 src1=1 src2=0
	v_mul_f32_e32 v9, v19 /*v275*/, v23 /*v279*/
	s_set_vgpr_msb 0x45                     ;  msbs: dst=1 src0=1 src1=1 src2=0
	s_delay_alu instid0(VALU_DEP_1) | instskip(SKIP_3) | instid1(VALU_DEP_1)
	v_fma_f32 v44 /*v300*/, v18 /*v274*/, v22 /*v278*/, -v9
	s_set_vgpr_msb 5                        ;  msbs: dst=0 src0=1 src1=1 src2=0
	v_mul_f32_e32 v9, v21 /*v277*/, v25 /*v281*/
	s_set_vgpr_msb 0x45                     ;  msbs: dst=1 src0=1 src1=1 src2=0
	v_fma_f32 v46 /*v302*/, v20 /*v276*/, v24 /*v280*/, -v9
	s_set_vgpr_msb 5                        ;  msbs: dst=0 src0=1 src1=1 src2=0
	v_pk_add_f32 v[146:147], v[42:43] /*v[298:299]*/, v[44:45] /*v[300:301]*/
	s_set_vgpr_msb 4                        ;  msbs: dst=0 src0=0 src1=1 src2=0
	s_delay_alu instid0(VALU_DEP_1) | instskip(SKIP_1) | instid1(VALU_DEP_1)
	v_pk_add_f32 v[146:147], v[146:147], v[46:47] /*v[302:303]*/
	s_set_vgpr_msb 0                        ;  msbs: dst=0 src0=0 src1=0 src2=0
	v_pk_add_f32 v[130:131], v[146:147], v[150:151]
	v_dual_mov_b32 v146, v133 :: v_dual_mov_b32 v147, v132
	s_delay_alu instid0(VALU_DEP_1) | instskip(SKIP_1) | instid1(VALU_DEP_1)
	v_pk_mul_f32 v[146:147], v[146:147], v[148:149] op_sel_hi:[1,0]
	s_set_vgpr_msb 4                        ;  msbs: dst=0 src0=0 src1=1 src2=0
	v_pk_fma_f32 v[148:149], v[132:133], v[28:29] /*v[284:285]*/, v[146:147] neg_lo:[0,0,1] neg_hi:[0,0,1]
	v_pk_fma_f32 v[132:133], v[132:133], v[28:29] /*v[284:285]*/, v[146:147] op_sel_hi:[1,0,1]
	s_delay_alu instid0(VALU_DEP_1) | instskip(SKIP_3) | instid1(VALU_DEP_2)
	v_mov_b32_e32 v149, v133
	s_wait_loadcnt_dscnt 0x202
	v_pk_mul_f32 v[132:133], v[134:135], v[30:31] /*v[286:287]*/ op_sel:[1,1] op_sel_hi:[0,1]
	s_set_vgpr_msb 0                        ;  msbs: dst=0 src0=0 src1=0 src2=0
	v_pk_add_f32 v[130:131], v[130:131], v[148:149]
	s_set_vgpr_msb 4                        ;  msbs: dst=0 src0=0 src1=1 src2=0
	s_delay_alu instid0(VALU_DEP_2)
	v_pk_fma_f32 v[146:147], v[134:135], v[30:31] /*v[286:287]*/, v[132:133] neg_lo:[0,0,1] neg_hi:[0,0,1]
	v_pk_fma_f32 v[132:133], v[134:135], v[30:31] /*v[286:287]*/, v[132:133] op_sel_hi:[1,0,1]
	v_mov_b32_e32 v132, v137
	s_set_vgpr_msb 1                        ;  msbs: dst=0 src0=1 src1=0 src2=0
	v_mov_b32_e32 v134, v33 /*v289*/
	s_set_vgpr_msb 0                        ;  msbs: dst=0 src0=0 src1=0 src2=0
	v_dual_mov_b32 v147, v133 :: v_dual_mov_b32 v133, v136
	s_delay_alu instid0(VALU_DEP_1) | instskip(NEXT) | instid1(VALU_DEP_2)
	v_pk_add_f32 v[130:131], v[130:131], v[146:147]
	v_pk_mul_f32 v[132:133], v[132:133], v[134:135] op_sel_hi:[1,0]
	s_set_vgpr_msb 4                        ;  msbs: dst=0 src0=0 src1=1 src2=0
	s_delay_alu instid0(VALU_DEP_1) | instskip(SKIP_1) | instid1(VALU_DEP_1)
	v_pk_fma_f32 v[134:135], v[136:137], v[32:33] /*v[288:289]*/, v[132:133] neg_lo:[0,0,1] neg_hi:[0,0,1]
	v_pk_fma_f32 v[132:133], v[136:137], v[32:33] /*v[288:289]*/, v[132:133] op_sel_hi:[1,0,1]
	v_mov_b32_e32 v135, v133
	s_wait_loadcnt_dscnt 0x101
	v_pk_mul_f32 v[132:133], v[138:139], v[34:35] /*v[290:291]*/ op_sel:[1,1] op_sel_hi:[0,1]
	s_set_vgpr_msb 0                        ;  msbs: dst=0 src0=0 src1=0 src2=0
	s_delay_alu instid0(VALU_DEP_2) | instskip(SKIP_1) | instid1(VALU_DEP_2)
	v_pk_add_f32 v[130:131], v[130:131], v[134:135]
	s_set_vgpr_msb 4                        ;  msbs: dst=0 src0=0 src1=1 src2=0
	v_pk_fma_f32 v[134:135], v[138:139], v[34:35] /*v[290:291]*/, v[132:133] neg_lo:[0,0,1] neg_hi:[0,0,1]
	v_pk_fma_f32 v[132:133], v[138:139], v[34:35] /*v[290:291]*/, v[132:133] op_sel_hi:[1,0,1]
	s_delay_alu instid0(VALU_DEP_1) | instskip(SKIP_2) | instid1(VALU_DEP_2)
	v_dual_mov_b32 v132, v141 :: v_dual_mov_b32 v135, v133
	v_mov_b32_e32 v133, v140
	s_set_vgpr_msb 0                        ;  msbs: dst=0 src0=0 src1=0 src2=0
	v_pk_add_f32 v[130:131], v[130:131], v[134:135]
	s_set_vgpr_msb 1                        ;  msbs: dst=0 src0=1 src1=0 src2=0
	v_mov_b32_e32 v134, v37 /*v293*/
	s_set_vgpr_msb 0                        ;  msbs: dst=0 src0=0 src1=0 src2=0
	s_delay_alu instid0(VALU_DEP_1) | instskip(SKIP_1) | instid1(VALU_DEP_1)
	v_pk_mul_f32 v[132:133], v[132:133], v[134:135] op_sel_hi:[1,0]
	s_set_vgpr_msb 4                        ;  msbs: dst=0 src0=0 src1=1 src2=0
	v_pk_fma_f32 v[134:135], v[140:141], v[36:37] /*v[292:293]*/, v[132:133] neg_lo:[0,0,1] neg_hi:[0,0,1]
	v_pk_fma_f32 v[132:133], v[140:141], v[36:37] /*v[292:293]*/, v[132:133] op_sel_hi:[1,0,1]
	s_delay_alu instid0(VALU_DEP_1) | instskip(SKIP_3) | instid1(VALU_DEP_2)
	v_mov_b32_e32 v135, v133
	s_wait_loadcnt_dscnt 0x0
	v_pk_mul_f32 v[132:133], v[142:143], v[38:39] /*v[294:295]*/ op_sel:[1,1] op_sel_hi:[0,1]
	s_set_vgpr_msb 0                        ;  msbs: dst=0 src0=0 src1=0 src2=0
	v_pk_add_f32 v[130:131], v[130:131], v[134:135]
	s_set_vgpr_msb 4                        ;  msbs: dst=0 src0=0 src1=1 src2=0
	s_delay_alu instid0(VALU_DEP_2) | instskip(SKIP_1) | instid1(VALU_DEP_1)
	v_pk_fma_f32 v[134:135], v[142:143], v[38:39] /*v[294:295]*/, v[132:133] neg_lo:[0,0,1] neg_hi:[0,0,1]
	v_pk_fma_f32 v[132:133], v[142:143], v[38:39] /*v[294:295]*/, v[132:133] op_sel_hi:[1,0,1]
	v_dual_mov_b32 v132, v145 :: v_dual_mov_b32 v135, v133
	v_mov_b32_e32 v133, v144
	s_set_vgpr_msb 0                        ;  msbs: dst=0 src0=0 src1=0 src2=0
	s_delay_alu instid0(VALU_DEP_2) | instskip(SKIP_3) | instid1(VALU_DEP_1)
	v_pk_add_f32 v[130:131], v[130:131], v[134:135]
	s_set_vgpr_msb 1                        ;  msbs: dst=0 src0=1 src1=0 src2=0
	v_mov_b32_e32 v134, v41 /*v297*/
	s_set_vgpr_msb 0                        ;  msbs: dst=0 src0=0 src1=0 src2=0
	v_pk_mul_f32 v[132:133], v[132:133], v[134:135] op_sel_hi:[1,0]
	s_set_vgpr_msb 4                        ;  msbs: dst=0 src0=0 src1=1 src2=0
	s_delay_alu instid0(VALU_DEP_1) | instskip(SKIP_1) | instid1(VALU_DEP_1)
	v_pk_fma_f32 v[134:135], v[144:145], v[40:41] /*v[296:297]*/, v[132:133] neg_lo:[0,0,1] neg_hi:[0,0,1]
	v_pk_fma_f32 v[132:133], v[144:145], v[40:41] /*v[296:297]*/, v[132:133] op_sel_hi:[1,0,1]
	v_mov_b32_e32 v135, v133
	scratch_load_b64 v[132:133], off, off offset:136
	s_set_vgpr_msb 0                        ;  msbs: dst=0 src0=0 src1=0 src2=0
	v_pk_add_f32 v[130:131], v[130:131], v[134:135]
	s_wait_loadcnt 0x0
	s_delay_alu instid0(VALU_DEP_1)
	v_pk_add_f32 v[130:131], v[132:133], v[130:131] neg_lo:[0,1] neg_hi:[0,1]
	scratch_store_b64 off, v[130:131], off offset:136
	s_wait_xcnt 0x0
	v_cmpx_lt_u32_e32 16, v0
	s_cbranch_execz .LBB127_365
; %bb.364:
	scratch_load_b64 v[130:131], off, off offset:128
	v_mov_b64_e32 v[132:133], 0
	scratch_store_b64 off, v[132:133], off offset:128
	s_wait_loadcnt 0x0
	ds_store_b64 v1, v[130:131]
.LBB127_365:
	s_wait_xcnt 0x0
	s_or_b32 exec_lo, exec_lo, s0
	s_wait_storecnt_dscnt 0x0
	s_barrier_signal -1
	s_barrier_wait -1
	s_clause 0xf
	scratch_load_b128 v[134:137], off, off offset:136
	scratch_load_b128 v[142:145], off, off offset:152
	;; [unrolled: 1-line block ×16, first 2 shown]
	v_mov_b32_e32 v7, 0
	s_set_vgpr_msb 64                       ;  msbs: dst=1 src0=0 src1=0 src2=0
	s_clause 0x3
	scratch_load_b128 v[6:9] /*v[262:265]*/, off, off offset:392
	scratch_load_b128 v[14:17] /*v[270:273]*/, off, off offset:408
	;; [unrolled: 1-line block ×4, first 2 shown]
	s_set_vgpr_msb 0                        ;  msbs: dst=0 src0=0 src1=0 src2=0
	ds_load_2addr_b64 v[130:133], v7 offset0:81 offset1:82
	ds_load_2addr_b64 v[138:141], v7 offset0:83 offset1:84
	s_mov_b32 s0, exec_lo
	s_wait_loadcnt_dscnt 0x1301
	v_dual_mul_f32 v9, v130, v135 :: v_dual_mul_f32 v11, v132, v137
	ds_load_2addr_b64 v[146:149], v7 offset0:85 offset1:86
	ds_load_2addr_b64 v[154:157], v7 offset0:87 offset1:88
	;; [unrolled: 1-line block ×4, first 2 shown]
	v_dual_fmac_f32 v9, v131, v134 :: v_dual_fmac_f32 v11, v133, v136
	ds_load_2addr_b64 v[178:181], v7 offset0:93 offset1:94
	ds_load_2addr_b64 v[186:189], v7 offset0:95 offset1:96
	ds_load_2addr_b64 v[194:197], v7 offset0:97 offset1:98
	ds_load_2addr_b64 v[202:205], v7 offset0:99 offset1:100
	v_add_f32_e32 v9, 0, v9
	ds_load_2addr_b64 v[210:213], v7 offset0:101 offset1:102
	ds_load_2addr_b64 v[218:221], v7 offset0:103 offset1:104
	;; [unrolled: 1-line block ×4, first 2 shown]
	v_add_f32_e32 v9, v9, v11
	s_wait_loadcnt_dscnt 0x120c
	v_mul_f32_e32 v11, v138, v143
	ds_load_2addr_b64 v[242:245], v7 offset0:109 offset1:110
	ds_load_2addr_b64 v[250:253], v7 offset0:111 offset1:112
	s_set_vgpr_msb 64                       ;  msbs: dst=1 src0=0 src1=0 src2=0
	ds_load_2addr_b64 v[2:5] /*v[258:261]*/, v7 offset0:113 offset1:114
	ds_load_2addr_b64 v[10:13] /*v[266:269]*/, v7 offset0:115 offset1:116
	s_set_vgpr_msb 0                        ;  msbs: dst=0 src0=0 src1=0 src2=0
	v_fmac_f32_e32 v11, v139, v142
	s_set_vgpr_msb 64                       ;  msbs: dst=1 src0=0 src1=0 src2=0
	ds_load_2addr_b64 v[18:21] /*v[274:277]*/, v7 offset0:117 offset1:118
	ds_load_2addr_b64 v[26:29] /*v[282:285]*/, v7 offset0:119 offset1:120
	s_clause 0x3
	scratch_load_b128 v[34:37] /*v[290:293]*/, off, off offset:456
	scratch_load_b128 v[38:41] /*v[294:297]*/, off, off offset:472
	;; [unrolled: 1-line block ×3, first 2 shown]
	scratch_load_b64 v[52:53] /*v[308:309]*/, off, off offset:504
	s_set_vgpr_msb 0                        ;  msbs: dst=0 src0=0 src1=0 src2=0
	v_dual_add_f32 v9, v9, v11 :: v_dual_mul_f32 v11, v140, v145
	s_delay_alu instid0(VALU_DEP_1) | instskip(NEXT) | instid1(VALU_DEP_1)
	v_fmac_f32_e32 v11, v141, v144
	v_add_f32_e32 v9, v9, v11
	s_wait_loadcnt_dscnt 0x1511
	v_mul_f32_e32 v11, v146, v151
	s_wait_loadcnt_dscnt 0x400
	s_set_vgpr_msb 0x45                     ;  msbs: dst=1 src0=1 src1=1 src2=0
	v_dual_mul_f32 v49 /*v305*/, v20 /*v276*/, v25 /*v281*/ :: v_dual_mul_f32 v51 /*v307*/, v26 /*v282*/, v31 /*v287*/
	s_set_vgpr_msb 0                        ;  msbs: dst=0 src0=0 src1=0 src2=0
	v_fmac_f32_e32 v11, v147, v150
	s_set_vgpr_msb 0x45                     ;  msbs: dst=1 src0=1 src1=1 src2=0
	s_delay_alu instid0(VALU_DEP_2) | instskip(SKIP_1) | instid1(VALU_DEP_2)
	v_dual_fmac_f32 v49 /*v305*/, v21 /*v277*/, v24 /*v280*/ :: v_dual_fmac_f32 v51 /*v307*/, v27 /*v283*/, v30 /*v286*/
	s_set_vgpr_msb 0                        ;  msbs: dst=0 src0=0 src1=0 src2=0
	v_dual_add_f32 v9, v9, v11 :: v_dual_mul_f32 v11, v148, v153
	s_delay_alu instid0(VALU_DEP_1) | instskip(NEXT) | instid1(VALU_DEP_1)
	v_fmac_f32_e32 v11, v149, v152
	v_add_f32_e32 v9, v9, v11
	v_mul_f32_e32 v11, v154, v159
	s_delay_alu instid0(VALU_DEP_1) | instskip(NEXT) | instid1(VALU_DEP_1)
	v_fmac_f32_e32 v11, v155, v158
	v_dual_add_f32 v9, v9, v11 :: v_dual_mul_f32 v11, v156, v161
	s_delay_alu instid0(VALU_DEP_1) | instskip(NEXT) | instid1(VALU_DEP_1)
	v_fmac_f32_e32 v11, v157, v160
	v_add_f32_e32 v9, v9, v11
	v_mul_f32_e32 v11, v162, v167
	s_delay_alu instid0(VALU_DEP_1) | instskip(NEXT) | instid1(VALU_DEP_1)
	v_fmac_f32_e32 v11, v163, v166
	;; [unrolled: 7-line block ×13, first 2 shown]
	v_add_f32_e32 v9, v9, v11
	s_set_vgpr_msb 4                        ;  msbs: dst=0 src0=0 src1=1 src2=0
	v_mul_f32_e32 v11, v252, v1 /*v257*/
	s_delay_alu instid0(VALU_DEP_1) | instskip(SKIP_1) | instid1(VALU_DEP_1)
	v_fmac_f32_e32 v11, v253, v0 /*v256*/
	s_set_vgpr_msb 0                        ;  msbs: dst=0 src0=0 src1=0 src2=0
	v_add_f32_e32 v9, v9, v11
	s_set_vgpr_msb 5                        ;  msbs: dst=0 src0=1 src1=1 src2=0
	v_mul_f32_e32 v11, v2 /*v258*/, v7 /*v263*/
	s_delay_alu instid0(VALU_DEP_1) | instskip(SKIP_1) | instid1(VALU_DEP_1)
	v_fmac_f32_e32 v11, v3 /*v259*/, v6 /*v262*/
	s_set_vgpr_msb 0                        ;  msbs: dst=0 src0=0 src1=0 src2=0
	v_add_f32_e32 v9, v9, v11
	s_set_vgpr_msb 5                        ;  msbs: dst=0 src0=1 src1=1 src2=0
	v_mul_f32_e32 v11, v4 /*v260*/, v9 /*v265*/
	s_delay_alu instid0(VALU_DEP_1) | instskip(SKIP_1) | instid1(VALU_DEP_1)
	v_fmac_f32_e32 v11, v5 /*v261*/, v8 /*v264*/
	;; [unrolled: 6-line block ×5, first 2 shown]
	s_set_vgpr_msb 64                       ;  msbs: dst=1 src0=0 src1=0 src2=0
	v_add_f32_e32 v47 /*v303*/, v9, v11
	s_set_vgpr_msb 0                        ;  msbs: dst=0 src0=0 src1=0 src2=0
	v_dual_mul_f32 v9, v131, v135 :: v_dual_mul_f32 v11, v133, v137
	s_delay_alu instid0(VALU_DEP_1) | instskip(NEXT) | instid1(VALU_DEP_1)
	v_dual_fma_f32 v9, v130, v134, -v9 :: v_dual_fma_f32 v11, v132, v136, -v11
	v_add_f32_e32 v9, 0, v9
	s_delay_alu instid0(VALU_DEP_1) | instskip(SKIP_1) | instid1(VALU_DEP_1)
	v_add_f32_e32 v9, v9, v11
	v_mul_f32_e32 v11, v139, v143
	v_fma_f32 v11, v138, v142, -v11
	s_delay_alu instid0(VALU_DEP_1) | instskip(SKIP_1) | instid1(VALU_DEP_1)
	v_add_f32_e32 v9, v9, v11
	v_mul_f32_e32 v11, v141, v145
	v_fma_f32 v11, v140, v144, -v11
	ds_load_2addr_b64 v[130:133], v7 offset0:121 offset1:122
	ds_load_2addr_b64 v[134:137], v7 offset0:123 offset1:124
	;; [unrolled: 1-line block ×3, first 2 shown]
	ds_load_b64 v[142:143], v7 offset:1016
	v_add_f32_e32 v9, v9, v11
	v_mul_f32_e32 v11, v147, v151
	s_set_vgpr_msb 1                        ;  msbs: dst=0 src0=1 src1=0 src2=0
	v_mov_b32_e32 v147, v28 /*v284*/
	s_set_vgpr_msb 0                        ;  msbs: dst=0 src0=0 src1=0 src2=0
	s_delay_alu instid0(VALU_DEP_2) | instskip(SKIP_3) | instid1(VALU_DEP_2)
	v_fma_f32 v11, v146, v150, -v11
	s_set_vgpr_msb 1                        ;  msbs: dst=0 src0=1 src1=0 src2=0
	v_mov_b32_e32 v146, v29 /*v285*/
	s_set_vgpr_msb 0                        ;  msbs: dst=0 src0=0 src1=0 src2=0
	v_add_f32_e32 v9, v9, v11
	v_mul_f32_e32 v11, v149, v153
	s_delay_alu instid0(VALU_DEP_1) | instskip(SKIP_3) | instid1(VALU_DEP_2)
	v_fma_f32 v11, v148, v152, -v11
	s_set_vgpr_msb 1                        ;  msbs: dst=0 src0=1 src1=0 src2=0
	v_mov_b32_e32 v148, v33 /*v289*/
	s_set_vgpr_msb 0                        ;  msbs: dst=0 src0=0 src1=0 src2=0
	v_add_f32_e32 v9, v9, v11
	v_mul_f32_e32 v11, v155, v159
	s_delay_alu instid0(VALU_DEP_3) | instskip(NEXT) | instid1(VALU_DEP_2)
	v_pk_mul_f32 v[146:147], v[146:147], v[148:149] op_sel_hi:[1,0]
	v_fma_f32 v11, v154, v158, -v11
	s_set_vgpr_msb 5                        ;  msbs: dst=0 src0=1 src1=1 src2=0
	s_delay_alu instid0(VALU_DEP_2) | instskip(SKIP_3) | instid1(VALU_DEP_2)
	v_pk_fma_f32 v[148:149], v[28:29] /*v[284:285]*/, v[32:33] /*v[288:289]*/, v[146:147] neg_lo:[0,0,1] neg_hi:[0,0,1]
	v_pk_fma_f32 v[146:147], v[28:29] /*v[284:285]*/, v[32:33] /*v[288:289]*/, v[146:147] op_sel_hi:[1,0,1]
	s_set_vgpr_msb 0                        ;  msbs: dst=0 src0=0 src1=0 src2=0
	v_add_f32_e32 v9, v9, v11
	v_dual_mul_f32 v11, v157, v161 :: v_dual_mov_b32 v149, v147
	s_wait_loadcnt_dscnt 0x303
	s_set_vgpr_msb 4                        ;  msbs: dst=0 src0=0 src1=1 src2=0
	v_pk_mul_f32 v[146:147], v[130:131], v[34:35] /*v[290:291]*/ op_sel:[1,1] op_sel_hi:[0,1]
	s_set_vgpr_msb 0                        ;  msbs: dst=0 src0=0 src1=0 src2=0
	v_fma_f32 v11, v156, v160, -v11
	s_delay_alu instid0(VALU_DEP_1) | instskip(SKIP_1) | instid1(VALU_DEP_1)
	v_add_f32_e32 v9, v9, v11
	v_mul_f32_e32 v11, v163, v167
	v_fma_f32 v11, v162, v166, -v11
	s_delay_alu instid0(VALU_DEP_1) | instskip(SKIP_1) | instid1(VALU_DEP_1)
	v_add_f32_e32 v9, v9, v11
	v_mul_f32_e32 v11, v165, v169
	;; [unrolled: 4-line block ×23, first 2 shown]
	v_fma_f32 v11, v250, v254, -v11
	s_delay_alu instid0(VALU_DEP_1) | instskip(SKIP_2) | instid1(VALU_DEP_1)
	v_add_f32_e32 v9, v9, v11
	s_set_vgpr_msb 4                        ;  msbs: dst=0 src0=0 src1=1 src2=0
	v_mul_f32_e32 v11, v253, v1 /*v257*/
	v_fma_f32 v11, v252, v0 /*v256*/, -v11
	s_set_vgpr_msb 0                        ;  msbs: dst=0 src0=0 src1=0 src2=0
	s_delay_alu instid0(VALU_DEP_1) | instskip(SKIP_2) | instid1(VALU_DEP_1)
	v_add_f32_e32 v9, v9, v11
	s_set_vgpr_msb 5                        ;  msbs: dst=0 src0=1 src1=1 src2=0
	v_mul_f32_e32 v11, v3 /*v259*/, v7 /*v263*/
	v_fma_f32 v11, v2 /*v258*/, v6 /*v262*/, -v11
	s_set_vgpr_msb 0                        ;  msbs: dst=0 src0=0 src1=0 src2=0
	s_delay_alu instid0(VALU_DEP_1) | instskip(SKIP_2) | instid1(VALU_DEP_1)
	v_add_f32_e32 v9, v9, v11
	s_set_vgpr_msb 5                        ;  msbs: dst=0 src0=1 src1=1 src2=0
	v_mul_f32_e32 v11, v5 /*v261*/, v9 /*v265*/
	v_fma_f32 v11, v4 /*v260*/, v8 /*v264*/, -v11
	;; [unrolled: 6-line block ×5, first 2 shown]
	s_set_vgpr_msb 64                       ;  msbs: dst=1 src0=0 src1=0 src2=0
	s_delay_alu instid0(VALU_DEP_1) | instskip(SKIP_3) | instid1(VALU_DEP_1)
	v_add_f32_e32 v46 /*v302*/, v9, v11
	s_set_vgpr_msb 5                        ;  msbs: dst=0 src0=1 src1=1 src2=0
	v_mul_f32_e32 v9, v21 /*v277*/, v25 /*v281*/
	s_set_vgpr_msb 0x45                     ;  msbs: dst=1 src0=1 src1=1 src2=0
	v_fma_f32 v48 /*v304*/, v20 /*v276*/, v24 /*v280*/, -v9
	s_set_vgpr_msb 5                        ;  msbs: dst=0 src0=1 src1=1 src2=0
	v_mul_f32_e32 v9, v27 /*v283*/, v31 /*v287*/
	s_set_vgpr_msb 0x45                     ;  msbs: dst=1 src0=1 src1=1 src2=0
	s_delay_alu instid0(VALU_DEP_1) | instskip(SKIP_3) | instid1(VALU_DEP_1)
	v_fma_f32 v50 /*v306*/, v26 /*v282*/, v30 /*v286*/, -v9
	s_set_vgpr_msb 5                        ;  msbs: dst=0 src0=1 src1=1 src2=0
	v_pk_add_f32 v[144:145], v[46:47] /*v[302:303]*/, v[48:49] /*v[304:305]*/
	s_set_vgpr_msb 4                        ;  msbs: dst=0 src0=0 src1=1 src2=0
	v_pk_add_f32 v[144:145], v[144:145], v[50:51] /*v[306:307]*/
	s_set_vgpr_msb 0                        ;  msbs: dst=0 src0=0 src1=0 src2=0
	s_delay_alu instid0(VALU_DEP_1)
	v_pk_add_f32 v[144:145], v[144:145], v[148:149]
	s_set_vgpr_msb 4                        ;  msbs: dst=0 src0=0 src1=1 src2=0
	v_pk_fma_f32 v[148:149], v[130:131], v[34:35] /*v[290:291]*/, v[146:147] neg_lo:[0,0,1] neg_hi:[0,0,1]
	v_pk_fma_f32 v[130:131], v[130:131], v[34:35] /*v[290:291]*/, v[146:147] op_sel_hi:[1,0,1]
	s_set_vgpr_msb 1                        ;  msbs: dst=0 src0=1 src1=0 src2=0
	v_mov_b32_e32 v146, v37 /*v293*/
	s_set_vgpr_msb 0                        ;  msbs: dst=0 src0=0 src1=0 src2=0
	s_delay_alu instid0(VALU_DEP_2) | instskip(NEXT) | instid1(VALU_DEP_1)
	v_mov_b32_e32 v149, v131
	v_pk_add_f32 v[130:131], v[144:145], v[148:149]
	v_dual_mov_b32 v144, v133 :: v_dual_mov_b32 v145, v132
	s_delay_alu instid0(VALU_DEP_1) | instskip(SKIP_1) | instid1(VALU_DEP_1)
	v_pk_mul_f32 v[144:145], v[144:145], v[146:147] op_sel_hi:[1,0]
	s_set_vgpr_msb 4                        ;  msbs: dst=0 src0=0 src1=1 src2=0
	v_pk_fma_f32 v[146:147], v[132:133], v[36:37] /*v[292:293]*/, v[144:145] neg_lo:[0,0,1] neg_hi:[0,0,1]
	v_pk_fma_f32 v[132:133], v[132:133], v[36:37] /*v[292:293]*/, v[144:145] op_sel_hi:[1,0,1]
	s_delay_alu instid0(VALU_DEP_1) | instskip(SKIP_3) | instid1(VALU_DEP_2)
	v_mov_b32_e32 v147, v133
	s_wait_loadcnt_dscnt 0x202
	v_pk_mul_f32 v[132:133], v[134:135], v[38:39] /*v[294:295]*/ op_sel:[1,1] op_sel_hi:[0,1]
	s_set_vgpr_msb 0                        ;  msbs: dst=0 src0=0 src1=0 src2=0
	v_pk_add_f32 v[130:131], v[130:131], v[146:147]
	s_set_vgpr_msb 4                        ;  msbs: dst=0 src0=0 src1=1 src2=0
	s_delay_alu instid0(VALU_DEP_2)
	v_pk_fma_f32 v[144:145], v[134:135], v[38:39] /*v[294:295]*/, v[132:133] neg_lo:[0,0,1] neg_hi:[0,0,1]
	v_pk_fma_f32 v[132:133], v[134:135], v[38:39] /*v[294:295]*/, v[132:133] op_sel_hi:[1,0,1]
	v_mov_b32_e32 v132, v137
	s_set_vgpr_msb 1                        ;  msbs: dst=0 src0=1 src1=0 src2=0
	v_mov_b32_e32 v134, v41 /*v297*/
	s_set_vgpr_msb 0                        ;  msbs: dst=0 src0=0 src1=0 src2=0
	v_dual_mov_b32 v145, v133 :: v_dual_mov_b32 v133, v136
	s_delay_alu instid0(VALU_DEP_1) | instskip(NEXT) | instid1(VALU_DEP_2)
	v_pk_add_f32 v[130:131], v[130:131], v[144:145]
	v_pk_mul_f32 v[132:133], v[132:133], v[134:135] op_sel_hi:[1,0]
	s_set_vgpr_msb 4                        ;  msbs: dst=0 src0=0 src1=1 src2=0
	s_delay_alu instid0(VALU_DEP_1) | instskip(SKIP_1) | instid1(VALU_DEP_1)
	v_pk_fma_f32 v[134:135], v[136:137], v[40:41] /*v[296:297]*/, v[132:133] neg_lo:[0,0,1] neg_hi:[0,0,1]
	v_pk_fma_f32 v[132:133], v[136:137], v[40:41] /*v[296:297]*/, v[132:133] op_sel_hi:[1,0,1]
	v_mov_b32_e32 v135, v133
	s_wait_loadcnt_dscnt 0x101
	v_pk_mul_f32 v[132:133], v[138:139], v[42:43] /*v[298:299]*/ op_sel:[1,1] op_sel_hi:[0,1]
	s_set_vgpr_msb 0                        ;  msbs: dst=0 src0=0 src1=0 src2=0
	s_delay_alu instid0(VALU_DEP_2) | instskip(SKIP_1) | instid1(VALU_DEP_2)
	v_pk_add_f32 v[130:131], v[130:131], v[134:135]
	s_set_vgpr_msb 4                        ;  msbs: dst=0 src0=0 src1=1 src2=0
	v_pk_fma_f32 v[134:135], v[138:139], v[42:43] /*v[298:299]*/, v[132:133] neg_lo:[0,0,1] neg_hi:[0,0,1]
	v_pk_fma_f32 v[132:133], v[138:139], v[42:43] /*v[298:299]*/, v[132:133] op_sel_hi:[1,0,1]
	s_delay_alu instid0(VALU_DEP_1) | instskip(SKIP_2) | instid1(VALU_DEP_2)
	v_dual_mov_b32 v132, v141 :: v_dual_mov_b32 v135, v133
	v_mov_b32_e32 v133, v140
	s_set_vgpr_msb 0                        ;  msbs: dst=0 src0=0 src1=0 src2=0
	v_pk_add_f32 v[130:131], v[130:131], v[134:135]
	s_set_vgpr_msb 1                        ;  msbs: dst=0 src0=1 src1=0 src2=0
	v_mov_b32_e32 v134, v45 /*v301*/
	s_set_vgpr_msb 0                        ;  msbs: dst=0 src0=0 src1=0 src2=0
	s_delay_alu instid0(VALU_DEP_1) | instskip(SKIP_1) | instid1(VALU_DEP_1)
	v_pk_mul_f32 v[132:133], v[132:133], v[134:135] op_sel_hi:[1,0]
	s_set_vgpr_msb 4                        ;  msbs: dst=0 src0=0 src1=1 src2=0
	v_pk_fma_f32 v[134:135], v[140:141], v[44:45] /*v[300:301]*/, v[132:133] neg_lo:[0,0,1] neg_hi:[0,0,1]
	v_pk_fma_f32 v[132:133], v[140:141], v[44:45] /*v[300:301]*/, v[132:133] op_sel_hi:[1,0,1]
	s_delay_alu instid0(VALU_DEP_1) | instskip(SKIP_3) | instid1(VALU_DEP_2)
	v_mov_b32_e32 v135, v133
	s_wait_loadcnt_dscnt 0x0
	v_pk_mul_f32 v[132:133], v[142:143], v[52:53] /*v[308:309]*/ op_sel:[1,1] op_sel_hi:[0,1]
	s_set_vgpr_msb 0                        ;  msbs: dst=0 src0=0 src1=0 src2=0
	v_pk_add_f32 v[130:131], v[130:131], v[134:135]
	s_set_vgpr_msb 4                        ;  msbs: dst=0 src0=0 src1=1 src2=0
	s_delay_alu instid0(VALU_DEP_2) | instskip(SKIP_1) | instid1(VALU_DEP_1)
	v_pk_fma_f32 v[134:135], v[142:143], v[52:53] /*v[308:309]*/, v[132:133] neg_lo:[0,0,1] neg_hi:[0,0,1]
	v_pk_fma_f32 v[132:133], v[142:143], v[52:53] /*v[308:309]*/, v[132:133] op_sel_hi:[1,0,1]
	v_mov_b32_e32 v135, v133
	scratch_load_b64 v[132:133], off, off offset:128
	s_set_vgpr_msb 0                        ;  msbs: dst=0 src0=0 src1=0 src2=0
	v_pk_add_f32 v[130:131], v[130:131], v[134:135]
	s_wait_loadcnt 0x0
	s_delay_alu instid0(VALU_DEP_1)
	v_pk_add_f32 v[130:131], v[132:133], v[130:131] neg_lo:[0,1] neg_hi:[0,1]
	scratch_store_b64 off, v[130:131], off offset:128
	s_wait_xcnt 0x0
	v_cmpx_lt_u32_e32 15, v0
	s_cbranch_execz .LBB127_367
; %bb.366:
	scratch_load_b64 v[130:131], off, off offset:120
	v_mov_b64_e32 v[132:133], 0
	scratch_store_b64 off, v[132:133], off offset:120
	s_wait_loadcnt 0x0
	ds_store_b64 v1, v[130:131]
.LBB127_367:
	s_wait_xcnt 0x0
	s_or_b32 exec_lo, exec_lo, s0
	s_wait_storecnt_dscnt 0x0
	s_barrier_signal -1
	s_barrier_wait -1
	s_clause 0x17
	scratch_load_b128 v[130:133], off, off offset:128
	scratch_load_b128 v[134:137], off, off offset:144
	;; [unrolled: 1-line block ×24, first 2 shown]
	ds_load_b128 v[226:229], v7 offset:640
	ds_load_b128 v[230:233], v7 offset:656
	;; [unrolled: 1-line block ×6, first 2 shown]
	s_set_vgpr_msb 64                       ;  msbs: dst=1 src0=0 src1=0 src2=0
	scratch_load_b64 v[66:67] /*v[322:323]*/, off, off offset:120
	s_set_vgpr_msb 0                        ;  msbs: dst=0 src0=0 src1=0 src2=0
	ds_load_b128 v[250:253], v7 offset:704
	ds_load_b128 v[254:257], v7 offset:720
	s_set_vgpr_msb 64                       ;  msbs: dst=1 src0=0 src1=0 src2=0
	ds_load_b128 v[2:5] /*v[258:261]*/, v7 offset:992
	ds_load_b128 v[6:9] /*v[262:265]*/, v7 offset:1008
	ds_load_b128 v[10:13] /*v[266:269]*/, v7 offset:736
	ds_load_b128 v[14:17] /*v[270:273]*/, v7 offset:752
	ds_load_b128 v[18:21] /*v[274:277]*/, v7 offset:768
	ds_load_b128 v[22:25] /*v[278:281]*/, v7 offset:784
	ds_load_b128 v[26:29] /*v[282:285]*/, v7 offset:800
	ds_load_b128 v[30:33] /*v[286:289]*/, v7 offset:816
	ds_load_b128 v[34:37] /*v[290:293]*/, v7 offset:832
	ds_load_b128 v[38:41] /*v[294:297]*/, v7 offset:848
	ds_load_b128 v[42:45] /*v[298:301]*/, v7 offset:864
	ds_load_b128 v[46:49] /*v[302:305]*/, v7 offset:880
	ds_load_b128 v[50:53] /*v[306:309]*/, v7 offset:896
	ds_load_b128 v[54:57] /*v[310:313]*/, v7 offset:912
	ds_load_b128 v[58:61] /*v[314:317]*/, v7 offset:928
	ds_load_b128 v[62:65] /*v[318:321]*/, v7 offset:944
	s_mov_b32 s0, exec_lo
	s_wait_dscnt 0xf
	s_set_vgpr_msb 0x41                     ;  msbs: dst=1 src0=1 src1=0 src2=0
	v_dual_mov_b32 v72 /*v328*/, v5 /*v261*/ :: v_dual_mov_b32 v73 /*v329*/, v4 /*v260*/
	s_wait_dscnt 0xe
	v_dual_mov_b32 v74 /*v330*/, v9 /*v265*/ :: v_dual_mov_b32 v75 /*v331*/, v8 /*v264*/
	s_set_vgpr_msb 64                       ;  msbs: dst=1 src0=0 src1=0 src2=0
	v_dual_mov_b32 v68 /*v324*/, v245 :: v_dual_mov_b32 v69 /*v325*/, v244
	v_dual_mov_b32 v70 /*v326*/, v249 :: v_dual_mov_b32 v71 /*v327*/, v248
	s_wait_loadcnt 0x18
	s_set_vgpr_msb 0                        ;  msbs: dst=0 src0=0 src1=0 src2=0
	v_dual_mul_f32 v7, v226, v131 :: v_dual_mul_f32 v9, v228, v133
	s_wait_loadcnt 0x17
	v_dual_mul_f32 v83, v227, v131 :: v_dual_mul_f32 v89, v233, v137
	v_dual_mul_f32 v11, v230, v135 :: v_dual_mul_f32 v13, v232, v137
	s_delay_alu instid0(VALU_DEP_3)
	v_dual_fmac_f32 v7, v227, v130 :: v_dual_fmac_f32 v9, v229, v132
	s_wait_loadcnt 0x13
	v_dual_mul_f32 v27, v254, v151 :: v_dual_mul_f32 v85, v229, v133
	v_dual_mul_f32 v87, v231, v135 :: v_dual_mul_f32 v93, v237, v141
	v_dual_mul_f32 v91, v235, v139 :: v_dual_fma_f32 v83, v226, v130, -v83
	v_add_f32_e32 v7, 0, v7
	s_delay_alu instid0(VALU_DEP_4)
	v_dual_mul_f32 v95, v239, v143 :: v_dual_fma_f32 v85, v228, v132, -v85
	v_dual_fmac_f32 v11, v231, v134 :: v_dual_fmac_f32 v13, v233, v136
	s_wait_loadcnt_dscnt 0x601
	s_set_vgpr_msb 1                        ;  msbs: dst=0 src0=1 src1=0 src2=0
	v_dual_mul_f32 v81, v60 /*v316*/, v205 :: v_dual_add_f32 v83, 0, v83
	s_set_vgpr_msb 0                        ;  msbs: dst=0 src0=0 src1=0 src2=0
	v_dual_mul_f32 v97, v241, v145 :: v_dual_fma_f32 v87, v230, v134, -v87
	v_dual_add_f32 v7, v7, v9 :: v_dual_mul_f32 v15, v234, v139
	v_mul_f32_e32 v17, v236, v141
	v_dual_add_f32 v9, v83, v85 :: v_dual_fma_f32 v85, v232, v136, -v89
	s_delay_alu instid0(VALU_DEP_3) | instskip(NEXT) | instid1(VALU_DEP_4)
	v_add_f32_e32 v7, v7, v11
	v_dual_fmac_f32 v15, v235, v138 :: v_dual_mul_f32 v19, v238, v143
	s_delay_alu instid0(VALU_DEP_3) | instskip(NEXT) | instid1(VALU_DEP_3)
	v_dual_mul_f32 v21, v240, v145 :: v_dual_add_f32 v9, v9, v87
	v_dual_fma_f32 v87, v234, v138, -v91 :: v_dual_add_f32 v7, v7, v13
	v_dual_fmac_f32 v17, v237, v140 :: v_dual_mul_f32 v13, v255, v151
	s_delay_alu instid0(VALU_DEP_3) | instskip(NEXT) | instid1(VALU_DEP_3)
	v_dual_add_f32 v9, v9, v85 :: v_dual_fma_f32 v85, v236, v140, -v93
	v_add_f32_e32 v7, v7, v15
	v_dual_fmac_f32 v19, v239, v142 :: v_dual_mul_f32 v23, v250, v147
	s_delay_alu instid0(VALU_DEP_3) | instskip(NEXT) | instid1(VALU_DEP_3)
	v_dual_mul_f32 v25, v252, v149 :: v_dual_add_f32 v9, v9, v87
	v_dual_fma_f32 v87, v238, v142, -v95 :: v_dual_add_f32 v7, v7, v17
	v_dual_mul_f32 v83, v251, v147 :: v_dual_mul_f32 v11, v253, v149
	s_delay_alu instid0(VALU_DEP_3) | instskip(NEXT) | instid1(VALU_DEP_3)
	v_dual_add_f32 v9, v9, v85 :: v_dual_fma_f32 v85, v240, v144, -v97
	v_dual_fmac_f32 v21, v241, v144 :: v_dual_add_f32 v7, v7, v19
	s_delay_alu instid0(VALU_DEP_2) | instskip(NEXT) | instid1(VALU_DEP_4)
	v_dual_fmac_f32 v23, v251, v146 :: v_dual_add_f32 v9, v9, v87
	v_fma_f32 v83, v250, v146, -v83
	s_set_vgpr_msb 1                        ;  msbs: dst=0 src0=1 src1=0 src2=0
	v_dual_mul_f32 v29, v0 /*v256*/, v153 :: v_dual_mul_f32 v31, v10 /*v266*/, v155
	s_set_vgpr_msb 0                        ;  msbs: dst=0 src0=0 src1=0 src2=0
	v_add_f32_e32 v7, v7, v21
	v_dual_add_f32 v9, v9, v85 :: v_dual_fma_f32 v11, v252, v148, -v11
	v_fmac_f32_e32 v25, v253, v148
	s_set_vgpr_msb 1                        ;  msbs: dst=0 src0=1 src1=0 src2=0
	v_dual_mul_f32 v15, v1 /*v257*/, v153 :: v_dual_mul_f32 v17, v11 /*v267*/, v155
	s_set_vgpr_msb 0                        ;  msbs: dst=0 src0=0 src1=0 src2=0
	v_add_f32_e32 v7, v7, v23
	v_dual_add_f32 v9, v9, v83 :: v_dual_fmac_f32 v27, v255, v150
	v_fma_f32 v13, v254, v150, -v13
	s_set_vgpr_msb 1                        ;  msbs: dst=0 src0=1 src1=0 src2=0
	v_dual_fmac_f32 v29, v1 /*v257*/, v152 :: v_dual_fma_f32 v15, v0 /*v256*/, v152, -v15
	s_set_vgpr_msb 0                        ;  msbs: dst=0 src0=0 src1=0 src2=0
	v_add_f32_e32 v7, v7, v25
	s_set_vgpr_msb 1                        ;  msbs: dst=0 src0=1 src1=0 src2=0
	v_dual_mul_f32 v33, v12 /*v268*/, v157 :: v_dual_mul_f32 v35, v14 /*v270*/, v159
	v_dual_mul_f32 v19, v13 /*v269*/, v157 :: v_dual_mul_f32 v21, v15 /*v271*/, v159
	s_set_vgpr_msb 0                        ;  msbs: dst=0 src0=0 src1=0 src2=0
	v_add_f32_e32 v7, v7, v27
	v_add_f32_e32 v9, v9, v11
	s_set_vgpr_msb 1                        ;  msbs: dst=0 src0=1 src1=0 src2=0
	v_dual_fmac_f32 v31, v11 /*v267*/, v154 :: v_dual_fma_f32 v17, v10 /*v266*/, v154, -v17
	v_dual_fmac_f32 v33, v13 /*v269*/, v156 :: v_dual_fma_f32 v19, v12 /*v268*/, v156, -v19
	s_set_vgpr_msb 0                        ;  msbs: dst=0 src0=0 src1=0 src2=0
	v_add_f32_e32 v7, v7, v29
	v_add_f32_e32 v9, v9, v13
	s_set_vgpr_msb 1                        ;  msbs: dst=0 src0=1 src1=0 src2=0
	v_mul_f32_e32 v13, v21 /*v277*/, v165
	v_dual_mul_f32 v37, v16 /*v272*/, v161 :: v_dual_mul_f32 v39, v18 /*v274*/, v163
	s_set_vgpr_msb 0                        ;  msbs: dst=0 src0=0 src1=0 src2=0
	v_add_f32_e32 v7, v7, v31
	v_add_f32_e32 v9, v9, v15
	s_set_vgpr_msb 1                        ;  msbs: dst=0 src0=1 src1=0 src2=0
	v_dual_mul_f32 v23, v17 /*v273*/, v161 :: v_dual_mul_f32 v11, v19 /*v275*/, v163
	v_mul_f32_e32 v15, v23 /*v279*/, v167
	v_fmac_f32_e32 v35, v15 /*v271*/, v158
	s_set_vgpr_msb 0                        ;  msbs: dst=0 src0=0 src1=0 src2=0
	v_add_f32_e32 v7, v7, v33
	v_add_f32_e32 v9, v9, v17
	s_set_vgpr_msb 1                        ;  msbs: dst=0 src0=1 src1=0 src2=0
	v_dual_mul_f32 v17, v25 /*v281*/, v169 :: v_dual_fma_f32 v21, v14 /*v270*/, v158, -v21
	v_dual_fmac_f32 v37, v17 /*v273*/, v160 :: v_dual_fma_f32 v23, v16 /*v272*/, v160, -v23
	s_set_vgpr_msb 0                        ;  msbs: dst=0 src0=0 src1=0 src2=0
	v_add_f32_e32 v7, v7, v35
	v_add_f32_e32 v9, v9, v19
	s_set_vgpr_msb 1                        ;  msbs: dst=0 src0=1 src1=0 src2=0
	v_dual_mul_f32 v41, v20 /*v276*/, v165 :: v_dual_mul_f32 v43, v22 /*v278*/, v167
	v_mul_f32_e32 v19, v27 /*v283*/, v171
	v_fmac_f32_e32 v39, v19 /*v275*/, v162
	s_set_vgpr_msb 0                        ;  msbs: dst=0 src0=0 src1=0 src2=0
	v_add_f32_e32 v7, v7, v37
	v_add_f32_e32 v9, v9, v21
	s_set_vgpr_msb 1                        ;  msbs: dst=0 src0=1 src1=0 src2=0
	v_mul_f32_e32 v21, v29 /*v285*/, v173
	v_dual_fmac_f32 v41, v21 /*v277*/, v164 :: v_dual_fmac_f32 v43, v23 /*v279*/, v166
	v_fma_f32 v13, v20 /*v276*/, v164, -v13
	s_set_vgpr_msb 0                        ;  msbs: dst=0 src0=0 src1=0 src2=0
	v_add_f32_e32 v7, v7, v39
	s_set_vgpr_msb 1                        ;  msbs: dst=0 src0=1 src1=0 src2=0
	v_dual_mul_f32 v45, v24 /*v280*/, v169 :: v_dual_mul_f32 v47, v26 /*v282*/, v171
	s_set_vgpr_msb 0                        ;  msbs: dst=0 src0=0 src1=0 src2=0
	v_add_f32_e32 v9, v9, v23
	s_set_vgpr_msb 1                        ;  msbs: dst=0 src0=1 src1=0 src2=0
	v_dual_fma_f32 v11, v18 /*v274*/, v162, -v11 :: v_dual_mul_f32 v23, v31 /*v287*/, v175
	s_set_vgpr_msb 0                        ;  msbs: dst=0 src0=0 src1=0 src2=0
	v_add_f32_e32 v7, v7, v41
	s_set_vgpr_msb 1                        ;  msbs: dst=0 src0=1 src1=0 src2=0
	v_dual_fmac_f32 v45, v25 /*v281*/, v168 :: v_dual_fmac_f32 v47, v27 /*v283*/, v170
	v_fma_f32 v17, v24 /*v280*/, v168, -v17
	v_dual_mul_f32 v49, v28 /*v284*/, v173 :: v_dual_mul_f32 v51, v30 /*v286*/, v175
	s_set_vgpr_msb 0                        ;  msbs: dst=0 src0=0 src1=0 src2=0
	v_add_f32_e32 v7, v7, v43
	v_add_f32_e32 v9, v9, v11
	s_set_vgpr_msb 1                        ;  msbs: dst=0 src0=1 src1=0 src2=0
	v_dual_mul_f32 v11, v33 /*v289*/, v177 :: v_dual_fma_f32 v15, v22 /*v278*/, v166, -v15
	v_dual_fmac_f32 v49, v29 /*v285*/, v172 :: v_dual_fmac_f32 v51, v31 /*v287*/, v174
	s_set_vgpr_msb 0                        ;  msbs: dst=0 src0=0 src1=0 src2=0
	v_add_f32_e32 v7, v7, v45
	v_add_f32_e32 v9, v9, v13
	s_set_vgpr_msb 1                        ;  msbs: dst=0 src0=1 src1=0 src2=0
	v_fma_f32 v21, v28 /*v284*/, v172, -v21
	v_dual_mul_f32 v53, v32 /*v288*/, v177 :: v_dual_mul_f32 v55, v34 /*v290*/, v179
	s_set_vgpr_msb 0                        ;  msbs: dst=0 src0=0 src1=0 src2=0
	v_add_f32_e32 v7, v7, v47
	s_set_vgpr_msb 1                        ;  msbs: dst=0 src0=1 src1=0 src2=0
	v_mul_f32_e32 v13, v35 /*v291*/, v179
	s_set_vgpr_msb 0                        ;  msbs: dst=0 src0=0 src1=0 src2=0
	v_add_f32_e32 v9, v9, v15
	s_set_vgpr_msb 1                        ;  msbs: dst=0 src0=1 src1=0 src2=0
	v_dual_mul_f32 v15, v37 /*v293*/, v181 :: v_dual_fma_f32 v19, v26 /*v282*/, v170, -v19
	s_set_vgpr_msb 0                        ;  msbs: dst=0 src0=0 src1=0 src2=0
	v_add_f32_e32 v7, v7, v49
	s_set_vgpr_msb 1                        ;  msbs: dst=0 src0=1 src1=0 src2=0
	v_dual_fmac_f32 v53, v33 /*v289*/, v176 :: v_dual_fma_f32 v11, v32 /*v288*/, v176, -v11
	s_set_vgpr_msb 0                        ;  msbs: dst=0 src0=0 src1=0 src2=0
	v_add_f32_e32 v9, v9, v17
	s_set_vgpr_msb 1                        ;  msbs: dst=0 src0=1 src1=0 src2=0
	v_dual_fmac_f32 v55, v35 /*v291*/, v178 :: v_dual_fma_f32 v13, v34 /*v290*/, v178, -v13
	s_set_vgpr_msb 0                        ;  msbs: dst=0 src0=0 src1=0 src2=0
	v_add_f32_e32 v7, v7, v51
	s_set_vgpr_msb 1                        ;  msbs: dst=0 src0=1 src1=0 src2=0
	v_dual_mul_f32 v57, v36 /*v292*/, v181 :: v_dual_mul_f32 v59, v38 /*v294*/, v183
	v_mul_f32_e32 v17, v39 /*v295*/, v183
	s_set_vgpr_msb 0                        ;  msbs: dst=0 src0=0 src1=0 src2=0
	v_dual_add_f32 v9, v9, v19 :: v_dual_add_f32 v7, v7, v53
	s_set_vgpr_msb 1                        ;  msbs: dst=0 src0=1 src1=0 src2=0
	v_dual_mul_f32 v19, v41 /*v297*/, v185 :: v_dual_fma_f32 v23, v30 /*v286*/, v174, -v23
	v_dual_fmac_f32 v57, v37 /*v293*/, v180 :: v_dual_fma_f32 v15, v36 /*v292*/, v180, -v15
	s_set_vgpr_msb 0                        ;  msbs: dst=0 src0=0 src1=0 src2=0
	v_add_f32_e32 v9, v9, v21
	s_set_vgpr_msb 1                        ;  msbs: dst=0 src0=1 src1=0 src2=0
	v_dual_fmac_f32 v59, v39 /*v295*/, v182 :: v_dual_fma_f32 v17, v38 /*v294*/, v182, -v17
	s_set_vgpr_msb 0                        ;  msbs: dst=0 src0=0 src1=0 src2=0
	v_add_f32_e32 v7, v7, v55
	s_set_vgpr_msb 1                        ;  msbs: dst=0 src0=1 src1=0 src2=0
	v_dual_mul_f32 v61, v40 /*v296*/, v185 :: v_dual_mul_f32 v63, v42 /*v298*/, v187
	v_mul_f32_e32 v21, v43 /*v299*/, v187
	s_set_vgpr_msb 0                        ;  msbs: dst=0 src0=0 src1=0 src2=0
	v_dual_add_f32 v9, v9, v23 :: v_dual_add_f32 v7, v7, v57
	s_set_vgpr_msb 1                        ;  msbs: dst=0 src0=1 src1=0 src2=0
	v_dual_fmac_f32 v61, v41 /*v297*/, v184 :: v_dual_fma_f32 v19, v40 /*v296*/, v184, -v19
	v_dual_fmac_f32 v63, v43 /*v299*/, v186 :: v_dual_fma_f32 v21, v42 /*v298*/, v186, -v21
	s_set_vgpr_msb 0                        ;  msbs: dst=0 src0=0 src1=0 src2=0
	v_add_f32_e32 v7, v7, v59
	s_set_vgpr_msb 1                        ;  msbs: dst=0 src0=1 src1=0 src2=0
	v_dual_mul_f32 v65, v44 /*v300*/, v189 :: v_dual_mul_f32 v67, v46 /*v302*/, v191
	s_set_vgpr_msb 0                        ;  msbs: dst=0 src0=0 src1=0 src2=0
	v_add_f32_e32 v9, v9, v11
	s_set_vgpr_msb 1                        ;  msbs: dst=0 src0=1 src1=0 src2=0
	v_dual_mul_f32 v23, v45 /*v301*/, v189 :: v_dual_mul_f32 v11, v47 /*v303*/, v191
	s_set_vgpr_msb 0                        ;  msbs: dst=0 src0=0 src1=0 src2=0
	v_add_f32_e32 v7, v7, v61
	s_set_vgpr_msb 1                        ;  msbs: dst=0 src0=1 src1=0 src2=0
	v_fmac_f32_e32 v65, v45 /*v301*/, v188
	s_set_vgpr_msb 0                        ;  msbs: dst=0 src0=0 src1=0 src2=0
	v_add_f32_e32 v9, v9, v13
	s_set_vgpr_msb 1                        ;  msbs: dst=0 src0=1 src1=0 src2=0
	v_dual_mul_f32 v69, v48 /*v304*/, v193 :: v_dual_mul_f32 v71, v50 /*v306*/, v195
	s_set_vgpr_msb 0                        ;  msbs: dst=0 src0=0 src1=0 src2=0
	v_add_f32_e32 v7, v7, v63
	s_set_vgpr_msb 1                        ;  msbs: dst=0 src0=1 src1=0 src2=0
	v_fma_f32 v23, v44 /*v300*/, v188, -v23
	s_set_vgpr_msb 0                        ;  msbs: dst=0 src0=0 src1=0 src2=0
	v_add_f32_e32 v9, v9, v15
	s_set_vgpr_msb 1                        ;  msbs: dst=0 src0=1 src1=0 src2=0
	v_dual_fmac_f32 v67, v47 /*v303*/, v190 :: v_dual_fmac_f32 v69, v49 /*v305*/, v192
	s_set_vgpr_msb 0                        ;  msbs: dst=0 src0=0 src1=0 src2=0
	v_add_f32_e32 v7, v7, v65
	s_set_vgpr_msb 1                        ;  msbs: dst=0 src0=1 src1=0 src2=0
	v_dual_mul_f32 v73, v52 /*v308*/, v197 :: v_dual_mul_f32 v75, v54 /*v310*/, v199
	s_set_vgpr_msb 0                        ;  msbs: dst=0 src0=0 src1=0 src2=0
	v_add_f32_e32 v9, v9, v17
	s_set_vgpr_msb 1                        ;  msbs: dst=0 src0=1 src1=0 src2=0
	v_fmac_f32_e32 v71, v51 /*v307*/, v194
	s_set_vgpr_msb 0                        ;  msbs: dst=0 src0=0 src1=0 src2=0
	v_add_f32_e32 v7, v7, v67
	s_set_vgpr_msb 1                        ;  msbs: dst=0 src0=1 src1=0 src2=0
	v_dual_fmac_f32 v73, v53 /*v309*/, v196 :: v_dual_mul_f32 v77, v56 /*v312*/, v201
	v_mul_f32_e32 v79, v58 /*v314*/, v203
	s_set_vgpr_msb 0                        ;  msbs: dst=0 src0=0 src1=0 src2=0
	v_dual_add_f32 v9, v9, v19 :: v_dual_add_f32 v7, v7, v69
	s_set_vgpr_msb 1                        ;  msbs: dst=0 src0=1 src1=0 src2=0
	v_dual_mul_f32 v13, v49 /*v305*/, v193 :: v_dual_mul_f32 v15, v51 /*v307*/, v195
	v_fma_f32 v11, v46 /*v302*/, v190, -v11
	s_set_vgpr_msb 0                        ;  msbs: dst=0 src0=0 src1=0 src2=0
	v_dual_add_f32 v9, v9, v21 :: v_dual_add_f32 v7, v7, v71
	s_wait_loadcnt 0x4
	v_mov_b32_e32 v132, v213
	s_set_vgpr_msb 1                        ;  msbs: dst=0 src0=1 src1=0 src2=0
	v_dual_mul_f32 v21, v57 /*v313*/, v201 :: v_dual_fmac_f32 v75, v55 /*v311*/, v198
	v_fmac_f32_e32 v77, v57 /*v313*/, v200
	s_set_vgpr_msb 0                        ;  msbs: dst=0 src0=0 src1=0 src2=0
	v_dual_add_f32 v9, v9, v23 :: v_dual_add_f32 v7, v7, v73
	s_set_vgpr_msb 1                        ;  msbs: dst=0 src0=1 src1=0 src2=0
	v_dual_mul_f32 v23, v59 /*v315*/, v203 :: v_dual_fma_f32 v13, v48 /*v304*/, v192, -v13
	v_dual_mul_f32 v17, v53 /*v309*/, v197 :: v_dual_mul_f32 v19, v55 /*v311*/, v199
	s_set_vgpr_msb 0                        ;  msbs: dst=0 src0=0 src1=0 src2=0
	v_add_f32_e32 v7, v7, v75
	v_add_f32_e32 v9, v9, v11
	s_set_vgpr_msb 1                        ;  msbs: dst=0 src0=1 src1=0 src2=0
	v_dual_mul_f32 v11, v61 /*v317*/, v205 :: v_dual_fma_f32 v15, v50 /*v306*/, v194, -v15
	v_dual_fmac_f32 v79, v59 /*v315*/, v202 :: v_dual_fmac_f32 v81, v61 /*v317*/, v204
	s_set_vgpr_msb 0                        ;  msbs: dst=0 src0=0 src1=0 src2=0
	v_add_f32_e32 v7, v7, v77
	v_add_f32_e32 v9, v9, v13
	s_wait_dscnt 0x0
	s_set_vgpr_msb 1                        ;  msbs: dst=0 src0=1 src1=0 src2=0
	v_dual_mul_f32 v13, v63 /*v319*/, v207 :: v_dual_fma_f32 v17, v52 /*v308*/, v196, -v17
	s_wait_loadcnt 0x3
	s_set_vgpr_msb 0                        ;  msbs: dst=0 src0=0 src1=0 src2=0
	v_dual_mov_b32 v136, v217 :: v_dual_add_f32 v7, v7, v79
	v_add_f32_e32 v9, v9, v15
	s_set_vgpr_msb 1                        ;  msbs: dst=0 src0=1 src1=0 src2=0
	v_dual_mul_f32 v15, v65 /*v321*/, v209 :: v_dual_fma_f32 v19, v54 /*v310*/, v198, -v19
	s_set_vgpr_msb 0x41                     ;  msbs: dst=1 src0=1 src1=0 src2=0
	v_dual_mul_f32 v77 /*v333*/, v62 /*v318*/, v207 :: v_dual_mul_f32 v79 /*v335*/, v64 /*v320*/, v209
	s_set_vgpr_msb 0                        ;  msbs: dst=0 src0=0 src1=0 src2=0
	v_add_f32_e32 v139, v7, v81
	v_add_f32_e32 v9, v9, v17
	s_set_vgpr_msb 1                        ;  msbs: dst=0 src0=1 src1=0 src2=0
	v_fma_f32 v17, v56 /*v312*/, v200, -v21
	v_fma_f32 v11, v60 /*v316*/, v204, -v11
	s_set_vgpr_msb 0                        ;  msbs: dst=0 src0=0 src1=0 src2=0
	v_pk_mul_f32 v[130:131], v[242:243], v[210:211] op_sel:[1,1] op_sel_hi:[0,1]
	s_set_vgpr_msb 0x41                     ;  msbs: dst=1 src0=1 src1=0 src2=0
	v_dual_fmac_f32 v77 /*v333*/, v63 /*v319*/, v206 :: v_dual_fmac_f32 v79 /*v335*/, v65 /*v321*/, v208
	s_set_vgpr_msb 0                        ;  msbs: dst=0 src0=0 src1=0 src2=0
	v_add_f32_e32 v9, v9, v19
	s_set_vgpr_msb 1                        ;  msbs: dst=0 src0=1 src1=0 src2=0
	v_fma_f32 v19, v58 /*v314*/, v202, -v23
	s_set_vgpr_msb 0x41                     ;  msbs: dst=1 src0=1 src1=0 src2=0
	v_dual_fma_f32 v76 /*v332*/, v62 /*v318*/, v206, -v13 :: v_dual_fma_f32 v78 /*v334*/, v64 /*v320*/, v208, -v15
	s_set_vgpr_msb 0                        ;  msbs: dst=0 src0=0 src1=0 src2=0
	v_pk_fma_f32 v[140:141], v[242:243], v[210:211], v[130:131] op_sel_hi:[1,0,1]
	v_add_f32_e32 v9, v9, v17
	s_set_vgpr_msb 1                        ;  msbs: dst=0 src0=1 src1=0 src2=0
	v_pk_mul_f32 v[132:133], v[68:69] /*v[324:325]*/, v[132:133] op_sel_hi:[1,0]
	s_set_vgpr_msb 0                        ;  msbs: dst=0 src0=0 src1=0 src2=0
	v_pk_fma_f32 v[130:131], v[242:243], v[210:211], v[130:131] neg_lo:[0,0,1] neg_hi:[0,0,1]
	v_pk_mul_f32 v[134:135], v[246:247], v[214:215] op_sel:[1,1] op_sel_hi:[0,1]
	v_mov_b32_e32 v131, v141
	v_add_f32_e32 v9, v9, v19
	v_pk_fma_f32 v[140:141], v[244:245], v[212:213], v[132:133] op_sel_hi:[1,0,1]
	v_pk_fma_f32 v[132:133], v[244:245], v[212:213], v[132:133] neg_lo:[0,0,1] neg_hi:[0,0,1]
	v_pk_fma_f32 v[144:145], v[246:247], v[214:215], v[134:135] op_sel_hi:[1,0,1]
	s_set_vgpr_msb 1                        ;  msbs: dst=0 src0=1 src1=0 src2=0
	v_pk_mul_f32 v[136:137], v[70:71] /*v[326:327]*/, v[136:137] op_sel_hi:[1,0]
	s_set_vgpr_msb 0                        ;  msbs: dst=0 src0=0 src1=0 src2=0
	v_add_f32_e32 v138, v9, v11
	v_mov_b32_e32 v133, v141
	s_wait_loadcnt 0x2
	s_set_vgpr_msb 1                        ;  msbs: dst=0 src0=1 src1=0 src2=0
	v_pk_mul_f32 v[142:143], v[2:3] /*v[258:259]*/, v[218:219] op_sel:[1,1] op_sel_hi:[0,1]
	s_set_vgpr_msb 0                        ;  msbs: dst=0 src0=0 src1=0 src2=0
	v_pk_fma_f32 v[134:135], v[246:247], v[214:215], v[134:135] neg_lo:[0,0,1] neg_hi:[0,0,1]
	v_mov_b32_e32 v135, v145
	s_set_vgpr_msb 4                        ;  msbs: dst=0 src0=0 src1=1 src2=0
	v_pk_add_f32 v[138:139], v[138:139], v[76:77] /*v[332:333]*/
	s_set_vgpr_msb 0                        ;  msbs: dst=0 src0=0 src1=0 src2=0
	v_pk_fma_f32 v[140:141], v[248:249], v[216:217], v[136:137] op_sel_hi:[1,0,1]
	v_pk_fma_f32 v[136:137], v[248:249], v[216:217], v[136:137] neg_lo:[0,0,1] neg_hi:[0,0,1]
	s_set_vgpr_msb 4                        ;  msbs: dst=0 src0=0 src1=1 src2=0
	v_pk_add_f32 v[138:139], v[138:139], v[78:79] /*v[334:335]*/
	s_set_vgpr_msb 0                        ;  msbs: dst=0 src0=0 src1=0 src2=0
	s_delay_alu instid0(VALU_DEP_1) | instskip(SKIP_1) | instid1(VALU_DEP_2)
	v_pk_add_f32 v[130:131], v[138:139], v[130:131]
	v_mov_b32_e32 v138, v221
	v_pk_add_f32 v[130:131], v[130:131], v[132:133]
	s_set_vgpr_msb 1                        ;  msbs: dst=0 src0=1 src1=0 src2=0
	v_pk_fma_f32 v[132:133], v[2:3] /*v[258:259]*/, v[218:219], v[142:143] op_sel_hi:[1,0,1]
	s_delay_alu instid0(VALU_DEP_3)
	v_pk_mul_f32 v[138:139], v[72:73] /*v[328:329]*/, v[138:139] op_sel_hi:[1,0]
	s_set_vgpr_msb 0                        ;  msbs: dst=0 src0=0 src1=0 src2=0
	v_mov_b32_e32 v137, v141
	s_set_vgpr_msb 1                        ;  msbs: dst=0 src0=1 src1=0 src2=0
	v_pk_fma_f32 v[140:141], v[2:3] /*v[258:259]*/, v[218:219], v[142:143] neg_lo:[0,0,1] neg_hi:[0,0,1]
	s_set_vgpr_msb 0                        ;  msbs: dst=0 src0=0 src1=0 src2=0
	v_pk_add_f32 v[130:131], v[130:131], v[134:135]
	v_mov_b32_e32 v141, v133
	s_set_vgpr_msb 1                        ;  msbs: dst=0 src0=1 src1=0 src2=0
	v_pk_fma_f32 v[132:133], v[4:5] /*v[260:261]*/, v[220:221], v[138:139] op_sel_hi:[1,0,1]
	s_wait_loadcnt 0x1
	v_pk_mul_f32 v[134:135], v[6:7] /*v[262:263]*/, v[222:223] op_sel:[1,1] op_sel_hi:[0,1]
	s_set_vgpr_msb 0                        ;  msbs: dst=0 src0=0 src1=0 src2=0
	v_mov_b32_e32 v132, v225
	v_pk_add_f32 v[130:131], v[130:131], v[136:137]
	s_set_vgpr_msb 1                        ;  msbs: dst=0 src0=1 src1=0 src2=0
	v_pk_fma_f32 v[138:139], v[4:5] /*v[260:261]*/, v[220:221], v[138:139] neg_lo:[0,0,1] neg_hi:[0,0,1]
	s_set_vgpr_msb 0                        ;  msbs: dst=0 src0=0 src1=0 src2=0
	v_mov_b32_e32 v139, v133
	s_set_vgpr_msb 1                        ;  msbs: dst=0 src0=1 src1=0 src2=0
	v_pk_fma_f32 v[136:137], v[6:7] /*v[262:263]*/, v[222:223], v[134:135] op_sel_hi:[1,0,1]
	v_pk_mul_f32 v[132:133], v[74:75] /*v[330:331]*/, v[132:133] op_sel_hi:[1,0]
	s_set_vgpr_msb 0                        ;  msbs: dst=0 src0=0 src1=0 src2=0
	v_pk_add_f32 v[130:131], v[130:131], v[140:141]
	s_set_vgpr_msb 1                        ;  msbs: dst=0 src0=1 src1=0 src2=0
	v_pk_fma_f32 v[134:135], v[6:7] /*v[262:263]*/, v[222:223], v[134:135] neg_lo:[0,0,1] neg_hi:[0,0,1]
	s_set_vgpr_msb 0                        ;  msbs: dst=0 src0=0 src1=0 src2=0
	v_mov_b32_e32 v135, v137
	s_set_vgpr_msb 1                        ;  msbs: dst=0 src0=1 src1=0 src2=0
	v_pk_fma_f32 v[136:137], v[8:9] /*v[264:265]*/, v[224:225], v[132:133] op_sel_hi:[1,0,1]
	s_set_vgpr_msb 0                        ;  msbs: dst=0 src0=0 src1=0 src2=0
	v_pk_add_f32 v[130:131], v[130:131], v[138:139]
	s_set_vgpr_msb 1                        ;  msbs: dst=0 src0=1 src1=0 src2=0
	v_pk_fma_f32 v[132:133], v[8:9] /*v[264:265]*/, v[224:225], v[132:133] neg_lo:[0,0,1] neg_hi:[0,0,1]
	s_set_vgpr_msb 0                        ;  msbs: dst=0 src0=0 src1=0 src2=0
	v_mov_b32_e32 v133, v137
	v_pk_add_f32 v[130:131], v[130:131], v[134:135]
	s_delay_alu instid0(VALU_DEP_1) | instskip(SKIP_2) | instid1(VALU_DEP_1)
	v_pk_add_f32 v[130:131], v[130:131], v[132:133]
	s_wait_loadcnt 0x0
	s_set_vgpr_msb 1                        ;  msbs: dst=0 src0=1 src1=0 src2=0
	v_pk_add_f32 v[130:131], v[66:67] /*v[322:323]*/, v[130:131] neg_lo:[0,1] neg_hi:[0,1]
	scratch_store_b64 off, v[130:131], off offset:120
	s_wait_xcnt 0x0
	v_cmpx_lt_u32_e32 14, v0
	s_set_vgpr_msb 0                        ;  msbs: dst=0 src0=0 src1=0 src2=0
	s_cbranch_execz .LBB127_369
; %bb.368:
	scratch_load_b64 v[130:131], off, off offset:112
	v_mov_b64_e32 v[132:133], 0
	scratch_store_b64 off, v[132:133], off offset:112
	s_wait_loadcnt 0x0
	ds_store_b64 v1, v[130:131]
.LBB127_369:
	s_wait_xcnt 0x0
	s_or_b32 exec_lo, exec_lo, s0
	s_wait_storecnt_dscnt 0x0
	s_barrier_signal -1
	s_barrier_wait -1
	s_clause 0x1a
	scratch_load_b128 v[130:133], off, off offset:120
	scratch_load_b128 v[134:137], off, off offset:136
	;; [unrolled: 1-line block ×24, first 2 shown]
	s_set_vgpr_msb 64                       ;  msbs: dst=1 src0=0 src1=0 src2=0
	scratch_load_b64 v[66:67] /*v[322:323]*/, off, off offset:504
	scratch_load_b64 v[68:69] /*v[324:325]*/, off, off offset:112
	s_set_vgpr_msb 0                        ;  msbs: dst=0 src0=0 src1=0 src2=0
	v_mov_b32_e32 v7, 0
	ds_load_2addr_b64 v[226:229], v7 offset0:79 offset1:80
	ds_load_2addr_b64 v[230:233], v7 offset0:81 offset1:82
	;; [unrolled: 1-line block ×8, first 2 shown]
	s_set_vgpr_msb 64                       ;  msbs: dst=1 src0=0 src1=0 src2=0
	ds_load_2addr_b64 v[2:5] /*v[258:261]*/, v7 offset0:123 offset1:124
	ds_load_2addr_b64 v[6:9] /*v[262:265]*/, v7 offset0:91 offset1:92
	;; [unrolled: 1-line block ×16, first 2 shown]
	ds_load_b64 v[70:71] /*v[326:327]*/, v7 offset:1016
	s_wait_dscnt 0x14
	v_dual_mov_b32 v72 /*v328*/, v245 :: v_dual_mov_b32 v73 /*v329*/, v244
	s_wait_dscnt 0x11
	s_set_vgpr_msb 0x41                     ;  msbs: dst=1 src0=1 src1=0 src2=0
	v_dual_mov_b32 v74 /*v330*/, v1 /*v257*/ :: v_dual_mov_b32 v75 /*v331*/, v0 /*v256*/
	s_wait_dscnt 0x10
	v_dual_mov_b32 v76 /*v332*/, v5 /*v261*/ :: v_dual_mov_b32 v77 /*v333*/, v4 /*v260*/
	s_wait_dscnt 0xd
	v_dual_mov_b32 v78 /*v334*/, v17 /*v273*/ :: v_dual_mov_b32 v79 /*v335*/, v16 /*v272*/
	s_mov_b32 s0, exec_lo
	s_wait_loadcnt 0x19
	s_set_vgpr_msb 0                        ;  msbs: dst=0 src0=0 src1=0 src2=0
	v_dual_mul_f32 v9, v226, v131 :: v_dual_mul_f32 v87, v227, v131
	s_wait_loadcnt 0x18
	v_dual_mul_f32 v11, v228, v133 :: v_dual_mul_f32 v13, v230, v135
	v_dual_mul_f32 v89, v229, v133 :: v_dual_mul_f32 v91, v231, v135
	s_wait_loadcnt 0x14
	v_dual_mul_f32 v31, v252, v153 :: v_dual_fmac_f32 v9, v227, v130
	v_dual_fma_f32 v87, v226, v130, -v87 :: v_dual_mul_f32 v101, v241, v145
	s_delay_alu instid0(VALU_DEP_3) | instskip(SKIP_1) | instid1(VALU_DEP_3)
	v_dual_fma_f32 v89, v228, v132, -v89 :: v_dual_fmac_f32 v11, v229, v132
	v_dual_mul_f32 v15, v232, v137 :: v_dual_mul_f32 v17, v234, v139
	v_dual_add_f32 v87, 0, v87 :: v_dual_add_f32 v9, 0, v9
	v_dual_mul_f32 v93, v233, v137 :: v_dual_mul_f32 v95, v235, v139
	v_dual_mul_f32 v103, v247, v147 :: v_dual_fma_f32 v91, v230, v134, -v91
	s_wait_loadcnt_dscnt 0x601
	s_set_vgpr_msb 1                        ;  msbs: dst=0 src0=1 src1=0 src2=0
	v_mul_f32_e32 v85, v62 /*v318*/, v207
	s_set_vgpr_msb 0                        ;  msbs: dst=0 src0=0 src1=0 src2=0
	v_dual_fmac_f32 v13, v231, v134 :: v_dual_add_f32 v9, v9, v11
	v_dual_add_f32 v11, v87, v89 :: v_dual_fmac_f32 v15, v233, v136
	v_dual_mul_f32 v87, v249, v149 :: v_dual_fma_f32 v89, v232, v136, -v93
	s_delay_alu instid0(VALU_DEP_2) | instskip(SKIP_3) | instid1(VALU_DEP_4)
	v_dual_add_f32 v9, v9, v13 :: v_dual_add_f32 v11, v11, v91
	v_dual_mul_f32 v19, v236, v141 :: v_dual_mul_f32 v21, v238, v143
	v_dual_mul_f32 v97, v237, v141 :: v_dual_mul_f32 v99, v239, v143
	v_dual_mul_f32 v13, v251, v151 :: v_dual_fma_f32 v91, v234, v138, -v95
	v_dual_fmac_f32 v17, v235, v138 :: v_dual_add_f32 v9, v9, v15
	s_delay_alu instid0(VALU_DEP_4) | instskip(NEXT) | instid1(VALU_DEP_4)
	v_dual_add_f32 v11, v11, v89 :: v_dual_fmac_f32 v19, v237, v140
	v_dual_mul_f32 v15, v253, v153 :: v_dual_fma_f32 v89, v236, v140, -v97
	s_delay_alu instid0(VALU_DEP_2) | instskip(SKIP_2) | instid1(VALU_DEP_3)
	v_dual_add_f32 v9, v9, v17 :: v_dual_add_f32 v11, v11, v91
	v_dual_mul_f32 v23, v240, v145 :: v_dual_mul_f32 v25, v246, v147
	v_dual_fmac_f32 v21, v239, v142 :: v_dual_fma_f32 v91, v238, v142, -v99
	v_dual_add_f32 v9, v9, v19 :: v_dual_add_f32 v11, v11, v89
	s_delay_alu instid0(VALU_DEP_3) | instskip(SKIP_1) | instid1(VALU_DEP_3)
	v_dual_fmac_f32 v23, v241, v144 :: v_dual_fma_f32 v89, v240, v144, -v101
	v_dual_mul_f32 v27, v248, v149 :: v_dual_mul_f32 v29, v250, v151
	v_dual_add_f32 v9, v9, v21 :: v_dual_add_f32 v11, v11, v91
	v_dual_fmac_f32 v25, v247, v146 :: v_dual_fma_f32 v91, v246, v146, -v103
	s_set_vgpr_msb 1                        ;  msbs: dst=0 src0=1 src1=0 src2=0
	v_dual_mul_f32 v33, v6 /*v262*/, v155 :: v_dual_mul_f32 v35, v8 /*v264*/, v157
	s_set_vgpr_msb 0                        ;  msbs: dst=0 src0=0 src1=0 src2=0
	v_dual_add_f32 v9, v9, v23 :: v_dual_add_f32 v11, v11, v89
	v_fmac_f32_e32 v27, v249, v148
	v_fma_f32 v87, v248, v148, -v87
	s_set_vgpr_msb 1                        ;  msbs: dst=0 src0=1 src1=0 src2=0
	v_dual_mul_f32 v17, v7 /*v263*/, v155 :: v_dual_mul_f32 v19, v9 /*v265*/, v157
	s_set_vgpr_msb 0                        ;  msbs: dst=0 src0=0 src1=0 src2=0
	v_dual_add_f32 v9, v9, v25 :: v_dual_add_f32 v11, v11, v91
	v_fmac_f32_e32 v29, v251, v150
	v_fma_f32 v13, v250, v150, -v13
	s_set_vgpr_msb 1                        ;  msbs: dst=0 src0=1 src1=0 src2=0
	v_fmac_f32_e32 v33, v7 /*v263*/, v154
	s_set_vgpr_msb 0                        ;  msbs: dst=0 src0=0 src1=0 src2=0
	v_add_f32_e32 v9, v9, v27
	v_dual_add_f32 v11, v11, v87 :: v_dual_fmac_f32 v31, v253, v152
	v_fma_f32 v15, v252, v152, -v15
	s_set_vgpr_msb 1                        ;  msbs: dst=0 src0=1 src1=0 src2=0
	v_fma_f32 v17, v6 /*v262*/, v154, -v17
	s_set_vgpr_msb 0                        ;  msbs: dst=0 src0=0 src1=0 src2=0
	v_add_f32_e32 v9, v9, v29
	v_add_f32_e32 v11, v11, v13
	s_set_vgpr_msb 1                        ;  msbs: dst=0 src0=1 src1=0 src2=0
	v_mul_f32_e32 v13, v23 /*v279*/, v167
	v_dual_mul_f32 v37, v10 /*v266*/, v159 :: v_dual_mul_f32 v39, v12 /*v268*/, v161
	v_dual_mul_f32 v21, v11 /*v267*/, v159 :: v_dual_mul_f32 v23, v13 /*v269*/, v161
	s_set_vgpr_msb 0                        ;  msbs: dst=0 src0=0 src1=0 src2=0
	v_add_f32_e32 v11, v11, v15
	v_add_f32_e32 v9, v9, v31
	s_set_vgpr_msb 1                        ;  msbs: dst=0 src0=1 src1=0 src2=0
	v_mul_f32_e32 v15, v25 /*v281*/, v169
	v_fmac_f32_e32 v35, v9 /*v265*/, v156
	v_dual_fma_f32 v19, v8 /*v264*/, v156, -v19 :: v_dual_fmac_f32 v37, v11 /*v267*/, v158
	s_set_vgpr_msb 0                        ;  msbs: dst=0 src0=0 src1=0 src2=0
	v_add_f32_e32 v11, v11, v17
	v_add_f32_e32 v9, v9, v33
	s_set_vgpr_msb 1                        ;  msbs: dst=0 src0=1 src1=0 src2=0
	v_dual_mul_f32 v17, v27 /*v283*/, v171 :: v_dual_fma_f32 v21, v10 /*v266*/, v158, -v21
	v_dual_mul_f32 v41, v18 /*v274*/, v163 :: v_dual_mul_f32 v43, v20 /*v276*/, v165
	s_set_vgpr_msb 0                        ;  msbs: dst=0 src0=0 src1=0 src2=0
	v_add_f32_e32 v11, v11, v19
	s_set_vgpr_msb 1                        ;  msbs: dst=0 src0=1 src1=0 src2=0
	v_mul_f32_e32 v19, v29 /*v285*/, v173
	s_set_vgpr_msb 0                        ;  msbs: dst=0 src0=0 src1=0 src2=0
	v_add_f32_e32 v9, v9, v35
	s_set_vgpr_msb 1                        ;  msbs: dst=0 src0=1 src1=0 src2=0
	v_dual_mul_f32 v25, v19 /*v275*/, v163 :: v_dual_mul_f32 v27, v21 /*v277*/, v165
	v_fmac_f32_e32 v39, v13 /*v269*/, v160
	v_dual_fma_f32 v23, v12 /*v268*/, v160, -v23 :: v_dual_fmac_f32 v41, v19 /*v275*/, v162
	s_set_vgpr_msb 0                        ;  msbs: dst=0 src0=0 src1=0 src2=0
	v_add_f32_e32 v11, v11, v21
	v_add_f32_e32 v9, v9, v37
	s_set_vgpr_msb 1                        ;  msbs: dst=0 src0=1 src1=0 src2=0
	v_dual_mul_f32 v21, v31 /*v287*/, v175 :: v_dual_fma_f32 v25, v18 /*v274*/, v162, -v25
	v_dual_mul_f32 v45, v22 /*v278*/, v167 :: v_dual_mul_f32 v47, v24 /*v280*/, v169
	s_set_vgpr_msb 0                        ;  msbs: dst=0 src0=0 src1=0 src2=0
	v_add_f32_e32 v11, v11, v23
	s_set_vgpr_msb 1                        ;  msbs: dst=0 src0=1 src1=0 src2=0
	v_mul_f32_e32 v23, v33 /*v289*/, v177
	s_set_vgpr_msb 0                        ;  msbs: dst=0 src0=0 src1=0 src2=0
	v_add_f32_e32 v9, v9, v39
	s_set_vgpr_msb 1                        ;  msbs: dst=0 src0=1 src1=0 src2=0
	v_fmac_f32_e32 v43, v21 /*v277*/, v164
	v_dual_fma_f32 v27, v20 /*v276*/, v164, -v27 :: v_dual_fmac_f32 v45, v23 /*v279*/, v166
	s_set_vgpr_msb 0                        ;  msbs: dst=0 src0=0 src1=0 src2=0
	v_add_f32_e32 v11, v11, v25
	v_add_f32_e32 v9, v9, v41
	s_set_vgpr_msb 1                        ;  msbs: dst=0 src0=1 src1=0 src2=0
	v_dual_mul_f32 v25, v35 /*v291*/, v179 :: v_dual_fma_f32 v13, v22 /*v278*/, v166, -v13
	v_dual_mul_f32 v49, v26 /*v282*/, v171 :: v_dual_mul_f32 v51, v28 /*v284*/, v173
	s_set_vgpr_msb 0                        ;  msbs: dst=0 src0=0 src1=0 src2=0
	v_add_f32_e32 v11, v11, v27
	s_set_vgpr_msb 1                        ;  msbs: dst=0 src0=1 src1=0 src2=0
	v_mul_f32_e32 v27, v37 /*v293*/, v181
	s_set_vgpr_msb 0                        ;  msbs: dst=0 src0=0 src1=0 src2=0
	v_add_f32_e32 v9, v9, v43
	s_set_vgpr_msb 1                        ;  msbs: dst=0 src0=1 src1=0 src2=0
	;; [unrolled: 15-line block ×9, first 2 shown]
	v_dual_fmac_f32 v75, v53 /*v309*/, v196 :: v_dual_fmac_f32 v77, v55 /*v311*/, v198
	v_dual_fma_f32 v27, v52 /*v308*/, v196, -v27 :: v_dual_fma_f32 v13, v54 /*v310*/, v198, -v13
	s_set_vgpr_msb 0                        ;  msbs: dst=0 src0=0 src1=0 src2=0
	v_add_f32_e32 v11, v11, v25
	v_add_f32_e32 v9, v9, v73
	s_set_vgpr_msb 1                        ;  msbs: dst=0 src0=1 src1=0 src2=0
	v_dual_mul_f32 v81, v58 /*v314*/, v203 :: v_dual_mul_f32 v83, v60 /*v316*/, v205
	v_fmac_f32_e32 v79, v57 /*v313*/, v200
	s_set_vgpr_msb 0                        ;  msbs: dst=0 src0=0 src1=0 src2=0
	v_add_f32_e32 v11, v11, v27
	v_add_f32_e32 v9, v9, v75
	s_set_vgpr_msb 1                        ;  msbs: dst=0 src0=1 src1=0 src2=0
	v_dual_fma_f32 v15, v56 /*v312*/, v200, -v15 :: v_dual_fmac_f32 v81, v59 /*v315*/, v202
	s_wait_loadcnt 0x4
	s_set_vgpr_msb 0                        ;  msbs: dst=0 src0=0 src1=0 src2=0
	v_dual_mov_b32 v134, v217 :: v_dual_add_f32 v11, v11, v13
	v_add_f32_e32 v9, v9, v77
	s_set_vgpr_msb 1                        ;  msbs: dst=0 src0=1 src1=0 src2=0
	v_fma_f32 v13, v58 /*v314*/, v202, -v17
	s_set_vgpr_msb 0                        ;  msbs: dst=0 src0=0 src1=0 src2=0
	v_dual_mul_f32 v25, v243, v211 :: v_dual_mov_b32 v130, v213
	v_add_f32_e32 v11, v11, v15
	v_add_f32_e32 v9, v9, v79
	s_set_vgpr_msb 1                        ;  msbs: dst=0 src0=1 src1=0 src2=0
	v_dual_fmac_f32 v83, v61 /*v317*/, v204 :: v_dual_fmac_f32 v85, v63 /*v319*/, v206
	v_fma_f32 v15, v60 /*v316*/, v204, -v19
	s_set_vgpr_msb 0                        ;  msbs: dst=0 src0=0 src1=0 src2=0
	v_add_f32_e32 v11, v11, v13
	s_set_vgpr_msb 1                        ;  msbs: dst=0 src0=1 src1=0 src2=0
	v_fma_f32 v13, v62 /*v318*/, v206, -v21
	s_set_vgpr_msb 0                        ;  msbs: dst=0 src0=0 src1=0 src2=0
	v_add_f32_e32 v9, v9, v81
	s_set_vgpr_msb 0x41                     ;  msbs: dst=1 src0=1 src1=0 src2=0
	v_dual_mul_f32 v81 /*v337*/, v64 /*v320*/, v209 :: v_dual_fma_f32 v80 /*v336*/, v64 /*v320*/, v208, -v23
	s_set_vgpr_msb 0                        ;  msbs: dst=0 src0=0 src1=0 src2=0
	v_add_f32_e32 v11, v11, v15
	s_set_vgpr_msb 1                        ;  msbs: dst=0 src0=1 src1=0 src2=0
	v_pk_mul_f32 v[130:131], v[72:73] /*v[328:329]*/, v[130:131] op_sel_hi:[1,0]
	s_set_vgpr_msb 0                        ;  msbs: dst=0 src0=0 src1=0 src2=0
	v_add_f32_e32 v9, v9, v83
	s_set_vgpr_msb 64                       ;  msbs: dst=1 src0=0 src1=0 src2=0
	v_dual_mul_f32 v83 /*v339*/, v242, v211 :: v_dual_fma_f32 v82 /*v338*/, v242, v210, -v25
	s_set_vgpr_msb 0x41                     ;  msbs: dst=1 src0=1 src1=0 src2=0
	v_fmac_f32_e32 v81 /*v337*/, v65 /*v321*/, v208
	s_set_vgpr_msb 0                        ;  msbs: dst=0 src0=0 src1=0 src2=0
	v_add_f32_e32 v138, v11, v13
	v_pk_fma_f32 v[142:143], v[244:245], v[212:213], v[130:131] op_sel_hi:[1,0,1]
	v_add_f32_e32 v139, v9, v85
	v_pk_fma_f32 v[130:131], v[244:245], v[212:213], v[130:131] neg_lo:[0,0,1] neg_hi:[0,0,1]
	v_pk_mul_f32 v[132:133], v[254:255], v[214:215] op_sel:[1,1] op_sel_hi:[0,1]
	s_set_vgpr_msb 64                       ;  msbs: dst=1 src0=0 src1=0 src2=0
	v_fmac_f32_e32 v83 /*v339*/, v243, v210
	s_set_vgpr_msb 4                        ;  msbs: dst=0 src0=0 src1=1 src2=0
	v_mov_b32_e32 v131, v143
	v_pk_add_f32 v[138:139], v[138:139], v[80:81] /*v[336:337]*/
	s_set_vgpr_msb 1                        ;  msbs: dst=0 src0=1 src1=0 src2=0
	v_pk_mul_f32 v[134:135], v[74:75] /*v[330:331]*/, v[134:135] op_sel_hi:[1,0]
	s_set_vgpr_msb 0                        ;  msbs: dst=0 src0=0 src1=0 src2=0
	v_pk_fma_f32 v[144:145], v[254:255], v[214:215], v[132:133] op_sel_hi:[1,0,1]
	v_pk_fma_f32 v[132:133], v[254:255], v[214:215], v[132:133] neg_lo:[0,0,1] neg_hi:[0,0,1]
	s_wait_loadcnt 0x3
	s_set_vgpr_msb 1                        ;  msbs: dst=0 src0=1 src1=0 src2=0
	v_pk_mul_f32 v[136:137], v[2:3] /*v[258:259]*/, v[218:219] op_sel:[1,1] op_sel_hi:[0,1]
	s_set_vgpr_msb 4                        ;  msbs: dst=0 src0=0 src1=1 src2=0
	v_pk_add_f32 v[138:139], v[138:139], v[82:83] /*v[338:339]*/
	v_dual_mov_b32 v140, v221 :: v_dual_mov_b32 v133, v145
	s_set_vgpr_msb 1                        ;  msbs: dst=0 src0=1 src1=0 src2=0
	v_pk_fma_f32 v[144:145], v[0:1] /*v[256:257]*/, v[216:217], v[134:135] op_sel_hi:[1,0,1]
	v_pk_fma_f32 v[134:135], v[0:1] /*v[256:257]*/, v[216:217], v[134:135] neg_lo:[0,0,1] neg_hi:[0,0,1]
	s_set_vgpr_msb 0                        ;  msbs: dst=0 src0=0 src1=0 src2=0
	v_pk_add_f32 v[130:131], v[138:139], v[130:131]
	s_set_vgpr_msb 1                        ;  msbs: dst=0 src0=1 src1=0 src2=0
	v_pk_fma_f32 v[138:139], v[2:3] /*v[258:259]*/, v[218:219], v[136:137] op_sel_hi:[1,0,1]
	v_pk_mul_f32 v[140:141], v[76:77] /*v[332:333]*/, v[140:141] op_sel_hi:[1,0]
	s_set_vgpr_msb 0                        ;  msbs: dst=0 src0=0 src1=0 src2=0
	v_mov_b32_e32 v135, v145
	s_set_vgpr_msb 1                        ;  msbs: dst=0 src0=1 src1=0 src2=0
	v_pk_fma_f32 v[136:137], v[2:3] /*v[258:259]*/, v[218:219], v[136:137] neg_lo:[0,0,1] neg_hi:[0,0,1]
	s_set_vgpr_msb 0                        ;  msbs: dst=0 src0=0 src1=0 src2=0
	v_pk_add_f32 v[130:131], v[130:131], v[132:133]
	s_wait_loadcnt 0x2
	s_set_vgpr_msb 1                        ;  msbs: dst=0 src0=1 src1=0 src2=0
	v_pk_mul_f32 v[142:143], v[14:15] /*v[270:271]*/, v[222:223] op_sel:[1,1] op_sel_hi:[0,1]
	s_set_vgpr_msb 0                        ;  msbs: dst=0 src0=0 src1=0 src2=0
	v_dual_mov_b32 v132, v225 :: v_dual_mov_b32 v137, v139
	s_set_vgpr_msb 1                        ;  msbs: dst=0 src0=1 src1=0 src2=0
	v_pk_fma_f32 v[138:139], v[4:5] /*v[260:261]*/, v[220:221], v[140:141] op_sel_hi:[1,0,1]
	s_set_vgpr_msb 0                        ;  msbs: dst=0 src0=0 src1=0 src2=0
	v_pk_add_f32 v[130:131], v[130:131], v[134:135]
	s_set_vgpr_msb 1                        ;  msbs: dst=0 src0=1 src1=0 src2=0
	v_pk_fma_f32 v[140:141], v[4:5] /*v[260:261]*/, v[220:221], v[140:141] neg_lo:[0,0,1] neg_hi:[0,0,1]
	v_pk_fma_f32 v[134:135], v[14:15] /*v[270:271]*/, v[222:223], v[142:143] op_sel_hi:[1,0,1]
	v_pk_mul_f32 v[132:133], v[78:79] /*v[334:335]*/, v[132:133] op_sel_hi:[1,0]
	s_set_vgpr_msb 0                        ;  msbs: dst=0 src0=0 src1=0 src2=0
	v_mov_b32_e32 v141, v139
	v_pk_add_f32 v[130:131], v[130:131], v[136:137]
	s_set_vgpr_msb 1                        ;  msbs: dst=0 src0=1 src1=0 src2=0
	v_pk_fma_f32 v[136:137], v[14:15] /*v[270:271]*/, v[222:223], v[142:143] neg_lo:[0,0,1] neg_hi:[0,0,1]
	s_set_vgpr_msb 0                        ;  msbs: dst=0 src0=0 src1=0 src2=0
	v_mov_b32_e32 v137, v135
	s_set_vgpr_msb 1                        ;  msbs: dst=0 src0=1 src1=0 src2=0
	v_pk_fma_f32 v[134:135], v[16:17] /*v[272:273]*/, v[224:225], v[132:133] op_sel_hi:[1,0,1]
	s_wait_loadcnt_dscnt 0x100
	s_set_vgpr_msb 5                        ;  msbs: dst=0 src0=1 src1=1 src2=0
	v_pk_mul_f32 v[138:139], v[70:71] /*v[326:327]*/, v[66:67] /*v[322:323]*/ op_sel:[1,1] op_sel_hi:[0,1]
	s_set_vgpr_msb 0                        ;  msbs: dst=0 src0=0 src1=0 src2=0
	v_pk_add_f32 v[130:131], v[130:131], v[140:141]
	s_set_vgpr_msb 1                        ;  msbs: dst=0 src0=1 src1=0 src2=0
	v_pk_fma_f32 v[132:133], v[16:17] /*v[272:273]*/, v[224:225], v[132:133] neg_lo:[0,0,1] neg_hi:[0,0,1]
	s_set_vgpr_msb 0                        ;  msbs: dst=0 src0=0 src1=0 src2=0
	v_mov_b32_e32 v133, v135
	s_set_vgpr_msb 5                        ;  msbs: dst=0 src0=1 src1=1 src2=0
	v_pk_fma_f32 v[134:135], v[70:71] /*v[326:327]*/, v[66:67] /*v[322:323]*/, v[138:139] op_sel_hi:[1,0,1]
	s_set_vgpr_msb 0                        ;  msbs: dst=0 src0=0 src1=0 src2=0
	v_pk_add_f32 v[130:131], v[130:131], v[136:137]
	s_set_vgpr_msb 5                        ;  msbs: dst=0 src0=1 src1=1 src2=0
	v_pk_fma_f32 v[136:137], v[70:71] /*v[326:327]*/, v[66:67] /*v[322:323]*/, v[138:139] neg_lo:[0,0,1] neg_hi:[0,0,1]
	s_set_vgpr_msb 0                        ;  msbs: dst=0 src0=0 src1=0 src2=0
	v_mov_b32_e32 v137, v135
	v_pk_add_f32 v[130:131], v[130:131], v[132:133]
	s_delay_alu instid0(VALU_DEP_1) | instskip(SKIP_2) | instid1(VALU_DEP_1)
	v_pk_add_f32 v[130:131], v[130:131], v[136:137]
	s_wait_loadcnt 0x0
	s_set_vgpr_msb 1                        ;  msbs: dst=0 src0=1 src1=0 src2=0
	v_pk_add_f32 v[130:131], v[68:69] /*v[324:325]*/, v[130:131] neg_lo:[0,1] neg_hi:[0,1]
	scratch_store_b64 off, v[130:131], off offset:112
	s_wait_xcnt 0x0
	v_cmpx_lt_u32_e32 13, v0
	s_set_vgpr_msb 0                        ;  msbs: dst=0 src0=0 src1=0 src2=0
	s_cbranch_execz .LBB127_371
; %bb.370:
	scratch_load_b64 v[130:131], off, off offset:104
	v_mov_b64_e32 v[132:133], 0
	scratch_store_b64 off, v[132:133], off offset:104
	s_wait_loadcnt 0x0
	ds_store_b64 v1, v[130:131]
.LBB127_371:
	s_wait_xcnt 0x0
	s_or_b32 exec_lo, exec_lo, s0
	s_wait_storecnt_dscnt 0x0
	s_barrier_signal -1
	s_barrier_wait -1
	s_clause 0x18
	scratch_load_b128 v[130:133], off, off offset:112
	scratch_load_b128 v[134:137], off, off offset:128
	scratch_load_b128 v[138:141], off, off offset:144
	scratch_load_b128 v[142:145], off, off offset:160
	scratch_load_b128 v[146:149], off, off offset:176
	scratch_load_b128 v[150:153], off, off offset:192
	scratch_load_b128 v[154:157], off, off offset:208
	scratch_load_b128 v[158:161], off, off offset:224
	scratch_load_b128 v[162:165], off, off offset:240
	scratch_load_b128 v[166:169], off, off offset:256
	scratch_load_b128 v[170:173], off, off offset:272
	scratch_load_b128 v[174:177], off, off offset:288
	scratch_load_b128 v[178:181], off, off offset:304
	scratch_load_b128 v[182:185], off, off offset:320
	scratch_load_b128 v[186:189], off, off offset:336
	scratch_load_b128 v[190:193], off, off offset:352
	scratch_load_b128 v[194:197], off, off offset:368
	scratch_load_b128 v[198:201], off, off offset:384
	scratch_load_b128 v[202:205], off, off offset:400
	scratch_load_b128 v[206:209], off, off offset:416
	scratch_load_b128 v[210:213], off, off offset:432
	scratch_load_b128 v[214:217], off, off offset:448
	scratch_load_b128 v[218:221], off, off offset:464
	scratch_load_b128 v[222:225], off, off offset:480
	scratch_load_b128 v[226:229], off, off offset:496
	ds_load_b128 v[230:233], v7 offset:624
	ds_load_b128 v[234:237], v7 offset:640
	ds_load_b128 v[238:241], v7 offset:656
	ds_load_b128 v[242:245], v7 offset:672
	ds_load_b128 v[246:249], v7 offset:944
	ds_load_b128 v[250:253], v7 offset:960
	ds_load_b128 v[254:257], v7 offset:688
	s_set_vgpr_msb 64                       ;  msbs: dst=1 src0=0 src1=0 src2=0
	ds_load_b128 v[2:5] /*v[258:261]*/, v7 offset:704
	ds_load_b128 v[6:9] /*v[262:265]*/, v7 offset:976
	;; [unrolled: 1-line block ×12, first 2 shown]
	scratch_load_b64 v[74:75] /*v[330:331]*/, off, off offset:104
	ds_load_b128 v[50:53] /*v[306:309]*/, v7 offset:848
	ds_load_b128 v[54:57] /*v[310:313]*/, v7 offset:864
	;; [unrolled: 1-line block ×6, first 2 shown]
	s_mov_b32 s0, exec_lo
	s_wait_dscnt 0x13
	v_dual_mov_b32 v76 /*v332*/, v253 :: v_dual_mov_b32 v77 /*v333*/, v252
	s_wait_dscnt 0x10
	s_set_vgpr_msb 0x41                     ;  msbs: dst=1 src0=1 src1=0 src2=0
	v_dual_mov_b32 v78 /*v334*/, v9 /*v265*/ :: v_dual_mov_b32 v79 /*v335*/, v8 /*v264*/
	s_wait_dscnt 0xf
	v_dual_mov_b32 v80 /*v336*/, v13 /*v269*/ :: v_dual_mov_b32 v81 /*v337*/, v12 /*v268*/
	s_wait_dscnt 0xc
	v_dual_mov_b32 v82 /*v338*/, v25 /*v281*/ :: v_dual_mov_b32 v83 /*v339*/, v24 /*v280*/
	s_wait_loadcnt 0x19
	s_set_vgpr_msb 0                        ;  msbs: dst=0 src0=0 src1=0 src2=0
	v_dual_mul_f32 v7, v230, v131 :: v_dual_mul_f32 v9, v232, v133
	v_dual_mul_f32 v83, v231, v131 :: v_dual_mul_f32 v85, v233, v133
	s_wait_loadcnt 0x15
	s_delay_alu instid0(VALU_DEP_2) | instskip(NEXT) | instid1(VALU_DEP_3)
	v_dual_mul_f32 v23, v254, v147 :: v_dual_fmac_f32 v7, v231, v130
	v_dual_fmac_f32 v9, v233, v132 :: v_dual_mul_f32 v11, v234, v135
	v_dual_mul_f32 v13, v236, v137 :: v_dual_mul_f32 v91, v235, v135
	v_dual_mul_f32 v97, v241, v141 :: v_dual_mul_f32 v99, v243, v143
	v_dual_fma_f32 v85, v232, v132, -v85 :: v_dual_mul_f32 v15, v238, v139
	v_dual_mul_f32 v17, v240, v141 :: v_dual_add_f32 v7, 0, v7
	v_dual_mul_f32 v93, v237, v137 :: v_dual_fmac_f32 v11, v235, v134
	v_fmac_f32_e32 v13, v237, v136
	s_wait_loadcnt_dscnt 0x600
	s_set_vgpr_msb 1                        ;  msbs: dst=0 src0=1 src1=0 src2=0
	v_mul_f32_e32 v89, v72 /*v328*/, v209
	s_wait_loadcnt 0x5
	s_set_vgpr_msb 0                        ;  msbs: dst=0 src0=0 src1=0 src2=0
	v_dual_mul_f32 v133, v248, v213 :: v_dual_mul_f32 v95, v239, v139
	v_fma_f32 v83, v230, v130, -v83
	v_dual_mul_f32 v131, v246, v211 :: v_dual_mul_f32 v101, v245, v145
	v_dual_fma_f32 v91, v234, v134, -v91 :: v_dual_add_f32 v7, v7, v9
	s_delay_alu instid0(VALU_DEP_3)
	v_add_f32_e32 v83, 0, v83
	v_dual_mul_f32 v19, v242, v143 :: v_dual_mul_f32 v21, v244, v145
	s_set_vgpr_msb 1                        ;  msbs: dst=0 src0=1 src1=0 src2=0
	v_dual_mul_f32 v25, v0 /*v256*/, v149 :: v_dual_mul_f32 v27, v2 /*v258*/, v151
	s_set_vgpr_msb 0                        ;  msbs: dst=0 src0=0 src1=0 src2=0
	v_dual_add_f32 v9, v83, v85 :: v_dual_fma_f32 v85, v236, v136, -v93
	v_fmac_f32_e32 v15, v239, v138
	v_dual_mul_f32 v83, v255, v147 :: v_dual_fmac_f32 v17, v241, v140
	s_delay_alu instid0(VALU_DEP_3)
	v_add_f32_e32 v9, v9, v91
	v_dual_add_f32 v7, v7, v11 :: v_dual_fma_f32 v91, v238, v138, -v95
	s_set_vgpr_msb 1                        ;  msbs: dst=0 src0=1 src1=0 src2=0
	v_mul_f32_e32 v11, v1 /*v257*/, v149
	s_set_vgpr_msb 0                        ;  msbs: dst=0 src0=0 src1=0 src2=0
	v_dual_fmac_f32 v19, v243, v142 :: v_dual_add_f32 v9, v9, v85
	v_dual_add_f32 v7, v7, v13 :: v_dual_fma_f32 v85, v240, v140, -v97
	s_set_vgpr_msb 1                        ;  msbs: dst=0 src0=1 src1=0 src2=0
	v_dual_mul_f32 v13, v3 /*v259*/, v151 :: v_dual_fmac_f32 v25, v1 /*v257*/, v148
	v_fma_f32 v11, v0 /*v256*/, v148, -v11
	s_set_vgpr_msb 0                        ;  msbs: dst=0 src0=0 src1=0 src2=0
	v_add_f32_e32 v7, v7, v15
	v_dual_add_f32 v9, v9, v91 :: v_dual_fma_f32 v91, v242, v142, -v99
	v_fmac_f32_e32 v23, v255, v146
	s_set_vgpr_msb 1                        ;  msbs: dst=0 src0=1 src1=0 src2=0
	v_dual_mul_f32 v29, v4 /*v260*/, v153 :: v_dual_mul_f32 v31, v14 /*v270*/, v155
	s_set_vgpr_msb 0                        ;  msbs: dst=0 src0=0 src1=0 src2=0
	v_add_f32_e32 v7, v7, v17
	v_dual_add_f32 v9, v9, v85 :: v_dual_fma_f32 v85, v244, v144, -v101
	v_fmac_f32_e32 v21, v245, v144
	s_set_vgpr_msb 1                        ;  msbs: dst=0 src0=1 src1=0 src2=0
	v_dual_mul_f32 v15, v5 /*v261*/, v153 :: v_dual_mul_f32 v17, v15 /*v271*/, v155
	s_set_vgpr_msb 0                        ;  msbs: dst=0 src0=0 src1=0 src2=0
	v_add_f32_e32 v7, v7, v19
	v_dual_add_f32 v9, v9, v91 :: v_dual_fma_f32 v83, v254, v146, -v83
	s_set_vgpr_msb 1                        ;  msbs: dst=0 src0=1 src1=0 src2=0
	v_dual_fmac_f32 v27, v3 /*v259*/, v150 :: v_dual_fma_f32 v13, v2 /*v258*/, v150, -v13
	s_set_vgpr_msb 0                        ;  msbs: dst=0 src0=0 src1=0 src2=0
	v_add_f32_e32 v7, v7, v21
	v_add_f32_e32 v9, v9, v85
	s_set_vgpr_msb 1                        ;  msbs: dst=0 src0=1 src1=0 src2=0
	v_dual_fmac_f32 v29, v5 /*v261*/, v152 :: v_dual_fma_f32 v15, v4 /*v260*/, v152, -v15
	v_dual_mul_f32 v33, v16 /*v272*/, v157 :: v_dual_mul_f32 v35, v18 /*v274*/, v159
	s_set_vgpr_msb 0                        ;  msbs: dst=0 src0=0 src1=0 src2=0
	v_add_f32_e32 v7, v7, v23
	v_add_f32_e32 v9, v9, v83
	s_set_vgpr_msb 1                        ;  msbs: dst=0 src0=1 src1=0 src2=0
	v_mul_f32_e32 v23, v21 /*v277*/, v161
	v_dual_mul_f32 v19, v17 /*v273*/, v157 :: v_dual_mul_f32 v21, v19 /*v275*/, v159
	s_set_vgpr_msb 0                        ;  msbs: dst=0 src0=0 src1=0 src2=0
	v_add_f32_e32 v7, v7, v25
	s_set_vgpr_msb 1                        ;  msbs: dst=0 src0=1 src1=0 src2=0
	v_dual_fmac_f32 v31, v15 /*v271*/, v154 :: v_dual_fma_f32 v17, v14 /*v270*/, v154, -v17
	v_dual_fmac_f32 v33, v17 /*v273*/, v156 :: v_dual_fma_f32 v19, v16 /*v272*/, v156, -v19
	s_set_vgpr_msb 0                        ;  msbs: dst=0 src0=0 src1=0 src2=0
	v_add_f32_e32 v7, v7, v27
	v_add_f32_e32 v9, v9, v11
	s_set_vgpr_msb 1                        ;  msbs: dst=0 src0=1 src1=0 src2=0
	v_dual_mul_f32 v11, v27 /*v283*/, v163 :: v_dual_mul_f32 v37, v20 /*v276*/, v161
	v_mul_f32_e32 v39, v26 /*v282*/, v163
	s_set_vgpr_msb 0                        ;  msbs: dst=0 src0=0 src1=0 src2=0
	v_add_f32_e32 v7, v7, v29
	v_add_f32_e32 v9, v9, v13
	s_set_vgpr_msb 1                        ;  msbs: dst=0 src0=1 src1=0 src2=0
	v_dual_mul_f32 v13, v29 /*v285*/, v165 :: v_dual_fmac_f32 v35, v19 /*v275*/, v158
	v_fma_f32 v21, v18 /*v274*/, v158, -v21
	s_set_vgpr_msb 0                        ;  msbs: dst=0 src0=0 src1=0 src2=0
	v_add_f32_e32 v7, v7, v31
	v_add_f32_e32 v9, v9, v15
	s_set_vgpr_msb 1                        ;  msbs: dst=0 src0=1 src1=0 src2=0
	v_dual_mul_f32 v15, v31 /*v287*/, v167 :: v_dual_fmac_f32 v37, v21 /*v277*/, v160
	v_fma_f32 v23, v20 /*v276*/, v160, -v23
	s_set_vgpr_msb 0                        ;  msbs: dst=0 src0=0 src1=0 src2=0
	v_add_f32_e32 v7, v7, v33
	v_add_f32_e32 v9, v9, v17
	s_set_vgpr_msb 1                        ;  msbs: dst=0 src0=1 src1=0 src2=0
	v_mul_f32_e32 v17, v33 /*v289*/, v169
	v_dual_mul_f32 v41, v28 /*v284*/, v165 :: v_dual_mul_f32 v43, v30 /*v286*/, v167
	s_set_vgpr_msb 0                        ;  msbs: dst=0 src0=0 src1=0 src2=0
	v_add_f32_e32 v7, v7, v35
	v_add_f32_e32 v9, v9, v19
	s_set_vgpr_msb 1                        ;  msbs: dst=0 src0=1 src1=0 src2=0
	v_mul_f32_e32 v19, v35 /*v291*/, v171
	v_dual_fmac_f32 v39, v27 /*v283*/, v162 :: v_dual_fmac_f32 v41, v29 /*v285*/, v164
	v_fmac_f32_e32 v43, v31 /*v287*/, v166
	s_set_vgpr_msb 0                        ;  msbs: dst=0 src0=0 src1=0 src2=0
	v_add_f32_e32 v7, v7, v37
	v_add_f32_e32 v9, v9, v21
	s_set_vgpr_msb 1                        ;  msbs: dst=0 src0=1 src1=0 src2=0
	v_dual_mul_f32 v21, v37 /*v293*/, v173 :: v_dual_fma_f32 v13, v28 /*v284*/, v164, -v13
	v_dual_mul_f32 v45, v32 /*v288*/, v169 :: v_dual_mul_f32 v47, v34 /*v290*/, v171
	s_set_vgpr_msb 0                        ;  msbs: dst=0 src0=0 src1=0 src2=0
	v_add_f32_e32 v7, v7, v39
	v_add_f32_e32 v9, v9, v23
	s_set_vgpr_msb 1                        ;  msbs: dst=0 src0=1 src1=0 src2=0
	v_dual_fma_f32 v11, v26 /*v282*/, v162, -v11 :: v_dual_mul_f32 v23, v39 /*v295*/, v175
	v_dual_fmac_f32 v45, v33 /*v289*/, v168 :: v_dual_fmac_f32 v47, v35 /*v291*/, v170
	s_set_vgpr_msb 0                        ;  msbs: dst=0 src0=0 src1=0 src2=0
	v_add_f32_e32 v7, v7, v41
	s_set_vgpr_msb 1                        ;  msbs: dst=0 src0=1 src1=0 src2=0
	v_fma_f32 v17, v32 /*v288*/, v168, -v17
	v_dual_mul_f32 v49, v36 /*v292*/, v173 :: v_dual_mul_f32 v51, v38 /*v294*/, v175
	v_fma_f32 v15, v30 /*v286*/, v166, -v15
	s_set_vgpr_msb 0                        ;  msbs: dst=0 src0=0 src1=0 src2=0
	v_add_f32_e32 v7, v7, v43
	v_add_f32_e32 v9, v9, v11
	s_set_vgpr_msb 1                        ;  msbs: dst=0 src0=1 src1=0 src2=0
	v_mul_f32_e32 v11, v41 /*v297*/, v177
	v_dual_fmac_f32 v49, v37 /*v293*/, v172 :: v_dual_fmac_f32 v51, v39 /*v295*/, v174
	s_set_vgpr_msb 0                        ;  msbs: dst=0 src0=0 src1=0 src2=0
	v_add_f32_e32 v7, v7, v45
	v_add_f32_e32 v9, v9, v13
	s_set_vgpr_msb 1                        ;  msbs: dst=0 src0=1 src1=0 src2=0
	v_fma_f32 v21, v36 /*v292*/, v172, -v21
	v_dual_mul_f32 v53, v40 /*v296*/, v177 :: v_dual_mul_f32 v55, v42 /*v298*/, v179
	s_set_vgpr_msb 0                        ;  msbs: dst=0 src0=0 src1=0 src2=0
	v_add_f32_e32 v7, v7, v47
	s_set_vgpr_msb 1                        ;  msbs: dst=0 src0=1 src1=0 src2=0
	v_mul_f32_e32 v13, v43 /*v299*/, v179
	s_set_vgpr_msb 0                        ;  msbs: dst=0 src0=0 src1=0 src2=0
	v_add_f32_e32 v9, v9, v15
	s_set_vgpr_msb 1                        ;  msbs: dst=0 src0=1 src1=0 src2=0
	v_dual_mul_f32 v15, v45 /*v301*/, v181 :: v_dual_fma_f32 v19, v34 /*v290*/, v170, -v19
	s_set_vgpr_msb 0                        ;  msbs: dst=0 src0=0 src1=0 src2=0
	v_add_f32_e32 v7, v7, v49
	s_set_vgpr_msb 1                        ;  msbs: dst=0 src0=1 src1=0 src2=0
	v_dual_fmac_f32 v53, v41 /*v297*/, v176 :: v_dual_fma_f32 v11, v40 /*v296*/, v176, -v11
	s_set_vgpr_msb 0                        ;  msbs: dst=0 src0=0 src1=0 src2=0
	v_add_f32_e32 v9, v9, v17
	s_set_vgpr_msb 1                        ;  msbs: dst=0 src0=1 src1=0 src2=0
	v_dual_fmac_f32 v55, v43 /*v299*/, v178 :: v_dual_fma_f32 v13, v42 /*v298*/, v178, -v13
	s_set_vgpr_msb 0                        ;  msbs: dst=0 src0=0 src1=0 src2=0
	v_add_f32_e32 v7, v7, v51
	s_set_vgpr_msb 1                        ;  msbs: dst=0 src0=1 src1=0 src2=0
	v_dual_mul_f32 v57, v44 /*v300*/, v181 :: v_dual_mul_f32 v59, v46 /*v302*/, v183
	v_mul_f32_e32 v17, v47 /*v303*/, v183
	s_set_vgpr_msb 0                        ;  msbs: dst=0 src0=0 src1=0 src2=0
	v_dual_add_f32 v9, v9, v19 :: v_dual_add_f32 v7, v7, v53
	s_set_vgpr_msb 1                        ;  msbs: dst=0 src0=1 src1=0 src2=0
	v_dual_mul_f32 v19, v49 /*v305*/, v185 :: v_dual_fma_f32 v23, v38 /*v294*/, v174, -v23
	v_dual_fmac_f32 v57, v45 /*v301*/, v180 :: v_dual_fma_f32 v15, v44 /*v300*/, v180, -v15
	s_set_vgpr_msb 0                        ;  msbs: dst=0 src0=0 src1=0 src2=0
	v_add_f32_e32 v9, v9, v21
	s_set_vgpr_msb 1                        ;  msbs: dst=0 src0=1 src1=0 src2=0
	v_dual_fmac_f32 v59, v47 /*v303*/, v182 :: v_dual_fma_f32 v17, v46 /*v302*/, v182, -v17
	s_set_vgpr_msb 0                        ;  msbs: dst=0 src0=0 src1=0 src2=0
	v_add_f32_e32 v7, v7, v55
	s_set_vgpr_msb 1                        ;  msbs: dst=0 src0=1 src1=0 src2=0
	v_dual_mul_f32 v61, v48 /*v304*/, v185 :: v_dual_mul_f32 v63, v50 /*v306*/, v187
	v_mul_f32_e32 v21, v51 /*v307*/, v187
	s_set_vgpr_msb 0                        ;  msbs: dst=0 src0=0 src1=0 src2=0
	v_dual_add_f32 v9, v9, v23 :: v_dual_add_f32 v7, v7, v57
	s_set_vgpr_msb 1                        ;  msbs: dst=0 src0=1 src1=0 src2=0
	v_dual_fmac_f32 v61, v49 /*v305*/, v184 :: v_dual_fma_f32 v19, v48 /*v304*/, v184, -v19
	v_dual_fmac_f32 v63, v51 /*v307*/, v186 :: v_dual_fma_f32 v21, v50 /*v306*/, v186, -v21
	s_set_vgpr_msb 0                        ;  msbs: dst=0 src0=0 src1=0 src2=0
	v_add_f32_e32 v7, v7, v59
	s_set_vgpr_msb 1                        ;  msbs: dst=0 src0=1 src1=0 src2=0
	v_dual_mul_f32 v65, v52 /*v308*/, v189 :: v_dual_mul_f32 v67, v54 /*v310*/, v191
	s_set_vgpr_msb 0                        ;  msbs: dst=0 src0=0 src1=0 src2=0
	v_add_f32_e32 v9, v9, v11
	s_set_vgpr_msb 1                        ;  msbs: dst=0 src0=1 src1=0 src2=0
	v_dual_mul_f32 v23, v53 /*v309*/, v189 :: v_dual_mul_f32 v11, v55 /*v311*/, v191
	s_set_vgpr_msb 0                        ;  msbs: dst=0 src0=0 src1=0 src2=0
	v_add_f32_e32 v7, v7, v61
	s_set_vgpr_msb 1                        ;  msbs: dst=0 src0=1 src1=0 src2=0
	v_fmac_f32_e32 v65, v53 /*v309*/, v188
	s_set_vgpr_msb 0                        ;  msbs: dst=0 src0=0 src1=0 src2=0
	v_add_f32_e32 v9, v9, v13
	s_set_vgpr_msb 1                        ;  msbs: dst=0 src0=1 src1=0 src2=0
	v_dual_mul_f32 v69, v56 /*v312*/, v193 :: v_dual_mul_f32 v71, v58 /*v314*/, v195
	s_set_vgpr_msb 0                        ;  msbs: dst=0 src0=0 src1=0 src2=0
	v_add_f32_e32 v7, v7, v63
	s_set_vgpr_msb 1                        ;  msbs: dst=0 src0=1 src1=0 src2=0
	v_fma_f32 v23, v52 /*v308*/, v188, -v23
	s_set_vgpr_msb 0                        ;  msbs: dst=0 src0=0 src1=0 src2=0
	v_add_f32_e32 v9, v9, v15
	s_set_vgpr_msb 1                        ;  msbs: dst=0 src0=1 src1=0 src2=0
	v_dual_fmac_f32 v67, v55 /*v311*/, v190 :: v_dual_fmac_f32 v69, v57 /*v313*/, v192
	s_set_vgpr_msb 0                        ;  msbs: dst=0 src0=0 src1=0 src2=0
	v_add_f32_e32 v7, v7, v65
	s_set_vgpr_msb 1                        ;  msbs: dst=0 src0=1 src1=0 src2=0
	v_dual_mul_f32 v73, v60 /*v316*/, v197 :: v_dual_mul_f32 v75, v62 /*v318*/, v199
	s_set_vgpr_msb 0                        ;  msbs: dst=0 src0=0 src1=0 src2=0
	v_add_f32_e32 v9, v9, v17
	s_set_vgpr_msb 1                        ;  msbs: dst=0 src0=1 src1=0 src2=0
	v_fmac_f32_e32 v71, v59 /*v315*/, v194
	s_set_vgpr_msb 0                        ;  msbs: dst=0 src0=0 src1=0 src2=0
	v_add_f32_e32 v7, v7, v67
	s_set_vgpr_msb 1                        ;  msbs: dst=0 src0=1 src1=0 src2=0
	v_dual_fmac_f32 v73, v61 /*v317*/, v196 :: v_dual_mul_f32 v77, v64 /*v320*/, v201
	v_mul_f32_e32 v79, v66 /*v322*/, v203
	s_set_vgpr_msb 0                        ;  msbs: dst=0 src0=0 src1=0 src2=0
	v_dual_add_f32 v9, v9, v19 :: v_dual_add_f32 v7, v7, v69
	s_set_vgpr_msb 1                        ;  msbs: dst=0 src0=1 src1=0 src2=0
	v_dual_mul_f32 v13, v57 /*v313*/, v193 :: v_dual_mul_f32 v15, v59 /*v315*/, v195
	v_fma_f32 v11, v54 /*v310*/, v190, -v11
	s_set_vgpr_msb 0                        ;  msbs: dst=0 src0=0 src1=0 src2=0
	v_dual_add_f32 v9, v9, v21 :: v_dual_add_f32 v7, v7, v71
	s_set_vgpr_msb 1                        ;  msbs: dst=0 src0=1 src1=0 src2=0
	v_dual_mul_f32 v21, v65 /*v321*/, v201 :: v_dual_fmac_f32 v75, v63 /*v319*/, v198
	v_fmac_f32_e32 v77, v65 /*v321*/, v200
	s_set_vgpr_msb 0                        ;  msbs: dst=0 src0=0 src1=0 src2=0
	v_dual_add_f32 v9, v9, v23 :: v_dual_add_f32 v7, v7, v73
	s_set_vgpr_msb 1                        ;  msbs: dst=0 src0=1 src1=0 src2=0
	v_dual_mul_f32 v23, v67 /*v323*/, v203 :: v_dual_fma_f32 v13, v56 /*v312*/, v192, -v13
	s_wait_loadcnt 0x4
	s_set_vgpr_msb 0                        ;  msbs: dst=0 src0=0 src1=0 src2=0
	v_mov_b32_e32 v136, v217
	s_set_vgpr_msb 1                        ;  msbs: dst=0 src0=1 src1=0 src2=0
	v_dual_mul_f32 v81, v68 /*v324*/, v205 :: v_dual_mul_f32 v87, v70 /*v326*/, v207
	s_set_vgpr_msb 0                        ;  msbs: dst=0 src0=0 src1=0 src2=0
	v_add_f32_e32 v7, v7, v75
	v_add_f32_e32 v9, v9, v11
	s_set_vgpr_msb 1                        ;  msbs: dst=0 src0=1 src1=0 src2=0
	v_dual_mul_f32 v17, v61 /*v317*/, v197 :: v_dual_mul_f32 v19, v63 /*v319*/, v199
	v_dual_mul_f32 v11, v69 /*v325*/, v205 :: v_dual_fma_f32 v15, v58 /*v314*/, v194, -v15
	v_dual_fma_f32 v21, v64 /*v320*/, v200, -v21 :: v_dual_fmac_f32 v79, v67 /*v323*/, v202
	s_set_vgpr_msb 0                        ;  msbs: dst=0 src0=0 src1=0 src2=0
	v_add_f32_e32 v7, v7, v77
	v_add_f32_e32 v9, v9, v13
	s_set_vgpr_msb 1                        ;  msbs: dst=0 src0=1 src1=0 src2=0
	v_dual_mul_f32 v13, v71 /*v327*/, v207 :: v_dual_fma_f32 v17, v60 /*v316*/, v196, -v17
	v_dual_fma_f32 v23, v66 /*v322*/, v202, -v23 :: v_dual_fmac_f32 v81, v69 /*v325*/, v204
	s_delay_alu instid0(VALU_DEP_2)
	v_dual_fma_f32 v11, v68 /*v324*/, v204, -v11 :: v_dual_fma_f32 v13, v70 /*v326*/, v206, -v13
	s_set_vgpr_msb 0                        ;  msbs: dst=0 src0=0 src1=0 src2=0
	v_add_f32_e32 v7, v7, v79
	v_add_f32_e32 v9, v9, v15
	s_set_vgpr_msb 1                        ;  msbs: dst=0 src0=1 src1=0 src2=0
	v_dual_mul_f32 v15, v73 /*v329*/, v209 :: v_dual_fma_f32 v19, v62 /*v318*/, v198, -v19
	s_set_vgpr_msb 0                        ;  msbs: dst=0 src0=0 src1=0 src2=0
	v_fmac_f32_e32 v131, v247, v210
	v_add_f32_e32 v7, v7, v81
	v_add_f32_e32 v9, v9, v17
	s_set_vgpr_msb 1                        ;  msbs: dst=0 src0=1 src1=0 src2=0
	v_dual_fmac_f32 v87, v71 /*v327*/, v206 :: v_dual_fmac_f32 v89, v73 /*v329*/, v208
	s_wait_loadcnt 0x3
	s_set_vgpr_msb 0                        ;  msbs: dst=0 src0=0 src1=0 src2=0
	v_mov_b32_e32 v140, v221
	v_pk_mul_f32 v[134:135], v[250:251], v[214:215] op_sel:[1,1] op_sel_hi:[0,1]
	v_add_f32_e32 v9, v9, v19
	v_mul_f32_e32 v17, v247, v211
	v_dual_add_f32 v7, v7, v87 :: v_dual_mul_f32 v19, v249, v213
	v_fmac_f32_e32 v133, v249, v212
	s_delay_alu instid0(VALU_DEP_3) | instskip(NEXT) | instid1(VALU_DEP_3)
	v_dual_add_f32 v9, v9, v21 :: v_dual_fma_f32 v130, v246, v210, -v17
	v_dual_add_f32 v143, v7, v89 :: v_dual_fma_f32 v132, v248, v212, -v19
	v_pk_fma_f32 v[144:145], v[250:251], v[214:215], v[134:135] op_sel_hi:[1,0,1]
	s_delay_alu instid0(VALU_DEP_3)
	v_add_f32_e32 v9, v9, v23
	s_set_vgpr_msb 1                        ;  msbs: dst=0 src0=1 src1=0 src2=0
	v_pk_mul_f32 v[136:137], v[76:77] /*v[332:333]*/, v[136:137] op_sel_hi:[1,0]
	s_set_vgpr_msb 0                        ;  msbs: dst=0 src0=0 src1=0 src2=0
	v_pk_fma_f32 v[134:135], v[250:251], v[214:215], v[134:135] neg_lo:[0,0,1] neg_hi:[0,0,1]
	s_set_vgpr_msb 1                        ;  msbs: dst=0 src0=1 src1=0 src2=0
	v_pk_mul_f32 v[138:139], v[6:7] /*v[262:263]*/, v[218:219] op_sel:[1,1] op_sel_hi:[0,1]
	s_set_vgpr_msb 0                        ;  msbs: dst=0 src0=0 src1=0 src2=0
	v_mov_b32_e32 v135, v145
	v_add_f32_e32 v9, v9, v11
	s_set_vgpr_msb 1                        ;  msbs: dst=0 src0=1 src1=0 src2=0
	v_fma_f32 v11, v72 /*v328*/, v208, -v15
	s_set_vgpr_msb 0                        ;  msbs: dst=0 src0=0 src1=0 src2=0
	v_pk_fma_f32 v[144:145], v[252:253], v[216:217], v[136:137] op_sel_hi:[1,0,1]
	v_pk_fma_f32 v[136:137], v[252:253], v[216:217], v[136:137] neg_lo:[0,0,1] neg_hi:[0,0,1]
	s_set_vgpr_msb 1                        ;  msbs: dst=0 src0=1 src1=0 src2=0
	v_pk_mul_f32 v[140:141], v[78:79] /*v[334:335]*/, v[140:141] op_sel_hi:[1,0]
	s_set_vgpr_msb 0                        ;  msbs: dst=0 src0=0 src1=0 src2=0
	v_add_f32_e32 v9, v9, v13
	v_mov_b32_e32 v137, v145
	s_delay_alu instid0(VALU_DEP_2) | instskip(NEXT) | instid1(VALU_DEP_1)
	v_add_f32_e32 v142, v9, v11
	v_pk_add_f32 v[130:131], v[142:143], v[130:131]
	s_wait_loadcnt 0x2
	s_set_vgpr_msb 1                        ;  msbs: dst=0 src0=1 src1=0 src2=0
	v_pk_mul_f32 v[142:143], v[10:11] /*v[266:267]*/, v[222:223] op_sel:[1,1] op_sel_hi:[0,1]
	s_set_vgpr_msb 0                        ;  msbs: dst=0 src0=0 src1=0 src2=0
	v_pk_add_f32 v[130:131], v[130:131], v[132:133]
	s_set_vgpr_msb 1                        ;  msbs: dst=0 src0=1 src1=0 src2=0
	v_pk_fma_f32 v[132:133], v[6:7] /*v[262:263]*/, v[218:219], v[138:139] op_sel_hi:[1,0,1]
	s_set_vgpr_msb 0                        ;  msbs: dst=0 src0=0 src1=0 src2=0
	v_mov_b32_e32 v132, v225
	v_pk_add_f32 v[130:131], v[130:131], v[134:135]
	s_set_vgpr_msb 1                        ;  msbs: dst=0 src0=1 src1=0 src2=0
	v_pk_fma_f32 v[134:135], v[6:7] /*v[262:263]*/, v[218:219], v[138:139] neg_lo:[0,0,1] neg_hi:[0,0,1]
	s_set_vgpr_msb 0                        ;  msbs: dst=0 src0=0 src1=0 src2=0
	v_mov_b32_e32 v135, v133
	s_set_vgpr_msb 1                        ;  msbs: dst=0 src0=1 src1=0 src2=0
	v_pk_fma_f32 v[138:139], v[8:9] /*v[264:265]*/, v[220:221], v[140:141] op_sel_hi:[1,0,1]
	v_pk_mul_f32 v[132:133], v[80:81] /*v[336:337]*/, v[132:133] op_sel_hi:[1,0]
	s_set_vgpr_msb 0                        ;  msbs: dst=0 src0=0 src1=0 src2=0
	v_pk_add_f32 v[130:131], v[130:131], v[136:137]
	s_set_vgpr_msb 1                        ;  msbs: dst=0 src0=1 src1=0 src2=0
	v_pk_fma_f32 v[136:137], v[10:11] /*v[266:267]*/, v[222:223], v[142:143] op_sel_hi:[1,0,1]
	v_pk_fma_f32 v[140:141], v[8:9] /*v[264:265]*/, v[220:221], v[140:141] neg_lo:[0,0,1] neg_hi:[0,0,1]
	s_set_vgpr_msb 0                        ;  msbs: dst=0 src0=0 src1=0 src2=0
	v_mov_b32_e32 v141, v139
	s_set_vgpr_msb 1                        ;  msbs: dst=0 src0=1 src1=0 src2=0
	v_pk_fma_f32 v[138:139], v[10:11] /*v[266:267]*/, v[222:223], v[142:143] neg_lo:[0,0,1] neg_hi:[0,0,1]
	s_set_vgpr_msb 0                        ;  msbs: dst=0 src0=0 src1=0 src2=0
	v_pk_add_f32 v[130:131], v[130:131], v[134:135]
	v_mov_b32_e32 v139, v137
	s_set_vgpr_msb 1                        ;  msbs: dst=0 src0=1 src1=0 src2=0
	v_pk_fma_f32 v[136:137], v[12:13] /*v[268:269]*/, v[224:225], v[132:133] op_sel_hi:[1,0,1]
	s_wait_loadcnt 0x1
	v_pk_mul_f32 v[134:135], v[22:23] /*v[278:279]*/, v[226:227] op_sel:[1,1] op_sel_hi:[0,1]
	s_set_vgpr_msb 0                        ;  msbs: dst=0 src0=0 src1=0 src2=0
	v_mov_b32_e32 v136, v229
	v_pk_add_f32 v[130:131], v[130:131], v[140:141]
	s_set_vgpr_msb 1                        ;  msbs: dst=0 src0=1 src1=0 src2=0
	v_pk_fma_f32 v[132:133], v[12:13] /*v[268:269]*/, v[224:225], v[132:133] neg_lo:[0,0,1] neg_hi:[0,0,1]
	v_pk_fma_f32 v[140:141], v[22:23] /*v[278:279]*/, v[226:227], v[134:135] op_sel_hi:[1,0,1]
	s_set_vgpr_msb 0                        ;  msbs: dst=0 src0=0 src1=0 src2=0
	v_mov_b32_e32 v133, v137
	v_pk_add_f32 v[130:131], v[130:131], v[138:139]
	s_set_vgpr_msb 1                        ;  msbs: dst=0 src0=1 src1=0 src2=0
	v_pk_mul_f32 v[136:137], v[82:83] /*v[338:339]*/, v[136:137] op_sel_hi:[1,0]
	v_pk_fma_f32 v[134:135], v[22:23] /*v[278:279]*/, v[226:227], v[134:135] neg_lo:[0,0,1] neg_hi:[0,0,1]
	s_set_vgpr_msb 0                        ;  msbs: dst=0 src0=0 src1=0 src2=0
	v_mov_b32_e32 v135, v141
	v_pk_add_f32 v[130:131], v[130:131], v[132:133]
	s_set_vgpr_msb 1                        ;  msbs: dst=0 src0=1 src1=0 src2=0
	v_pk_fma_f32 v[132:133], v[24:25] /*v[280:281]*/, v[228:229], v[136:137] op_sel_hi:[1,0,1]
	v_pk_fma_f32 v[136:137], v[24:25] /*v[280:281]*/, v[228:229], v[136:137] neg_lo:[0,0,1] neg_hi:[0,0,1]
	s_set_vgpr_msb 0                        ;  msbs: dst=0 src0=0 src1=0 src2=0
	v_pk_add_f32 v[130:131], v[130:131], v[134:135]
	s_delay_alu instid0(VALU_DEP_3) | instskip(NEXT) | instid1(VALU_DEP_1)
	v_mov_b32_e32 v137, v133
	v_pk_add_f32 v[130:131], v[130:131], v[136:137]
	s_wait_loadcnt 0x0
	s_set_vgpr_msb 1                        ;  msbs: dst=0 src0=1 src1=0 src2=0
	s_delay_alu instid0(VALU_DEP_1)
	v_pk_add_f32 v[130:131], v[74:75] /*v[330:331]*/, v[130:131] neg_lo:[0,1] neg_hi:[0,1]
	scratch_store_b64 off, v[130:131], off offset:104
	s_wait_xcnt 0x0
	v_cmpx_lt_u32_e32 12, v0
	s_set_vgpr_msb 0                        ;  msbs: dst=0 src0=0 src1=0 src2=0
	s_cbranch_execz .LBB127_373
; %bb.372:
	scratch_load_b64 v[130:131], off, off offset:96
	v_mov_b64_e32 v[132:133], 0
	scratch_store_b64 off, v[132:133], off offset:96
	s_wait_loadcnt 0x0
	ds_store_b64 v1, v[130:131]
.LBB127_373:
	s_wait_xcnt 0x0
	s_or_b32 exec_lo, exec_lo, s0
	s_wait_storecnt_dscnt 0x0
	s_barrier_signal -1
	s_barrier_wait -1
	s_clause 0x1b
	scratch_load_b128 v[130:133], off, off offset:104
	scratch_load_b128 v[134:137], off, off offset:120
	;; [unrolled: 1-line block ×25, first 2 shown]
	s_set_vgpr_msb 64                       ;  msbs: dst=1 src0=0 src1=0 src2=0
	scratch_load_b64 v[74:75] /*v[330:331]*/, off, off offset:504
	scratch_load_b64 v[76:77] /*v[332:333]*/, off, off offset:96
	s_set_vgpr_msb 0                        ;  msbs: dst=0 src0=0 src1=0 src2=0
	v_mov_b32_e32 v7, 0
	ds_load_2addr_b64 v[230:233], v7 offset0:77 offset1:78
	ds_load_2addr_b64 v[234:237], v7 offset0:79 offset1:80
	;; [unrolled: 1-line block ×7, first 2 shown]
	s_set_vgpr_msb 64                       ;  msbs: dst=1 src0=0 src1=0 src2=0
	ds_load_2addr_b64 v[2:5] /*v[258:261]*/, v7 offset0:87 offset1:88
	ds_load_2addr_b64 v[6:9] /*v[262:265]*/, v7 offset0:121 offset1:122
	;; [unrolled: 1-line block ×18, first 2 shown]
	ds_load_b64 v[78:79] /*v[334:335]*/, v7 offset:1016
	s_wait_dscnt 0x14
	v_dual_mov_b32 v80 /*v336*/, v253 :: v_dual_mov_b32 v81 /*v337*/, v252
	s_wait_dscnt 0x11
	s_set_vgpr_msb 0x41                     ;  msbs: dst=1 src0=1 src1=0 src2=0
	v_dual_mov_b32 v82 /*v338*/, v9 /*v265*/ :: v_dual_mov_b32 v83 /*v339*/, v8 /*v264*/
	s_wait_dscnt 0x10
	v_dual_mov_b32 v84 /*v340*/, v13 /*v269*/ :: v_dual_mov_b32 v85 /*v341*/, v12 /*v268*/
	s_wait_dscnt 0xd
	v_dual_mov_b32 v86 /*v342*/, v25 /*v281*/ :: v_dual_mov_b32 v87 /*v343*/, v24 /*v280*/
	s_mov_b32 s0, exec_lo
	s_wait_loadcnt 0x1a
	s_set_vgpr_msb 0                        ;  msbs: dst=0 src0=0 src1=0 src2=0
	v_dual_mul_f32 v9, v230, v131 :: v_dual_mul_f32 v11, v232, v133
	s_wait_loadcnt 0x19
	v_mul_f32_e32 v13, v234, v135
	v_dual_mul_f32 v91, v231, v131 :: v_dual_mul_f32 v97, v237, v137
	s_delay_alu instid0(VALU_DEP_3) | instskip(SKIP_1) | instid1(VALU_DEP_2)
	v_dual_fmac_f32 v9, v231, v130 :: v_dual_fmac_f32 v11, v233, v132
	s_wait_loadcnt 0x18
	v_dual_mul_f32 v99, v239, v139 :: v_dual_fma_f32 v91, v230, v130, -v91
	v_dual_mul_f32 v15, v236, v137 :: v_dual_mul_f32 v17, v238, v139
	v_dual_mul_f32 v95, v235, v135 :: v_dual_mul_f32 v101, v241, v141
	s_wait_loadcnt 0x16
	v_dual_mul_f32 v107, v255, v147 :: v_dual_mul_f32 v19, v240, v141
	v_dual_mul_f32 v21, v242, v143 :: v_dual_mul_f32 v93, v233, v133
	s_delay_alu instid0(VALU_DEP_3)
	v_dual_add_f32 v91, 0, v91 :: v_dual_fma_f32 v95, v234, v134, -v95
	s_wait_loadcnt_dscnt 0x701
	s_set_vgpr_msb 1                        ;  msbs: dst=0 src0=1 src1=0 src2=0
	v_mul_f32_e32 v87, v72 /*v328*/, v209
	s_wait_loadcnt 0x6
	s_set_vgpr_msb 0                        ;  msbs: dst=0 src0=0 src1=0 src2=0
	v_dual_mul_f32 v89, v246, v211 :: v_dual_fma_f32 v93, v232, v132, -v93
	v_dual_add_f32 v9, 0, v9 :: v_dual_fmac_f32 v13, v235, v134
	v_dual_mul_f32 v23, v244, v145 :: v_dual_mul_f32 v25, v254, v147
	v_fmac_f32_e32 v15, v237, v136
	s_delay_alu instid0(VALU_DEP_3) | instskip(SKIP_2) | instid1(VALU_DEP_3)
	v_dual_add_f32 v9, v9, v11 :: v_dual_add_f32 v11, v91, v93
	v_dual_fma_f32 v93, v236, v136, -v97 :: v_dual_mul_f32 v103, v243, v143
	v_mul_f32_e32 v105, v245, v145
	v_dual_add_f32 v9, v9, v13 :: v_dual_add_f32 v11, v11, v95
	v_dual_fma_f32 v95, v238, v138, -v99 :: v_dual_fmac_f32 v17, v239, v138
	v_fmac_f32_e32 v19, v241, v140
	s_delay_alu instid0(VALU_DEP_3)
	v_dual_add_f32 v9, v9, v15 :: v_dual_add_f32 v11, v11, v93
	v_fma_f32 v93, v240, v140, -v101
	s_set_vgpr_msb 1                        ;  msbs: dst=0 src0=1 src1=0 src2=0
	v_dual_mul_f32 v27, v0 /*v256*/, v149 :: v_dual_mul_f32 v29, v2 /*v258*/, v151
	s_set_vgpr_msb 0                        ;  msbs: dst=0 src0=0 src1=0 src2=0
	v_dual_add_f32 v9, v9, v17 :: v_dual_add_f32 v11, v11, v95
	v_dual_fma_f32 v95, v242, v142, -v103 :: v_dual_fmac_f32 v21, v243, v142
	v_fmac_f32_e32 v23, v245, v144
	s_delay_alu instid0(VALU_DEP_3)
	v_dual_add_f32 v9, v9, v19 :: v_dual_add_f32 v11, v11, v93
	v_fma_f32 v93, v244, v144, -v105
	s_set_vgpr_msb 1                        ;  msbs: dst=0 src0=1 src1=0 src2=0
	v_dual_mul_f32 v91, v1 /*v257*/, v149 :: v_dual_mul_f32 v13, v3 /*v259*/, v151
	s_set_vgpr_msb 0                        ;  msbs: dst=0 src0=0 src1=0 src2=0
	v_dual_add_f32 v9, v9, v21 :: v_dual_add_f32 v11, v11, v95
	v_dual_fma_f32 v95, v254, v146, -v107 :: v_dual_fmac_f32 v25, v255, v146
	s_set_vgpr_msb 1                        ;  msbs: dst=0 src0=1 src1=0 src2=0
	v_fmac_f32_e32 v27, v1 /*v257*/, v148
	s_set_vgpr_msb 0                        ;  msbs: dst=0 src0=0 src1=0 src2=0
	v_add_f32_e32 v9, v9, v23
	s_set_vgpr_msb 1                        ;  msbs: dst=0 src0=1 src1=0 src2=0
	v_dual_mul_f32 v23, v21 /*v277*/, v161 :: v_dual_fma_f32 v91, v0 /*v256*/, v148, -v91
	v_dual_mul_f32 v31, v4 /*v260*/, v153 :: v_dual_mul_f32 v33, v14 /*v270*/, v155
	s_set_vgpr_msb 0                        ;  msbs: dst=0 src0=0 src1=0 src2=0
	v_add_f32_e32 v9, v9, v25
	s_set_vgpr_msb 1                        ;  msbs: dst=0 src0=1 src1=0 src2=0
	v_mul_f32_e32 v25, v27 /*v283*/, v163
	s_set_vgpr_msb 0                        ;  msbs: dst=0 src0=0 src1=0 src2=0
	v_add_f32_e32 v11, v11, v93
	s_set_vgpr_msb 1                        ;  msbs: dst=0 src0=1 src1=0 src2=0
	v_dual_mul_f32 v15, v5 /*v261*/, v153 :: v_dual_mul_f32 v17, v15 /*v271*/, v155
	s_set_vgpr_msb 0                        ;  msbs: dst=0 src0=0 src1=0 src2=0
	v_add_f32_e32 v9, v9, v27
	s_set_vgpr_msb 1                        ;  msbs: dst=0 src0=1 src1=0 src2=0
	v_dual_fmac_f32 v29, v3 /*v259*/, v150 :: v_dual_mul_f32 v27, v29 /*v285*/, v165
	s_set_vgpr_msb 0                        ;  msbs: dst=0 src0=0 src1=0 src2=0
	v_add_f32_e32 v11, v11, v95
	s_set_vgpr_msb 1                        ;  msbs: dst=0 src0=1 src1=0 src2=0
	v_dual_fma_f32 v13, v2 /*v258*/, v150, -v13 :: v_dual_fmac_f32 v31, v5 /*v261*/, v152
	v_fma_f32 v15, v4 /*v260*/, v152, -v15
	s_set_vgpr_msb 0                        ;  msbs: dst=0 src0=0 src1=0 src2=0
	v_dual_add_f32 v9, v9, v29 :: v_dual_add_f32 v11, v11, v91
	s_set_vgpr_msb 1                        ;  msbs: dst=0 src0=1 src1=0 src2=0
	v_dual_mul_f32 v35, v16 /*v272*/, v157 :: v_dual_mul_f32 v37, v18 /*v274*/, v159
	v_dual_mul_f32 v19, v17 /*v273*/, v157 :: v_dual_mul_f32 v21, v19 /*v275*/, v159
	s_set_vgpr_msb 0                        ;  msbs: dst=0 src0=0 src1=0 src2=0
	v_dual_add_f32 v11, v11, v13 :: v_dual_add_f32 v9, v9, v31
	s_set_vgpr_msb 1                        ;  msbs: dst=0 src0=1 src1=0 src2=0
	v_mul_f32_e32 v13, v31 /*v287*/, v167
	v_fmac_f32_e32 v33, v15 /*v271*/, v154
	v_dual_fma_f32 v17, v14 /*v270*/, v154, -v17 :: v_dual_fmac_f32 v35, v17 /*v273*/, v156
	s_set_vgpr_msb 0                        ;  msbs: dst=0 src0=0 src1=0 src2=0
	v_add_f32_e32 v11, v11, v15
	s_set_vgpr_msb 1                        ;  msbs: dst=0 src0=1 src1=0 src2=0
	v_dual_mul_f32 v15, v33 /*v289*/, v169 :: v_dual_fma_f32 v19, v16 /*v272*/, v156, -v19
	s_set_vgpr_msb 0                        ;  msbs: dst=0 src0=0 src1=0 src2=0
	v_add_f32_e32 v9, v9, v33
	s_set_vgpr_msb 1                        ;  msbs: dst=0 src0=1 src1=0 src2=0
	v_dual_mul_f32 v39, v20 /*v276*/, v161 :: v_dual_mul_f32 v41, v26 /*v282*/, v163
	s_set_vgpr_msb 0                        ;  msbs: dst=0 src0=0 src1=0 src2=0
	v_add_f32_e32 v11, v11, v17
	s_set_vgpr_msb 1                        ;  msbs: dst=0 src0=1 src1=0 src2=0
	v_mul_f32_e32 v17, v35 /*v291*/, v171
	v_fmac_f32_e32 v37, v19 /*v275*/, v158
	v_dual_fma_f32 v21, v18 /*v274*/, v158, -v21 :: v_dual_fmac_f32 v39, v21 /*v277*/, v160
	s_set_vgpr_msb 0                        ;  msbs: dst=0 src0=0 src1=0 src2=0
	v_add_f32_e32 v9, v9, v35
	v_add_f32_e32 v11, v11, v19
	s_set_vgpr_msb 1                        ;  msbs: dst=0 src0=1 src1=0 src2=0
	v_dual_mul_f32 v19, v37 /*v293*/, v173 :: v_dual_fma_f32 v23, v20 /*v276*/, v160, -v23
	v_dual_mul_f32 v43, v28 /*v284*/, v165 :: v_dual_mul_f32 v45, v30 /*v286*/, v167
	s_set_vgpr_msb 0                        ;  msbs: dst=0 src0=0 src1=0 src2=0
	v_add_f32_e32 v9, v9, v37
	v_add_f32_e32 v11, v11, v21
	s_set_vgpr_msb 1                        ;  msbs: dst=0 src0=1 src1=0 src2=0
	v_mul_f32_e32 v21, v39 /*v295*/, v175
	v_fmac_f32_e32 v41, v27 /*v283*/, v162
	v_dual_fma_f32 v25, v26 /*v282*/, v162, -v25 :: v_dual_fmac_f32 v43, v29 /*v285*/, v164
	s_set_vgpr_msb 0                        ;  msbs: dst=0 src0=0 src1=0 src2=0
	v_add_f32_e32 v9, v9, v39
	v_add_f32_e32 v11, v11, v23
	s_set_vgpr_msb 1                        ;  msbs: dst=0 src0=1 src1=0 src2=0
	v_dual_mul_f32 v23, v41 /*v297*/, v177 :: v_dual_fma_f32 v27, v28 /*v284*/, v164, -v27
	v_dual_mul_f32 v47, v32 /*v288*/, v169 :: v_dual_mul_f32 v49, v34 /*v290*/, v171
	s_set_vgpr_msb 0                        ;  msbs: dst=0 src0=0 src1=0 src2=0
	v_add_f32_e32 v9, v9, v41
	;; [unrolled: 13-line block ×9, first 2 shown]
	v_add_f32_e32 v11, v11, v21
	s_set_vgpr_msb 1                        ;  msbs: dst=0 src0=1 src1=0 src2=0
	v_mul_f32_e32 v21, v71 /*v327*/, v207
	v_fmac_f32_e32 v73, v59 /*v315*/, v194
	v_dual_fma_f32 v25, v58 /*v314*/, v194, -v25 :: v_dual_fmac_f32 v75, v61 /*v317*/, v196
	s_set_vgpr_msb 0                        ;  msbs: dst=0 src0=0 src1=0 src2=0
	v_add_f32_e32 v9, v9, v71
	v_add_f32_e32 v11, v11, v23
	s_set_vgpr_msb 1                        ;  msbs: dst=0 src0=1 src1=0 src2=0
	v_dual_mul_f32 v23, v73 /*v329*/, v209 :: v_dual_fma_f32 v27, v60 /*v316*/, v196, -v27
	v_fmac_f32_e32 v77, v63 /*v319*/, v198
	s_set_vgpr_msb 0                        ;  msbs: dst=0 src0=0 src1=0 src2=0
	v_add_f32_e32 v9, v9, v73
	v_add_f32_e32 v11, v11, v25
	s_set_vgpr_msb 1                        ;  msbs: dst=0 src0=1 src1=0 src2=0
	v_dual_mul_f32 v79, v64 /*v320*/, v201 :: v_dual_mul_f32 v81, v66 /*v322*/, v203
	v_fma_f32 v13, v62 /*v318*/, v198, -v13
	s_set_vgpr_msb 0                        ;  msbs: dst=0 src0=0 src1=0 src2=0
	v_add_f32_e32 v9, v9, v75
	v_add_f32_e32 v11, v11, v27
	s_set_vgpr_msb 1                        ;  msbs: dst=0 src0=1 src1=0 src2=0
	v_fmac_f32_e32 v79, v65 /*v321*/, v200
	v_dual_fma_f32 v15, v64 /*v320*/, v200, -v15 :: v_dual_fmac_f32 v81, v67 /*v323*/, v202
	s_set_vgpr_msb 0                        ;  msbs: dst=0 src0=0 src1=0 src2=0
	v_add_f32_e32 v9, v9, v77
	v_add_f32_e32 v11, v11, v13
	s_set_vgpr_msb 1                        ;  msbs: dst=0 src0=1 src1=0 src2=0
	v_dual_mul_f32 v83, v68 /*v324*/, v205 :: v_dual_mul_f32 v85, v70 /*v326*/, v207
	v_fma_f32 v17, v66 /*v322*/, v202, -v17
	s_set_vgpr_msb 0                        ;  msbs: dst=0 src0=0 src1=0 src2=0
	v_add_f32_e32 v9, v9, v79
	v_add_f32_e32 v11, v11, v15
	s_set_vgpr_msb 1                        ;  msbs: dst=0 src0=1 src1=0 src2=0
	v_fmac_f32_e32 v83, v69 /*v325*/, v204
	v_dual_fma_f32 v15, v68 /*v324*/, v204, -v19 :: v_dual_fmac_f32 v85, v71 /*v327*/, v206
	s_set_vgpr_msb 0                        ;  msbs: dst=0 src0=0 src1=0 src2=0
	v_add_f32_e32 v9, v9, v81
	v_add_f32_e32 v11, v11, v17
	s_set_vgpr_msb 1                        ;  msbs: dst=0 src0=1 src1=0 src2=0
	v_dual_fma_f32 v17, v70 /*v326*/, v206, -v21 :: v_dual_fmac_f32 v87, v73 /*v329*/, v208
	s_set_vgpr_msb 0                        ;  msbs: dst=0 src0=0 src1=0 src2=0
	v_dual_mul_f32 v25, v247, v211 :: v_dual_mul_f32 v27, v249, v213
	v_add_f32_e32 v9, v9, v83
	s_wait_loadcnt 0x4
	v_dual_add_f32 v11, v11, v15 :: v_dual_mov_b32 v134, v221
	s_set_vgpr_msb 1                        ;  msbs: dst=0 src0=1 src1=0 src2=0
	v_fma_f32 v15, v72 /*v328*/, v208, -v23
	s_set_vgpr_msb 64                       ;  msbs: dst=1 src0=0 src1=0 src2=0
	v_dual_mul_f32 v89 /*v345*/, v248, v213 :: v_dual_mul_f32 v91 /*v347*/, v250, v215
	s_set_vgpr_msb 0                        ;  msbs: dst=0 src0=0 src1=0 src2=0
	v_dual_add_f32 v9, v9, v85 :: v_dual_fmac_f32 v89, v247, v210
	v_dual_add_f32 v11, v11, v17 :: v_dual_fma_f32 v17, v246, v210, -v25
	v_dual_mul_f32 v13, v251, v215 :: v_dual_mov_b32 v130, v217
	s_set_vgpr_msb 64                       ;  msbs: dst=1 src0=0 src1=0 src2=0
	v_dual_fmac_f32 v89 /*v345*/, v249, v212 :: v_dual_fmac_f32 v91 /*v347*/, v251, v214
	s_set_vgpr_msb 0                        ;  msbs: dst=0 src0=0 src1=0 src2=0
	v_add_f32_e32 v11, v11, v15
	v_add_f32_e32 v9, v9, v87
	s_set_vgpr_msb 64                       ;  msbs: dst=1 src0=0 src1=0 src2=0
	v_dual_fma_f32 v88 /*v344*/, v248, v212, -v27 :: v_dual_fma_f32 v90 /*v346*/, v250, v214, -v13
	s_set_vgpr_msb 1                        ;  msbs: dst=0 src0=1 src1=0 src2=0
	v_pk_mul_f32 v[130:131], v[80:81] /*v[336:337]*/, v[130:131] op_sel_hi:[1,0]
	s_set_vgpr_msb 0                        ;  msbs: dst=0 src0=0 src1=0 src2=0
	v_add_f32_e32 v138, v11, v17
	v_add_f32_e32 v139, v9, v89
	s_set_vgpr_msb 1                        ;  msbs: dst=0 src0=1 src1=0 src2=0
	v_pk_mul_f32 v[132:133], v[6:7] /*v[262:263]*/, v[218:219] op_sel:[1,1] op_sel_hi:[0,1]
	v_pk_mul_f32 v[134:135], v[82:83] /*v[338:339]*/, v[134:135] op_sel_hi:[1,0]
	s_set_vgpr_msb 0                        ;  msbs: dst=0 src0=0 src1=0 src2=0
	v_pk_fma_f32 v[142:143], v[252:253], v[216:217], v[130:131] op_sel_hi:[1,0,1]
	v_pk_fma_f32 v[130:131], v[252:253], v[216:217], v[130:131] neg_lo:[0,0,1] neg_hi:[0,0,1]
	s_set_vgpr_msb 4                        ;  msbs: dst=0 src0=0 src1=1 src2=0
	v_pk_add_f32 v[138:139], v[138:139], v[88:89] /*v[344:345]*/
	s_wait_loadcnt 0x3
	v_mov_b32_e32 v140, v225
	s_set_vgpr_msb 1                        ;  msbs: dst=0 src0=1 src1=0 src2=0
	v_pk_fma_f32 v[144:145], v[6:7] /*v[262:263]*/, v[218:219], v[132:133] op_sel_hi:[1,0,1]
	s_set_vgpr_msb 0                        ;  msbs: dst=0 src0=0 src1=0 src2=0
	v_mov_b32_e32 v131, v143
	s_set_vgpr_msb 1                        ;  msbs: dst=0 src0=1 src1=0 src2=0
	v_pk_fma_f32 v[132:133], v[6:7] /*v[262:263]*/, v[218:219], v[132:133] neg_lo:[0,0,1] neg_hi:[0,0,1]
	s_set_vgpr_msb 4                        ;  msbs: dst=0 src0=0 src1=1 src2=0
	v_pk_add_f32 v[138:139], v[138:139], v[90:91] /*v[346:347]*/
	s_set_vgpr_msb 1                        ;  msbs: dst=0 src0=1 src1=0 src2=0
	v_pk_mul_f32 v[136:137], v[10:11] /*v[266:267]*/, v[222:223] op_sel:[1,1] op_sel_hi:[0,1]
	s_set_vgpr_msb 0                        ;  msbs: dst=0 src0=0 src1=0 src2=0
	v_mov_b32_e32 v133, v145
	s_set_vgpr_msb 1                        ;  msbs: dst=0 src0=1 src1=0 src2=0
	v_pk_fma_f32 v[144:145], v[8:9] /*v[264:265]*/, v[220:221], v[134:135] op_sel_hi:[1,0,1]
	v_pk_fma_f32 v[134:135], v[8:9] /*v[264:265]*/, v[220:221], v[134:135] neg_lo:[0,0,1] neg_hi:[0,0,1]
	s_set_vgpr_msb 0                        ;  msbs: dst=0 src0=0 src1=0 src2=0
	v_pk_add_f32 v[130:131], v[138:139], v[130:131]
	s_set_vgpr_msb 1                        ;  msbs: dst=0 src0=1 src1=0 src2=0
	v_pk_fma_f32 v[138:139], v[10:11] /*v[266:267]*/, v[222:223], v[136:137] op_sel_hi:[1,0,1]
	v_pk_mul_f32 v[140:141], v[84:85] /*v[340:341]*/, v[140:141] op_sel_hi:[1,0]
	s_set_vgpr_msb 0                        ;  msbs: dst=0 src0=0 src1=0 src2=0
	v_mov_b32_e32 v135, v145
	s_set_vgpr_msb 1                        ;  msbs: dst=0 src0=1 src1=0 src2=0
	v_pk_fma_f32 v[136:137], v[10:11] /*v[266:267]*/, v[222:223], v[136:137] neg_lo:[0,0,1] neg_hi:[0,0,1]
	s_set_vgpr_msb 0                        ;  msbs: dst=0 src0=0 src1=0 src2=0
	v_pk_add_f32 v[130:131], v[130:131], v[132:133]
	s_wait_loadcnt 0x2
	s_set_vgpr_msb 1                        ;  msbs: dst=0 src0=1 src1=0 src2=0
	v_pk_mul_f32 v[142:143], v[22:23] /*v[278:279]*/, v[226:227] op_sel:[1,1] op_sel_hi:[0,1]
	s_set_vgpr_msb 0                        ;  msbs: dst=0 src0=0 src1=0 src2=0
	v_dual_mov_b32 v132, v229 :: v_dual_mov_b32 v137, v139
	s_set_vgpr_msb 1                        ;  msbs: dst=0 src0=1 src1=0 src2=0
	v_pk_fma_f32 v[138:139], v[12:13] /*v[268:269]*/, v[224:225], v[140:141] op_sel_hi:[1,0,1]
	s_set_vgpr_msb 0                        ;  msbs: dst=0 src0=0 src1=0 src2=0
	v_pk_add_f32 v[130:131], v[130:131], v[134:135]
	s_set_vgpr_msb 1                        ;  msbs: dst=0 src0=1 src1=0 src2=0
	v_pk_fma_f32 v[140:141], v[12:13] /*v[268:269]*/, v[224:225], v[140:141] neg_lo:[0,0,1] neg_hi:[0,0,1]
	v_pk_fma_f32 v[134:135], v[22:23] /*v[278:279]*/, v[226:227], v[142:143] op_sel_hi:[1,0,1]
	v_pk_mul_f32 v[132:133], v[86:87] /*v[342:343]*/, v[132:133] op_sel_hi:[1,0]
	s_set_vgpr_msb 0                        ;  msbs: dst=0 src0=0 src1=0 src2=0
	v_mov_b32_e32 v141, v139
	v_pk_add_f32 v[130:131], v[130:131], v[136:137]
	s_set_vgpr_msb 1                        ;  msbs: dst=0 src0=1 src1=0 src2=0
	v_pk_fma_f32 v[136:137], v[22:23] /*v[278:279]*/, v[226:227], v[142:143] neg_lo:[0,0,1] neg_hi:[0,0,1]
	s_set_vgpr_msb 0                        ;  msbs: dst=0 src0=0 src1=0 src2=0
	v_mov_b32_e32 v137, v135
	s_set_vgpr_msb 1                        ;  msbs: dst=0 src0=1 src1=0 src2=0
	v_pk_fma_f32 v[134:135], v[24:25] /*v[280:281]*/, v[228:229], v[132:133] op_sel_hi:[1,0,1]
	s_wait_loadcnt_dscnt 0x100
	s_set_vgpr_msb 5                        ;  msbs: dst=0 src0=1 src1=1 src2=0
	v_pk_mul_f32 v[138:139], v[78:79] /*v[334:335]*/, v[74:75] /*v[330:331]*/ op_sel:[1,1] op_sel_hi:[0,1]
	s_set_vgpr_msb 0                        ;  msbs: dst=0 src0=0 src1=0 src2=0
	v_pk_add_f32 v[130:131], v[130:131], v[140:141]
	s_set_vgpr_msb 1                        ;  msbs: dst=0 src0=1 src1=0 src2=0
	v_pk_fma_f32 v[132:133], v[24:25] /*v[280:281]*/, v[228:229], v[132:133] neg_lo:[0,0,1] neg_hi:[0,0,1]
	s_set_vgpr_msb 0                        ;  msbs: dst=0 src0=0 src1=0 src2=0
	v_mov_b32_e32 v133, v135
	s_set_vgpr_msb 5                        ;  msbs: dst=0 src0=1 src1=1 src2=0
	v_pk_fma_f32 v[134:135], v[78:79] /*v[334:335]*/, v[74:75] /*v[330:331]*/, v[138:139] op_sel_hi:[1,0,1]
	s_set_vgpr_msb 0                        ;  msbs: dst=0 src0=0 src1=0 src2=0
	v_pk_add_f32 v[130:131], v[130:131], v[136:137]
	s_set_vgpr_msb 5                        ;  msbs: dst=0 src0=1 src1=1 src2=0
	v_pk_fma_f32 v[136:137], v[78:79] /*v[334:335]*/, v[74:75] /*v[330:331]*/, v[138:139] neg_lo:[0,0,1] neg_hi:[0,0,1]
	s_set_vgpr_msb 0                        ;  msbs: dst=0 src0=0 src1=0 src2=0
	v_mov_b32_e32 v137, v135
	v_pk_add_f32 v[130:131], v[130:131], v[132:133]
	s_delay_alu instid0(VALU_DEP_1) | instskip(SKIP_2) | instid1(VALU_DEP_1)
	v_pk_add_f32 v[130:131], v[130:131], v[136:137]
	s_wait_loadcnt 0x0
	s_set_vgpr_msb 1                        ;  msbs: dst=0 src0=1 src1=0 src2=0
	v_pk_add_f32 v[130:131], v[76:77] /*v[332:333]*/, v[130:131] neg_lo:[0,1] neg_hi:[0,1]
	scratch_store_b64 off, v[130:131], off offset:96
	s_wait_xcnt 0x0
	v_cmpx_lt_u32_e32 11, v0
	s_set_vgpr_msb 0                        ;  msbs: dst=0 src0=0 src1=0 src2=0
	s_cbranch_execz .LBB127_375
; %bb.374:
	scratch_load_b64 v[130:131], off, off offset:88
	v_mov_b64_e32 v[132:133], 0
	scratch_store_b64 off, v[132:133], off offset:88
	s_wait_loadcnt 0x0
	ds_store_b64 v1, v[130:131]
.LBB127_375:
	s_wait_xcnt 0x0
	s_or_b32 exec_lo, exec_lo, s0
	s_wait_storecnt_dscnt 0x0
	s_barrier_signal -1
	s_barrier_wait -1
	s_clause 0x18
	scratch_load_b128 v[130:133], off, off offset:96
	scratch_load_b128 v[134:137], off, off offset:112
	;; [unrolled: 1-line block ×25, first 2 shown]
	ds_load_b128 v[230:233], v7 offset:608
	ds_load_b128 v[234:237], v7 offset:624
	scratch_load_b128 v[238:241], off, off offset:496
	ds_load_b128 v[242:245], v7 offset:640
	ds_load_b128 v[246:249], v7 offset:656
	;; [unrolled: 1-line block ×4, first 2 shown]
	s_set_vgpr_msb 64                       ;  msbs: dst=1 src0=0 src1=0 src2=0
	ds_load_b128 v[2:5] /*v[258:261]*/, v7 offset:960
	ds_load_b128 v[6:9] /*v[262:265]*/, v7 offset:704
	;; [unrolled: 1-line block ×20, first 2 shown]
	scratch_load_b64 v[82:83] /*v[338:339]*/, off, off offset:88
	s_wait_dscnt 0x13
	s_set_vgpr_msb 0x41                     ;  msbs: dst=1 src0=1 src1=0 src2=0
	v_dual_mov_b32 v84 /*v340*/, v5 /*v261*/ :: v_dual_mov_b32 v85 /*v341*/, v4 /*v260*/
	s_wait_dscnt 0x10
	v_dual_mov_b32 v86 /*v342*/, v17 /*v273*/ :: v_dual_mov_b32 v87 /*v343*/, v16 /*v272*/
	s_wait_dscnt 0xf
	;; [unrolled: 2-line block ×3, first 2 shown]
	v_dual_mov_b32 v90 /*v346*/, v33 /*v289*/ :: v_dual_mov_b32 v91 /*v347*/, v32 /*v288*/
	s_mov_b32 s0, exec_lo
	s_wait_loadcnt 0x1a
	s_set_vgpr_msb 0                        ;  msbs: dst=0 src0=0 src1=0 src2=0
	v_dual_mul_f32 v7, v230, v131 :: v_dual_mul_f32 v9, v232, v133
	s_wait_loadcnt 0x19
	v_dual_mul_f32 v91, v231, v131 :: v_dual_mul_f32 v97, v237, v137
	v_dual_mul_f32 v11, v234, v135 :: v_dual_mul_f32 v13, v236, v137
	s_delay_alu instid0(VALU_DEP_3) | instskip(SKIP_4) | instid1(VALU_DEP_3)
	v_dual_fmac_f32 v7, v231, v130 :: v_dual_fmac_f32 v9, v233, v132
	s_wait_loadcnt 0x15
	v_dual_mul_f32 v27, v254, v151 :: v_dual_mul_f32 v93, v233, v133
	v_dual_mul_f32 v95, v235, v135 :: v_dual_mul_f32 v101, v245, v141
	v_dual_mul_f32 v99, v243, v139 :: v_dual_fma_f32 v91, v230, v130, -v91
	v_dual_mul_f32 v103, v247, v143 :: v_dual_fma_f32 v93, v232, v132, -v93
	v_dual_add_f32 v7, 0, v7 :: v_dual_fmac_f32 v11, v235, v134
	s_delay_alu instid0(VALU_DEP_3)
	v_dual_fmac_f32 v13, v237, v136 :: v_dual_add_f32 v91, 0, v91
	v_mul_f32_e32 v105, v249, v145
	s_wait_loadcnt_dscnt 0x601
	s_set_vgpr_msb 1                        ;  msbs: dst=0 src0=1 src1=0 src2=0
	v_mul_f32_e32 v89, v76 /*v332*/, v213
	s_set_vgpr_msb 0                        ;  msbs: dst=0 src0=0 src1=0 src2=0
	v_dual_fma_f32 v95, v234, v134, -v95 :: v_dual_add_f32 v7, v7, v9
	v_dual_mul_f32 v15, v242, v139 :: v_dual_mul_f32 v17, v244, v141
	v_dual_add_f32 v9, v91, v93 :: v_dual_fma_f32 v93, v236, v136, -v97
	s_delay_alu instid0(VALU_DEP_3) | instskip(NEXT) | instid1(VALU_DEP_3)
	v_add_f32_e32 v7, v7, v11
	v_dual_fmac_f32 v15, v243, v138 :: v_dual_mul_f32 v19, v246, v143
	s_delay_alu instid0(VALU_DEP_3) | instskip(NEXT) | instid1(VALU_DEP_3)
	v_dual_mul_f32 v21, v248, v145 :: v_dual_add_f32 v9, v9, v95
	v_dual_fma_f32 v95, v242, v138, -v99 :: v_dual_add_f32 v7, v7, v13
	v_dual_fmac_f32 v17, v245, v140 :: v_dual_mul_f32 v13, v255, v151
	s_delay_alu instid0(VALU_DEP_3) | instskip(NEXT) | instid1(VALU_DEP_3)
	v_dual_add_f32 v9, v9, v93 :: v_dual_fma_f32 v93, v244, v140, -v101
	v_add_f32_e32 v7, v7, v15
	v_dual_fmac_f32 v19, v247, v142 :: v_dual_mul_f32 v23, v250, v147
	s_delay_alu instid0(VALU_DEP_3) | instskip(NEXT) | instid1(VALU_DEP_3)
	v_dual_mul_f32 v25, v252, v149 :: v_dual_add_f32 v9, v9, v95
	v_dual_fma_f32 v95, v246, v142, -v103 :: v_dual_add_f32 v7, v7, v17
	v_dual_mul_f32 v91, v251, v147 :: v_dual_mul_f32 v11, v253, v149
	s_delay_alu instid0(VALU_DEP_3) | instskip(NEXT) | instid1(VALU_DEP_3)
	v_dual_add_f32 v9, v9, v93 :: v_dual_fma_f32 v93, v248, v144, -v105
	v_dual_fmac_f32 v21, v249, v144 :: v_dual_add_f32 v7, v7, v19
	s_delay_alu instid0(VALU_DEP_2) | instskip(NEXT) | instid1(VALU_DEP_4)
	v_dual_fmac_f32 v23, v251, v146 :: v_dual_add_f32 v9, v9, v95
	v_fma_f32 v91, v250, v146, -v91
	s_set_vgpr_msb 1                        ;  msbs: dst=0 src0=1 src1=0 src2=0
	v_dual_mul_f32 v29, v0 /*v256*/, v153 :: v_dual_mul_f32 v31, v6 /*v262*/, v155
	s_set_vgpr_msb 0                        ;  msbs: dst=0 src0=0 src1=0 src2=0
	v_add_f32_e32 v7, v7, v21
	v_dual_add_f32 v9, v9, v93 :: v_dual_fma_f32 v11, v252, v148, -v11
	v_fmac_f32_e32 v25, v253, v148
	s_set_vgpr_msb 1                        ;  msbs: dst=0 src0=1 src1=0 src2=0
	v_dual_mul_f32 v15, v1 /*v257*/, v153 :: v_dual_mul_f32 v17, v7 /*v263*/, v155
	s_set_vgpr_msb 0                        ;  msbs: dst=0 src0=0 src1=0 src2=0
	v_add_f32_e32 v7, v7, v23
	v_dual_add_f32 v9, v9, v91 :: v_dual_fmac_f32 v27, v255, v150
	v_fma_f32 v13, v254, v150, -v13
	s_set_vgpr_msb 1                        ;  msbs: dst=0 src0=1 src1=0 src2=0
	v_dual_fmac_f32 v29, v1 /*v257*/, v152 :: v_dual_fma_f32 v15, v0 /*v256*/, v152, -v15
	s_set_vgpr_msb 0                        ;  msbs: dst=0 src0=0 src1=0 src2=0
	v_add_f32_e32 v7, v7, v25
	s_set_vgpr_msb 1                        ;  msbs: dst=0 src0=1 src1=0 src2=0
	v_dual_mul_f32 v33, v8 /*v264*/, v157 :: v_dual_mul_f32 v35, v10 /*v266*/, v159
	v_dual_mul_f32 v19, v9 /*v265*/, v157 :: v_dual_mul_f32 v21, v11 /*v267*/, v159
	s_set_vgpr_msb 0                        ;  msbs: dst=0 src0=0 src1=0 src2=0
	v_add_f32_e32 v7, v7, v27
	v_add_f32_e32 v9, v9, v11
	s_set_vgpr_msb 1                        ;  msbs: dst=0 src0=1 src1=0 src2=0
	v_dual_fmac_f32 v31, v7 /*v263*/, v154 :: v_dual_fma_f32 v17, v6 /*v262*/, v154, -v17
	v_dual_fmac_f32 v33, v9 /*v265*/, v156 :: v_dual_fma_f32 v19, v8 /*v264*/, v156, -v19
	s_set_vgpr_msb 0                        ;  msbs: dst=0 src0=0 src1=0 src2=0
	v_add_f32_e32 v7, v7, v29
	v_add_f32_e32 v9, v9, v13
	s_set_vgpr_msb 1                        ;  msbs: dst=0 src0=1 src1=0 src2=0
	v_mul_f32_e32 v13, v25 /*v281*/, v165
	v_dual_mul_f32 v37, v12 /*v268*/, v161 :: v_dual_mul_f32 v39, v22 /*v278*/, v163
	s_set_vgpr_msb 0                        ;  msbs: dst=0 src0=0 src1=0 src2=0
	v_add_f32_e32 v7, v7, v31
	v_add_f32_e32 v9, v9, v15
	s_set_vgpr_msb 1                        ;  msbs: dst=0 src0=1 src1=0 src2=0
	v_dual_mul_f32 v23, v13 /*v269*/, v161 :: v_dual_mul_f32 v11, v23 /*v279*/, v163
	v_mul_f32_e32 v15, v27 /*v283*/, v167
	v_fmac_f32_e32 v35, v11 /*v267*/, v158
	s_set_vgpr_msb 0                        ;  msbs: dst=0 src0=0 src1=0 src2=0
	v_add_f32_e32 v7, v7, v33
	v_add_f32_e32 v9, v9, v17
	s_set_vgpr_msb 1                        ;  msbs: dst=0 src0=1 src1=0 src2=0
	v_dual_mul_f32 v17, v29 /*v285*/, v169 :: v_dual_fma_f32 v21, v10 /*v266*/, v158, -v21
	v_dual_fmac_f32 v37, v13 /*v269*/, v160 :: v_dual_fma_f32 v23, v12 /*v268*/, v160, -v23
	s_set_vgpr_msb 0                        ;  msbs: dst=0 src0=0 src1=0 src2=0
	v_add_f32_e32 v7, v7, v35
	v_add_f32_e32 v9, v9, v19
	s_set_vgpr_msb 1                        ;  msbs: dst=0 src0=1 src1=0 src2=0
	v_dual_mul_f32 v41, v24 /*v280*/, v165 :: v_dual_mul_f32 v43, v26 /*v282*/, v167
	v_mul_f32_e32 v19, v35 /*v291*/, v171
	v_fmac_f32_e32 v39, v23 /*v279*/, v162
	s_set_vgpr_msb 0                        ;  msbs: dst=0 src0=0 src1=0 src2=0
	v_add_f32_e32 v7, v7, v37
	v_add_f32_e32 v9, v9, v21
	s_set_vgpr_msb 1                        ;  msbs: dst=0 src0=1 src1=0 src2=0
	v_mul_f32_e32 v21, v37 /*v293*/, v173
	v_dual_fmac_f32 v41, v25 /*v281*/, v164 :: v_dual_fmac_f32 v43, v27 /*v283*/, v166
	v_fma_f32 v13, v24 /*v280*/, v164, -v13
	s_set_vgpr_msb 0                        ;  msbs: dst=0 src0=0 src1=0 src2=0
	v_add_f32_e32 v7, v7, v39
	s_set_vgpr_msb 1                        ;  msbs: dst=0 src0=1 src1=0 src2=0
	v_dual_mul_f32 v45, v28 /*v284*/, v169 :: v_dual_mul_f32 v47, v34 /*v290*/, v171
	s_set_vgpr_msb 0                        ;  msbs: dst=0 src0=0 src1=0 src2=0
	v_add_f32_e32 v9, v9, v23
	s_set_vgpr_msb 1                        ;  msbs: dst=0 src0=1 src1=0 src2=0
	v_dual_fma_f32 v11, v22 /*v278*/, v162, -v11 :: v_dual_mul_f32 v23, v39 /*v295*/, v175
	s_set_vgpr_msb 0                        ;  msbs: dst=0 src0=0 src1=0 src2=0
	v_add_f32_e32 v7, v7, v41
	s_set_vgpr_msb 1                        ;  msbs: dst=0 src0=1 src1=0 src2=0
	v_dual_fmac_f32 v45, v29 /*v285*/, v168 :: v_dual_fmac_f32 v47, v35 /*v291*/, v170
	v_fma_f32 v17, v28 /*v284*/, v168, -v17
	v_dual_mul_f32 v49, v36 /*v292*/, v173 :: v_dual_mul_f32 v51, v38 /*v294*/, v175
	s_set_vgpr_msb 0                        ;  msbs: dst=0 src0=0 src1=0 src2=0
	v_add_f32_e32 v7, v7, v43
	v_add_f32_e32 v9, v9, v11
	s_set_vgpr_msb 1                        ;  msbs: dst=0 src0=1 src1=0 src2=0
	v_dual_mul_f32 v11, v41 /*v297*/, v177 :: v_dual_fma_f32 v15, v26 /*v282*/, v166, -v15
	v_dual_fmac_f32 v49, v37 /*v293*/, v172 :: v_dual_fmac_f32 v51, v39 /*v295*/, v174
	s_set_vgpr_msb 0                        ;  msbs: dst=0 src0=0 src1=0 src2=0
	v_add_f32_e32 v7, v7, v45
	v_add_f32_e32 v9, v9, v13
	s_set_vgpr_msb 1                        ;  msbs: dst=0 src0=1 src1=0 src2=0
	v_fma_f32 v21, v36 /*v292*/, v172, -v21
	v_dual_mul_f32 v53, v40 /*v296*/, v177 :: v_dual_mul_f32 v55, v42 /*v298*/, v179
	s_set_vgpr_msb 0                        ;  msbs: dst=0 src0=0 src1=0 src2=0
	v_add_f32_e32 v7, v7, v47
	s_set_vgpr_msb 1                        ;  msbs: dst=0 src0=1 src1=0 src2=0
	v_mul_f32_e32 v13, v43 /*v299*/, v179
	s_set_vgpr_msb 0                        ;  msbs: dst=0 src0=0 src1=0 src2=0
	v_add_f32_e32 v9, v9, v15
	s_set_vgpr_msb 1                        ;  msbs: dst=0 src0=1 src1=0 src2=0
	v_dual_mul_f32 v15, v45 /*v301*/, v181 :: v_dual_fma_f32 v19, v34 /*v290*/, v170, -v19
	s_set_vgpr_msb 0                        ;  msbs: dst=0 src0=0 src1=0 src2=0
	v_add_f32_e32 v7, v7, v49
	s_set_vgpr_msb 1                        ;  msbs: dst=0 src0=1 src1=0 src2=0
	v_dual_fmac_f32 v53, v41 /*v297*/, v176 :: v_dual_fma_f32 v11, v40 /*v296*/, v176, -v11
	s_set_vgpr_msb 0                        ;  msbs: dst=0 src0=0 src1=0 src2=0
	v_add_f32_e32 v9, v9, v17
	s_set_vgpr_msb 1                        ;  msbs: dst=0 src0=1 src1=0 src2=0
	v_dual_fmac_f32 v55, v43 /*v299*/, v178 :: v_dual_fma_f32 v13, v42 /*v298*/, v178, -v13
	s_set_vgpr_msb 0                        ;  msbs: dst=0 src0=0 src1=0 src2=0
	v_add_f32_e32 v7, v7, v51
	s_set_vgpr_msb 1                        ;  msbs: dst=0 src0=1 src1=0 src2=0
	v_dual_mul_f32 v57, v44 /*v300*/, v181 :: v_dual_mul_f32 v59, v46 /*v302*/, v183
	v_mul_f32_e32 v17, v47 /*v303*/, v183
	s_set_vgpr_msb 0                        ;  msbs: dst=0 src0=0 src1=0 src2=0
	v_dual_add_f32 v9, v9, v19 :: v_dual_add_f32 v7, v7, v53
	s_set_vgpr_msb 1                        ;  msbs: dst=0 src0=1 src1=0 src2=0
	v_dual_mul_f32 v19, v49 /*v305*/, v185 :: v_dual_fma_f32 v23, v38 /*v294*/, v174, -v23
	v_dual_fmac_f32 v57, v45 /*v301*/, v180 :: v_dual_fma_f32 v15, v44 /*v300*/, v180, -v15
	s_set_vgpr_msb 0                        ;  msbs: dst=0 src0=0 src1=0 src2=0
	v_add_f32_e32 v9, v9, v21
	s_set_vgpr_msb 1                        ;  msbs: dst=0 src0=1 src1=0 src2=0
	v_dual_fmac_f32 v59, v47 /*v303*/, v182 :: v_dual_fma_f32 v17, v46 /*v302*/, v182, -v17
	s_set_vgpr_msb 0                        ;  msbs: dst=0 src0=0 src1=0 src2=0
	v_add_f32_e32 v7, v7, v55
	s_set_vgpr_msb 1                        ;  msbs: dst=0 src0=1 src1=0 src2=0
	v_dual_mul_f32 v61, v48 /*v304*/, v185 :: v_dual_mul_f32 v63, v50 /*v306*/, v187
	v_mul_f32_e32 v21, v51 /*v307*/, v187
	s_set_vgpr_msb 0                        ;  msbs: dst=0 src0=0 src1=0 src2=0
	v_dual_add_f32 v9, v9, v23 :: v_dual_add_f32 v7, v7, v57
	s_set_vgpr_msb 1                        ;  msbs: dst=0 src0=1 src1=0 src2=0
	v_dual_fmac_f32 v61, v49 /*v305*/, v184 :: v_dual_fma_f32 v19, v48 /*v304*/, v184, -v19
	v_dual_fmac_f32 v63, v51 /*v307*/, v186 :: v_dual_fma_f32 v21, v50 /*v306*/, v186, -v21
	s_set_vgpr_msb 0                        ;  msbs: dst=0 src0=0 src1=0 src2=0
	v_add_f32_e32 v7, v7, v59
	v_add_f32_e32 v9, v9, v11
	s_set_vgpr_msb 1                        ;  msbs: dst=0 src0=1 src1=0 src2=0
	v_dual_mul_f32 v65, v52 /*v308*/, v189 :: v_dual_mul_f32 v67, v54 /*v310*/, v191
	v_dual_mul_f32 v23, v53 /*v309*/, v189 :: v_dual_mul_f32 v11, v55 /*v311*/, v191
	s_set_vgpr_msb 0                        ;  msbs: dst=0 src0=0 src1=0 src2=0
	v_add_f32_e32 v7, v7, v61
	v_add_f32_e32 v9, v9, v13
	s_set_vgpr_msb 1                        ;  msbs: dst=0 src0=1 src1=0 src2=0
	v_dual_fmac_f32 v65, v53 /*v309*/, v188 :: v_dual_fma_f32 v23, v52 /*v308*/, v188, -v23
	v_dual_mul_f32 v69, v56 /*v312*/, v193 :: v_dual_mul_f32 v71, v58 /*v314*/, v195
	s_set_vgpr_msb 0                        ;  msbs: dst=0 src0=0 src1=0 src2=0
	v_add_f32_e32 v7, v7, v63
	v_add_f32_e32 v9, v9, v15
	s_set_vgpr_msb 1                        ;  msbs: dst=0 src0=1 src1=0 src2=0
	v_dual_fmac_f32 v67, v55 /*v311*/, v190 :: v_dual_fmac_f32 v69, v57 /*v313*/, v192
	v_dual_mul_f32 v73, v60 /*v316*/, v197 :: v_dual_mul_f32 v75, v62 /*v318*/, v199
	s_set_vgpr_msb 0                        ;  msbs: dst=0 src0=0 src1=0 src2=0
	v_add_f32_e32 v7, v7, v65
	v_add_f32_e32 v9, v9, v17
	s_set_vgpr_msb 1                        ;  msbs: dst=0 src0=1 src1=0 src2=0
	v_dual_mul_f32 v77, v64 /*v320*/, v201 :: v_dual_mul_f32 v79, v66 /*v322*/, v203
	v_dual_fmac_f32 v71, v59 /*v315*/, v194 :: v_dual_fmac_f32 v73, v61 /*v317*/, v196
	s_set_vgpr_msb 0                        ;  msbs: dst=0 src0=0 src1=0 src2=0
	v_add_f32_e32 v7, v7, v67
	v_add_f32_e32 v9, v9, v19
	s_set_vgpr_msb 1                        ;  msbs: dst=0 src0=1 src1=0 src2=0
	v_fma_f32 v11, v54 /*v310*/, v190, -v11
	v_dual_fmac_f32 v79, v67 /*v323*/, v202 :: v_dual_mul_f32 v13, v57 /*v313*/, v193
	v_mul_f32_e32 v15, v59 /*v315*/, v195
	s_set_vgpr_msb 0                        ;  msbs: dst=0 src0=0 src1=0 src2=0
	v_add_f32_e32 v7, v7, v69
	v_add_f32_e32 v9, v9, v21
	s_set_vgpr_msb 1                        ;  msbs: dst=0 src0=1 src1=0 src2=0
	v_dual_mul_f32 v21, v65 /*v321*/, v201 :: v_dual_fmac_f32 v75, v63 /*v319*/, v198
	v_fmac_f32_e32 v77, v65 /*v321*/, v200
	v_fma_f32 v13, v56 /*v312*/, v192, -v13
	v_dual_mul_f32 v81, v68 /*v324*/, v205 :: v_dual_mul_f32 v83, v70 /*v326*/, v207
	s_delay_alu instid0(VALU_DEP_4)
	v_fma_f32 v21, v64 /*v320*/, v200, -v21
	s_set_vgpr_msb 0                        ;  msbs: dst=0 src0=0 src1=0 src2=0
	v_add_f32_e32 v7, v7, v71
	v_add_f32_e32 v9, v9, v23
	s_set_vgpr_msb 1                        ;  msbs: dst=0 src0=1 src1=0 src2=0
	v_dual_mul_f32 v23, v67 /*v323*/, v203 :: v_dual_mul_f32 v17, v61 /*v317*/, v197
	v_mul_f32_e32 v19, v63 /*v319*/, v199
	s_set_vgpr_msb 0                        ;  msbs: dst=0 src0=0 src1=0 src2=0
	v_add_f32_e32 v7, v7, v73
	s_set_vgpr_msb 1                        ;  msbs: dst=0 src0=1 src1=0 src2=0
	v_fma_f32 v15, v58 /*v314*/, v194, -v15
	s_wait_loadcnt 0x4
	s_set_vgpr_msb 0                        ;  msbs: dst=0 src0=0 src1=0 src2=0
	v_mov_b32_e32 v132, v221
	s_set_vgpr_msb 1                        ;  msbs: dst=0 src0=1 src1=0 src2=0
	v_fma_f32 v17, v60 /*v316*/, v196, -v17
	v_dual_mul_f32 v85, v72 /*v328*/, v209 :: v_dual_mul_f32 v87, v74 /*v330*/, v211
	s_set_vgpr_msb 0                        ;  msbs: dst=0 src0=0 src1=0 src2=0
	v_add_f32_e32 v7, v7, v75
	v_add_f32_e32 v9, v9, v11
	s_set_vgpr_msb 1                        ;  msbs: dst=0 src0=1 src1=0 src2=0
	v_dual_mul_f32 v11, v69 /*v325*/, v205 :: v_dual_fmac_f32 v81, v69 /*v325*/, v204
	v_fma_f32 v19, v62 /*v318*/, v198, -v19
	s_set_vgpr_msb 0                        ;  msbs: dst=0 src0=0 src1=0 src2=0
	v_add_f32_e32 v7, v7, v77
	v_add_f32_e32 v9, v9, v13
	s_set_vgpr_msb 1                        ;  msbs: dst=0 src0=1 src1=0 src2=0
	v_dual_mul_f32 v13, v71 /*v327*/, v207 :: v_dual_fma_f32 v11, v68 /*v324*/, v204, -v11
	v_dual_fmac_f32 v83, v71 /*v327*/, v206 :: v_dual_fmac_f32 v85, v73 /*v329*/, v208
	s_set_vgpr_msb 0                        ;  msbs: dst=0 src0=0 src1=0 src2=0
	v_add_f32_e32 v7, v7, v79
	v_add_f32_e32 v9, v9, v15
	s_set_vgpr_msb 1                        ;  msbs: dst=0 src0=1 src1=0 src2=0
	v_dual_mul_f32 v15, v73 /*v329*/, v209 :: v_dual_fma_f32 v23, v66 /*v322*/, v202, -v23
	v_dual_fmac_f32 v87, v75 /*v331*/, v210 :: v_dual_fmac_f32 v89, v77 /*v333*/, v212
	s_set_vgpr_msb 0                        ;  msbs: dst=0 src0=0 src1=0 src2=0
	v_add_f32_e32 v7, v7, v81
	v_add_f32_e32 v9, v9, v17
	s_wait_loadcnt 0x3
	v_mov_b32_e32 v136, v225
	s_set_vgpr_msb 1                        ;  msbs: dst=0 src0=1 src1=0 src2=0
	v_dual_fma_f32 v13, v70 /*v326*/, v206, -v13 :: v_dual_mul_f32 v17, v75 /*v331*/, v211
	s_set_vgpr_msb 0                        ;  msbs: dst=0 src0=0 src1=0 src2=0
	v_add_f32_e32 v7, v7, v83
	v_add_f32_e32 v9, v9, v19
	s_set_vgpr_msb 1                        ;  msbs: dst=0 src0=1 src1=0 src2=0
	v_mul_f32_e32 v19, v77 /*v333*/, v213
	s_wait_dscnt 0x0
	s_set_vgpr_msb 0x41                     ;  msbs: dst=1 src0=1 src1=0 src2=0
	v_dual_mul_f32 v93 /*v349*/, v78 /*v334*/, v215 :: v_dual_mul_f32 v95 /*v351*/, v80 /*v336*/, v217
	s_set_vgpr_msb 0                        ;  msbs: dst=0 src0=0 src1=0 src2=0
	v_add_f32_e32 v7, v7, v85
	v_add_f32_e32 v9, v9, v21
	s_set_vgpr_msb 1                        ;  msbs: dst=0 src0=1 src1=0 src2=0
	v_mul_f32_e32 v21, v79 /*v335*/, v215
	v_pk_mul_f32 v[130:131], v[2:3] /*v[258:259]*/, v[218:219] op_sel:[1,1] op_sel_hi:[0,1]
	s_set_vgpr_msb 0x41                     ;  msbs: dst=1 src0=1 src1=0 src2=0
	v_dual_fmac_f32 v93 /*v349*/, v79 /*v335*/, v214 :: v_dual_fmac_f32 v95 /*v351*/, v81 /*v337*/, v216
	s_set_vgpr_msb 0                        ;  msbs: dst=0 src0=0 src1=0 src2=0
	v_add_f32_e32 v7, v7, v87
	v_add_f32_e32 v9, v9, v23
	s_set_vgpr_msb 1                        ;  msbs: dst=0 src0=1 src1=0 src2=0
	v_mul_f32_e32 v23, v81 /*v337*/, v217
	s_set_vgpr_msb 0x41                     ;  msbs: dst=1 src0=1 src1=0 src2=0
	v_fma_f32 v92 /*v348*/, v78 /*v334*/, v214, -v21
	s_set_vgpr_msb 1                        ;  msbs: dst=0 src0=1 src1=0 src2=0
	v_pk_fma_f32 v[140:141], v[2:3] /*v[258:259]*/, v[218:219], v[130:131] op_sel_hi:[1,0,1]
	s_set_vgpr_msb 0                        ;  msbs: dst=0 src0=0 src1=0 src2=0
	v_dual_add_f32 v139, v7, v89 :: v_dual_add_f32 v9, v9, v11
	s_set_vgpr_msb 1                        ;  msbs: dst=0 src0=1 src1=0 src2=0
	v_fma_f32 v11, v72 /*v328*/, v208, -v15
	s_set_vgpr_msb 0x41                     ;  msbs: dst=1 src0=1 src1=0 src2=0
	v_fma_f32 v94 /*v350*/, v80 /*v336*/, v216, -v23
	s_set_vgpr_msb 1                        ;  msbs: dst=0 src0=1 src1=0 src2=0
	v_pk_mul_f32 v[132:133], v[84:85] /*v[340:341]*/, v[132:133] op_sel_hi:[1,0]
	v_pk_fma_f32 v[130:131], v[2:3] /*v[258:259]*/, v[218:219], v[130:131] neg_lo:[0,0,1] neg_hi:[0,0,1]
	s_set_vgpr_msb 0                        ;  msbs: dst=0 src0=0 src1=0 src2=0
	v_add_f32_e32 v9, v9, v13
	s_set_vgpr_msb 1                        ;  msbs: dst=0 src0=1 src1=0 src2=0
	v_fma_f32 v13, v74 /*v330*/, v210, -v17
	v_pk_mul_f32 v[134:135], v[14:15] /*v[270:271]*/, v[222:223] op_sel:[1,1] op_sel_hi:[0,1]
	s_set_vgpr_msb 0                        ;  msbs: dst=0 src0=0 src1=0 src2=0
	v_mov_b32_e32 v131, v141
	s_set_vgpr_msb 1                        ;  msbs: dst=0 src0=1 src1=0 src2=0
	v_pk_fma_f32 v[140:141], v[4:5] /*v[260:261]*/, v[220:221], v[132:133] op_sel_hi:[1,0,1]
	s_set_vgpr_msb 0                        ;  msbs: dst=0 src0=0 src1=0 src2=0
	v_add_f32_e32 v9, v9, v11
	s_set_vgpr_msb 1                        ;  msbs: dst=0 src0=1 src1=0 src2=0
	v_fma_f32 v11, v76 /*v332*/, v212, -v19
	v_pk_fma_f32 v[132:133], v[4:5] /*v[260:261]*/, v[220:221], v[132:133] neg_lo:[0,0,1] neg_hi:[0,0,1]
	v_pk_fma_f32 v[144:145], v[14:15] /*v[270:271]*/, v[222:223], v[134:135] op_sel_hi:[1,0,1]
	v_pk_mul_f32 v[136:137], v[86:87] /*v[342:343]*/, v[136:137] op_sel_hi:[1,0]
	s_set_vgpr_msb 0                        ;  msbs: dst=0 src0=0 src1=0 src2=0
	v_add_f32_e32 v9, v9, v13
	v_mov_b32_e32 v133, v141
	s_wait_loadcnt 0x2
	s_set_vgpr_msb 1                        ;  msbs: dst=0 src0=1 src1=0 src2=0
	v_pk_mul_f32 v[142:143], v[18:19] /*v[274:275]*/, v[226:227] op_sel:[1,1] op_sel_hi:[0,1]
	v_pk_fma_f32 v[134:135], v[14:15] /*v[270:271]*/, v[222:223], v[134:135] neg_lo:[0,0,1] neg_hi:[0,0,1]
	s_set_vgpr_msb 0                        ;  msbs: dst=0 src0=0 src1=0 src2=0
	v_mov_b32_e32 v135, v145
	v_add_f32_e32 v138, v9, v11
	s_set_vgpr_msb 1                        ;  msbs: dst=0 src0=1 src1=0 src2=0
	v_pk_fma_f32 v[140:141], v[16:17] /*v[272:273]*/, v[224:225], v[136:137] op_sel_hi:[1,0,1]
	v_pk_fma_f32 v[136:137], v[16:17] /*v[272:273]*/, v[224:225], v[136:137] neg_lo:[0,0,1] neg_hi:[0,0,1]
	s_set_vgpr_msb 4                        ;  msbs: dst=0 src0=0 src1=1 src2=0
	v_pk_add_f32 v[138:139], v[138:139], v[92:93] /*v[348:349]*/
	s_delay_alu instid0(VALU_DEP_1) | instskip(SKIP_1) | instid1(VALU_DEP_1)
	v_pk_add_f32 v[138:139], v[138:139], v[94:95] /*v[350:351]*/
	s_set_vgpr_msb 0                        ;  msbs: dst=0 src0=0 src1=0 src2=0
	v_pk_add_f32 v[130:131], v[138:139], v[130:131]
	v_mov_b32_e32 v138, v229
	s_delay_alu instid0(VALU_DEP_2) | instskip(SKIP_2) | instid1(VALU_DEP_3)
	v_pk_add_f32 v[130:131], v[130:131], v[132:133]
	s_set_vgpr_msb 1                        ;  msbs: dst=0 src0=1 src1=0 src2=0
	v_pk_fma_f32 v[132:133], v[18:19] /*v[274:275]*/, v[226:227], v[142:143] op_sel_hi:[1,0,1]
	v_pk_mul_f32 v[138:139], v[88:89] /*v[344:345]*/, v[138:139] op_sel_hi:[1,0]
	s_set_vgpr_msb 0                        ;  msbs: dst=0 src0=0 src1=0 src2=0
	v_mov_b32_e32 v137, v141
	s_set_vgpr_msb 1                        ;  msbs: dst=0 src0=1 src1=0 src2=0
	v_pk_fma_f32 v[140:141], v[18:19] /*v[274:275]*/, v[226:227], v[142:143] neg_lo:[0,0,1] neg_hi:[0,0,1]
	s_set_vgpr_msb 0                        ;  msbs: dst=0 src0=0 src1=0 src2=0
	v_pk_add_f32 v[130:131], v[130:131], v[134:135]
	v_mov_b32_e32 v141, v133
	s_set_vgpr_msb 1                        ;  msbs: dst=0 src0=1 src1=0 src2=0
	v_pk_fma_f32 v[132:133], v[20:21] /*v[276:277]*/, v[228:229], v[138:139] op_sel_hi:[1,0,1]
	s_wait_loadcnt 0x1
	v_pk_mul_f32 v[134:135], v[30:31] /*v[286:287]*/, v[238:239] op_sel:[1,1] op_sel_hi:[0,1]
	s_set_vgpr_msb 0                        ;  msbs: dst=0 src0=0 src1=0 src2=0
	v_mov_b32_e32 v132, v241
	v_pk_add_f32 v[130:131], v[130:131], v[136:137]
	s_set_vgpr_msb 1                        ;  msbs: dst=0 src0=1 src1=0 src2=0
	v_pk_fma_f32 v[138:139], v[20:21] /*v[276:277]*/, v[228:229], v[138:139] neg_lo:[0,0,1] neg_hi:[0,0,1]
	s_set_vgpr_msb 0                        ;  msbs: dst=0 src0=0 src1=0 src2=0
	v_mov_b32_e32 v139, v133
	s_set_vgpr_msb 1                        ;  msbs: dst=0 src0=1 src1=0 src2=0
	v_pk_fma_f32 v[136:137], v[30:31] /*v[286:287]*/, v[238:239], v[134:135] op_sel_hi:[1,0,1]
	v_pk_mul_f32 v[132:133], v[90:91] /*v[346:347]*/, v[132:133] op_sel_hi:[1,0]
	s_set_vgpr_msb 0                        ;  msbs: dst=0 src0=0 src1=0 src2=0
	v_pk_add_f32 v[130:131], v[130:131], v[140:141]
	s_set_vgpr_msb 1                        ;  msbs: dst=0 src0=1 src1=0 src2=0
	v_pk_fma_f32 v[134:135], v[30:31] /*v[286:287]*/, v[238:239], v[134:135] neg_lo:[0,0,1] neg_hi:[0,0,1]
	s_set_vgpr_msb 0                        ;  msbs: dst=0 src0=0 src1=0 src2=0
	v_mov_b32_e32 v135, v137
	s_set_vgpr_msb 1                        ;  msbs: dst=0 src0=1 src1=0 src2=0
	v_pk_fma_f32 v[136:137], v[32:33] /*v[288:289]*/, v[240:241], v[132:133] op_sel_hi:[1,0,1]
	s_set_vgpr_msb 0                        ;  msbs: dst=0 src0=0 src1=0 src2=0
	v_pk_add_f32 v[130:131], v[130:131], v[138:139]
	s_set_vgpr_msb 1                        ;  msbs: dst=0 src0=1 src1=0 src2=0
	v_pk_fma_f32 v[132:133], v[32:33] /*v[288:289]*/, v[240:241], v[132:133] neg_lo:[0,0,1] neg_hi:[0,0,1]
	s_set_vgpr_msb 0                        ;  msbs: dst=0 src0=0 src1=0 src2=0
	v_mov_b32_e32 v133, v137
	v_pk_add_f32 v[130:131], v[130:131], v[134:135]
	s_delay_alu instid0(VALU_DEP_1) | instskip(SKIP_2) | instid1(VALU_DEP_1)
	v_pk_add_f32 v[130:131], v[130:131], v[132:133]
	s_wait_loadcnt 0x0
	s_set_vgpr_msb 1                        ;  msbs: dst=0 src0=1 src1=0 src2=0
	v_pk_add_f32 v[130:131], v[82:83] /*v[338:339]*/, v[130:131] neg_lo:[0,1] neg_hi:[0,1]
	scratch_store_b64 off, v[130:131], off offset:88
	s_wait_xcnt 0x0
	v_cmpx_lt_u32_e32 10, v0
	s_set_vgpr_msb 0                        ;  msbs: dst=0 src0=0 src1=0 src2=0
	s_cbranch_execz .LBB127_377
; %bb.376:
	scratch_load_b64 v[130:131], off, off offset:80
	v_mov_b64_e32 v[132:133], 0
	scratch_store_b64 off, v[132:133], off offset:80
	s_wait_loadcnt 0x0
	ds_store_b64 v1, v[130:131]
.LBB127_377:
	s_wait_xcnt 0x0
	s_or_b32 exec_lo, exec_lo, s0
	s_wait_storecnt_dscnt 0x0
	s_barrier_signal -1
	s_barrier_wait -1
	s_clause 0xf
	scratch_load_b128 v[134:137], off, off offset:88
	scratch_load_b128 v[142:145], off, off offset:104
	scratch_load_b128 v[150:153], off, off offset:120
	scratch_load_b128 v[158:161], off, off offset:136
	scratch_load_b128 v[166:169], off, off offset:152
	scratch_load_b128 v[174:177], off, off offset:168
	scratch_load_b128 v[182:185], off, off offset:184
	scratch_load_b128 v[190:193], off, off offset:200
	scratch_load_b128 v[198:201], off, off offset:216
	scratch_load_b128 v[206:209], off, off offset:232
	scratch_load_b128 v[214:217], off, off offset:248
	scratch_load_b128 v[222:225], off, off offset:264
	scratch_load_b128 v[230:233], off, off offset:280
	scratch_load_b128 v[238:241], off, off offset:296
	scratch_load_b128 v[246:249], off, off offset:312
	scratch_load_b128 v[254:257], off, off offset:328
	v_mov_b32_e32 v7, 0
	s_set_vgpr_msb 64                       ;  msbs: dst=1 src0=0 src1=0 src2=0
	s_clause 0x3
	scratch_load_b128 v[6:9] /*v[262:265]*/, off, off offset:344
	scratch_load_b128 v[14:17] /*v[270:273]*/, off, off offset:360
	;; [unrolled: 1-line block ×4, first 2 shown]
	s_set_vgpr_msb 0                        ;  msbs: dst=0 src0=0 src1=0 src2=0
	ds_load_2addr_b64 v[130:133], v7 offset0:75 offset1:76
	ds_load_2addr_b64 v[138:141], v7 offset0:77 offset1:78
	s_set_vgpr_msb 64                       ;  msbs: dst=1 src0=0 src1=0 src2=0
	s_clause 0x2
	scratch_load_b128 v[38:41] /*v[294:297]*/, off, off offset:408
	scratch_load_b128 v[46:49] /*v[302:305]*/, off, off offset:424
	;; [unrolled: 1-line block ×3, first 2 shown]
	s_mov_b32 s0, exec_lo
	s_wait_loadcnt_dscnt 0x1601
	s_set_vgpr_msb 0                        ;  msbs: dst=0 src0=0 src1=0 src2=0
	v_dual_mul_f32 v9, v130, v135 :: v_dual_mul_f32 v11, v132, v137
	ds_load_2addr_b64 v[146:149], v7 offset0:79 offset1:80
	ds_load_2addr_b64 v[154:157], v7 offset0:81 offset1:82
	;; [unrolled: 1-line block ×4, first 2 shown]
	v_dual_fmac_f32 v9, v131, v134 :: v_dual_fmac_f32 v11, v133, v136
	ds_load_2addr_b64 v[178:181], v7 offset0:87 offset1:88
	ds_load_2addr_b64 v[186:189], v7 offset0:89 offset1:90
	;; [unrolled: 1-line block ×4, first 2 shown]
	v_add_f32_e32 v9, 0, v9
	ds_load_2addr_b64 v[210:213], v7 offset0:95 offset1:96
	ds_load_2addr_b64 v[218:221], v7 offset0:97 offset1:98
	;; [unrolled: 1-line block ×4, first 2 shown]
	v_add_f32_e32 v9, v9, v11
	s_wait_loadcnt_dscnt 0x150c
	v_mul_f32_e32 v11, v138, v143
	ds_load_2addr_b64 v[242:245], v7 offset0:103 offset1:104
	ds_load_2addr_b64 v[250:253], v7 offset0:105 offset1:106
	s_set_vgpr_msb 64                       ;  msbs: dst=1 src0=0 src1=0 src2=0
	ds_load_2addr_b64 v[2:5] /*v[258:261]*/, v7 offset0:107 offset1:108
	ds_load_2addr_b64 v[10:13] /*v[266:269]*/, v7 offset0:109 offset1:110
	s_set_vgpr_msb 0                        ;  msbs: dst=0 src0=0 src1=0 src2=0
	v_fmac_f32_e32 v11, v139, v142
	s_set_vgpr_msb 64                       ;  msbs: dst=1 src0=0 src1=0 src2=0
	ds_load_2addr_b64 v[34:37] /*v[290:293]*/, v7 offset0:115 offset1:116
	ds_load_2addr_b64 v[42:45] /*v[298:301]*/, v7 offset0:117 offset1:118
	;; [unrolled: 1-line block ×5, first 2 shown]
	s_set_vgpr_msb 0                        ;  msbs: dst=0 src0=0 src1=0 src2=0
	v_dual_add_f32 v9, v9, v11 :: v_dual_mul_f32 v11, v140, v145
	s_set_vgpr_msb 64                       ;  msbs: dst=1 src0=0 src1=0 src2=0
	s_clause 0x3
	scratch_load_b128 v[58:61] /*v[314:317]*/, off, off offset:456
	scratch_load_b128 v[62:65] /*v[318:321]*/, off, off offset:472
	;; [unrolled: 1-line block ×3, first 2 shown]
	scratch_load_b64 v[76:77] /*v[332:333]*/, off, off offset:504
	s_set_vgpr_msb 0                        ;  msbs: dst=0 src0=0 src1=0 src2=0
	v_fmac_f32_e32 v11, v141, v144
	s_delay_alu instid0(VALU_DEP_1)
	v_add_f32_e32 v9, v9, v11
	s_wait_loadcnt_dscnt 0x1814
	v_mul_f32_e32 v11, v146, v151
	s_wait_loadcnt_dscnt 0x402
	s_set_vgpr_msb 0x45                     ;  msbs: dst=1 src0=1 src1=1 src2=0
	v_dual_mul_f32 v73 /*v329*/, v44 /*v300*/, v49 /*v305*/ :: v_dual_mul_f32 v75 /*v331*/, v50 /*v306*/, v55 /*v311*/
	s_set_vgpr_msb 0                        ;  msbs: dst=0 src0=0 src1=0 src2=0
	v_fmac_f32_e32 v11, v147, v150
	s_set_vgpr_msb 0x45                     ;  msbs: dst=1 src0=1 src1=1 src2=0
	s_delay_alu instid0(VALU_DEP_2) | instskip(SKIP_1) | instid1(VALU_DEP_2)
	v_dual_fmac_f32 v73 /*v329*/, v45 /*v301*/, v48 /*v304*/ :: v_dual_fmac_f32 v75 /*v331*/, v51 /*v307*/, v54 /*v310*/
	s_set_vgpr_msb 0                        ;  msbs: dst=0 src0=0 src1=0 src2=0
	v_dual_add_f32 v9, v9, v11 :: v_dual_mul_f32 v11, v148, v153
	s_delay_alu instid0(VALU_DEP_1) | instskip(NEXT) | instid1(VALU_DEP_1)
	v_fmac_f32_e32 v11, v149, v152
	v_add_f32_e32 v9, v9, v11
	v_mul_f32_e32 v11, v154, v159
	s_delay_alu instid0(VALU_DEP_1) | instskip(NEXT) | instid1(VALU_DEP_1)
	v_fmac_f32_e32 v11, v155, v158
	v_dual_add_f32 v9, v9, v11 :: v_dual_mul_f32 v11, v156, v161
	s_delay_alu instid0(VALU_DEP_1) | instskip(NEXT) | instid1(VALU_DEP_1)
	v_fmac_f32_e32 v11, v157, v160
	v_add_f32_e32 v9, v9, v11
	v_mul_f32_e32 v11, v162, v167
	s_delay_alu instid0(VALU_DEP_1) | instskip(NEXT) | instid1(VALU_DEP_1)
	v_fmac_f32_e32 v11, v163, v166
	;; [unrolled: 7-line block ×13, first 2 shown]
	v_add_f32_e32 v9, v9, v11
	s_set_vgpr_msb 4                        ;  msbs: dst=0 src0=0 src1=1 src2=0
	v_mul_f32_e32 v11, v252, v1 /*v257*/
	s_delay_alu instid0(VALU_DEP_1) | instskip(SKIP_1) | instid1(VALU_DEP_1)
	v_fmac_f32_e32 v11, v253, v0 /*v256*/
	s_set_vgpr_msb 0                        ;  msbs: dst=0 src0=0 src1=0 src2=0
	v_add_f32_e32 v9, v9, v11
	s_set_vgpr_msb 5                        ;  msbs: dst=0 src0=1 src1=1 src2=0
	v_mul_f32_e32 v11, v2 /*v258*/, v7 /*v263*/
	s_delay_alu instid0(VALU_DEP_1) | instskip(SKIP_1) | instid1(VALU_DEP_1)
	v_fmac_f32_e32 v11, v3 /*v259*/, v6 /*v262*/
	s_set_vgpr_msb 0                        ;  msbs: dst=0 src0=0 src1=0 src2=0
	v_add_f32_e32 v9, v9, v11
	s_set_vgpr_msb 5                        ;  msbs: dst=0 src0=1 src1=1 src2=0
	v_mul_f32_e32 v11, v4 /*v260*/, v9 /*v265*/
	s_delay_alu instid0(VALU_DEP_1) | instskip(SKIP_1) | instid1(VALU_DEP_1)
	v_fmac_f32_e32 v11, v5 /*v261*/, v8 /*v264*/
	s_set_vgpr_msb 0                        ;  msbs: dst=0 src0=0 src1=0 src2=0
	v_add_f32_e32 v9, v9, v11
	s_set_vgpr_msb 5                        ;  msbs: dst=0 src0=1 src1=1 src2=0
	v_mul_f32_e32 v11, v10 /*v266*/, v15 /*v271*/
	s_delay_alu instid0(VALU_DEP_1) | instskip(SKIP_1) | instid1(VALU_DEP_1)
	v_fmac_f32_e32 v11, v11 /*v267*/, v14 /*v270*/
	s_set_vgpr_msb 0                        ;  msbs: dst=0 src0=0 src1=0 src2=0
	v_add_f32_e32 v9, v9, v11
	s_set_vgpr_msb 5                        ;  msbs: dst=0 src0=1 src1=1 src2=0
	v_mul_f32_e32 v11, v12 /*v268*/, v17 /*v273*/
	s_delay_alu instid0(VALU_DEP_1) | instskip(SKIP_1) | instid1(VALU_DEP_1)
	v_fmac_f32_e32 v11, v13 /*v269*/, v16 /*v272*/
	s_set_vgpr_msb 0                        ;  msbs: dst=0 src0=0 src1=0 src2=0
	v_add_f32_e32 v9, v9, v11
	s_wait_dscnt 0x1
	s_set_vgpr_msb 5                        ;  msbs: dst=0 src0=1 src1=1 src2=0
	v_mul_f32_e32 v11, v18 /*v274*/, v23 /*v279*/
	s_delay_alu instid0(VALU_DEP_1) | instskip(SKIP_1) | instid1(VALU_DEP_1)
	v_fmac_f32_e32 v11, v19 /*v275*/, v22 /*v278*/
	s_set_vgpr_msb 0                        ;  msbs: dst=0 src0=0 src1=0 src2=0
	v_add_f32_e32 v9, v9, v11
	s_set_vgpr_msb 5                        ;  msbs: dst=0 src0=1 src1=1 src2=0
	v_mul_f32_e32 v11, v20 /*v276*/, v25 /*v281*/
	s_delay_alu instid0(VALU_DEP_1) | instskip(SKIP_1) | instid1(VALU_DEP_1)
	v_fmac_f32_e32 v11, v21 /*v277*/, v24 /*v280*/
	s_set_vgpr_msb 0                        ;  msbs: dst=0 src0=0 src1=0 src2=0
	v_add_f32_e32 v9, v9, v11
	s_wait_dscnt 0x0
	s_set_vgpr_msb 5                        ;  msbs: dst=0 src0=1 src1=1 src2=0
	v_mul_f32_e32 v11, v26 /*v282*/, v31 /*v287*/
	s_delay_alu instid0(VALU_DEP_1) | instskip(SKIP_1) | instid1(VALU_DEP_1)
	v_fmac_f32_e32 v11, v27 /*v283*/, v30 /*v286*/
	s_set_vgpr_msb 0                        ;  msbs: dst=0 src0=0 src1=0 src2=0
	v_add_f32_e32 v9, v9, v11
	s_set_vgpr_msb 5                        ;  msbs: dst=0 src0=1 src1=1 src2=0
	v_mul_f32_e32 v11, v28 /*v284*/, v33 /*v289*/
	s_delay_alu instid0(VALU_DEP_1) | instskip(SKIP_1) | instid1(VALU_DEP_1)
	v_fmac_f32_e32 v11, v29 /*v285*/, v32 /*v288*/
	s_set_vgpr_msb 0                        ;  msbs: dst=0 src0=0 src1=0 src2=0
	v_add_f32_e32 v9, v9, v11
	;; [unrolled: 6-line block ×4, first 2 shown]
	s_set_vgpr_msb 5                        ;  msbs: dst=0 src0=1 src1=1 src2=0
	v_mul_f32_e32 v11, v42 /*v298*/, v47 /*v303*/
	s_delay_alu instid0(VALU_DEP_1) | instskip(SKIP_1) | instid1(VALU_DEP_1)
	v_fmac_f32_e32 v11, v43 /*v299*/, v46 /*v302*/
	s_set_vgpr_msb 64                       ;  msbs: dst=1 src0=0 src1=0 src2=0
	v_add_f32_e32 v71 /*v327*/, v9, v11
	s_set_vgpr_msb 0                        ;  msbs: dst=0 src0=0 src1=0 src2=0
	v_dual_mul_f32 v9, v131, v135 :: v_dual_mul_f32 v11, v133, v137
	s_delay_alu instid0(VALU_DEP_1) | instskip(NEXT) | instid1(VALU_DEP_1)
	v_dual_fma_f32 v9, v130, v134, -v9 :: v_dual_fma_f32 v11, v132, v136, -v11
	v_add_f32_e32 v9, 0, v9
	s_delay_alu instid0(VALU_DEP_1) | instskip(SKIP_1) | instid1(VALU_DEP_1)
	v_add_f32_e32 v9, v9, v11
	v_mul_f32_e32 v11, v139, v143
	v_fma_f32 v11, v138, v142, -v11
	s_delay_alu instid0(VALU_DEP_1) | instskip(SKIP_1) | instid1(VALU_DEP_1)
	v_add_f32_e32 v9, v9, v11
	v_mul_f32_e32 v11, v141, v145
	v_fma_f32 v11, v140, v144, -v11
	ds_load_2addr_b64 v[130:133], v7 offset0:121 offset1:122
	ds_load_2addr_b64 v[134:137], v7 offset0:123 offset1:124
	;; [unrolled: 1-line block ×3, first 2 shown]
	ds_load_b64 v[142:143], v7 offset:1016
	v_add_f32_e32 v9, v9, v11
	v_mul_f32_e32 v11, v147, v151
	s_set_vgpr_msb 1                        ;  msbs: dst=0 src0=1 src1=0 src2=0
	v_mov_b32_e32 v147, v52 /*v308*/
	s_set_vgpr_msb 0                        ;  msbs: dst=0 src0=0 src1=0 src2=0
	s_delay_alu instid0(VALU_DEP_2) | instskip(SKIP_3) | instid1(VALU_DEP_2)
	v_fma_f32 v11, v146, v150, -v11
	s_set_vgpr_msb 1                        ;  msbs: dst=0 src0=1 src1=0 src2=0
	v_mov_b32_e32 v146, v53 /*v309*/
	s_set_vgpr_msb 0                        ;  msbs: dst=0 src0=0 src1=0 src2=0
	v_add_f32_e32 v9, v9, v11
	v_mul_f32_e32 v11, v149, v153
	s_delay_alu instid0(VALU_DEP_1) | instskip(SKIP_3) | instid1(VALU_DEP_2)
	v_fma_f32 v11, v148, v152, -v11
	s_set_vgpr_msb 1                        ;  msbs: dst=0 src0=1 src1=0 src2=0
	v_mov_b32_e32 v148, v57 /*v313*/
	s_set_vgpr_msb 0                        ;  msbs: dst=0 src0=0 src1=0 src2=0
	v_add_f32_e32 v9, v9, v11
	v_mul_f32_e32 v11, v155, v159
	s_delay_alu instid0(VALU_DEP_3) | instskip(NEXT) | instid1(VALU_DEP_2)
	v_pk_mul_f32 v[146:147], v[146:147], v[148:149] op_sel_hi:[1,0]
	v_fma_f32 v11, v154, v158, -v11
	s_set_vgpr_msb 5                        ;  msbs: dst=0 src0=1 src1=1 src2=0
	s_delay_alu instid0(VALU_DEP_2) | instskip(SKIP_3) | instid1(VALU_DEP_2)
	v_pk_fma_f32 v[148:149], v[52:53] /*v[308:309]*/, v[56:57] /*v[312:313]*/, v[146:147] neg_lo:[0,0,1] neg_hi:[0,0,1]
	v_pk_fma_f32 v[146:147], v[52:53] /*v[308:309]*/, v[56:57] /*v[312:313]*/, v[146:147] op_sel_hi:[1,0,1]
	s_set_vgpr_msb 0                        ;  msbs: dst=0 src0=0 src1=0 src2=0
	v_add_f32_e32 v9, v9, v11
	v_dual_mul_f32 v11, v157, v161 :: v_dual_mov_b32 v149, v147
	s_wait_loadcnt_dscnt 0x303
	s_set_vgpr_msb 4                        ;  msbs: dst=0 src0=0 src1=1 src2=0
	v_pk_mul_f32 v[146:147], v[130:131], v[58:59] /*v[314:315]*/ op_sel:[1,1] op_sel_hi:[0,1]
	s_set_vgpr_msb 0                        ;  msbs: dst=0 src0=0 src1=0 src2=0
	v_fma_f32 v11, v156, v160, -v11
	s_delay_alu instid0(VALU_DEP_1) | instskip(SKIP_1) | instid1(VALU_DEP_1)
	v_add_f32_e32 v9, v9, v11
	v_mul_f32_e32 v11, v163, v167
	v_fma_f32 v11, v162, v166, -v11
	s_delay_alu instid0(VALU_DEP_1) | instskip(SKIP_1) | instid1(VALU_DEP_1)
	v_add_f32_e32 v9, v9, v11
	v_mul_f32_e32 v11, v165, v169
	;; [unrolled: 4-line block ×23, first 2 shown]
	v_fma_f32 v11, v250, v254, -v11
	s_delay_alu instid0(VALU_DEP_1) | instskip(SKIP_2) | instid1(VALU_DEP_1)
	v_add_f32_e32 v9, v9, v11
	s_set_vgpr_msb 4                        ;  msbs: dst=0 src0=0 src1=1 src2=0
	v_mul_f32_e32 v11, v253, v1 /*v257*/
	v_fma_f32 v11, v252, v0 /*v256*/, -v11
	s_set_vgpr_msb 0                        ;  msbs: dst=0 src0=0 src1=0 src2=0
	s_delay_alu instid0(VALU_DEP_1) | instskip(SKIP_2) | instid1(VALU_DEP_1)
	v_add_f32_e32 v9, v9, v11
	s_set_vgpr_msb 5                        ;  msbs: dst=0 src0=1 src1=1 src2=0
	v_mul_f32_e32 v11, v3 /*v259*/, v7 /*v263*/
	v_fma_f32 v11, v2 /*v258*/, v6 /*v262*/, -v11
	s_set_vgpr_msb 0                        ;  msbs: dst=0 src0=0 src1=0 src2=0
	s_delay_alu instid0(VALU_DEP_1) | instskip(SKIP_2) | instid1(VALU_DEP_1)
	v_add_f32_e32 v9, v9, v11
	s_set_vgpr_msb 5                        ;  msbs: dst=0 src0=1 src1=1 src2=0
	v_mul_f32_e32 v11, v5 /*v261*/, v9 /*v265*/
	v_fma_f32 v11, v4 /*v260*/, v8 /*v264*/, -v11
	;; [unrolled: 6-line block ×11, first 2 shown]
	s_set_vgpr_msb 64                       ;  msbs: dst=1 src0=0 src1=0 src2=0
	s_delay_alu instid0(VALU_DEP_1) | instskip(SKIP_3) | instid1(VALU_DEP_1)
	v_add_f32_e32 v70 /*v326*/, v9, v11
	s_set_vgpr_msb 5                        ;  msbs: dst=0 src0=1 src1=1 src2=0
	v_mul_f32_e32 v9, v45 /*v301*/, v49 /*v305*/
	s_set_vgpr_msb 0x45                     ;  msbs: dst=1 src0=1 src1=1 src2=0
	v_fma_f32 v72 /*v328*/, v44 /*v300*/, v48 /*v304*/, -v9
	s_set_vgpr_msb 5                        ;  msbs: dst=0 src0=1 src1=1 src2=0
	v_mul_f32_e32 v9, v51 /*v307*/, v55 /*v311*/
	s_set_vgpr_msb 0x45                     ;  msbs: dst=1 src0=1 src1=1 src2=0
	s_delay_alu instid0(VALU_DEP_1) | instskip(SKIP_3) | instid1(VALU_DEP_1)
	v_fma_f32 v74 /*v330*/, v50 /*v306*/, v54 /*v310*/, -v9
	s_set_vgpr_msb 5                        ;  msbs: dst=0 src0=1 src1=1 src2=0
	v_pk_add_f32 v[144:145], v[70:71] /*v[326:327]*/, v[72:73] /*v[328:329]*/
	s_set_vgpr_msb 4                        ;  msbs: dst=0 src0=0 src1=1 src2=0
	v_pk_add_f32 v[144:145], v[144:145], v[74:75] /*v[330:331]*/
	s_set_vgpr_msb 0                        ;  msbs: dst=0 src0=0 src1=0 src2=0
	s_delay_alu instid0(VALU_DEP_1)
	v_pk_add_f32 v[144:145], v[144:145], v[148:149]
	s_set_vgpr_msb 4                        ;  msbs: dst=0 src0=0 src1=1 src2=0
	v_pk_fma_f32 v[148:149], v[130:131], v[58:59] /*v[314:315]*/, v[146:147] neg_lo:[0,0,1] neg_hi:[0,0,1]
	v_pk_fma_f32 v[130:131], v[130:131], v[58:59] /*v[314:315]*/, v[146:147] op_sel_hi:[1,0,1]
	s_set_vgpr_msb 1                        ;  msbs: dst=0 src0=1 src1=0 src2=0
	v_mov_b32_e32 v146, v61 /*v317*/
	s_set_vgpr_msb 0                        ;  msbs: dst=0 src0=0 src1=0 src2=0
	s_delay_alu instid0(VALU_DEP_2) | instskip(NEXT) | instid1(VALU_DEP_1)
	v_mov_b32_e32 v149, v131
	v_pk_add_f32 v[130:131], v[144:145], v[148:149]
	v_dual_mov_b32 v144, v133 :: v_dual_mov_b32 v145, v132
	s_delay_alu instid0(VALU_DEP_1) | instskip(SKIP_1) | instid1(VALU_DEP_1)
	v_pk_mul_f32 v[144:145], v[144:145], v[146:147] op_sel_hi:[1,0]
	s_set_vgpr_msb 4                        ;  msbs: dst=0 src0=0 src1=1 src2=0
	v_pk_fma_f32 v[146:147], v[132:133], v[60:61] /*v[316:317]*/, v[144:145] neg_lo:[0,0,1] neg_hi:[0,0,1]
	v_pk_fma_f32 v[132:133], v[132:133], v[60:61] /*v[316:317]*/, v[144:145] op_sel_hi:[1,0,1]
	s_delay_alu instid0(VALU_DEP_1) | instskip(SKIP_3) | instid1(VALU_DEP_2)
	v_mov_b32_e32 v147, v133
	s_wait_loadcnt_dscnt 0x202
	v_pk_mul_f32 v[132:133], v[134:135], v[62:63] /*v[318:319]*/ op_sel:[1,1] op_sel_hi:[0,1]
	s_set_vgpr_msb 0                        ;  msbs: dst=0 src0=0 src1=0 src2=0
	v_pk_add_f32 v[130:131], v[130:131], v[146:147]
	s_set_vgpr_msb 4                        ;  msbs: dst=0 src0=0 src1=1 src2=0
	s_delay_alu instid0(VALU_DEP_2)
	v_pk_fma_f32 v[144:145], v[134:135], v[62:63] /*v[318:319]*/, v[132:133] neg_lo:[0,0,1] neg_hi:[0,0,1]
	v_pk_fma_f32 v[132:133], v[134:135], v[62:63] /*v[318:319]*/, v[132:133] op_sel_hi:[1,0,1]
	v_mov_b32_e32 v132, v137
	s_set_vgpr_msb 1                        ;  msbs: dst=0 src0=1 src1=0 src2=0
	v_mov_b32_e32 v134, v65 /*v321*/
	s_set_vgpr_msb 0                        ;  msbs: dst=0 src0=0 src1=0 src2=0
	v_dual_mov_b32 v145, v133 :: v_dual_mov_b32 v133, v136
	s_delay_alu instid0(VALU_DEP_1) | instskip(NEXT) | instid1(VALU_DEP_2)
	v_pk_add_f32 v[130:131], v[130:131], v[144:145]
	v_pk_mul_f32 v[132:133], v[132:133], v[134:135] op_sel_hi:[1,0]
	s_set_vgpr_msb 4                        ;  msbs: dst=0 src0=0 src1=1 src2=0
	s_delay_alu instid0(VALU_DEP_1) | instskip(SKIP_1) | instid1(VALU_DEP_1)
	v_pk_fma_f32 v[134:135], v[136:137], v[64:65] /*v[320:321]*/, v[132:133] neg_lo:[0,0,1] neg_hi:[0,0,1]
	v_pk_fma_f32 v[132:133], v[136:137], v[64:65] /*v[320:321]*/, v[132:133] op_sel_hi:[1,0,1]
	v_mov_b32_e32 v135, v133
	s_wait_loadcnt_dscnt 0x101
	v_pk_mul_f32 v[132:133], v[138:139], v[66:67] /*v[322:323]*/ op_sel:[1,1] op_sel_hi:[0,1]
	s_set_vgpr_msb 0                        ;  msbs: dst=0 src0=0 src1=0 src2=0
	s_delay_alu instid0(VALU_DEP_2) | instskip(SKIP_1) | instid1(VALU_DEP_2)
	v_pk_add_f32 v[130:131], v[130:131], v[134:135]
	s_set_vgpr_msb 4                        ;  msbs: dst=0 src0=0 src1=1 src2=0
	v_pk_fma_f32 v[134:135], v[138:139], v[66:67] /*v[322:323]*/, v[132:133] neg_lo:[0,0,1] neg_hi:[0,0,1]
	v_pk_fma_f32 v[132:133], v[138:139], v[66:67] /*v[322:323]*/, v[132:133] op_sel_hi:[1,0,1]
	s_delay_alu instid0(VALU_DEP_1) | instskip(SKIP_2) | instid1(VALU_DEP_2)
	v_dual_mov_b32 v132, v141 :: v_dual_mov_b32 v135, v133
	v_mov_b32_e32 v133, v140
	s_set_vgpr_msb 0                        ;  msbs: dst=0 src0=0 src1=0 src2=0
	v_pk_add_f32 v[130:131], v[130:131], v[134:135]
	s_set_vgpr_msb 1                        ;  msbs: dst=0 src0=1 src1=0 src2=0
	v_mov_b32_e32 v134, v69 /*v325*/
	s_set_vgpr_msb 0                        ;  msbs: dst=0 src0=0 src1=0 src2=0
	s_delay_alu instid0(VALU_DEP_1) | instskip(SKIP_1) | instid1(VALU_DEP_1)
	v_pk_mul_f32 v[132:133], v[132:133], v[134:135] op_sel_hi:[1,0]
	s_set_vgpr_msb 4                        ;  msbs: dst=0 src0=0 src1=1 src2=0
	v_pk_fma_f32 v[134:135], v[140:141], v[68:69] /*v[324:325]*/, v[132:133] neg_lo:[0,0,1] neg_hi:[0,0,1]
	v_pk_fma_f32 v[132:133], v[140:141], v[68:69] /*v[324:325]*/, v[132:133] op_sel_hi:[1,0,1]
	s_delay_alu instid0(VALU_DEP_1) | instskip(SKIP_3) | instid1(VALU_DEP_2)
	v_mov_b32_e32 v135, v133
	s_wait_loadcnt_dscnt 0x0
	v_pk_mul_f32 v[132:133], v[142:143], v[76:77] /*v[332:333]*/ op_sel:[1,1] op_sel_hi:[0,1]
	s_set_vgpr_msb 0                        ;  msbs: dst=0 src0=0 src1=0 src2=0
	v_pk_add_f32 v[130:131], v[130:131], v[134:135]
	s_set_vgpr_msb 4                        ;  msbs: dst=0 src0=0 src1=1 src2=0
	s_delay_alu instid0(VALU_DEP_2) | instskip(SKIP_1) | instid1(VALU_DEP_1)
	v_pk_fma_f32 v[134:135], v[142:143], v[76:77] /*v[332:333]*/, v[132:133] neg_lo:[0,0,1] neg_hi:[0,0,1]
	v_pk_fma_f32 v[132:133], v[142:143], v[76:77] /*v[332:333]*/, v[132:133] op_sel_hi:[1,0,1]
	v_mov_b32_e32 v135, v133
	scratch_load_b64 v[132:133], off, off offset:80
	s_set_vgpr_msb 0                        ;  msbs: dst=0 src0=0 src1=0 src2=0
	v_pk_add_f32 v[130:131], v[130:131], v[134:135]
	s_wait_loadcnt 0x0
	s_delay_alu instid0(VALU_DEP_1)
	v_pk_add_f32 v[130:131], v[132:133], v[130:131] neg_lo:[0,1] neg_hi:[0,1]
	scratch_store_b64 off, v[130:131], off offset:80
	s_wait_xcnt 0x0
	v_cmpx_lt_u32_e32 9, v0
	s_cbranch_execz .LBB127_379
; %bb.378:
	scratch_load_b64 v[130:131], off, off offset:72
	v_mov_b64_e32 v[132:133], 0
	scratch_store_b64 off, v[132:133], off offset:72
	s_wait_loadcnt 0x0
	ds_store_b64 v1, v[130:131]
.LBB127_379:
	s_wait_xcnt 0x0
	s_or_b32 exec_lo, exec_lo, s0
	s_wait_storecnt_dscnt 0x0
	s_barrier_signal -1
	s_barrier_wait -1
	ds_load_b128 v[130:133], v7 offset:592
	ds_load_b128 v[134:137], v7 offset:608
	;; [unrolled: 1-line block ×4, first 2 shown]
	s_clause 0x14
	scratch_load_b128 v[146:149], off, off offset:80
	scratch_load_b128 v[150:153], off, off offset:96
	;; [unrolled: 1-line block ×16, first 2 shown]
	s_set_vgpr_msb 64                       ;  msbs: dst=1 src0=0 src1=0 src2=0
	scratch_load_b128 v[6:9] /*v[262:265]*/, off, off offset:336
	scratch_load_b128 v[14:17] /*v[270:273]*/, off, off offset:352
	;; [unrolled: 1-line block ×4, first 2 shown]
	s_set_vgpr_msb 0                        ;  msbs: dst=0 src0=0 src1=0 src2=0
	ds_load_b128 v[162:165], v7 offset:656
	ds_load_b128 v[170:173], v7 offset:672
	s_set_vgpr_msb 64                       ;  msbs: dst=1 src0=0 src1=0 src2=0
	s_clause 0x1
	scratch_load_b128 v[38:41] /*v[294:297]*/, off, off offset:400
	scratch_load_b128 v[46:49] /*v[302:305]*/, off, off offset:416
	s_set_vgpr_msb 0                        ;  msbs: dst=0 src0=0 src1=0 src2=0
	ds_load_b128 v[178:181], v7 offset:688
	ds_load_b128 v[186:189], v7 offset:704
	;; [unrolled: 1-line block ×10, first 2 shown]
	s_set_vgpr_msb 64                       ;  msbs: dst=1 src0=0 src1=0 src2=0
	ds_load_b128 v[2:5] /*v[258:261]*/, v7 offset:848
	ds_load_b128 v[10:13] /*v[266:269]*/, v7 offset:864
	;; [unrolled: 1-line block ×3, first 2 shown]
	scratch_load_b128 v[54:57] /*v[310:313]*/, off, off offset:432
	ds_load_b128 v[18:21] /*v[274:277]*/, v7 offset:880
	ds_load_b128 v[26:29] /*v[282:285]*/, v7 offset:896
	;; [unrolled: 1-line block ×4, first 2 shown]
	s_clause 0x3
	scratch_load_b128 v[58:61] /*v[314:317]*/, off, off offset:448
	scratch_load_b128 v[62:65] /*v[318:321]*/, off, off offset:464
	;; [unrolled: 1-line block ×4, first 2 shown]
	s_mov_b32 s0, exec_lo
	s_wait_loadcnt_dscnt 0x1a16
	s_set_vgpr_msb 0                        ;  msbs: dst=0 src0=0 src1=0 src2=0
	v_dual_mul_f32 v9, v130, v147 :: v_dual_mul_f32 v11, v132, v149
	s_delay_alu instid0(VALU_DEP_1) | instskip(NEXT) | instid1(VALU_DEP_1)
	v_dual_fmac_f32 v9, v131, v146 :: v_dual_fmac_f32 v11, v133, v148
	v_add_f32_e32 v9, 0, v9
	s_delay_alu instid0(VALU_DEP_1) | instskip(SKIP_2) | instid1(VALU_DEP_1)
	v_add_f32_e32 v9, v9, v11
	s_wait_loadcnt_dscnt 0x1915
	v_mul_f32_e32 v11, v134, v151
	v_fmac_f32_e32 v11, v135, v150
	s_delay_alu instid0(VALU_DEP_1) | instskip(NEXT) | instid1(VALU_DEP_1)
	v_dual_add_f32 v9, v9, v11 :: v_dual_mul_f32 v11, v136, v153
	v_fmac_f32_e32 v11, v137, v152
	s_delay_alu instid0(VALU_DEP_1)
	v_add_f32_e32 v9, v9, v11
	s_wait_loadcnt_dscnt 0x1814
	v_mul_f32_e32 v11, v138, v155
	s_wait_loadcnt_dscnt 0x404
	s_set_vgpr_msb 0x45                     ;  msbs: dst=1 src0=1 src1=1 src2=0
	v_dual_mul_f32 v77 /*v333*/, v50 /*v306*/, v55 /*v311*/ :: v_dual_mul_f32 v79 /*v335*/, v52 /*v308*/, v57 /*v313*/
	s_set_vgpr_msb 0                        ;  msbs: dst=0 src0=0 src1=0 src2=0
	v_fmac_f32_e32 v11, v139, v154
	s_set_vgpr_msb 0x45                     ;  msbs: dst=1 src0=1 src1=1 src2=0
	s_delay_alu instid0(VALU_DEP_2) | instskip(SKIP_1) | instid1(VALU_DEP_2)
	v_dual_fmac_f32 v77 /*v333*/, v51 /*v307*/, v54 /*v310*/ :: v_dual_fmac_f32 v79 /*v335*/, v53 /*v309*/, v56 /*v312*/
	s_set_vgpr_msb 0                        ;  msbs: dst=0 src0=0 src1=0 src2=0
	v_dual_add_f32 v9, v9, v11 :: v_dual_mul_f32 v11, v140, v157
	s_delay_alu instid0(VALU_DEP_1) | instskip(NEXT) | instid1(VALU_DEP_1)
	v_fmac_f32_e32 v11, v141, v156
	v_add_f32_e32 v9, v9, v11
	v_mul_f32_e32 v11, v142, v159
	s_delay_alu instid0(VALU_DEP_1) | instskip(NEXT) | instid1(VALU_DEP_1)
	v_fmac_f32_e32 v11, v143, v158
	v_dual_add_f32 v9, v9, v11 :: v_dual_mul_f32 v11, v144, v161
	s_delay_alu instid0(VALU_DEP_1) | instskip(NEXT) | instid1(VALU_DEP_1)
	v_fmac_f32_e32 v11, v145, v160
	v_add_f32_e32 v9, v9, v11
	v_mul_f32_e32 v11, v162, v167
	s_delay_alu instid0(VALU_DEP_1) | instskip(NEXT) | instid1(VALU_DEP_1)
	v_fmac_f32_e32 v11, v163, v166
	;; [unrolled: 7-line block ×13, first 2 shown]
	v_add_f32_e32 v9, v9, v11
	s_set_vgpr_msb 4                        ;  msbs: dst=0 src0=0 src1=1 src2=0
	v_mul_f32_e32 v11, v252, v1 /*v257*/
	s_delay_alu instid0(VALU_DEP_1) | instskip(SKIP_1) | instid1(VALU_DEP_1)
	v_fmac_f32_e32 v11, v253, v0 /*v256*/
	s_set_vgpr_msb 0                        ;  msbs: dst=0 src0=0 src1=0 src2=0
	v_add_f32_e32 v9, v9, v11
	s_set_vgpr_msb 5                        ;  msbs: dst=0 src0=1 src1=1 src2=0
	v_mul_f32_e32 v11, v2 /*v258*/, v7 /*v263*/
	s_delay_alu instid0(VALU_DEP_1) | instskip(SKIP_1) | instid1(VALU_DEP_1)
	v_fmac_f32_e32 v11, v3 /*v259*/, v6 /*v262*/
	s_set_vgpr_msb 0                        ;  msbs: dst=0 src0=0 src1=0 src2=0
	v_add_f32_e32 v9, v9, v11
	s_set_vgpr_msb 5                        ;  msbs: dst=0 src0=1 src1=1 src2=0
	v_mul_f32_e32 v11, v4 /*v260*/, v9 /*v265*/
	s_delay_alu instid0(VALU_DEP_1) | instskip(SKIP_1) | instid1(VALU_DEP_1)
	v_fmac_f32_e32 v11, v5 /*v261*/, v8 /*v264*/
	;; [unrolled: 6-line block ×4, first 2 shown]
	s_set_vgpr_msb 0                        ;  msbs: dst=0 src0=0 src1=0 src2=0
	v_add_f32_e32 v9, v9, v11
	s_wait_dscnt 0x3
	s_set_vgpr_msb 5                        ;  msbs: dst=0 src0=1 src1=1 src2=0
	v_mul_f32_e32 v11, v18 /*v274*/, v23 /*v279*/
	s_delay_alu instid0(VALU_DEP_1) | instskip(SKIP_1) | instid1(VALU_DEP_1)
	v_fmac_f32_e32 v11, v19 /*v275*/, v22 /*v278*/
	s_set_vgpr_msb 0                        ;  msbs: dst=0 src0=0 src1=0 src2=0
	v_add_f32_e32 v9, v9, v11
	s_set_vgpr_msb 5                        ;  msbs: dst=0 src0=1 src1=1 src2=0
	v_mul_f32_e32 v11, v20 /*v276*/, v25 /*v281*/
	s_delay_alu instid0(VALU_DEP_1) | instskip(SKIP_1) | instid1(VALU_DEP_1)
	v_fmac_f32_e32 v11, v21 /*v277*/, v24 /*v280*/
	s_set_vgpr_msb 0                        ;  msbs: dst=0 src0=0 src1=0 src2=0
	v_add_f32_e32 v9, v9, v11
	s_wait_dscnt 0x2
	s_set_vgpr_msb 5                        ;  msbs: dst=0 src0=1 src1=1 src2=0
	v_mul_f32_e32 v11, v26 /*v282*/, v31 /*v287*/
	s_delay_alu instid0(VALU_DEP_1) | instskip(SKIP_1) | instid1(VALU_DEP_1)
	v_fmac_f32_e32 v11, v27 /*v283*/, v30 /*v286*/
	s_set_vgpr_msb 0                        ;  msbs: dst=0 src0=0 src1=0 src2=0
	v_add_f32_e32 v9, v9, v11
	s_set_vgpr_msb 5                        ;  msbs: dst=0 src0=1 src1=1 src2=0
	v_mul_f32_e32 v11, v28 /*v284*/, v33 /*v289*/
	s_delay_alu instid0(VALU_DEP_1) | instskip(SKIP_1) | instid1(VALU_DEP_1)
	v_fmac_f32_e32 v11, v29 /*v285*/, v32 /*v288*/
	;; [unrolled: 13-line block ×4, first 2 shown]
	s_set_vgpr_msb 64                       ;  msbs: dst=1 src0=0 src1=0 src2=0
	v_add_f32_e32 v75 /*v331*/, v9, v11
	s_set_vgpr_msb 0                        ;  msbs: dst=0 src0=0 src1=0 src2=0
	v_dual_mul_f32 v9, v131, v147 :: v_dual_mul_f32 v11, v133, v149
	s_delay_alu instid0(VALU_DEP_1) | instskip(NEXT) | instid1(VALU_DEP_1)
	v_dual_fma_f32 v9, v130, v146, -v9 :: v_dual_fma_f32 v11, v132, v148, -v11
	v_add_f32_e32 v9, 0, v9
	s_delay_alu instid0(VALU_DEP_1) | instskip(SKIP_1) | instid1(VALU_DEP_1)
	v_add_f32_e32 v9, v9, v11
	v_mul_f32_e32 v11, v135, v151
	v_fma_f32 v11, v134, v150, -v11
	s_delay_alu instid0(VALU_DEP_1) | instskip(SKIP_1) | instid1(VALU_DEP_1)
	v_add_f32_e32 v9, v9, v11
	v_mul_f32_e32 v11, v137, v153
	v_fma_f32 v11, v136, v152, -v11
	;; [unrolled: 4-line block ×6, first 2 shown]
	ds_load_b128 v[130:133], v7 offset:960
	ds_load_b128 v[134:137], v7 offset:976
	;; [unrolled: 1-line block ×4, first 2 shown]
	v_add_f32_e32 v9, v9, v11
	v_mul_f32_e32 v11, v163, v167
	s_delay_alu instid0(VALU_DEP_1) | instskip(NEXT) | instid1(VALU_DEP_1)
	v_fma_f32 v11, v162, v166, -v11
	v_add_f32_e32 v9, v9, v11
	v_mul_f32_e32 v11, v165, v169
	s_wait_loadcnt_dscnt 0x303
	s_set_vgpr_msb 4                        ;  msbs: dst=0 src0=0 src1=1 src2=0
	v_pk_mul_f32 v[148:149], v[130:131], v[58:59] /*v[314:315]*/ op_sel:[1,1] op_sel_hi:[0,1]
	s_set_vgpr_msb 0                        ;  msbs: dst=0 src0=0 src1=0 src2=0
	v_fma_f32 v11, v164, v168, -v11
	s_set_vgpr_msb 4                        ;  msbs: dst=0 src0=0 src1=1 src2=0
	s_delay_alu instid0(VALU_DEP_2)
	v_pk_fma_f32 v[150:151], v[130:131], v[58:59] /*v[314:315]*/, v[148:149] neg_lo:[0,0,1] neg_hi:[0,0,1]
	v_pk_fma_f32 v[130:131], v[130:131], v[58:59] /*v[314:315]*/, v[148:149] op_sel_hi:[1,0,1]
	s_set_vgpr_msb 1                        ;  msbs: dst=0 src0=1 src1=0 src2=0
	v_mov_b32_e32 v148, v61 /*v317*/
	s_set_vgpr_msb 0                        ;  msbs: dst=0 src0=0 src1=0 src2=0
	v_add_f32_e32 v9, v9, v11
	v_mul_f32_e32 v11, v171, v175
	s_delay_alu instid0(VALU_DEP_1) | instskip(NEXT) | instid1(VALU_DEP_1)
	v_dual_mov_b32 v151, v131 :: v_dual_fma_f32 v11, v170, v174, -v11
	v_add_f32_e32 v9, v9, v11
	v_mul_f32_e32 v11, v173, v177
	s_delay_alu instid0(VALU_DEP_1) | instskip(NEXT) | instid1(VALU_DEP_1)
	v_fma_f32 v11, v172, v176, -v11
	v_add_f32_e32 v9, v9, v11
	v_mul_f32_e32 v11, v179, v183
	s_delay_alu instid0(VALU_DEP_1) | instskip(NEXT) | instid1(VALU_DEP_1)
	v_fma_f32 v11, v178, v182, -v11
	;; [unrolled: 4-line block ×20, first 2 shown]
	v_add_f32_e32 v9, v9, v11
	s_set_vgpr_msb 4                        ;  msbs: dst=0 src0=0 src1=1 src2=0
	v_mul_f32_e32 v11, v253, v1 /*v257*/
	s_delay_alu instid0(VALU_DEP_1) | instskip(SKIP_1) | instid1(VALU_DEP_1)
	v_fma_f32 v11, v252, v0 /*v256*/, -v11
	s_set_vgpr_msb 0                        ;  msbs: dst=0 src0=0 src1=0 src2=0
	v_add_f32_e32 v9, v9, v11
	s_set_vgpr_msb 5                        ;  msbs: dst=0 src0=1 src1=1 src2=0
	v_mul_f32_e32 v11, v3 /*v259*/, v7 /*v263*/
	s_delay_alu instid0(VALU_DEP_1) | instskip(SKIP_1) | instid1(VALU_DEP_1)
	v_fma_f32 v11, v2 /*v258*/, v6 /*v262*/, -v11
	s_set_vgpr_msb 0                        ;  msbs: dst=0 src0=0 src1=0 src2=0
	v_add_f32_e32 v9, v9, v11
	s_set_vgpr_msb 5                        ;  msbs: dst=0 src0=1 src1=1 src2=0
	v_mul_f32_e32 v11, v5 /*v261*/, v9 /*v265*/
	s_delay_alu instid0(VALU_DEP_1) | instskip(SKIP_1) | instid1(VALU_DEP_1)
	v_fma_f32 v11, v4 /*v260*/, v8 /*v264*/, -v11
	;; [unrolled: 6-line block ×12, first 2 shown]
	s_set_vgpr_msb 64                       ;  msbs: dst=1 src0=0 src1=0 src2=0
	v_add_f32_e32 v74 /*v330*/, v9, v11
	s_set_vgpr_msb 5                        ;  msbs: dst=0 src0=1 src1=1 src2=0
	v_mul_f32_e32 v9, v51 /*v307*/, v55 /*v311*/
	s_set_vgpr_msb 0x45                     ;  msbs: dst=1 src0=1 src1=1 src2=0
	s_delay_alu instid0(VALU_DEP_1) | instskip(SKIP_3) | instid1(VALU_DEP_1)
	v_fma_f32 v76 /*v332*/, v50 /*v306*/, v54 /*v310*/, -v9
	s_set_vgpr_msb 5                        ;  msbs: dst=0 src0=1 src1=1 src2=0
	v_mul_f32_e32 v9, v53 /*v309*/, v57 /*v313*/
	s_set_vgpr_msb 0x45                     ;  msbs: dst=1 src0=1 src1=1 src2=0
	v_fma_f32 v78 /*v334*/, v52 /*v308*/, v56 /*v312*/, -v9
	s_set_vgpr_msb 5                        ;  msbs: dst=0 src0=1 src1=1 src2=0
	v_pk_add_f32 v[146:147], v[74:75] /*v[330:331]*/, v[76:77] /*v[332:333]*/
	s_set_vgpr_msb 4                        ;  msbs: dst=0 src0=0 src1=1 src2=0
	s_delay_alu instid0(VALU_DEP_1) | instskip(SKIP_1) | instid1(VALU_DEP_1)
	v_pk_add_f32 v[146:147], v[146:147], v[78:79] /*v[334:335]*/
	s_set_vgpr_msb 0                        ;  msbs: dst=0 src0=0 src1=0 src2=0
	v_pk_add_f32 v[130:131], v[146:147], v[150:151]
	v_dual_mov_b32 v146, v133 :: v_dual_mov_b32 v147, v132
	s_delay_alu instid0(VALU_DEP_1) | instskip(SKIP_1) | instid1(VALU_DEP_1)
	v_pk_mul_f32 v[146:147], v[146:147], v[148:149] op_sel_hi:[1,0]
	s_set_vgpr_msb 4                        ;  msbs: dst=0 src0=0 src1=1 src2=0
	v_pk_fma_f32 v[148:149], v[132:133], v[60:61] /*v[316:317]*/, v[146:147] neg_lo:[0,0,1] neg_hi:[0,0,1]
	v_pk_fma_f32 v[132:133], v[132:133], v[60:61] /*v[316:317]*/, v[146:147] op_sel_hi:[1,0,1]
	s_delay_alu instid0(VALU_DEP_1) | instskip(SKIP_3) | instid1(VALU_DEP_2)
	v_mov_b32_e32 v149, v133
	s_wait_loadcnt_dscnt 0x202
	v_pk_mul_f32 v[132:133], v[134:135], v[62:63] /*v[318:319]*/ op_sel:[1,1] op_sel_hi:[0,1]
	s_set_vgpr_msb 0                        ;  msbs: dst=0 src0=0 src1=0 src2=0
	v_pk_add_f32 v[130:131], v[130:131], v[148:149]
	s_set_vgpr_msb 4                        ;  msbs: dst=0 src0=0 src1=1 src2=0
	s_delay_alu instid0(VALU_DEP_2)
	v_pk_fma_f32 v[146:147], v[134:135], v[62:63] /*v[318:319]*/, v[132:133] neg_lo:[0,0,1] neg_hi:[0,0,1]
	v_pk_fma_f32 v[132:133], v[134:135], v[62:63] /*v[318:319]*/, v[132:133] op_sel_hi:[1,0,1]
	v_mov_b32_e32 v132, v137
	s_set_vgpr_msb 1                        ;  msbs: dst=0 src0=1 src1=0 src2=0
	v_mov_b32_e32 v134, v65 /*v321*/
	s_set_vgpr_msb 0                        ;  msbs: dst=0 src0=0 src1=0 src2=0
	v_dual_mov_b32 v147, v133 :: v_dual_mov_b32 v133, v136
	s_delay_alu instid0(VALU_DEP_1) | instskip(NEXT) | instid1(VALU_DEP_2)
	v_pk_add_f32 v[130:131], v[130:131], v[146:147]
	v_pk_mul_f32 v[132:133], v[132:133], v[134:135] op_sel_hi:[1,0]
	s_set_vgpr_msb 4                        ;  msbs: dst=0 src0=0 src1=1 src2=0
	s_delay_alu instid0(VALU_DEP_1) | instskip(SKIP_1) | instid1(VALU_DEP_1)
	v_pk_fma_f32 v[134:135], v[136:137], v[64:65] /*v[320:321]*/, v[132:133] neg_lo:[0,0,1] neg_hi:[0,0,1]
	v_pk_fma_f32 v[132:133], v[136:137], v[64:65] /*v[320:321]*/, v[132:133] op_sel_hi:[1,0,1]
	v_mov_b32_e32 v135, v133
	s_wait_loadcnt_dscnt 0x101
	v_pk_mul_f32 v[132:133], v[138:139], v[66:67] /*v[322:323]*/ op_sel:[1,1] op_sel_hi:[0,1]
	s_set_vgpr_msb 0                        ;  msbs: dst=0 src0=0 src1=0 src2=0
	s_delay_alu instid0(VALU_DEP_2) | instskip(SKIP_1) | instid1(VALU_DEP_2)
	v_pk_add_f32 v[130:131], v[130:131], v[134:135]
	s_set_vgpr_msb 4                        ;  msbs: dst=0 src0=0 src1=1 src2=0
	v_pk_fma_f32 v[134:135], v[138:139], v[66:67] /*v[322:323]*/, v[132:133] neg_lo:[0,0,1] neg_hi:[0,0,1]
	v_pk_fma_f32 v[132:133], v[138:139], v[66:67] /*v[322:323]*/, v[132:133] op_sel_hi:[1,0,1]
	s_delay_alu instid0(VALU_DEP_1) | instskip(SKIP_2) | instid1(VALU_DEP_2)
	v_dual_mov_b32 v132, v141 :: v_dual_mov_b32 v135, v133
	v_mov_b32_e32 v133, v140
	s_set_vgpr_msb 0                        ;  msbs: dst=0 src0=0 src1=0 src2=0
	v_pk_add_f32 v[130:131], v[130:131], v[134:135]
	s_set_vgpr_msb 1                        ;  msbs: dst=0 src0=1 src1=0 src2=0
	v_mov_b32_e32 v134, v69 /*v325*/
	s_set_vgpr_msb 0                        ;  msbs: dst=0 src0=0 src1=0 src2=0
	s_delay_alu instid0(VALU_DEP_1) | instskip(SKIP_1) | instid1(VALU_DEP_1)
	v_pk_mul_f32 v[132:133], v[132:133], v[134:135] op_sel_hi:[1,0]
	s_set_vgpr_msb 4                        ;  msbs: dst=0 src0=0 src1=1 src2=0
	v_pk_fma_f32 v[134:135], v[140:141], v[68:69] /*v[324:325]*/, v[132:133] neg_lo:[0,0,1] neg_hi:[0,0,1]
	v_pk_fma_f32 v[132:133], v[140:141], v[68:69] /*v[324:325]*/, v[132:133] op_sel_hi:[1,0,1]
	s_delay_alu instid0(VALU_DEP_1) | instskip(SKIP_3) | instid1(VALU_DEP_2)
	v_mov_b32_e32 v135, v133
	s_wait_loadcnt_dscnt 0x0
	v_pk_mul_f32 v[132:133], v[142:143], v[70:71] /*v[326:327]*/ op_sel:[1,1] op_sel_hi:[0,1]
	s_set_vgpr_msb 0                        ;  msbs: dst=0 src0=0 src1=0 src2=0
	v_pk_add_f32 v[130:131], v[130:131], v[134:135]
	s_set_vgpr_msb 4                        ;  msbs: dst=0 src0=0 src1=1 src2=0
	s_delay_alu instid0(VALU_DEP_2) | instskip(SKIP_1) | instid1(VALU_DEP_1)
	v_pk_fma_f32 v[134:135], v[142:143], v[70:71] /*v[326:327]*/, v[132:133] neg_lo:[0,0,1] neg_hi:[0,0,1]
	v_pk_fma_f32 v[132:133], v[142:143], v[70:71] /*v[326:327]*/, v[132:133] op_sel_hi:[1,0,1]
	v_dual_mov_b32 v132, v145 :: v_dual_mov_b32 v135, v133
	v_mov_b32_e32 v133, v144
	s_set_vgpr_msb 0                        ;  msbs: dst=0 src0=0 src1=0 src2=0
	s_delay_alu instid0(VALU_DEP_2) | instskip(SKIP_3) | instid1(VALU_DEP_1)
	v_pk_add_f32 v[130:131], v[130:131], v[134:135]
	s_set_vgpr_msb 1                        ;  msbs: dst=0 src0=1 src1=0 src2=0
	v_mov_b32_e32 v134, v73 /*v329*/
	s_set_vgpr_msb 0                        ;  msbs: dst=0 src0=0 src1=0 src2=0
	v_pk_mul_f32 v[132:133], v[132:133], v[134:135] op_sel_hi:[1,0]
	s_set_vgpr_msb 4                        ;  msbs: dst=0 src0=0 src1=1 src2=0
	s_delay_alu instid0(VALU_DEP_1) | instskip(SKIP_1) | instid1(VALU_DEP_1)
	v_pk_fma_f32 v[134:135], v[144:145], v[72:73] /*v[328:329]*/, v[132:133] neg_lo:[0,0,1] neg_hi:[0,0,1]
	v_pk_fma_f32 v[132:133], v[144:145], v[72:73] /*v[328:329]*/, v[132:133] op_sel_hi:[1,0,1]
	v_mov_b32_e32 v135, v133
	scratch_load_b64 v[132:133], off, off offset:72
	s_set_vgpr_msb 0                        ;  msbs: dst=0 src0=0 src1=0 src2=0
	v_pk_add_f32 v[130:131], v[130:131], v[134:135]
	s_wait_loadcnt 0x0
	s_delay_alu instid0(VALU_DEP_1)
	v_pk_add_f32 v[130:131], v[132:133], v[130:131] neg_lo:[0,1] neg_hi:[0,1]
	scratch_store_b64 off, v[130:131], off offset:72
	s_wait_xcnt 0x0
	v_cmpx_lt_u32_e32 8, v0
	s_cbranch_execz .LBB127_381
; %bb.380:
	scratch_load_b64 v[130:131], off, off offset:64
	v_mov_b64_e32 v[132:133], 0
	scratch_store_b64 off, v[132:133], off offset:64
	s_wait_loadcnt 0x0
	ds_store_b64 v1, v[130:131]
.LBB127_381:
	s_wait_xcnt 0x0
	s_or_b32 exec_lo, exec_lo, s0
	s_wait_storecnt_dscnt 0x0
	s_barrier_signal -1
	s_barrier_wait -1
	s_clause 0xf
	scratch_load_b128 v[134:137], off, off offset:72
	scratch_load_b128 v[142:145], off, off offset:88
	;; [unrolled: 1-line block ×16, first 2 shown]
	v_mov_b32_e32 v7, 0
	s_set_vgpr_msb 64                       ;  msbs: dst=1 src0=0 src1=0 src2=0
	s_clause 0x3
	scratch_load_b128 v[6:9] /*v[262:265]*/, off, off offset:328
	scratch_load_b128 v[14:17] /*v[270:273]*/, off, off offset:344
	;; [unrolled: 1-line block ×4, first 2 shown]
	s_set_vgpr_msb 0                        ;  msbs: dst=0 src0=0 src1=0 src2=0
	ds_load_2addr_b64 v[130:133], v7 offset0:73 offset1:74
	ds_load_2addr_b64 v[138:141], v7 offset0:75 offset1:76
	s_set_vgpr_msb 64                       ;  msbs: dst=1 src0=0 src1=0 src2=0
	s_clause 0x3
	scratch_load_b128 v[38:41] /*v[294:297]*/, off, off offset:392
	scratch_load_b128 v[46:49] /*v[302:305]*/, off, off offset:408
	;; [unrolled: 1-line block ×4, first 2 shown]
	s_mov_b32 s0, exec_lo
	s_wait_loadcnt_dscnt 0x1701
	s_set_vgpr_msb 0                        ;  msbs: dst=0 src0=0 src1=0 src2=0
	v_dual_mul_f32 v9, v130, v135 :: v_dual_mul_f32 v11, v132, v137
	ds_load_2addr_b64 v[146:149], v7 offset0:77 offset1:78
	ds_load_2addr_b64 v[154:157], v7 offset0:79 offset1:80
	;; [unrolled: 1-line block ×4, first 2 shown]
	v_dual_fmac_f32 v9, v131, v134 :: v_dual_fmac_f32 v11, v133, v136
	ds_load_2addr_b64 v[178:181], v7 offset0:85 offset1:86
	ds_load_2addr_b64 v[186:189], v7 offset0:87 offset1:88
	ds_load_2addr_b64 v[194:197], v7 offset0:89 offset1:90
	ds_load_2addr_b64 v[202:205], v7 offset0:91 offset1:92
	v_add_f32_e32 v9, 0, v9
	ds_load_2addr_b64 v[210:213], v7 offset0:93 offset1:94
	ds_load_2addr_b64 v[218:221], v7 offset0:95 offset1:96
	;; [unrolled: 1-line block ×4, first 2 shown]
	v_add_f32_e32 v9, v9, v11
	s_wait_loadcnt_dscnt 0x160c
	v_mul_f32_e32 v11, v138, v143
	ds_load_2addr_b64 v[242:245], v7 offset0:101 offset1:102
	ds_load_2addr_b64 v[250:253], v7 offset0:103 offset1:104
	s_set_vgpr_msb 64                       ;  msbs: dst=1 src0=0 src1=0 src2=0
	ds_load_2addr_b64 v[2:5] /*v[258:261]*/, v7 offset0:105 offset1:106
	ds_load_2addr_b64 v[10:13] /*v[266:269]*/, v7 offset0:107 offset1:108
	s_set_vgpr_msb 0                        ;  msbs: dst=0 src0=0 src1=0 src2=0
	v_fmac_f32_e32 v11, v139, v142
	s_set_vgpr_msb 64                       ;  msbs: dst=1 src0=0 src1=0 src2=0
	ds_load_2addr_b64 v[50:53] /*v[306:309]*/, v7 offset0:117 offset1:118
	ds_load_2addr_b64 v[58:61] /*v[314:317]*/, v7 offset0:119 offset1:120
	;; [unrolled: 1-line block ×4, first 2 shown]
	s_set_vgpr_msb 0                        ;  msbs: dst=0 src0=0 src1=0 src2=0
	v_dual_add_f32 v9, v9, v11 :: v_dual_mul_f32 v11, v140, v145
	s_set_vgpr_msb 64                       ;  msbs: dst=1 src0=0 src1=0 src2=0
	ds_load_2addr_b64 v[34:37] /*v[290:293]*/, v7 offset0:113 offset1:114
	ds_load_2addr_b64 v[42:45] /*v[298:301]*/, v7 offset0:115 offset1:116
	s_clause 0x3
	scratch_load_b128 v[66:69] /*v[322:325]*/, off, off offset:456
	scratch_load_b128 v[70:73] /*v[326:329]*/, off, off offset:472
	;; [unrolled: 1-line block ×3, first 2 shown]
	scratch_load_b64 v[84:85] /*v[340:341]*/, off, off offset:504
	s_set_vgpr_msb 0                        ;  msbs: dst=0 src0=0 src1=0 src2=0
	v_fmac_f32_e32 v11, v141, v144
	s_delay_alu instid0(VALU_DEP_1)
	v_add_f32_e32 v9, v9, v11
	s_wait_loadcnt_dscnt 0x1915
	v_mul_f32_e32 v11, v146, v151
	s_wait_loadcnt_dscnt 0x404
	s_set_vgpr_msb 0x45                     ;  msbs: dst=1 src0=1 src1=1 src2=0
	v_dual_mul_f32 v81 /*v337*/, v52 /*v308*/, v57 /*v313*/ :: v_dual_mul_f32 v83 /*v339*/, v58 /*v314*/, v63 /*v319*/
	s_set_vgpr_msb 0                        ;  msbs: dst=0 src0=0 src1=0 src2=0
	v_fmac_f32_e32 v11, v147, v150
	s_set_vgpr_msb 0x45                     ;  msbs: dst=1 src0=1 src1=1 src2=0
	s_delay_alu instid0(VALU_DEP_2) | instskip(SKIP_1) | instid1(VALU_DEP_2)
	v_dual_fmac_f32 v81 /*v337*/, v53 /*v309*/, v56 /*v312*/ :: v_dual_fmac_f32 v83 /*v339*/, v59 /*v315*/, v62 /*v318*/
	s_set_vgpr_msb 0                        ;  msbs: dst=0 src0=0 src1=0 src2=0
	v_dual_add_f32 v9, v9, v11 :: v_dual_mul_f32 v11, v148, v153
	s_delay_alu instid0(VALU_DEP_1) | instskip(NEXT) | instid1(VALU_DEP_1)
	v_fmac_f32_e32 v11, v149, v152
	v_add_f32_e32 v9, v9, v11
	v_mul_f32_e32 v11, v154, v159
	s_delay_alu instid0(VALU_DEP_1) | instskip(NEXT) | instid1(VALU_DEP_1)
	v_fmac_f32_e32 v11, v155, v158
	v_dual_add_f32 v9, v9, v11 :: v_dual_mul_f32 v11, v156, v161
	s_delay_alu instid0(VALU_DEP_1) | instskip(NEXT) | instid1(VALU_DEP_1)
	v_fmac_f32_e32 v11, v157, v160
	v_add_f32_e32 v9, v9, v11
	v_mul_f32_e32 v11, v162, v167
	s_delay_alu instid0(VALU_DEP_1) | instskip(NEXT) | instid1(VALU_DEP_1)
	v_fmac_f32_e32 v11, v163, v166
	;; [unrolled: 7-line block ×13, first 2 shown]
	v_add_f32_e32 v9, v9, v11
	s_set_vgpr_msb 4                        ;  msbs: dst=0 src0=0 src1=1 src2=0
	v_mul_f32_e32 v11, v252, v1 /*v257*/
	s_delay_alu instid0(VALU_DEP_1) | instskip(SKIP_1) | instid1(VALU_DEP_1)
	v_fmac_f32_e32 v11, v253, v0 /*v256*/
	s_set_vgpr_msb 0                        ;  msbs: dst=0 src0=0 src1=0 src2=0
	v_add_f32_e32 v9, v9, v11
	s_set_vgpr_msb 5                        ;  msbs: dst=0 src0=1 src1=1 src2=0
	v_mul_f32_e32 v11, v2 /*v258*/, v7 /*v263*/
	s_delay_alu instid0(VALU_DEP_1) | instskip(SKIP_1) | instid1(VALU_DEP_1)
	v_fmac_f32_e32 v11, v3 /*v259*/, v6 /*v262*/
	s_set_vgpr_msb 0                        ;  msbs: dst=0 src0=0 src1=0 src2=0
	v_add_f32_e32 v9, v9, v11
	s_set_vgpr_msb 5                        ;  msbs: dst=0 src0=1 src1=1 src2=0
	v_mul_f32_e32 v11, v4 /*v260*/, v9 /*v265*/
	s_delay_alu instid0(VALU_DEP_1) | instskip(SKIP_1) | instid1(VALU_DEP_1)
	v_fmac_f32_e32 v11, v5 /*v261*/, v8 /*v264*/
	;; [unrolled: 6-line block ×4, first 2 shown]
	s_set_vgpr_msb 0                        ;  msbs: dst=0 src0=0 src1=0 src2=0
	v_add_f32_e32 v9, v9, v11
	s_wait_dscnt 0x3
	s_set_vgpr_msb 5                        ;  msbs: dst=0 src0=1 src1=1 src2=0
	v_mul_f32_e32 v11, v18 /*v274*/, v23 /*v279*/
	s_delay_alu instid0(VALU_DEP_1) | instskip(SKIP_1) | instid1(VALU_DEP_1)
	v_fmac_f32_e32 v11, v19 /*v275*/, v22 /*v278*/
	s_set_vgpr_msb 0                        ;  msbs: dst=0 src0=0 src1=0 src2=0
	v_add_f32_e32 v9, v9, v11
	s_set_vgpr_msb 5                        ;  msbs: dst=0 src0=1 src1=1 src2=0
	v_mul_f32_e32 v11, v20 /*v276*/, v25 /*v281*/
	s_delay_alu instid0(VALU_DEP_1) | instskip(SKIP_1) | instid1(VALU_DEP_1)
	v_fmac_f32_e32 v11, v21 /*v277*/, v24 /*v280*/
	s_set_vgpr_msb 0                        ;  msbs: dst=0 src0=0 src1=0 src2=0
	v_add_f32_e32 v9, v9, v11
	s_wait_dscnt 0x2
	s_set_vgpr_msb 5                        ;  msbs: dst=0 src0=1 src1=1 src2=0
	v_mul_f32_e32 v11, v26 /*v282*/, v31 /*v287*/
	s_delay_alu instid0(VALU_DEP_1) | instskip(SKIP_1) | instid1(VALU_DEP_1)
	v_fmac_f32_e32 v11, v27 /*v283*/, v30 /*v286*/
	s_set_vgpr_msb 0                        ;  msbs: dst=0 src0=0 src1=0 src2=0
	v_add_f32_e32 v9, v9, v11
	s_set_vgpr_msb 5                        ;  msbs: dst=0 src0=1 src1=1 src2=0
	v_mul_f32_e32 v11, v28 /*v284*/, v33 /*v289*/
	s_delay_alu instid0(VALU_DEP_1) | instskip(SKIP_1) | instid1(VALU_DEP_1)
	v_fmac_f32_e32 v11, v29 /*v285*/, v32 /*v288*/
	;; [unrolled: 13-line block ×4, first 2 shown]
	s_set_vgpr_msb 0                        ;  msbs: dst=0 src0=0 src1=0 src2=0
	v_add_f32_e32 v9, v9, v11
	s_set_vgpr_msb 5                        ;  msbs: dst=0 src0=1 src1=1 src2=0
	v_mul_f32_e32 v11, v50 /*v306*/, v55 /*v311*/
	s_delay_alu instid0(VALU_DEP_1) | instskip(SKIP_1) | instid1(VALU_DEP_1)
	v_fmac_f32_e32 v11, v51 /*v307*/, v54 /*v310*/
	s_set_vgpr_msb 64                       ;  msbs: dst=1 src0=0 src1=0 src2=0
	v_add_f32_e32 v79 /*v335*/, v9, v11
	s_set_vgpr_msb 0                        ;  msbs: dst=0 src0=0 src1=0 src2=0
	v_dual_mul_f32 v9, v131, v135 :: v_dual_mul_f32 v11, v133, v137
	s_delay_alu instid0(VALU_DEP_1) | instskip(NEXT) | instid1(VALU_DEP_1)
	v_dual_fma_f32 v9, v130, v134, -v9 :: v_dual_fma_f32 v11, v132, v136, -v11
	v_add_f32_e32 v9, 0, v9
	s_delay_alu instid0(VALU_DEP_1) | instskip(SKIP_1) | instid1(VALU_DEP_1)
	v_add_f32_e32 v9, v9, v11
	v_mul_f32_e32 v11, v139, v143
	v_fma_f32 v11, v138, v142, -v11
	s_delay_alu instid0(VALU_DEP_1) | instskip(SKIP_1) | instid1(VALU_DEP_1)
	v_add_f32_e32 v9, v9, v11
	v_mul_f32_e32 v11, v141, v145
	v_fma_f32 v11, v140, v144, -v11
	ds_load_2addr_b64 v[130:133], v7 offset0:121 offset1:122
	ds_load_2addr_b64 v[134:137], v7 offset0:123 offset1:124
	ds_load_2addr_b64 v[138:141], v7 offset0:125 offset1:126
	ds_load_b64 v[142:143], v7 offset:1016
	v_add_f32_e32 v9, v9, v11
	v_mul_f32_e32 v11, v147, v151
	s_set_vgpr_msb 1                        ;  msbs: dst=0 src0=1 src1=0 src2=0
	v_mov_b32_e32 v147, v60 /*v316*/
	s_set_vgpr_msb 0                        ;  msbs: dst=0 src0=0 src1=0 src2=0
	s_delay_alu instid0(VALU_DEP_2) | instskip(SKIP_3) | instid1(VALU_DEP_2)
	v_fma_f32 v11, v146, v150, -v11
	s_set_vgpr_msb 1                        ;  msbs: dst=0 src0=1 src1=0 src2=0
	v_mov_b32_e32 v146, v61 /*v317*/
	s_set_vgpr_msb 0                        ;  msbs: dst=0 src0=0 src1=0 src2=0
	v_add_f32_e32 v9, v9, v11
	v_mul_f32_e32 v11, v149, v153
	s_delay_alu instid0(VALU_DEP_1) | instskip(SKIP_3) | instid1(VALU_DEP_2)
	v_fma_f32 v11, v148, v152, -v11
	s_set_vgpr_msb 1                        ;  msbs: dst=0 src0=1 src1=0 src2=0
	v_mov_b32_e32 v148, v65 /*v321*/
	s_set_vgpr_msb 0                        ;  msbs: dst=0 src0=0 src1=0 src2=0
	v_add_f32_e32 v9, v9, v11
	v_mul_f32_e32 v11, v155, v159
	s_delay_alu instid0(VALU_DEP_3) | instskip(NEXT) | instid1(VALU_DEP_2)
	v_pk_mul_f32 v[146:147], v[146:147], v[148:149] op_sel_hi:[1,0]
	v_fma_f32 v11, v154, v158, -v11
	s_set_vgpr_msb 5                        ;  msbs: dst=0 src0=1 src1=1 src2=0
	s_delay_alu instid0(VALU_DEP_2) | instskip(SKIP_3) | instid1(VALU_DEP_2)
	v_pk_fma_f32 v[148:149], v[60:61] /*v[316:317]*/, v[64:65] /*v[320:321]*/, v[146:147] neg_lo:[0,0,1] neg_hi:[0,0,1]
	v_pk_fma_f32 v[146:147], v[60:61] /*v[316:317]*/, v[64:65] /*v[320:321]*/, v[146:147] op_sel_hi:[1,0,1]
	s_set_vgpr_msb 0                        ;  msbs: dst=0 src0=0 src1=0 src2=0
	v_add_f32_e32 v9, v9, v11
	v_dual_mul_f32 v11, v157, v161 :: v_dual_mov_b32 v149, v147
	s_wait_loadcnt_dscnt 0x303
	s_set_vgpr_msb 4                        ;  msbs: dst=0 src0=0 src1=1 src2=0
	v_pk_mul_f32 v[146:147], v[130:131], v[66:67] /*v[322:323]*/ op_sel:[1,1] op_sel_hi:[0,1]
	s_set_vgpr_msb 0                        ;  msbs: dst=0 src0=0 src1=0 src2=0
	v_fma_f32 v11, v156, v160, -v11
	s_delay_alu instid0(VALU_DEP_1) | instskip(SKIP_1) | instid1(VALU_DEP_1)
	v_add_f32_e32 v9, v9, v11
	v_mul_f32_e32 v11, v163, v167
	v_fma_f32 v11, v162, v166, -v11
	s_delay_alu instid0(VALU_DEP_1) | instskip(SKIP_1) | instid1(VALU_DEP_1)
	v_add_f32_e32 v9, v9, v11
	v_mul_f32_e32 v11, v165, v169
	;; [unrolled: 4-line block ×23, first 2 shown]
	v_fma_f32 v11, v250, v254, -v11
	s_delay_alu instid0(VALU_DEP_1) | instskip(SKIP_2) | instid1(VALU_DEP_1)
	v_add_f32_e32 v9, v9, v11
	s_set_vgpr_msb 4                        ;  msbs: dst=0 src0=0 src1=1 src2=0
	v_mul_f32_e32 v11, v253, v1 /*v257*/
	v_fma_f32 v11, v252, v0 /*v256*/, -v11
	s_set_vgpr_msb 0                        ;  msbs: dst=0 src0=0 src1=0 src2=0
	s_delay_alu instid0(VALU_DEP_1) | instskip(SKIP_2) | instid1(VALU_DEP_1)
	v_add_f32_e32 v9, v9, v11
	s_set_vgpr_msb 5                        ;  msbs: dst=0 src0=1 src1=1 src2=0
	v_mul_f32_e32 v11, v3 /*v259*/, v7 /*v263*/
	v_fma_f32 v11, v2 /*v258*/, v6 /*v262*/, -v11
	s_set_vgpr_msb 0                        ;  msbs: dst=0 src0=0 src1=0 src2=0
	s_delay_alu instid0(VALU_DEP_1) | instskip(SKIP_2) | instid1(VALU_DEP_1)
	v_add_f32_e32 v9, v9, v11
	s_set_vgpr_msb 5                        ;  msbs: dst=0 src0=1 src1=1 src2=0
	v_mul_f32_e32 v11, v5 /*v261*/, v9 /*v265*/
	v_fma_f32 v11, v4 /*v260*/, v8 /*v264*/, -v11
	;; [unrolled: 6-line block ×13, first 2 shown]
	s_set_vgpr_msb 64                       ;  msbs: dst=1 src0=0 src1=0 src2=0
	s_delay_alu instid0(VALU_DEP_1) | instskip(SKIP_3) | instid1(VALU_DEP_1)
	v_add_f32_e32 v78 /*v334*/, v9, v11
	s_set_vgpr_msb 5                        ;  msbs: dst=0 src0=1 src1=1 src2=0
	v_mul_f32_e32 v9, v53 /*v309*/, v57 /*v313*/
	s_set_vgpr_msb 0x45                     ;  msbs: dst=1 src0=1 src1=1 src2=0
	v_fma_f32 v80 /*v336*/, v52 /*v308*/, v56 /*v312*/, -v9
	s_set_vgpr_msb 5                        ;  msbs: dst=0 src0=1 src1=1 src2=0
	v_mul_f32_e32 v9, v59 /*v315*/, v63 /*v319*/
	s_set_vgpr_msb 0x45                     ;  msbs: dst=1 src0=1 src1=1 src2=0
	s_delay_alu instid0(VALU_DEP_1) | instskip(SKIP_3) | instid1(VALU_DEP_1)
	v_fma_f32 v82 /*v338*/, v58 /*v314*/, v62 /*v318*/, -v9
	s_set_vgpr_msb 5                        ;  msbs: dst=0 src0=1 src1=1 src2=0
	v_pk_add_f32 v[144:145], v[78:79] /*v[334:335]*/, v[80:81] /*v[336:337]*/
	s_set_vgpr_msb 4                        ;  msbs: dst=0 src0=0 src1=1 src2=0
	v_pk_add_f32 v[144:145], v[144:145], v[82:83] /*v[338:339]*/
	s_set_vgpr_msb 0                        ;  msbs: dst=0 src0=0 src1=0 src2=0
	s_delay_alu instid0(VALU_DEP_1)
	v_pk_add_f32 v[144:145], v[144:145], v[148:149]
	s_set_vgpr_msb 4                        ;  msbs: dst=0 src0=0 src1=1 src2=0
	v_pk_fma_f32 v[148:149], v[130:131], v[66:67] /*v[322:323]*/, v[146:147] neg_lo:[0,0,1] neg_hi:[0,0,1]
	v_pk_fma_f32 v[130:131], v[130:131], v[66:67] /*v[322:323]*/, v[146:147] op_sel_hi:[1,0,1]
	s_set_vgpr_msb 1                        ;  msbs: dst=0 src0=1 src1=0 src2=0
	v_mov_b32_e32 v146, v69 /*v325*/
	s_set_vgpr_msb 0                        ;  msbs: dst=0 src0=0 src1=0 src2=0
	s_delay_alu instid0(VALU_DEP_2) | instskip(NEXT) | instid1(VALU_DEP_1)
	v_mov_b32_e32 v149, v131
	v_pk_add_f32 v[130:131], v[144:145], v[148:149]
	v_dual_mov_b32 v144, v133 :: v_dual_mov_b32 v145, v132
	s_delay_alu instid0(VALU_DEP_1) | instskip(SKIP_1) | instid1(VALU_DEP_1)
	v_pk_mul_f32 v[144:145], v[144:145], v[146:147] op_sel_hi:[1,0]
	s_set_vgpr_msb 4                        ;  msbs: dst=0 src0=0 src1=1 src2=0
	v_pk_fma_f32 v[146:147], v[132:133], v[68:69] /*v[324:325]*/, v[144:145] neg_lo:[0,0,1] neg_hi:[0,0,1]
	v_pk_fma_f32 v[132:133], v[132:133], v[68:69] /*v[324:325]*/, v[144:145] op_sel_hi:[1,0,1]
	s_delay_alu instid0(VALU_DEP_1) | instskip(SKIP_3) | instid1(VALU_DEP_2)
	v_mov_b32_e32 v147, v133
	s_wait_loadcnt_dscnt 0x202
	v_pk_mul_f32 v[132:133], v[134:135], v[70:71] /*v[326:327]*/ op_sel:[1,1] op_sel_hi:[0,1]
	s_set_vgpr_msb 0                        ;  msbs: dst=0 src0=0 src1=0 src2=0
	v_pk_add_f32 v[130:131], v[130:131], v[146:147]
	s_set_vgpr_msb 4                        ;  msbs: dst=0 src0=0 src1=1 src2=0
	s_delay_alu instid0(VALU_DEP_2)
	v_pk_fma_f32 v[144:145], v[134:135], v[70:71] /*v[326:327]*/, v[132:133] neg_lo:[0,0,1] neg_hi:[0,0,1]
	v_pk_fma_f32 v[132:133], v[134:135], v[70:71] /*v[326:327]*/, v[132:133] op_sel_hi:[1,0,1]
	v_mov_b32_e32 v132, v137
	s_set_vgpr_msb 1                        ;  msbs: dst=0 src0=1 src1=0 src2=0
	v_mov_b32_e32 v134, v73 /*v329*/
	s_set_vgpr_msb 0                        ;  msbs: dst=0 src0=0 src1=0 src2=0
	v_dual_mov_b32 v145, v133 :: v_dual_mov_b32 v133, v136
	s_delay_alu instid0(VALU_DEP_1) | instskip(NEXT) | instid1(VALU_DEP_2)
	v_pk_add_f32 v[130:131], v[130:131], v[144:145]
	v_pk_mul_f32 v[132:133], v[132:133], v[134:135] op_sel_hi:[1,0]
	s_set_vgpr_msb 4                        ;  msbs: dst=0 src0=0 src1=1 src2=0
	s_delay_alu instid0(VALU_DEP_1) | instskip(SKIP_1) | instid1(VALU_DEP_1)
	v_pk_fma_f32 v[134:135], v[136:137], v[72:73] /*v[328:329]*/, v[132:133] neg_lo:[0,0,1] neg_hi:[0,0,1]
	v_pk_fma_f32 v[132:133], v[136:137], v[72:73] /*v[328:329]*/, v[132:133] op_sel_hi:[1,0,1]
	v_mov_b32_e32 v135, v133
	s_wait_loadcnt_dscnt 0x101
	v_pk_mul_f32 v[132:133], v[138:139], v[74:75] /*v[330:331]*/ op_sel:[1,1] op_sel_hi:[0,1]
	s_set_vgpr_msb 0                        ;  msbs: dst=0 src0=0 src1=0 src2=0
	s_delay_alu instid0(VALU_DEP_2) | instskip(SKIP_1) | instid1(VALU_DEP_2)
	v_pk_add_f32 v[130:131], v[130:131], v[134:135]
	s_set_vgpr_msb 4                        ;  msbs: dst=0 src0=0 src1=1 src2=0
	v_pk_fma_f32 v[134:135], v[138:139], v[74:75] /*v[330:331]*/, v[132:133] neg_lo:[0,0,1] neg_hi:[0,0,1]
	v_pk_fma_f32 v[132:133], v[138:139], v[74:75] /*v[330:331]*/, v[132:133] op_sel_hi:[1,0,1]
	s_delay_alu instid0(VALU_DEP_1) | instskip(SKIP_2) | instid1(VALU_DEP_2)
	v_dual_mov_b32 v132, v141 :: v_dual_mov_b32 v135, v133
	v_mov_b32_e32 v133, v140
	s_set_vgpr_msb 0                        ;  msbs: dst=0 src0=0 src1=0 src2=0
	v_pk_add_f32 v[130:131], v[130:131], v[134:135]
	s_set_vgpr_msb 1                        ;  msbs: dst=0 src0=1 src1=0 src2=0
	v_mov_b32_e32 v134, v77 /*v333*/
	s_set_vgpr_msb 0                        ;  msbs: dst=0 src0=0 src1=0 src2=0
	s_delay_alu instid0(VALU_DEP_1) | instskip(SKIP_1) | instid1(VALU_DEP_1)
	v_pk_mul_f32 v[132:133], v[132:133], v[134:135] op_sel_hi:[1,0]
	s_set_vgpr_msb 4                        ;  msbs: dst=0 src0=0 src1=1 src2=0
	v_pk_fma_f32 v[134:135], v[140:141], v[76:77] /*v[332:333]*/, v[132:133] neg_lo:[0,0,1] neg_hi:[0,0,1]
	v_pk_fma_f32 v[132:133], v[140:141], v[76:77] /*v[332:333]*/, v[132:133] op_sel_hi:[1,0,1]
	s_delay_alu instid0(VALU_DEP_1) | instskip(SKIP_3) | instid1(VALU_DEP_2)
	v_mov_b32_e32 v135, v133
	s_wait_loadcnt_dscnt 0x0
	v_pk_mul_f32 v[132:133], v[142:143], v[84:85] /*v[340:341]*/ op_sel:[1,1] op_sel_hi:[0,1]
	s_set_vgpr_msb 0                        ;  msbs: dst=0 src0=0 src1=0 src2=0
	v_pk_add_f32 v[130:131], v[130:131], v[134:135]
	s_set_vgpr_msb 4                        ;  msbs: dst=0 src0=0 src1=1 src2=0
	s_delay_alu instid0(VALU_DEP_2) | instskip(SKIP_1) | instid1(VALU_DEP_1)
	v_pk_fma_f32 v[134:135], v[142:143], v[84:85] /*v[340:341]*/, v[132:133] neg_lo:[0,0,1] neg_hi:[0,0,1]
	v_pk_fma_f32 v[132:133], v[142:143], v[84:85] /*v[340:341]*/, v[132:133] op_sel_hi:[1,0,1]
	v_mov_b32_e32 v135, v133
	scratch_load_b64 v[132:133], off, off offset:64
	s_set_vgpr_msb 0                        ;  msbs: dst=0 src0=0 src1=0 src2=0
	v_pk_add_f32 v[130:131], v[130:131], v[134:135]
	s_wait_loadcnt 0x0
	s_delay_alu instid0(VALU_DEP_1)
	v_pk_add_f32 v[130:131], v[132:133], v[130:131] neg_lo:[0,1] neg_hi:[0,1]
	scratch_store_b64 off, v[130:131], off offset:64
	s_wait_xcnt 0x0
	v_cmpx_lt_u32_e32 7, v0
	s_cbranch_execz .LBB127_383
; %bb.382:
	scratch_load_b64 v[130:131], off, off offset:56
	v_mov_b64_e32 v[132:133], 0
	scratch_store_b64 off, v[132:133], off offset:56
	s_wait_loadcnt 0x0
	ds_store_b64 v1, v[130:131]
.LBB127_383:
	s_wait_xcnt 0x0
	s_or_b32 exec_lo, exec_lo, s0
	s_wait_storecnt_dscnt 0x0
	s_barrier_signal -1
	s_barrier_wait -1
	ds_load_b128 v[130:133], v7 offset:576
	ds_load_b128 v[134:137], v7 offset:592
	;; [unrolled: 1-line block ×4, first 2 shown]
	s_clause 0x14
	scratch_load_b128 v[146:149], off, off offset:64
	scratch_load_b128 v[150:153], off, off offset:80
	;; [unrolled: 1-line block ×16, first 2 shown]
	s_set_vgpr_msb 64                       ;  msbs: dst=1 src0=0 src1=0 src2=0
	scratch_load_b128 v[6:9] /*v[262:265]*/, off, off offset:320
	scratch_load_b128 v[14:17] /*v[270:273]*/, off, off offset:336
	scratch_load_b128 v[22:25] /*v[278:281]*/, off, off offset:352
	scratch_load_b128 v[30:33] /*v[286:289]*/, off, off offset:368
	s_set_vgpr_msb 0                        ;  msbs: dst=0 src0=0 src1=0 src2=0
	ds_load_b128 v[162:165], v7 offset:640
	ds_load_b128 v[170:173], v7 offset:656
	s_set_vgpr_msb 64                       ;  msbs: dst=1 src0=0 src1=0 src2=0
	s_clause 0x1
	scratch_load_b128 v[38:41] /*v[294:297]*/, off, off offset:384
	scratch_load_b128 v[46:49] /*v[302:305]*/, off, off offset:400
	s_set_vgpr_msb 0                        ;  msbs: dst=0 src0=0 src1=0 src2=0
	ds_load_b128 v[178:181], v7 offset:672
	ds_load_b128 v[186:189], v7 offset:688
	s_set_vgpr_msb 64                       ;  msbs: dst=1 src0=0 src1=0 src2=0
	s_clause 0x1
	scratch_load_b128 v[54:57] /*v[310:313]*/, off, off offset:416
	scratch_load_b128 v[62:65] /*v[318:321]*/, off, off offset:432
	s_set_vgpr_msb 0                        ;  msbs: dst=0 src0=0 src1=0 src2=0
	ds_load_b128 v[194:197], v7 offset:704
	ds_load_b128 v[202:205], v7 offset:720
	;; [unrolled: 1-line block ×8, first 2 shown]
	s_set_vgpr_msb 64                       ;  msbs: dst=1 src0=0 src1=0 src2=0
	ds_load_b128 v[2:5] /*v[258:261]*/, v7 offset:832
	ds_load_b128 v[10:13] /*v[266:269]*/, v7 offset:848
	;; [unrolled: 1-line block ×8, first 2 shown]
	s_clause 0x3
	scratch_load_b128 v[66:69] /*v[322:325]*/, off, off offset:448
	scratch_load_b128 v[70:73] /*v[326:329]*/, off, off offset:464
	;; [unrolled: 1-line block ×4, first 2 shown]
	s_mov_b32 s0, exec_lo
	s_wait_loadcnt_dscnt 0x1b17
	s_set_vgpr_msb 0                        ;  msbs: dst=0 src0=0 src1=0 src2=0
	v_dual_mul_f32 v9, v130, v147 :: v_dual_mul_f32 v11, v132, v149
	s_delay_alu instid0(VALU_DEP_1) | instskip(NEXT) | instid1(VALU_DEP_1)
	v_dual_fmac_f32 v9, v131, v146 :: v_dual_fmac_f32 v11, v133, v148
	v_add_f32_e32 v9, 0, v9
	s_delay_alu instid0(VALU_DEP_1) | instskip(SKIP_2) | instid1(VALU_DEP_1)
	v_add_f32_e32 v9, v9, v11
	s_wait_loadcnt_dscnt 0x1a16
	v_mul_f32_e32 v11, v134, v151
	v_fmac_f32_e32 v11, v135, v150
	s_delay_alu instid0(VALU_DEP_1)
	v_dual_add_f32 v9, v9, v11 :: v_dual_mul_f32 v11, v136, v153
	s_wait_loadcnt_dscnt 0x404
	s_set_vgpr_msb 0x45                     ;  msbs: dst=1 src0=1 src1=1 src2=0
	v_dual_mul_f32 v85 /*v341*/, v58 /*v314*/, v63 /*v319*/ :: v_dual_mul_f32 v87 /*v343*/, v60 /*v316*/, v65 /*v321*/
	s_set_vgpr_msb 0                        ;  msbs: dst=0 src0=0 src1=0 src2=0
	v_fmac_f32_e32 v11, v137, v152
	s_set_vgpr_msb 0x45                     ;  msbs: dst=1 src0=1 src1=1 src2=0
	s_delay_alu instid0(VALU_DEP_2) | instskip(SKIP_1) | instid1(VALU_DEP_2)
	v_dual_fmac_f32 v85 /*v341*/, v59 /*v315*/, v62 /*v318*/ :: v_dual_fmac_f32 v87 /*v343*/, v61 /*v317*/, v64 /*v320*/
	s_set_vgpr_msb 0                        ;  msbs: dst=0 src0=0 src1=0 src2=0
	v_add_f32_e32 v9, v9, v11
	v_mul_f32_e32 v11, v138, v155
	s_delay_alu instid0(VALU_DEP_1) | instskip(NEXT) | instid1(VALU_DEP_1)
	v_fmac_f32_e32 v11, v139, v154
	v_dual_add_f32 v9, v9, v11 :: v_dual_mul_f32 v11, v140, v157
	s_delay_alu instid0(VALU_DEP_1) | instskip(NEXT) | instid1(VALU_DEP_1)
	v_fmac_f32_e32 v11, v141, v156
	v_add_f32_e32 v9, v9, v11
	v_mul_f32_e32 v11, v142, v159
	s_delay_alu instid0(VALU_DEP_1) | instskip(NEXT) | instid1(VALU_DEP_1)
	v_fmac_f32_e32 v11, v143, v158
	v_dual_add_f32 v9, v9, v11 :: v_dual_mul_f32 v11, v144, v161
	s_delay_alu instid0(VALU_DEP_1) | instskip(NEXT) | instid1(VALU_DEP_1)
	v_fmac_f32_e32 v11, v145, v160
	;; [unrolled: 7-line block ×13, first 2 shown]
	v_add_f32_e32 v9, v9, v11
	v_mul_f32_e32 v11, v250, v255
	s_delay_alu instid0(VALU_DEP_1) | instskip(NEXT) | instid1(VALU_DEP_1)
	v_fmac_f32_e32 v11, v251, v254
	v_add_f32_e32 v9, v9, v11
	s_set_vgpr_msb 4                        ;  msbs: dst=0 src0=0 src1=1 src2=0
	v_mul_f32_e32 v11, v252, v1 /*v257*/
	s_delay_alu instid0(VALU_DEP_1) | instskip(SKIP_1) | instid1(VALU_DEP_1)
	v_fmac_f32_e32 v11, v253, v0 /*v256*/
	s_set_vgpr_msb 0                        ;  msbs: dst=0 src0=0 src1=0 src2=0
	v_add_f32_e32 v9, v9, v11
	s_set_vgpr_msb 5                        ;  msbs: dst=0 src0=1 src1=1 src2=0
	v_mul_f32_e32 v11, v2 /*v258*/, v7 /*v263*/
	s_delay_alu instid0(VALU_DEP_1) | instskip(SKIP_1) | instid1(VALU_DEP_1)
	v_fmac_f32_e32 v11, v3 /*v259*/, v6 /*v262*/
	s_set_vgpr_msb 0                        ;  msbs: dst=0 src0=0 src1=0 src2=0
	v_add_f32_e32 v9, v9, v11
	s_set_vgpr_msb 5                        ;  msbs: dst=0 src0=1 src1=1 src2=0
	v_mul_f32_e32 v11, v4 /*v260*/, v9 /*v265*/
	s_delay_alu instid0(VALU_DEP_1) | instskip(SKIP_1) | instid1(VALU_DEP_1)
	v_fmac_f32_e32 v11, v5 /*v261*/, v8 /*v264*/
	;; [unrolled: 6-line block ×4, first 2 shown]
	s_set_vgpr_msb 0                        ;  msbs: dst=0 src0=0 src1=0 src2=0
	v_add_f32_e32 v9, v9, v11
	s_wait_dscnt 0x3
	s_set_vgpr_msb 5                        ;  msbs: dst=0 src0=1 src1=1 src2=0
	v_mul_f32_e32 v11, v18 /*v274*/, v23 /*v279*/
	s_delay_alu instid0(VALU_DEP_1) | instskip(SKIP_1) | instid1(VALU_DEP_1)
	v_fmac_f32_e32 v11, v19 /*v275*/, v22 /*v278*/
	s_set_vgpr_msb 0                        ;  msbs: dst=0 src0=0 src1=0 src2=0
	v_add_f32_e32 v9, v9, v11
	s_set_vgpr_msb 5                        ;  msbs: dst=0 src0=1 src1=1 src2=0
	v_mul_f32_e32 v11, v20 /*v276*/, v25 /*v281*/
	s_delay_alu instid0(VALU_DEP_1) | instskip(SKIP_1) | instid1(VALU_DEP_1)
	v_fmac_f32_e32 v11, v21 /*v277*/, v24 /*v280*/
	s_set_vgpr_msb 0                        ;  msbs: dst=0 src0=0 src1=0 src2=0
	v_add_f32_e32 v9, v9, v11
	s_wait_dscnt 0x2
	s_set_vgpr_msb 5                        ;  msbs: dst=0 src0=1 src1=1 src2=0
	v_mul_f32_e32 v11, v26 /*v282*/, v31 /*v287*/
	s_delay_alu instid0(VALU_DEP_1) | instskip(SKIP_1) | instid1(VALU_DEP_1)
	v_fmac_f32_e32 v11, v27 /*v283*/, v30 /*v286*/
	s_set_vgpr_msb 0                        ;  msbs: dst=0 src0=0 src1=0 src2=0
	v_add_f32_e32 v9, v9, v11
	s_set_vgpr_msb 5                        ;  msbs: dst=0 src0=1 src1=1 src2=0
	v_mul_f32_e32 v11, v28 /*v284*/, v33 /*v289*/
	s_delay_alu instid0(VALU_DEP_1) | instskip(SKIP_1) | instid1(VALU_DEP_1)
	v_fmac_f32_e32 v11, v29 /*v285*/, v32 /*v288*/
	;; [unrolled: 13-line block ×4, first 2 shown]
	s_set_vgpr_msb 0                        ;  msbs: dst=0 src0=0 src1=0 src2=0
	v_add_f32_e32 v9, v9, v11
	s_set_vgpr_msb 5                        ;  msbs: dst=0 src0=1 src1=1 src2=0
	v_mul_f32_e32 v11, v50 /*v306*/, v55 /*v311*/
	s_delay_alu instid0(VALU_DEP_1) | instskip(SKIP_1) | instid1(VALU_DEP_1)
	v_fmac_f32_e32 v11, v51 /*v307*/, v54 /*v310*/
	s_set_vgpr_msb 0                        ;  msbs: dst=0 src0=0 src1=0 src2=0
	v_add_f32_e32 v9, v9, v11
	s_set_vgpr_msb 5                        ;  msbs: dst=0 src0=1 src1=1 src2=0
	v_mul_f32_e32 v11, v52 /*v308*/, v57 /*v313*/
	s_delay_alu instid0(VALU_DEP_1) | instskip(SKIP_1) | instid1(VALU_DEP_1)
	v_fmac_f32_e32 v11, v53 /*v309*/, v56 /*v312*/
	s_set_vgpr_msb 64                       ;  msbs: dst=1 src0=0 src1=0 src2=0
	v_add_f32_e32 v83 /*v339*/, v9, v11
	s_set_vgpr_msb 0                        ;  msbs: dst=0 src0=0 src1=0 src2=0
	v_dual_mul_f32 v9, v131, v147 :: v_dual_mul_f32 v11, v133, v149
	s_delay_alu instid0(VALU_DEP_1) | instskip(NEXT) | instid1(VALU_DEP_1)
	v_dual_fma_f32 v9, v130, v146, -v9 :: v_dual_fma_f32 v11, v132, v148, -v11
	v_add_f32_e32 v9, 0, v9
	s_delay_alu instid0(VALU_DEP_1) | instskip(SKIP_1) | instid1(VALU_DEP_1)
	v_add_f32_e32 v9, v9, v11
	v_mul_f32_e32 v11, v135, v151
	v_fma_f32 v11, v134, v150, -v11
	s_delay_alu instid0(VALU_DEP_1) | instskip(SKIP_1) | instid1(VALU_DEP_1)
	v_add_f32_e32 v9, v9, v11
	v_mul_f32_e32 v11, v137, v153
	v_fma_f32 v11, v136, v152, -v11
	;; [unrolled: 4-line block ×6, first 2 shown]
	ds_load_b128 v[130:133], v7 offset:960
	ds_load_b128 v[134:137], v7 offset:976
	;; [unrolled: 1-line block ×4, first 2 shown]
	v_add_f32_e32 v9, v9, v11
	v_mul_f32_e32 v11, v163, v167
	s_delay_alu instid0(VALU_DEP_1) | instskip(NEXT) | instid1(VALU_DEP_1)
	v_fma_f32 v11, v162, v166, -v11
	v_add_f32_e32 v9, v9, v11
	v_mul_f32_e32 v11, v165, v169
	s_wait_loadcnt_dscnt 0x303
	s_set_vgpr_msb 4                        ;  msbs: dst=0 src0=0 src1=1 src2=0
	v_pk_mul_f32 v[148:149], v[130:131], v[66:67] /*v[322:323]*/ op_sel:[1,1] op_sel_hi:[0,1]
	s_set_vgpr_msb 0                        ;  msbs: dst=0 src0=0 src1=0 src2=0
	v_fma_f32 v11, v164, v168, -v11
	s_set_vgpr_msb 4                        ;  msbs: dst=0 src0=0 src1=1 src2=0
	s_delay_alu instid0(VALU_DEP_2)
	v_pk_fma_f32 v[150:151], v[130:131], v[66:67] /*v[322:323]*/, v[148:149] neg_lo:[0,0,1] neg_hi:[0,0,1]
	v_pk_fma_f32 v[130:131], v[130:131], v[66:67] /*v[322:323]*/, v[148:149] op_sel_hi:[1,0,1]
	s_set_vgpr_msb 1                        ;  msbs: dst=0 src0=1 src1=0 src2=0
	v_mov_b32_e32 v148, v69 /*v325*/
	s_set_vgpr_msb 0                        ;  msbs: dst=0 src0=0 src1=0 src2=0
	v_add_f32_e32 v9, v9, v11
	v_mul_f32_e32 v11, v171, v175
	s_delay_alu instid0(VALU_DEP_1) | instskip(NEXT) | instid1(VALU_DEP_1)
	v_dual_mov_b32 v151, v131 :: v_dual_fma_f32 v11, v170, v174, -v11
	v_add_f32_e32 v9, v9, v11
	v_mul_f32_e32 v11, v173, v177
	s_delay_alu instid0(VALU_DEP_1) | instskip(NEXT) | instid1(VALU_DEP_1)
	v_fma_f32 v11, v172, v176, -v11
	v_add_f32_e32 v9, v9, v11
	v_mul_f32_e32 v11, v179, v183
	s_delay_alu instid0(VALU_DEP_1) | instskip(NEXT) | instid1(VALU_DEP_1)
	v_fma_f32 v11, v178, v182, -v11
	;; [unrolled: 4-line block ×20, first 2 shown]
	v_add_f32_e32 v9, v9, v11
	s_set_vgpr_msb 4                        ;  msbs: dst=0 src0=0 src1=1 src2=0
	v_mul_f32_e32 v11, v253, v1 /*v257*/
	s_delay_alu instid0(VALU_DEP_1) | instskip(SKIP_1) | instid1(VALU_DEP_1)
	v_fma_f32 v11, v252, v0 /*v256*/, -v11
	s_set_vgpr_msb 0                        ;  msbs: dst=0 src0=0 src1=0 src2=0
	v_add_f32_e32 v9, v9, v11
	s_set_vgpr_msb 5                        ;  msbs: dst=0 src0=1 src1=1 src2=0
	v_mul_f32_e32 v11, v3 /*v259*/, v7 /*v263*/
	s_delay_alu instid0(VALU_DEP_1) | instskip(SKIP_1) | instid1(VALU_DEP_1)
	v_fma_f32 v11, v2 /*v258*/, v6 /*v262*/, -v11
	s_set_vgpr_msb 0                        ;  msbs: dst=0 src0=0 src1=0 src2=0
	v_add_f32_e32 v9, v9, v11
	s_set_vgpr_msb 5                        ;  msbs: dst=0 src0=1 src1=1 src2=0
	v_mul_f32_e32 v11, v5 /*v261*/, v9 /*v265*/
	s_delay_alu instid0(VALU_DEP_1) | instskip(SKIP_1) | instid1(VALU_DEP_1)
	v_fma_f32 v11, v4 /*v260*/, v8 /*v264*/, -v11
	;; [unrolled: 6-line block ×14, first 2 shown]
	s_set_vgpr_msb 64                       ;  msbs: dst=1 src0=0 src1=0 src2=0
	v_add_f32_e32 v82 /*v338*/, v9, v11
	s_set_vgpr_msb 5                        ;  msbs: dst=0 src0=1 src1=1 src2=0
	v_mul_f32_e32 v9, v59 /*v315*/, v63 /*v319*/
	s_set_vgpr_msb 0x45                     ;  msbs: dst=1 src0=1 src1=1 src2=0
	s_delay_alu instid0(VALU_DEP_1) | instskip(SKIP_3) | instid1(VALU_DEP_1)
	v_fma_f32 v84 /*v340*/, v58 /*v314*/, v62 /*v318*/, -v9
	s_set_vgpr_msb 5                        ;  msbs: dst=0 src0=1 src1=1 src2=0
	v_mul_f32_e32 v9, v61 /*v317*/, v65 /*v321*/
	s_set_vgpr_msb 0x45                     ;  msbs: dst=1 src0=1 src1=1 src2=0
	v_fma_f32 v86 /*v342*/, v60 /*v316*/, v64 /*v320*/, -v9
	s_set_vgpr_msb 5                        ;  msbs: dst=0 src0=1 src1=1 src2=0
	v_pk_add_f32 v[146:147], v[82:83] /*v[338:339]*/, v[84:85] /*v[340:341]*/
	s_set_vgpr_msb 4                        ;  msbs: dst=0 src0=0 src1=1 src2=0
	s_delay_alu instid0(VALU_DEP_1) | instskip(SKIP_1) | instid1(VALU_DEP_1)
	v_pk_add_f32 v[146:147], v[146:147], v[86:87] /*v[342:343]*/
	s_set_vgpr_msb 0                        ;  msbs: dst=0 src0=0 src1=0 src2=0
	v_pk_add_f32 v[130:131], v[146:147], v[150:151]
	v_dual_mov_b32 v146, v133 :: v_dual_mov_b32 v147, v132
	s_delay_alu instid0(VALU_DEP_1) | instskip(SKIP_1) | instid1(VALU_DEP_1)
	v_pk_mul_f32 v[146:147], v[146:147], v[148:149] op_sel_hi:[1,0]
	s_set_vgpr_msb 4                        ;  msbs: dst=0 src0=0 src1=1 src2=0
	v_pk_fma_f32 v[148:149], v[132:133], v[68:69] /*v[324:325]*/, v[146:147] neg_lo:[0,0,1] neg_hi:[0,0,1]
	v_pk_fma_f32 v[132:133], v[132:133], v[68:69] /*v[324:325]*/, v[146:147] op_sel_hi:[1,0,1]
	s_delay_alu instid0(VALU_DEP_1) | instskip(SKIP_3) | instid1(VALU_DEP_2)
	v_mov_b32_e32 v149, v133
	s_wait_loadcnt_dscnt 0x202
	v_pk_mul_f32 v[132:133], v[134:135], v[70:71] /*v[326:327]*/ op_sel:[1,1] op_sel_hi:[0,1]
	s_set_vgpr_msb 0                        ;  msbs: dst=0 src0=0 src1=0 src2=0
	v_pk_add_f32 v[130:131], v[130:131], v[148:149]
	s_set_vgpr_msb 4                        ;  msbs: dst=0 src0=0 src1=1 src2=0
	s_delay_alu instid0(VALU_DEP_2)
	v_pk_fma_f32 v[146:147], v[134:135], v[70:71] /*v[326:327]*/, v[132:133] neg_lo:[0,0,1] neg_hi:[0,0,1]
	v_pk_fma_f32 v[132:133], v[134:135], v[70:71] /*v[326:327]*/, v[132:133] op_sel_hi:[1,0,1]
	v_mov_b32_e32 v132, v137
	s_set_vgpr_msb 1                        ;  msbs: dst=0 src0=1 src1=0 src2=0
	v_mov_b32_e32 v134, v73 /*v329*/
	s_set_vgpr_msb 0                        ;  msbs: dst=0 src0=0 src1=0 src2=0
	v_dual_mov_b32 v147, v133 :: v_dual_mov_b32 v133, v136
	s_delay_alu instid0(VALU_DEP_1) | instskip(NEXT) | instid1(VALU_DEP_2)
	v_pk_add_f32 v[130:131], v[130:131], v[146:147]
	v_pk_mul_f32 v[132:133], v[132:133], v[134:135] op_sel_hi:[1,0]
	s_set_vgpr_msb 4                        ;  msbs: dst=0 src0=0 src1=1 src2=0
	s_delay_alu instid0(VALU_DEP_1) | instskip(SKIP_1) | instid1(VALU_DEP_1)
	v_pk_fma_f32 v[134:135], v[136:137], v[72:73] /*v[328:329]*/, v[132:133] neg_lo:[0,0,1] neg_hi:[0,0,1]
	v_pk_fma_f32 v[132:133], v[136:137], v[72:73] /*v[328:329]*/, v[132:133] op_sel_hi:[1,0,1]
	v_mov_b32_e32 v135, v133
	s_wait_loadcnt_dscnt 0x101
	v_pk_mul_f32 v[132:133], v[138:139], v[74:75] /*v[330:331]*/ op_sel:[1,1] op_sel_hi:[0,1]
	s_set_vgpr_msb 0                        ;  msbs: dst=0 src0=0 src1=0 src2=0
	s_delay_alu instid0(VALU_DEP_2) | instskip(SKIP_1) | instid1(VALU_DEP_2)
	v_pk_add_f32 v[130:131], v[130:131], v[134:135]
	s_set_vgpr_msb 4                        ;  msbs: dst=0 src0=0 src1=1 src2=0
	v_pk_fma_f32 v[134:135], v[138:139], v[74:75] /*v[330:331]*/, v[132:133] neg_lo:[0,0,1] neg_hi:[0,0,1]
	v_pk_fma_f32 v[132:133], v[138:139], v[74:75] /*v[330:331]*/, v[132:133] op_sel_hi:[1,0,1]
	s_delay_alu instid0(VALU_DEP_1) | instskip(SKIP_2) | instid1(VALU_DEP_2)
	v_dual_mov_b32 v132, v141 :: v_dual_mov_b32 v135, v133
	v_mov_b32_e32 v133, v140
	s_set_vgpr_msb 0                        ;  msbs: dst=0 src0=0 src1=0 src2=0
	v_pk_add_f32 v[130:131], v[130:131], v[134:135]
	s_set_vgpr_msb 1                        ;  msbs: dst=0 src0=1 src1=0 src2=0
	v_mov_b32_e32 v134, v77 /*v333*/
	s_set_vgpr_msb 0                        ;  msbs: dst=0 src0=0 src1=0 src2=0
	s_delay_alu instid0(VALU_DEP_1) | instskip(SKIP_1) | instid1(VALU_DEP_1)
	v_pk_mul_f32 v[132:133], v[132:133], v[134:135] op_sel_hi:[1,0]
	s_set_vgpr_msb 4                        ;  msbs: dst=0 src0=0 src1=1 src2=0
	v_pk_fma_f32 v[134:135], v[140:141], v[76:77] /*v[332:333]*/, v[132:133] neg_lo:[0,0,1] neg_hi:[0,0,1]
	v_pk_fma_f32 v[132:133], v[140:141], v[76:77] /*v[332:333]*/, v[132:133] op_sel_hi:[1,0,1]
	s_delay_alu instid0(VALU_DEP_1) | instskip(SKIP_3) | instid1(VALU_DEP_2)
	v_mov_b32_e32 v135, v133
	s_wait_loadcnt_dscnt 0x0
	v_pk_mul_f32 v[132:133], v[142:143], v[78:79] /*v[334:335]*/ op_sel:[1,1] op_sel_hi:[0,1]
	s_set_vgpr_msb 0                        ;  msbs: dst=0 src0=0 src1=0 src2=0
	v_pk_add_f32 v[130:131], v[130:131], v[134:135]
	s_set_vgpr_msb 4                        ;  msbs: dst=0 src0=0 src1=1 src2=0
	s_delay_alu instid0(VALU_DEP_2) | instskip(SKIP_1) | instid1(VALU_DEP_1)
	v_pk_fma_f32 v[134:135], v[142:143], v[78:79] /*v[334:335]*/, v[132:133] neg_lo:[0,0,1] neg_hi:[0,0,1]
	v_pk_fma_f32 v[132:133], v[142:143], v[78:79] /*v[334:335]*/, v[132:133] op_sel_hi:[1,0,1]
	v_dual_mov_b32 v132, v145 :: v_dual_mov_b32 v135, v133
	v_mov_b32_e32 v133, v144
	s_set_vgpr_msb 0                        ;  msbs: dst=0 src0=0 src1=0 src2=0
	s_delay_alu instid0(VALU_DEP_2) | instskip(SKIP_3) | instid1(VALU_DEP_1)
	v_pk_add_f32 v[130:131], v[130:131], v[134:135]
	s_set_vgpr_msb 1                        ;  msbs: dst=0 src0=1 src1=0 src2=0
	v_mov_b32_e32 v134, v81 /*v337*/
	s_set_vgpr_msb 0                        ;  msbs: dst=0 src0=0 src1=0 src2=0
	v_pk_mul_f32 v[132:133], v[132:133], v[134:135] op_sel_hi:[1,0]
	s_set_vgpr_msb 4                        ;  msbs: dst=0 src0=0 src1=1 src2=0
	s_delay_alu instid0(VALU_DEP_1) | instskip(SKIP_1) | instid1(VALU_DEP_1)
	v_pk_fma_f32 v[134:135], v[144:145], v[80:81] /*v[336:337]*/, v[132:133] neg_lo:[0,0,1] neg_hi:[0,0,1]
	v_pk_fma_f32 v[132:133], v[144:145], v[80:81] /*v[336:337]*/, v[132:133] op_sel_hi:[1,0,1]
	v_mov_b32_e32 v135, v133
	scratch_load_b64 v[132:133], off, off offset:56
	s_set_vgpr_msb 0                        ;  msbs: dst=0 src0=0 src1=0 src2=0
	v_pk_add_f32 v[130:131], v[130:131], v[134:135]
	s_wait_loadcnt 0x0
	s_delay_alu instid0(VALU_DEP_1)
	v_pk_add_f32 v[130:131], v[132:133], v[130:131] neg_lo:[0,1] neg_hi:[0,1]
	scratch_store_b64 off, v[130:131], off offset:56
	s_wait_xcnt 0x0
	v_cmpx_lt_u32_e32 6, v0
	s_cbranch_execz .LBB127_385
; %bb.384:
	scratch_load_b64 v[130:131], off, off offset:48
	v_mov_b64_e32 v[132:133], 0
	scratch_store_b64 off, v[132:133], off offset:48
	s_wait_loadcnt 0x0
	ds_store_b64 v1, v[130:131]
.LBB127_385:
	s_wait_xcnt 0x0
	s_or_b32 exec_lo, exec_lo, s0
	s_wait_storecnt_dscnt 0x0
	s_barrier_signal -1
	s_barrier_wait -1
	s_clause 0xf
	scratch_load_b128 v[134:137], off, off offset:56
	scratch_load_b128 v[142:145], off, off offset:72
	;; [unrolled: 1-line block ×16, first 2 shown]
	v_mov_b32_e32 v7, 0
	s_set_vgpr_msb 64                       ;  msbs: dst=1 src0=0 src1=0 src2=0
	s_clause 0x3
	scratch_load_b128 v[6:9] /*v[262:265]*/, off, off offset:312
	scratch_load_b128 v[14:17] /*v[270:273]*/, off, off offset:328
	;; [unrolled: 1-line block ×4, first 2 shown]
	s_set_vgpr_msb 0                        ;  msbs: dst=0 src0=0 src1=0 src2=0
	ds_load_2addr_b64 v[130:133], v7 offset0:71 offset1:72
	ds_load_2addr_b64 v[138:141], v7 offset0:73 offset1:74
	s_set_vgpr_msb 64                       ;  msbs: dst=1 src0=0 src1=0 src2=0
	s_clause 0x4
	scratch_load_b128 v[38:41] /*v[294:297]*/, off, off offset:376
	scratch_load_b128 v[46:49] /*v[302:305]*/, off, off offset:392
	;; [unrolled: 1-line block ×5, first 2 shown]
	s_mov_b32 s0, exec_lo
	s_wait_loadcnt_dscnt 0x1801
	s_set_vgpr_msb 0                        ;  msbs: dst=0 src0=0 src1=0 src2=0
	v_dual_mul_f32 v9, v130, v135 :: v_dual_mul_f32 v11, v132, v137
	ds_load_2addr_b64 v[146:149], v7 offset0:75 offset1:76
	ds_load_2addr_b64 v[154:157], v7 offset0:77 offset1:78
	;; [unrolled: 1-line block ×4, first 2 shown]
	v_dual_fmac_f32 v9, v131, v134 :: v_dual_fmac_f32 v11, v133, v136
	ds_load_2addr_b64 v[178:181], v7 offset0:83 offset1:84
	ds_load_2addr_b64 v[186:189], v7 offset0:85 offset1:86
	;; [unrolled: 1-line block ×4, first 2 shown]
	v_add_f32_e32 v9, 0, v9
	ds_load_2addr_b64 v[210:213], v7 offset0:91 offset1:92
	ds_load_2addr_b64 v[218:221], v7 offset0:93 offset1:94
	;; [unrolled: 1-line block ×4, first 2 shown]
	v_add_f32_e32 v9, v9, v11
	s_wait_loadcnt_dscnt 0x170c
	v_mul_f32_e32 v11, v138, v143
	ds_load_2addr_b64 v[242:245], v7 offset0:99 offset1:100
	ds_load_2addr_b64 v[250:253], v7 offset0:101 offset1:102
	s_set_vgpr_msb 64                       ;  msbs: dst=1 src0=0 src1=0 src2=0
	ds_load_2addr_b64 v[2:5] /*v[258:261]*/, v7 offset0:103 offset1:104
	ds_load_2addr_b64 v[10:13] /*v[266:269]*/, v7 offset0:105 offset1:106
	s_set_vgpr_msb 0                        ;  msbs: dst=0 src0=0 src1=0 src2=0
	v_fmac_f32_e32 v11, v139, v142
	s_set_vgpr_msb 64                       ;  msbs: dst=1 src0=0 src1=0 src2=0
	ds_load_2addr_b64 v[50:53] /*v[306:309]*/, v7 offset0:115 offset1:116
	ds_load_2addr_b64 v[58:61] /*v[314:317]*/, v7 offset0:117 offset1:118
	;; [unrolled: 1-line block ×5, first 2 shown]
	s_set_vgpr_msb 0                        ;  msbs: dst=0 src0=0 src1=0 src2=0
	v_dual_add_f32 v9, v9, v11 :: v_dual_mul_f32 v11, v140, v145
	s_set_vgpr_msb 64                       ;  msbs: dst=1 src0=0 src1=0 src2=0
	ds_load_2addr_b64 v[34:37] /*v[290:293]*/, v7 offset0:111 offset1:112
	ds_load_2addr_b64 v[42:45] /*v[298:301]*/, v7 offset0:113 offset1:114
	s_clause 0x3
	scratch_load_b128 v[74:77] /*v[330:333]*/, off, off offset:456
	scratch_load_b128 v[78:81] /*v[334:337]*/, off, off offset:472
	;; [unrolled: 1-line block ×3, first 2 shown]
	scratch_load_b64 v[92:93] /*v[348:349]*/, off, off offset:504
	s_set_vgpr_msb 0                        ;  msbs: dst=0 src0=0 src1=0 src2=0
	v_fmac_f32_e32 v11, v141, v144
	s_delay_alu instid0(VALU_DEP_1)
	v_add_f32_e32 v9, v9, v11
	s_wait_loadcnt_dscnt 0x1a16
	v_mul_f32_e32 v11, v146, v151
	s_wait_loadcnt_dscnt 0x404
	s_set_vgpr_msb 0x45                     ;  msbs: dst=1 src0=1 src1=1 src2=0
	v_dual_mul_f32 v89 /*v345*/, v60 /*v316*/, v65 /*v321*/ :: v_dual_mul_f32 v91 /*v347*/, v66 /*v322*/, v71 /*v327*/
	s_set_vgpr_msb 0                        ;  msbs: dst=0 src0=0 src1=0 src2=0
	v_fmac_f32_e32 v11, v147, v150
	s_set_vgpr_msb 0x45                     ;  msbs: dst=1 src0=1 src1=1 src2=0
	s_delay_alu instid0(VALU_DEP_2) | instskip(SKIP_1) | instid1(VALU_DEP_2)
	v_dual_fmac_f32 v89 /*v345*/, v61 /*v317*/, v64 /*v320*/ :: v_dual_fmac_f32 v91 /*v347*/, v67 /*v323*/, v70 /*v326*/
	s_set_vgpr_msb 0                        ;  msbs: dst=0 src0=0 src1=0 src2=0
	v_dual_add_f32 v9, v9, v11 :: v_dual_mul_f32 v11, v148, v153
	s_delay_alu instid0(VALU_DEP_1) | instskip(NEXT) | instid1(VALU_DEP_1)
	v_fmac_f32_e32 v11, v149, v152
	v_add_f32_e32 v9, v9, v11
	v_mul_f32_e32 v11, v154, v159
	s_delay_alu instid0(VALU_DEP_1) | instskip(NEXT) | instid1(VALU_DEP_1)
	v_fmac_f32_e32 v11, v155, v158
	v_dual_add_f32 v9, v9, v11 :: v_dual_mul_f32 v11, v156, v161
	s_delay_alu instid0(VALU_DEP_1) | instskip(NEXT) | instid1(VALU_DEP_1)
	v_fmac_f32_e32 v11, v157, v160
	v_add_f32_e32 v9, v9, v11
	v_mul_f32_e32 v11, v162, v167
	s_delay_alu instid0(VALU_DEP_1) | instskip(NEXT) | instid1(VALU_DEP_1)
	v_fmac_f32_e32 v11, v163, v166
	;; [unrolled: 7-line block ×13, first 2 shown]
	v_add_f32_e32 v9, v9, v11
	s_set_vgpr_msb 4                        ;  msbs: dst=0 src0=0 src1=1 src2=0
	v_mul_f32_e32 v11, v252, v1 /*v257*/
	s_delay_alu instid0(VALU_DEP_1) | instskip(SKIP_1) | instid1(VALU_DEP_1)
	v_fmac_f32_e32 v11, v253, v0 /*v256*/
	s_set_vgpr_msb 0                        ;  msbs: dst=0 src0=0 src1=0 src2=0
	v_add_f32_e32 v9, v9, v11
	s_set_vgpr_msb 5                        ;  msbs: dst=0 src0=1 src1=1 src2=0
	v_mul_f32_e32 v11, v2 /*v258*/, v7 /*v263*/
	s_delay_alu instid0(VALU_DEP_1) | instskip(SKIP_1) | instid1(VALU_DEP_1)
	v_fmac_f32_e32 v11, v3 /*v259*/, v6 /*v262*/
	s_set_vgpr_msb 0                        ;  msbs: dst=0 src0=0 src1=0 src2=0
	v_add_f32_e32 v9, v9, v11
	s_set_vgpr_msb 5                        ;  msbs: dst=0 src0=1 src1=1 src2=0
	v_mul_f32_e32 v11, v4 /*v260*/, v9 /*v265*/
	s_delay_alu instid0(VALU_DEP_1) | instskip(SKIP_1) | instid1(VALU_DEP_1)
	v_fmac_f32_e32 v11, v5 /*v261*/, v8 /*v264*/
	;; [unrolled: 6-line block ×4, first 2 shown]
	s_set_vgpr_msb 0                        ;  msbs: dst=0 src0=0 src1=0 src2=0
	v_add_f32_e32 v9, v9, v11
	s_wait_dscnt 0x3
	s_set_vgpr_msb 5                        ;  msbs: dst=0 src0=1 src1=1 src2=0
	v_mul_f32_e32 v11, v18 /*v274*/, v23 /*v279*/
	s_delay_alu instid0(VALU_DEP_1) | instskip(SKIP_1) | instid1(VALU_DEP_1)
	v_fmac_f32_e32 v11, v19 /*v275*/, v22 /*v278*/
	s_set_vgpr_msb 0                        ;  msbs: dst=0 src0=0 src1=0 src2=0
	v_add_f32_e32 v9, v9, v11
	s_set_vgpr_msb 5                        ;  msbs: dst=0 src0=1 src1=1 src2=0
	v_mul_f32_e32 v11, v20 /*v276*/, v25 /*v281*/
	s_delay_alu instid0(VALU_DEP_1) | instskip(SKIP_1) | instid1(VALU_DEP_1)
	v_fmac_f32_e32 v11, v21 /*v277*/, v24 /*v280*/
	s_set_vgpr_msb 0                        ;  msbs: dst=0 src0=0 src1=0 src2=0
	v_add_f32_e32 v9, v9, v11
	s_wait_dscnt 0x2
	s_set_vgpr_msb 5                        ;  msbs: dst=0 src0=1 src1=1 src2=0
	v_mul_f32_e32 v11, v26 /*v282*/, v31 /*v287*/
	s_delay_alu instid0(VALU_DEP_1) | instskip(SKIP_1) | instid1(VALU_DEP_1)
	v_fmac_f32_e32 v11, v27 /*v283*/, v30 /*v286*/
	s_set_vgpr_msb 0                        ;  msbs: dst=0 src0=0 src1=0 src2=0
	v_add_f32_e32 v9, v9, v11
	s_set_vgpr_msb 5                        ;  msbs: dst=0 src0=1 src1=1 src2=0
	v_mul_f32_e32 v11, v28 /*v284*/, v33 /*v289*/
	s_delay_alu instid0(VALU_DEP_1) | instskip(SKIP_1) | instid1(VALU_DEP_1)
	v_fmac_f32_e32 v11, v29 /*v285*/, v32 /*v288*/
	;; [unrolled: 13-line block ×4, first 2 shown]
	s_set_vgpr_msb 0                        ;  msbs: dst=0 src0=0 src1=0 src2=0
	v_add_f32_e32 v9, v9, v11
	s_set_vgpr_msb 5                        ;  msbs: dst=0 src0=1 src1=1 src2=0
	v_mul_f32_e32 v11, v50 /*v306*/, v55 /*v311*/
	s_delay_alu instid0(VALU_DEP_1) | instskip(SKIP_1) | instid1(VALU_DEP_1)
	v_fmac_f32_e32 v11, v51 /*v307*/, v54 /*v310*/
	s_set_vgpr_msb 0                        ;  msbs: dst=0 src0=0 src1=0 src2=0
	v_add_f32_e32 v9, v9, v11
	s_set_vgpr_msb 5                        ;  msbs: dst=0 src0=1 src1=1 src2=0
	v_mul_f32_e32 v11, v52 /*v308*/, v57 /*v313*/
	s_delay_alu instid0(VALU_DEP_1) | instskip(SKIP_1) | instid1(VALU_DEP_1)
	v_fmac_f32_e32 v11, v53 /*v309*/, v56 /*v312*/
	;; [unrolled: 6-line block ×3, first 2 shown]
	s_set_vgpr_msb 64                       ;  msbs: dst=1 src0=0 src1=0 src2=0
	v_add_f32_e32 v87 /*v343*/, v9, v11
	s_set_vgpr_msb 0                        ;  msbs: dst=0 src0=0 src1=0 src2=0
	v_dual_mul_f32 v9, v131, v135 :: v_dual_mul_f32 v11, v133, v137
	s_delay_alu instid0(VALU_DEP_1) | instskip(NEXT) | instid1(VALU_DEP_1)
	v_dual_fma_f32 v9, v130, v134, -v9 :: v_dual_fma_f32 v11, v132, v136, -v11
	v_add_f32_e32 v9, 0, v9
	s_delay_alu instid0(VALU_DEP_1) | instskip(SKIP_1) | instid1(VALU_DEP_1)
	v_add_f32_e32 v9, v9, v11
	v_mul_f32_e32 v11, v139, v143
	v_fma_f32 v11, v138, v142, -v11
	s_delay_alu instid0(VALU_DEP_1) | instskip(SKIP_1) | instid1(VALU_DEP_1)
	v_add_f32_e32 v9, v9, v11
	v_mul_f32_e32 v11, v141, v145
	v_fma_f32 v11, v140, v144, -v11
	ds_load_2addr_b64 v[130:133], v7 offset0:121 offset1:122
	ds_load_2addr_b64 v[134:137], v7 offset0:123 offset1:124
	ds_load_2addr_b64 v[138:141], v7 offset0:125 offset1:126
	ds_load_b64 v[142:143], v7 offset:1016
	v_add_f32_e32 v9, v9, v11
	v_mul_f32_e32 v11, v147, v151
	s_set_vgpr_msb 1                        ;  msbs: dst=0 src0=1 src1=0 src2=0
	v_mov_b32_e32 v147, v68 /*v324*/
	s_set_vgpr_msb 0                        ;  msbs: dst=0 src0=0 src1=0 src2=0
	s_delay_alu instid0(VALU_DEP_2) | instskip(SKIP_3) | instid1(VALU_DEP_2)
	v_fma_f32 v11, v146, v150, -v11
	s_set_vgpr_msb 1                        ;  msbs: dst=0 src0=1 src1=0 src2=0
	v_mov_b32_e32 v146, v69 /*v325*/
	s_set_vgpr_msb 0                        ;  msbs: dst=0 src0=0 src1=0 src2=0
	v_add_f32_e32 v9, v9, v11
	v_mul_f32_e32 v11, v149, v153
	s_delay_alu instid0(VALU_DEP_1) | instskip(SKIP_3) | instid1(VALU_DEP_2)
	v_fma_f32 v11, v148, v152, -v11
	s_set_vgpr_msb 1                        ;  msbs: dst=0 src0=1 src1=0 src2=0
	v_mov_b32_e32 v148, v73 /*v329*/
	s_set_vgpr_msb 0                        ;  msbs: dst=0 src0=0 src1=0 src2=0
	v_add_f32_e32 v9, v9, v11
	v_mul_f32_e32 v11, v155, v159
	s_delay_alu instid0(VALU_DEP_3) | instskip(NEXT) | instid1(VALU_DEP_2)
	v_pk_mul_f32 v[146:147], v[146:147], v[148:149] op_sel_hi:[1,0]
	v_fma_f32 v11, v154, v158, -v11
	s_set_vgpr_msb 5                        ;  msbs: dst=0 src0=1 src1=1 src2=0
	s_delay_alu instid0(VALU_DEP_2) | instskip(SKIP_3) | instid1(VALU_DEP_2)
	v_pk_fma_f32 v[148:149], v[68:69] /*v[324:325]*/, v[72:73] /*v[328:329]*/, v[146:147] neg_lo:[0,0,1] neg_hi:[0,0,1]
	v_pk_fma_f32 v[146:147], v[68:69] /*v[324:325]*/, v[72:73] /*v[328:329]*/, v[146:147] op_sel_hi:[1,0,1]
	s_set_vgpr_msb 0                        ;  msbs: dst=0 src0=0 src1=0 src2=0
	v_add_f32_e32 v9, v9, v11
	v_dual_mul_f32 v11, v157, v161 :: v_dual_mov_b32 v149, v147
	s_wait_loadcnt_dscnt 0x303
	s_set_vgpr_msb 4                        ;  msbs: dst=0 src0=0 src1=1 src2=0
	v_pk_mul_f32 v[146:147], v[130:131], v[74:75] /*v[330:331]*/ op_sel:[1,1] op_sel_hi:[0,1]
	s_set_vgpr_msb 0                        ;  msbs: dst=0 src0=0 src1=0 src2=0
	v_fma_f32 v11, v156, v160, -v11
	s_delay_alu instid0(VALU_DEP_1) | instskip(SKIP_1) | instid1(VALU_DEP_1)
	v_add_f32_e32 v9, v9, v11
	v_mul_f32_e32 v11, v163, v167
	v_fma_f32 v11, v162, v166, -v11
	s_delay_alu instid0(VALU_DEP_1) | instskip(SKIP_1) | instid1(VALU_DEP_1)
	v_add_f32_e32 v9, v9, v11
	v_mul_f32_e32 v11, v165, v169
	;; [unrolled: 4-line block ×23, first 2 shown]
	v_fma_f32 v11, v250, v254, -v11
	s_delay_alu instid0(VALU_DEP_1) | instskip(SKIP_2) | instid1(VALU_DEP_1)
	v_add_f32_e32 v9, v9, v11
	s_set_vgpr_msb 4                        ;  msbs: dst=0 src0=0 src1=1 src2=0
	v_mul_f32_e32 v11, v253, v1 /*v257*/
	v_fma_f32 v11, v252, v0 /*v256*/, -v11
	s_set_vgpr_msb 0                        ;  msbs: dst=0 src0=0 src1=0 src2=0
	s_delay_alu instid0(VALU_DEP_1) | instskip(SKIP_2) | instid1(VALU_DEP_1)
	v_add_f32_e32 v9, v9, v11
	s_set_vgpr_msb 5                        ;  msbs: dst=0 src0=1 src1=1 src2=0
	v_mul_f32_e32 v11, v3 /*v259*/, v7 /*v263*/
	v_fma_f32 v11, v2 /*v258*/, v6 /*v262*/, -v11
	s_set_vgpr_msb 0                        ;  msbs: dst=0 src0=0 src1=0 src2=0
	s_delay_alu instid0(VALU_DEP_1) | instskip(SKIP_2) | instid1(VALU_DEP_1)
	v_add_f32_e32 v9, v9, v11
	s_set_vgpr_msb 5                        ;  msbs: dst=0 src0=1 src1=1 src2=0
	v_mul_f32_e32 v11, v5 /*v261*/, v9 /*v265*/
	v_fma_f32 v11, v4 /*v260*/, v8 /*v264*/, -v11
	;; [unrolled: 6-line block ×15, first 2 shown]
	s_set_vgpr_msb 64                       ;  msbs: dst=1 src0=0 src1=0 src2=0
	s_delay_alu instid0(VALU_DEP_1) | instskip(SKIP_3) | instid1(VALU_DEP_1)
	v_add_f32_e32 v86 /*v342*/, v9, v11
	s_set_vgpr_msb 5                        ;  msbs: dst=0 src0=1 src1=1 src2=0
	v_mul_f32_e32 v9, v61 /*v317*/, v65 /*v321*/
	s_set_vgpr_msb 0x45                     ;  msbs: dst=1 src0=1 src1=1 src2=0
	v_fma_f32 v88 /*v344*/, v60 /*v316*/, v64 /*v320*/, -v9
	s_set_vgpr_msb 5                        ;  msbs: dst=0 src0=1 src1=1 src2=0
	v_mul_f32_e32 v9, v67 /*v323*/, v71 /*v327*/
	s_set_vgpr_msb 0x45                     ;  msbs: dst=1 src0=1 src1=1 src2=0
	s_delay_alu instid0(VALU_DEP_1) | instskip(SKIP_3) | instid1(VALU_DEP_1)
	v_fma_f32 v90 /*v346*/, v66 /*v322*/, v70 /*v326*/, -v9
	s_set_vgpr_msb 5                        ;  msbs: dst=0 src0=1 src1=1 src2=0
	v_pk_add_f32 v[144:145], v[86:87] /*v[342:343]*/, v[88:89] /*v[344:345]*/
	s_set_vgpr_msb 4                        ;  msbs: dst=0 src0=0 src1=1 src2=0
	v_pk_add_f32 v[144:145], v[144:145], v[90:91] /*v[346:347]*/
	s_set_vgpr_msb 0                        ;  msbs: dst=0 src0=0 src1=0 src2=0
	s_delay_alu instid0(VALU_DEP_1)
	v_pk_add_f32 v[144:145], v[144:145], v[148:149]
	s_set_vgpr_msb 4                        ;  msbs: dst=0 src0=0 src1=1 src2=0
	v_pk_fma_f32 v[148:149], v[130:131], v[74:75] /*v[330:331]*/, v[146:147] neg_lo:[0,0,1] neg_hi:[0,0,1]
	v_pk_fma_f32 v[130:131], v[130:131], v[74:75] /*v[330:331]*/, v[146:147] op_sel_hi:[1,0,1]
	s_set_vgpr_msb 1                        ;  msbs: dst=0 src0=1 src1=0 src2=0
	v_mov_b32_e32 v146, v77 /*v333*/
	s_set_vgpr_msb 0                        ;  msbs: dst=0 src0=0 src1=0 src2=0
	s_delay_alu instid0(VALU_DEP_2) | instskip(NEXT) | instid1(VALU_DEP_1)
	v_mov_b32_e32 v149, v131
	v_pk_add_f32 v[130:131], v[144:145], v[148:149]
	v_dual_mov_b32 v144, v133 :: v_dual_mov_b32 v145, v132
	s_delay_alu instid0(VALU_DEP_1) | instskip(SKIP_1) | instid1(VALU_DEP_1)
	v_pk_mul_f32 v[144:145], v[144:145], v[146:147] op_sel_hi:[1,0]
	s_set_vgpr_msb 4                        ;  msbs: dst=0 src0=0 src1=1 src2=0
	v_pk_fma_f32 v[146:147], v[132:133], v[76:77] /*v[332:333]*/, v[144:145] neg_lo:[0,0,1] neg_hi:[0,0,1]
	v_pk_fma_f32 v[132:133], v[132:133], v[76:77] /*v[332:333]*/, v[144:145] op_sel_hi:[1,0,1]
	s_delay_alu instid0(VALU_DEP_1) | instskip(SKIP_3) | instid1(VALU_DEP_2)
	v_mov_b32_e32 v147, v133
	s_wait_loadcnt_dscnt 0x202
	v_pk_mul_f32 v[132:133], v[134:135], v[78:79] /*v[334:335]*/ op_sel:[1,1] op_sel_hi:[0,1]
	s_set_vgpr_msb 0                        ;  msbs: dst=0 src0=0 src1=0 src2=0
	v_pk_add_f32 v[130:131], v[130:131], v[146:147]
	s_set_vgpr_msb 4                        ;  msbs: dst=0 src0=0 src1=1 src2=0
	s_delay_alu instid0(VALU_DEP_2)
	v_pk_fma_f32 v[144:145], v[134:135], v[78:79] /*v[334:335]*/, v[132:133] neg_lo:[0,0,1] neg_hi:[0,0,1]
	v_pk_fma_f32 v[132:133], v[134:135], v[78:79] /*v[334:335]*/, v[132:133] op_sel_hi:[1,0,1]
	v_mov_b32_e32 v132, v137
	s_set_vgpr_msb 1                        ;  msbs: dst=0 src0=1 src1=0 src2=0
	v_mov_b32_e32 v134, v81 /*v337*/
	s_set_vgpr_msb 0                        ;  msbs: dst=0 src0=0 src1=0 src2=0
	v_dual_mov_b32 v145, v133 :: v_dual_mov_b32 v133, v136
	s_delay_alu instid0(VALU_DEP_1) | instskip(NEXT) | instid1(VALU_DEP_2)
	v_pk_add_f32 v[130:131], v[130:131], v[144:145]
	v_pk_mul_f32 v[132:133], v[132:133], v[134:135] op_sel_hi:[1,0]
	s_set_vgpr_msb 4                        ;  msbs: dst=0 src0=0 src1=1 src2=0
	s_delay_alu instid0(VALU_DEP_1) | instskip(SKIP_1) | instid1(VALU_DEP_1)
	v_pk_fma_f32 v[134:135], v[136:137], v[80:81] /*v[336:337]*/, v[132:133] neg_lo:[0,0,1] neg_hi:[0,0,1]
	v_pk_fma_f32 v[132:133], v[136:137], v[80:81] /*v[336:337]*/, v[132:133] op_sel_hi:[1,0,1]
	v_mov_b32_e32 v135, v133
	s_wait_loadcnt_dscnt 0x101
	v_pk_mul_f32 v[132:133], v[138:139], v[82:83] /*v[338:339]*/ op_sel:[1,1] op_sel_hi:[0,1]
	s_set_vgpr_msb 0                        ;  msbs: dst=0 src0=0 src1=0 src2=0
	s_delay_alu instid0(VALU_DEP_2) | instskip(SKIP_1) | instid1(VALU_DEP_2)
	v_pk_add_f32 v[130:131], v[130:131], v[134:135]
	s_set_vgpr_msb 4                        ;  msbs: dst=0 src0=0 src1=1 src2=0
	v_pk_fma_f32 v[134:135], v[138:139], v[82:83] /*v[338:339]*/, v[132:133] neg_lo:[0,0,1] neg_hi:[0,0,1]
	v_pk_fma_f32 v[132:133], v[138:139], v[82:83] /*v[338:339]*/, v[132:133] op_sel_hi:[1,0,1]
	s_delay_alu instid0(VALU_DEP_1) | instskip(SKIP_2) | instid1(VALU_DEP_2)
	v_dual_mov_b32 v132, v141 :: v_dual_mov_b32 v135, v133
	v_mov_b32_e32 v133, v140
	s_set_vgpr_msb 0                        ;  msbs: dst=0 src0=0 src1=0 src2=0
	v_pk_add_f32 v[130:131], v[130:131], v[134:135]
	s_set_vgpr_msb 1                        ;  msbs: dst=0 src0=1 src1=0 src2=0
	v_mov_b32_e32 v134, v85 /*v341*/
	s_set_vgpr_msb 0                        ;  msbs: dst=0 src0=0 src1=0 src2=0
	s_delay_alu instid0(VALU_DEP_1) | instskip(SKIP_1) | instid1(VALU_DEP_1)
	v_pk_mul_f32 v[132:133], v[132:133], v[134:135] op_sel_hi:[1,0]
	s_set_vgpr_msb 4                        ;  msbs: dst=0 src0=0 src1=1 src2=0
	v_pk_fma_f32 v[134:135], v[140:141], v[84:85] /*v[340:341]*/, v[132:133] neg_lo:[0,0,1] neg_hi:[0,0,1]
	v_pk_fma_f32 v[132:133], v[140:141], v[84:85] /*v[340:341]*/, v[132:133] op_sel_hi:[1,0,1]
	s_delay_alu instid0(VALU_DEP_1) | instskip(SKIP_3) | instid1(VALU_DEP_2)
	v_mov_b32_e32 v135, v133
	s_wait_loadcnt_dscnt 0x0
	v_pk_mul_f32 v[132:133], v[142:143], v[92:93] /*v[348:349]*/ op_sel:[1,1] op_sel_hi:[0,1]
	s_set_vgpr_msb 0                        ;  msbs: dst=0 src0=0 src1=0 src2=0
	v_pk_add_f32 v[130:131], v[130:131], v[134:135]
	s_set_vgpr_msb 4                        ;  msbs: dst=0 src0=0 src1=1 src2=0
	s_delay_alu instid0(VALU_DEP_2) | instskip(SKIP_1) | instid1(VALU_DEP_1)
	v_pk_fma_f32 v[134:135], v[142:143], v[92:93] /*v[348:349]*/, v[132:133] neg_lo:[0,0,1] neg_hi:[0,0,1]
	v_pk_fma_f32 v[132:133], v[142:143], v[92:93] /*v[348:349]*/, v[132:133] op_sel_hi:[1,0,1]
	v_mov_b32_e32 v135, v133
	scratch_load_b64 v[132:133], off, off offset:48
	s_set_vgpr_msb 0                        ;  msbs: dst=0 src0=0 src1=0 src2=0
	v_pk_add_f32 v[130:131], v[130:131], v[134:135]
	s_wait_loadcnt 0x0
	s_delay_alu instid0(VALU_DEP_1)
	v_pk_add_f32 v[130:131], v[132:133], v[130:131] neg_lo:[0,1] neg_hi:[0,1]
	scratch_store_b64 off, v[130:131], off offset:48
	s_wait_xcnt 0x0
	v_cmpx_lt_u32_e32 5, v0
	s_cbranch_execz .LBB127_387
; %bb.386:
	scratch_load_b64 v[130:131], off, off offset:40
	v_mov_b64_e32 v[132:133], 0
	scratch_store_b64 off, v[132:133], off offset:40
	s_wait_loadcnt 0x0
	ds_store_b64 v1, v[130:131]
.LBB127_387:
	s_wait_xcnt 0x0
	s_or_b32 exec_lo, exec_lo, s0
	s_wait_storecnt_dscnt 0x0
	s_barrier_signal -1
	s_barrier_wait -1
	ds_load_b128 v[130:133], v7 offset:560
	ds_load_b128 v[134:137], v7 offset:576
	;; [unrolled: 1-line block ×4, first 2 shown]
	s_clause 0x14
	scratch_load_b128 v[146:149], off, off offset:48
	scratch_load_b128 v[150:153], off, off offset:64
	;; [unrolled: 1-line block ×16, first 2 shown]
	s_set_vgpr_msb 64                       ;  msbs: dst=1 src0=0 src1=0 src2=0
	scratch_load_b128 v[6:9] /*v[262:265]*/, off, off offset:304
	scratch_load_b128 v[14:17] /*v[270:273]*/, off, off offset:320
	;; [unrolled: 1-line block ×4, first 2 shown]
	s_set_vgpr_msb 0                        ;  msbs: dst=0 src0=0 src1=0 src2=0
	ds_load_b128 v[162:165], v7 offset:624
	ds_load_b128 v[170:173], v7 offset:640
	s_set_vgpr_msb 64                       ;  msbs: dst=1 src0=0 src1=0 src2=0
	s_clause 0x1
	scratch_load_b128 v[38:41] /*v[294:297]*/, off, off offset:368
	scratch_load_b128 v[46:49] /*v[302:305]*/, off, off offset:384
	s_set_vgpr_msb 0                        ;  msbs: dst=0 src0=0 src1=0 src2=0
	ds_load_b128 v[178:181], v7 offset:656
	ds_load_b128 v[186:189], v7 offset:672
	s_set_vgpr_msb 64                       ;  msbs: dst=1 src0=0 src1=0 src2=0
	s_clause 0x1
	scratch_load_b128 v[54:57] /*v[310:313]*/, off, off offset:400
	scratch_load_b128 v[62:65] /*v[318:321]*/, off, off offset:416
	s_set_vgpr_msb 0                        ;  msbs: dst=0 src0=0 src1=0 src2=0
	ds_load_b128 v[194:197], v7 offset:688
	ds_load_b128 v[202:205], v7 offset:704
	;; [unrolled: 1-line block ×8, first 2 shown]
	s_set_vgpr_msb 64                       ;  msbs: dst=1 src0=0 src1=0 src2=0
	ds_load_b128 v[2:5] /*v[258:261]*/, v7 offset:816
	ds_load_b128 v[10:13] /*v[266:269]*/, v7 offset:832
	;; [unrolled: 1-line block ×3, first 2 shown]
	scratch_load_b128 v[70:73] /*v[326:329]*/, off, off offset:432
	ds_load_b128 v[18:21] /*v[274:277]*/, v7 offset:848
	ds_load_b128 v[26:29] /*v[282:285]*/, v7 offset:864
	;; [unrolled: 1-line block ×6, first 2 shown]
	s_clause 0x3
	scratch_load_b128 v[74:77] /*v[330:333]*/, off, off offset:448
	scratch_load_b128 v[78:81] /*v[334:337]*/, off, off offset:464
	;; [unrolled: 1-line block ×4, first 2 shown]
	s_mov_b32 s0, exec_lo
	s_wait_loadcnt_dscnt 0x1c18
	s_set_vgpr_msb 0                        ;  msbs: dst=0 src0=0 src1=0 src2=0
	v_dual_mul_f32 v9, v130, v147 :: v_dual_mul_f32 v11, v132, v149
	s_delay_alu instid0(VALU_DEP_1) | instskip(NEXT) | instid1(VALU_DEP_1)
	v_dual_fmac_f32 v9, v131, v146 :: v_dual_fmac_f32 v11, v133, v148
	v_add_f32_e32 v9, 0, v9
	s_delay_alu instid0(VALU_DEP_1) | instskip(SKIP_2) | instid1(VALU_DEP_1)
	v_add_f32_e32 v9, v9, v11
	s_wait_loadcnt_dscnt 0x1b17
	v_mul_f32_e32 v11, v134, v151
	v_fmac_f32_e32 v11, v135, v150
	s_delay_alu instid0(VALU_DEP_1) | instskip(NEXT) | instid1(VALU_DEP_1)
	v_dual_add_f32 v9, v9, v11 :: v_dual_mul_f32 v11, v136, v153
	v_fmac_f32_e32 v11, v137, v152
	s_delay_alu instid0(VALU_DEP_1)
	v_add_f32_e32 v9, v9, v11
	s_wait_loadcnt_dscnt 0x1a16
	v_mul_f32_e32 v11, v138, v155
	s_wait_loadcnt_dscnt 0x406
	s_set_vgpr_msb 0x45                     ;  msbs: dst=1 src0=1 src1=1 src2=0
	v_dual_mul_f32 v93 /*v349*/, v66 /*v322*/, v71 /*v327*/ :: v_dual_mul_f32 v95 /*v351*/, v68 /*v324*/, v73 /*v329*/
	s_set_vgpr_msb 0                        ;  msbs: dst=0 src0=0 src1=0 src2=0
	v_fmac_f32_e32 v11, v139, v154
	s_set_vgpr_msb 0x45                     ;  msbs: dst=1 src0=1 src1=1 src2=0
	s_delay_alu instid0(VALU_DEP_2) | instskip(SKIP_1) | instid1(VALU_DEP_2)
	v_dual_fmac_f32 v93 /*v349*/, v67 /*v323*/, v70 /*v326*/ :: v_dual_fmac_f32 v95 /*v351*/, v69 /*v325*/, v72 /*v328*/
	s_set_vgpr_msb 0                        ;  msbs: dst=0 src0=0 src1=0 src2=0
	v_dual_add_f32 v9, v9, v11 :: v_dual_mul_f32 v11, v140, v157
	s_delay_alu instid0(VALU_DEP_1) | instskip(NEXT) | instid1(VALU_DEP_1)
	v_fmac_f32_e32 v11, v141, v156
	v_add_f32_e32 v9, v9, v11
	v_mul_f32_e32 v11, v142, v159
	s_delay_alu instid0(VALU_DEP_1) | instskip(NEXT) | instid1(VALU_DEP_1)
	v_fmac_f32_e32 v11, v143, v158
	v_dual_add_f32 v9, v9, v11 :: v_dual_mul_f32 v11, v144, v161
	s_delay_alu instid0(VALU_DEP_1) | instskip(NEXT) | instid1(VALU_DEP_1)
	v_fmac_f32_e32 v11, v145, v160
	v_add_f32_e32 v9, v9, v11
	v_mul_f32_e32 v11, v162, v167
	s_delay_alu instid0(VALU_DEP_1) | instskip(NEXT) | instid1(VALU_DEP_1)
	v_fmac_f32_e32 v11, v163, v166
	v_dual_add_f32 v9, v9, v11 :: v_dual_mul_f32 v11, v164, v169
	s_delay_alu instid0(VALU_DEP_1) | instskip(NEXT) | instid1(VALU_DEP_1)
	v_fmac_f32_e32 v11, v165, v168
	v_add_f32_e32 v9, v9, v11
	v_mul_f32_e32 v11, v170, v175
	s_delay_alu instid0(VALU_DEP_1) | instskip(NEXT) | instid1(VALU_DEP_1)
	v_fmac_f32_e32 v11, v171, v174
	v_dual_add_f32 v9, v9, v11 :: v_dual_mul_f32 v11, v172, v177
	s_delay_alu instid0(VALU_DEP_1) | instskip(NEXT) | instid1(VALU_DEP_1)
	v_fmac_f32_e32 v11, v173, v176
	v_add_f32_e32 v9, v9, v11
	v_mul_f32_e32 v11, v178, v183
	s_delay_alu instid0(VALU_DEP_1) | instskip(NEXT) | instid1(VALU_DEP_1)
	v_fmac_f32_e32 v11, v179, v182
	v_dual_add_f32 v9, v9, v11 :: v_dual_mul_f32 v11, v180, v185
	s_delay_alu instid0(VALU_DEP_1) | instskip(NEXT) | instid1(VALU_DEP_1)
	v_fmac_f32_e32 v11, v181, v184
	v_add_f32_e32 v9, v9, v11
	v_mul_f32_e32 v11, v186, v191
	s_delay_alu instid0(VALU_DEP_1) | instskip(NEXT) | instid1(VALU_DEP_1)
	v_fmac_f32_e32 v11, v187, v190
	v_dual_add_f32 v9, v9, v11 :: v_dual_mul_f32 v11, v188, v193
	s_delay_alu instid0(VALU_DEP_1) | instskip(NEXT) | instid1(VALU_DEP_1)
	v_fmac_f32_e32 v11, v189, v192
	v_add_f32_e32 v9, v9, v11
	v_mul_f32_e32 v11, v194, v199
	s_delay_alu instid0(VALU_DEP_1) | instskip(NEXT) | instid1(VALU_DEP_1)
	v_fmac_f32_e32 v11, v195, v198
	v_dual_add_f32 v9, v9, v11 :: v_dual_mul_f32 v11, v196, v201
	s_delay_alu instid0(VALU_DEP_1) | instskip(NEXT) | instid1(VALU_DEP_1)
	v_fmac_f32_e32 v11, v197, v200
	v_add_f32_e32 v9, v9, v11
	v_mul_f32_e32 v11, v202, v207
	s_delay_alu instid0(VALU_DEP_1) | instskip(NEXT) | instid1(VALU_DEP_1)
	v_fmac_f32_e32 v11, v203, v206
	v_dual_add_f32 v9, v9, v11 :: v_dual_mul_f32 v11, v204, v209
	s_delay_alu instid0(VALU_DEP_1) | instskip(NEXT) | instid1(VALU_DEP_1)
	v_fmac_f32_e32 v11, v205, v208
	v_add_f32_e32 v9, v9, v11
	v_mul_f32_e32 v11, v210, v215
	s_delay_alu instid0(VALU_DEP_1) | instskip(NEXT) | instid1(VALU_DEP_1)
	v_fmac_f32_e32 v11, v211, v214
	v_dual_add_f32 v9, v9, v11 :: v_dual_mul_f32 v11, v212, v217
	s_delay_alu instid0(VALU_DEP_1) | instskip(NEXT) | instid1(VALU_DEP_1)
	v_fmac_f32_e32 v11, v213, v216
	v_add_f32_e32 v9, v9, v11
	v_mul_f32_e32 v11, v218, v223
	s_delay_alu instid0(VALU_DEP_1) | instskip(NEXT) | instid1(VALU_DEP_1)
	v_fmac_f32_e32 v11, v219, v222
	v_dual_add_f32 v9, v9, v11 :: v_dual_mul_f32 v11, v220, v225
	s_delay_alu instid0(VALU_DEP_1) | instskip(NEXT) | instid1(VALU_DEP_1)
	v_fmac_f32_e32 v11, v221, v224
	v_add_f32_e32 v9, v9, v11
	v_mul_f32_e32 v11, v226, v231
	s_delay_alu instid0(VALU_DEP_1) | instskip(NEXT) | instid1(VALU_DEP_1)
	v_fmac_f32_e32 v11, v227, v230
	v_dual_add_f32 v9, v9, v11 :: v_dual_mul_f32 v11, v228, v233
	s_delay_alu instid0(VALU_DEP_1) | instskip(NEXT) | instid1(VALU_DEP_1)
	v_fmac_f32_e32 v11, v229, v232
	v_add_f32_e32 v9, v9, v11
	v_mul_f32_e32 v11, v234, v239
	s_delay_alu instid0(VALU_DEP_1) | instskip(NEXT) | instid1(VALU_DEP_1)
	v_fmac_f32_e32 v11, v235, v238
	v_dual_add_f32 v9, v9, v11 :: v_dual_mul_f32 v11, v236, v241
	s_delay_alu instid0(VALU_DEP_1) | instskip(NEXT) | instid1(VALU_DEP_1)
	v_fmac_f32_e32 v11, v237, v240
	v_add_f32_e32 v9, v9, v11
	v_mul_f32_e32 v11, v242, v247
	s_delay_alu instid0(VALU_DEP_1) | instskip(NEXT) | instid1(VALU_DEP_1)
	v_fmac_f32_e32 v11, v243, v246
	v_dual_add_f32 v9, v9, v11 :: v_dual_mul_f32 v11, v244, v249
	s_delay_alu instid0(VALU_DEP_1) | instskip(NEXT) | instid1(VALU_DEP_1)
	v_fmac_f32_e32 v11, v245, v248
	v_add_f32_e32 v9, v9, v11
	v_mul_f32_e32 v11, v250, v255
	s_delay_alu instid0(VALU_DEP_1) | instskip(NEXT) | instid1(VALU_DEP_1)
	v_fmac_f32_e32 v11, v251, v254
	v_add_f32_e32 v9, v9, v11
	s_set_vgpr_msb 4                        ;  msbs: dst=0 src0=0 src1=1 src2=0
	v_mul_f32_e32 v11, v252, v1 /*v257*/
	s_delay_alu instid0(VALU_DEP_1) | instskip(SKIP_1) | instid1(VALU_DEP_1)
	v_fmac_f32_e32 v11, v253, v0 /*v256*/
	s_set_vgpr_msb 0                        ;  msbs: dst=0 src0=0 src1=0 src2=0
	v_add_f32_e32 v9, v9, v11
	s_set_vgpr_msb 5                        ;  msbs: dst=0 src0=1 src1=1 src2=0
	v_mul_f32_e32 v11, v2 /*v258*/, v7 /*v263*/
	s_delay_alu instid0(VALU_DEP_1) | instskip(SKIP_1) | instid1(VALU_DEP_1)
	v_fmac_f32_e32 v11, v3 /*v259*/, v6 /*v262*/
	s_set_vgpr_msb 0                        ;  msbs: dst=0 src0=0 src1=0 src2=0
	v_add_f32_e32 v9, v9, v11
	s_set_vgpr_msb 5                        ;  msbs: dst=0 src0=1 src1=1 src2=0
	v_mul_f32_e32 v11, v4 /*v260*/, v9 /*v265*/
	s_delay_alu instid0(VALU_DEP_1) | instskip(SKIP_1) | instid1(VALU_DEP_1)
	v_fmac_f32_e32 v11, v5 /*v261*/, v8 /*v264*/
	;; [unrolled: 6-line block ×4, first 2 shown]
	s_set_vgpr_msb 0                        ;  msbs: dst=0 src0=0 src1=0 src2=0
	v_add_f32_e32 v9, v9, v11
	s_wait_dscnt 0x5
	s_set_vgpr_msb 5                        ;  msbs: dst=0 src0=1 src1=1 src2=0
	v_mul_f32_e32 v11, v18 /*v274*/, v23 /*v279*/
	s_delay_alu instid0(VALU_DEP_1) | instskip(SKIP_1) | instid1(VALU_DEP_1)
	v_fmac_f32_e32 v11, v19 /*v275*/, v22 /*v278*/
	s_set_vgpr_msb 0                        ;  msbs: dst=0 src0=0 src1=0 src2=0
	v_add_f32_e32 v9, v9, v11
	s_set_vgpr_msb 5                        ;  msbs: dst=0 src0=1 src1=1 src2=0
	v_mul_f32_e32 v11, v20 /*v276*/, v25 /*v281*/
	s_delay_alu instid0(VALU_DEP_1) | instskip(SKIP_1) | instid1(VALU_DEP_1)
	v_fmac_f32_e32 v11, v21 /*v277*/, v24 /*v280*/
	s_set_vgpr_msb 0                        ;  msbs: dst=0 src0=0 src1=0 src2=0
	v_add_f32_e32 v9, v9, v11
	s_wait_dscnt 0x4
	s_set_vgpr_msb 5                        ;  msbs: dst=0 src0=1 src1=1 src2=0
	v_mul_f32_e32 v11, v26 /*v282*/, v31 /*v287*/
	s_delay_alu instid0(VALU_DEP_1) | instskip(SKIP_1) | instid1(VALU_DEP_1)
	v_fmac_f32_e32 v11, v27 /*v283*/, v30 /*v286*/
	s_set_vgpr_msb 0                        ;  msbs: dst=0 src0=0 src1=0 src2=0
	v_add_f32_e32 v9, v9, v11
	s_set_vgpr_msb 5                        ;  msbs: dst=0 src0=1 src1=1 src2=0
	v_mul_f32_e32 v11, v28 /*v284*/, v33 /*v289*/
	s_delay_alu instid0(VALU_DEP_1) | instskip(SKIP_1) | instid1(VALU_DEP_1)
	v_fmac_f32_e32 v11, v29 /*v285*/, v32 /*v288*/
	;; [unrolled: 13-line block ×6, first 2 shown]
	s_set_vgpr_msb 64                       ;  msbs: dst=1 src0=0 src1=0 src2=0
	v_add_f32_e32 v91 /*v347*/, v9, v11
	s_set_vgpr_msb 0                        ;  msbs: dst=0 src0=0 src1=0 src2=0
	v_dual_mul_f32 v9, v131, v147 :: v_dual_mul_f32 v11, v133, v149
	s_delay_alu instid0(VALU_DEP_1) | instskip(NEXT) | instid1(VALU_DEP_1)
	v_dual_fma_f32 v9, v130, v146, -v9 :: v_dual_fma_f32 v11, v132, v148, -v11
	v_add_f32_e32 v9, 0, v9
	s_delay_alu instid0(VALU_DEP_1) | instskip(SKIP_1) | instid1(VALU_DEP_1)
	v_add_f32_e32 v9, v9, v11
	v_mul_f32_e32 v11, v135, v151
	v_fma_f32 v11, v134, v150, -v11
	s_delay_alu instid0(VALU_DEP_1) | instskip(SKIP_1) | instid1(VALU_DEP_1)
	v_add_f32_e32 v9, v9, v11
	v_mul_f32_e32 v11, v137, v153
	v_fma_f32 v11, v136, v152, -v11
	;; [unrolled: 4-line block ×6, first 2 shown]
	ds_load_b128 v[130:133], v7 offset:960
	ds_load_b128 v[134:137], v7 offset:976
	;; [unrolled: 1-line block ×4, first 2 shown]
	v_add_f32_e32 v9, v9, v11
	v_mul_f32_e32 v11, v163, v167
	s_delay_alu instid0(VALU_DEP_1) | instskip(NEXT) | instid1(VALU_DEP_1)
	v_fma_f32 v11, v162, v166, -v11
	v_add_f32_e32 v9, v9, v11
	v_mul_f32_e32 v11, v165, v169
	s_wait_loadcnt_dscnt 0x303
	s_set_vgpr_msb 4                        ;  msbs: dst=0 src0=0 src1=1 src2=0
	v_pk_mul_f32 v[148:149], v[130:131], v[74:75] /*v[330:331]*/ op_sel:[1,1] op_sel_hi:[0,1]
	s_set_vgpr_msb 0                        ;  msbs: dst=0 src0=0 src1=0 src2=0
	v_fma_f32 v11, v164, v168, -v11
	s_set_vgpr_msb 4                        ;  msbs: dst=0 src0=0 src1=1 src2=0
	s_delay_alu instid0(VALU_DEP_2)
	v_pk_fma_f32 v[150:151], v[130:131], v[74:75] /*v[330:331]*/, v[148:149] neg_lo:[0,0,1] neg_hi:[0,0,1]
	v_pk_fma_f32 v[130:131], v[130:131], v[74:75] /*v[330:331]*/, v[148:149] op_sel_hi:[1,0,1]
	s_set_vgpr_msb 1                        ;  msbs: dst=0 src0=1 src1=0 src2=0
	v_mov_b32_e32 v148, v77 /*v333*/
	s_set_vgpr_msb 0                        ;  msbs: dst=0 src0=0 src1=0 src2=0
	v_add_f32_e32 v9, v9, v11
	v_mul_f32_e32 v11, v171, v175
	s_delay_alu instid0(VALU_DEP_1) | instskip(NEXT) | instid1(VALU_DEP_1)
	v_dual_mov_b32 v151, v131 :: v_dual_fma_f32 v11, v170, v174, -v11
	v_add_f32_e32 v9, v9, v11
	v_mul_f32_e32 v11, v173, v177
	s_delay_alu instid0(VALU_DEP_1) | instskip(NEXT) | instid1(VALU_DEP_1)
	v_fma_f32 v11, v172, v176, -v11
	v_add_f32_e32 v9, v9, v11
	v_mul_f32_e32 v11, v179, v183
	s_delay_alu instid0(VALU_DEP_1) | instskip(NEXT) | instid1(VALU_DEP_1)
	v_fma_f32 v11, v178, v182, -v11
	;; [unrolled: 4-line block ×20, first 2 shown]
	v_add_f32_e32 v9, v9, v11
	s_set_vgpr_msb 4                        ;  msbs: dst=0 src0=0 src1=1 src2=0
	v_mul_f32_e32 v11, v253, v1 /*v257*/
	s_delay_alu instid0(VALU_DEP_1) | instskip(SKIP_1) | instid1(VALU_DEP_1)
	v_fma_f32 v11, v252, v0 /*v256*/, -v11
	s_set_vgpr_msb 0                        ;  msbs: dst=0 src0=0 src1=0 src2=0
	v_add_f32_e32 v9, v9, v11
	s_set_vgpr_msb 5                        ;  msbs: dst=0 src0=1 src1=1 src2=0
	v_mul_f32_e32 v11, v3 /*v259*/, v7 /*v263*/
	s_delay_alu instid0(VALU_DEP_1) | instskip(SKIP_1) | instid1(VALU_DEP_1)
	v_fma_f32 v11, v2 /*v258*/, v6 /*v262*/, -v11
	s_set_vgpr_msb 0                        ;  msbs: dst=0 src0=0 src1=0 src2=0
	v_add_f32_e32 v9, v9, v11
	s_set_vgpr_msb 5                        ;  msbs: dst=0 src0=1 src1=1 src2=0
	v_mul_f32_e32 v11, v5 /*v261*/, v9 /*v265*/
	s_delay_alu instid0(VALU_DEP_1) | instskip(SKIP_1) | instid1(VALU_DEP_1)
	v_fma_f32 v11, v4 /*v260*/, v8 /*v264*/, -v11
	;; [unrolled: 6-line block ×16, first 2 shown]
	s_set_vgpr_msb 64                       ;  msbs: dst=1 src0=0 src1=0 src2=0
	v_add_f32_e32 v90 /*v346*/, v9, v11
	s_set_vgpr_msb 5                        ;  msbs: dst=0 src0=1 src1=1 src2=0
	v_mul_f32_e32 v9, v67 /*v323*/, v71 /*v327*/
	s_set_vgpr_msb 0x45                     ;  msbs: dst=1 src0=1 src1=1 src2=0
	s_delay_alu instid0(VALU_DEP_1) | instskip(SKIP_3) | instid1(VALU_DEP_1)
	v_fma_f32 v92 /*v348*/, v66 /*v322*/, v70 /*v326*/, -v9
	s_set_vgpr_msb 5                        ;  msbs: dst=0 src0=1 src1=1 src2=0
	v_mul_f32_e32 v9, v69 /*v325*/, v73 /*v329*/
	s_set_vgpr_msb 0x45                     ;  msbs: dst=1 src0=1 src1=1 src2=0
	v_fma_f32 v94 /*v350*/, v68 /*v324*/, v72 /*v328*/, -v9
	s_set_vgpr_msb 5                        ;  msbs: dst=0 src0=1 src1=1 src2=0
	v_pk_add_f32 v[146:147], v[90:91] /*v[346:347]*/, v[92:93] /*v[348:349]*/
	s_set_vgpr_msb 4                        ;  msbs: dst=0 src0=0 src1=1 src2=0
	s_delay_alu instid0(VALU_DEP_1) | instskip(SKIP_1) | instid1(VALU_DEP_1)
	v_pk_add_f32 v[146:147], v[146:147], v[94:95] /*v[350:351]*/
	s_set_vgpr_msb 0                        ;  msbs: dst=0 src0=0 src1=0 src2=0
	v_pk_add_f32 v[130:131], v[146:147], v[150:151]
	v_dual_mov_b32 v146, v133 :: v_dual_mov_b32 v147, v132
	s_delay_alu instid0(VALU_DEP_1) | instskip(SKIP_1) | instid1(VALU_DEP_1)
	v_pk_mul_f32 v[146:147], v[146:147], v[148:149] op_sel_hi:[1,0]
	s_set_vgpr_msb 4                        ;  msbs: dst=0 src0=0 src1=1 src2=0
	v_pk_fma_f32 v[148:149], v[132:133], v[76:77] /*v[332:333]*/, v[146:147] neg_lo:[0,0,1] neg_hi:[0,0,1]
	v_pk_fma_f32 v[132:133], v[132:133], v[76:77] /*v[332:333]*/, v[146:147] op_sel_hi:[1,0,1]
	s_delay_alu instid0(VALU_DEP_1) | instskip(SKIP_3) | instid1(VALU_DEP_2)
	v_mov_b32_e32 v149, v133
	s_wait_loadcnt_dscnt 0x202
	v_pk_mul_f32 v[132:133], v[134:135], v[78:79] /*v[334:335]*/ op_sel:[1,1] op_sel_hi:[0,1]
	s_set_vgpr_msb 0                        ;  msbs: dst=0 src0=0 src1=0 src2=0
	v_pk_add_f32 v[130:131], v[130:131], v[148:149]
	s_set_vgpr_msb 4                        ;  msbs: dst=0 src0=0 src1=1 src2=0
	s_delay_alu instid0(VALU_DEP_2)
	v_pk_fma_f32 v[146:147], v[134:135], v[78:79] /*v[334:335]*/, v[132:133] neg_lo:[0,0,1] neg_hi:[0,0,1]
	v_pk_fma_f32 v[132:133], v[134:135], v[78:79] /*v[334:335]*/, v[132:133] op_sel_hi:[1,0,1]
	v_mov_b32_e32 v132, v137
	s_set_vgpr_msb 1                        ;  msbs: dst=0 src0=1 src1=0 src2=0
	v_mov_b32_e32 v134, v81 /*v337*/
	s_set_vgpr_msb 0                        ;  msbs: dst=0 src0=0 src1=0 src2=0
	v_dual_mov_b32 v147, v133 :: v_dual_mov_b32 v133, v136
	s_delay_alu instid0(VALU_DEP_1) | instskip(NEXT) | instid1(VALU_DEP_2)
	v_pk_add_f32 v[130:131], v[130:131], v[146:147]
	v_pk_mul_f32 v[132:133], v[132:133], v[134:135] op_sel_hi:[1,0]
	s_set_vgpr_msb 4                        ;  msbs: dst=0 src0=0 src1=1 src2=0
	s_delay_alu instid0(VALU_DEP_1) | instskip(SKIP_1) | instid1(VALU_DEP_1)
	v_pk_fma_f32 v[134:135], v[136:137], v[80:81] /*v[336:337]*/, v[132:133] neg_lo:[0,0,1] neg_hi:[0,0,1]
	v_pk_fma_f32 v[132:133], v[136:137], v[80:81] /*v[336:337]*/, v[132:133] op_sel_hi:[1,0,1]
	v_mov_b32_e32 v135, v133
	s_wait_loadcnt_dscnt 0x101
	v_pk_mul_f32 v[132:133], v[138:139], v[82:83] /*v[338:339]*/ op_sel:[1,1] op_sel_hi:[0,1]
	s_set_vgpr_msb 0                        ;  msbs: dst=0 src0=0 src1=0 src2=0
	s_delay_alu instid0(VALU_DEP_2) | instskip(SKIP_1) | instid1(VALU_DEP_2)
	v_pk_add_f32 v[130:131], v[130:131], v[134:135]
	s_set_vgpr_msb 4                        ;  msbs: dst=0 src0=0 src1=1 src2=0
	v_pk_fma_f32 v[134:135], v[138:139], v[82:83] /*v[338:339]*/, v[132:133] neg_lo:[0,0,1] neg_hi:[0,0,1]
	v_pk_fma_f32 v[132:133], v[138:139], v[82:83] /*v[338:339]*/, v[132:133] op_sel_hi:[1,0,1]
	s_delay_alu instid0(VALU_DEP_1) | instskip(SKIP_2) | instid1(VALU_DEP_2)
	v_dual_mov_b32 v132, v141 :: v_dual_mov_b32 v135, v133
	v_mov_b32_e32 v133, v140
	s_set_vgpr_msb 0                        ;  msbs: dst=0 src0=0 src1=0 src2=0
	v_pk_add_f32 v[130:131], v[130:131], v[134:135]
	s_set_vgpr_msb 1                        ;  msbs: dst=0 src0=1 src1=0 src2=0
	v_mov_b32_e32 v134, v85 /*v341*/
	s_set_vgpr_msb 0                        ;  msbs: dst=0 src0=0 src1=0 src2=0
	s_delay_alu instid0(VALU_DEP_1) | instskip(SKIP_1) | instid1(VALU_DEP_1)
	v_pk_mul_f32 v[132:133], v[132:133], v[134:135] op_sel_hi:[1,0]
	s_set_vgpr_msb 4                        ;  msbs: dst=0 src0=0 src1=1 src2=0
	v_pk_fma_f32 v[134:135], v[140:141], v[84:85] /*v[340:341]*/, v[132:133] neg_lo:[0,0,1] neg_hi:[0,0,1]
	v_pk_fma_f32 v[132:133], v[140:141], v[84:85] /*v[340:341]*/, v[132:133] op_sel_hi:[1,0,1]
	s_delay_alu instid0(VALU_DEP_1) | instskip(SKIP_3) | instid1(VALU_DEP_2)
	v_mov_b32_e32 v135, v133
	s_wait_loadcnt_dscnt 0x0
	v_pk_mul_f32 v[132:133], v[142:143], v[86:87] /*v[342:343]*/ op_sel:[1,1] op_sel_hi:[0,1]
	s_set_vgpr_msb 0                        ;  msbs: dst=0 src0=0 src1=0 src2=0
	v_pk_add_f32 v[130:131], v[130:131], v[134:135]
	s_set_vgpr_msb 4                        ;  msbs: dst=0 src0=0 src1=1 src2=0
	s_delay_alu instid0(VALU_DEP_2) | instskip(SKIP_1) | instid1(VALU_DEP_1)
	v_pk_fma_f32 v[134:135], v[142:143], v[86:87] /*v[342:343]*/, v[132:133] neg_lo:[0,0,1] neg_hi:[0,0,1]
	v_pk_fma_f32 v[132:133], v[142:143], v[86:87] /*v[342:343]*/, v[132:133] op_sel_hi:[1,0,1]
	v_dual_mov_b32 v132, v145 :: v_dual_mov_b32 v135, v133
	v_mov_b32_e32 v133, v144
	s_set_vgpr_msb 0                        ;  msbs: dst=0 src0=0 src1=0 src2=0
	s_delay_alu instid0(VALU_DEP_2) | instskip(SKIP_3) | instid1(VALU_DEP_1)
	v_pk_add_f32 v[130:131], v[130:131], v[134:135]
	s_set_vgpr_msb 1                        ;  msbs: dst=0 src0=1 src1=0 src2=0
	v_mov_b32_e32 v134, v89 /*v345*/
	s_set_vgpr_msb 0                        ;  msbs: dst=0 src0=0 src1=0 src2=0
	v_pk_mul_f32 v[132:133], v[132:133], v[134:135] op_sel_hi:[1,0]
	s_set_vgpr_msb 4                        ;  msbs: dst=0 src0=0 src1=1 src2=0
	s_delay_alu instid0(VALU_DEP_1) | instskip(SKIP_1) | instid1(VALU_DEP_1)
	v_pk_fma_f32 v[134:135], v[144:145], v[88:89] /*v[344:345]*/, v[132:133] neg_lo:[0,0,1] neg_hi:[0,0,1]
	v_pk_fma_f32 v[132:133], v[144:145], v[88:89] /*v[344:345]*/, v[132:133] op_sel_hi:[1,0,1]
	v_mov_b32_e32 v135, v133
	scratch_load_b64 v[132:133], off, off offset:40
	s_set_vgpr_msb 0                        ;  msbs: dst=0 src0=0 src1=0 src2=0
	v_pk_add_f32 v[130:131], v[130:131], v[134:135]
	s_wait_loadcnt 0x0
	s_delay_alu instid0(VALU_DEP_1)
	v_pk_add_f32 v[130:131], v[132:133], v[130:131] neg_lo:[0,1] neg_hi:[0,1]
	scratch_store_b64 off, v[130:131], off offset:40
	s_wait_xcnt 0x0
	v_cmpx_lt_u32_e32 4, v0
	s_cbranch_execz .LBB127_389
; %bb.388:
	scratch_load_b64 v[130:131], off, off offset:32
	v_mov_b64_e32 v[132:133], 0
	scratch_store_b64 off, v[132:133], off offset:32
	s_wait_loadcnt 0x0
	ds_store_b64 v1, v[130:131]
.LBB127_389:
	s_wait_xcnt 0x0
	s_or_b32 exec_lo, exec_lo, s0
	s_wait_storecnt_dscnt 0x0
	s_barrier_signal -1
	s_barrier_wait -1
	s_clause 0xf
	scratch_load_b128 v[134:137], off, off offset:40
	scratch_load_b128 v[142:145], off, off offset:56
	;; [unrolled: 1-line block ×16, first 2 shown]
	v_mov_b32_e32 v7, 0
	s_set_vgpr_msb 64                       ;  msbs: dst=1 src0=0 src1=0 src2=0
	s_clause 0x3
	scratch_load_b128 v[6:9] /*v[262:265]*/, off, off offset:296
	scratch_load_b128 v[14:17] /*v[270:273]*/, off, off offset:312
	;; [unrolled: 1-line block ×4, first 2 shown]
	s_set_vgpr_msb 0                        ;  msbs: dst=0 src0=0 src1=0 src2=0
	ds_load_2addr_b64 v[130:133], v7 offset0:69 offset1:70
	ds_load_2addr_b64 v[138:141], v7 offset0:71 offset1:72
	s_set_vgpr_msb 64                       ;  msbs: dst=1 src0=0 src1=0 src2=0
	s_clause 0x5
	scratch_load_b128 v[38:41] /*v[294:297]*/, off, off offset:360
	scratch_load_b128 v[46:49] /*v[302:305]*/, off, off offset:376
	;; [unrolled: 1-line block ×6, first 2 shown]
	s_mov_b32 s0, exec_lo
	s_wait_loadcnt_dscnt 0x1901
	s_set_vgpr_msb 0                        ;  msbs: dst=0 src0=0 src1=0 src2=0
	v_dual_mul_f32 v9, v130, v135 :: v_dual_mul_f32 v11, v132, v137
	ds_load_2addr_b64 v[146:149], v7 offset0:73 offset1:74
	ds_load_2addr_b64 v[154:157], v7 offset0:75 offset1:76
	;; [unrolled: 1-line block ×4, first 2 shown]
	v_dual_fmac_f32 v9, v131, v134 :: v_dual_fmac_f32 v11, v133, v136
	ds_load_2addr_b64 v[178:181], v7 offset0:81 offset1:82
	ds_load_2addr_b64 v[186:189], v7 offset0:83 offset1:84
	;; [unrolled: 1-line block ×4, first 2 shown]
	v_add_f32_e32 v9, 0, v9
	ds_load_2addr_b64 v[210:213], v7 offset0:89 offset1:90
	ds_load_2addr_b64 v[218:221], v7 offset0:91 offset1:92
	;; [unrolled: 1-line block ×4, first 2 shown]
	v_add_f32_e32 v9, v9, v11
	s_wait_loadcnt_dscnt 0x180c
	v_mul_f32_e32 v11, v138, v143
	ds_load_2addr_b64 v[242:245], v7 offset0:97 offset1:98
	ds_load_2addr_b64 v[250:253], v7 offset0:99 offset1:100
	s_set_vgpr_msb 64                       ;  msbs: dst=1 src0=0 src1=0 src2=0
	ds_load_2addr_b64 v[2:5] /*v[258:261]*/, v7 offset0:101 offset1:102
	ds_load_2addr_b64 v[10:13] /*v[266:269]*/, v7 offset0:103 offset1:104
	s_set_vgpr_msb 0                        ;  msbs: dst=0 src0=0 src1=0 src2=0
	v_fmac_f32_e32 v11, v139, v142
	s_set_vgpr_msb 64                       ;  msbs: dst=1 src0=0 src1=0 src2=0
	ds_load_2addr_b64 v[66:69] /*v[322:325]*/, v7 offset0:117 offset1:118
	ds_load_2addr_b64 v[74:77] /*v[330:333]*/, v7 offset0:119 offset1:120
	;; [unrolled: 1-line block ×4, first 2 shown]
	s_set_vgpr_msb 0                        ;  msbs: dst=0 src0=0 src1=0 src2=0
	v_dual_add_f32 v9, v9, v11 :: v_dual_mul_f32 v11, v140, v145
	s_set_vgpr_msb 64                       ;  msbs: dst=1 src0=0 src1=0 src2=0
	ds_load_2addr_b64 v[34:37] /*v[290:293]*/, v7 offset0:109 offset1:110
	ds_load_2addr_b64 v[42:45] /*v[298:301]*/, v7 offset0:111 offset1:112
	;; [unrolled: 1-line block ×4, first 2 shown]
	s_set_vgpr_msb 0                        ;  msbs: dst=0 src0=0 src1=0 src2=0
	v_fmac_f32_e32 v11, v141, v144
	s_set_vgpr_msb 64                       ;  msbs: dst=1 src0=0 src1=0 src2=0
	s_clause 0x3
	scratch_load_b128 v[82:85] /*v[338:341]*/, off, off offset:456
	scratch_load_b128 v[86:89] /*v[342:345]*/, off, off offset:472
	;; [unrolled: 1-line block ×3, first 2 shown]
	scratch_load_b64 v[100:101] /*v[356:357]*/, off, off offset:504
	s_set_vgpr_msb 0                        ;  msbs: dst=0 src0=0 src1=0 src2=0
	v_add_f32_e32 v9, v9, v11
	s_wait_loadcnt_dscnt 0x1b17
	v_mul_f32_e32 v11, v146, v151
	s_wait_loadcnt_dscnt 0x406
	s_set_vgpr_msb 0x45                     ;  msbs: dst=1 src0=1 src1=1 src2=0
	v_dual_mul_f32 v97 /*v353*/, v68 /*v324*/, v73 /*v329*/ :: v_dual_mul_f32 v99 /*v355*/, v74 /*v330*/, v79 /*v335*/
	s_set_vgpr_msb 0                        ;  msbs: dst=0 src0=0 src1=0 src2=0
	v_fmac_f32_e32 v11, v147, v150
	s_set_vgpr_msb 0x45                     ;  msbs: dst=1 src0=1 src1=1 src2=0
	s_delay_alu instid0(VALU_DEP_2) | instskip(SKIP_1) | instid1(VALU_DEP_2)
	v_dual_fmac_f32 v97 /*v353*/, v69 /*v325*/, v72 /*v328*/ :: v_dual_fmac_f32 v99 /*v355*/, v75 /*v331*/, v78 /*v334*/
	s_set_vgpr_msb 0                        ;  msbs: dst=0 src0=0 src1=0 src2=0
	v_dual_add_f32 v9, v9, v11 :: v_dual_mul_f32 v11, v148, v153
	s_delay_alu instid0(VALU_DEP_1) | instskip(NEXT) | instid1(VALU_DEP_1)
	v_fmac_f32_e32 v11, v149, v152
	v_add_f32_e32 v9, v9, v11
	v_mul_f32_e32 v11, v154, v159
	s_delay_alu instid0(VALU_DEP_1) | instskip(NEXT) | instid1(VALU_DEP_1)
	v_fmac_f32_e32 v11, v155, v158
	v_dual_add_f32 v9, v9, v11 :: v_dual_mul_f32 v11, v156, v161
	s_delay_alu instid0(VALU_DEP_1) | instskip(NEXT) | instid1(VALU_DEP_1)
	v_fmac_f32_e32 v11, v157, v160
	v_add_f32_e32 v9, v9, v11
	v_mul_f32_e32 v11, v162, v167
	s_delay_alu instid0(VALU_DEP_1) | instskip(NEXT) | instid1(VALU_DEP_1)
	v_fmac_f32_e32 v11, v163, v166
	;; [unrolled: 7-line block ×13, first 2 shown]
	v_add_f32_e32 v9, v9, v11
	s_set_vgpr_msb 4                        ;  msbs: dst=0 src0=0 src1=1 src2=0
	v_mul_f32_e32 v11, v252, v1 /*v257*/
	s_delay_alu instid0(VALU_DEP_1) | instskip(SKIP_1) | instid1(VALU_DEP_1)
	v_fmac_f32_e32 v11, v253, v0 /*v256*/
	s_set_vgpr_msb 0                        ;  msbs: dst=0 src0=0 src1=0 src2=0
	v_add_f32_e32 v9, v9, v11
	s_set_vgpr_msb 5                        ;  msbs: dst=0 src0=1 src1=1 src2=0
	v_mul_f32_e32 v11, v2 /*v258*/, v7 /*v263*/
	s_delay_alu instid0(VALU_DEP_1) | instskip(SKIP_1) | instid1(VALU_DEP_1)
	v_fmac_f32_e32 v11, v3 /*v259*/, v6 /*v262*/
	s_set_vgpr_msb 0                        ;  msbs: dst=0 src0=0 src1=0 src2=0
	v_add_f32_e32 v9, v9, v11
	s_set_vgpr_msb 5                        ;  msbs: dst=0 src0=1 src1=1 src2=0
	v_mul_f32_e32 v11, v4 /*v260*/, v9 /*v265*/
	s_delay_alu instid0(VALU_DEP_1) | instskip(SKIP_1) | instid1(VALU_DEP_1)
	v_fmac_f32_e32 v11, v5 /*v261*/, v8 /*v264*/
	;; [unrolled: 6-line block ×4, first 2 shown]
	s_set_vgpr_msb 0                        ;  msbs: dst=0 src0=0 src1=0 src2=0
	v_add_f32_e32 v9, v9, v11
	s_wait_dscnt 0x5
	s_set_vgpr_msb 5                        ;  msbs: dst=0 src0=1 src1=1 src2=0
	v_mul_f32_e32 v11, v18 /*v274*/, v23 /*v279*/
	s_delay_alu instid0(VALU_DEP_1) | instskip(SKIP_1) | instid1(VALU_DEP_1)
	v_fmac_f32_e32 v11, v19 /*v275*/, v22 /*v278*/
	s_set_vgpr_msb 0                        ;  msbs: dst=0 src0=0 src1=0 src2=0
	v_add_f32_e32 v9, v9, v11
	s_set_vgpr_msb 5                        ;  msbs: dst=0 src0=1 src1=1 src2=0
	v_mul_f32_e32 v11, v20 /*v276*/, v25 /*v281*/
	s_delay_alu instid0(VALU_DEP_1) | instskip(SKIP_1) | instid1(VALU_DEP_1)
	v_fmac_f32_e32 v11, v21 /*v277*/, v24 /*v280*/
	s_set_vgpr_msb 0                        ;  msbs: dst=0 src0=0 src1=0 src2=0
	v_add_f32_e32 v9, v9, v11
	s_wait_dscnt 0x4
	s_set_vgpr_msb 5                        ;  msbs: dst=0 src0=1 src1=1 src2=0
	v_mul_f32_e32 v11, v26 /*v282*/, v31 /*v287*/
	s_delay_alu instid0(VALU_DEP_1) | instskip(SKIP_1) | instid1(VALU_DEP_1)
	v_fmac_f32_e32 v11, v27 /*v283*/, v30 /*v286*/
	s_set_vgpr_msb 0                        ;  msbs: dst=0 src0=0 src1=0 src2=0
	v_add_f32_e32 v9, v9, v11
	s_set_vgpr_msb 5                        ;  msbs: dst=0 src0=1 src1=1 src2=0
	v_mul_f32_e32 v11, v28 /*v284*/, v33 /*v289*/
	s_delay_alu instid0(VALU_DEP_1) | instskip(SKIP_1) | instid1(VALU_DEP_1)
	v_fmac_f32_e32 v11, v29 /*v285*/, v32 /*v288*/
	;; [unrolled: 13-line block ×6, first 2 shown]
	s_set_vgpr_msb 0                        ;  msbs: dst=0 src0=0 src1=0 src2=0
	v_add_f32_e32 v9, v9, v11
	s_set_vgpr_msb 5                        ;  msbs: dst=0 src0=1 src1=1 src2=0
	v_mul_f32_e32 v11, v66 /*v322*/, v71 /*v327*/
	s_delay_alu instid0(VALU_DEP_1) | instskip(SKIP_1) | instid1(VALU_DEP_1)
	v_fmac_f32_e32 v11, v67 /*v323*/, v70 /*v326*/
	s_set_vgpr_msb 64                       ;  msbs: dst=1 src0=0 src1=0 src2=0
	v_add_f32_e32 v95 /*v351*/, v9, v11
	s_set_vgpr_msb 0                        ;  msbs: dst=0 src0=0 src1=0 src2=0
	v_dual_mul_f32 v9, v131, v135 :: v_dual_mul_f32 v11, v133, v137
	s_delay_alu instid0(VALU_DEP_1) | instskip(NEXT) | instid1(VALU_DEP_1)
	v_dual_fma_f32 v9, v130, v134, -v9 :: v_dual_fma_f32 v11, v132, v136, -v11
	v_add_f32_e32 v9, 0, v9
	s_delay_alu instid0(VALU_DEP_1) | instskip(SKIP_1) | instid1(VALU_DEP_1)
	v_add_f32_e32 v9, v9, v11
	v_mul_f32_e32 v11, v139, v143
	v_fma_f32 v11, v138, v142, -v11
	s_delay_alu instid0(VALU_DEP_1) | instskip(SKIP_1) | instid1(VALU_DEP_1)
	v_add_f32_e32 v9, v9, v11
	v_mul_f32_e32 v11, v141, v145
	v_fma_f32 v11, v140, v144, -v11
	ds_load_2addr_b64 v[130:133], v7 offset0:121 offset1:122
	ds_load_2addr_b64 v[134:137], v7 offset0:123 offset1:124
	;; [unrolled: 1-line block ×3, first 2 shown]
	ds_load_b64 v[142:143], v7 offset:1016
	v_add_f32_e32 v9, v9, v11
	v_mul_f32_e32 v11, v147, v151
	s_set_vgpr_msb 1                        ;  msbs: dst=0 src0=1 src1=0 src2=0
	v_mov_b32_e32 v147, v76 /*v332*/
	s_set_vgpr_msb 0                        ;  msbs: dst=0 src0=0 src1=0 src2=0
	s_delay_alu instid0(VALU_DEP_2) | instskip(SKIP_3) | instid1(VALU_DEP_2)
	v_fma_f32 v11, v146, v150, -v11
	s_set_vgpr_msb 1                        ;  msbs: dst=0 src0=1 src1=0 src2=0
	v_mov_b32_e32 v146, v77 /*v333*/
	s_set_vgpr_msb 0                        ;  msbs: dst=0 src0=0 src1=0 src2=0
	v_add_f32_e32 v9, v9, v11
	v_mul_f32_e32 v11, v149, v153
	s_delay_alu instid0(VALU_DEP_1) | instskip(SKIP_3) | instid1(VALU_DEP_2)
	v_fma_f32 v11, v148, v152, -v11
	s_set_vgpr_msb 1                        ;  msbs: dst=0 src0=1 src1=0 src2=0
	v_mov_b32_e32 v148, v81 /*v337*/
	s_set_vgpr_msb 0                        ;  msbs: dst=0 src0=0 src1=0 src2=0
	v_add_f32_e32 v9, v9, v11
	v_mul_f32_e32 v11, v155, v159
	s_delay_alu instid0(VALU_DEP_3) | instskip(NEXT) | instid1(VALU_DEP_2)
	v_pk_mul_f32 v[146:147], v[146:147], v[148:149] op_sel_hi:[1,0]
	v_fma_f32 v11, v154, v158, -v11
	s_set_vgpr_msb 5                        ;  msbs: dst=0 src0=1 src1=1 src2=0
	s_delay_alu instid0(VALU_DEP_2) | instskip(SKIP_3) | instid1(VALU_DEP_2)
	v_pk_fma_f32 v[148:149], v[76:77] /*v[332:333]*/, v[80:81] /*v[336:337]*/, v[146:147] neg_lo:[0,0,1] neg_hi:[0,0,1]
	v_pk_fma_f32 v[146:147], v[76:77] /*v[332:333]*/, v[80:81] /*v[336:337]*/, v[146:147] op_sel_hi:[1,0,1]
	s_set_vgpr_msb 0                        ;  msbs: dst=0 src0=0 src1=0 src2=0
	v_add_f32_e32 v9, v9, v11
	v_dual_mul_f32 v11, v157, v161 :: v_dual_mov_b32 v149, v147
	s_wait_loadcnt_dscnt 0x303
	s_set_vgpr_msb 4                        ;  msbs: dst=0 src0=0 src1=1 src2=0
	v_pk_mul_f32 v[146:147], v[130:131], v[82:83] /*v[338:339]*/ op_sel:[1,1] op_sel_hi:[0,1]
	s_set_vgpr_msb 0                        ;  msbs: dst=0 src0=0 src1=0 src2=0
	v_fma_f32 v11, v156, v160, -v11
	s_delay_alu instid0(VALU_DEP_1) | instskip(SKIP_1) | instid1(VALU_DEP_1)
	v_add_f32_e32 v9, v9, v11
	v_mul_f32_e32 v11, v163, v167
	v_fma_f32 v11, v162, v166, -v11
	s_delay_alu instid0(VALU_DEP_1) | instskip(SKIP_1) | instid1(VALU_DEP_1)
	v_add_f32_e32 v9, v9, v11
	v_mul_f32_e32 v11, v165, v169
	;; [unrolled: 4-line block ×23, first 2 shown]
	v_fma_f32 v11, v250, v254, -v11
	s_delay_alu instid0(VALU_DEP_1) | instskip(SKIP_2) | instid1(VALU_DEP_1)
	v_add_f32_e32 v9, v9, v11
	s_set_vgpr_msb 4                        ;  msbs: dst=0 src0=0 src1=1 src2=0
	v_mul_f32_e32 v11, v253, v1 /*v257*/
	v_fma_f32 v11, v252, v0 /*v256*/, -v11
	s_set_vgpr_msb 0                        ;  msbs: dst=0 src0=0 src1=0 src2=0
	s_delay_alu instid0(VALU_DEP_1) | instskip(SKIP_2) | instid1(VALU_DEP_1)
	v_add_f32_e32 v9, v9, v11
	s_set_vgpr_msb 5                        ;  msbs: dst=0 src0=1 src1=1 src2=0
	v_mul_f32_e32 v11, v3 /*v259*/, v7 /*v263*/
	v_fma_f32 v11, v2 /*v258*/, v6 /*v262*/, -v11
	s_set_vgpr_msb 0                        ;  msbs: dst=0 src0=0 src1=0 src2=0
	s_delay_alu instid0(VALU_DEP_1) | instskip(SKIP_2) | instid1(VALU_DEP_1)
	v_add_f32_e32 v9, v9, v11
	s_set_vgpr_msb 5                        ;  msbs: dst=0 src0=1 src1=1 src2=0
	v_mul_f32_e32 v11, v5 /*v261*/, v9 /*v265*/
	v_fma_f32 v11, v4 /*v260*/, v8 /*v264*/, -v11
	;; [unrolled: 6-line block ×17, first 2 shown]
	s_set_vgpr_msb 64                       ;  msbs: dst=1 src0=0 src1=0 src2=0
	s_delay_alu instid0(VALU_DEP_1) | instskip(SKIP_3) | instid1(VALU_DEP_1)
	v_add_f32_e32 v94 /*v350*/, v9, v11
	s_set_vgpr_msb 5                        ;  msbs: dst=0 src0=1 src1=1 src2=0
	v_mul_f32_e32 v9, v69 /*v325*/, v73 /*v329*/
	s_set_vgpr_msb 0x45                     ;  msbs: dst=1 src0=1 src1=1 src2=0
	v_fma_f32 v96 /*v352*/, v68 /*v324*/, v72 /*v328*/, -v9
	s_set_vgpr_msb 5                        ;  msbs: dst=0 src0=1 src1=1 src2=0
	v_mul_f32_e32 v9, v75 /*v331*/, v79 /*v335*/
	s_set_vgpr_msb 0x45                     ;  msbs: dst=1 src0=1 src1=1 src2=0
	s_delay_alu instid0(VALU_DEP_1) | instskip(SKIP_3) | instid1(VALU_DEP_1)
	v_fma_f32 v98 /*v354*/, v74 /*v330*/, v78 /*v334*/, -v9
	s_set_vgpr_msb 5                        ;  msbs: dst=0 src0=1 src1=1 src2=0
	v_pk_add_f32 v[144:145], v[94:95] /*v[350:351]*/, v[96:97] /*v[352:353]*/
	s_set_vgpr_msb 4                        ;  msbs: dst=0 src0=0 src1=1 src2=0
	v_pk_add_f32 v[144:145], v[144:145], v[98:99] /*v[354:355]*/
	s_set_vgpr_msb 0                        ;  msbs: dst=0 src0=0 src1=0 src2=0
	s_delay_alu instid0(VALU_DEP_1)
	v_pk_add_f32 v[144:145], v[144:145], v[148:149]
	s_set_vgpr_msb 4                        ;  msbs: dst=0 src0=0 src1=1 src2=0
	v_pk_fma_f32 v[148:149], v[130:131], v[82:83] /*v[338:339]*/, v[146:147] neg_lo:[0,0,1] neg_hi:[0,0,1]
	v_pk_fma_f32 v[130:131], v[130:131], v[82:83] /*v[338:339]*/, v[146:147] op_sel_hi:[1,0,1]
	s_set_vgpr_msb 1                        ;  msbs: dst=0 src0=1 src1=0 src2=0
	v_mov_b32_e32 v146, v85 /*v341*/
	s_set_vgpr_msb 0                        ;  msbs: dst=0 src0=0 src1=0 src2=0
	s_delay_alu instid0(VALU_DEP_2) | instskip(NEXT) | instid1(VALU_DEP_1)
	v_mov_b32_e32 v149, v131
	v_pk_add_f32 v[130:131], v[144:145], v[148:149]
	v_dual_mov_b32 v144, v133 :: v_dual_mov_b32 v145, v132
	s_delay_alu instid0(VALU_DEP_1) | instskip(SKIP_1) | instid1(VALU_DEP_1)
	v_pk_mul_f32 v[144:145], v[144:145], v[146:147] op_sel_hi:[1,0]
	s_set_vgpr_msb 4                        ;  msbs: dst=0 src0=0 src1=1 src2=0
	v_pk_fma_f32 v[146:147], v[132:133], v[84:85] /*v[340:341]*/, v[144:145] neg_lo:[0,0,1] neg_hi:[0,0,1]
	v_pk_fma_f32 v[132:133], v[132:133], v[84:85] /*v[340:341]*/, v[144:145] op_sel_hi:[1,0,1]
	s_delay_alu instid0(VALU_DEP_1) | instskip(SKIP_3) | instid1(VALU_DEP_2)
	v_mov_b32_e32 v147, v133
	s_wait_loadcnt_dscnt 0x202
	v_pk_mul_f32 v[132:133], v[134:135], v[86:87] /*v[342:343]*/ op_sel:[1,1] op_sel_hi:[0,1]
	s_set_vgpr_msb 0                        ;  msbs: dst=0 src0=0 src1=0 src2=0
	v_pk_add_f32 v[130:131], v[130:131], v[146:147]
	s_set_vgpr_msb 4                        ;  msbs: dst=0 src0=0 src1=1 src2=0
	s_delay_alu instid0(VALU_DEP_2)
	v_pk_fma_f32 v[144:145], v[134:135], v[86:87] /*v[342:343]*/, v[132:133] neg_lo:[0,0,1] neg_hi:[0,0,1]
	v_pk_fma_f32 v[132:133], v[134:135], v[86:87] /*v[342:343]*/, v[132:133] op_sel_hi:[1,0,1]
	v_mov_b32_e32 v132, v137
	s_set_vgpr_msb 1                        ;  msbs: dst=0 src0=1 src1=0 src2=0
	v_mov_b32_e32 v134, v89 /*v345*/
	s_set_vgpr_msb 0                        ;  msbs: dst=0 src0=0 src1=0 src2=0
	v_dual_mov_b32 v145, v133 :: v_dual_mov_b32 v133, v136
	s_delay_alu instid0(VALU_DEP_1) | instskip(NEXT) | instid1(VALU_DEP_2)
	v_pk_add_f32 v[130:131], v[130:131], v[144:145]
	v_pk_mul_f32 v[132:133], v[132:133], v[134:135] op_sel_hi:[1,0]
	s_set_vgpr_msb 4                        ;  msbs: dst=0 src0=0 src1=1 src2=0
	s_delay_alu instid0(VALU_DEP_1) | instskip(SKIP_1) | instid1(VALU_DEP_1)
	v_pk_fma_f32 v[134:135], v[136:137], v[88:89] /*v[344:345]*/, v[132:133] neg_lo:[0,0,1] neg_hi:[0,0,1]
	v_pk_fma_f32 v[132:133], v[136:137], v[88:89] /*v[344:345]*/, v[132:133] op_sel_hi:[1,0,1]
	v_mov_b32_e32 v135, v133
	s_wait_loadcnt_dscnt 0x101
	v_pk_mul_f32 v[132:133], v[138:139], v[90:91] /*v[346:347]*/ op_sel:[1,1] op_sel_hi:[0,1]
	s_set_vgpr_msb 0                        ;  msbs: dst=0 src0=0 src1=0 src2=0
	s_delay_alu instid0(VALU_DEP_2) | instskip(SKIP_1) | instid1(VALU_DEP_2)
	v_pk_add_f32 v[130:131], v[130:131], v[134:135]
	s_set_vgpr_msb 4                        ;  msbs: dst=0 src0=0 src1=1 src2=0
	v_pk_fma_f32 v[134:135], v[138:139], v[90:91] /*v[346:347]*/, v[132:133] neg_lo:[0,0,1] neg_hi:[0,0,1]
	v_pk_fma_f32 v[132:133], v[138:139], v[90:91] /*v[346:347]*/, v[132:133] op_sel_hi:[1,0,1]
	s_delay_alu instid0(VALU_DEP_1) | instskip(SKIP_2) | instid1(VALU_DEP_2)
	v_dual_mov_b32 v132, v141 :: v_dual_mov_b32 v135, v133
	v_mov_b32_e32 v133, v140
	s_set_vgpr_msb 0                        ;  msbs: dst=0 src0=0 src1=0 src2=0
	v_pk_add_f32 v[130:131], v[130:131], v[134:135]
	s_set_vgpr_msb 1                        ;  msbs: dst=0 src0=1 src1=0 src2=0
	v_mov_b32_e32 v134, v93 /*v349*/
	s_set_vgpr_msb 0                        ;  msbs: dst=0 src0=0 src1=0 src2=0
	s_delay_alu instid0(VALU_DEP_1) | instskip(SKIP_1) | instid1(VALU_DEP_1)
	v_pk_mul_f32 v[132:133], v[132:133], v[134:135] op_sel_hi:[1,0]
	s_set_vgpr_msb 4                        ;  msbs: dst=0 src0=0 src1=1 src2=0
	v_pk_fma_f32 v[134:135], v[140:141], v[92:93] /*v[348:349]*/, v[132:133] neg_lo:[0,0,1] neg_hi:[0,0,1]
	v_pk_fma_f32 v[132:133], v[140:141], v[92:93] /*v[348:349]*/, v[132:133] op_sel_hi:[1,0,1]
	s_delay_alu instid0(VALU_DEP_1) | instskip(SKIP_3) | instid1(VALU_DEP_2)
	v_mov_b32_e32 v135, v133
	s_wait_loadcnt_dscnt 0x0
	v_pk_mul_f32 v[132:133], v[142:143], v[100:101] /*v[356:357]*/ op_sel:[1,1] op_sel_hi:[0,1]
	s_set_vgpr_msb 0                        ;  msbs: dst=0 src0=0 src1=0 src2=0
	v_pk_add_f32 v[130:131], v[130:131], v[134:135]
	s_set_vgpr_msb 4                        ;  msbs: dst=0 src0=0 src1=1 src2=0
	s_delay_alu instid0(VALU_DEP_2) | instskip(SKIP_1) | instid1(VALU_DEP_1)
	v_pk_fma_f32 v[134:135], v[142:143], v[100:101] /*v[356:357]*/, v[132:133] neg_lo:[0,0,1] neg_hi:[0,0,1]
	v_pk_fma_f32 v[132:133], v[142:143], v[100:101] /*v[356:357]*/, v[132:133] op_sel_hi:[1,0,1]
	v_mov_b32_e32 v135, v133
	scratch_load_b64 v[132:133], off, off offset:32
	s_set_vgpr_msb 0                        ;  msbs: dst=0 src0=0 src1=0 src2=0
	v_pk_add_f32 v[130:131], v[130:131], v[134:135]
	s_wait_loadcnt 0x0
	s_delay_alu instid0(VALU_DEP_1)
	v_pk_add_f32 v[130:131], v[132:133], v[130:131] neg_lo:[0,1] neg_hi:[0,1]
	scratch_store_b64 off, v[130:131], off offset:32
	s_wait_xcnt 0x0
	v_cmpx_lt_u32_e32 3, v0
	s_cbranch_execz .LBB127_391
; %bb.390:
	scratch_load_b64 v[130:131], off, off offset:24
	v_mov_b64_e32 v[132:133], 0
	scratch_store_b64 off, v[132:133], off offset:24
	s_wait_loadcnt 0x0
	ds_store_b64 v1, v[130:131]
.LBB127_391:
	s_wait_xcnt 0x0
	s_or_b32 exec_lo, exec_lo, s0
	s_wait_storecnt_dscnt 0x0
	s_barrier_signal -1
	s_barrier_wait -1
	ds_load_b128 v[130:133], v7 offset:544
	ds_load_b128 v[134:137], v7 offset:560
	;; [unrolled: 1-line block ×4, first 2 shown]
	s_clause 0x14
	scratch_load_b128 v[146:149], off, off offset:32
	scratch_load_b128 v[150:153], off, off offset:48
	;; [unrolled: 1-line block ×16, first 2 shown]
	s_set_vgpr_msb 64                       ;  msbs: dst=1 src0=0 src1=0 src2=0
	scratch_load_b128 v[6:9] /*v[262:265]*/, off, off offset:288
	scratch_load_b128 v[14:17] /*v[270:273]*/, off, off offset:304
	scratch_load_b128 v[22:25] /*v[278:281]*/, off, off offset:320
	scratch_load_b128 v[30:33] /*v[286:289]*/, off, off offset:336
	s_set_vgpr_msb 0                        ;  msbs: dst=0 src0=0 src1=0 src2=0
	ds_load_b128 v[162:165], v7 offset:608
	ds_load_b128 v[170:173], v7 offset:624
	s_set_vgpr_msb 64                       ;  msbs: dst=1 src0=0 src1=0 src2=0
	s_clause 0x1
	scratch_load_b128 v[38:41] /*v[294:297]*/, off, off offset:352
	scratch_load_b128 v[46:49] /*v[302:305]*/, off, off offset:368
	s_set_vgpr_msb 0                        ;  msbs: dst=0 src0=0 src1=0 src2=0
	ds_load_b128 v[178:181], v7 offset:640
	ds_load_b128 v[186:189], v7 offset:656
	s_set_vgpr_msb 64                       ;  msbs: dst=1 src0=0 src1=0 src2=0
	s_clause 0x1
	scratch_load_b128 v[54:57] /*v[310:313]*/, off, off offset:384
	scratch_load_b128 v[62:65] /*v[318:321]*/, off, off offset:400
	;; [unrolled: 7-line block ×3, first 2 shown]
	s_set_vgpr_msb 0                        ;  msbs: dst=0 src0=0 src1=0 src2=0
	ds_load_b128 v[210:213], v7 offset:704
	ds_load_b128 v[218:221], v7 offset:720
	;; [unrolled: 1-line block ×6, first 2 shown]
	s_set_vgpr_msb 64                       ;  msbs: dst=1 src0=0 src1=0 src2=0
	ds_load_b128 v[2:5] /*v[258:261]*/, v7 offset:800
	ds_load_b128 v[10:13] /*v[266:269]*/, v7 offset:816
	;; [unrolled: 1-line block ×10, first 2 shown]
	s_clause 0x3
	scratch_load_b128 v[82:85] /*v[338:341]*/, off, off offset:448
	scratch_load_b128 v[86:89] /*v[342:345]*/, off, off offset:464
	;; [unrolled: 1-line block ×4, first 2 shown]
	s_mov_b32 s0, exec_lo
	s_wait_loadcnt_dscnt 0x1d19
	s_set_vgpr_msb 0                        ;  msbs: dst=0 src0=0 src1=0 src2=0
	v_dual_mul_f32 v9, v130, v147 :: v_dual_mul_f32 v11, v132, v149
	s_delay_alu instid0(VALU_DEP_1) | instskip(NEXT) | instid1(VALU_DEP_1)
	v_dual_fmac_f32 v9, v131, v146 :: v_dual_fmac_f32 v11, v133, v148
	v_add_f32_e32 v9, 0, v9
	s_delay_alu instid0(VALU_DEP_1) | instskip(SKIP_2) | instid1(VALU_DEP_1)
	v_add_f32_e32 v9, v9, v11
	s_wait_loadcnt_dscnt 0x1c18
	v_mul_f32_e32 v11, v134, v151
	v_fmac_f32_e32 v11, v135, v150
	s_delay_alu instid0(VALU_DEP_1)
	v_dual_add_f32 v9, v9, v11 :: v_dual_mul_f32 v11, v136, v153
	s_wait_loadcnt_dscnt 0x406
	s_set_vgpr_msb 0x45                     ;  msbs: dst=1 src0=1 src1=1 src2=0
	v_dual_mul_f32 v101 /*v357*/, v74 /*v330*/, v79 /*v335*/ :: v_dual_mul_f32 v103 /*v359*/, v76 /*v332*/, v81 /*v337*/
	s_set_vgpr_msb 0                        ;  msbs: dst=0 src0=0 src1=0 src2=0
	v_fmac_f32_e32 v11, v137, v152
	s_set_vgpr_msb 0x45                     ;  msbs: dst=1 src0=1 src1=1 src2=0
	s_delay_alu instid0(VALU_DEP_2) | instskip(SKIP_1) | instid1(VALU_DEP_2)
	v_dual_fmac_f32 v101 /*v357*/, v75 /*v331*/, v78 /*v334*/ :: v_dual_fmac_f32 v103 /*v359*/, v77 /*v333*/, v80 /*v336*/
	s_set_vgpr_msb 0                        ;  msbs: dst=0 src0=0 src1=0 src2=0
	v_add_f32_e32 v9, v9, v11
	v_mul_f32_e32 v11, v138, v155
	s_delay_alu instid0(VALU_DEP_1) | instskip(NEXT) | instid1(VALU_DEP_1)
	v_fmac_f32_e32 v11, v139, v154
	v_dual_add_f32 v9, v9, v11 :: v_dual_mul_f32 v11, v140, v157
	s_delay_alu instid0(VALU_DEP_1) | instskip(NEXT) | instid1(VALU_DEP_1)
	v_fmac_f32_e32 v11, v141, v156
	v_add_f32_e32 v9, v9, v11
	v_mul_f32_e32 v11, v142, v159
	s_delay_alu instid0(VALU_DEP_1) | instskip(NEXT) | instid1(VALU_DEP_1)
	v_fmac_f32_e32 v11, v143, v158
	v_dual_add_f32 v9, v9, v11 :: v_dual_mul_f32 v11, v144, v161
	s_delay_alu instid0(VALU_DEP_1) | instskip(NEXT) | instid1(VALU_DEP_1)
	v_fmac_f32_e32 v11, v145, v160
	;; [unrolled: 7-line block ×13, first 2 shown]
	v_add_f32_e32 v9, v9, v11
	v_mul_f32_e32 v11, v250, v255
	s_delay_alu instid0(VALU_DEP_1) | instskip(NEXT) | instid1(VALU_DEP_1)
	v_fmac_f32_e32 v11, v251, v254
	v_add_f32_e32 v9, v9, v11
	s_set_vgpr_msb 4                        ;  msbs: dst=0 src0=0 src1=1 src2=0
	v_mul_f32_e32 v11, v252, v1 /*v257*/
	s_delay_alu instid0(VALU_DEP_1) | instskip(SKIP_1) | instid1(VALU_DEP_1)
	v_fmac_f32_e32 v11, v253, v0 /*v256*/
	s_set_vgpr_msb 0                        ;  msbs: dst=0 src0=0 src1=0 src2=0
	v_add_f32_e32 v9, v9, v11
	s_set_vgpr_msb 5                        ;  msbs: dst=0 src0=1 src1=1 src2=0
	v_mul_f32_e32 v11, v2 /*v258*/, v7 /*v263*/
	s_delay_alu instid0(VALU_DEP_1) | instskip(SKIP_1) | instid1(VALU_DEP_1)
	v_fmac_f32_e32 v11, v3 /*v259*/, v6 /*v262*/
	s_set_vgpr_msb 0                        ;  msbs: dst=0 src0=0 src1=0 src2=0
	v_add_f32_e32 v9, v9, v11
	s_set_vgpr_msb 5                        ;  msbs: dst=0 src0=1 src1=1 src2=0
	v_mul_f32_e32 v11, v4 /*v260*/, v9 /*v265*/
	s_delay_alu instid0(VALU_DEP_1) | instskip(SKIP_1) | instid1(VALU_DEP_1)
	v_fmac_f32_e32 v11, v5 /*v261*/, v8 /*v264*/
	;; [unrolled: 6-line block ×4, first 2 shown]
	s_set_vgpr_msb 0                        ;  msbs: dst=0 src0=0 src1=0 src2=0
	v_add_f32_e32 v9, v9, v11
	s_wait_dscnt 0x5
	s_set_vgpr_msb 5                        ;  msbs: dst=0 src0=1 src1=1 src2=0
	v_mul_f32_e32 v11, v18 /*v274*/, v23 /*v279*/
	s_delay_alu instid0(VALU_DEP_1) | instskip(SKIP_1) | instid1(VALU_DEP_1)
	v_fmac_f32_e32 v11, v19 /*v275*/, v22 /*v278*/
	s_set_vgpr_msb 0                        ;  msbs: dst=0 src0=0 src1=0 src2=0
	v_add_f32_e32 v9, v9, v11
	s_set_vgpr_msb 5                        ;  msbs: dst=0 src0=1 src1=1 src2=0
	v_mul_f32_e32 v11, v20 /*v276*/, v25 /*v281*/
	s_delay_alu instid0(VALU_DEP_1) | instskip(SKIP_1) | instid1(VALU_DEP_1)
	v_fmac_f32_e32 v11, v21 /*v277*/, v24 /*v280*/
	s_set_vgpr_msb 0                        ;  msbs: dst=0 src0=0 src1=0 src2=0
	v_add_f32_e32 v9, v9, v11
	s_wait_dscnt 0x4
	s_set_vgpr_msb 5                        ;  msbs: dst=0 src0=1 src1=1 src2=0
	v_mul_f32_e32 v11, v26 /*v282*/, v31 /*v287*/
	s_delay_alu instid0(VALU_DEP_1) | instskip(SKIP_1) | instid1(VALU_DEP_1)
	v_fmac_f32_e32 v11, v27 /*v283*/, v30 /*v286*/
	s_set_vgpr_msb 0                        ;  msbs: dst=0 src0=0 src1=0 src2=0
	v_add_f32_e32 v9, v9, v11
	s_set_vgpr_msb 5                        ;  msbs: dst=0 src0=1 src1=1 src2=0
	v_mul_f32_e32 v11, v28 /*v284*/, v33 /*v289*/
	s_delay_alu instid0(VALU_DEP_1) | instskip(SKIP_1) | instid1(VALU_DEP_1)
	v_fmac_f32_e32 v11, v29 /*v285*/, v32 /*v288*/
	;; [unrolled: 13-line block ×6, first 2 shown]
	s_set_vgpr_msb 0                        ;  msbs: dst=0 src0=0 src1=0 src2=0
	v_add_f32_e32 v9, v9, v11
	s_set_vgpr_msb 5                        ;  msbs: dst=0 src0=1 src1=1 src2=0
	v_mul_f32_e32 v11, v66 /*v322*/, v71 /*v327*/
	s_delay_alu instid0(VALU_DEP_1) | instskip(SKIP_1) | instid1(VALU_DEP_1)
	v_fmac_f32_e32 v11, v67 /*v323*/, v70 /*v326*/
	s_set_vgpr_msb 0                        ;  msbs: dst=0 src0=0 src1=0 src2=0
	v_add_f32_e32 v9, v9, v11
	s_set_vgpr_msb 5                        ;  msbs: dst=0 src0=1 src1=1 src2=0
	v_mul_f32_e32 v11, v68 /*v324*/, v73 /*v329*/
	s_delay_alu instid0(VALU_DEP_1) | instskip(SKIP_1) | instid1(VALU_DEP_1)
	v_fmac_f32_e32 v11, v69 /*v325*/, v72 /*v328*/
	s_set_vgpr_msb 64                       ;  msbs: dst=1 src0=0 src1=0 src2=0
	v_add_f32_e32 v99 /*v355*/, v9, v11
	s_set_vgpr_msb 0                        ;  msbs: dst=0 src0=0 src1=0 src2=0
	v_dual_mul_f32 v9, v131, v147 :: v_dual_mul_f32 v11, v133, v149
	s_delay_alu instid0(VALU_DEP_1) | instskip(NEXT) | instid1(VALU_DEP_1)
	v_dual_fma_f32 v9, v130, v146, -v9 :: v_dual_fma_f32 v11, v132, v148, -v11
	v_add_f32_e32 v9, 0, v9
	s_delay_alu instid0(VALU_DEP_1) | instskip(SKIP_1) | instid1(VALU_DEP_1)
	v_add_f32_e32 v9, v9, v11
	v_mul_f32_e32 v11, v135, v151
	v_fma_f32 v11, v134, v150, -v11
	s_delay_alu instid0(VALU_DEP_1) | instskip(SKIP_1) | instid1(VALU_DEP_1)
	v_add_f32_e32 v9, v9, v11
	v_mul_f32_e32 v11, v137, v153
	v_fma_f32 v11, v136, v152, -v11
	;; [unrolled: 4-line block ×6, first 2 shown]
	ds_load_b128 v[130:133], v7 offset:960
	ds_load_b128 v[134:137], v7 offset:976
	ds_load_b128 v[138:141], v7 offset:992
	ds_load_b128 v[142:145], v7 offset:1008
	v_add_f32_e32 v9, v9, v11
	v_mul_f32_e32 v11, v163, v167
	s_delay_alu instid0(VALU_DEP_1) | instskip(NEXT) | instid1(VALU_DEP_1)
	v_fma_f32 v11, v162, v166, -v11
	v_add_f32_e32 v9, v9, v11
	v_mul_f32_e32 v11, v165, v169
	s_wait_loadcnt_dscnt 0x303
	s_set_vgpr_msb 4                        ;  msbs: dst=0 src0=0 src1=1 src2=0
	v_pk_mul_f32 v[148:149], v[130:131], v[82:83] /*v[338:339]*/ op_sel:[1,1] op_sel_hi:[0,1]
	s_set_vgpr_msb 0                        ;  msbs: dst=0 src0=0 src1=0 src2=0
	v_fma_f32 v11, v164, v168, -v11
	s_set_vgpr_msb 4                        ;  msbs: dst=0 src0=0 src1=1 src2=0
	s_delay_alu instid0(VALU_DEP_2)
	v_pk_fma_f32 v[150:151], v[130:131], v[82:83] /*v[338:339]*/, v[148:149] neg_lo:[0,0,1] neg_hi:[0,0,1]
	v_pk_fma_f32 v[130:131], v[130:131], v[82:83] /*v[338:339]*/, v[148:149] op_sel_hi:[1,0,1]
	s_set_vgpr_msb 1                        ;  msbs: dst=0 src0=1 src1=0 src2=0
	v_mov_b32_e32 v148, v85 /*v341*/
	s_set_vgpr_msb 0                        ;  msbs: dst=0 src0=0 src1=0 src2=0
	v_add_f32_e32 v9, v9, v11
	v_mul_f32_e32 v11, v171, v175
	s_delay_alu instid0(VALU_DEP_1) | instskip(NEXT) | instid1(VALU_DEP_1)
	v_dual_mov_b32 v151, v131 :: v_dual_fma_f32 v11, v170, v174, -v11
	v_add_f32_e32 v9, v9, v11
	v_mul_f32_e32 v11, v173, v177
	s_delay_alu instid0(VALU_DEP_1) | instskip(NEXT) | instid1(VALU_DEP_1)
	v_fma_f32 v11, v172, v176, -v11
	v_add_f32_e32 v9, v9, v11
	v_mul_f32_e32 v11, v179, v183
	s_delay_alu instid0(VALU_DEP_1) | instskip(NEXT) | instid1(VALU_DEP_1)
	v_fma_f32 v11, v178, v182, -v11
	;; [unrolled: 4-line block ×20, first 2 shown]
	v_add_f32_e32 v9, v9, v11
	s_set_vgpr_msb 4                        ;  msbs: dst=0 src0=0 src1=1 src2=0
	v_mul_f32_e32 v11, v253, v1 /*v257*/
	s_delay_alu instid0(VALU_DEP_1) | instskip(SKIP_1) | instid1(VALU_DEP_1)
	v_fma_f32 v11, v252, v0 /*v256*/, -v11
	s_set_vgpr_msb 0                        ;  msbs: dst=0 src0=0 src1=0 src2=0
	v_add_f32_e32 v9, v9, v11
	s_set_vgpr_msb 5                        ;  msbs: dst=0 src0=1 src1=1 src2=0
	v_mul_f32_e32 v11, v3 /*v259*/, v7 /*v263*/
	s_delay_alu instid0(VALU_DEP_1) | instskip(SKIP_1) | instid1(VALU_DEP_1)
	v_fma_f32 v11, v2 /*v258*/, v6 /*v262*/, -v11
	s_set_vgpr_msb 0                        ;  msbs: dst=0 src0=0 src1=0 src2=0
	v_add_f32_e32 v9, v9, v11
	s_set_vgpr_msb 5                        ;  msbs: dst=0 src0=1 src1=1 src2=0
	v_mul_f32_e32 v11, v5 /*v261*/, v9 /*v265*/
	s_delay_alu instid0(VALU_DEP_1) | instskip(SKIP_1) | instid1(VALU_DEP_1)
	v_fma_f32 v11, v4 /*v260*/, v8 /*v264*/, -v11
	;; [unrolled: 6-line block ×18, first 2 shown]
	s_set_vgpr_msb 64                       ;  msbs: dst=1 src0=0 src1=0 src2=0
	v_add_f32_e32 v98 /*v354*/, v9, v11
	s_set_vgpr_msb 5                        ;  msbs: dst=0 src0=1 src1=1 src2=0
	v_mul_f32_e32 v9, v75 /*v331*/, v79 /*v335*/
	s_set_vgpr_msb 0x45                     ;  msbs: dst=1 src0=1 src1=1 src2=0
	s_delay_alu instid0(VALU_DEP_1) | instskip(SKIP_3) | instid1(VALU_DEP_1)
	v_fma_f32 v100 /*v356*/, v74 /*v330*/, v78 /*v334*/, -v9
	s_set_vgpr_msb 5                        ;  msbs: dst=0 src0=1 src1=1 src2=0
	v_mul_f32_e32 v9, v77 /*v333*/, v81 /*v337*/
	s_set_vgpr_msb 0x45                     ;  msbs: dst=1 src0=1 src1=1 src2=0
	v_fma_f32 v102 /*v358*/, v76 /*v332*/, v80 /*v336*/, -v9
	s_set_vgpr_msb 5                        ;  msbs: dst=0 src0=1 src1=1 src2=0
	v_pk_add_f32 v[146:147], v[98:99] /*v[354:355]*/, v[100:101] /*v[356:357]*/
	s_set_vgpr_msb 4                        ;  msbs: dst=0 src0=0 src1=1 src2=0
	s_delay_alu instid0(VALU_DEP_1) | instskip(SKIP_1) | instid1(VALU_DEP_1)
	v_pk_add_f32 v[146:147], v[146:147], v[102:103] /*v[358:359]*/
	s_set_vgpr_msb 0                        ;  msbs: dst=0 src0=0 src1=0 src2=0
	v_pk_add_f32 v[130:131], v[146:147], v[150:151]
	v_dual_mov_b32 v146, v133 :: v_dual_mov_b32 v147, v132
	s_delay_alu instid0(VALU_DEP_1) | instskip(SKIP_1) | instid1(VALU_DEP_1)
	v_pk_mul_f32 v[146:147], v[146:147], v[148:149] op_sel_hi:[1,0]
	s_set_vgpr_msb 4                        ;  msbs: dst=0 src0=0 src1=1 src2=0
	v_pk_fma_f32 v[148:149], v[132:133], v[84:85] /*v[340:341]*/, v[146:147] neg_lo:[0,0,1] neg_hi:[0,0,1]
	v_pk_fma_f32 v[132:133], v[132:133], v[84:85] /*v[340:341]*/, v[146:147] op_sel_hi:[1,0,1]
	s_delay_alu instid0(VALU_DEP_1) | instskip(SKIP_3) | instid1(VALU_DEP_2)
	v_mov_b32_e32 v149, v133
	s_wait_loadcnt_dscnt 0x202
	v_pk_mul_f32 v[132:133], v[134:135], v[86:87] /*v[342:343]*/ op_sel:[1,1] op_sel_hi:[0,1]
	s_set_vgpr_msb 0                        ;  msbs: dst=0 src0=0 src1=0 src2=0
	v_pk_add_f32 v[130:131], v[130:131], v[148:149]
	s_set_vgpr_msb 4                        ;  msbs: dst=0 src0=0 src1=1 src2=0
	s_delay_alu instid0(VALU_DEP_2)
	v_pk_fma_f32 v[146:147], v[134:135], v[86:87] /*v[342:343]*/, v[132:133] neg_lo:[0,0,1] neg_hi:[0,0,1]
	v_pk_fma_f32 v[132:133], v[134:135], v[86:87] /*v[342:343]*/, v[132:133] op_sel_hi:[1,0,1]
	v_mov_b32_e32 v132, v137
	s_set_vgpr_msb 1                        ;  msbs: dst=0 src0=1 src1=0 src2=0
	v_mov_b32_e32 v134, v89 /*v345*/
	s_set_vgpr_msb 0                        ;  msbs: dst=0 src0=0 src1=0 src2=0
	v_dual_mov_b32 v147, v133 :: v_dual_mov_b32 v133, v136
	s_delay_alu instid0(VALU_DEP_1) | instskip(NEXT) | instid1(VALU_DEP_2)
	v_pk_add_f32 v[130:131], v[130:131], v[146:147]
	v_pk_mul_f32 v[132:133], v[132:133], v[134:135] op_sel_hi:[1,0]
	s_set_vgpr_msb 4                        ;  msbs: dst=0 src0=0 src1=1 src2=0
	s_delay_alu instid0(VALU_DEP_1) | instskip(SKIP_1) | instid1(VALU_DEP_1)
	v_pk_fma_f32 v[134:135], v[136:137], v[88:89] /*v[344:345]*/, v[132:133] neg_lo:[0,0,1] neg_hi:[0,0,1]
	v_pk_fma_f32 v[132:133], v[136:137], v[88:89] /*v[344:345]*/, v[132:133] op_sel_hi:[1,0,1]
	v_mov_b32_e32 v135, v133
	s_wait_loadcnt_dscnt 0x101
	v_pk_mul_f32 v[132:133], v[138:139], v[90:91] /*v[346:347]*/ op_sel:[1,1] op_sel_hi:[0,1]
	s_set_vgpr_msb 0                        ;  msbs: dst=0 src0=0 src1=0 src2=0
	s_delay_alu instid0(VALU_DEP_2) | instskip(SKIP_1) | instid1(VALU_DEP_2)
	v_pk_add_f32 v[130:131], v[130:131], v[134:135]
	s_set_vgpr_msb 4                        ;  msbs: dst=0 src0=0 src1=1 src2=0
	v_pk_fma_f32 v[134:135], v[138:139], v[90:91] /*v[346:347]*/, v[132:133] neg_lo:[0,0,1] neg_hi:[0,0,1]
	v_pk_fma_f32 v[132:133], v[138:139], v[90:91] /*v[346:347]*/, v[132:133] op_sel_hi:[1,0,1]
	s_delay_alu instid0(VALU_DEP_1) | instskip(SKIP_2) | instid1(VALU_DEP_2)
	v_dual_mov_b32 v132, v141 :: v_dual_mov_b32 v135, v133
	v_mov_b32_e32 v133, v140
	s_set_vgpr_msb 0                        ;  msbs: dst=0 src0=0 src1=0 src2=0
	v_pk_add_f32 v[130:131], v[130:131], v[134:135]
	s_set_vgpr_msb 1                        ;  msbs: dst=0 src0=1 src1=0 src2=0
	v_mov_b32_e32 v134, v93 /*v349*/
	s_set_vgpr_msb 0                        ;  msbs: dst=0 src0=0 src1=0 src2=0
	s_delay_alu instid0(VALU_DEP_1) | instskip(SKIP_1) | instid1(VALU_DEP_1)
	v_pk_mul_f32 v[132:133], v[132:133], v[134:135] op_sel_hi:[1,0]
	s_set_vgpr_msb 4                        ;  msbs: dst=0 src0=0 src1=1 src2=0
	v_pk_fma_f32 v[134:135], v[140:141], v[92:93] /*v[348:349]*/, v[132:133] neg_lo:[0,0,1] neg_hi:[0,0,1]
	v_pk_fma_f32 v[132:133], v[140:141], v[92:93] /*v[348:349]*/, v[132:133] op_sel_hi:[1,0,1]
	s_delay_alu instid0(VALU_DEP_1) | instskip(SKIP_3) | instid1(VALU_DEP_2)
	v_mov_b32_e32 v135, v133
	s_wait_loadcnt_dscnt 0x0
	v_pk_mul_f32 v[132:133], v[142:143], v[94:95] /*v[350:351]*/ op_sel:[1,1] op_sel_hi:[0,1]
	s_set_vgpr_msb 0                        ;  msbs: dst=0 src0=0 src1=0 src2=0
	v_pk_add_f32 v[130:131], v[130:131], v[134:135]
	s_set_vgpr_msb 4                        ;  msbs: dst=0 src0=0 src1=1 src2=0
	s_delay_alu instid0(VALU_DEP_2) | instskip(SKIP_1) | instid1(VALU_DEP_1)
	v_pk_fma_f32 v[134:135], v[142:143], v[94:95] /*v[350:351]*/, v[132:133] neg_lo:[0,0,1] neg_hi:[0,0,1]
	v_pk_fma_f32 v[132:133], v[142:143], v[94:95] /*v[350:351]*/, v[132:133] op_sel_hi:[1,0,1]
	v_dual_mov_b32 v132, v145 :: v_dual_mov_b32 v135, v133
	v_mov_b32_e32 v133, v144
	s_set_vgpr_msb 0                        ;  msbs: dst=0 src0=0 src1=0 src2=0
	s_delay_alu instid0(VALU_DEP_2) | instskip(SKIP_3) | instid1(VALU_DEP_1)
	v_pk_add_f32 v[130:131], v[130:131], v[134:135]
	s_set_vgpr_msb 1                        ;  msbs: dst=0 src0=1 src1=0 src2=0
	v_mov_b32_e32 v134, v97 /*v353*/
	s_set_vgpr_msb 0                        ;  msbs: dst=0 src0=0 src1=0 src2=0
	v_pk_mul_f32 v[132:133], v[132:133], v[134:135] op_sel_hi:[1,0]
	s_set_vgpr_msb 4                        ;  msbs: dst=0 src0=0 src1=1 src2=0
	s_delay_alu instid0(VALU_DEP_1) | instskip(SKIP_1) | instid1(VALU_DEP_1)
	v_pk_fma_f32 v[134:135], v[144:145], v[96:97] /*v[352:353]*/, v[132:133] neg_lo:[0,0,1] neg_hi:[0,0,1]
	v_pk_fma_f32 v[132:133], v[144:145], v[96:97] /*v[352:353]*/, v[132:133] op_sel_hi:[1,0,1]
	v_mov_b32_e32 v135, v133
	scratch_load_b64 v[132:133], off, off offset:24
	s_set_vgpr_msb 0                        ;  msbs: dst=0 src0=0 src1=0 src2=0
	v_pk_add_f32 v[130:131], v[130:131], v[134:135]
	s_wait_loadcnt 0x0
	s_delay_alu instid0(VALU_DEP_1)
	v_pk_add_f32 v[130:131], v[132:133], v[130:131] neg_lo:[0,1] neg_hi:[0,1]
	scratch_store_b64 off, v[130:131], off offset:24
	s_wait_xcnt 0x0
	v_cmpx_lt_u32_e32 2, v0
	s_cbranch_execz .LBB127_393
; %bb.392:
	scratch_load_b64 v[130:131], off, off offset:16
	v_mov_b64_e32 v[132:133], 0
	scratch_store_b64 off, v[132:133], off offset:16
	s_wait_loadcnt 0x0
	ds_store_b64 v1, v[130:131]
.LBB127_393:
	s_wait_xcnt 0x0
	s_or_b32 exec_lo, exec_lo, s0
	s_wait_storecnt_dscnt 0x0
	s_barrier_signal -1
	s_barrier_wait -1
	s_clause 0xf
	scratch_load_b128 v[134:137], off, off offset:24
	scratch_load_b128 v[142:145], off, off offset:40
	;; [unrolled: 1-line block ×16, first 2 shown]
	v_mov_b32_e32 v109, 0
	s_set_vgpr_msb 64                       ;  msbs: dst=1 src0=0 src1=0 src2=0
	s_clause 0x3
	scratch_load_b128 v[6:9] /*v[262:265]*/, off, off offset:280
	scratch_load_b128 v[14:17] /*v[270:273]*/, off, off offset:296
	;; [unrolled: 1-line block ×4, first 2 shown]
	s_set_vgpr_msb 0                        ;  msbs: dst=0 src0=0 src1=0 src2=0
	ds_load_2addr_b64 v[130:133], v109 offset0:67 offset1:68
	ds_load_2addr_b64 v[138:141], v109 offset0:69 offset1:70
	s_set_vgpr_msb 64                       ;  msbs: dst=1 src0=0 src1=0 src2=0
	s_clause 0x6
	scratch_load_b128 v[38:41] /*v[294:297]*/, off, off offset:344
	scratch_load_b128 v[46:49] /*v[302:305]*/, off, off offset:360
	;; [unrolled: 1-line block ×7, first 2 shown]
	s_mov_b32 s0, exec_lo
	s_wait_loadcnt_dscnt 0x1a01
	s_set_vgpr_msb 0                        ;  msbs: dst=0 src0=0 src1=0 src2=0
	v_dual_mul_f32 v7, v130, v135 :: v_dual_mul_f32 v9, v132, v137
	ds_load_2addr_b64 v[146:149], v109 offset0:71 offset1:72
	ds_load_2addr_b64 v[154:157], v109 offset0:73 offset1:74
	;; [unrolled: 1-line block ×4, first 2 shown]
	v_dual_fmac_f32 v7, v131, v134 :: v_dual_fmac_f32 v9, v133, v136
	ds_load_2addr_b64 v[178:181], v109 offset0:79 offset1:80
	ds_load_2addr_b64 v[186:189], v109 offset0:81 offset1:82
	;; [unrolled: 1-line block ×4, first 2 shown]
	v_add_f32_e32 v7, 0, v7
	ds_load_2addr_b64 v[210:213], v109 offset0:87 offset1:88
	ds_load_2addr_b64 v[218:221], v109 offset0:89 offset1:90
	ds_load_2addr_b64 v[226:229], v109 offset0:91 offset1:92
	ds_load_2addr_b64 v[234:237], v109 offset0:93 offset1:94
	s_wait_loadcnt_dscnt 0x190c
	v_dual_add_f32 v7, v7, v9 :: v_dual_mul_f32 v9, v138, v143
	ds_load_2addr_b64 v[242:245], v109 offset0:95 offset1:96
	ds_load_2addr_b64 v[250:253], v109 offset0:97 offset1:98
	s_set_vgpr_msb 64                       ;  msbs: dst=1 src0=0 src1=0 src2=0
	ds_load_2addr_b64 v[2:5] /*v[258:261]*/, v109 offset0:99 offset1:100
	ds_load_2addr_b64 v[10:13] /*v[266:269]*/, v109 offset0:101 offset1:102
	s_set_vgpr_msb 0                        ;  msbs: dst=0 src0=0 src1=0 src2=0
	v_fmac_f32_e32 v9, v139, v142
	s_set_vgpr_msb 64                       ;  msbs: dst=1 src0=0 src1=0 src2=0
	ds_load_2addr_b64 v[66:69] /*v[322:325]*/, v109 offset0:115 offset1:116
	ds_load_2addr_b64 v[74:77] /*v[330:333]*/, v109 offset0:117 offset1:118
	;; [unrolled: 1-line block ×5, first 2 shown]
	s_set_vgpr_msb 0                        ;  msbs: dst=0 src0=0 src1=0 src2=0
	v_add_f32_e32 v7, v7, v9
	v_mul_f32_e32 v9, v140, v145
	s_set_vgpr_msb 64                       ;  msbs: dst=1 src0=0 src1=0 src2=0
	ds_load_2addr_b64 v[34:37] /*v[290:293]*/, v109 offset0:107 offset1:108
	ds_load_2addr_b64 v[42:45] /*v[298:301]*/, v109 offset0:109 offset1:110
	ds_load_2addr_b64 v[50:53] /*v[306:309]*/, v109 offset0:111 offset1:112
	ds_load_2addr_b64 v[58:61] /*v[314:317]*/, v109 offset0:113 offset1:114
	s_set_vgpr_msb 0                        ;  msbs: dst=0 src0=0 src1=0 src2=0
	v_fmac_f32_e32 v9, v141, v144
	s_set_vgpr_msb 64                       ;  msbs: dst=1 src0=0 src1=0 src2=0
	s_clause 0x3
	scratch_load_b128 v[90:93] /*v[346:349]*/, off, off offset:456
	scratch_load_b128 v[94:97] /*v[350:353]*/, off, off offset:472
	;; [unrolled: 1-line block ×3, first 2 shown]
	scratch_load_b64 v[108:109] /*v[364:365]*/, off, off offset:504
	s_wait_loadcnt_dscnt 0x1c18
	s_set_vgpr_msb 0                        ;  msbs: dst=0 src0=0 src1=0 src2=0
	v_dual_add_f32 v7, v7, v9 :: v_dual_mul_f32 v9, v146, v151
	s_wait_loadcnt_dscnt 0x406
	s_set_vgpr_msb 0x45                     ;  msbs: dst=1 src0=1 src1=1 src2=0
	v_dual_mul_f32 v105 /*v361*/, v76 /*v332*/, v81 /*v337*/ :: v_dual_mul_f32 v107 /*v363*/, v82 /*v338*/, v87 /*v343*/
	s_set_vgpr_msb 0                        ;  msbs: dst=0 src0=0 src1=0 src2=0
	v_fmac_f32_e32 v9, v147, v150
	s_set_vgpr_msb 0x45                     ;  msbs: dst=1 src0=1 src1=1 src2=0
	s_delay_alu instid0(VALU_DEP_2) | instskip(SKIP_1) | instid1(VALU_DEP_2)
	v_dual_fmac_f32 v105 /*v361*/, v77 /*v333*/, v80 /*v336*/ :: v_dual_fmac_f32 v107 /*v363*/, v83 /*v339*/, v86 /*v342*/
	s_set_vgpr_msb 0                        ;  msbs: dst=0 src0=0 src1=0 src2=0
	v_add_f32_e32 v7, v7, v9
	v_mul_f32_e32 v9, v148, v153
	s_delay_alu instid0(VALU_DEP_1) | instskip(NEXT) | instid1(VALU_DEP_1)
	v_fmac_f32_e32 v9, v149, v152
	v_dual_add_f32 v7, v7, v9 :: v_dual_mul_f32 v9, v154, v159
	s_delay_alu instid0(VALU_DEP_1) | instskip(NEXT) | instid1(VALU_DEP_1)
	v_fmac_f32_e32 v9, v155, v158
	v_add_f32_e32 v7, v7, v9
	v_mul_f32_e32 v9, v156, v161
	s_delay_alu instid0(VALU_DEP_1) | instskip(NEXT) | instid1(VALU_DEP_1)
	v_fmac_f32_e32 v9, v157, v160
	v_dual_add_f32 v7, v7, v9 :: v_dual_mul_f32 v9, v162, v167
	s_delay_alu instid0(VALU_DEP_1) | instskip(NEXT) | instid1(VALU_DEP_1)
	v_fmac_f32_e32 v9, v163, v166
	;; [unrolled: 7-line block ×13, first 2 shown]
	v_add_f32_e32 v7, v7, v9
	s_set_vgpr_msb 4                        ;  msbs: dst=0 src0=0 src1=1 src2=0
	v_mul_f32_e32 v9, v252, v1 /*v257*/
	s_delay_alu instid0(VALU_DEP_1) | instskip(SKIP_1) | instid1(VALU_DEP_1)
	v_fmac_f32_e32 v9, v253, v0 /*v256*/
	s_set_vgpr_msb 0                        ;  msbs: dst=0 src0=0 src1=0 src2=0
	v_add_f32_e32 v7, v7, v9
	s_set_vgpr_msb 5                        ;  msbs: dst=0 src0=1 src1=1 src2=0
	v_mul_f32_e32 v9, v2 /*v258*/, v7 /*v263*/
	s_delay_alu instid0(VALU_DEP_1) | instskip(SKIP_1) | instid1(VALU_DEP_1)
	v_fmac_f32_e32 v9, v3 /*v259*/, v6 /*v262*/
	s_set_vgpr_msb 0                        ;  msbs: dst=0 src0=0 src1=0 src2=0
	v_add_f32_e32 v7, v7, v9
	s_set_vgpr_msb 5                        ;  msbs: dst=0 src0=1 src1=1 src2=0
	v_mul_f32_e32 v9, v4 /*v260*/, v9 /*v265*/
	s_delay_alu instid0(VALU_DEP_1) | instskip(SKIP_1) | instid1(VALU_DEP_1)
	v_fmac_f32_e32 v9, v5 /*v261*/, v8 /*v264*/
	;; [unrolled: 6-line block ×4, first 2 shown]
	s_set_vgpr_msb 0                        ;  msbs: dst=0 src0=0 src1=0 src2=0
	v_add_f32_e32 v7, v7, v9
	s_wait_dscnt 0x5
	s_set_vgpr_msb 5                        ;  msbs: dst=0 src0=1 src1=1 src2=0
	v_mul_f32_e32 v9, v18 /*v274*/, v23 /*v279*/
	s_delay_alu instid0(VALU_DEP_1) | instskip(SKIP_1) | instid1(VALU_DEP_1)
	v_fmac_f32_e32 v9, v19 /*v275*/, v22 /*v278*/
	s_set_vgpr_msb 0                        ;  msbs: dst=0 src0=0 src1=0 src2=0
	v_add_f32_e32 v7, v7, v9
	s_set_vgpr_msb 5                        ;  msbs: dst=0 src0=1 src1=1 src2=0
	v_mul_f32_e32 v9, v20 /*v276*/, v25 /*v281*/
	s_delay_alu instid0(VALU_DEP_1) | instskip(SKIP_1) | instid1(VALU_DEP_1)
	v_fmac_f32_e32 v9, v21 /*v277*/, v24 /*v280*/
	s_set_vgpr_msb 0                        ;  msbs: dst=0 src0=0 src1=0 src2=0
	v_add_f32_e32 v7, v7, v9
	s_wait_dscnt 0x4
	s_set_vgpr_msb 5                        ;  msbs: dst=0 src0=1 src1=1 src2=0
	v_mul_f32_e32 v9, v26 /*v282*/, v31 /*v287*/
	s_delay_alu instid0(VALU_DEP_1) | instskip(SKIP_1) | instid1(VALU_DEP_1)
	v_fmac_f32_e32 v9, v27 /*v283*/, v30 /*v286*/
	s_set_vgpr_msb 0                        ;  msbs: dst=0 src0=0 src1=0 src2=0
	v_add_f32_e32 v7, v7, v9
	s_set_vgpr_msb 5                        ;  msbs: dst=0 src0=1 src1=1 src2=0
	v_mul_f32_e32 v9, v28 /*v284*/, v33 /*v289*/
	s_delay_alu instid0(VALU_DEP_1) | instskip(SKIP_1) | instid1(VALU_DEP_1)
	v_fmac_f32_e32 v9, v29 /*v285*/, v32 /*v288*/
	;; [unrolled: 13-line block ×6, first 2 shown]
	s_set_vgpr_msb 0                        ;  msbs: dst=0 src0=0 src1=0 src2=0
	v_add_f32_e32 v7, v7, v9
	s_set_vgpr_msb 5                        ;  msbs: dst=0 src0=1 src1=1 src2=0
	v_mul_f32_e32 v9, v66 /*v322*/, v71 /*v327*/
	s_delay_alu instid0(VALU_DEP_1) | instskip(SKIP_1) | instid1(VALU_DEP_1)
	v_fmac_f32_e32 v9, v67 /*v323*/, v70 /*v326*/
	s_set_vgpr_msb 0                        ;  msbs: dst=0 src0=0 src1=0 src2=0
	v_add_f32_e32 v7, v7, v9
	s_set_vgpr_msb 5                        ;  msbs: dst=0 src0=1 src1=1 src2=0
	v_mul_f32_e32 v9, v68 /*v324*/, v73 /*v329*/
	s_delay_alu instid0(VALU_DEP_1) | instskip(SKIP_1) | instid1(VALU_DEP_1)
	v_fmac_f32_e32 v9, v69 /*v325*/, v72 /*v328*/
	;; [unrolled: 6-line block ×3, first 2 shown]
	s_set_vgpr_msb 64                       ;  msbs: dst=1 src0=0 src1=0 src2=0
	v_add_f32_e32 v103 /*v359*/, v7, v9
	s_set_vgpr_msb 0                        ;  msbs: dst=0 src0=0 src1=0 src2=0
	v_dual_mul_f32 v7, v131, v135 :: v_dual_mul_f32 v9, v133, v137
	s_delay_alu instid0(VALU_DEP_1) | instskip(NEXT) | instid1(VALU_DEP_1)
	v_dual_fma_f32 v7, v130, v134, -v7 :: v_dual_fma_f32 v9, v132, v136, -v9
	v_add_f32_e32 v7, 0, v7
	s_delay_alu instid0(VALU_DEP_1) | instskip(SKIP_1) | instid1(VALU_DEP_1)
	v_add_f32_e32 v7, v7, v9
	v_mul_f32_e32 v9, v139, v143
	v_fma_f32 v9, v138, v142, -v9
	s_delay_alu instid0(VALU_DEP_1) | instskip(SKIP_1) | instid1(VALU_DEP_1)
	v_add_f32_e32 v7, v7, v9
	v_mul_f32_e32 v9, v141, v145
	v_fma_f32 v9, v140, v144, -v9
	ds_load_2addr_b64 v[130:133], v109 offset0:121 offset1:122
	ds_load_2addr_b64 v[134:137], v109 offset0:123 offset1:124
	;; [unrolled: 1-line block ×3, first 2 shown]
	ds_load_b64 v[142:143], v109 offset:1016
	v_add_f32_e32 v7, v7, v9
	v_mul_f32_e32 v9, v147, v151
	s_set_vgpr_msb 1                        ;  msbs: dst=0 src0=1 src1=0 src2=0
	v_mov_b32_e32 v147, v84 /*v340*/
	s_set_vgpr_msb 0                        ;  msbs: dst=0 src0=0 src1=0 src2=0
	s_delay_alu instid0(VALU_DEP_2) | instskip(SKIP_3) | instid1(VALU_DEP_2)
	v_fma_f32 v9, v146, v150, -v9
	s_set_vgpr_msb 1                        ;  msbs: dst=0 src0=1 src1=0 src2=0
	v_mov_b32_e32 v146, v85 /*v341*/
	s_set_vgpr_msb 0                        ;  msbs: dst=0 src0=0 src1=0 src2=0
	v_add_f32_e32 v7, v7, v9
	v_mul_f32_e32 v9, v149, v153
	s_delay_alu instid0(VALU_DEP_1) | instskip(SKIP_3) | instid1(VALU_DEP_2)
	v_fma_f32 v9, v148, v152, -v9
	s_set_vgpr_msb 1                        ;  msbs: dst=0 src0=1 src1=0 src2=0
	v_mov_b32_e32 v148, v89 /*v345*/
	s_set_vgpr_msb 0                        ;  msbs: dst=0 src0=0 src1=0 src2=0
	v_add_f32_e32 v7, v7, v9
	v_mul_f32_e32 v9, v155, v159
	s_delay_alu instid0(VALU_DEP_3) | instskip(NEXT) | instid1(VALU_DEP_2)
	v_pk_mul_f32 v[146:147], v[146:147], v[148:149] op_sel_hi:[1,0]
	v_fma_f32 v9, v154, v158, -v9
	s_set_vgpr_msb 5                        ;  msbs: dst=0 src0=1 src1=1 src2=0
	s_delay_alu instid0(VALU_DEP_2) | instskip(SKIP_3) | instid1(VALU_DEP_2)
	v_pk_fma_f32 v[148:149], v[84:85] /*v[340:341]*/, v[88:89] /*v[344:345]*/, v[146:147] neg_lo:[0,0,1] neg_hi:[0,0,1]
	v_pk_fma_f32 v[146:147], v[84:85] /*v[340:341]*/, v[88:89] /*v[344:345]*/, v[146:147] op_sel_hi:[1,0,1]
	s_set_vgpr_msb 0                        ;  msbs: dst=0 src0=0 src1=0 src2=0
	v_add_f32_e32 v7, v7, v9
	v_dual_mul_f32 v9, v157, v161 :: v_dual_mov_b32 v149, v147
	s_wait_loadcnt_dscnt 0x303
	s_set_vgpr_msb 4                        ;  msbs: dst=0 src0=0 src1=1 src2=0
	v_pk_mul_f32 v[146:147], v[130:131], v[90:91] /*v[346:347]*/ op_sel:[1,1] op_sel_hi:[0,1]
	s_set_vgpr_msb 0                        ;  msbs: dst=0 src0=0 src1=0 src2=0
	v_fma_f32 v9, v156, v160, -v9
	s_delay_alu instid0(VALU_DEP_1) | instskip(SKIP_1) | instid1(VALU_DEP_1)
	v_add_f32_e32 v7, v7, v9
	v_mul_f32_e32 v9, v163, v167
	v_fma_f32 v9, v162, v166, -v9
	s_delay_alu instid0(VALU_DEP_1) | instskip(SKIP_1) | instid1(VALU_DEP_1)
	v_add_f32_e32 v7, v7, v9
	v_mul_f32_e32 v9, v165, v169
	;; [unrolled: 4-line block ×23, first 2 shown]
	v_fma_f32 v9, v250, v254, -v9
	s_delay_alu instid0(VALU_DEP_1) | instskip(SKIP_2) | instid1(VALU_DEP_1)
	v_add_f32_e32 v7, v7, v9
	s_set_vgpr_msb 4                        ;  msbs: dst=0 src0=0 src1=1 src2=0
	v_mul_f32_e32 v9, v253, v1 /*v257*/
	v_fma_f32 v9, v252, v0 /*v256*/, -v9
	s_set_vgpr_msb 0                        ;  msbs: dst=0 src0=0 src1=0 src2=0
	s_delay_alu instid0(VALU_DEP_1) | instskip(SKIP_2) | instid1(VALU_DEP_1)
	v_add_f32_e32 v7, v7, v9
	s_set_vgpr_msb 5                        ;  msbs: dst=0 src0=1 src1=1 src2=0
	v_mul_f32_e32 v9, v3 /*v259*/, v7 /*v263*/
	v_fma_f32 v9, v2 /*v258*/, v6 /*v262*/, -v9
	s_set_vgpr_msb 0                        ;  msbs: dst=0 src0=0 src1=0 src2=0
	s_delay_alu instid0(VALU_DEP_1) | instskip(SKIP_2) | instid1(VALU_DEP_1)
	v_add_f32_e32 v7, v7, v9
	s_set_vgpr_msb 5                        ;  msbs: dst=0 src0=1 src1=1 src2=0
	v_mul_f32_e32 v9, v5 /*v261*/, v9 /*v265*/
	v_fma_f32 v9, v4 /*v260*/, v8 /*v264*/, -v9
	;; [unrolled: 6-line block ×19, first 2 shown]
	s_set_vgpr_msb 64                       ;  msbs: dst=1 src0=0 src1=0 src2=0
	s_delay_alu instid0(VALU_DEP_1) | instskip(SKIP_3) | instid1(VALU_DEP_1)
	v_add_f32_e32 v102 /*v358*/, v7, v9
	s_set_vgpr_msb 5                        ;  msbs: dst=0 src0=1 src1=1 src2=0
	v_mul_f32_e32 v7, v77 /*v333*/, v81 /*v337*/
	s_set_vgpr_msb 0x45                     ;  msbs: dst=1 src0=1 src1=1 src2=0
	v_fma_f32 v104 /*v360*/, v76 /*v332*/, v80 /*v336*/, -v7
	s_set_vgpr_msb 5                        ;  msbs: dst=0 src0=1 src1=1 src2=0
	v_mul_f32_e32 v7, v83 /*v339*/, v87 /*v343*/
	s_set_vgpr_msb 0x45                     ;  msbs: dst=1 src0=1 src1=1 src2=0
	s_delay_alu instid0(VALU_DEP_1) | instskip(SKIP_3) | instid1(VALU_DEP_1)
	v_fma_f32 v106 /*v362*/, v82 /*v338*/, v86 /*v342*/, -v7
	s_set_vgpr_msb 5                        ;  msbs: dst=0 src0=1 src1=1 src2=0
	v_pk_add_f32 v[144:145], v[102:103] /*v[358:359]*/, v[104:105] /*v[360:361]*/
	s_set_vgpr_msb 4                        ;  msbs: dst=0 src0=0 src1=1 src2=0
	v_pk_add_f32 v[144:145], v[144:145], v[106:107] /*v[362:363]*/
	s_set_vgpr_msb 0                        ;  msbs: dst=0 src0=0 src1=0 src2=0
	s_delay_alu instid0(VALU_DEP_1)
	v_pk_add_f32 v[144:145], v[144:145], v[148:149]
	s_set_vgpr_msb 4                        ;  msbs: dst=0 src0=0 src1=1 src2=0
	v_pk_fma_f32 v[148:149], v[130:131], v[90:91] /*v[346:347]*/, v[146:147] neg_lo:[0,0,1] neg_hi:[0,0,1]
	v_pk_fma_f32 v[130:131], v[130:131], v[90:91] /*v[346:347]*/, v[146:147] op_sel_hi:[1,0,1]
	s_set_vgpr_msb 1                        ;  msbs: dst=0 src0=1 src1=0 src2=0
	v_mov_b32_e32 v146, v93 /*v349*/
	s_set_vgpr_msb 0                        ;  msbs: dst=0 src0=0 src1=0 src2=0
	s_delay_alu instid0(VALU_DEP_2) | instskip(NEXT) | instid1(VALU_DEP_1)
	v_mov_b32_e32 v149, v131
	v_pk_add_f32 v[130:131], v[144:145], v[148:149]
	v_dual_mov_b32 v144, v133 :: v_dual_mov_b32 v145, v132
	s_delay_alu instid0(VALU_DEP_1) | instskip(SKIP_1) | instid1(VALU_DEP_1)
	v_pk_mul_f32 v[144:145], v[144:145], v[146:147] op_sel_hi:[1,0]
	s_set_vgpr_msb 4                        ;  msbs: dst=0 src0=0 src1=1 src2=0
	v_pk_fma_f32 v[146:147], v[132:133], v[92:93] /*v[348:349]*/, v[144:145] neg_lo:[0,0,1] neg_hi:[0,0,1]
	v_pk_fma_f32 v[132:133], v[132:133], v[92:93] /*v[348:349]*/, v[144:145] op_sel_hi:[1,0,1]
	s_delay_alu instid0(VALU_DEP_1) | instskip(SKIP_3) | instid1(VALU_DEP_2)
	v_mov_b32_e32 v147, v133
	s_wait_loadcnt_dscnt 0x202
	v_pk_mul_f32 v[132:133], v[134:135], v[94:95] /*v[350:351]*/ op_sel:[1,1] op_sel_hi:[0,1]
	s_set_vgpr_msb 0                        ;  msbs: dst=0 src0=0 src1=0 src2=0
	v_pk_add_f32 v[130:131], v[130:131], v[146:147]
	s_set_vgpr_msb 4                        ;  msbs: dst=0 src0=0 src1=1 src2=0
	s_delay_alu instid0(VALU_DEP_2)
	v_pk_fma_f32 v[144:145], v[134:135], v[94:95] /*v[350:351]*/, v[132:133] neg_lo:[0,0,1] neg_hi:[0,0,1]
	v_pk_fma_f32 v[132:133], v[134:135], v[94:95] /*v[350:351]*/, v[132:133] op_sel_hi:[1,0,1]
	v_mov_b32_e32 v132, v137
	s_set_vgpr_msb 1                        ;  msbs: dst=0 src0=1 src1=0 src2=0
	v_mov_b32_e32 v134, v97 /*v353*/
	s_set_vgpr_msb 0                        ;  msbs: dst=0 src0=0 src1=0 src2=0
	v_dual_mov_b32 v145, v133 :: v_dual_mov_b32 v133, v136
	s_delay_alu instid0(VALU_DEP_1) | instskip(NEXT) | instid1(VALU_DEP_2)
	v_pk_add_f32 v[130:131], v[130:131], v[144:145]
	v_pk_mul_f32 v[132:133], v[132:133], v[134:135] op_sel_hi:[1,0]
	s_set_vgpr_msb 4                        ;  msbs: dst=0 src0=0 src1=1 src2=0
	s_delay_alu instid0(VALU_DEP_1) | instskip(SKIP_1) | instid1(VALU_DEP_1)
	v_pk_fma_f32 v[134:135], v[136:137], v[96:97] /*v[352:353]*/, v[132:133] neg_lo:[0,0,1] neg_hi:[0,0,1]
	v_pk_fma_f32 v[132:133], v[136:137], v[96:97] /*v[352:353]*/, v[132:133] op_sel_hi:[1,0,1]
	v_mov_b32_e32 v135, v133
	s_wait_loadcnt_dscnt 0x101
	v_pk_mul_f32 v[132:133], v[138:139], v[98:99] /*v[354:355]*/ op_sel:[1,1] op_sel_hi:[0,1]
	s_set_vgpr_msb 0                        ;  msbs: dst=0 src0=0 src1=0 src2=0
	s_delay_alu instid0(VALU_DEP_2) | instskip(SKIP_1) | instid1(VALU_DEP_2)
	v_pk_add_f32 v[130:131], v[130:131], v[134:135]
	s_set_vgpr_msb 4                        ;  msbs: dst=0 src0=0 src1=1 src2=0
	v_pk_fma_f32 v[134:135], v[138:139], v[98:99] /*v[354:355]*/, v[132:133] neg_lo:[0,0,1] neg_hi:[0,0,1]
	v_pk_fma_f32 v[132:133], v[138:139], v[98:99] /*v[354:355]*/, v[132:133] op_sel_hi:[1,0,1]
	s_delay_alu instid0(VALU_DEP_1) | instskip(SKIP_2) | instid1(VALU_DEP_2)
	v_dual_mov_b32 v132, v141 :: v_dual_mov_b32 v135, v133
	v_mov_b32_e32 v133, v140
	s_set_vgpr_msb 0                        ;  msbs: dst=0 src0=0 src1=0 src2=0
	v_pk_add_f32 v[130:131], v[130:131], v[134:135]
	s_set_vgpr_msb 1                        ;  msbs: dst=0 src0=1 src1=0 src2=0
	v_mov_b32_e32 v134, v101 /*v357*/
	s_set_vgpr_msb 0                        ;  msbs: dst=0 src0=0 src1=0 src2=0
	s_delay_alu instid0(VALU_DEP_1) | instskip(SKIP_1) | instid1(VALU_DEP_1)
	v_pk_mul_f32 v[132:133], v[132:133], v[134:135] op_sel_hi:[1,0]
	s_set_vgpr_msb 4                        ;  msbs: dst=0 src0=0 src1=1 src2=0
	v_pk_fma_f32 v[134:135], v[140:141], v[100:101] /*v[356:357]*/, v[132:133] neg_lo:[0,0,1] neg_hi:[0,0,1]
	v_pk_fma_f32 v[132:133], v[140:141], v[100:101] /*v[356:357]*/, v[132:133] op_sel_hi:[1,0,1]
	s_delay_alu instid0(VALU_DEP_1) | instskip(SKIP_3) | instid1(VALU_DEP_2)
	v_mov_b32_e32 v135, v133
	s_wait_loadcnt_dscnt 0x0
	v_pk_mul_f32 v[132:133], v[142:143], v[108:109] /*v[364:365]*/ op_sel:[1,1] op_sel_hi:[0,1]
	s_set_vgpr_msb 0                        ;  msbs: dst=0 src0=0 src1=0 src2=0
	v_pk_add_f32 v[130:131], v[130:131], v[134:135]
	s_set_vgpr_msb 4                        ;  msbs: dst=0 src0=0 src1=1 src2=0
	s_delay_alu instid0(VALU_DEP_2) | instskip(SKIP_1) | instid1(VALU_DEP_1)
	v_pk_fma_f32 v[134:135], v[142:143], v[108:109] /*v[364:365]*/, v[132:133] neg_lo:[0,0,1] neg_hi:[0,0,1]
	v_pk_fma_f32 v[132:133], v[142:143], v[108:109] /*v[364:365]*/, v[132:133] op_sel_hi:[1,0,1]
	v_mov_b32_e32 v135, v133
	scratch_load_b64 v[132:133], off, off offset:16
	s_set_vgpr_msb 0                        ;  msbs: dst=0 src0=0 src1=0 src2=0
	v_pk_add_f32 v[130:131], v[130:131], v[134:135]
	s_wait_loadcnt 0x0
	s_delay_alu instid0(VALU_DEP_1)
	v_pk_add_f32 v[130:131], v[132:133], v[130:131] neg_lo:[0,1] neg_hi:[0,1]
	scratch_store_b64 off, v[130:131], off offset:16
	s_wait_xcnt 0x0
	v_cmpx_lt_u32_e32 1, v0
	s_cbranch_execz .LBB127_395
; %bb.394:
	scratch_load_b64 v[130:131], off, off offset:8
	v_mov_b64_e32 v[132:133], 0
	scratch_store_b64 off, v[132:133], off offset:8
	s_wait_loadcnt 0x0
	ds_store_b64 v1, v[130:131]
.LBB127_395:
	s_wait_xcnt 0x0
	s_or_b32 exec_lo, exec_lo, s0
	s_wait_storecnt_dscnt 0x0
	s_barrier_signal -1
	s_barrier_wait -1
	s_clause 0x1a
	scratch_load_b128 v[130:133], off, off offset:16
	scratch_load_b128 v[134:137], off, off offset:32
	;; [unrolled: 1-line block ×27, first 2 shown]
	ds_load_b128 v[238:241], v109 offset:528
	ds_load_b128 v[242:245], v109 offset:544
	;; [unrolled: 1-line block ×5, first 2 shown]
	s_set_vgpr_msb 64                       ;  msbs: dst=1 src0=0 src1=0 src2=0
	ds_load_b128 v[2:5] /*v[258:261]*/, v109 offset:608
	ds_load_b128 v[6:9] /*v[262:265]*/, v109 offset:624
	;; [unrolled: 1-line block ×20, first 2 shown]
	s_set_vgpr_msb 0                        ;  msbs: dst=0 src0=0 src1=0 src2=0
	v_ashrrev_i32_e32 v107, 31, v106
	s_set_vgpr_msb 64                       ;  msbs: dst=1 src0=0 src1=0 src2=0
	s_clause 0x1
	scratch_load_b128 v[82:85] /*v[338:341]*/, off, off offset:448
	scratch_load_b64 v[122:123] /*v[378:379]*/, off, off offset:8
	ds_load_b128 v[86:89] /*v[342:345]*/, v109 offset:848
	ds_load_b128 v[90:93] /*v[346:349]*/, v109 offset:864
	s_clause 0x2
	scratch_load_b128 v[94:97] /*v[350:353]*/, off, off offset:464
	scratch_load_b128 v[98:101] /*v[354:357]*/, off, off offset:480
	;; [unrolled: 1-line block ×3, first 2 shown]
	ds_load_b128 v[106:109] /*v[362:365]*/, v109 offset:880
	ds_load_b128 v[110:113] /*v[366:369]*/, v109 offset:896
	;; [unrolled: 1-line block ×4, first 2 shown]
	s_set_vgpr_msb 0                        ;  msbs: dst=0 src0=0 src1=0 src2=0
	v_dual_ashrrev_i32 v7, 31, v6 :: v_dual_ashrrev_i32 v9, 31, v8
	v_dual_ashrrev_i32 v11, 31, v10 :: v_dual_ashrrev_i32 v13, 31, v12
	;; [unrolled: 1-line block ×3, first 2 shown]
	s_wait_dscnt 0xf
	s_set_vgpr_msb 0x41                     ;  msbs: dst=1 src0=1 src1=0 src2=0
	v_dual_mov_b32 v124 /*v380*/, v45 /*v301*/ :: v_dual_mov_b32 v125 /*v381*/, v44 /*v300*/
	s_wait_dscnt 0xc
	v_dual_mov_b32 v126 /*v382*/, v57 /*v313*/ :: v_dual_mov_b32 v127 /*v383*/, v56 /*v312*/
	s_wait_dscnt 0xb
	;; [unrolled: 2-line block ×3, first 2 shown]
	v_dual_mov_b32 v130 /*v386*/, v73 /*v329*/ :: v_dual_mov_b32 v131 /*v387*/, v72 /*v328*/
	s_set_vgpr_msb 0                        ;  msbs: dst=0 src0=0 src1=0 src2=0
	v_dual_ashrrev_i32 v19, 31, v18 :: v_dual_ashrrev_i32 v21, 31, v20
	v_dual_ashrrev_i32 v23, 31, v22 :: v_dual_ashrrev_i32 v25, 31, v24
	;; [unrolled: 1-line block ×22, first 2 shown]
	s_mov_b32 s0, exec_lo
	s_wait_loadcnt 0x1f
	v_dual_mul_f32 v109, v238, v131 :: v_dual_mul_f32 v111, v240, v133
	v_dual_mul_f32 v113, v239, v131 :: v_dual_mul_f32 v115, v241, v133
	s_wait_loadcnt 0x1e
	s_delay_alu instid0(VALU_DEP_2) | instskip(NEXT) | instid1(VALU_DEP_3)
	v_dual_mul_f32 v117, v242, v135 :: v_dual_fmac_f32 v109, v239, v130
	v_dual_fmac_f32 v111, v241, v132 :: v_dual_mul_f32 v119, v244, v137
	v_dual_mul_f32 v121, v243, v135 :: v_dual_mul_f32 v123, v245, v137
	s_wait_loadcnt 0x1d
	v_dual_mul_f32 v125, v246, v139 :: v_dual_mul_f32 v127, v248, v141
	v_dual_mul_f32 v129, v247, v139 :: v_dual_mul_f32 v131, v249, v141
	s_wait_loadcnt 0x1c
	v_dual_mul_f32 v133, v250, v143 :: v_dual_mul_f32 v139, v253, v145
	s_wait_loadcnt 0x1b
	v_dual_mul_f32 v141, v254, v147 :: v_dual_mul_f32 v147, v255, v147
	v_dual_fma_f32 v113, v238, v130, -v113 :: v_dual_fma_f32 v115, v240, v132, -v115
	v_dual_add_f32 v109, 0, v109 :: v_dual_fmac_f32 v117, v243, v134
	s_delay_alu instid0(VALU_DEP_2) | instskip(NEXT) | instid1(VALU_DEP_2)
	v_dual_fma_f32 v121, v242, v134, -v121 :: v_dual_add_f32 v113, 0, v113
	v_dual_fmac_f32 v125, v247, v138 :: v_dual_add_f32 v109, v109, v111
	v_dual_fmac_f32 v127, v249, v140 :: v_dual_mul_f32 v135, v252, v145
	v_mul_f32_e32 v137, v251, v143
	s_delay_alu instid0(VALU_DEP_4) | instskip(SKIP_1) | instid1(VALU_DEP_3)
	v_dual_add_f32 v111, v113, v115 :: v_dual_fma_f32 v115, v244, v136, -v123
	v_fmac_f32_e32 v119, v245, v136
	v_dual_add_f32 v109, v109, v117 :: v_dual_fma_f32 v123, v250, v142, -v137
	s_delay_alu instid0(VALU_DEP_3) | instskip(SKIP_1) | instid1(VALU_DEP_3)
	v_dual_add_f32 v111, v111, v121 :: v_dual_fma_f32 v121, v246, v138, -v129
	v_fmac_f32_e32 v135, v253, v144
	v_dual_add_f32 v109, v109, v119 :: v_dual_fma_f32 v119, v248, v140, -v131
	s_delay_alu instid0(VALU_DEP_3)
	v_add_f32_e32 v111, v111, v115
	s_wait_loadcnt 0x1a
	s_set_vgpr_msb 1                        ;  msbs: dst=0 src0=1 src1=0 src2=0
	v_dual_mul_f32 v143, v0 /*v256*/, v149 :: v_dual_mul_f32 v145, v2 /*v258*/, v151
	s_set_vgpr_msb 0                        ;  msbs: dst=0 src0=0 src1=0 src2=0
	v_dual_add_f32 v109, v109, v125 :: v_dual_fmac_f32 v133, v251, v142
	v_add_f32_e32 v111, v111, v121
	s_set_vgpr_msb 1                        ;  msbs: dst=0 src0=1 src1=0 src2=0
	v_dual_mul_f32 v149, v1 /*v257*/, v149 :: v_dual_mul_f32 v151, v3 /*v259*/, v151
	s_set_vgpr_msb 0                        ;  msbs: dst=0 src0=0 src1=0 src2=0
	v_dual_add_f32 v109, v109, v127 :: v_dual_fma_f32 v125, v252, v144, -v139
	v_dual_add_f32 v111, v111, v119 :: v_dual_fma_f32 v127, v254, v146, -v147
	s_set_vgpr_msb 1                        ;  msbs: dst=0 src0=1 src1=0 src2=0
	v_dual_fmac_f32 v143, v1 /*v257*/, v148 :: v_dual_fma_f32 v129, v0 /*v256*/, v148, -v149
	s_set_vgpr_msb 0                        ;  msbs: dst=0 src0=0 src1=0 src2=0
	s_delay_alu instid0(VALU_DEP_2)
	v_dual_add_f32 v109, v109, v133 :: v_dual_add_f32 v111, v111, v123
	v_fmac_f32_e32 v141, v255, v146
	s_wait_loadcnt 0x19
	s_set_vgpr_msb 0x41                     ;  msbs: dst=1 src0=1 src1=0 src2=0
	v_dual_mul_f32 v132 /*v388*/, v4 /*v260*/, v153 :: v_dual_mul_f32 v133 /*v389*/, v6 /*v262*/, v155
	s_set_vgpr_msb 0                        ;  msbs: dst=0 src0=0 src1=0 src2=0
	v_add_f32_e32 v109, v109, v135
	s_set_vgpr_msb 1                        ;  msbs: dst=0 src0=1 src1=0 src2=0
	v_dual_mul_f32 v153, v5 /*v261*/, v153 :: v_dual_mul_f32 v155, v7 /*v263*/, v155
	v_fmac_f32_e32 v145, v3 /*v259*/, v150
	s_wait_loadcnt_dscnt 0xd07
	s_set_vgpr_msb 0x41                     ;  msbs: dst=1 src0=1 src1=0 src2=0
	v_dual_mul_f32 v158 /*v414*/, v76 /*v332*/, v205 :: v_dual_fmac_f32 v132 /*v388*/, v5 /*v261*/, v152
	s_set_vgpr_msb 0                        ;  msbs: dst=0 src0=0 src1=0 src2=0
	v_add_f32_e32 v109, v109, v141
	v_add_f32_e32 v111, v111, v125
	s_set_vgpr_msb 1                        ;  msbs: dst=0 src0=1 src1=0 src2=0
	v_dual_fma_f32 v131, v2 /*v258*/, v150, -v151 :: v_dual_fma_f32 v133, v4 /*v260*/, v152, -v153
	s_set_vgpr_msb 0x41                     ;  msbs: dst=1 src0=1 src1=0 src2=0
	v_dual_mul_f32 v134 /*v390*/, v8 /*v264*/, v157 :: v_dual_mul_f32 v135 /*v391*/, v10 /*v266*/, v159
	s_set_vgpr_msb 0                        ;  msbs: dst=0 src0=0 src1=0 src2=0
	v_add_f32_e32 v109, v109, v143
	v_add_f32_e32 v111, v111, v127
	s_wait_loadcnt_dscnt 0x802
	s_set_vgpr_msb 1                        ;  msbs: dst=0 src0=1 src1=0 src2=0
	v_mul_f32_e32 v127, v112 /*v368*/, v225
	s_set_vgpr_msb 0x41                     ;  msbs: dst=1 src0=1 src1=0 src2=0
	v_dual_fmac_f32 v133 /*v389*/, v7 /*v263*/, v154 :: v_dual_fmac_f32 v134 /*v390*/, v9 /*v265*/, v156
	s_set_vgpr_msb 0                        ;  msbs: dst=0 src0=0 src1=0 src2=0
	v_add_f32_e32 v109, v109, v145
	s_set_vgpr_msb 0x41                     ;  msbs: dst=1 src0=1 src1=0 src2=0
	v_dual_mul_f32 v136 /*v392*/, v12 /*v268*/, v161 :: v_dual_mul_f32 v137 /*v393*/, v14 /*v270*/, v163
	v_dual_fmac_f32 v135 /*v391*/, v11 /*v267*/, v158 :: v_dual_mul_f32 v138 /*v394*/, v16 /*v272*/, v165
	v_mul_f32_e32 v139 /*v395*/, v18 /*v274*/, v167
	s_set_vgpr_msb 4                        ;  msbs: dst=0 src0=0 src1=1 src2=0
	v_add_f32_e32 v109, v109, v132 /*v388*/
	s_set_vgpr_msb 0x41                     ;  msbs: dst=1 src0=1 src1=0 src2=0
	v_dual_fmac_f32 v136 /*v392*/, v13 /*v269*/, v160 :: v_dual_fmac_f32 v137 /*v393*/, v15 /*v271*/, v162
	v_dual_fmac_f32 v138 /*v394*/, v17 /*v273*/, v164 :: v_dual_mul_f32 v140 /*v396*/, v20 /*v276*/, v169
	v_mul_f32_e32 v141 /*v397*/, v22 /*v278*/, v171
	s_set_vgpr_msb 4                        ;  msbs: dst=0 src0=0 src1=1 src2=0
	v_add_f32_e32 v109, v109, v133 /*v389*/
	s_set_vgpr_msb 0x41                     ;  msbs: dst=1 src0=1 src1=0 src2=0
	v_dual_fmac_f32 v139 /*v395*/, v19 /*v275*/, v166 :: v_dual_mul_f32 v142 /*v398*/, v24 /*v280*/, v173
	v_dual_mul_f32 v143 /*v399*/, v26 /*v282*/, v175 :: v_dual_fmac_f32 v140 /*v396*/, v21 /*v277*/, v168
	s_set_vgpr_msb 4                        ;  msbs: dst=0 src0=0 src1=1 src2=0
	v_add_f32_e32 v109, v109, v134 /*v390*/
	s_set_vgpr_msb 0x41                     ;  msbs: dst=1 src0=1 src1=0 src2=0
	v_dual_fmac_f32 v141 /*v397*/, v23 /*v279*/, v170 :: v_dual_fmac_f32 v142 /*v398*/, v25 /*v281*/, v172
	v_dual_mul_f32 v144 /*v400*/, v28 /*v284*/, v177 :: v_dual_mul_f32 v145 /*v401*/, v30 /*v286*/, v179
	s_set_vgpr_msb 4                        ;  msbs: dst=0 src0=0 src1=1 src2=0
	v_add_f32_e32 v109, v109, v135 /*v391*/
	s_set_vgpr_msb 0x41                     ;  msbs: dst=1 src0=1 src1=0 src2=0
	v_dual_fmac_f32 v143 /*v399*/, v27 /*v283*/, v174 :: v_dual_mul_f32 v146 /*v402*/, v32 /*v288*/, v181
	v_dual_mul_f32 v147 /*v403*/, v34 /*v290*/, v183 :: v_dual_fmac_f32 v144 /*v400*/, v29 /*v285*/, v176
	s_set_vgpr_msb 4                        ;  msbs: dst=0 src0=0 src1=1 src2=0
	v_add_f32_e32 v109, v109, v136 /*v392*/
	s_set_vgpr_msb 0x41                     ;  msbs: dst=1 src0=1 src1=0 src2=0
	v_dual_fmac_f32 v145 /*v401*/, v31 /*v287*/, v178 :: v_dual_fmac_f32 v146 /*v402*/, v33 /*v289*/, v180
	v_dual_mul_f32 v148 /*v404*/, v36 /*v292*/, v185 :: v_dual_mul_f32 v149 /*v405*/, v46 /*v302*/, v187
	;; [unrolled: 10-line block ×4, first 2 shown]
	s_set_vgpr_msb 4                        ;  msbs: dst=0 src0=0 src1=1 src2=0
	v_add_f32_e32 v109, v109, v141 /*v397*/
	s_set_vgpr_msb 0x41                     ;  msbs: dst=1 src0=1 src1=0 src2=0
	v_fmac_f32_e32 v155 /*v411*/, v67 /*v323*/, v198
	s_set_vgpr_msb 1                        ;  msbs: dst=0 src0=1 src1=0 src2=0
	v_dual_mul_f32 v173, v25 /*v281*/, v173 :: v_dual_mul_f32 v130, v78 /*v334*/, v207
	s_set_vgpr_msb 0x41                     ;  msbs: dst=1 src0=1 src1=0 src2=0
	v_fmac_f32_e32 v156 /*v412*/, v69 /*v325*/, v200
	s_set_vgpr_msb 4                        ;  msbs: dst=0 src0=0 src1=1 src2=0
	v_add_f32_e32 v109, v109, v142 /*v398*/
	s_set_vgpr_msb 0x41                     ;  msbs: dst=1 src0=1 src1=0 src2=0
	v_dual_fmac_f32 v157 /*v413*/, v75 /*v331*/, v202 :: v_dual_fmac_f32 v158 /*v414*/, v77 /*v333*/, v204
	s_set_vgpr_msb 1                        ;  msbs: dst=0 src0=1 src1=0 src2=0
	v_dual_mul_f32 v132, v80 /*v336*/, v209 :: v_dual_mul_f32 v113, v86 /*v342*/, v211
	s_set_vgpr_msb 4                        ;  msbs: dst=0 src0=0 src1=1 src2=0
	v_add_f32_e32 v109, v109, v143 /*v399*/
	s_set_vgpr_msb 1                        ;  msbs: dst=0 src0=1 src1=0 src2=0
	v_dual_fmac_f32 v130, v79 /*v335*/, v206 :: v_dual_mul_f32 v157, v9 /*v265*/, v157
	v_dual_mul_f32 v159, v11 /*v267*/, v159 :: v_dual_fmac_f32 v132, v81 /*v337*/, v208
	s_set_vgpr_msb 4                        ;  msbs: dst=0 src0=0 src1=1 src2=0
	v_add_f32_e32 v109, v109, v144 /*v400*/
	s_set_vgpr_msb 1                        ;  msbs: dst=0 src0=1 src1=0 src2=0
	v_dual_mul_f32 v117, v88 /*v344*/, v213 :: v_dual_mul_f32 v115, v90 /*v346*/, v215
	v_dual_fmac_f32 v113, v87 /*v343*/, v210 :: v_dual_mul_f32 v121, v92 /*v348*/, v217
	v_mul_f32_e32 v119, v106 /*v362*/, v219
	s_set_vgpr_msb 4                        ;  msbs: dst=0 src0=0 src1=1 src2=0
	v_add_f32_e32 v109, v109, v145 /*v401*/
	s_set_vgpr_msb 1                        ;  msbs: dst=0 src0=1 src1=0 src2=0
	v_dual_mul_f32 v161, v13 /*v269*/, v161 :: v_dual_mul_f32 v163, v15 /*v271*/, v163
	v_dual_fmac_f32 v115, v91 /*v347*/, v214 :: v_dual_fmac_f32 v121, v93 /*v349*/, v216
	s_set_vgpr_msb 4                        ;  msbs: dst=0 src0=0 src1=1 src2=0
	v_add_f32_e32 v109, v109, v146 /*v402*/
	s_set_vgpr_msb 1                        ;  msbs: dst=0 src0=1 src1=0 src2=0
	v_dual_mul_f32 v165, v17 /*v273*/, v165 :: v_dual_mul_f32 v167, v19 /*v275*/, v167
	v_dual_mul_f32 v123, v108 /*v364*/, v221 :: v_dual_mul_f32 v125, v110 /*v366*/, v223
	s_set_vgpr_msb 4                        ;  msbs: dst=0 src0=0 src1=1 src2=0
	v_add_f32_e32 v109, v109, v147 /*v403*/
	s_set_vgpr_msb 1                        ;  msbs: dst=0 src0=1 src1=0 src2=0
	v_dual_fma_f32 v136, v14 /*v270*/, v162, -v163 :: v_dual_fma_f32 v138, v16 /*v272*/, v164, -v165
	v_fmac_f32_e32 v119, v107 /*v363*/, v218
	v_dual_fmac_f32 v123, v109 /*v365*/, v220 :: v_dual_fmac_f32 v125, v111 /*v367*/, v222
	s_set_vgpr_msb 4                        ;  msbs: dst=0 src0=0 src1=1 src2=0
	v_add_f32_e32 v109, v109, v148 /*v404*/
	s_set_vgpr_msb 1                        ;  msbs: dst=0 src0=1 src1=0 src2=0
	v_dual_mul_f32 v169, v21 /*v277*/, v169 :: v_dual_mul_f32 v171, v23 /*v279*/, v171
	s_wait_loadcnt_dscnt 0x600
	v_dual_mul_f32 v140, v118 /*v374*/, v231 :: v_dual_mul_f32 v141, v120 /*v376*/, v233
	s_set_vgpr_msb 4                        ;  msbs: dst=0 src0=0 src1=1 src2=0
	v_add_f32_e32 v109, v109, v149 /*v405*/
	s_set_vgpr_msb 1                        ;  msbs: dst=0 src0=1 src1=0 src2=0
	v_dual_fma_f32 v139, v20 /*v276*/, v168, -v169 :: v_dual_fma_f32 v142, v22 /*v278*/, v170, -v171
	v_fma_f32 v143, v24 /*v280*/, v172, -v173
	v_mul_f32_e32 v137, v116 /*v372*/, v229
	s_set_vgpr_msb 4                        ;  msbs: dst=0 src0=0 src1=1 src2=0
	v_add_f32_e32 v109, v109, v150 /*v406*/
	s_set_vgpr_msb 1                        ;  msbs: dst=0 src0=1 src1=0 src2=0
	v_mul_f32_e32 v134, v27 /*v283*/, v175
	v_dual_fmac_f32 v140, v119 /*v375*/, v230 :: v_dual_fmac_f32 v117, v89 /*v345*/, v212
	v_mul_f32_e32 v135, v29 /*v285*/, v177
	s_set_vgpr_msb 4                        ;  msbs: dst=0 src0=0 src1=1 src2=0
	v_add_f32_e32 v109, v109, v151 /*v407*/
	s_set_vgpr_msb 1                        ;  msbs: dst=0 src0=1 src1=0 src2=0
	v_dual_fmac_f32 v137, v117 /*v373*/, v228 :: v_dual_fma_f32 v134, v26 /*v282*/, v174, -v134
	v_fmac_f32_e32 v127, v113 /*v369*/, v224
	v_fma_f32 v135, v28 /*v284*/, v176, -v135
	s_set_vgpr_msb 4                        ;  msbs: dst=0 src0=0 src1=1 src2=0
	v_add_f32_e32 v109, v109, v152 /*v408*/
	s_delay_alu instid0(VALU_DEP_1) | instskip(NEXT) | instid1(VALU_DEP_1)
	v_add_f32_e32 v109, v109, v153 /*v409*/
	v_add_f32_e32 v109, v109, v154 /*v410*/
	s_delay_alu instid0(VALU_DEP_1) | instskip(NEXT) | instid1(VALU_DEP_1)
	v_add_f32_e32 v109, v109, v155 /*v411*/
	;; [unrolled: 3-line block ×3, first 2 shown]
	v_add_f32_e32 v109, v109, v158 /*v414*/
	s_set_vgpr_msb 0                        ;  msbs: dst=0 src0=0 src1=0 src2=0
	v_add_f32_e32 v111, v111, v129
	s_set_vgpr_msb 1                        ;  msbs: dst=0 src0=1 src1=0 src2=0
	v_mul_f32_e32 v129, v114 /*v370*/, v227
	s_set_vgpr_msb 0                        ;  msbs: dst=0 src0=0 src1=0 src2=0
	s_delay_alu instid0(VALU_DEP_2)
	v_dual_add_f32 v109, v109, v130 :: v_dual_add_f32 v111, v111, v131
	s_set_vgpr_msb 1                        ;  msbs: dst=0 src0=1 src1=0 src2=0
	v_fma_f32 v131, v6 /*v262*/, v154, -v155
	v_dual_fmac_f32 v129, v115 /*v371*/, v226 :: v_dual_mul_f32 v130, v109 /*v365*/, v221
	s_set_vgpr_msb 0                        ;  msbs: dst=0 src0=0 src1=0 src2=0
	v_dual_add_f32 v109, v109, v132 :: v_dual_add_f32 v111, v111, v133
	s_set_vgpr_msb 1                        ;  msbs: dst=0 src0=1 src1=0 src2=0
	v_dual_fma_f32 v133, v8 /*v264*/, v156, -v157 :: v_dual_mul_f32 v132, v111 /*v367*/, v223
	v_fma_f32 v130, v108 /*v364*/, v220, -v130
	s_set_vgpr_msb 0                        ;  msbs: dst=0 src0=0 src1=0 src2=0
	v_dual_add_f32 v109, v109, v113 :: v_dual_add_f32 v111, v111, v131
	s_set_vgpr_msb 1                        ;  msbs: dst=0 src0=1 src1=0 src2=0
	v_fma_f32 v131, v10 /*v266*/, v158, -v159
	v_dual_fma_f32 v132, v110 /*v366*/, v222, -v132 :: v_dual_mul_f32 v113, v113 /*v369*/, v225
	s_set_vgpr_msb 0                        ;  msbs: dst=0 src0=0 src1=0 src2=0
	v_add_f32_e32 v109, v109, v117
	v_add_f32_e32 v111, v111, v133
	s_set_vgpr_msb 1                        ;  msbs: dst=0 src0=1 src1=0 src2=0
	v_dual_fma_f32 v133, v12 /*v268*/, v160, -v161 :: v_dual_mul_f32 v117, v115 /*v371*/, v227
	v_fma_f32 v113, v112 /*v368*/, v224, -v113
	s_set_vgpr_msb 0                        ;  msbs: dst=0 src0=0 src1=0 src2=0
	v_add_f32_e32 v109, v109, v115
	v_add_f32_e32 v111, v111, v131
	s_wait_loadcnt 0x5
	s_set_vgpr_msb 1                        ;  msbs: dst=0 src0=1 src1=0 src2=0
	v_dual_mul_f32 v131, v38 /*v294*/, v235 :: v_dual_mul_f32 v115, v117 /*v373*/, v229
	v_fma_f32 v117, v114 /*v370*/, v226, -v117
	s_set_vgpr_msb 0                        ;  msbs: dst=0 src0=0 src1=0 src2=0
	v_add_f32_e32 v109, v109, v121
	v_add_f32_e32 v111, v111, v133
	s_set_vgpr_msb 1                        ;  msbs: dst=0 src0=1 src1=0 src2=0
	v_dual_mul_f32 v133, v40 /*v296*/, v237 :: v_dual_fmac_f32 v141, v121 /*v377*/, v232
	v_fmac_f32_e32 v131, v39 /*v295*/, v234
	s_set_vgpr_msb 0                        ;  msbs: dst=0 src0=0 src1=0 src2=0
	v_dual_add_f32 v109, v109, v119 :: v_dual_add_f32 v111, v111, v136
	s_set_vgpr_msb 1                        ;  msbs: dst=0 src0=1 src1=0 src2=0
	v_dual_fma_f32 v136, v18 /*v274*/, v166, -v167 :: v_dual_mul_f32 v121, v119 /*v375*/, v231
	v_mul_f32_e32 v119, v121 /*v377*/, v233
	s_set_vgpr_msb 0                        ;  msbs: dst=0 src0=0 src1=0 src2=0
	v_dual_add_f32 v109, v109, v123 :: v_dual_add_f32 v111, v111, v138
	s_set_vgpr_msb 1                        ;  msbs: dst=0 src0=1 src1=0 src2=0
	v_mul_f32_e32 v138, v31 /*v287*/, v179
	v_dual_mul_f32 v123, v39 /*v295*/, v235 :: v_dual_fmac_f32 v133, v41 /*v297*/, v236
	s_set_vgpr_msb 0                        ;  msbs: dst=0 src0=0 src1=0 src2=0
	v_dual_add_f32 v109, v109, v125 :: v_dual_add_f32 v111, v111, v136
	s_set_vgpr_msb 1                        ;  msbs: dst=0 src0=1 src1=0 src2=0
	v_dual_mul_f32 v136, v33 /*v289*/, v181 :: v_dual_fma_f32 v138, v30 /*v286*/, v178, -v138
	v_mul_f32_e32 v125, v41 /*v297*/, v237
	s_set_vgpr_msb 0                        ;  msbs: dst=0 src0=0 src1=0 src2=0
	v_add_f32_e32 v109, v109, v127
	v_add_f32_e32 v111, v111, v139
	s_set_vgpr_msb 1                        ;  msbs: dst=0 src0=1 src1=0 src2=0
	v_dual_mul_f32 v139, v35 /*v291*/, v183 :: v_dual_fma_f32 v136, v32 /*v288*/, v180, -v136
	s_set_vgpr_msb 0                        ;  msbs: dst=0 src0=0 src1=0 src2=0
	v_dual_ashrrev_i32 v127, 31, v126 :: v_dual_add_f32 v109, v109, v129
	v_add_f32_e32 v111, v111, v142
	s_set_vgpr_msb 1                        ;  msbs: dst=0 src0=1 src1=0 src2=0
	v_dual_mul_f32 v142, v37 /*v293*/, v185 :: v_dual_fma_f32 v139, v34 /*v290*/, v182, -v139
	s_set_vgpr_msb 0                        ;  msbs: dst=0 src0=0 src1=0 src2=0
	v_dual_ashrrev_i32 v129, 31, v128 :: v_dual_add_f32 v109, v109, v137
	v_add_f32_e32 v111, v111, v143
	s_set_vgpr_msb 1                        ;  msbs: dst=0 src0=1 src1=0 src2=0
	v_dual_mul_f32 v143, v47 /*v303*/, v187 :: v_dual_fma_f32 v142, v36 /*v292*/, v184, -v142
	s_set_vgpr_msb 0                        ;  msbs: dst=0 src0=0 src1=0 src2=0
	s_delay_alu instid0(VALU_DEP_2) | instskip(SKIP_1) | instid1(VALU_DEP_2)
	v_dual_add_f32 v109, v109, v140 :: v_dual_add_f32 v111, v111, v134
	s_set_vgpr_msb 1                        ;  msbs: dst=0 src0=1 src1=0 src2=0
	v_dual_mul_f32 v134, v49 /*v305*/, v189 :: v_dual_fma_f32 v143, v46 /*v302*/, v186, -v143
	s_wait_loadcnt 0x2
	v_mov_b32_e32 v140, v97 /*v353*/
	s_set_vgpr_msb 0                        ;  msbs: dst=0 src0=0 src1=0 src2=0
	v_add_f32_e32 v111, v111, v135
	s_set_vgpr_msb 1                        ;  msbs: dst=0 src0=1 src1=0 src2=0
	v_dual_mul_f32 v135, v51 /*v307*/, v191 :: v_dual_fma_f32 v134, v48 /*v304*/, v188, -v134
	s_set_vgpr_msb 0                        ;  msbs: dst=0 src0=0 src1=0 src2=0
	s_delay_alu instid0(VALU_DEP_2) | instskip(SKIP_1) | instid1(VALU_DEP_2)
	v_add_f32_e32 v111, v111, v138
	s_set_vgpr_msb 1                        ;  msbs: dst=0 src0=1 src1=0 src2=0
	v_dual_mul_f32 v138, v53 /*v309*/, v193 :: v_dual_fma_f32 v135, v50 /*v306*/, v190, -v135
	s_set_vgpr_msb 0                        ;  msbs: dst=0 src0=0 src1=0 src2=0
	s_delay_alu instid0(VALU_DEP_2) | instskip(SKIP_1) | instid1(VALU_DEP_2)
	;; [unrolled: 5-line block ×10, first 2 shown]
	v_add_f32_e32 v111, v111, v139
	s_set_vgpr_msb 1                        ;  msbs: dst=0 src0=1 src1=0 src2=0
	v_dual_mul_f32 v139, v87 /*v343*/, v211 :: v_dual_fma_f32 v136, v80 /*v336*/, v208, -v136
	s_set_vgpr_msb 0                        ;  msbs: dst=0 src0=0 src1=0 src2=0
	s_delay_alu instid0(VALU_DEP_2) | instskip(SKIP_3) | instid1(VALU_DEP_2)
	v_add_f32_e32 v111, v111, v142
	s_set_vgpr_msb 1                        ;  msbs: dst=0 src0=1 src1=0 src2=0
	v_mul_f32_e32 v142, v89 /*v345*/, v213
	s_set_vgpr_msb 0                        ;  msbs: dst=0 src0=0 src1=0 src2=0
	v_add_f32_e32 v111, v111, v143
	s_set_vgpr_msb 1                        ;  msbs: dst=0 src0=1 src1=0 src2=0
	v_mul_f32_e32 v143, v91 /*v347*/, v215
	s_set_vgpr_msb 0                        ;  msbs: dst=0 src0=0 src1=0 src2=0
	s_delay_alu instid0(VALU_DEP_2) | instskip(SKIP_3) | instid1(VALU_DEP_2)
	v_add_f32_e32 v111, v111, v134
	s_set_vgpr_msb 1                        ;  msbs: dst=0 src0=1 src1=0 src2=0
	v_mul_f32_e32 v134, v93 /*v349*/, v217
	s_set_vgpr_msb 0                        ;  msbs: dst=0 src0=0 src1=0 src2=0
	v_add_f32_e32 v111, v111, v135
	s_set_vgpr_msb 1                        ;  msbs: dst=0 src0=1 src1=0 src2=0
	s_delay_alu instid0(VALU_DEP_2) | instskip(SKIP_1) | instid1(VALU_DEP_2)
	v_dual_mul_f32 v135, v107 /*v363*/, v219 :: v_dual_fma_f32 v134, v92 /*v348*/, v216, -v134
	s_set_vgpr_msb 0                        ;  msbs: dst=0 src0=0 src1=0 src2=0
	v_add_f32_e32 v111, v111, v138
	s_set_vgpr_msb 1                        ;  msbs: dst=0 src0=1 src1=0 src2=0
	v_fma_f32 v138, v86 /*v342*/, v210, -v139
	v_fma_f32 v135, v106 /*v362*/, v218, -v135
	s_set_vgpr_msb 0                        ;  msbs: dst=0 src0=0 src1=0 src2=0
	v_add_f32_e32 v111, v111, v136
	s_set_vgpr_msb 1                        ;  msbs: dst=0 src0=1 src1=0 src2=0
	v_fma_f32 v136, v88 /*v344*/, v212, -v142
	s_set_vgpr_msb 0                        ;  msbs: dst=0 src0=0 src1=0 src2=0
	s_delay_alu instid0(VALU_DEP_2)
	v_add_f32_e32 v111, v111, v138
	s_set_vgpr_msb 1                        ;  msbs: dst=0 src0=1 src1=0 src2=0
	v_fma_f32 v138, v90 /*v346*/, v214, -v143
	s_set_vgpr_msb 0                        ;  msbs: dst=0 src0=0 src1=0 src2=0
	v_dual_add_f32 v143, v109, v141 :: v_dual_ashrrev_i32 v109, 31, v108
	v_add_f32_e32 v111, v111, v136
	s_set_vgpr_msb 1                        ;  msbs: dst=0 src0=1 src1=0 src2=0
	v_mov_b32_e32 v136, v85 /*v341*/
	s_set_vgpr_msb 0                        ;  msbs: dst=0 src0=0 src1=0 src2=0
	s_delay_alu instid0(VALU_DEP_2) | instskip(SKIP_1) | instid1(VALU_DEP_2)
	v_add_f32_e32 v111, v111, v138
	s_set_vgpr_msb 1                        ;  msbs: dst=0 src0=1 src1=0 src2=0
	v_pk_mul_f32 v[136:137], v[124:125] /*v[380:381]*/, v[136:137] op_sel_hi:[1,0]
	s_set_vgpr_msb 5                        ;  msbs: dst=0 src0=1 src1=1 src2=0
	v_pk_mul_f32 v[138:139], v[54:55] /*v[310:311]*/, v[94:95] /*v[350:351]*/ op_sel:[1,1] op_sel_hi:[0,1]
	s_set_vgpr_msb 0                        ;  msbs: dst=0 src0=0 src1=0 src2=0
	v_add_f32_e32 v111, v111, v134
	s_delay_alu instid0(VALU_DEP_1) | instskip(SKIP_3) | instid1(VALU_DEP_2)
	v_add_f32_e32 v111, v111, v135
	s_set_vgpr_msb 5                        ;  msbs: dst=0 src0=1 src1=1 src2=0
	v_pk_mul_f32 v[134:135], v[42:43] /*v[298:299]*/, v[82:83] /*v[338:339]*/ op_sel:[1,1] op_sel_hi:[0,1]
	s_set_vgpr_msb 0                        ;  msbs: dst=0 src0=0 src1=0 src2=0
	v_add_f32_e32 v111, v111, v130
	s_set_vgpr_msb 1                        ;  msbs: dst=0 src0=1 src1=0 src2=0
	v_fma_f32 v130, v38 /*v294*/, v234, -v123
	s_set_vgpr_msb 5                        ;  msbs: dst=0 src0=1 src1=1 src2=0
	v_pk_fma_f32 v[144:145], v[42:43] /*v[298:299]*/, v[82:83] /*v[338:339]*/, v[134:135] op_sel_hi:[1,0,1]
	v_pk_fma_f32 v[134:135], v[42:43] /*v[298:299]*/, v[82:83] /*v[338:339]*/, v[134:135] neg_lo:[0,0,1] neg_hi:[0,0,1]
	s_set_vgpr_msb 1                        ;  msbs: dst=0 src0=1 src1=0 src2=0
	v_pk_mul_f32 v[140:141], v[126:127] /*v[382:383]*/, v[140:141] op_sel_hi:[1,0]
	s_set_vgpr_msb 0                        ;  msbs: dst=0 src0=0 src1=0 src2=0
	v_add_f32_e32 v111, v111, v132
	s_set_vgpr_msb 1                        ;  msbs: dst=0 src0=1 src1=0 src2=0
	v_fma_f32 v132, v40 /*v296*/, v236, -v125
	s_set_vgpr_msb 0                        ;  msbs: dst=0 src0=0 src1=0 src2=0
	v_mov_b32_e32 v135, v145
	s_set_vgpr_msb 5                        ;  msbs: dst=0 src0=1 src1=1 src2=0
	v_pk_fma_f32 v[144:145], v[44:45] /*v[300:301]*/, v[84:85] /*v[340:341]*/, v[136:137] op_sel_hi:[1,0,1]
	v_pk_fma_f32 v[136:137], v[44:45] /*v[300:301]*/, v[84:85] /*v[340:341]*/, v[136:137] neg_lo:[0,0,1] neg_hi:[0,0,1]
	s_set_vgpr_msb 0                        ;  msbs: dst=0 src0=0 src1=0 src2=0
	v_add_f32_e32 v111, v111, v113
	s_set_vgpr_msb 1                        ;  msbs: dst=0 src0=1 src1=0 src2=0
	v_dual_fma_f32 v113, v116 /*v372*/, v228, -v115 :: v_dual_fma_f32 v115, v118 /*v374*/, v230, -v121
	s_set_vgpr_msb 0                        ;  msbs: dst=0 src0=0 src1=0 src2=0
	v_dual_mov_b32 v137, v145 :: v_dual_ashrrev_i32 v121, 31, v120
	v_dual_add_f32 v111, v111, v117 :: v_dual_ashrrev_i32 v117, 31, v116
	v_dual_ashrrev_i32 v123, 31, v122 :: v_dual_ashrrev_i32 v125, 31, v124
	s_delay_alu instid0(VALU_DEP_2) | instskip(SKIP_3) | instid1(VALU_DEP_2)
	v_add_f32_e32 v111, v111, v113
	s_set_vgpr_msb 1                        ;  msbs: dst=0 src0=1 src1=0 src2=0
	v_dual_fma_f32 v113, v120 /*v376*/, v232, -v119 :: v_dual_ashrrev_i32 v119, 31, v118
	s_set_vgpr_msb 0                        ;  msbs: dst=0 src0=0 src1=0 src2=0
	v_dual_add_f32 v111, v111, v115 :: v_dual_ashrrev_i32 v115, 31, v114
	s_delay_alu instid0(VALU_DEP_1) | instskip(SKIP_1) | instid1(VALU_DEP_2)
	v_dual_add_f32 v142, v111, v113 :: v_dual_ashrrev_i32 v111, 31, v110
	v_ashrrev_i32_e32 v113, 31, v112
	v_pk_add_f32 v[130:131], v[142:143], v[130:131]
	s_wait_loadcnt 0x1
	s_set_vgpr_msb 5                        ;  msbs: dst=0 src0=1 src1=1 src2=0
	v_pk_mul_f32 v[142:143], v[58:59] /*v[314:315]*/, v[98:99] /*v[354:355]*/ op_sel:[1,1] op_sel_hi:[0,1]
	s_set_vgpr_msb 0                        ;  msbs: dst=0 src0=0 src1=0 src2=0
	v_pk_add_f32 v[130:131], v[130:131], v[132:133]
	s_set_vgpr_msb 5                        ;  msbs: dst=0 src0=1 src1=1 src2=0
	v_pk_fma_f32 v[132:133], v[54:55] /*v[310:311]*/, v[94:95] /*v[350:351]*/, v[138:139] op_sel_hi:[1,0,1]
	v_mov_b32_e32 v132, v101 /*v357*/
	s_set_vgpr_msb 0                        ;  msbs: dst=0 src0=0 src1=0 src2=0
	v_pk_add_f32 v[130:131], v[130:131], v[134:135]
	s_set_vgpr_msb 5                        ;  msbs: dst=0 src0=1 src1=1 src2=0
	v_pk_fma_f32 v[134:135], v[54:55] /*v[310:311]*/, v[94:95] /*v[350:351]*/, v[138:139] neg_lo:[0,0,1] neg_hi:[0,0,1]
	s_set_vgpr_msb 0                        ;  msbs: dst=0 src0=0 src1=0 src2=0
	v_mov_b32_e32 v135, v133
	s_set_vgpr_msb 5                        ;  msbs: dst=0 src0=1 src1=1 src2=0
	v_pk_fma_f32 v[138:139], v[56:57] /*v[312:313]*/, v[96:97] /*v[352:353]*/, v[140:141] op_sel_hi:[1,0,1]
	s_set_vgpr_msb 1                        ;  msbs: dst=0 src0=1 src1=0 src2=0
	v_pk_mul_f32 v[132:133], v[128:129] /*v[384:385]*/, v[132:133] op_sel_hi:[1,0]
	s_set_vgpr_msb 0                        ;  msbs: dst=0 src0=0 src1=0 src2=0
	v_pk_add_f32 v[130:131], v[130:131], v[136:137]
	s_set_vgpr_msb 5                        ;  msbs: dst=0 src0=1 src1=1 src2=0
	v_pk_fma_f32 v[136:137], v[58:59] /*v[314:315]*/, v[98:99] /*v[354:355]*/, v[142:143] op_sel_hi:[1,0,1]
	v_pk_fma_f32 v[140:141], v[56:57] /*v[312:313]*/, v[96:97] /*v[352:353]*/, v[140:141] neg_lo:[0,0,1] neg_hi:[0,0,1]
	s_set_vgpr_msb 0                        ;  msbs: dst=0 src0=0 src1=0 src2=0
	v_mov_b32_e32 v141, v139
	s_set_vgpr_msb 5                        ;  msbs: dst=0 src0=1 src1=1 src2=0
	v_pk_fma_f32 v[138:139], v[58:59] /*v[314:315]*/, v[98:99] /*v[354:355]*/, v[142:143] neg_lo:[0,0,1] neg_hi:[0,0,1]
	s_set_vgpr_msb 0                        ;  msbs: dst=0 src0=0 src1=0 src2=0
	v_pk_add_f32 v[130:131], v[130:131], v[134:135]
	v_mov_b32_e32 v139, v137
	s_set_vgpr_msb 5                        ;  msbs: dst=0 src0=1 src1=1 src2=0
	v_pk_fma_f32 v[136:137], v[60:61] /*v[316:317]*/, v[100:101] /*v[356:357]*/, v[132:133] op_sel_hi:[1,0,1]
	s_wait_loadcnt 0x0
	v_pk_mul_f32 v[134:135], v[70:71] /*v[326:327]*/, v[102:103] /*v[358:359]*/ op_sel:[1,1] op_sel_hi:[0,1]
	v_mov_b32_e32 v136, v105 /*v361*/
	s_set_vgpr_msb 0                        ;  msbs: dst=0 src0=0 src1=0 src2=0
	v_pk_add_f32 v[130:131], v[130:131], v[140:141]
	s_set_vgpr_msb 5                        ;  msbs: dst=0 src0=1 src1=1 src2=0
	v_pk_fma_f32 v[132:133], v[60:61] /*v[316:317]*/, v[100:101] /*v[356:357]*/, v[132:133] neg_lo:[0,0,1] neg_hi:[0,0,1]
	s_set_vgpr_msb 0                        ;  msbs: dst=0 src0=0 src1=0 src2=0
	v_mov_b32_e32 v133, v137
	s_set_vgpr_msb 5                        ;  msbs: dst=0 src0=1 src1=1 src2=0
	v_pk_fma_f32 v[140:141], v[70:71] /*v[326:327]*/, v[102:103] /*v[358:359]*/, v[134:135] op_sel_hi:[1,0,1]
	s_set_vgpr_msb 1                        ;  msbs: dst=0 src0=1 src1=0 src2=0
	v_pk_mul_f32 v[136:137], v[130:131] /*v[386:387]*/, v[136:137] op_sel_hi:[1,0]
	s_set_vgpr_msb 0                        ;  msbs: dst=0 src0=0 src1=0 src2=0
	v_pk_add_f32 v[130:131], v[130:131], v[138:139]
	s_set_vgpr_msb 5                        ;  msbs: dst=0 src0=1 src1=1 src2=0
	v_pk_fma_f32 v[134:135], v[70:71] /*v[326:327]*/, v[102:103] /*v[358:359]*/, v[134:135] neg_lo:[0,0,1] neg_hi:[0,0,1]
	s_set_vgpr_msb 0                        ;  msbs: dst=0 src0=0 src1=0 src2=0
	v_mov_b32_e32 v135, v141
	v_pk_add_f32 v[130:131], v[130:131], v[132:133]
	s_set_vgpr_msb 5                        ;  msbs: dst=0 src0=1 src1=1 src2=0
	v_pk_fma_f32 v[132:133], v[72:73] /*v[328:329]*/, v[104:105] /*v[360:361]*/, v[136:137] op_sel_hi:[1,0,1]
	v_pk_fma_f32 v[136:137], v[72:73] /*v[328:329]*/, v[104:105] /*v[360:361]*/, v[136:137] neg_lo:[0,0,1] neg_hi:[0,0,1]
	s_set_vgpr_msb 0                        ;  msbs: dst=0 src0=0 src1=0 src2=0
	v_pk_add_f32 v[130:131], v[130:131], v[134:135]
	s_delay_alu instid0(VALU_DEP_3) | instskip(NEXT) | instid1(VALU_DEP_1)
	v_mov_b32_e32 v137, v133
	v_pk_add_f32 v[130:131], v[130:131], v[136:137]
	s_set_vgpr_msb 1                        ;  msbs: dst=0 src0=1 src1=0 src2=0
	s_delay_alu instid0(VALU_DEP_1)
	v_pk_add_f32 v[130:131], v[122:123] /*v[378:379]*/, v[130:131] neg_lo:[0,1] neg_hi:[0,1]
	scratch_store_b64 off, v[130:131], off offset:8
	s_wait_xcnt 0x0
	v_cmpx_ne_u32_e32 0, v0
	s_set_vgpr_msb 0                        ;  msbs: dst=0 src0=0 src1=0 src2=0
	s_cbranch_execz .LBB127_397
; %bb.396:
	scratch_load_b64 v[130:131], off, off
	v_mov_b64_e32 v[132:133], 0
	scratch_store_b64 off, v[132:133], off
	s_wait_loadcnt 0x0
	ds_store_b64 v1, v[130:131]
.LBB127_397:
	s_wait_xcnt 0x0
	s_or_b32 exec_lo, exec_lo, s0
	s_wait_storecnt_dscnt 0x0
	s_barrier_signal -1
	s_barrier_wait -1
	s_clause 0x1b
	scratch_load_b128 v[130:133], off, off offset:8
	scratch_load_b128 v[134:137], off, off offset:24
	scratch_load_b128 v[138:141], off, off offset:40
	scratch_load_b128 v[142:145], off, off offset:56
	scratch_load_b128 v[146:149], off, off offset:72
	scratch_load_b128 v[150:153], off, off offset:88
	scratch_load_b128 v[154:157], off, off offset:104
	scratch_load_b128 v[158:161], off, off offset:120
	scratch_load_b128 v[162:165], off, off offset:136
	scratch_load_b128 v[166:169], off, off offset:152
	scratch_load_b128 v[170:173], off, off offset:168
	scratch_load_b128 v[174:177], off, off offset:184
	scratch_load_b128 v[178:181], off, off offset:200
	scratch_load_b128 v[182:185], off, off offset:216
	scratch_load_b128 v[186:189], off, off offset:232
	scratch_load_b128 v[190:193], off, off offset:248
	scratch_load_b128 v[194:197], off, off offset:264
	scratch_load_b128 v[198:201], off, off offset:280
	scratch_load_b128 v[202:205], off, off offset:296
	scratch_load_b128 v[206:209], off, off offset:312
	scratch_load_b128 v[210:213], off, off offset:328
	scratch_load_b128 v[214:217], off, off offset:344
	scratch_load_b128 v[218:221], off, off offset:360
	scratch_load_b128 v[222:225], off, off offset:376
	scratch_load_b128 v[226:229], off, off offset:392
	scratch_load_b128 v[230:233], off, off offset:408
	scratch_load_b128 v[234:237], off, off offset:424
	scratch_load_b128 v[238:241], off, off offset:440
	v_mov_b32_e32 v0, 0
	s_clause 0x5
	scratch_load_b128 v[242:245], off, off offset:456
	scratch_load_b128 v[246:249], off, off offset:472
	;; [unrolled: 1-line block ×3, first 2 shown]
	s_set_vgpr_msb 64                       ;  msbs: dst=1 src0=0 src1=0 src2=0
	scratch_load_b64 v[122:123] /*v[378:379]*/, off, off offset:504
	scratch_load_b64 v[124:125] /*v[380:381]*/, off, off
	s_set_vgpr_msb 0                        ;  msbs: dst=0 src0=0 src1=0 src2=0
	ds_load_2addr_b64 v[254:257], v0 offset0:65 offset1:66
	s_set_vgpr_msb 64                       ;  msbs: dst=1 src0=0 src1=0 src2=0
	ds_load_2addr_b64 v[2:5] /*v[258:261]*/, v0 offset0:67 offset1:68
	ds_load_2addr_b64 v[6:9] /*v[262:265]*/, v0 offset0:69 offset1:70
	;; [unrolled: 1-line block ×30, first 2 shown]
	ds_load_b64 v[126:127] /*v[382:383]*/, v0 offset:1016
	s_wait_dscnt 0x14
	s_set_vgpr_msb 0x41                     ;  msbs: dst=1 src0=1 src1=0 src2=0
	v_dual_mov_b32 v128 /*v384*/, v45 /*v301*/ :: v_dual_mov_b32 v129 /*v385*/, v44 /*v300*/
	s_wait_dscnt 0x11
	v_dual_mov_b32 v130 /*v386*/, v57 /*v313*/ :: v_dual_mov_b32 v131 /*v387*/, v56 /*v312*/
	s_wait_dscnt 0x10
	;; [unrolled: 2-line block ×3, first 2 shown]
	v_dual_mov_b32 v134 /*v390*/, v73 /*v329*/ :: v_dual_mov_b32 v135 /*v391*/, v72 /*v328*/
	s_and_b32 vcc_lo, exec_lo, s12
	s_wait_loadcnt 0x20
	s_set_vgpr_msb 0                        ;  msbs: dst=0 src0=0 src1=0 src2=0
	v_dual_mul_f32 v1, v254, v131 :: v_dual_mul_f32 v131, v255, v131
	s_wait_loadcnt 0x1f
	s_set_vgpr_msb 0x41                     ;  msbs: dst=1 src0=1 src1=0 src2=0
	v_dual_mul_f32 v136 /*v392*/, v0 /*v256*/, v133 :: v_dual_mul_f32 v138 /*v394*/, v2 /*v258*/, v135
	s_set_vgpr_msb 1                        ;  msbs: dst=0 src0=1 src1=0 src2=0
	v_dual_mul_f32 v133, v1 /*v257*/, v133 :: v_dual_mul_f32 v135, v3 /*v259*/, v135
	s_set_vgpr_msb 0                        ;  msbs: dst=0 src0=0 src1=0 src2=0
	v_dual_fmac_f32 v1, v255, v130 :: v_dual_fma_f32 v130, v254, v130, -v131
	s_wait_loadcnt 0x1d
	s_set_vgpr_msb 1                        ;  msbs: dst=0 src0=1 src1=0 src2=0
	v_mul_f32_e32 v131, v13 /*v269*/, v145
	s_set_vgpr_msb 0x41                     ;  msbs: dst=1 src0=1 src1=0 src2=0
	v_dual_fmac_f32 v136 /*v392*/, v1 /*v257*/, v132 :: v_dual_fmac_f32 v138 /*v394*/, v3 /*v259*/, v134
	s_set_vgpr_msb 1                        ;  msbs: dst=0 src0=1 src1=0 src2=0
	v_dual_fma_f32 v132, v0 /*v256*/, v132, -v133 :: v_dual_add_f32 v1, 0, v1
	s_wait_loadcnt 0x1c
	v_dual_add_f32 v130, 0, v130 :: v_dual_mul_f32 v133, v15 /*v271*/, v147
	s_set_vgpr_msb 0x41                     ;  msbs: dst=1 src0=1 src1=0 src2=0
	v_dual_mul_f32 v140 /*v396*/, v4 /*v260*/, v137 :: v_dual_mul_f32 v141 /*v397*/, v6 /*v262*/, v139
	s_set_vgpr_msb 1                        ;  msbs: dst=0 src0=1 src1=0 src2=0
	v_dual_mul_f32 v137, v5 /*v261*/, v137 :: v_dual_mul_f32 v139, v7 /*v263*/, v139
	v_fma_f32 v134, v2 /*v258*/, v134, -v135
	s_set_vgpr_msb 0                        ;  msbs: dst=0 src0=0 src1=0 src2=0
	v_add_f32_e32 v130, v130, v132
	s_set_vgpr_msb 1                        ;  msbs: dst=0 src0=1 src1=0 src2=0
	v_dual_mul_f32 v132, v17 /*v273*/, v149 :: v_dual_fma_f32 v135, v4 /*v260*/, v136, -v137
	s_set_vgpr_msb 0x41                     ;  msbs: dst=1 src0=1 src1=0 src2=0
	v_dual_mul_f32 v142 /*v398*/, v8 /*v264*/, v141 :: v_dual_mul_f32 v143 /*v399*/, v10 /*v266*/, v143
	s_set_vgpr_msb 0                        ;  msbs: dst=0 src0=0 src1=0 src2=0
	v_add_f32_e32 v130, v130, v134
	s_set_vgpr_msb 1                        ;  msbs: dst=0 src0=1 src1=0 src2=0
	v_dual_mul_f32 v141, v9 /*v265*/, v141 :: v_dual_mul_f32 v143, v11 /*v267*/, v143
	s_set_vgpr_msb 0x41                     ;  msbs: dst=1 src0=1 src1=0 src2=0
	v_dual_fmac_f32 v140 /*v396*/, v5 /*v261*/, v136 :: v_dual_fmac_f32 v141 /*v397*/, v7 /*v263*/, v138
	s_wait_loadcnt 0x1b
	s_set_vgpr_msb 1                        ;  msbs: dst=0 src0=1 src1=0 src2=0
	v_dual_mul_f32 v134, v19 /*v275*/, v151 :: v_dual_fma_f32 v136, v6 /*v262*/, v138, -v139
	s_set_vgpr_msb 0                        ;  msbs: dst=0 src0=0 src1=0 src2=0
	v_add_f32_e32 v130, v130, v135
	s_set_vgpr_msb 1                        ;  msbs: dst=0 src0=1 src1=0 src2=0
	v_dual_mul_f32 v135, v21 /*v277*/, v153 :: v_dual_fma_f32 v137, v8 /*v264*/, v140, -v141
	s_wait_loadcnt 0x6
	v_dual_fma_f32 v138, v10 /*v266*/, v142, -v143 :: v_dual_mul_f32 v139, v39 /*v295*/, v235
	s_set_vgpr_msb 0                        ;  msbs: dst=0 src0=0 src1=0 src2=0
	v_add_f32_e32 v130, v130, v136
	s_set_vgpr_msb 1                        ;  msbs: dst=0 src0=1 src1=0 src2=0
	v_mul_f32_e32 v136, v23 /*v279*/, v155
	s_set_vgpr_msb 0x41                     ;  msbs: dst=1 src0=1 src1=0 src2=0
	v_dual_fmac_f32 v142 /*v398*/, v9 /*v265*/, v140 :: v_dual_fmac_f32 v143 /*v399*/, v11 /*v267*/, v142
	s_set_vgpr_msb 1                        ;  msbs: dst=0 src0=1 src1=0 src2=0
	v_fma_f32 v131, v12 /*v268*/, v144, -v131
	s_set_vgpr_msb 0                        ;  msbs: dst=0 src0=0 src1=0 src2=0
	v_add_f32_e32 v130, v130, v137
	s_set_vgpr_msb 1                        ;  msbs: dst=0 src0=1 src1=0 src2=0
	v_dual_mul_f32 v137, v25 /*v281*/, v157 :: v_dual_fma_f32 v140, v38 /*v294*/, v234, -v139
	v_dual_fma_f32 v133, v14 /*v270*/, v146, -v133 :: v_dual_fma_f32 v132, v16 /*v272*/, v148, -v132
	s_set_vgpr_msb 0                        ;  msbs: dst=0 src0=0 src1=0 src2=0
	v_add_f32_e32 v130, v130, v138
	s_set_vgpr_msb 1                        ;  msbs: dst=0 src0=1 src1=0 src2=0
	v_dual_mul_f32 v138, v27 /*v283*/, v159 :: v_dual_fma_f32 v134, v18 /*v274*/, v150, -v134
	v_dual_fma_f32 v135, v20 /*v276*/, v152, -v135 :: v_dual_fma_f32 v136, v22 /*v278*/, v154, -v136
	s_set_vgpr_msb 0                        ;  msbs: dst=0 src0=0 src1=0 src2=0
	v_add_f32_e32 v130, v130, v131
	s_set_vgpr_msb 1                        ;  msbs: dst=0 src0=1 src1=0 src2=0
	v_dual_mul_f32 v131, v29 /*v285*/, v161 :: v_dual_fma_f32 v137, v24 /*v280*/, v156, -v137
	v_fma_f32 v138, v26 /*v282*/, v158, -v138
	s_set_vgpr_msb 0x41                     ;  msbs: dst=1 src0=1 src1=0 src2=0
	v_dual_mul_f32 v144 /*v400*/, v12 /*v268*/, v145 :: v_dual_mul_f32 v145 /*v401*/, v14 /*v270*/, v147
	s_set_vgpr_msb 0                        ;  msbs: dst=0 src0=0 src1=0 src2=0
	v_add_f32_e32 v130, v130, v133
	s_set_vgpr_msb 1                        ;  msbs: dst=0 src0=1 src1=0 src2=0
	v_dual_mul_f32 v133, v31 /*v287*/, v163 :: v_dual_fma_f32 v131, v28 /*v284*/, v160, -v131
	s_set_vgpr_msb 0x41                     ;  msbs: dst=1 src0=1 src1=0 src2=0
	v_dual_fmac_f32 v144 /*v400*/, v13 /*v269*/, v144 :: v_dual_fmac_f32 v145 /*v401*/, v15 /*v271*/, v146
	s_set_vgpr_msb 0                        ;  msbs: dst=0 src0=0 src1=0 src2=0
	v_add_f32_e32 v130, v130, v132
	s_set_vgpr_msb 1                        ;  msbs: dst=0 src0=1 src1=0 src2=0
	v_dual_mul_f32 v132, v33 /*v289*/, v165 :: v_dual_fma_f32 v133, v30 /*v286*/, v162, -v133
	s_set_vgpr_msb 0x41                     ;  msbs: dst=1 src0=1 src1=0 src2=0
	v_dual_mul_f32 v146 /*v402*/, v16 /*v272*/, v149 :: v_dual_mul_f32 v147 /*v403*/, v18 /*v274*/, v151
	s_set_vgpr_msb 0                        ;  msbs: dst=0 src0=0 src1=0 src2=0
	v_add_f32_e32 v130, v130, v134
	s_set_vgpr_msb 1                        ;  msbs: dst=0 src0=1 src1=0 src2=0
	v_dual_mul_f32 v134, v35 /*v291*/, v167 :: v_dual_fma_f32 v132, v32 /*v288*/, v164, -v132
	s_set_vgpr_msb 0x41                     ;  msbs: dst=1 src0=1 src1=0 src2=0
	v_dual_fmac_f32 v146 /*v402*/, v17 /*v273*/, v148 :: v_dual_fmac_f32 v147 /*v403*/, v19 /*v275*/, v150
	s_set_vgpr_msb 0                        ;  msbs: dst=0 src0=0 src1=0 src2=0
	v_add_f32_e32 v130, v130, v135
	s_set_vgpr_msb 1                        ;  msbs: dst=0 src0=1 src1=0 src2=0
	v_dual_mul_f32 v135, v37 /*v293*/, v169 :: v_dual_fma_f32 v134, v34 /*v290*/, v166, -v134
	s_set_vgpr_msb 0x41                     ;  msbs: dst=1 src0=1 src1=0 src2=0
	v_dual_mul_f32 v148 /*v404*/, v20 /*v276*/, v153 :: v_dual_mul_f32 v149 /*v405*/, v22 /*v278*/, v155
	s_set_vgpr_msb 0                        ;  msbs: dst=0 src0=0 src1=0 src2=0
	v_add_f32_e32 v130, v130, v136
	s_set_vgpr_msb 1                        ;  msbs: dst=0 src0=1 src1=0 src2=0
	v_dual_mul_f32 v136, v47 /*v303*/, v171 :: v_dual_fma_f32 v135, v36 /*v292*/, v168, -v135
	s_set_vgpr_msb 0x41                     ;  msbs: dst=1 src0=1 src1=0 src2=0
	v_dual_fmac_f32 v148 /*v404*/, v21 /*v277*/, v152 :: v_dual_fmac_f32 v149 /*v405*/, v23 /*v279*/, v154
	s_set_vgpr_msb 0                        ;  msbs: dst=0 src0=0 src1=0 src2=0
	v_add_f32_e32 v130, v130, v137
	s_set_vgpr_msb 1                        ;  msbs: dst=0 src0=1 src1=0 src2=0
	v_dual_mul_f32 v137, v49 /*v305*/, v173 :: v_dual_fma_f32 v136, v46 /*v302*/, v170, -v136
	s_set_vgpr_msb 0x41                     ;  msbs: dst=1 src0=1 src1=0 src2=0
	v_dual_mul_f32 v150 /*v406*/, v24 /*v280*/, v157 :: v_dual_mul_f32 v151 /*v407*/, v26 /*v282*/, v159
	s_set_vgpr_msb 0                        ;  msbs: dst=0 src0=0 src1=0 src2=0
	v_add_f32_e32 v130, v130, v138
	s_set_vgpr_msb 1                        ;  msbs: dst=0 src0=1 src1=0 src2=0
	v_dual_mul_f32 v138, v51 /*v307*/, v175 :: v_dual_fma_f32 v137, v48 /*v304*/, v172, -v137
	s_set_vgpr_msb 0x41                     ;  msbs: dst=1 src0=1 src1=0 src2=0
	v_dual_fmac_f32 v150 /*v406*/, v25 /*v281*/, v156 :: v_dual_fmac_f32 v151 /*v407*/, v27 /*v283*/, v158
	s_set_vgpr_msb 0                        ;  msbs: dst=0 src0=0 src1=0 src2=0
	v_add_f32_e32 v130, v130, v131
	s_set_vgpr_msb 1                        ;  msbs: dst=0 src0=1 src1=0 src2=0
	v_dual_mul_f32 v131, v53 /*v309*/, v177 :: v_dual_fma_f32 v138, v50 /*v306*/, v174, -v138
	s_set_vgpr_msb 0x41                     ;  msbs: dst=1 src0=1 src1=0 src2=0
	v_dual_mul_f32 v152 /*v408*/, v28 /*v284*/, v161 :: v_dual_mul_f32 v153 /*v409*/, v30 /*v286*/, v163
	s_set_vgpr_msb 0                        ;  msbs: dst=0 src0=0 src1=0 src2=0
	v_add_f32_e32 v130, v130, v133
	s_set_vgpr_msb 1                        ;  msbs: dst=0 src0=1 src1=0 src2=0
	v_dual_mul_f32 v133, v63 /*v319*/, v179 :: v_dual_fma_f32 v131, v52 /*v308*/, v176, -v131
	s_set_vgpr_msb 0x41                     ;  msbs: dst=1 src0=1 src1=0 src2=0
	v_dual_fmac_f32 v152 /*v408*/, v29 /*v285*/, v160 :: v_dual_fmac_f32 v153 /*v409*/, v31 /*v287*/, v162
	s_set_vgpr_msb 0                        ;  msbs: dst=0 src0=0 src1=0 src2=0
	v_add_f32_e32 v130, v130, v132
	s_set_vgpr_msb 1                        ;  msbs: dst=0 src0=1 src1=0 src2=0
	v_dual_mul_f32 v132, v65 /*v321*/, v181 :: v_dual_fma_f32 v133, v62 /*v318*/, v178, -v133
	s_set_vgpr_msb 0x41                     ;  msbs: dst=1 src0=1 src1=0 src2=0
	v_dual_mul_f32 v154 /*v410*/, v32 /*v288*/, v165 :: v_dual_mul_f32 v155 /*v411*/, v34 /*v290*/, v167
	s_set_vgpr_msb 0                        ;  msbs: dst=0 src0=0 src1=0 src2=0
	v_add_f32_e32 v130, v130, v134
	s_set_vgpr_msb 1                        ;  msbs: dst=0 src0=1 src1=0 src2=0
	v_dual_mul_f32 v134, v67 /*v323*/, v183 :: v_dual_fma_f32 v132, v64 /*v320*/, v180, -v132
	s_set_vgpr_msb 0x41                     ;  msbs: dst=1 src0=1 src1=0 src2=0
	v_dual_fmac_f32 v154 /*v410*/, v33 /*v289*/, v164 :: v_dual_fmac_f32 v155 /*v411*/, v35 /*v291*/, v166
	s_set_vgpr_msb 0                        ;  msbs: dst=0 src0=0 src1=0 src2=0
	v_add_f32_e32 v130, v130, v135
	s_set_vgpr_msb 1                        ;  msbs: dst=0 src0=1 src1=0 src2=0
	v_dual_mul_f32 v135, v69 /*v325*/, v185 :: v_dual_fma_f32 v134, v66 /*v322*/, v182, -v134
	s_set_vgpr_msb 0x41                     ;  msbs: dst=1 src0=1 src1=0 src2=0
	v_dual_mul_f32 v156 /*v412*/, v36 /*v292*/, v169 :: v_dual_mul_f32 v157 /*v413*/, v46 /*v302*/, v171
	s_set_vgpr_msb 0                        ;  msbs: dst=0 src0=0 src1=0 src2=0
	v_add_f32_e32 v130, v130, v136
	s_wait_dscnt 0xc
	s_set_vgpr_msb 1                        ;  msbs: dst=0 src0=1 src1=0 src2=0
	v_dual_mul_f32 v136, v75 /*v331*/, v187 :: v_dual_fma_f32 v135, v68 /*v324*/, v184, -v135
	s_set_vgpr_msb 0x41                     ;  msbs: dst=1 src0=1 src1=0 src2=0
	v_dual_fmac_f32 v156 /*v412*/, v37 /*v293*/, v168 :: v_dual_fmac_f32 v157 /*v413*/, v47 /*v303*/, v170
	s_set_vgpr_msb 0                        ;  msbs: dst=0 src0=0 src1=0 src2=0
	v_add_f32_e32 v130, v130, v137
	s_set_vgpr_msb 1                        ;  msbs: dst=0 src0=1 src1=0 src2=0
	v_dual_mul_f32 v137, v77 /*v333*/, v189 :: v_dual_fma_f32 v136, v74 /*v330*/, v186, -v136
	s_set_vgpr_msb 0x41                     ;  msbs: dst=1 src0=1 src1=0 src2=0
	v_dual_mul_f32 v158 /*v414*/, v48 /*v304*/, v173 :: v_dual_mul_f32 v159 /*v415*/, v50 /*v306*/, v175
	s_set_vgpr_msb 0                        ;  msbs: dst=0 src0=0 src1=0 src2=0
	v_add_f32_e32 v130, v130, v138
	s_wait_dscnt 0xb
	s_set_vgpr_msb 1                        ;  msbs: dst=0 src0=1 src1=0 src2=0
	v_dual_mul_f32 v138, v79 /*v335*/, v191 :: v_dual_fma_f32 v137, v76 /*v332*/, v188, -v137
	s_set_vgpr_msb 0x41                     ;  msbs: dst=1 src0=1 src1=0 src2=0
	v_dual_fmac_f32 v158 /*v414*/, v49 /*v305*/, v172 :: v_dual_fmac_f32 v159 /*v415*/, v51 /*v307*/, v174
	s_set_vgpr_msb 0                        ;  msbs: dst=0 src0=0 src1=0 src2=0
	v_add_f32_e32 v130, v130, v131
	s_set_vgpr_msb 1                        ;  msbs: dst=0 src0=1 src1=0 src2=0
	v_dual_mul_f32 v131, v81 /*v337*/, v193 :: v_dual_fma_f32 v138, v78 /*v334*/, v190, -v138
	;; [unrolled: 13-line block ×9, first 2 shown]
	s_wait_loadcnt 0x5
	v_mul_f32_e32 v141, v43 /*v299*/, v239
	s_set_vgpr_msb 0x41                     ;  msbs: dst=1 src0=1 src1=0 src2=0
	v_dual_mul_f32 v174 /*v430*/, v92 /*v348*/, v205 :: v_dual_mul_f32 v175 /*v431*/, v94 /*v350*/, v207
	s_set_vgpr_msb 0                        ;  msbs: dst=0 src0=0 src1=0 src2=0
	v_add_f32_e32 v130, v130, v138
	s_wait_dscnt 0x3
	s_set_vgpr_msb 1                        ;  msbs: dst=0 src0=1 src1=0 src2=0
	v_dual_mul_f32 v138, v111 /*v367*/, v223 :: v_dual_fma_f32 v137, v108 /*v364*/, v220, -v137
	s_set_vgpr_msb 0x41                     ;  msbs: dst=1 src0=1 src1=0 src2=0
	v_dual_fmac_f32 v174 /*v430*/, v93 /*v349*/, v204 :: v_dual_fmac_f32 v175 /*v431*/, v95 /*v351*/, v206
	s_set_vgpr_msb 0                        ;  msbs: dst=0 src0=0 src1=0 src2=0
	v_add_f32_e32 v130, v130, v131
	s_set_vgpr_msb 1                        ;  msbs: dst=0 src0=1 src1=0 src2=0
	v_mul_f32_e32 v131, v113 /*v369*/, v225
	s_set_vgpr_msb 0x41                     ;  msbs: dst=1 src0=1 src1=0 src2=0
	v_dual_mul_f32 v176 /*v432*/, v96 /*v352*/, v209 :: v_dual_mul_f32 v177 /*v433*/, v98 /*v354*/, v211
	v_dual_mul_f32 v178 /*v434*/, v100 /*v356*/, v213 :: v_dual_mul_f32 v179 /*v435*/, v102 /*v358*/, v215
	s_set_vgpr_msb 0                        ;  msbs: dst=0 src0=0 src1=0 src2=0
	v_add_f32_e32 v130, v130, v133
	s_wait_dscnt 0x2
	s_set_vgpr_msb 1                        ;  msbs: dst=0 src0=1 src1=0 src2=0
	v_dual_mul_f32 v133, v115 /*v371*/, v227 :: v_dual_fma_f32 v131, v112 /*v368*/, v224, -v131
	s_set_vgpr_msb 0x41                     ;  msbs: dst=1 src0=1 src1=0 src2=0
	v_dual_fmac_f32 v176 /*v432*/, v97 /*v353*/, v208 :: v_dual_fmac_f32 v177 /*v433*/, v99 /*v355*/, v210
	s_set_vgpr_msb 0                        ;  msbs: dst=0 src0=0 src1=0 src2=0
	v_add_f32_e32 v130, v130, v132
	s_set_vgpr_msb 1                        ;  msbs: dst=0 src0=1 src1=0 src2=0
	v_dual_mul_f32 v132, v117 /*v373*/, v229 :: v_dual_fma_f32 v133, v114 /*v370*/, v226, -v133
	s_set_vgpr_msb 0x41                     ;  msbs: dst=1 src0=1 src1=0 src2=0
	v_dual_fmac_f32 v178 /*v434*/, v101 /*v357*/, v212 :: v_dual_fmac_f32 v179 /*v435*/, v103 /*v359*/, v214
	s_set_vgpr_msb 0                        ;  msbs: dst=0 src0=0 src1=0 src2=0
	v_add_f32_e32 v130, v130, v134
	s_wait_dscnt 0x1
	s_set_vgpr_msb 1                        ;  msbs: dst=0 src0=1 src1=0 src2=0
	v_mul_f32_e32 v134, v119 /*v375*/, v231
	s_set_vgpr_msb 0x41                     ;  msbs: dst=1 src0=1 src1=0 src2=0
	v_dual_mul_f32 v180 /*v436*/, v104 /*v360*/, v217 :: v_dual_mul_f32 v181 /*v437*/, v106 /*v362*/, v219
	v_dual_mul_f32 v182 /*v438*/, v108 /*v364*/, v221 :: v_dual_mul_f32 v183 /*v439*/, v110 /*v366*/, v223
	s_set_vgpr_msb 0                        ;  msbs: dst=0 src0=0 src1=0 src2=0
	v_add_f32_e32 v130, v130, v135
	s_set_vgpr_msb 1                        ;  msbs: dst=0 src0=1 src1=0 src2=0
	v_mul_f32_e32 v135, v121 /*v377*/, v233
	s_set_vgpr_msb 0x41                     ;  msbs: dst=1 src0=1 src1=0 src2=0
	v_dual_fmac_f32 v180 /*v436*/, v105 /*v361*/, v216 :: v_dual_fmac_f32 v181 /*v437*/, v107 /*v363*/, v218
	v_dual_fmac_f32 v182 /*v438*/, v109 /*v365*/, v220 :: v_dual_fmac_f32 v183 /*v439*/, v111 /*v367*/, v222
	s_set_vgpr_msb 0                        ;  msbs: dst=0 src0=0 src1=0 src2=0
	v_add_f32_e32 v130, v130, v136
	s_set_vgpr_msb 1                        ;  msbs: dst=0 src0=1 src1=0 src2=0
	v_dual_fma_f32 v136, v110 /*v366*/, v222, -v138 :: v_dual_fma_f32 v135, v120 /*v376*/, v232, -v135
	s_set_vgpr_msb 0x41                     ;  msbs: dst=1 src0=1 src1=0 src2=0
	v_dual_mul_f32 v184 /*v440*/, v112 /*v368*/, v225 :: v_dual_mul_f32 v185 /*v441*/, v114 /*v370*/, v227
	s_set_vgpr_msb 0                        ;  msbs: dst=0 src0=0 src1=0 src2=0
	v_add_f32_e32 v130, v130, v137
	s_set_vgpr_msb 1                        ;  msbs: dst=0 src0=1 src1=0 src2=0
	v_fma_f32 v137, v118 /*v374*/, v230, -v134
	s_set_vgpr_msb 0x41                     ;  msbs: dst=1 src0=1 src1=0 src2=0
	v_dual_mul_f32 v186 /*v442*/, v116 /*v372*/, v229 :: v_dual_mul_f32 v187 /*v443*/, v118 /*v374*/, v231
	v_dual_fmac_f32 v184 /*v440*/, v113 /*v369*/, v224 :: v_dual_fmac_f32 v185 /*v441*/, v115 /*v371*/, v226
	s_set_vgpr_msb 0                        ;  msbs: dst=0 src0=0 src1=0 src2=0
	v_add_f32_e32 v130, v130, v136
	s_set_vgpr_msb 1                        ;  msbs: dst=0 src0=1 src1=0 src2=0
	v_fma_f32 v136, v116 /*v372*/, v228, -v132
	s_set_vgpr_msb 0x41                     ;  msbs: dst=1 src0=1 src1=0 src2=0
	v_dual_fmac_f32 v186 /*v442*/, v117 /*v373*/, v228 :: v_dual_fmac_f32 v187 /*v443*/, v119 /*v375*/, v230
	v_dual_mul_f32 v188 /*v444*/, v120 /*v376*/, v233 :: v_dual_mul_f32 v189 /*v445*/, v38 /*v294*/, v235
	s_set_vgpr_msb 0                        ;  msbs: dst=0 src0=0 src1=0 src2=0
	v_dual_add_f32 v131, v130, v131 :: v_dual_mov_b32 v130, v241
	s_set_vgpr_msb 0x41                     ;  msbs: dst=1 src0=1 src1=0 src2=0
	v_dual_mul_f32 v137 /*v393*/, v40 /*v296*/, v237 :: v_dual_mul_f32 v139 /*v395*/, v42 /*v298*/, v239
	v_dual_fmac_f32 v188 /*v444*/, v121 /*v377*/, v232 :: v_dual_fmac_f32 v189 /*v445*/, v39 /*v295*/, v234
	s_set_vgpr_msb 0                        ;  msbs: dst=0 src0=0 src1=0 src2=0
	v_add_f32_e32 v131, v131, v133
	s_set_vgpr_msb 1                        ;  msbs: dst=0 src0=1 src1=0 src2=0
	v_mul_f32_e32 v138, v41 /*v297*/, v237
	s_set_vgpr_msb 0x41                     ;  msbs: dst=1 src0=1 src1=0 src2=0
	v_dual_fmac_f32 v137 /*v393*/, v41 /*v297*/, v236 :: v_dual_fmac_f32 v139 /*v395*/, v43 /*v299*/, v238
	s_wait_loadcnt 0x4
	s_set_vgpr_msb 1                        ;  msbs: dst=0 src0=1 src1=0 src2=0
	v_pk_mul_f32 v[132:133], v[54:55] /*v[310:311]*/, v[242:243] op_sel:[1,1] op_sel_hi:[0,1]
	s_set_vgpr_msb 0                        ;  msbs: dst=0 src0=0 src1=0 src2=0
	v_dual_add_f32 v131, v131, v136 :: v_dual_mov_b32 v134, v245
	s_set_vgpr_msb 1                        ;  msbs: dst=0 src0=1 src1=0 src2=0
	s_delay_alu instid0(VALU_DEP_2) | instskip(SKIP_1) | instid1(VALU_DEP_2)
	v_pk_fma_f32 v[144:145], v[54:55] /*v[310:311]*/, v[242:243], v[132:133] op_sel_hi:[1,0,1]
	s_set_vgpr_msb 0                        ;  msbs: dst=0 src0=0 src1=0 src2=0
	v_add_f32_e32 v131, v131, v137
	s_set_vgpr_msb 1                        ;  msbs: dst=0 src0=1 src1=0 src2=0
	v_pk_fma_f32 v[132:133], v[54:55] /*v[310:311]*/, v[242:243], v[132:133] neg_lo:[0,0,1] neg_hi:[0,0,1]
	s_wait_loadcnt 0x3
	v_pk_mul_f32 v[136:137], v[58:59] /*v[314:315]*/, v[246:247] op_sel:[1,1] op_sel_hi:[0,1]
	s_set_vgpr_msb 0                        ;  msbs: dst=0 src0=0 src1=0 src2=0
	v_dual_mov_b32 v133, v145 :: v_dual_add_f32 v135, v131, v135
	s_set_vgpr_msb 1                        ;  msbs: dst=0 src0=1 src1=0 src2=0
	v_pk_mul_f32 v[130:131], v[128:129] /*v[384:385]*/, v[130:131] op_sel_hi:[1,0]
	s_delay_alu instid0(VALU_DEP_1)
	v_pk_fma_f32 v[142:143], v[44:45] /*v[300:301]*/, v[240:241], v[130:131] op_sel_hi:[1,0,1]
	s_set_vgpr_msb 4                        ;  msbs: dst=0 src0=0 src1=1 src2=0
	v_add_f32_e32 v1, v1, v136 /*v392*/
	s_set_vgpr_msb 1                        ;  msbs: dst=0 src0=1 src1=0 src2=0
	v_pk_fma_f32 v[130:131], v[44:45] /*v[300:301]*/, v[240:241], v[130:131] neg_lo:[0,0,1] neg_hi:[0,0,1]
	s_set_vgpr_msb 0x41                     ;  msbs: dst=1 src0=1 src1=0 src2=0
	v_fma_f32 v136 /*v392*/, v40 /*v296*/, v236, -v138
	s_set_vgpr_msb 0                        ;  msbs: dst=0 src0=0 src1=0 src2=0
	v_add_f32_e32 v138, v135, v140
	s_set_vgpr_msb 4                        ;  msbs: dst=0 src0=0 src1=1 src2=0
	v_dual_mov_b32 v131, v143 :: v_dual_add_f32 v1, v1, v138 /*v394*/
	s_set_vgpr_msb 0x41                     ;  msbs: dst=1 src0=1 src1=0 src2=0
	v_fma_f32 v138 /*v394*/, v42 /*v298*/, v238, -v141
	s_set_vgpr_msb 1                        ;  msbs: dst=0 src0=1 src1=0 src2=0
	v_pk_mul_f32 v[134:135], v[130:131] /*v[386:387]*/, v[134:135] op_sel_hi:[1,0]
	s_set_vgpr_msb 0                        ;  msbs: dst=0 src0=0 src1=0 src2=0
	v_mov_b32_e32 v140, v249
	s_wait_loadcnt 0x2
	s_set_vgpr_msb 1                        ;  msbs: dst=0 src0=1 src1=0 src2=0
	v_pk_mul_f32 v[142:143], v[70:71] /*v[326:327]*/, v[250:251] op_sel:[1,1] op_sel_hi:[0,1]
	s_set_vgpr_msb 4                        ;  msbs: dst=0 src0=0 src1=1 src2=0
	v_add_f32_e32 v1, v1, v140 /*v396*/
	s_set_vgpr_msb 1                        ;  msbs: dst=0 src0=1 src1=0 src2=0
	v_pk_fma_f32 v[144:145], v[56:57] /*v[312:313]*/, v[244:245], v[134:135] op_sel_hi:[1,0,1]
	v_pk_fma_f32 v[134:135], v[56:57] /*v[312:313]*/, v[244:245], v[134:135] neg_lo:[0,0,1] neg_hi:[0,0,1]
	v_pk_mul_f32 v[140:141], v[132:133] /*v[388:389]*/, v[140:141] op_sel_hi:[1,0]
	s_set_vgpr_msb 4                        ;  msbs: dst=0 src0=0 src1=1 src2=0
	v_add_f32_e32 v1, v1, v141 /*v397*/
	v_mov_b32_e32 v135, v145
	s_delay_alu instid0(VALU_DEP_2) | instskip(NEXT) | instid1(VALU_DEP_1)
	v_add_f32_e32 v1, v1, v142 /*v398*/
	v_add_f32_e32 v1, v1, v143 /*v399*/
	s_delay_alu instid0(VALU_DEP_1) | instskip(NEXT) | instid1(VALU_DEP_1)
	v_add_f32_e32 v1, v1, v144 /*v400*/
	v_add_f32_e32 v1, v1, v145 /*v401*/
	s_delay_alu instid0(VALU_DEP_1) | instskip(NEXT) | instid1(VALU_DEP_1)
	v_add_f32_e32 v1, v1, v146 /*v402*/
	v_add_f32_e32 v1, v1, v147 /*v403*/
	s_delay_alu instid0(VALU_DEP_1) | instskip(NEXT) | instid1(VALU_DEP_1)
	v_add_f32_e32 v1, v1, v148 /*v404*/
	v_add_f32_e32 v1, v1, v149 /*v405*/
	s_delay_alu instid0(VALU_DEP_1) | instskip(NEXT) | instid1(VALU_DEP_1)
	v_add_f32_e32 v1, v1, v150 /*v406*/
	v_add_f32_e32 v1, v1, v151 /*v407*/
	s_delay_alu instid0(VALU_DEP_1) | instskip(NEXT) | instid1(VALU_DEP_1)
	v_add_f32_e32 v1, v1, v152 /*v408*/
	v_add_f32_e32 v1, v1, v153 /*v409*/
	s_delay_alu instid0(VALU_DEP_1) | instskip(NEXT) | instid1(VALU_DEP_1)
	v_add_f32_e32 v1, v1, v154 /*v410*/
	v_add_f32_e32 v1, v1, v155 /*v411*/
	s_delay_alu instid0(VALU_DEP_1) | instskip(NEXT) | instid1(VALU_DEP_1)
	v_add_f32_e32 v1, v1, v156 /*v412*/
	v_add_f32_e32 v1, v1, v157 /*v413*/
	s_delay_alu instid0(VALU_DEP_1) | instskip(NEXT) | instid1(VALU_DEP_1)
	v_add_f32_e32 v1, v1, v158 /*v414*/
	v_add_f32_e32 v1, v1, v159 /*v415*/
	s_delay_alu instid0(VALU_DEP_1) | instskip(NEXT) | instid1(VALU_DEP_1)
	v_add_f32_e32 v1, v1, v160 /*v416*/
	v_add_f32_e32 v1, v1, v161 /*v417*/
	s_delay_alu instid0(VALU_DEP_1) | instskip(NEXT) | instid1(VALU_DEP_1)
	v_add_f32_e32 v1, v1, v162 /*v418*/
	v_add_f32_e32 v1, v1, v163 /*v419*/
	s_delay_alu instid0(VALU_DEP_1) | instskip(NEXT) | instid1(VALU_DEP_1)
	v_add_f32_e32 v1, v1, v164 /*v420*/
	v_add_f32_e32 v1, v1, v165 /*v421*/
	s_delay_alu instid0(VALU_DEP_1) | instskip(NEXT) | instid1(VALU_DEP_1)
	v_add_f32_e32 v1, v1, v166 /*v422*/
	v_add_f32_e32 v1, v1, v167 /*v423*/
	s_delay_alu instid0(VALU_DEP_1) | instskip(NEXT) | instid1(VALU_DEP_1)
	v_add_f32_e32 v1, v1, v168 /*v424*/
	v_add_f32_e32 v1, v1, v169 /*v425*/
	s_delay_alu instid0(VALU_DEP_1) | instskip(NEXT) | instid1(VALU_DEP_1)
	v_add_f32_e32 v1, v1, v170 /*v426*/
	v_add_f32_e32 v1, v1, v171 /*v427*/
	s_delay_alu instid0(VALU_DEP_1) | instskip(NEXT) | instid1(VALU_DEP_1)
	v_add_f32_e32 v1, v1, v172 /*v428*/
	v_add_f32_e32 v1, v1, v173 /*v429*/
	s_delay_alu instid0(VALU_DEP_1) | instskip(NEXT) | instid1(VALU_DEP_1)
	v_add_f32_e32 v1, v1, v174 /*v430*/
	v_add_f32_e32 v1, v1, v175 /*v431*/
	s_delay_alu instid0(VALU_DEP_1) | instskip(NEXT) | instid1(VALU_DEP_1)
	v_add_f32_e32 v1, v1, v176 /*v432*/
	v_add_f32_e32 v1, v1, v177 /*v433*/
	s_delay_alu instid0(VALU_DEP_1) | instskip(NEXT) | instid1(VALU_DEP_1)
	v_add_f32_e32 v1, v1, v178 /*v434*/
	v_add_f32_e32 v1, v1, v179 /*v435*/
	s_delay_alu instid0(VALU_DEP_1) | instskip(NEXT) | instid1(VALU_DEP_1)
	v_add_f32_e32 v1, v1, v180 /*v436*/
	v_add_f32_e32 v1, v1, v181 /*v437*/
	s_delay_alu instid0(VALU_DEP_1) | instskip(NEXT) | instid1(VALU_DEP_1)
	v_add_f32_e32 v1, v1, v182 /*v438*/
	v_add_f32_e32 v1, v1, v183 /*v439*/
	s_delay_alu instid0(VALU_DEP_1) | instskip(NEXT) | instid1(VALU_DEP_1)
	v_add_f32_e32 v1, v1, v184 /*v440*/
	v_add_f32_e32 v1, v1, v185 /*v441*/
	s_delay_alu instid0(VALU_DEP_1) | instskip(NEXT) | instid1(VALU_DEP_1)
	v_add_f32_e32 v1, v1, v186 /*v442*/
	v_add_f32_e32 v1, v1, v187 /*v443*/
	s_delay_alu instid0(VALU_DEP_1) | instskip(NEXT) | instid1(VALU_DEP_1)
	v_add_f32_e32 v1, v1, v188 /*v444*/
	v_add_f32_e32 v139, v1, v189 /*v445*/
	s_delay_alu instid0(VALU_DEP_1) | instskip(NEXT) | instid1(VALU_DEP_1)
	v_pk_add_f32 v[138:139], v[138:139], v[136:137] /*v[392:393]*/
	v_pk_add_f32 v[138:139], v[138:139], v[138:139] /*v[394:395]*/
	s_set_vgpr_msb 0                        ;  msbs: dst=0 src0=0 src1=0 src2=0
	s_delay_alu instid0(VALU_DEP_1)
	v_pk_add_f32 v[130:131], v[138:139], v[130:131]
	s_set_vgpr_msb 1                        ;  msbs: dst=0 src0=1 src1=0 src2=0
	v_pk_fma_f32 v[138:139], v[58:59] /*v[314:315]*/, v[246:247], v[136:137] op_sel_hi:[1,0,1]
	v_pk_fma_f32 v[136:137], v[58:59] /*v[314:315]*/, v[246:247], v[136:137] neg_lo:[0,0,1] neg_hi:[0,0,1]
	s_set_vgpr_msb 0                        ;  msbs: dst=0 src0=0 src1=0 src2=0
	v_pk_add_f32 v[130:131], v[130:131], v[132:133]
	s_delay_alu instid0(VALU_DEP_3)
	v_dual_mov_b32 v132, v253 :: v_dual_mov_b32 v137, v139
	s_set_vgpr_msb 1                        ;  msbs: dst=0 src0=1 src1=0 src2=0
	v_pk_fma_f32 v[138:139], v[60:61] /*v[316:317]*/, v[248:249], v[140:141] op_sel_hi:[1,0,1]
	v_pk_fma_f32 v[140:141], v[60:61] /*v[316:317]*/, v[248:249], v[140:141] neg_lo:[0,0,1] neg_hi:[0,0,1]
	s_set_vgpr_msb 0                        ;  msbs: dst=0 src0=0 src1=0 src2=0
	v_pk_add_f32 v[130:131], v[130:131], v[134:135]
	s_set_vgpr_msb 1                        ;  msbs: dst=0 src0=1 src1=0 src2=0
	v_pk_fma_f32 v[134:135], v[70:71] /*v[326:327]*/, v[250:251], v[142:143] op_sel_hi:[1,0,1]
	v_pk_mul_f32 v[132:133], v[134:135] /*v[390:391]*/, v[132:133] op_sel_hi:[1,0]
	s_set_vgpr_msb 0                        ;  msbs: dst=0 src0=0 src1=0 src2=0
	v_mov_b32_e32 v141, v139
	s_set_vgpr_msb 1                        ;  msbs: dst=0 src0=1 src1=0 src2=0
	v_pk_fma_f32 v[138:139], v[70:71] /*v[326:327]*/, v[250:251], v[142:143] neg_lo:[0,0,1] neg_hi:[0,0,1]
	s_set_vgpr_msb 0                        ;  msbs: dst=0 src0=0 src1=0 src2=0
	v_pk_add_f32 v[130:131], v[130:131], v[136:137]
	s_wait_loadcnt_dscnt 0x100
	s_set_vgpr_msb 5                        ;  msbs: dst=0 src0=1 src1=1 src2=0
	v_pk_mul_f32 v[136:137], v[126:127] /*v[382:383]*/, v[122:123] /*v[378:379]*/ op_sel:[1,1] op_sel_hi:[0,1]
	s_set_vgpr_msb 0                        ;  msbs: dst=0 src0=0 src1=0 src2=0
	v_mov_b32_e32 v139, v135
	s_set_vgpr_msb 1                        ;  msbs: dst=0 src0=1 src1=0 src2=0
	v_pk_fma_f32 v[134:135], v[72:73] /*v[328:329]*/, v[252:253], v[132:133] op_sel_hi:[1,0,1]
	v_pk_fma_f32 v[132:133], v[72:73] /*v[328:329]*/, v[252:253], v[132:133] neg_lo:[0,0,1] neg_hi:[0,0,1]
	s_set_vgpr_msb 0                        ;  msbs: dst=0 src0=0 src1=0 src2=0
	v_pk_add_f32 v[130:131], v[130:131], v[140:141]
	s_set_vgpr_msb 5                        ;  msbs: dst=0 src0=1 src1=1 src2=0
	v_pk_fma_f32 v[140:141], v[126:127] /*v[382:383]*/, v[122:123] /*v[378:379]*/, v[136:137] op_sel_hi:[1,0,1]
	s_set_vgpr_msb 0                        ;  msbs: dst=0 src0=0 src1=0 src2=0
	v_mov_b32_e32 v133, v135
	s_set_vgpr_msb 5                        ;  msbs: dst=0 src0=1 src1=1 src2=0
	v_pk_fma_f32 v[134:135], v[126:127] /*v[382:383]*/, v[122:123] /*v[378:379]*/, v[136:137] neg_lo:[0,0,1] neg_hi:[0,0,1]
	s_set_vgpr_msb 0                        ;  msbs: dst=0 src0=0 src1=0 src2=0
	v_pk_add_f32 v[130:131], v[130:131], v[138:139]
	v_mov_b32_e32 v135, v141
	s_delay_alu instid0(VALU_DEP_2) | instskip(NEXT) | instid1(VALU_DEP_1)
	v_pk_add_f32 v[130:131], v[130:131], v[132:133]
	v_pk_add_f32 v[130:131], v[130:131], v[134:135]
	s_wait_loadcnt 0x0
	s_set_vgpr_msb 1                        ;  msbs: dst=0 src0=1 src1=0 src2=0
	s_delay_alu instid0(VALU_DEP_1)
	v_pk_add_f32 v[142:143], v[124:125] /*v[380:381]*/, v[130:131] neg_lo:[0,1] neg_hi:[0,1]
	scratch_store_b64 off, v[142:143], off
	s_set_vgpr_msb 0                        ;  msbs: dst=0 src0=0 src1=0 src2=0
	s_cbranch_vccz .LBB127_524
; %bb.398:
	global_load_b32 v0, v0, s[8:9] offset:248
	s_wait_loadcnt 0x0
	v_cmp_ne_u32_e32 vcc_lo, 63, v0
	s_cbranch_vccz .LBB127_400
; %bb.399:
	s_wait_xcnt 0x0
	v_lshlrev_b32_e32 v0, 3, v0
	s_delay_alu instid0(VALU_DEP_1)
	v_mov_b32_e32 v132, v0
	scratch_load_b64 v[0:1], v132, off offset:-8
	scratch_load_b64 v[130:131], off, off offset:496
	s_wait_loadcnt 0x1
	scratch_store_b64 off, v[0:1], off offset:496
	s_wait_loadcnt 0x0
	scratch_store_b64 v132, v[130:131], off offset:-8
.LBB127_400:
	s_wait_xcnt 0x0
	v_mov_b32_e32 v0, 0
	global_load_b32 v1, v0, s[8:9] offset:244
	s_wait_loadcnt 0x0
	v_cmp_eq_u32_e32 vcc_lo, 62, v1
	s_cbranch_vccnz .LBB127_402
; %bb.401:
	v_lshlrev_b32_e32 v1, 3, v1
	scratch_load_b64 v[130:131], v1, off offset:-8
	scratch_load_b64 v[132:133], off, off offset:488
	s_wait_loadcnt 0x1
	scratch_store_b64 off, v[130:131], off offset:488
	s_wait_loadcnt 0x0
	scratch_store_b64 v1, v[132:133], off offset:-8
.LBB127_402:
	global_load_b32 v0, v0, s[8:9] offset:240
	s_wait_loadcnt 0x0
	v_cmp_eq_u32_e32 vcc_lo, 61, v0
	s_cbranch_vccnz .LBB127_404
; %bb.403:
	s_wait_xcnt 0x0
	v_lshlrev_b32_e32 v0, 3, v0
	s_delay_alu instid0(VALU_DEP_1)
	v_mov_b32_e32 v132, v0
	scratch_load_b64 v[0:1], v132, off offset:-8
	scratch_load_b64 v[130:131], off, off offset:480
	s_wait_loadcnt 0x1
	scratch_store_b64 off, v[0:1], off offset:480
	s_wait_loadcnt 0x0
	scratch_store_b64 v132, v[130:131], off offset:-8
.LBB127_404:
	s_wait_xcnt 0x0
	v_mov_b32_e32 v0, 0
	global_load_b32 v1, v0, s[8:9] offset:236
	s_wait_loadcnt 0x0
	v_cmp_eq_u32_e32 vcc_lo, 60, v1
	s_cbranch_vccnz .LBB127_406
; %bb.405:
	v_lshlrev_b32_e32 v1, 3, v1
	scratch_load_b64 v[130:131], v1, off offset:-8
	scratch_load_b64 v[132:133], off, off offset:472
	s_wait_loadcnt 0x1
	scratch_store_b64 off, v[130:131], off offset:472
	s_wait_loadcnt 0x0
	scratch_store_b64 v1, v[132:133], off offset:-8
.LBB127_406:
	global_load_b32 v0, v0, s[8:9] offset:232
	s_wait_loadcnt 0x0
	v_cmp_eq_u32_e32 vcc_lo, 59, v0
	s_cbranch_vccnz .LBB127_408
; %bb.407:
	s_wait_xcnt 0x0
	v_lshlrev_b32_e32 v0, 3, v0
	s_delay_alu instid0(VALU_DEP_1)
	v_mov_b32_e32 v132, v0
	scratch_load_b64 v[0:1], v132, off offset:-8
	scratch_load_b64 v[130:131], off, off offset:464
	s_wait_loadcnt 0x1
	scratch_store_b64 off, v[0:1], off offset:464
	s_wait_loadcnt 0x0
	scratch_store_b64 v132, v[130:131], off offset:-8
.LBB127_408:
	;; [unrolled: 31-line block ×30, first 2 shown]
	s_wait_xcnt 0x0
	v_mov_b32_e32 v0, 0
	global_load_b32 v1, v0, s[8:9] offset:4
	s_wait_loadcnt 0x0
	v_cmp_eq_u32_e32 vcc_lo, 2, v1
	s_cbranch_vccnz .LBB127_522
; %bb.521:
	v_lshlrev_b32_e32 v1, 3, v1
	scratch_load_b64 v[130:131], v1, off offset:-8
	scratch_load_b64 v[132:133], off, off offset:8
	s_wait_loadcnt 0x1
	scratch_store_b64 off, v[130:131], off offset:8
	s_wait_loadcnt 0x0
	scratch_store_b64 v1, v[132:133], off offset:-8
.LBB127_522:
	global_load_b32 v0, v0, s[8:9]
	scratch_load_b64 v[142:143], off, off
	s_wait_loadcnt 0x1
	v_cmp_eq_u32_e32 vcc_lo, 1, v0
	s_cbranch_vccnz .LBB127_524
; %bb.523:
	s_wait_xcnt 0x1
	v_lshlrev_b32_e32 v0, 3, v0
	s_delay_alu instid0(VALU_DEP_1)
	v_mov_b32_e32 v130, v0
	scratch_load_b64 v[0:1], v130, off offset:-8
	s_wait_loadcnt 0x0
	scratch_store_b64 off, v[0:1], off
	scratch_store_b64 v130, v[142:143], off offset:-8
	scratch_load_b64 v[142:143], off, off
.LBB127_524:
	s_wait_loadcnt 0x0
	flat_store_b64 v[2:3], v[142:143]
	scratch_load_b64 v[2:3], off, off offset:8
	v_lshl_add_u64 v[190:191], v[6:7], 3, s[2:3]
	v_lshl_add_u64 v[188:189], v[8:9], 3, s[2:3]
	;; [unrolled: 1-line block ×62, first 2 shown]
	s_wait_loadcnt 0x0
	flat_store_b64 v[4:5], v[2:3]
	scratch_load_b64 v[2:3], off, off offset:16
	s_wait_loadcnt 0x0
	flat_store_b64 v[190:191], v[2:3]
	scratch_load_b64 v[2:3], off, off offset:24
	;; [unrolled: 3-line block ×62, first 2 shown]
	s_wait_loadcnt 0x0
	flat_store_b64 v[0:1], v[2:3]
	s_sendmsg sendmsg(MSG_DEALLOC_VGPRS)
	s_endpgm
	.section	.rodata,"a",@progbits
	.p2align	6, 0x0
	.amdhsa_kernel _ZN9rocsolver6v33100L18getri_kernel_smallILi64E19rocblas_complex_numIfEPKPS3_EEvT1_iilPiilS8_bb
		.amdhsa_group_segment_fixed_size 1028
		.amdhsa_private_segment_fixed_size 528
		.amdhsa_kernarg_size 60
		.amdhsa_user_sgpr_count 2
		.amdhsa_user_sgpr_dispatch_ptr 0
		.amdhsa_user_sgpr_queue_ptr 0
		.amdhsa_user_sgpr_kernarg_segment_ptr 1
		.amdhsa_user_sgpr_dispatch_id 0
		.amdhsa_user_sgpr_kernarg_preload_length 0
		.amdhsa_user_sgpr_kernarg_preload_offset 0
		.amdhsa_user_sgpr_private_segment_size 0
		.amdhsa_wavefront_size32 1
		.amdhsa_uses_dynamic_stack 0
		.amdhsa_enable_private_segment 1
		.amdhsa_system_sgpr_workgroup_id_x 1
		.amdhsa_system_sgpr_workgroup_id_y 0
		.amdhsa_system_sgpr_workgroup_id_z 0
		.amdhsa_system_sgpr_workgroup_info 0
		.amdhsa_system_vgpr_workitem_id 0
		.amdhsa_next_free_vgpr 446
		.amdhsa_next_free_sgpr 19
		.amdhsa_named_barrier_count 0
		.amdhsa_reserve_vcc 1
		.amdhsa_float_round_mode_32 0
		.amdhsa_float_round_mode_16_64 0
		.amdhsa_float_denorm_mode_32 3
		.amdhsa_float_denorm_mode_16_64 3
		.amdhsa_fp16_overflow 0
		.amdhsa_memory_ordered 1
		.amdhsa_forward_progress 1
		.amdhsa_inst_pref_size 255
		.amdhsa_round_robin_scheduling 0
		.amdhsa_exception_fp_ieee_invalid_op 0
		.amdhsa_exception_fp_denorm_src 0
		.amdhsa_exception_fp_ieee_div_zero 0
		.amdhsa_exception_fp_ieee_overflow 0
		.amdhsa_exception_fp_ieee_underflow 0
		.amdhsa_exception_fp_ieee_inexact 0
		.amdhsa_exception_int_div_zero 0
	.end_amdhsa_kernel
	.section	.text._ZN9rocsolver6v33100L18getri_kernel_smallILi64E19rocblas_complex_numIfEPKPS3_EEvT1_iilPiilS8_bb,"axG",@progbits,_ZN9rocsolver6v33100L18getri_kernel_smallILi64E19rocblas_complex_numIfEPKPS3_EEvT1_iilPiilS8_bb,comdat
.Lfunc_end127:
	.size	_ZN9rocsolver6v33100L18getri_kernel_smallILi64E19rocblas_complex_numIfEPKPS3_EEvT1_iilPiilS8_bb, .Lfunc_end127-_ZN9rocsolver6v33100L18getri_kernel_smallILi64E19rocblas_complex_numIfEPKPS3_EEvT1_iilPiilS8_bb
                                        ; -- End function
	.set _ZN9rocsolver6v33100L18getri_kernel_smallILi64E19rocblas_complex_numIfEPKPS3_EEvT1_iilPiilS8_bb.num_vgpr, 446
	.set _ZN9rocsolver6v33100L18getri_kernel_smallILi64E19rocblas_complex_numIfEPKPS3_EEvT1_iilPiilS8_bb.num_agpr, 0
	.set _ZN9rocsolver6v33100L18getri_kernel_smallILi64E19rocblas_complex_numIfEPKPS3_EEvT1_iilPiilS8_bb.numbered_sgpr, 19
	.set _ZN9rocsolver6v33100L18getri_kernel_smallILi64E19rocblas_complex_numIfEPKPS3_EEvT1_iilPiilS8_bb.num_named_barrier, 0
	.set _ZN9rocsolver6v33100L18getri_kernel_smallILi64E19rocblas_complex_numIfEPKPS3_EEvT1_iilPiilS8_bb.private_seg_size, 528
	.set _ZN9rocsolver6v33100L18getri_kernel_smallILi64E19rocblas_complex_numIfEPKPS3_EEvT1_iilPiilS8_bb.uses_vcc, 1
	.set _ZN9rocsolver6v33100L18getri_kernel_smallILi64E19rocblas_complex_numIfEPKPS3_EEvT1_iilPiilS8_bb.uses_flat_scratch, 1
	.set _ZN9rocsolver6v33100L18getri_kernel_smallILi64E19rocblas_complex_numIfEPKPS3_EEvT1_iilPiilS8_bb.has_dyn_sized_stack, 0
	.set _ZN9rocsolver6v33100L18getri_kernel_smallILi64E19rocblas_complex_numIfEPKPS3_EEvT1_iilPiilS8_bb.has_recursion, 0
	.set _ZN9rocsolver6v33100L18getri_kernel_smallILi64E19rocblas_complex_numIfEPKPS3_EEvT1_iilPiilS8_bb.has_indirect_call, 0
	.section	.AMDGPU.csdata,"",@progbits
; Kernel info:
; codeLenInByte = 148820
; TotalNumSgprs: 21
; NumVgprs: 446
; ScratchSize: 528
; MemoryBound: 0
; FloatMode: 240
; IeeeMode: 1
; LDSByteSize: 1028 bytes/workgroup (compile time only)
; SGPRBlocks: 0
; VGPRBlocks: 27
; NumSGPRsForWavesPerEU: 21
; NumVGPRsForWavesPerEU: 446
; NamedBarCnt: 0
; Occupancy: 2
; WaveLimiterHint : 1
; COMPUTE_PGM_RSRC2:SCRATCH_EN: 1
; COMPUTE_PGM_RSRC2:USER_SGPR: 2
; COMPUTE_PGM_RSRC2:TRAP_HANDLER: 0
; COMPUTE_PGM_RSRC2:TGID_X_EN: 1
; COMPUTE_PGM_RSRC2:TGID_Y_EN: 0
; COMPUTE_PGM_RSRC2:TGID_Z_EN: 0
; COMPUTE_PGM_RSRC2:TIDIG_COMP_CNT: 0
	.section	.AMDGPU.gpr_maximums,"",@progbits
	.set amdgpu.max_num_vgpr, 0
	.set amdgpu.max_num_agpr, 0
	.set amdgpu.max_num_sgpr, 0
	.section	.AMDGPU.csdata,"",@progbits
	.type	__hip_cuid_2d0194304f9d7f00,@object ; @__hip_cuid_2d0194304f9d7f00
	.section	.bss,"aw",@nobits
	.globl	__hip_cuid_2d0194304f9d7f00
__hip_cuid_2d0194304f9d7f00:
	.byte	0                               ; 0x0
	.size	__hip_cuid_2d0194304f9d7f00, 1

	.ident	"AMD clang version 22.0.0git (https://github.com/RadeonOpenCompute/llvm-project roc-7.2.4 26084 f58b06dce1f9c15707c5f808fd002e18c2accf7e)"
	.section	".note.GNU-stack","",@progbits
	.addrsig
	.addrsig_sym __hip_cuid_2d0194304f9d7f00
	.amdgpu_metadata
---
amdhsa.kernels:
  - .args:
      - .address_space:  global
        .offset:         0
        .size:           8
        .value_kind:     global_buffer
      - .offset:         8
        .size:           4
        .value_kind:     by_value
      - .offset:         12
        .size:           4
        .value_kind:     by_value
      - .offset:         16
        .size:           8
        .value_kind:     by_value
      - .address_space:  global
        .offset:         24
        .size:           8
        .value_kind:     global_buffer
      - .offset:         32
        .size:           4
        .value_kind:     by_value
      - .offset:         40
        .size:           8
        .value_kind:     by_value
      - .address_space:  global
        .offset:         48
        .size:           8
        .value_kind:     global_buffer
      - .offset:         56
        .size:           1
        .value_kind:     by_value
      - .offset:         57
        .size:           1
        .value_kind:     by_value
    .group_segment_fixed_size: 4
    .kernarg_segment_align: 8
    .kernarg_segment_size: 60
    .language:       OpenCL C
    .language_version:
      - 2
      - 0
    .max_flat_workgroup_size: 64
    .name:           _ZN9rocsolver6v33100L18getri_kernel_smallILi1E19rocblas_complex_numIfEPS3_EEvT1_iilPiilS6_bb
    .private_segment_fixed_size: 0
    .sgpr_count:     17
    .sgpr_spill_count: 0
    .symbol:         _ZN9rocsolver6v33100L18getri_kernel_smallILi1E19rocblas_complex_numIfEPS3_EEvT1_iilPiilS6_bb.kd
    .uniform_work_group_size: 1
    .uses_dynamic_stack: false
    .vgpr_count:     7
    .vgpr_spill_count: 0
    .wavefront_size: 32
  - .args:
      - .address_space:  global
        .offset:         0
        .size:           8
        .value_kind:     global_buffer
      - .offset:         8
        .size:           4
        .value_kind:     by_value
      - .offset:         12
        .size:           4
        .value_kind:     by_value
      - .offset:         16
        .size:           8
        .value_kind:     by_value
      - .address_space:  global
        .offset:         24
        .size:           8
        .value_kind:     global_buffer
      - .offset:         32
        .size:           4
        .value_kind:     by_value
      - .offset:         40
        .size:           8
        .value_kind:     by_value
      - .address_space:  global
        .offset:         48
        .size:           8
        .value_kind:     global_buffer
      - .offset:         56
        .size:           1
        .value_kind:     by_value
      - .offset:         57
        .size:           1
        .value_kind:     by_value
    .group_segment_fixed_size: 36
    .kernarg_segment_align: 8
    .kernarg_segment_size: 60
    .language:       OpenCL C
    .language_version:
      - 2
      - 0
    .max_flat_workgroup_size: 64
    .name:           _ZN9rocsolver6v33100L18getri_kernel_smallILi2E19rocblas_complex_numIfEPS3_EEvT1_iilPiilS6_bb
    .private_segment_fixed_size: 32
    .sgpr_count:     22
    .sgpr_spill_count: 0
    .symbol:         _ZN9rocsolver6v33100L18getri_kernel_smallILi2E19rocblas_complex_numIfEPS3_EEvT1_iilPiilS6_bb.kd
    .uniform_work_group_size: 1
    .uses_dynamic_stack: false
    .vgpr_count:     16
    .vgpr_spill_count: 0
    .wavefront_size: 32
  - .args:
      - .address_space:  global
        .offset:         0
        .size:           8
        .value_kind:     global_buffer
      - .offset:         8
        .size:           4
        .value_kind:     by_value
      - .offset:         12
        .size:           4
        .value_kind:     by_value
      - .offset:         16
        .size:           8
        .value_kind:     by_value
      - .address_space:  global
        .offset:         24
        .size:           8
        .value_kind:     global_buffer
      - .offset:         32
        .size:           4
        .value_kind:     by_value
      - .offset:         40
        .size:           8
        .value_kind:     by_value
      - .address_space:  global
        .offset:         48
        .size:           8
        .value_kind:     global_buffer
      - .offset:         56
        .size:           1
        .value_kind:     by_value
      - .offset:         57
        .size:           1
        .value_kind:     by_value
    .group_segment_fixed_size: 56
    .kernarg_segment_align: 8
    .kernarg_segment_size: 60
    .language:       OpenCL C
    .language_version:
      - 2
      - 0
    .max_flat_workgroup_size: 64
    .name:           _ZN9rocsolver6v33100L18getri_kernel_smallILi3E19rocblas_complex_numIfEPS3_EEvT1_iilPiilS6_bb
    .private_segment_fixed_size: 32
    .sgpr_count:     22
    .sgpr_spill_count: 0
    .symbol:         _ZN9rocsolver6v33100L18getri_kernel_smallILi3E19rocblas_complex_numIfEPS3_EEvT1_iilPiilS6_bb.kd
    .uniform_work_group_size: 1
    .uses_dynamic_stack: false
    .vgpr_count:     24
    .vgpr_spill_count: 0
    .wavefront_size: 32
  - .args:
      - .address_space:  global
        .offset:         0
        .size:           8
        .value_kind:     global_buffer
      - .offset:         8
        .size:           4
        .value_kind:     by_value
      - .offset:         12
        .size:           4
        .value_kind:     by_value
      - .offset:         16
        .size:           8
        .value_kind:     by_value
      - .address_space:  global
        .offset:         24
        .size:           8
        .value_kind:     global_buffer
      - .offset:         32
        .size:           4
        .value_kind:     by_value
      - .offset:         40
        .size:           8
        .value_kind:     by_value
      - .address_space:  global
        .offset:         48
        .size:           8
        .value_kind:     global_buffer
      - .offset:         56
        .size:           1
        .value_kind:     by_value
      - .offset:         57
        .size:           1
        .value_kind:     by_value
    .group_segment_fixed_size: 68
    .kernarg_segment_align: 8
    .kernarg_segment_size: 60
    .language:       OpenCL C
    .language_version:
      - 2
      - 0
    .max_flat_workgroup_size: 64
    .name:           _ZN9rocsolver6v33100L18getri_kernel_smallILi4E19rocblas_complex_numIfEPS3_EEvT1_iilPiilS6_bb
    .private_segment_fixed_size: 48
    .sgpr_count:     22
    .sgpr_spill_count: 0
    .symbol:         _ZN9rocsolver6v33100L18getri_kernel_smallILi4E19rocblas_complex_numIfEPS3_EEvT1_iilPiilS6_bb.kd
    .uniform_work_group_size: 1
    .uses_dynamic_stack: false
    .vgpr_count:     32
    .vgpr_spill_count: 0
    .wavefront_size: 32
  - .args:
      - .address_space:  global
        .offset:         0
        .size:           8
        .value_kind:     global_buffer
      - .offset:         8
        .size:           4
        .value_kind:     by_value
      - .offset:         12
        .size:           4
        .value_kind:     by_value
      - .offset:         16
        .size:           8
        .value_kind:     by_value
      - .address_space:  global
        .offset:         24
        .size:           8
        .value_kind:     global_buffer
      - .offset:         32
        .size:           4
        .value_kind:     by_value
      - .offset:         40
        .size:           8
        .value_kind:     by_value
      - .address_space:  global
        .offset:         48
        .size:           8
        .value_kind:     global_buffer
      - .offset:         56
        .size:           1
        .value_kind:     by_value
      - .offset:         57
        .size:           1
        .value_kind:     by_value
    .group_segment_fixed_size: 88
    .kernarg_segment_align: 8
    .kernarg_segment_size: 60
    .language:       OpenCL C
    .language_version:
      - 2
      - 0
    .max_flat_workgroup_size: 64
    .name:           _ZN9rocsolver6v33100L18getri_kernel_smallILi5E19rocblas_complex_numIfEPS3_EEvT1_iilPiilS6_bb
    .private_segment_fixed_size: 48
    .sgpr_count:     21
    .sgpr_spill_count: 0
    .symbol:         _ZN9rocsolver6v33100L18getri_kernel_smallILi5E19rocblas_complex_numIfEPS3_EEvT1_iilPiilS6_bb.kd
    .uniform_work_group_size: 1
    .uses_dynamic_stack: false
    .vgpr_count:     38
    .vgpr_spill_count: 0
    .wavefront_size: 32
  - .args:
      - .address_space:  global
        .offset:         0
        .size:           8
        .value_kind:     global_buffer
      - .offset:         8
        .size:           4
        .value_kind:     by_value
      - .offset:         12
        .size:           4
        .value_kind:     by_value
      - .offset:         16
        .size:           8
        .value_kind:     by_value
      - .address_space:  global
        .offset:         24
        .size:           8
        .value_kind:     global_buffer
      - .offset:         32
        .size:           4
        .value_kind:     by_value
      - .offset:         40
        .size:           8
        .value_kind:     by_value
      - .address_space:  global
        .offset:         48
        .size:           8
        .value_kind:     global_buffer
      - .offset:         56
        .size:           1
        .value_kind:     by_value
      - .offset:         57
        .size:           1
        .value_kind:     by_value
    .group_segment_fixed_size: 100
    .kernarg_segment_align: 8
    .kernarg_segment_size: 60
    .language:       OpenCL C
    .language_version:
      - 2
      - 0
    .max_flat_workgroup_size: 64
    .name:           _ZN9rocsolver6v33100L18getri_kernel_smallILi6E19rocblas_complex_numIfEPS3_EEvT1_iilPiilS6_bb
    .private_segment_fixed_size: 64
    .sgpr_count:     21
    .sgpr_spill_count: 0
    .symbol:         _ZN9rocsolver6v33100L18getri_kernel_smallILi6E19rocblas_complex_numIfEPS3_EEvT1_iilPiilS6_bb.kd
    .uniform_work_group_size: 1
    .uses_dynamic_stack: false
    .vgpr_count:     46
    .vgpr_spill_count: 0
    .wavefront_size: 32
  - .args:
      - .address_space:  global
        .offset:         0
        .size:           8
        .value_kind:     global_buffer
      - .offset:         8
        .size:           4
        .value_kind:     by_value
      - .offset:         12
        .size:           4
        .value_kind:     by_value
      - .offset:         16
        .size:           8
        .value_kind:     by_value
      - .address_space:  global
        .offset:         24
        .size:           8
        .value_kind:     global_buffer
      - .offset:         32
        .size:           4
        .value_kind:     by_value
      - .offset:         40
        .size:           8
        .value_kind:     by_value
      - .address_space:  global
        .offset:         48
        .size:           8
        .value_kind:     global_buffer
      - .offset:         56
        .size:           1
        .value_kind:     by_value
      - .offset:         57
        .size:           1
        .value_kind:     by_value
    .group_segment_fixed_size: 120
    .kernarg_segment_align: 8
    .kernarg_segment_size: 60
    .language:       OpenCL C
    .language_version:
      - 2
      - 0
    .max_flat_workgroup_size: 64
    .name:           _ZN9rocsolver6v33100L18getri_kernel_smallILi7E19rocblas_complex_numIfEPS3_EEvT1_iilPiilS6_bb
    .private_segment_fixed_size: 64
    .sgpr_count:     21
    .sgpr_spill_count: 0
    .symbol:         _ZN9rocsolver6v33100L18getri_kernel_smallILi7E19rocblas_complex_numIfEPS3_EEvT1_iilPiilS6_bb.kd
    .uniform_work_group_size: 1
    .uses_dynamic_stack: false
    .vgpr_count:     56
    .vgpr_spill_count: 0
    .wavefront_size: 32
  - .args:
      - .address_space:  global
        .offset:         0
        .size:           8
        .value_kind:     global_buffer
      - .offset:         8
        .size:           4
        .value_kind:     by_value
      - .offset:         12
        .size:           4
        .value_kind:     by_value
      - .offset:         16
        .size:           8
        .value_kind:     by_value
      - .address_space:  global
        .offset:         24
        .size:           8
        .value_kind:     global_buffer
      - .offset:         32
        .size:           4
        .value_kind:     by_value
      - .offset:         40
        .size:           8
        .value_kind:     by_value
      - .address_space:  global
        .offset:         48
        .size:           8
        .value_kind:     global_buffer
      - .offset:         56
        .size:           1
        .value_kind:     by_value
      - .offset:         57
        .size:           1
        .value_kind:     by_value
    .group_segment_fixed_size: 132
    .kernarg_segment_align: 8
    .kernarg_segment_size: 60
    .language:       OpenCL C
    .language_version:
      - 2
      - 0
    .max_flat_workgroup_size: 64
    .name:           _ZN9rocsolver6v33100L18getri_kernel_smallILi8E19rocblas_complex_numIfEPS3_EEvT1_iilPiilS6_bb
    .private_segment_fixed_size: 80
    .sgpr_count:     21
    .sgpr_spill_count: 0
    .symbol:         _ZN9rocsolver6v33100L18getri_kernel_smallILi8E19rocblas_complex_numIfEPS3_EEvT1_iilPiilS6_bb.kd
    .uniform_work_group_size: 1
    .uses_dynamic_stack: false
    .vgpr_count:     64
    .vgpr_spill_count: 0
    .wavefront_size: 32
  - .args:
      - .address_space:  global
        .offset:         0
        .size:           8
        .value_kind:     global_buffer
      - .offset:         8
        .size:           4
        .value_kind:     by_value
      - .offset:         12
        .size:           4
        .value_kind:     by_value
      - .offset:         16
        .size:           8
        .value_kind:     by_value
      - .address_space:  global
        .offset:         24
        .size:           8
        .value_kind:     global_buffer
      - .offset:         32
        .size:           4
        .value_kind:     by_value
      - .offset:         40
        .size:           8
        .value_kind:     by_value
      - .address_space:  global
        .offset:         48
        .size:           8
        .value_kind:     global_buffer
      - .offset:         56
        .size:           1
        .value_kind:     by_value
      - .offset:         57
        .size:           1
        .value_kind:     by_value
    .group_segment_fixed_size: 152
    .kernarg_segment_align: 8
    .kernarg_segment_size: 60
    .language:       OpenCL C
    .language_version:
      - 2
      - 0
    .max_flat_workgroup_size: 64
    .name:           _ZN9rocsolver6v33100L18getri_kernel_smallILi9E19rocblas_complex_numIfEPS3_EEvT1_iilPiilS6_bb
    .private_segment_fixed_size: 80
    .sgpr_count:     21
    .sgpr_spill_count: 0
    .symbol:         _ZN9rocsolver6v33100L18getri_kernel_smallILi9E19rocblas_complex_numIfEPS3_EEvT1_iilPiilS6_bb.kd
    .uniform_work_group_size: 1
    .uses_dynamic_stack: false
    .vgpr_count:     64
    .vgpr_spill_count: 0
    .wavefront_size: 32
  - .args:
      - .address_space:  global
        .offset:         0
        .size:           8
        .value_kind:     global_buffer
      - .offset:         8
        .size:           4
        .value_kind:     by_value
      - .offset:         12
        .size:           4
        .value_kind:     by_value
      - .offset:         16
        .size:           8
        .value_kind:     by_value
      - .address_space:  global
        .offset:         24
        .size:           8
        .value_kind:     global_buffer
      - .offset:         32
        .size:           4
        .value_kind:     by_value
      - .offset:         40
        .size:           8
        .value_kind:     by_value
      - .address_space:  global
        .offset:         48
        .size:           8
        .value_kind:     global_buffer
      - .offset:         56
        .size:           1
        .value_kind:     by_value
      - .offset:         57
        .size:           1
        .value_kind:     by_value
    .group_segment_fixed_size: 164
    .kernarg_segment_align: 8
    .kernarg_segment_size: 60
    .language:       OpenCL C
    .language_version:
      - 2
      - 0
    .max_flat_workgroup_size: 64
    .name:           _ZN9rocsolver6v33100L18getri_kernel_smallILi10E19rocblas_complex_numIfEPS3_EEvT1_iilPiilS6_bb
    .private_segment_fixed_size: 96
    .sgpr_count:     21
    .sgpr_spill_count: 0
    .symbol:         _ZN9rocsolver6v33100L18getri_kernel_smallILi10E19rocblas_complex_numIfEPS3_EEvT1_iilPiilS6_bb.kd
    .uniform_work_group_size: 1
    .uses_dynamic_stack: false
    .vgpr_count:     78
    .vgpr_spill_count: 0
    .wavefront_size: 32
  - .args:
      - .address_space:  global
        .offset:         0
        .size:           8
        .value_kind:     global_buffer
      - .offset:         8
        .size:           4
        .value_kind:     by_value
      - .offset:         12
        .size:           4
        .value_kind:     by_value
      - .offset:         16
        .size:           8
        .value_kind:     by_value
      - .address_space:  global
        .offset:         24
        .size:           8
        .value_kind:     global_buffer
      - .offset:         32
        .size:           4
        .value_kind:     by_value
      - .offset:         40
        .size:           8
        .value_kind:     by_value
      - .address_space:  global
        .offset:         48
        .size:           8
        .value_kind:     global_buffer
      - .offset:         56
        .size:           1
        .value_kind:     by_value
      - .offset:         57
        .size:           1
        .value_kind:     by_value
    .group_segment_fixed_size: 184
    .kernarg_segment_align: 8
    .kernarg_segment_size: 60
    .language:       OpenCL C
    .language_version:
      - 2
      - 0
    .max_flat_workgroup_size: 64
    .name:           _ZN9rocsolver6v33100L18getri_kernel_smallILi11E19rocblas_complex_numIfEPS3_EEvT1_iilPiilS6_bb
    .private_segment_fixed_size: 96
    .sgpr_count:     21
    .sgpr_spill_count: 0
    .symbol:         _ZN9rocsolver6v33100L18getri_kernel_smallILi11E19rocblas_complex_numIfEPS3_EEvT1_iilPiilS6_bb.kd
    .uniform_work_group_size: 1
    .uses_dynamic_stack: false
    .vgpr_count:     86
    .vgpr_spill_count: 0
    .wavefront_size: 32
  - .args:
      - .address_space:  global
        .offset:         0
        .size:           8
        .value_kind:     global_buffer
      - .offset:         8
        .size:           4
        .value_kind:     by_value
      - .offset:         12
        .size:           4
        .value_kind:     by_value
      - .offset:         16
        .size:           8
        .value_kind:     by_value
      - .address_space:  global
        .offset:         24
        .size:           8
        .value_kind:     global_buffer
      - .offset:         32
        .size:           4
        .value_kind:     by_value
      - .offset:         40
        .size:           8
        .value_kind:     by_value
      - .address_space:  global
        .offset:         48
        .size:           8
        .value_kind:     global_buffer
      - .offset:         56
        .size:           1
        .value_kind:     by_value
      - .offset:         57
        .size:           1
        .value_kind:     by_value
    .group_segment_fixed_size: 196
    .kernarg_segment_align: 8
    .kernarg_segment_size: 60
    .language:       OpenCL C
    .language_version:
      - 2
      - 0
    .max_flat_workgroup_size: 64
    .name:           _ZN9rocsolver6v33100L18getri_kernel_smallILi12E19rocblas_complex_numIfEPS3_EEvT1_iilPiilS6_bb
    .private_segment_fixed_size: 112
    .sgpr_count:     21
    .sgpr_spill_count: 0
    .symbol:         _ZN9rocsolver6v33100L18getri_kernel_smallILi12E19rocblas_complex_numIfEPS3_EEvT1_iilPiilS6_bb.kd
    .uniform_work_group_size: 1
    .uses_dynamic_stack: false
    .vgpr_count:     90
    .vgpr_spill_count: 0
    .wavefront_size: 32
  - .args:
      - .address_space:  global
        .offset:         0
        .size:           8
        .value_kind:     global_buffer
      - .offset:         8
        .size:           4
        .value_kind:     by_value
      - .offset:         12
        .size:           4
        .value_kind:     by_value
      - .offset:         16
        .size:           8
        .value_kind:     by_value
      - .address_space:  global
        .offset:         24
        .size:           8
        .value_kind:     global_buffer
      - .offset:         32
        .size:           4
        .value_kind:     by_value
      - .offset:         40
        .size:           8
        .value_kind:     by_value
      - .address_space:  global
        .offset:         48
        .size:           8
        .value_kind:     global_buffer
      - .offset:         56
        .size:           1
        .value_kind:     by_value
      - .offset:         57
        .size:           1
        .value_kind:     by_value
    .group_segment_fixed_size: 216
    .kernarg_segment_align: 8
    .kernarg_segment_size: 60
    .language:       OpenCL C
    .language_version:
      - 2
      - 0
    .max_flat_workgroup_size: 64
    .name:           _ZN9rocsolver6v33100L18getri_kernel_smallILi13E19rocblas_complex_numIfEPS3_EEvT1_iilPiilS6_bb
    .private_segment_fixed_size: 112
    .sgpr_count:     21
    .sgpr_spill_count: 0
    .symbol:         _ZN9rocsolver6v33100L18getri_kernel_smallILi13E19rocblas_complex_numIfEPS3_EEvT1_iilPiilS6_bb.kd
    .uniform_work_group_size: 1
    .uses_dynamic_stack: false
    .vgpr_count:     94
    .vgpr_spill_count: 0
    .wavefront_size: 32
  - .args:
      - .address_space:  global
        .offset:         0
        .size:           8
        .value_kind:     global_buffer
      - .offset:         8
        .size:           4
        .value_kind:     by_value
      - .offset:         12
        .size:           4
        .value_kind:     by_value
      - .offset:         16
        .size:           8
        .value_kind:     by_value
      - .address_space:  global
        .offset:         24
        .size:           8
        .value_kind:     global_buffer
      - .offset:         32
        .size:           4
        .value_kind:     by_value
      - .offset:         40
        .size:           8
        .value_kind:     by_value
      - .address_space:  global
        .offset:         48
        .size:           8
        .value_kind:     global_buffer
      - .offset:         56
        .size:           1
        .value_kind:     by_value
      - .offset:         57
        .size:           1
        .value_kind:     by_value
    .group_segment_fixed_size: 228
    .kernarg_segment_align: 8
    .kernarg_segment_size: 60
    .language:       OpenCL C
    .language_version:
      - 2
      - 0
    .max_flat_workgroup_size: 64
    .name:           _ZN9rocsolver6v33100L18getri_kernel_smallILi14E19rocblas_complex_numIfEPS3_EEvT1_iilPiilS6_bb
    .private_segment_fixed_size: 128
    .sgpr_count:     21
    .sgpr_spill_count: 0
    .symbol:         _ZN9rocsolver6v33100L18getri_kernel_smallILi14E19rocblas_complex_numIfEPS3_EEvT1_iilPiilS6_bb.kd
    .uniform_work_group_size: 1
    .uses_dynamic_stack: false
    .vgpr_count:     99
    .vgpr_spill_count: 0
    .wavefront_size: 32
  - .args:
      - .address_space:  global
        .offset:         0
        .size:           8
        .value_kind:     global_buffer
      - .offset:         8
        .size:           4
        .value_kind:     by_value
      - .offset:         12
        .size:           4
        .value_kind:     by_value
      - .offset:         16
        .size:           8
        .value_kind:     by_value
      - .address_space:  global
        .offset:         24
        .size:           8
        .value_kind:     global_buffer
      - .offset:         32
        .size:           4
        .value_kind:     by_value
      - .offset:         40
        .size:           8
        .value_kind:     by_value
      - .address_space:  global
        .offset:         48
        .size:           8
        .value_kind:     global_buffer
      - .offset:         56
        .size:           1
        .value_kind:     by_value
      - .offset:         57
        .size:           1
        .value_kind:     by_value
    .group_segment_fixed_size: 248
    .kernarg_segment_align: 8
    .kernarg_segment_size: 60
    .language:       OpenCL C
    .language_version:
      - 2
      - 0
    .max_flat_workgroup_size: 64
    .name:           _ZN9rocsolver6v33100L18getri_kernel_smallILi15E19rocblas_complex_numIfEPS3_EEvT1_iilPiilS6_bb
    .private_segment_fixed_size: 128
    .sgpr_count:     21
    .sgpr_spill_count: 0
    .symbol:         _ZN9rocsolver6v33100L18getri_kernel_smallILi15E19rocblas_complex_numIfEPS3_EEvT1_iilPiilS6_bb.kd
    .uniform_work_group_size: 1
    .uses_dynamic_stack: false
    .vgpr_count:     104
    .vgpr_spill_count: 0
    .wavefront_size: 32
  - .args:
      - .address_space:  global
        .offset:         0
        .size:           8
        .value_kind:     global_buffer
      - .offset:         8
        .size:           4
        .value_kind:     by_value
      - .offset:         12
        .size:           4
        .value_kind:     by_value
      - .offset:         16
        .size:           8
        .value_kind:     by_value
      - .address_space:  global
        .offset:         24
        .size:           8
        .value_kind:     global_buffer
      - .offset:         32
        .size:           4
        .value_kind:     by_value
      - .offset:         40
        .size:           8
        .value_kind:     by_value
      - .address_space:  global
        .offset:         48
        .size:           8
        .value_kind:     global_buffer
      - .offset:         56
        .size:           1
        .value_kind:     by_value
      - .offset:         57
        .size:           1
        .value_kind:     by_value
    .group_segment_fixed_size: 260
    .kernarg_segment_align: 8
    .kernarg_segment_size: 60
    .language:       OpenCL C
    .language_version:
      - 2
      - 0
    .max_flat_workgroup_size: 64
    .name:           _ZN9rocsolver6v33100L18getri_kernel_smallILi16E19rocblas_complex_numIfEPS3_EEvT1_iilPiilS6_bb
    .private_segment_fixed_size: 144
    .sgpr_count:     21
    .sgpr_spill_count: 0
    .symbol:         _ZN9rocsolver6v33100L18getri_kernel_smallILi16E19rocblas_complex_numIfEPS3_EEvT1_iilPiilS6_bb.kd
    .uniform_work_group_size: 1
    .uses_dynamic_stack: false
    .vgpr_count:     110
    .vgpr_spill_count: 0
    .wavefront_size: 32
  - .args:
      - .address_space:  global
        .offset:         0
        .size:           8
        .value_kind:     global_buffer
      - .offset:         8
        .size:           4
        .value_kind:     by_value
      - .offset:         12
        .size:           4
        .value_kind:     by_value
      - .offset:         16
        .size:           8
        .value_kind:     by_value
      - .address_space:  global
        .offset:         24
        .size:           8
        .value_kind:     global_buffer
      - .offset:         32
        .size:           4
        .value_kind:     by_value
      - .offset:         40
        .size:           8
        .value_kind:     by_value
      - .address_space:  global
        .offset:         48
        .size:           8
        .value_kind:     global_buffer
      - .offset:         56
        .size:           1
        .value_kind:     by_value
      - .offset:         57
        .size:           1
        .value_kind:     by_value
    .group_segment_fixed_size: 280
    .kernarg_segment_align: 8
    .kernarg_segment_size: 60
    .language:       OpenCL C
    .language_version:
      - 2
      - 0
    .max_flat_workgroup_size: 64
    .name:           _ZN9rocsolver6v33100L18getri_kernel_smallILi17E19rocblas_complex_numIfEPS3_EEvT1_iilPiilS6_bb
    .private_segment_fixed_size: 144
    .sgpr_count:     21
    .sgpr_spill_count: 0
    .symbol:         _ZN9rocsolver6v33100L18getri_kernel_smallILi17E19rocblas_complex_numIfEPS3_EEvT1_iilPiilS6_bb.kd
    .uniform_work_group_size: 1
    .uses_dynamic_stack: false
    .vgpr_count:     116
    .vgpr_spill_count: 0
    .wavefront_size: 32
  - .args:
      - .address_space:  global
        .offset:         0
        .size:           8
        .value_kind:     global_buffer
      - .offset:         8
        .size:           4
        .value_kind:     by_value
      - .offset:         12
        .size:           4
        .value_kind:     by_value
      - .offset:         16
        .size:           8
        .value_kind:     by_value
      - .address_space:  global
        .offset:         24
        .size:           8
        .value_kind:     global_buffer
      - .offset:         32
        .size:           4
        .value_kind:     by_value
      - .offset:         40
        .size:           8
        .value_kind:     by_value
      - .address_space:  global
        .offset:         48
        .size:           8
        .value_kind:     global_buffer
      - .offset:         56
        .size:           1
        .value_kind:     by_value
      - .offset:         57
        .size:           1
        .value_kind:     by_value
    .group_segment_fixed_size: 292
    .kernarg_segment_align: 8
    .kernarg_segment_size: 60
    .language:       OpenCL C
    .language_version:
      - 2
      - 0
    .max_flat_workgroup_size: 64
    .name:           _ZN9rocsolver6v33100L18getri_kernel_smallILi18E19rocblas_complex_numIfEPS3_EEvT1_iilPiilS6_bb
    .private_segment_fixed_size: 160
    .sgpr_count:     21
    .sgpr_spill_count: 0
    .symbol:         _ZN9rocsolver6v33100L18getri_kernel_smallILi18E19rocblas_complex_numIfEPS3_EEvT1_iilPiilS6_bb.kd
    .uniform_work_group_size: 1
    .uses_dynamic_stack: false
    .vgpr_count:     124
    .vgpr_spill_count: 0
    .wavefront_size: 32
  - .args:
      - .address_space:  global
        .offset:         0
        .size:           8
        .value_kind:     global_buffer
      - .offset:         8
        .size:           4
        .value_kind:     by_value
      - .offset:         12
        .size:           4
        .value_kind:     by_value
      - .offset:         16
        .size:           8
        .value_kind:     by_value
      - .address_space:  global
        .offset:         24
        .size:           8
        .value_kind:     global_buffer
      - .offset:         32
        .size:           4
        .value_kind:     by_value
      - .offset:         40
        .size:           8
        .value_kind:     by_value
      - .address_space:  global
        .offset:         48
        .size:           8
        .value_kind:     global_buffer
      - .offset:         56
        .size:           1
        .value_kind:     by_value
      - .offset:         57
        .size:           1
        .value_kind:     by_value
    .group_segment_fixed_size: 312
    .kernarg_segment_align: 8
    .kernarg_segment_size: 60
    .language:       OpenCL C
    .language_version:
      - 2
      - 0
    .max_flat_workgroup_size: 64
    .name:           _ZN9rocsolver6v33100L18getri_kernel_smallILi19E19rocblas_complex_numIfEPS3_EEvT1_iilPiilS6_bb
    .private_segment_fixed_size: 160
    .sgpr_count:     21
    .sgpr_spill_count: 0
    .symbol:         _ZN9rocsolver6v33100L18getri_kernel_smallILi19E19rocblas_complex_numIfEPS3_EEvT1_iilPiilS6_bb.kd
    .uniform_work_group_size: 1
    .uses_dynamic_stack: false
    .vgpr_count:     130
    .vgpr_spill_count: 0
    .wavefront_size: 32
  - .args:
      - .address_space:  global
        .offset:         0
        .size:           8
        .value_kind:     global_buffer
      - .offset:         8
        .size:           4
        .value_kind:     by_value
      - .offset:         12
        .size:           4
        .value_kind:     by_value
      - .offset:         16
        .size:           8
        .value_kind:     by_value
      - .address_space:  global
        .offset:         24
        .size:           8
        .value_kind:     global_buffer
      - .offset:         32
        .size:           4
        .value_kind:     by_value
      - .offset:         40
        .size:           8
        .value_kind:     by_value
      - .address_space:  global
        .offset:         48
        .size:           8
        .value_kind:     global_buffer
      - .offset:         56
        .size:           1
        .value_kind:     by_value
      - .offset:         57
        .size:           1
        .value_kind:     by_value
    .group_segment_fixed_size: 324
    .kernarg_segment_align: 8
    .kernarg_segment_size: 60
    .language:       OpenCL C
    .language_version:
      - 2
      - 0
    .max_flat_workgroup_size: 64
    .name:           _ZN9rocsolver6v33100L18getri_kernel_smallILi20E19rocblas_complex_numIfEPS3_EEvT1_iilPiilS6_bb
    .private_segment_fixed_size: 176
    .sgpr_count:     21
    .sgpr_spill_count: 0
    .symbol:         _ZN9rocsolver6v33100L18getri_kernel_smallILi20E19rocblas_complex_numIfEPS3_EEvT1_iilPiilS6_bb.kd
    .uniform_work_group_size: 1
    .uses_dynamic_stack: false
    .vgpr_count:     138
    .vgpr_spill_count: 0
    .wavefront_size: 32
  - .args:
      - .address_space:  global
        .offset:         0
        .size:           8
        .value_kind:     global_buffer
      - .offset:         8
        .size:           4
        .value_kind:     by_value
      - .offset:         12
        .size:           4
        .value_kind:     by_value
      - .offset:         16
        .size:           8
        .value_kind:     by_value
      - .address_space:  global
        .offset:         24
        .size:           8
        .value_kind:     global_buffer
      - .offset:         32
        .size:           4
        .value_kind:     by_value
      - .offset:         40
        .size:           8
        .value_kind:     by_value
      - .address_space:  global
        .offset:         48
        .size:           8
        .value_kind:     global_buffer
      - .offset:         56
        .size:           1
        .value_kind:     by_value
      - .offset:         57
        .size:           1
        .value_kind:     by_value
    .group_segment_fixed_size: 344
    .kernarg_segment_align: 8
    .kernarg_segment_size: 60
    .language:       OpenCL C
    .language_version:
      - 2
      - 0
    .max_flat_workgroup_size: 64
    .name:           _ZN9rocsolver6v33100L18getri_kernel_smallILi21E19rocblas_complex_numIfEPS3_EEvT1_iilPiilS6_bb
    .private_segment_fixed_size: 176
    .sgpr_count:     21
    .sgpr_spill_count: 0
    .symbol:         _ZN9rocsolver6v33100L18getri_kernel_smallILi21E19rocblas_complex_numIfEPS3_EEvT1_iilPiilS6_bb.kd
    .uniform_work_group_size: 1
    .uses_dynamic_stack: false
    .vgpr_count:     144
    .vgpr_spill_count: 0
    .wavefront_size: 32
  - .args:
      - .address_space:  global
        .offset:         0
        .size:           8
        .value_kind:     global_buffer
      - .offset:         8
        .size:           4
        .value_kind:     by_value
      - .offset:         12
        .size:           4
        .value_kind:     by_value
      - .offset:         16
        .size:           8
        .value_kind:     by_value
      - .address_space:  global
        .offset:         24
        .size:           8
        .value_kind:     global_buffer
      - .offset:         32
        .size:           4
        .value_kind:     by_value
      - .offset:         40
        .size:           8
        .value_kind:     by_value
      - .address_space:  global
        .offset:         48
        .size:           8
        .value_kind:     global_buffer
      - .offset:         56
        .size:           1
        .value_kind:     by_value
      - .offset:         57
        .size:           1
        .value_kind:     by_value
    .group_segment_fixed_size: 356
    .kernarg_segment_align: 8
    .kernarg_segment_size: 60
    .language:       OpenCL C
    .language_version:
      - 2
      - 0
    .max_flat_workgroup_size: 64
    .name:           _ZN9rocsolver6v33100L18getri_kernel_smallILi22E19rocblas_complex_numIfEPS3_EEvT1_iilPiilS6_bb
    .private_segment_fixed_size: 192
    .sgpr_count:     21
    .sgpr_spill_count: 0
    .symbol:         _ZN9rocsolver6v33100L18getri_kernel_smallILi22E19rocblas_complex_numIfEPS3_EEvT1_iilPiilS6_bb.kd
    .uniform_work_group_size: 1
    .uses_dynamic_stack: false
    .vgpr_count:     152
    .vgpr_spill_count: 0
    .wavefront_size: 32
  - .args:
      - .address_space:  global
        .offset:         0
        .size:           8
        .value_kind:     global_buffer
      - .offset:         8
        .size:           4
        .value_kind:     by_value
      - .offset:         12
        .size:           4
        .value_kind:     by_value
      - .offset:         16
        .size:           8
        .value_kind:     by_value
      - .address_space:  global
        .offset:         24
        .size:           8
        .value_kind:     global_buffer
      - .offset:         32
        .size:           4
        .value_kind:     by_value
      - .offset:         40
        .size:           8
        .value_kind:     by_value
      - .address_space:  global
        .offset:         48
        .size:           8
        .value_kind:     global_buffer
      - .offset:         56
        .size:           1
        .value_kind:     by_value
      - .offset:         57
        .size:           1
        .value_kind:     by_value
    .group_segment_fixed_size: 376
    .kernarg_segment_align: 8
    .kernarg_segment_size: 60
    .language:       OpenCL C
    .language_version:
      - 2
      - 0
    .max_flat_workgroup_size: 64
    .name:           _ZN9rocsolver6v33100L18getri_kernel_smallILi23E19rocblas_complex_numIfEPS3_EEvT1_iilPiilS6_bb
    .private_segment_fixed_size: 192
    .sgpr_count:     21
    .sgpr_spill_count: 0
    .symbol:         _ZN9rocsolver6v33100L18getri_kernel_smallILi23E19rocblas_complex_numIfEPS3_EEvT1_iilPiilS6_bb.kd
    .uniform_work_group_size: 1
    .uses_dynamic_stack: false
    .vgpr_count:     158
    .vgpr_spill_count: 0
    .wavefront_size: 32
  - .args:
      - .address_space:  global
        .offset:         0
        .size:           8
        .value_kind:     global_buffer
      - .offset:         8
        .size:           4
        .value_kind:     by_value
      - .offset:         12
        .size:           4
        .value_kind:     by_value
      - .offset:         16
        .size:           8
        .value_kind:     by_value
      - .address_space:  global
        .offset:         24
        .size:           8
        .value_kind:     global_buffer
      - .offset:         32
        .size:           4
        .value_kind:     by_value
      - .offset:         40
        .size:           8
        .value_kind:     by_value
      - .address_space:  global
        .offset:         48
        .size:           8
        .value_kind:     global_buffer
      - .offset:         56
        .size:           1
        .value_kind:     by_value
      - .offset:         57
        .size:           1
        .value_kind:     by_value
    .group_segment_fixed_size: 388
    .kernarg_segment_align: 8
    .kernarg_segment_size: 60
    .language:       OpenCL C
    .language_version:
      - 2
      - 0
    .max_flat_workgroup_size: 64
    .name:           _ZN9rocsolver6v33100L18getri_kernel_smallILi24E19rocblas_complex_numIfEPS3_EEvT1_iilPiilS6_bb
    .private_segment_fixed_size: 208
    .sgpr_count:     21
    .sgpr_spill_count: 0
    .symbol:         _ZN9rocsolver6v33100L18getri_kernel_smallILi24E19rocblas_complex_numIfEPS3_EEvT1_iilPiilS6_bb.kd
    .uniform_work_group_size: 1
    .uses_dynamic_stack: false
    .vgpr_count:     166
    .vgpr_spill_count: 0
    .wavefront_size: 32
  - .args:
      - .address_space:  global
        .offset:         0
        .size:           8
        .value_kind:     global_buffer
      - .offset:         8
        .size:           4
        .value_kind:     by_value
      - .offset:         12
        .size:           4
        .value_kind:     by_value
      - .offset:         16
        .size:           8
        .value_kind:     by_value
      - .address_space:  global
        .offset:         24
        .size:           8
        .value_kind:     global_buffer
      - .offset:         32
        .size:           4
        .value_kind:     by_value
      - .offset:         40
        .size:           8
        .value_kind:     by_value
      - .address_space:  global
        .offset:         48
        .size:           8
        .value_kind:     global_buffer
      - .offset:         56
        .size:           1
        .value_kind:     by_value
      - .offset:         57
        .size:           1
        .value_kind:     by_value
    .group_segment_fixed_size: 408
    .kernarg_segment_align: 8
    .kernarg_segment_size: 60
    .language:       OpenCL C
    .language_version:
      - 2
      - 0
    .max_flat_workgroup_size: 64
    .name:           _ZN9rocsolver6v33100L18getri_kernel_smallILi25E19rocblas_complex_numIfEPS3_EEvT1_iilPiilS6_bb
    .private_segment_fixed_size: 208
    .sgpr_count:     21
    .sgpr_spill_count: 0
    .symbol:         _ZN9rocsolver6v33100L18getri_kernel_smallILi25E19rocblas_complex_numIfEPS3_EEvT1_iilPiilS6_bb.kd
    .uniform_work_group_size: 1
    .uses_dynamic_stack: false
    .vgpr_count:     172
    .vgpr_spill_count: 0
    .wavefront_size: 32
  - .args:
      - .address_space:  global
        .offset:         0
        .size:           8
        .value_kind:     global_buffer
      - .offset:         8
        .size:           4
        .value_kind:     by_value
      - .offset:         12
        .size:           4
        .value_kind:     by_value
      - .offset:         16
        .size:           8
        .value_kind:     by_value
      - .address_space:  global
        .offset:         24
        .size:           8
        .value_kind:     global_buffer
      - .offset:         32
        .size:           4
        .value_kind:     by_value
      - .offset:         40
        .size:           8
        .value_kind:     by_value
      - .address_space:  global
        .offset:         48
        .size:           8
        .value_kind:     global_buffer
      - .offset:         56
        .size:           1
        .value_kind:     by_value
      - .offset:         57
        .size:           1
        .value_kind:     by_value
    .group_segment_fixed_size: 420
    .kernarg_segment_align: 8
    .kernarg_segment_size: 60
    .language:       OpenCL C
    .language_version:
      - 2
      - 0
    .max_flat_workgroup_size: 64
    .name:           _ZN9rocsolver6v33100L18getri_kernel_smallILi26E19rocblas_complex_numIfEPS3_EEvT1_iilPiilS6_bb
    .private_segment_fixed_size: 224
    .sgpr_count:     21
    .sgpr_spill_count: 0
    .symbol:         _ZN9rocsolver6v33100L18getri_kernel_smallILi26E19rocblas_complex_numIfEPS3_EEvT1_iilPiilS6_bb.kd
    .uniform_work_group_size: 1
    .uses_dynamic_stack: false
    .vgpr_count:     180
    .vgpr_spill_count: 0
    .wavefront_size: 32
  - .args:
      - .address_space:  global
        .offset:         0
        .size:           8
        .value_kind:     global_buffer
      - .offset:         8
        .size:           4
        .value_kind:     by_value
      - .offset:         12
        .size:           4
        .value_kind:     by_value
      - .offset:         16
        .size:           8
        .value_kind:     by_value
      - .address_space:  global
        .offset:         24
        .size:           8
        .value_kind:     global_buffer
      - .offset:         32
        .size:           4
        .value_kind:     by_value
      - .offset:         40
        .size:           8
        .value_kind:     by_value
      - .address_space:  global
        .offset:         48
        .size:           8
        .value_kind:     global_buffer
      - .offset:         56
        .size:           1
        .value_kind:     by_value
      - .offset:         57
        .size:           1
        .value_kind:     by_value
    .group_segment_fixed_size: 440
    .kernarg_segment_align: 8
    .kernarg_segment_size: 60
    .language:       OpenCL C
    .language_version:
      - 2
      - 0
    .max_flat_workgroup_size: 64
    .name:           _ZN9rocsolver6v33100L18getri_kernel_smallILi27E19rocblas_complex_numIfEPS3_EEvT1_iilPiilS6_bb
    .private_segment_fixed_size: 224
    .sgpr_count:     21
    .sgpr_spill_count: 0
    .symbol:         _ZN9rocsolver6v33100L18getri_kernel_smallILi27E19rocblas_complex_numIfEPS3_EEvT1_iilPiilS6_bb.kd
    .uniform_work_group_size: 1
    .uses_dynamic_stack: false
    .vgpr_count:     186
    .vgpr_spill_count: 0
    .wavefront_size: 32
  - .args:
      - .address_space:  global
        .offset:         0
        .size:           8
        .value_kind:     global_buffer
      - .offset:         8
        .size:           4
        .value_kind:     by_value
      - .offset:         12
        .size:           4
        .value_kind:     by_value
      - .offset:         16
        .size:           8
        .value_kind:     by_value
      - .address_space:  global
        .offset:         24
        .size:           8
        .value_kind:     global_buffer
      - .offset:         32
        .size:           4
        .value_kind:     by_value
      - .offset:         40
        .size:           8
        .value_kind:     by_value
      - .address_space:  global
        .offset:         48
        .size:           8
        .value_kind:     global_buffer
      - .offset:         56
        .size:           1
        .value_kind:     by_value
      - .offset:         57
        .size:           1
        .value_kind:     by_value
    .group_segment_fixed_size: 452
    .kernarg_segment_align: 8
    .kernarg_segment_size: 60
    .language:       OpenCL C
    .language_version:
      - 2
      - 0
    .max_flat_workgroup_size: 64
    .name:           _ZN9rocsolver6v33100L18getri_kernel_smallILi28E19rocblas_complex_numIfEPS3_EEvT1_iilPiilS6_bb
    .private_segment_fixed_size: 240
    .sgpr_count:     21
    .sgpr_spill_count: 0
    .symbol:         _ZN9rocsolver6v33100L18getri_kernel_smallILi28E19rocblas_complex_numIfEPS3_EEvT1_iilPiilS6_bb.kd
    .uniform_work_group_size: 1
    .uses_dynamic_stack: false
    .vgpr_count:     194
    .vgpr_spill_count: 0
    .wavefront_size: 32
  - .args:
      - .address_space:  global
        .offset:         0
        .size:           8
        .value_kind:     global_buffer
      - .offset:         8
        .size:           4
        .value_kind:     by_value
      - .offset:         12
        .size:           4
        .value_kind:     by_value
      - .offset:         16
        .size:           8
        .value_kind:     by_value
      - .address_space:  global
        .offset:         24
        .size:           8
        .value_kind:     global_buffer
      - .offset:         32
        .size:           4
        .value_kind:     by_value
      - .offset:         40
        .size:           8
        .value_kind:     by_value
      - .address_space:  global
        .offset:         48
        .size:           8
        .value_kind:     global_buffer
      - .offset:         56
        .size:           1
        .value_kind:     by_value
      - .offset:         57
        .size:           1
        .value_kind:     by_value
    .group_segment_fixed_size: 472
    .kernarg_segment_align: 8
    .kernarg_segment_size: 60
    .language:       OpenCL C
    .language_version:
      - 2
      - 0
    .max_flat_workgroup_size: 64
    .name:           _ZN9rocsolver6v33100L18getri_kernel_smallILi29E19rocblas_complex_numIfEPS3_EEvT1_iilPiilS6_bb
    .private_segment_fixed_size: 240
    .sgpr_count:     21
    .sgpr_spill_count: 0
    .symbol:         _ZN9rocsolver6v33100L18getri_kernel_smallILi29E19rocblas_complex_numIfEPS3_EEvT1_iilPiilS6_bb.kd
    .uniform_work_group_size: 1
    .uses_dynamic_stack: false
    .vgpr_count:     200
    .vgpr_spill_count: 0
    .wavefront_size: 32
  - .args:
      - .address_space:  global
        .offset:         0
        .size:           8
        .value_kind:     global_buffer
      - .offset:         8
        .size:           4
        .value_kind:     by_value
      - .offset:         12
        .size:           4
        .value_kind:     by_value
      - .offset:         16
        .size:           8
        .value_kind:     by_value
      - .address_space:  global
        .offset:         24
        .size:           8
        .value_kind:     global_buffer
      - .offset:         32
        .size:           4
        .value_kind:     by_value
      - .offset:         40
        .size:           8
        .value_kind:     by_value
      - .address_space:  global
        .offset:         48
        .size:           8
        .value_kind:     global_buffer
      - .offset:         56
        .size:           1
        .value_kind:     by_value
      - .offset:         57
        .size:           1
        .value_kind:     by_value
    .group_segment_fixed_size: 484
    .kernarg_segment_align: 8
    .kernarg_segment_size: 60
    .language:       OpenCL C
    .language_version:
      - 2
      - 0
    .max_flat_workgroup_size: 64
    .name:           _ZN9rocsolver6v33100L18getri_kernel_smallILi30E19rocblas_complex_numIfEPS3_EEvT1_iilPiilS6_bb
    .private_segment_fixed_size: 256
    .sgpr_count:     21
    .sgpr_spill_count: 0
    .symbol:         _ZN9rocsolver6v33100L18getri_kernel_smallILi30E19rocblas_complex_numIfEPS3_EEvT1_iilPiilS6_bb.kd
    .uniform_work_group_size: 1
    .uses_dynamic_stack: false
    .vgpr_count:     208
    .vgpr_spill_count: 0
    .wavefront_size: 32
  - .args:
      - .address_space:  global
        .offset:         0
        .size:           8
        .value_kind:     global_buffer
      - .offset:         8
        .size:           4
        .value_kind:     by_value
      - .offset:         12
        .size:           4
        .value_kind:     by_value
      - .offset:         16
        .size:           8
        .value_kind:     by_value
      - .address_space:  global
        .offset:         24
        .size:           8
        .value_kind:     global_buffer
      - .offset:         32
        .size:           4
        .value_kind:     by_value
      - .offset:         40
        .size:           8
        .value_kind:     by_value
      - .address_space:  global
        .offset:         48
        .size:           8
        .value_kind:     global_buffer
      - .offset:         56
        .size:           1
        .value_kind:     by_value
      - .offset:         57
        .size:           1
        .value_kind:     by_value
    .group_segment_fixed_size: 504
    .kernarg_segment_align: 8
    .kernarg_segment_size: 60
    .language:       OpenCL C
    .language_version:
      - 2
      - 0
    .max_flat_workgroup_size: 64
    .name:           _ZN9rocsolver6v33100L18getri_kernel_smallILi31E19rocblas_complex_numIfEPS3_EEvT1_iilPiilS6_bb
    .private_segment_fixed_size: 256
    .sgpr_count:     21
    .sgpr_spill_count: 0
    .symbol:         _ZN9rocsolver6v33100L18getri_kernel_smallILi31E19rocblas_complex_numIfEPS3_EEvT1_iilPiilS6_bb.kd
    .uniform_work_group_size: 1
    .uses_dynamic_stack: false
    .vgpr_count:     214
    .vgpr_spill_count: 0
    .wavefront_size: 32
  - .args:
      - .address_space:  global
        .offset:         0
        .size:           8
        .value_kind:     global_buffer
      - .offset:         8
        .size:           4
        .value_kind:     by_value
      - .offset:         12
        .size:           4
        .value_kind:     by_value
      - .offset:         16
        .size:           8
        .value_kind:     by_value
      - .address_space:  global
        .offset:         24
        .size:           8
        .value_kind:     global_buffer
      - .offset:         32
        .size:           4
        .value_kind:     by_value
      - .offset:         40
        .size:           8
        .value_kind:     by_value
      - .address_space:  global
        .offset:         48
        .size:           8
        .value_kind:     global_buffer
      - .offset:         56
        .size:           1
        .value_kind:     by_value
      - .offset:         57
        .size:           1
        .value_kind:     by_value
    .group_segment_fixed_size: 516
    .kernarg_segment_align: 8
    .kernarg_segment_size: 60
    .language:       OpenCL C
    .language_version:
      - 2
      - 0
    .max_flat_workgroup_size: 64
    .name:           _ZN9rocsolver6v33100L18getri_kernel_smallILi32E19rocblas_complex_numIfEPS3_EEvT1_iilPiilS6_bb
    .private_segment_fixed_size: 272
    .sgpr_count:     21
    .sgpr_spill_count: 0
    .symbol:         _ZN9rocsolver6v33100L18getri_kernel_smallILi32E19rocblas_complex_numIfEPS3_EEvT1_iilPiilS6_bb.kd
    .uniform_work_group_size: 1
    .uses_dynamic_stack: false
    .vgpr_count:     222
    .vgpr_spill_count: 0
    .wavefront_size: 32
  - .args:
      - .address_space:  global
        .offset:         0
        .size:           8
        .value_kind:     global_buffer
      - .offset:         8
        .size:           4
        .value_kind:     by_value
      - .offset:         12
        .size:           4
        .value_kind:     by_value
      - .offset:         16
        .size:           8
        .value_kind:     by_value
      - .address_space:  global
        .offset:         24
        .size:           8
        .value_kind:     global_buffer
      - .offset:         32
        .size:           4
        .value_kind:     by_value
      - .offset:         40
        .size:           8
        .value_kind:     by_value
      - .address_space:  global
        .offset:         48
        .size:           8
        .value_kind:     global_buffer
      - .offset:         56
        .size:           1
        .value_kind:     by_value
      - .offset:         57
        .size:           1
        .value_kind:     by_value
    .group_segment_fixed_size: 536
    .kernarg_segment_align: 8
    .kernarg_segment_size: 60
    .language:       OpenCL C
    .language_version:
      - 2
      - 0
    .max_flat_workgroup_size: 64
    .name:           _ZN9rocsolver6v33100L18getri_kernel_smallILi33E19rocblas_complex_numIfEPS3_EEvT1_iilPiilS6_bb
    .private_segment_fixed_size: 272
    .sgpr_count:     21
    .sgpr_spill_count: 0
    .symbol:         _ZN9rocsolver6v33100L18getri_kernel_smallILi33E19rocblas_complex_numIfEPS3_EEvT1_iilPiilS6_bb.kd
    .uniform_work_group_size: 1
    .uses_dynamic_stack: false
    .vgpr_count:     228
    .vgpr_spill_count: 0
    .wavefront_size: 32
  - .args:
      - .address_space:  global
        .offset:         0
        .size:           8
        .value_kind:     global_buffer
      - .offset:         8
        .size:           4
        .value_kind:     by_value
      - .offset:         12
        .size:           4
        .value_kind:     by_value
      - .offset:         16
        .size:           8
        .value_kind:     by_value
      - .address_space:  global
        .offset:         24
        .size:           8
        .value_kind:     global_buffer
      - .offset:         32
        .size:           4
        .value_kind:     by_value
      - .offset:         40
        .size:           8
        .value_kind:     by_value
      - .address_space:  global
        .offset:         48
        .size:           8
        .value_kind:     global_buffer
      - .offset:         56
        .size:           1
        .value_kind:     by_value
      - .offset:         57
        .size:           1
        .value_kind:     by_value
    .group_segment_fixed_size: 548
    .kernarg_segment_align: 8
    .kernarg_segment_size: 60
    .language:       OpenCL C
    .language_version:
      - 2
      - 0
    .max_flat_workgroup_size: 64
    .name:           _ZN9rocsolver6v33100L18getri_kernel_smallILi34E19rocblas_complex_numIfEPS3_EEvT1_iilPiilS6_bb
    .private_segment_fixed_size: 288
    .sgpr_count:     21
    .sgpr_spill_count: 0
    .symbol:         _ZN9rocsolver6v33100L18getri_kernel_smallILi34E19rocblas_complex_numIfEPS3_EEvT1_iilPiilS6_bb.kd
    .uniform_work_group_size: 1
    .uses_dynamic_stack: false
    .vgpr_count:     236
    .vgpr_spill_count: 0
    .wavefront_size: 32
  - .args:
      - .address_space:  global
        .offset:         0
        .size:           8
        .value_kind:     global_buffer
      - .offset:         8
        .size:           4
        .value_kind:     by_value
      - .offset:         12
        .size:           4
        .value_kind:     by_value
      - .offset:         16
        .size:           8
        .value_kind:     by_value
      - .address_space:  global
        .offset:         24
        .size:           8
        .value_kind:     global_buffer
      - .offset:         32
        .size:           4
        .value_kind:     by_value
      - .offset:         40
        .size:           8
        .value_kind:     by_value
      - .address_space:  global
        .offset:         48
        .size:           8
        .value_kind:     global_buffer
      - .offset:         56
        .size:           1
        .value_kind:     by_value
      - .offset:         57
        .size:           1
        .value_kind:     by_value
    .group_segment_fixed_size: 568
    .kernarg_segment_align: 8
    .kernarg_segment_size: 60
    .language:       OpenCL C
    .language_version:
      - 2
      - 0
    .max_flat_workgroup_size: 64
    .name:           _ZN9rocsolver6v33100L18getri_kernel_smallILi35E19rocblas_complex_numIfEPS3_EEvT1_iilPiilS6_bb
    .private_segment_fixed_size: 288
    .sgpr_count:     21
    .sgpr_spill_count: 0
    .symbol:         _ZN9rocsolver6v33100L18getri_kernel_smallILi35E19rocblas_complex_numIfEPS3_EEvT1_iilPiilS6_bb.kd
    .uniform_work_group_size: 1
    .uses_dynamic_stack: false
    .vgpr_count:     242
    .vgpr_spill_count: 0
    .wavefront_size: 32
  - .args:
      - .address_space:  global
        .offset:         0
        .size:           8
        .value_kind:     global_buffer
      - .offset:         8
        .size:           4
        .value_kind:     by_value
      - .offset:         12
        .size:           4
        .value_kind:     by_value
      - .offset:         16
        .size:           8
        .value_kind:     by_value
      - .address_space:  global
        .offset:         24
        .size:           8
        .value_kind:     global_buffer
      - .offset:         32
        .size:           4
        .value_kind:     by_value
      - .offset:         40
        .size:           8
        .value_kind:     by_value
      - .address_space:  global
        .offset:         48
        .size:           8
        .value_kind:     global_buffer
      - .offset:         56
        .size:           1
        .value_kind:     by_value
      - .offset:         57
        .size:           1
        .value_kind:     by_value
    .group_segment_fixed_size: 580
    .kernarg_segment_align: 8
    .kernarg_segment_size: 60
    .language:       OpenCL C
    .language_version:
      - 2
      - 0
    .max_flat_workgroup_size: 64
    .name:           _ZN9rocsolver6v33100L18getri_kernel_smallILi36E19rocblas_complex_numIfEPS3_EEvT1_iilPiilS6_bb
    .private_segment_fixed_size: 304
    .sgpr_count:     21
    .sgpr_spill_count: 0
    .symbol:         _ZN9rocsolver6v33100L18getri_kernel_smallILi36E19rocblas_complex_numIfEPS3_EEvT1_iilPiilS6_bb.kd
    .uniform_work_group_size: 1
    .uses_dynamic_stack: false
    .vgpr_count:     250
    .vgpr_spill_count: 0
    .wavefront_size: 32
  - .args:
      - .address_space:  global
        .offset:         0
        .size:           8
        .value_kind:     global_buffer
      - .offset:         8
        .size:           4
        .value_kind:     by_value
      - .offset:         12
        .size:           4
        .value_kind:     by_value
      - .offset:         16
        .size:           8
        .value_kind:     by_value
      - .address_space:  global
        .offset:         24
        .size:           8
        .value_kind:     global_buffer
      - .offset:         32
        .size:           4
        .value_kind:     by_value
      - .offset:         40
        .size:           8
        .value_kind:     by_value
      - .address_space:  global
        .offset:         48
        .size:           8
        .value_kind:     global_buffer
      - .offset:         56
        .size:           1
        .value_kind:     by_value
      - .offset:         57
        .size:           1
        .value_kind:     by_value
    .group_segment_fixed_size: 600
    .kernarg_segment_align: 8
    .kernarg_segment_size: 60
    .language:       OpenCL C
    .language_version:
      - 2
      - 0
    .max_flat_workgroup_size: 64
    .name:           _ZN9rocsolver6v33100L18getri_kernel_smallILi37E19rocblas_complex_numIfEPS3_EEvT1_iilPiilS6_bb
    .private_segment_fixed_size: 304
    .sgpr_count:     21
    .sgpr_spill_count: 0
    .symbol:         _ZN9rocsolver6v33100L18getri_kernel_smallILi37E19rocblas_complex_numIfEPS3_EEvT1_iilPiilS6_bb.kd
    .uniform_work_group_size: 1
    .uses_dynamic_stack: false
    .vgpr_count:     241
    .vgpr_spill_count: 0
    .wavefront_size: 32
  - .args:
      - .address_space:  global
        .offset:         0
        .size:           8
        .value_kind:     global_buffer
      - .offset:         8
        .size:           4
        .value_kind:     by_value
      - .offset:         12
        .size:           4
        .value_kind:     by_value
      - .offset:         16
        .size:           8
        .value_kind:     by_value
      - .address_space:  global
        .offset:         24
        .size:           8
        .value_kind:     global_buffer
      - .offset:         32
        .size:           4
        .value_kind:     by_value
      - .offset:         40
        .size:           8
        .value_kind:     by_value
      - .address_space:  global
        .offset:         48
        .size:           8
        .value_kind:     global_buffer
      - .offset:         56
        .size:           1
        .value_kind:     by_value
      - .offset:         57
        .size:           1
        .value_kind:     by_value
    .group_segment_fixed_size: 612
    .kernarg_segment_align: 8
    .kernarg_segment_size: 60
    .language:       OpenCL C
    .language_version:
      - 2
      - 0
    .max_flat_workgroup_size: 64
    .name:           _ZN9rocsolver6v33100L18getri_kernel_smallILi38E19rocblas_complex_numIfEPS3_EEvT1_iilPiilS6_bb
    .private_segment_fixed_size: 320
    .sgpr_count:     21
    .sgpr_spill_count: 0
    .symbol:         _ZN9rocsolver6v33100L18getri_kernel_smallILi38E19rocblas_complex_numIfEPS3_EEvT1_iilPiilS6_bb.kd
    .uniform_work_group_size: 1
    .uses_dynamic_stack: false
    .vgpr_count:     244
    .vgpr_spill_count: 0
    .wavefront_size: 32
  - .args:
      - .address_space:  global
        .offset:         0
        .size:           8
        .value_kind:     global_buffer
      - .offset:         8
        .size:           4
        .value_kind:     by_value
      - .offset:         12
        .size:           4
        .value_kind:     by_value
      - .offset:         16
        .size:           8
        .value_kind:     by_value
      - .address_space:  global
        .offset:         24
        .size:           8
        .value_kind:     global_buffer
      - .offset:         32
        .size:           4
        .value_kind:     by_value
      - .offset:         40
        .size:           8
        .value_kind:     by_value
      - .address_space:  global
        .offset:         48
        .size:           8
        .value_kind:     global_buffer
      - .offset:         56
        .size:           1
        .value_kind:     by_value
      - .offset:         57
        .size:           1
        .value_kind:     by_value
    .group_segment_fixed_size: 632
    .kernarg_segment_align: 8
    .kernarg_segment_size: 60
    .language:       OpenCL C
    .language_version:
      - 2
      - 0
    .max_flat_workgroup_size: 64
    .name:           _ZN9rocsolver6v33100L18getri_kernel_smallILi39E19rocblas_complex_numIfEPS3_EEvT1_iilPiilS6_bb
    .private_segment_fixed_size: 320
    .sgpr_count:     21
    .sgpr_spill_count: 0
    .symbol:         _ZN9rocsolver6v33100L18getri_kernel_smallILi39E19rocblas_complex_numIfEPS3_EEvT1_iilPiilS6_bb.kd
    .uniform_work_group_size: 1
    .uses_dynamic_stack: false
    .vgpr_count:     244
    .vgpr_spill_count: 0
    .wavefront_size: 32
  - .args:
      - .address_space:  global
        .offset:         0
        .size:           8
        .value_kind:     global_buffer
      - .offset:         8
        .size:           4
        .value_kind:     by_value
      - .offset:         12
        .size:           4
        .value_kind:     by_value
      - .offset:         16
        .size:           8
        .value_kind:     by_value
      - .address_space:  global
        .offset:         24
        .size:           8
        .value_kind:     global_buffer
      - .offset:         32
        .size:           4
        .value_kind:     by_value
      - .offset:         40
        .size:           8
        .value_kind:     by_value
      - .address_space:  global
        .offset:         48
        .size:           8
        .value_kind:     global_buffer
      - .offset:         56
        .size:           1
        .value_kind:     by_value
      - .offset:         57
        .size:           1
        .value_kind:     by_value
    .group_segment_fixed_size: 644
    .kernarg_segment_align: 8
    .kernarg_segment_size: 60
    .language:       OpenCL C
    .language_version:
      - 2
      - 0
    .max_flat_workgroup_size: 64
    .name:           _ZN9rocsolver6v33100L18getri_kernel_smallILi40E19rocblas_complex_numIfEPS3_EEvT1_iilPiilS6_bb
    .private_segment_fixed_size: 336
    .sgpr_count:     21
    .sgpr_spill_count: 0
    .symbol:         _ZN9rocsolver6v33100L18getri_kernel_smallILi40E19rocblas_complex_numIfEPS3_EEvT1_iilPiilS6_bb.kd
    .uniform_work_group_size: 1
    .uses_dynamic_stack: false
    .vgpr_count:     245
    .vgpr_spill_count: 0
    .wavefront_size: 32
  - .args:
      - .address_space:  global
        .offset:         0
        .size:           8
        .value_kind:     global_buffer
      - .offset:         8
        .size:           4
        .value_kind:     by_value
      - .offset:         12
        .size:           4
        .value_kind:     by_value
      - .offset:         16
        .size:           8
        .value_kind:     by_value
      - .address_space:  global
        .offset:         24
        .size:           8
        .value_kind:     global_buffer
      - .offset:         32
        .size:           4
        .value_kind:     by_value
      - .offset:         40
        .size:           8
        .value_kind:     by_value
      - .address_space:  global
        .offset:         48
        .size:           8
        .value_kind:     global_buffer
      - .offset:         56
        .size:           1
        .value_kind:     by_value
      - .offset:         57
        .size:           1
        .value_kind:     by_value
    .group_segment_fixed_size: 664
    .kernarg_segment_align: 8
    .kernarg_segment_size: 60
    .language:       OpenCL C
    .language_version:
      - 2
      - 0
    .max_flat_workgroup_size: 64
    .name:           _ZN9rocsolver6v33100L18getri_kernel_smallILi41E19rocblas_complex_numIfEPS3_EEvT1_iilPiilS6_bb
    .private_segment_fixed_size: 336
    .sgpr_count:     21
    .sgpr_spill_count: 0
    .symbol:         _ZN9rocsolver6v33100L18getri_kernel_smallILi41E19rocblas_complex_numIfEPS3_EEvT1_iilPiilS6_bb.kd
    .uniform_work_group_size: 1
    .uses_dynamic_stack: false
    .vgpr_count:     252
    .vgpr_spill_count: 0
    .wavefront_size: 32
  - .args:
      - .address_space:  global
        .offset:         0
        .size:           8
        .value_kind:     global_buffer
      - .offset:         8
        .size:           4
        .value_kind:     by_value
      - .offset:         12
        .size:           4
        .value_kind:     by_value
      - .offset:         16
        .size:           8
        .value_kind:     by_value
      - .address_space:  global
        .offset:         24
        .size:           8
        .value_kind:     global_buffer
      - .offset:         32
        .size:           4
        .value_kind:     by_value
      - .offset:         40
        .size:           8
        .value_kind:     by_value
      - .address_space:  global
        .offset:         48
        .size:           8
        .value_kind:     global_buffer
      - .offset:         56
        .size:           1
        .value_kind:     by_value
      - .offset:         57
        .size:           1
        .value_kind:     by_value
    .group_segment_fixed_size: 676
    .kernarg_segment_align: 8
    .kernarg_segment_size: 60
    .language:       OpenCL C
    .language_version:
      - 2
      - 0
    .max_flat_workgroup_size: 64
    .name:           _ZN9rocsolver6v33100L18getri_kernel_smallILi42E19rocblas_complex_numIfEPS3_EEvT1_iilPiilS6_bb
    .private_segment_fixed_size: 352
    .sgpr_count:     21
    .sgpr_spill_count: 0
    .symbol:         _ZN9rocsolver6v33100L18getri_kernel_smallILi42E19rocblas_complex_numIfEPS3_EEvT1_iilPiilS6_bb.kd
    .uniform_work_group_size: 1
    .uses_dynamic_stack: false
    .vgpr_count:     256
    .vgpr_spill_count: 0
    .wavefront_size: 32
  - .args:
      - .address_space:  global
        .offset:         0
        .size:           8
        .value_kind:     global_buffer
      - .offset:         8
        .size:           4
        .value_kind:     by_value
      - .offset:         12
        .size:           4
        .value_kind:     by_value
      - .offset:         16
        .size:           8
        .value_kind:     by_value
      - .address_space:  global
        .offset:         24
        .size:           8
        .value_kind:     global_buffer
      - .offset:         32
        .size:           4
        .value_kind:     by_value
      - .offset:         40
        .size:           8
        .value_kind:     by_value
      - .address_space:  global
        .offset:         48
        .size:           8
        .value_kind:     global_buffer
      - .offset:         56
        .size:           1
        .value_kind:     by_value
      - .offset:         57
        .size:           1
        .value_kind:     by_value
    .group_segment_fixed_size: 696
    .kernarg_segment_align: 8
    .kernarg_segment_size: 60
    .language:       OpenCL C
    .language_version:
      - 2
      - 0
    .max_flat_workgroup_size: 64
    .name:           _ZN9rocsolver6v33100L18getri_kernel_smallILi43E19rocblas_complex_numIfEPS3_EEvT1_iilPiilS6_bb
    .private_segment_fixed_size: 352
    .sgpr_count:     21
    .sgpr_spill_count: 0
    .symbol:         _ZN9rocsolver6v33100L18getri_kernel_smallILi43E19rocblas_complex_numIfEPS3_EEvT1_iilPiilS6_bb.kd
    .uniform_work_group_size: 1
    .uses_dynamic_stack: false
    .vgpr_count:     262
    .vgpr_spill_count: 0
    .wavefront_size: 32
  - .args:
      - .address_space:  global
        .offset:         0
        .size:           8
        .value_kind:     global_buffer
      - .offset:         8
        .size:           4
        .value_kind:     by_value
      - .offset:         12
        .size:           4
        .value_kind:     by_value
      - .offset:         16
        .size:           8
        .value_kind:     by_value
      - .address_space:  global
        .offset:         24
        .size:           8
        .value_kind:     global_buffer
      - .offset:         32
        .size:           4
        .value_kind:     by_value
      - .offset:         40
        .size:           8
        .value_kind:     by_value
      - .address_space:  global
        .offset:         48
        .size:           8
        .value_kind:     global_buffer
      - .offset:         56
        .size:           1
        .value_kind:     by_value
      - .offset:         57
        .size:           1
        .value_kind:     by_value
    .group_segment_fixed_size: 708
    .kernarg_segment_align: 8
    .kernarg_segment_size: 60
    .language:       OpenCL C
    .language_version:
      - 2
      - 0
    .max_flat_workgroup_size: 64
    .name:           _ZN9rocsolver6v33100L18getri_kernel_smallILi44E19rocblas_complex_numIfEPS3_EEvT1_iilPiilS6_bb
    .private_segment_fixed_size: 368
    .sgpr_count:     21
    .sgpr_spill_count: 0
    .symbol:         _ZN9rocsolver6v33100L18getri_kernel_smallILi44E19rocblas_complex_numIfEPS3_EEvT1_iilPiilS6_bb.kd
    .uniform_work_group_size: 1
    .uses_dynamic_stack: false
    .vgpr_count:     264
    .vgpr_spill_count: 0
    .wavefront_size: 32
  - .args:
      - .address_space:  global
        .offset:         0
        .size:           8
        .value_kind:     global_buffer
      - .offset:         8
        .size:           4
        .value_kind:     by_value
      - .offset:         12
        .size:           4
        .value_kind:     by_value
      - .offset:         16
        .size:           8
        .value_kind:     by_value
      - .address_space:  global
        .offset:         24
        .size:           8
        .value_kind:     global_buffer
      - .offset:         32
        .size:           4
        .value_kind:     by_value
      - .offset:         40
        .size:           8
        .value_kind:     by_value
      - .address_space:  global
        .offset:         48
        .size:           8
        .value_kind:     global_buffer
      - .offset:         56
        .size:           1
        .value_kind:     by_value
      - .offset:         57
        .size:           1
        .value_kind:     by_value
    .group_segment_fixed_size: 728
    .kernarg_segment_align: 8
    .kernarg_segment_size: 60
    .language:       OpenCL C
    .language_version:
      - 2
      - 0
    .max_flat_workgroup_size: 64
    .name:           _ZN9rocsolver6v33100L18getri_kernel_smallILi45E19rocblas_complex_numIfEPS3_EEvT1_iilPiilS6_bb
    .private_segment_fixed_size: 368
    .sgpr_count:     21
    .sgpr_spill_count: 0
    .symbol:         _ZN9rocsolver6v33100L18getri_kernel_smallILi45E19rocblas_complex_numIfEPS3_EEvT1_iilPiilS6_bb.kd
    .uniform_work_group_size: 1
    .uses_dynamic_stack: false
    .vgpr_count:     266
    .vgpr_spill_count: 0
    .wavefront_size: 32
  - .args:
      - .address_space:  global
        .offset:         0
        .size:           8
        .value_kind:     global_buffer
      - .offset:         8
        .size:           4
        .value_kind:     by_value
      - .offset:         12
        .size:           4
        .value_kind:     by_value
      - .offset:         16
        .size:           8
        .value_kind:     by_value
      - .address_space:  global
        .offset:         24
        .size:           8
        .value_kind:     global_buffer
      - .offset:         32
        .size:           4
        .value_kind:     by_value
      - .offset:         40
        .size:           8
        .value_kind:     by_value
      - .address_space:  global
        .offset:         48
        .size:           8
        .value_kind:     global_buffer
      - .offset:         56
        .size:           1
        .value_kind:     by_value
      - .offset:         57
        .size:           1
        .value_kind:     by_value
    .group_segment_fixed_size: 740
    .kernarg_segment_align: 8
    .kernarg_segment_size: 60
    .language:       OpenCL C
    .language_version:
      - 2
      - 0
    .max_flat_workgroup_size: 64
    .name:           _ZN9rocsolver6v33100L18getri_kernel_smallILi46E19rocblas_complex_numIfEPS3_EEvT1_iilPiilS6_bb
    .private_segment_fixed_size: 384
    .sgpr_count:     21
    .sgpr_spill_count: 0
    .symbol:         _ZN9rocsolver6v33100L18getri_kernel_smallILi46E19rocblas_complex_numIfEPS3_EEvT1_iilPiilS6_bb.kd
    .uniform_work_group_size: 1
    .uses_dynamic_stack: false
    .vgpr_count:     320
    .vgpr_spill_count: 0
    .wavefront_size: 32
  - .args:
      - .address_space:  global
        .offset:         0
        .size:           8
        .value_kind:     global_buffer
      - .offset:         8
        .size:           4
        .value_kind:     by_value
      - .offset:         12
        .size:           4
        .value_kind:     by_value
      - .offset:         16
        .size:           8
        .value_kind:     by_value
      - .address_space:  global
        .offset:         24
        .size:           8
        .value_kind:     global_buffer
      - .offset:         32
        .size:           4
        .value_kind:     by_value
      - .offset:         40
        .size:           8
        .value_kind:     by_value
      - .address_space:  global
        .offset:         48
        .size:           8
        .value_kind:     global_buffer
      - .offset:         56
        .size:           1
        .value_kind:     by_value
      - .offset:         57
        .size:           1
        .value_kind:     by_value
    .group_segment_fixed_size: 760
    .kernarg_segment_align: 8
    .kernarg_segment_size: 60
    .language:       OpenCL C
    .language_version:
      - 2
      - 0
    .max_flat_workgroup_size: 64
    .name:           _ZN9rocsolver6v33100L18getri_kernel_smallILi47E19rocblas_complex_numIfEPS3_EEvT1_iilPiilS6_bb
    .private_segment_fixed_size: 384
    .sgpr_count:     21
    .sgpr_spill_count: 0
    .symbol:         _ZN9rocsolver6v33100L18getri_kernel_smallILi47E19rocblas_complex_numIfEPS3_EEvT1_iilPiilS6_bb.kd
    .uniform_work_group_size: 1
    .uses_dynamic_stack: false
    .vgpr_count:     326
    .vgpr_spill_count: 0
    .wavefront_size: 32
  - .args:
      - .address_space:  global
        .offset:         0
        .size:           8
        .value_kind:     global_buffer
      - .offset:         8
        .size:           4
        .value_kind:     by_value
      - .offset:         12
        .size:           4
        .value_kind:     by_value
      - .offset:         16
        .size:           8
        .value_kind:     by_value
      - .address_space:  global
        .offset:         24
        .size:           8
        .value_kind:     global_buffer
      - .offset:         32
        .size:           4
        .value_kind:     by_value
      - .offset:         40
        .size:           8
        .value_kind:     by_value
      - .address_space:  global
        .offset:         48
        .size:           8
        .value_kind:     global_buffer
      - .offset:         56
        .size:           1
        .value_kind:     by_value
      - .offset:         57
        .size:           1
        .value_kind:     by_value
    .group_segment_fixed_size: 772
    .kernarg_segment_align: 8
    .kernarg_segment_size: 60
    .language:       OpenCL C
    .language_version:
      - 2
      - 0
    .max_flat_workgroup_size: 64
    .name:           _ZN9rocsolver6v33100L18getri_kernel_smallILi48E19rocblas_complex_numIfEPS3_EEvT1_iilPiilS6_bb
    .private_segment_fixed_size: 400
    .sgpr_count:     21
    .sgpr_spill_count: 0
    .symbol:         _ZN9rocsolver6v33100L18getri_kernel_smallILi48E19rocblas_complex_numIfEPS3_EEvT1_iilPiilS6_bb.kd
    .uniform_work_group_size: 1
    .uses_dynamic_stack: false
    .vgpr_count:     334
    .vgpr_spill_count: 0
    .wavefront_size: 32
  - .args:
      - .address_space:  global
        .offset:         0
        .size:           8
        .value_kind:     global_buffer
      - .offset:         8
        .size:           4
        .value_kind:     by_value
      - .offset:         12
        .size:           4
        .value_kind:     by_value
      - .offset:         16
        .size:           8
        .value_kind:     by_value
      - .address_space:  global
        .offset:         24
        .size:           8
        .value_kind:     global_buffer
      - .offset:         32
        .size:           4
        .value_kind:     by_value
      - .offset:         40
        .size:           8
        .value_kind:     by_value
      - .address_space:  global
        .offset:         48
        .size:           8
        .value_kind:     global_buffer
      - .offset:         56
        .size:           1
        .value_kind:     by_value
      - .offset:         57
        .size:           1
        .value_kind:     by_value
    .group_segment_fixed_size: 792
    .kernarg_segment_align: 8
    .kernarg_segment_size: 60
    .language:       OpenCL C
    .language_version:
      - 2
      - 0
    .max_flat_workgroup_size: 64
    .name:           _ZN9rocsolver6v33100L18getri_kernel_smallILi49E19rocblas_complex_numIfEPS3_EEvT1_iilPiilS6_bb
    .private_segment_fixed_size: 400
    .sgpr_count:     21
    .sgpr_spill_count: 0
    .symbol:         _ZN9rocsolver6v33100L18getri_kernel_smallILi49E19rocblas_complex_numIfEPS3_EEvT1_iilPiilS6_bb.kd
    .uniform_work_group_size: 1
    .uses_dynamic_stack: false
    .vgpr_count:     309
    .vgpr_spill_count: 0
    .wavefront_size: 32
  - .args:
      - .address_space:  global
        .offset:         0
        .size:           8
        .value_kind:     global_buffer
      - .offset:         8
        .size:           4
        .value_kind:     by_value
      - .offset:         12
        .size:           4
        .value_kind:     by_value
      - .offset:         16
        .size:           8
        .value_kind:     by_value
      - .address_space:  global
        .offset:         24
        .size:           8
        .value_kind:     global_buffer
      - .offset:         32
        .size:           4
        .value_kind:     by_value
      - .offset:         40
        .size:           8
        .value_kind:     by_value
      - .address_space:  global
        .offset:         48
        .size:           8
        .value_kind:     global_buffer
      - .offset:         56
        .size:           1
        .value_kind:     by_value
      - .offset:         57
        .size:           1
        .value_kind:     by_value
    .group_segment_fixed_size: 804
    .kernarg_segment_align: 8
    .kernarg_segment_size: 60
    .language:       OpenCL C
    .language_version:
      - 2
      - 0
    .max_flat_workgroup_size: 64
    .name:           _ZN9rocsolver6v33100L18getri_kernel_smallILi50E19rocblas_complex_numIfEPS3_EEvT1_iilPiilS6_bb
    .private_segment_fixed_size: 416
    .sgpr_count:     21
    .sgpr_spill_count: 0
    .symbol:         _ZN9rocsolver6v33100L18getri_kernel_smallILi50E19rocblas_complex_numIfEPS3_EEvT1_iilPiilS6_bb.kd
    .uniform_work_group_size: 1
    .uses_dynamic_stack: false
    .vgpr_count:     310
    .vgpr_spill_count: 0
    .wavefront_size: 32
  - .args:
      - .address_space:  global
        .offset:         0
        .size:           8
        .value_kind:     global_buffer
      - .offset:         8
        .size:           4
        .value_kind:     by_value
      - .offset:         12
        .size:           4
        .value_kind:     by_value
      - .offset:         16
        .size:           8
        .value_kind:     by_value
      - .address_space:  global
        .offset:         24
        .size:           8
        .value_kind:     global_buffer
      - .offset:         32
        .size:           4
        .value_kind:     by_value
      - .offset:         40
        .size:           8
        .value_kind:     by_value
      - .address_space:  global
        .offset:         48
        .size:           8
        .value_kind:     global_buffer
      - .offset:         56
        .size:           1
        .value_kind:     by_value
      - .offset:         57
        .size:           1
        .value_kind:     by_value
    .group_segment_fixed_size: 824
    .kernarg_segment_align: 8
    .kernarg_segment_size: 60
    .language:       OpenCL C
    .language_version:
      - 2
      - 0
    .max_flat_workgroup_size: 64
    .name:           _ZN9rocsolver6v33100L18getri_kernel_smallILi51E19rocblas_complex_numIfEPS3_EEvT1_iilPiilS6_bb
    .private_segment_fixed_size: 416
    .sgpr_count:     21
    .sgpr_spill_count: 0
    .symbol:         _ZN9rocsolver6v33100L18getri_kernel_smallILi51E19rocblas_complex_numIfEPS3_EEvT1_iilPiilS6_bb.kd
    .uniform_work_group_size: 1
    .uses_dynamic_stack: false
    .vgpr_count:     313
    .vgpr_spill_count: 0
    .wavefront_size: 32
  - .args:
      - .address_space:  global
        .offset:         0
        .size:           8
        .value_kind:     global_buffer
      - .offset:         8
        .size:           4
        .value_kind:     by_value
      - .offset:         12
        .size:           4
        .value_kind:     by_value
      - .offset:         16
        .size:           8
        .value_kind:     by_value
      - .address_space:  global
        .offset:         24
        .size:           8
        .value_kind:     global_buffer
      - .offset:         32
        .size:           4
        .value_kind:     by_value
      - .offset:         40
        .size:           8
        .value_kind:     by_value
      - .address_space:  global
        .offset:         48
        .size:           8
        .value_kind:     global_buffer
      - .offset:         56
        .size:           1
        .value_kind:     by_value
      - .offset:         57
        .size:           1
        .value_kind:     by_value
    .group_segment_fixed_size: 836
    .kernarg_segment_align: 8
    .kernarg_segment_size: 60
    .language:       OpenCL C
    .language_version:
      - 2
      - 0
    .max_flat_workgroup_size: 64
    .name:           _ZN9rocsolver6v33100L18getri_kernel_smallILi52E19rocblas_complex_numIfEPS3_EEvT1_iilPiilS6_bb
    .private_segment_fixed_size: 432
    .sgpr_count:     21
    .sgpr_spill_count: 0
    .symbol:         _ZN9rocsolver6v33100L18getri_kernel_smallILi52E19rocblas_complex_numIfEPS3_EEvT1_iilPiilS6_bb.kd
    .uniform_work_group_size: 1
    .uses_dynamic_stack: false
    .vgpr_count:     318
    .vgpr_spill_count: 0
    .wavefront_size: 32
  - .args:
      - .address_space:  global
        .offset:         0
        .size:           8
        .value_kind:     global_buffer
      - .offset:         8
        .size:           4
        .value_kind:     by_value
      - .offset:         12
        .size:           4
        .value_kind:     by_value
      - .offset:         16
        .size:           8
        .value_kind:     by_value
      - .address_space:  global
        .offset:         24
        .size:           8
        .value_kind:     global_buffer
      - .offset:         32
        .size:           4
        .value_kind:     by_value
      - .offset:         40
        .size:           8
        .value_kind:     by_value
      - .address_space:  global
        .offset:         48
        .size:           8
        .value_kind:     global_buffer
      - .offset:         56
        .size:           1
        .value_kind:     by_value
      - .offset:         57
        .size:           1
        .value_kind:     by_value
    .group_segment_fixed_size: 856
    .kernarg_segment_align: 8
    .kernarg_segment_size: 60
    .language:       OpenCL C
    .language_version:
      - 2
      - 0
    .max_flat_workgroup_size: 64
    .name:           _ZN9rocsolver6v33100L18getri_kernel_smallILi53E19rocblas_complex_numIfEPS3_EEvT1_iilPiilS6_bb
    .private_segment_fixed_size: 432
    .sgpr_count:     21
    .sgpr_spill_count: 0
    .symbol:         _ZN9rocsolver6v33100L18getri_kernel_smallILi53E19rocblas_complex_numIfEPS3_EEvT1_iilPiilS6_bb.kd
    .uniform_work_group_size: 1
    .uses_dynamic_stack: false
    .vgpr_count:     324
    .vgpr_spill_count: 0
    .wavefront_size: 32
  - .args:
      - .address_space:  global
        .offset:         0
        .size:           8
        .value_kind:     global_buffer
      - .offset:         8
        .size:           4
        .value_kind:     by_value
      - .offset:         12
        .size:           4
        .value_kind:     by_value
      - .offset:         16
        .size:           8
        .value_kind:     by_value
      - .address_space:  global
        .offset:         24
        .size:           8
        .value_kind:     global_buffer
      - .offset:         32
        .size:           4
        .value_kind:     by_value
      - .offset:         40
        .size:           8
        .value_kind:     by_value
      - .address_space:  global
        .offset:         48
        .size:           8
        .value_kind:     global_buffer
      - .offset:         56
        .size:           1
        .value_kind:     by_value
      - .offset:         57
        .size:           1
        .value_kind:     by_value
    .group_segment_fixed_size: 868
    .kernarg_segment_align: 8
    .kernarg_segment_size: 60
    .language:       OpenCL C
    .language_version:
      - 2
      - 0
    .max_flat_workgroup_size: 64
    .name:           _ZN9rocsolver6v33100L18getri_kernel_smallILi54E19rocblas_complex_numIfEPS3_EEvT1_iilPiilS6_bb
    .private_segment_fixed_size: 448
    .sgpr_count:     21
    .sgpr_spill_count: 0
    .symbol:         _ZN9rocsolver6v33100L18getri_kernel_smallILi54E19rocblas_complex_numIfEPS3_EEvT1_iilPiilS6_bb.kd
    .uniform_work_group_size: 1
    .uses_dynamic_stack: false
    .vgpr_count:     328
    .vgpr_spill_count: 0
    .wavefront_size: 32
  - .args:
      - .address_space:  global
        .offset:         0
        .size:           8
        .value_kind:     global_buffer
      - .offset:         8
        .size:           4
        .value_kind:     by_value
      - .offset:         12
        .size:           4
        .value_kind:     by_value
      - .offset:         16
        .size:           8
        .value_kind:     by_value
      - .address_space:  global
        .offset:         24
        .size:           8
        .value_kind:     global_buffer
      - .offset:         32
        .size:           4
        .value_kind:     by_value
      - .offset:         40
        .size:           8
        .value_kind:     by_value
      - .address_space:  global
        .offset:         48
        .size:           8
        .value_kind:     global_buffer
      - .offset:         56
        .size:           1
        .value_kind:     by_value
      - .offset:         57
        .size:           1
        .value_kind:     by_value
    .group_segment_fixed_size: 888
    .kernarg_segment_align: 8
    .kernarg_segment_size: 60
    .language:       OpenCL C
    .language_version:
      - 2
      - 0
    .max_flat_workgroup_size: 64
    .name:           _ZN9rocsolver6v33100L18getri_kernel_smallILi55E19rocblas_complex_numIfEPS3_EEvT1_iilPiilS6_bb
    .private_segment_fixed_size: 448
    .sgpr_count:     21
    .sgpr_spill_count: 0
    .symbol:         _ZN9rocsolver6v33100L18getri_kernel_smallILi55E19rocblas_complex_numIfEPS3_EEvT1_iilPiilS6_bb.kd
    .uniform_work_group_size: 1
    .uses_dynamic_stack: false
    .vgpr_count:     334
    .vgpr_spill_count: 0
    .wavefront_size: 32
  - .args:
      - .address_space:  global
        .offset:         0
        .size:           8
        .value_kind:     global_buffer
      - .offset:         8
        .size:           4
        .value_kind:     by_value
      - .offset:         12
        .size:           4
        .value_kind:     by_value
      - .offset:         16
        .size:           8
        .value_kind:     by_value
      - .address_space:  global
        .offset:         24
        .size:           8
        .value_kind:     global_buffer
      - .offset:         32
        .size:           4
        .value_kind:     by_value
      - .offset:         40
        .size:           8
        .value_kind:     by_value
      - .address_space:  global
        .offset:         48
        .size:           8
        .value_kind:     global_buffer
      - .offset:         56
        .size:           1
        .value_kind:     by_value
      - .offset:         57
        .size:           1
        .value_kind:     by_value
    .group_segment_fixed_size: 900
    .kernarg_segment_align: 8
    .kernarg_segment_size: 60
    .language:       OpenCL C
    .language_version:
      - 2
      - 0
    .max_flat_workgroup_size: 64
    .name:           _ZN9rocsolver6v33100L18getri_kernel_smallILi56E19rocblas_complex_numIfEPS3_EEvT1_iilPiilS6_bb
    .private_segment_fixed_size: 464
    .sgpr_count:     21
    .sgpr_spill_count: 0
    .symbol:         _ZN9rocsolver6v33100L18getri_kernel_smallILi56E19rocblas_complex_numIfEPS3_EEvT1_iilPiilS6_bb.kd
    .uniform_work_group_size: 1
    .uses_dynamic_stack: false
    .vgpr_count:     340
    .vgpr_spill_count: 0
    .wavefront_size: 32
  - .args:
      - .address_space:  global
        .offset:         0
        .size:           8
        .value_kind:     global_buffer
      - .offset:         8
        .size:           4
        .value_kind:     by_value
      - .offset:         12
        .size:           4
        .value_kind:     by_value
      - .offset:         16
        .size:           8
        .value_kind:     by_value
      - .address_space:  global
        .offset:         24
        .size:           8
        .value_kind:     global_buffer
      - .offset:         32
        .size:           4
        .value_kind:     by_value
      - .offset:         40
        .size:           8
        .value_kind:     by_value
      - .address_space:  global
        .offset:         48
        .size:           8
        .value_kind:     global_buffer
      - .offset:         56
        .size:           1
        .value_kind:     by_value
      - .offset:         57
        .size:           1
        .value_kind:     by_value
    .group_segment_fixed_size: 920
    .kernarg_segment_align: 8
    .kernarg_segment_size: 60
    .language:       OpenCL C
    .language_version:
      - 2
      - 0
    .max_flat_workgroup_size: 64
    .name:           _ZN9rocsolver6v33100L18getri_kernel_smallILi57E19rocblas_complex_numIfEPS3_EEvT1_iilPiilS6_bb
    .private_segment_fixed_size: 464
    .sgpr_count:     21
    .sgpr_spill_count: 0
    .symbol:         _ZN9rocsolver6v33100L18getri_kernel_smallILi57E19rocblas_complex_numIfEPS3_EEvT1_iilPiilS6_bb.kd
    .uniform_work_group_size: 1
    .uses_dynamic_stack: false
    .vgpr_count:     346
    .vgpr_spill_count: 0
    .wavefront_size: 32
  - .args:
      - .address_space:  global
        .offset:         0
        .size:           8
        .value_kind:     global_buffer
      - .offset:         8
        .size:           4
        .value_kind:     by_value
      - .offset:         12
        .size:           4
        .value_kind:     by_value
      - .offset:         16
        .size:           8
        .value_kind:     by_value
      - .address_space:  global
        .offset:         24
        .size:           8
        .value_kind:     global_buffer
      - .offset:         32
        .size:           4
        .value_kind:     by_value
      - .offset:         40
        .size:           8
        .value_kind:     by_value
      - .address_space:  global
        .offset:         48
        .size:           8
        .value_kind:     global_buffer
      - .offset:         56
        .size:           1
        .value_kind:     by_value
      - .offset:         57
        .size:           1
        .value_kind:     by_value
    .group_segment_fixed_size: 932
    .kernarg_segment_align: 8
    .kernarg_segment_size: 60
    .language:       OpenCL C
    .language_version:
      - 2
      - 0
    .max_flat_workgroup_size: 64
    .name:           _ZN9rocsolver6v33100L18getri_kernel_smallILi58E19rocblas_complex_numIfEPS3_EEvT1_iilPiilS6_bb
    .private_segment_fixed_size: 480
    .sgpr_count:     21
    .sgpr_spill_count: 0
    .symbol:         _ZN9rocsolver6v33100L18getri_kernel_smallILi58E19rocblas_complex_numIfEPS3_EEvT1_iilPiilS6_bb.kd
    .uniform_work_group_size: 1
    .uses_dynamic_stack: false
    .vgpr_count:     348
    .vgpr_spill_count: 0
    .wavefront_size: 32
  - .args:
      - .address_space:  global
        .offset:         0
        .size:           8
        .value_kind:     global_buffer
      - .offset:         8
        .size:           4
        .value_kind:     by_value
      - .offset:         12
        .size:           4
        .value_kind:     by_value
      - .offset:         16
        .size:           8
        .value_kind:     by_value
      - .address_space:  global
        .offset:         24
        .size:           8
        .value_kind:     global_buffer
      - .offset:         32
        .size:           4
        .value_kind:     by_value
      - .offset:         40
        .size:           8
        .value_kind:     by_value
      - .address_space:  global
        .offset:         48
        .size:           8
        .value_kind:     global_buffer
      - .offset:         56
        .size:           1
        .value_kind:     by_value
      - .offset:         57
        .size:           1
        .value_kind:     by_value
    .group_segment_fixed_size: 952
    .kernarg_segment_align: 8
    .kernarg_segment_size: 60
    .language:       OpenCL C
    .language_version:
      - 2
      - 0
    .max_flat_workgroup_size: 64
    .name:           _ZN9rocsolver6v33100L18getri_kernel_smallILi59E19rocblas_complex_numIfEPS3_EEvT1_iilPiilS6_bb
    .private_segment_fixed_size: 480
    .sgpr_count:     21
    .sgpr_spill_count: 0
    .symbol:         _ZN9rocsolver6v33100L18getri_kernel_smallILi59E19rocblas_complex_numIfEPS3_EEvT1_iilPiilS6_bb.kd
    .uniform_work_group_size: 1
    .uses_dynamic_stack: false
    .vgpr_count:     410
    .vgpr_spill_count: 0
    .wavefront_size: 32
  - .args:
      - .address_space:  global
        .offset:         0
        .size:           8
        .value_kind:     global_buffer
      - .offset:         8
        .size:           4
        .value_kind:     by_value
      - .offset:         12
        .size:           4
        .value_kind:     by_value
      - .offset:         16
        .size:           8
        .value_kind:     by_value
      - .address_space:  global
        .offset:         24
        .size:           8
        .value_kind:     global_buffer
      - .offset:         32
        .size:           4
        .value_kind:     by_value
      - .offset:         40
        .size:           8
        .value_kind:     by_value
      - .address_space:  global
        .offset:         48
        .size:           8
        .value_kind:     global_buffer
      - .offset:         56
        .size:           1
        .value_kind:     by_value
      - .offset:         57
        .size:           1
        .value_kind:     by_value
    .group_segment_fixed_size: 964
    .kernarg_segment_align: 8
    .kernarg_segment_size: 60
    .language:       OpenCL C
    .language_version:
      - 2
      - 0
    .max_flat_workgroup_size: 64
    .name:           _ZN9rocsolver6v33100L18getri_kernel_smallILi60E19rocblas_complex_numIfEPS3_EEvT1_iilPiilS6_bb
    .private_segment_fixed_size: 496
    .sgpr_count:     21
    .sgpr_spill_count: 0
    .symbol:         _ZN9rocsolver6v33100L18getri_kernel_smallILi60E19rocblas_complex_numIfEPS3_EEvT1_iilPiilS6_bb.kd
    .uniform_work_group_size: 1
    .uses_dynamic_stack: false
    .vgpr_count:     418
    .vgpr_spill_count: 0
    .wavefront_size: 32
  - .args:
      - .address_space:  global
        .offset:         0
        .size:           8
        .value_kind:     global_buffer
      - .offset:         8
        .size:           4
        .value_kind:     by_value
      - .offset:         12
        .size:           4
        .value_kind:     by_value
      - .offset:         16
        .size:           8
        .value_kind:     by_value
      - .address_space:  global
        .offset:         24
        .size:           8
        .value_kind:     global_buffer
      - .offset:         32
        .size:           4
        .value_kind:     by_value
      - .offset:         40
        .size:           8
        .value_kind:     by_value
      - .address_space:  global
        .offset:         48
        .size:           8
        .value_kind:     global_buffer
      - .offset:         56
        .size:           1
        .value_kind:     by_value
      - .offset:         57
        .size:           1
        .value_kind:     by_value
    .group_segment_fixed_size: 984
    .kernarg_segment_align: 8
    .kernarg_segment_size: 60
    .language:       OpenCL C
    .language_version:
      - 2
      - 0
    .max_flat_workgroup_size: 64
    .name:           _ZN9rocsolver6v33100L18getri_kernel_smallILi61E19rocblas_complex_numIfEPS3_EEvT1_iilPiilS6_bb
    .private_segment_fixed_size: 496
    .sgpr_count:     21
    .sgpr_spill_count: 0
    .symbol:         _ZN9rocsolver6v33100L18getri_kernel_smallILi61E19rocblas_complex_numIfEPS3_EEvT1_iilPiilS6_bb.kd
    .uniform_work_group_size: 1
    .uses_dynamic_stack: false
    .vgpr_count:     424
    .vgpr_spill_count: 0
    .wavefront_size: 32
  - .args:
      - .address_space:  global
        .offset:         0
        .size:           8
        .value_kind:     global_buffer
      - .offset:         8
        .size:           4
        .value_kind:     by_value
      - .offset:         12
        .size:           4
        .value_kind:     by_value
      - .offset:         16
        .size:           8
        .value_kind:     by_value
      - .address_space:  global
        .offset:         24
        .size:           8
        .value_kind:     global_buffer
      - .offset:         32
        .size:           4
        .value_kind:     by_value
      - .offset:         40
        .size:           8
        .value_kind:     by_value
      - .address_space:  global
        .offset:         48
        .size:           8
        .value_kind:     global_buffer
      - .offset:         56
        .size:           1
        .value_kind:     by_value
      - .offset:         57
        .size:           1
        .value_kind:     by_value
    .group_segment_fixed_size: 996
    .kernarg_segment_align: 8
    .kernarg_segment_size: 60
    .language:       OpenCL C
    .language_version:
      - 2
      - 0
    .max_flat_workgroup_size: 64
    .name:           _ZN9rocsolver6v33100L18getri_kernel_smallILi62E19rocblas_complex_numIfEPS3_EEvT1_iilPiilS6_bb
    .private_segment_fixed_size: 512
    .sgpr_count:     21
    .sgpr_spill_count: 0
    .symbol:         _ZN9rocsolver6v33100L18getri_kernel_smallILi62E19rocblas_complex_numIfEPS3_EEvT1_iilPiilS6_bb.kd
    .uniform_work_group_size: 1
    .uses_dynamic_stack: false
    .vgpr_count:     432
    .vgpr_spill_count: 0
    .wavefront_size: 32
  - .args:
      - .address_space:  global
        .offset:         0
        .size:           8
        .value_kind:     global_buffer
      - .offset:         8
        .size:           4
        .value_kind:     by_value
      - .offset:         12
        .size:           4
        .value_kind:     by_value
      - .offset:         16
        .size:           8
        .value_kind:     by_value
      - .address_space:  global
        .offset:         24
        .size:           8
        .value_kind:     global_buffer
      - .offset:         32
        .size:           4
        .value_kind:     by_value
      - .offset:         40
        .size:           8
        .value_kind:     by_value
      - .address_space:  global
        .offset:         48
        .size:           8
        .value_kind:     global_buffer
      - .offset:         56
        .size:           1
        .value_kind:     by_value
      - .offset:         57
        .size:           1
        .value_kind:     by_value
    .group_segment_fixed_size: 1016
    .kernarg_segment_align: 8
    .kernarg_segment_size: 60
    .language:       OpenCL C
    .language_version:
      - 2
      - 0
    .max_flat_workgroup_size: 64
    .name:           _ZN9rocsolver6v33100L18getri_kernel_smallILi63E19rocblas_complex_numIfEPS3_EEvT1_iilPiilS6_bb
    .private_segment_fixed_size: 512
    .sgpr_count:     21
    .sgpr_spill_count: 0
    .symbol:         _ZN9rocsolver6v33100L18getri_kernel_smallILi63E19rocblas_complex_numIfEPS3_EEvT1_iilPiilS6_bb.kd
    .uniform_work_group_size: 1
    .uses_dynamic_stack: false
    .vgpr_count:     438
    .vgpr_spill_count: 0
    .wavefront_size: 32
  - .args:
      - .address_space:  global
        .offset:         0
        .size:           8
        .value_kind:     global_buffer
      - .offset:         8
        .size:           4
        .value_kind:     by_value
      - .offset:         12
        .size:           4
        .value_kind:     by_value
      - .offset:         16
        .size:           8
        .value_kind:     by_value
      - .address_space:  global
        .offset:         24
        .size:           8
        .value_kind:     global_buffer
      - .offset:         32
        .size:           4
        .value_kind:     by_value
      - .offset:         40
        .size:           8
        .value_kind:     by_value
      - .address_space:  global
        .offset:         48
        .size:           8
        .value_kind:     global_buffer
      - .offset:         56
        .size:           1
        .value_kind:     by_value
      - .offset:         57
        .size:           1
        .value_kind:     by_value
    .group_segment_fixed_size: 1028
    .kernarg_segment_align: 8
    .kernarg_segment_size: 60
    .language:       OpenCL C
    .language_version:
      - 2
      - 0
    .max_flat_workgroup_size: 64
    .name:           _ZN9rocsolver6v33100L18getri_kernel_smallILi64E19rocblas_complex_numIfEPS3_EEvT1_iilPiilS6_bb
    .private_segment_fixed_size: 528
    .sgpr_count:     21
    .sgpr_spill_count: 0
    .symbol:         _ZN9rocsolver6v33100L18getri_kernel_smallILi64E19rocblas_complex_numIfEPS3_EEvT1_iilPiilS6_bb.kd
    .uniform_work_group_size: 1
    .uses_dynamic_stack: false
    .vgpr_count:     446
    .vgpr_spill_count: 0
    .wavefront_size: 32
  - .args:
      - .address_space:  global
        .offset:         0
        .size:           8
        .value_kind:     global_buffer
      - .offset:         8
        .size:           4
        .value_kind:     by_value
      - .offset:         12
        .size:           4
        .value_kind:     by_value
      - .offset:         16
        .size:           8
        .value_kind:     by_value
      - .address_space:  global
        .offset:         24
        .size:           8
        .value_kind:     global_buffer
      - .offset:         32
        .size:           4
        .value_kind:     by_value
      - .offset:         40
        .size:           8
        .value_kind:     by_value
      - .address_space:  global
        .offset:         48
        .size:           8
        .value_kind:     global_buffer
      - .offset:         56
        .size:           1
        .value_kind:     by_value
      - .offset:         57
        .size:           1
        .value_kind:     by_value
    .group_segment_fixed_size: 4
    .kernarg_segment_align: 8
    .kernarg_segment_size: 60
    .language:       OpenCL C
    .language_version:
      - 2
      - 0
    .max_flat_workgroup_size: 64
    .name:           _ZN9rocsolver6v33100L18getri_kernel_smallILi1E19rocblas_complex_numIfEPKPS3_EEvT1_iilPiilS8_bb
    .private_segment_fixed_size: 0
    .sgpr_count:     15
    .sgpr_spill_count: 0
    .symbol:         _ZN9rocsolver6v33100L18getri_kernel_smallILi1E19rocblas_complex_numIfEPKPS3_EEvT1_iilPiilS8_bb.kd
    .uniform_work_group_size: 1
    .uses_dynamic_stack: false
    .vgpr_count:     7
    .vgpr_spill_count: 0
    .wavefront_size: 32
  - .args:
      - .address_space:  global
        .offset:         0
        .size:           8
        .value_kind:     global_buffer
      - .offset:         8
        .size:           4
        .value_kind:     by_value
      - .offset:         12
        .size:           4
        .value_kind:     by_value
      - .offset:         16
        .size:           8
        .value_kind:     by_value
      - .address_space:  global
        .offset:         24
        .size:           8
        .value_kind:     global_buffer
      - .offset:         32
        .size:           4
        .value_kind:     by_value
      - .offset:         40
        .size:           8
        .value_kind:     by_value
      - .address_space:  global
        .offset:         48
        .size:           8
        .value_kind:     global_buffer
      - .offset:         56
        .size:           1
        .value_kind:     by_value
      - .offset:         57
        .size:           1
        .value_kind:     by_value
    .group_segment_fixed_size: 36
    .kernarg_segment_align: 8
    .kernarg_segment_size: 60
    .language:       OpenCL C
    .language_version:
      - 2
      - 0
    .max_flat_workgroup_size: 64
    .name:           _ZN9rocsolver6v33100L18getri_kernel_smallILi2E19rocblas_complex_numIfEPKPS3_EEvT1_iilPiilS8_bb
    .private_segment_fixed_size: 32
    .sgpr_count:     21
    .sgpr_spill_count: 0
    .symbol:         _ZN9rocsolver6v33100L18getri_kernel_smallILi2E19rocblas_complex_numIfEPKPS3_EEvT1_iilPiilS8_bb.kd
    .uniform_work_group_size: 1
    .uses_dynamic_stack: false
    .vgpr_count:     16
    .vgpr_spill_count: 0
    .wavefront_size: 32
  - .args:
      - .address_space:  global
        .offset:         0
        .size:           8
        .value_kind:     global_buffer
      - .offset:         8
        .size:           4
        .value_kind:     by_value
      - .offset:         12
        .size:           4
        .value_kind:     by_value
      - .offset:         16
        .size:           8
        .value_kind:     by_value
      - .address_space:  global
        .offset:         24
        .size:           8
        .value_kind:     global_buffer
      - .offset:         32
        .size:           4
        .value_kind:     by_value
      - .offset:         40
        .size:           8
        .value_kind:     by_value
      - .address_space:  global
        .offset:         48
        .size:           8
        .value_kind:     global_buffer
      - .offset:         56
        .size:           1
        .value_kind:     by_value
      - .offset:         57
        .size:           1
        .value_kind:     by_value
    .group_segment_fixed_size: 56
    .kernarg_segment_align: 8
    .kernarg_segment_size: 60
    .language:       OpenCL C
    .language_version:
      - 2
      - 0
    .max_flat_workgroup_size: 64
    .name:           _ZN9rocsolver6v33100L18getri_kernel_smallILi3E19rocblas_complex_numIfEPKPS3_EEvT1_iilPiilS8_bb
    .private_segment_fixed_size: 32
    .sgpr_count:     21
    .sgpr_spill_count: 0
    .symbol:         _ZN9rocsolver6v33100L18getri_kernel_smallILi3E19rocblas_complex_numIfEPKPS3_EEvT1_iilPiilS8_bb.kd
    .uniform_work_group_size: 1
    .uses_dynamic_stack: false
    .vgpr_count:     24
    .vgpr_spill_count: 0
    .wavefront_size: 32
  - .args:
      - .address_space:  global
        .offset:         0
        .size:           8
        .value_kind:     global_buffer
      - .offset:         8
        .size:           4
        .value_kind:     by_value
      - .offset:         12
        .size:           4
        .value_kind:     by_value
      - .offset:         16
        .size:           8
        .value_kind:     by_value
      - .address_space:  global
        .offset:         24
        .size:           8
        .value_kind:     global_buffer
      - .offset:         32
        .size:           4
        .value_kind:     by_value
      - .offset:         40
        .size:           8
        .value_kind:     by_value
      - .address_space:  global
        .offset:         48
        .size:           8
        .value_kind:     global_buffer
      - .offset:         56
        .size:           1
        .value_kind:     by_value
      - .offset:         57
        .size:           1
        .value_kind:     by_value
    .group_segment_fixed_size: 68
    .kernarg_segment_align: 8
    .kernarg_segment_size: 60
    .language:       OpenCL C
    .language_version:
      - 2
      - 0
    .max_flat_workgroup_size: 64
    .name:           _ZN9rocsolver6v33100L18getri_kernel_smallILi4E19rocblas_complex_numIfEPKPS3_EEvT1_iilPiilS8_bb
    .private_segment_fixed_size: 48
    .sgpr_count:     21
    .sgpr_spill_count: 0
    .symbol:         _ZN9rocsolver6v33100L18getri_kernel_smallILi4E19rocblas_complex_numIfEPKPS3_EEvT1_iilPiilS8_bb.kd
    .uniform_work_group_size: 1
    .uses_dynamic_stack: false
    .vgpr_count:     32
    .vgpr_spill_count: 0
    .wavefront_size: 32
  - .args:
      - .address_space:  global
        .offset:         0
        .size:           8
        .value_kind:     global_buffer
      - .offset:         8
        .size:           4
        .value_kind:     by_value
      - .offset:         12
        .size:           4
        .value_kind:     by_value
      - .offset:         16
        .size:           8
        .value_kind:     by_value
      - .address_space:  global
        .offset:         24
        .size:           8
        .value_kind:     global_buffer
      - .offset:         32
        .size:           4
        .value_kind:     by_value
      - .offset:         40
        .size:           8
        .value_kind:     by_value
      - .address_space:  global
        .offset:         48
        .size:           8
        .value_kind:     global_buffer
      - .offset:         56
        .size:           1
        .value_kind:     by_value
      - .offset:         57
        .size:           1
        .value_kind:     by_value
    .group_segment_fixed_size: 88
    .kernarg_segment_align: 8
    .kernarg_segment_size: 60
    .language:       OpenCL C
    .language_version:
      - 2
      - 0
    .max_flat_workgroup_size: 64
    .name:           _ZN9rocsolver6v33100L18getri_kernel_smallILi5E19rocblas_complex_numIfEPKPS3_EEvT1_iilPiilS8_bb
    .private_segment_fixed_size: 48
    .sgpr_count:     21
    .sgpr_spill_count: 0
    .symbol:         _ZN9rocsolver6v33100L18getri_kernel_smallILi5E19rocblas_complex_numIfEPKPS3_EEvT1_iilPiilS8_bb.kd
    .uniform_work_group_size: 1
    .uses_dynamic_stack: false
    .vgpr_count:     38
    .vgpr_spill_count: 0
    .wavefront_size: 32
  - .args:
      - .address_space:  global
        .offset:         0
        .size:           8
        .value_kind:     global_buffer
      - .offset:         8
        .size:           4
        .value_kind:     by_value
      - .offset:         12
        .size:           4
        .value_kind:     by_value
      - .offset:         16
        .size:           8
        .value_kind:     by_value
      - .address_space:  global
        .offset:         24
        .size:           8
        .value_kind:     global_buffer
      - .offset:         32
        .size:           4
        .value_kind:     by_value
      - .offset:         40
        .size:           8
        .value_kind:     by_value
      - .address_space:  global
        .offset:         48
        .size:           8
        .value_kind:     global_buffer
      - .offset:         56
        .size:           1
        .value_kind:     by_value
      - .offset:         57
        .size:           1
        .value_kind:     by_value
    .group_segment_fixed_size: 100
    .kernarg_segment_align: 8
    .kernarg_segment_size: 60
    .language:       OpenCL C
    .language_version:
      - 2
      - 0
    .max_flat_workgroup_size: 64
    .name:           _ZN9rocsolver6v33100L18getri_kernel_smallILi6E19rocblas_complex_numIfEPKPS3_EEvT1_iilPiilS8_bb
    .private_segment_fixed_size: 64
    .sgpr_count:     21
    .sgpr_spill_count: 0
    .symbol:         _ZN9rocsolver6v33100L18getri_kernel_smallILi6E19rocblas_complex_numIfEPKPS3_EEvT1_iilPiilS8_bb.kd
    .uniform_work_group_size: 1
    .uses_dynamic_stack: false
    .vgpr_count:     46
    .vgpr_spill_count: 0
    .wavefront_size: 32
  - .args:
      - .address_space:  global
        .offset:         0
        .size:           8
        .value_kind:     global_buffer
      - .offset:         8
        .size:           4
        .value_kind:     by_value
      - .offset:         12
        .size:           4
        .value_kind:     by_value
      - .offset:         16
        .size:           8
        .value_kind:     by_value
      - .address_space:  global
        .offset:         24
        .size:           8
        .value_kind:     global_buffer
      - .offset:         32
        .size:           4
        .value_kind:     by_value
      - .offset:         40
        .size:           8
        .value_kind:     by_value
      - .address_space:  global
        .offset:         48
        .size:           8
        .value_kind:     global_buffer
      - .offset:         56
        .size:           1
        .value_kind:     by_value
      - .offset:         57
        .size:           1
        .value_kind:     by_value
    .group_segment_fixed_size: 120
    .kernarg_segment_align: 8
    .kernarg_segment_size: 60
    .language:       OpenCL C
    .language_version:
      - 2
      - 0
    .max_flat_workgroup_size: 64
    .name:           _ZN9rocsolver6v33100L18getri_kernel_smallILi7E19rocblas_complex_numIfEPKPS3_EEvT1_iilPiilS8_bb
    .private_segment_fixed_size: 64
    .sgpr_count:     21
    .sgpr_spill_count: 0
    .symbol:         _ZN9rocsolver6v33100L18getri_kernel_smallILi7E19rocblas_complex_numIfEPKPS3_EEvT1_iilPiilS8_bb.kd
    .uniform_work_group_size: 1
    .uses_dynamic_stack: false
    .vgpr_count:     56
    .vgpr_spill_count: 0
    .wavefront_size: 32
  - .args:
      - .address_space:  global
        .offset:         0
        .size:           8
        .value_kind:     global_buffer
      - .offset:         8
        .size:           4
        .value_kind:     by_value
      - .offset:         12
        .size:           4
        .value_kind:     by_value
      - .offset:         16
        .size:           8
        .value_kind:     by_value
      - .address_space:  global
        .offset:         24
        .size:           8
        .value_kind:     global_buffer
      - .offset:         32
        .size:           4
        .value_kind:     by_value
      - .offset:         40
        .size:           8
        .value_kind:     by_value
      - .address_space:  global
        .offset:         48
        .size:           8
        .value_kind:     global_buffer
      - .offset:         56
        .size:           1
        .value_kind:     by_value
      - .offset:         57
        .size:           1
        .value_kind:     by_value
    .group_segment_fixed_size: 132
    .kernarg_segment_align: 8
    .kernarg_segment_size: 60
    .language:       OpenCL C
    .language_version:
      - 2
      - 0
    .max_flat_workgroup_size: 64
    .name:           _ZN9rocsolver6v33100L18getri_kernel_smallILi8E19rocblas_complex_numIfEPKPS3_EEvT1_iilPiilS8_bb
    .private_segment_fixed_size: 80
    .sgpr_count:     21
    .sgpr_spill_count: 0
    .symbol:         _ZN9rocsolver6v33100L18getri_kernel_smallILi8E19rocblas_complex_numIfEPKPS3_EEvT1_iilPiilS8_bb.kd
    .uniform_work_group_size: 1
    .uses_dynamic_stack: false
    .vgpr_count:     64
    .vgpr_spill_count: 0
    .wavefront_size: 32
  - .args:
      - .address_space:  global
        .offset:         0
        .size:           8
        .value_kind:     global_buffer
      - .offset:         8
        .size:           4
        .value_kind:     by_value
      - .offset:         12
        .size:           4
        .value_kind:     by_value
      - .offset:         16
        .size:           8
        .value_kind:     by_value
      - .address_space:  global
        .offset:         24
        .size:           8
        .value_kind:     global_buffer
      - .offset:         32
        .size:           4
        .value_kind:     by_value
      - .offset:         40
        .size:           8
        .value_kind:     by_value
      - .address_space:  global
        .offset:         48
        .size:           8
        .value_kind:     global_buffer
      - .offset:         56
        .size:           1
        .value_kind:     by_value
      - .offset:         57
        .size:           1
        .value_kind:     by_value
    .group_segment_fixed_size: 152
    .kernarg_segment_align: 8
    .kernarg_segment_size: 60
    .language:       OpenCL C
    .language_version:
      - 2
      - 0
    .max_flat_workgroup_size: 64
    .name:           _ZN9rocsolver6v33100L18getri_kernel_smallILi9E19rocblas_complex_numIfEPKPS3_EEvT1_iilPiilS8_bb
    .private_segment_fixed_size: 80
    .sgpr_count:     21
    .sgpr_spill_count: 0
    .symbol:         _ZN9rocsolver6v33100L18getri_kernel_smallILi9E19rocblas_complex_numIfEPKPS3_EEvT1_iilPiilS8_bb.kd
    .uniform_work_group_size: 1
    .uses_dynamic_stack: false
    .vgpr_count:     70
    .vgpr_spill_count: 0
    .wavefront_size: 32
  - .args:
      - .address_space:  global
        .offset:         0
        .size:           8
        .value_kind:     global_buffer
      - .offset:         8
        .size:           4
        .value_kind:     by_value
      - .offset:         12
        .size:           4
        .value_kind:     by_value
      - .offset:         16
        .size:           8
        .value_kind:     by_value
      - .address_space:  global
        .offset:         24
        .size:           8
        .value_kind:     global_buffer
      - .offset:         32
        .size:           4
        .value_kind:     by_value
      - .offset:         40
        .size:           8
        .value_kind:     by_value
      - .address_space:  global
        .offset:         48
        .size:           8
        .value_kind:     global_buffer
      - .offset:         56
        .size:           1
        .value_kind:     by_value
      - .offset:         57
        .size:           1
        .value_kind:     by_value
    .group_segment_fixed_size: 164
    .kernarg_segment_align: 8
    .kernarg_segment_size: 60
    .language:       OpenCL C
    .language_version:
      - 2
      - 0
    .max_flat_workgroup_size: 64
    .name:           _ZN9rocsolver6v33100L18getri_kernel_smallILi10E19rocblas_complex_numIfEPKPS3_EEvT1_iilPiilS8_bb
    .private_segment_fixed_size: 96
    .sgpr_count:     21
    .sgpr_spill_count: 0
    .symbol:         _ZN9rocsolver6v33100L18getri_kernel_smallILi10E19rocblas_complex_numIfEPKPS3_EEvT1_iilPiilS8_bb.kd
    .uniform_work_group_size: 1
    .uses_dynamic_stack: false
    .vgpr_count:     78
    .vgpr_spill_count: 0
    .wavefront_size: 32
  - .args:
      - .address_space:  global
        .offset:         0
        .size:           8
        .value_kind:     global_buffer
      - .offset:         8
        .size:           4
        .value_kind:     by_value
      - .offset:         12
        .size:           4
        .value_kind:     by_value
      - .offset:         16
        .size:           8
        .value_kind:     by_value
      - .address_space:  global
        .offset:         24
        .size:           8
        .value_kind:     global_buffer
      - .offset:         32
        .size:           4
        .value_kind:     by_value
      - .offset:         40
        .size:           8
        .value_kind:     by_value
      - .address_space:  global
        .offset:         48
        .size:           8
        .value_kind:     global_buffer
      - .offset:         56
        .size:           1
        .value_kind:     by_value
      - .offset:         57
        .size:           1
        .value_kind:     by_value
    .group_segment_fixed_size: 184
    .kernarg_segment_align: 8
    .kernarg_segment_size: 60
    .language:       OpenCL C
    .language_version:
      - 2
      - 0
    .max_flat_workgroup_size: 64
    .name:           _ZN9rocsolver6v33100L18getri_kernel_smallILi11E19rocblas_complex_numIfEPKPS3_EEvT1_iilPiilS8_bb
    .private_segment_fixed_size: 96
    .sgpr_count:     21
    .sgpr_spill_count: 0
    .symbol:         _ZN9rocsolver6v33100L18getri_kernel_smallILi11E19rocblas_complex_numIfEPKPS3_EEvT1_iilPiilS8_bb.kd
    .uniform_work_group_size: 1
    .uses_dynamic_stack: false
    .vgpr_count:     86
    .vgpr_spill_count: 0
    .wavefront_size: 32
  - .args:
      - .address_space:  global
        .offset:         0
        .size:           8
        .value_kind:     global_buffer
      - .offset:         8
        .size:           4
        .value_kind:     by_value
      - .offset:         12
        .size:           4
        .value_kind:     by_value
      - .offset:         16
        .size:           8
        .value_kind:     by_value
      - .address_space:  global
        .offset:         24
        .size:           8
        .value_kind:     global_buffer
      - .offset:         32
        .size:           4
        .value_kind:     by_value
      - .offset:         40
        .size:           8
        .value_kind:     by_value
      - .address_space:  global
        .offset:         48
        .size:           8
        .value_kind:     global_buffer
      - .offset:         56
        .size:           1
        .value_kind:     by_value
      - .offset:         57
        .size:           1
        .value_kind:     by_value
    .group_segment_fixed_size: 196
    .kernarg_segment_align: 8
    .kernarg_segment_size: 60
    .language:       OpenCL C
    .language_version:
      - 2
      - 0
    .max_flat_workgroup_size: 64
    .name:           _ZN9rocsolver6v33100L18getri_kernel_smallILi12E19rocblas_complex_numIfEPKPS3_EEvT1_iilPiilS8_bb
    .private_segment_fixed_size: 112
    .sgpr_count:     21
    .sgpr_spill_count: 0
    .symbol:         _ZN9rocsolver6v33100L18getri_kernel_smallILi12E19rocblas_complex_numIfEPKPS3_EEvT1_iilPiilS8_bb.kd
    .uniform_work_group_size: 1
    .uses_dynamic_stack: false
    .vgpr_count:     90
    .vgpr_spill_count: 0
    .wavefront_size: 32
  - .args:
      - .address_space:  global
        .offset:         0
        .size:           8
        .value_kind:     global_buffer
      - .offset:         8
        .size:           4
        .value_kind:     by_value
      - .offset:         12
        .size:           4
        .value_kind:     by_value
      - .offset:         16
        .size:           8
        .value_kind:     by_value
      - .address_space:  global
        .offset:         24
        .size:           8
        .value_kind:     global_buffer
      - .offset:         32
        .size:           4
        .value_kind:     by_value
      - .offset:         40
        .size:           8
        .value_kind:     by_value
      - .address_space:  global
        .offset:         48
        .size:           8
        .value_kind:     global_buffer
      - .offset:         56
        .size:           1
        .value_kind:     by_value
      - .offset:         57
        .size:           1
        .value_kind:     by_value
    .group_segment_fixed_size: 216
    .kernarg_segment_align: 8
    .kernarg_segment_size: 60
    .language:       OpenCL C
    .language_version:
      - 2
      - 0
    .max_flat_workgroup_size: 64
    .name:           _ZN9rocsolver6v33100L18getri_kernel_smallILi13E19rocblas_complex_numIfEPKPS3_EEvT1_iilPiilS8_bb
    .private_segment_fixed_size: 112
    .sgpr_count:     21
    .sgpr_spill_count: 0
    .symbol:         _ZN9rocsolver6v33100L18getri_kernel_smallILi13E19rocblas_complex_numIfEPKPS3_EEvT1_iilPiilS8_bb.kd
    .uniform_work_group_size: 1
    .uses_dynamic_stack: false
    .vgpr_count:     94
    .vgpr_spill_count: 0
    .wavefront_size: 32
  - .args:
      - .address_space:  global
        .offset:         0
        .size:           8
        .value_kind:     global_buffer
      - .offset:         8
        .size:           4
        .value_kind:     by_value
      - .offset:         12
        .size:           4
        .value_kind:     by_value
      - .offset:         16
        .size:           8
        .value_kind:     by_value
      - .address_space:  global
        .offset:         24
        .size:           8
        .value_kind:     global_buffer
      - .offset:         32
        .size:           4
        .value_kind:     by_value
      - .offset:         40
        .size:           8
        .value_kind:     by_value
      - .address_space:  global
        .offset:         48
        .size:           8
        .value_kind:     global_buffer
      - .offset:         56
        .size:           1
        .value_kind:     by_value
      - .offset:         57
        .size:           1
        .value_kind:     by_value
    .group_segment_fixed_size: 228
    .kernarg_segment_align: 8
    .kernarg_segment_size: 60
    .language:       OpenCL C
    .language_version:
      - 2
      - 0
    .max_flat_workgroup_size: 64
    .name:           _ZN9rocsolver6v33100L18getri_kernel_smallILi14E19rocblas_complex_numIfEPKPS3_EEvT1_iilPiilS8_bb
    .private_segment_fixed_size: 128
    .sgpr_count:     21
    .sgpr_spill_count: 0
    .symbol:         _ZN9rocsolver6v33100L18getri_kernel_smallILi14E19rocblas_complex_numIfEPKPS3_EEvT1_iilPiilS8_bb.kd
    .uniform_work_group_size: 1
    .uses_dynamic_stack: false
    .vgpr_count:     99
    .vgpr_spill_count: 0
    .wavefront_size: 32
  - .args:
      - .address_space:  global
        .offset:         0
        .size:           8
        .value_kind:     global_buffer
      - .offset:         8
        .size:           4
        .value_kind:     by_value
      - .offset:         12
        .size:           4
        .value_kind:     by_value
      - .offset:         16
        .size:           8
        .value_kind:     by_value
      - .address_space:  global
        .offset:         24
        .size:           8
        .value_kind:     global_buffer
      - .offset:         32
        .size:           4
        .value_kind:     by_value
      - .offset:         40
        .size:           8
        .value_kind:     by_value
      - .address_space:  global
        .offset:         48
        .size:           8
        .value_kind:     global_buffer
      - .offset:         56
        .size:           1
        .value_kind:     by_value
      - .offset:         57
        .size:           1
        .value_kind:     by_value
    .group_segment_fixed_size: 248
    .kernarg_segment_align: 8
    .kernarg_segment_size: 60
    .language:       OpenCL C
    .language_version:
      - 2
      - 0
    .max_flat_workgroup_size: 64
    .name:           _ZN9rocsolver6v33100L18getri_kernel_smallILi15E19rocblas_complex_numIfEPKPS3_EEvT1_iilPiilS8_bb
    .private_segment_fixed_size: 128
    .sgpr_count:     21
    .sgpr_spill_count: 0
    .symbol:         _ZN9rocsolver6v33100L18getri_kernel_smallILi15E19rocblas_complex_numIfEPKPS3_EEvT1_iilPiilS8_bb.kd
    .uniform_work_group_size: 1
    .uses_dynamic_stack: false
    .vgpr_count:     104
    .vgpr_spill_count: 0
    .wavefront_size: 32
  - .args:
      - .address_space:  global
        .offset:         0
        .size:           8
        .value_kind:     global_buffer
      - .offset:         8
        .size:           4
        .value_kind:     by_value
      - .offset:         12
        .size:           4
        .value_kind:     by_value
      - .offset:         16
        .size:           8
        .value_kind:     by_value
      - .address_space:  global
        .offset:         24
        .size:           8
        .value_kind:     global_buffer
      - .offset:         32
        .size:           4
        .value_kind:     by_value
      - .offset:         40
        .size:           8
        .value_kind:     by_value
      - .address_space:  global
        .offset:         48
        .size:           8
        .value_kind:     global_buffer
      - .offset:         56
        .size:           1
        .value_kind:     by_value
      - .offset:         57
        .size:           1
        .value_kind:     by_value
    .group_segment_fixed_size: 260
    .kernarg_segment_align: 8
    .kernarg_segment_size: 60
    .language:       OpenCL C
    .language_version:
      - 2
      - 0
    .max_flat_workgroup_size: 64
    .name:           _ZN9rocsolver6v33100L18getri_kernel_smallILi16E19rocblas_complex_numIfEPKPS3_EEvT1_iilPiilS8_bb
    .private_segment_fixed_size: 144
    .sgpr_count:     21
    .sgpr_spill_count: 0
    .symbol:         _ZN9rocsolver6v33100L18getri_kernel_smallILi16E19rocblas_complex_numIfEPKPS3_EEvT1_iilPiilS8_bb.kd
    .uniform_work_group_size: 1
    .uses_dynamic_stack: false
    .vgpr_count:     110
    .vgpr_spill_count: 0
    .wavefront_size: 32
  - .args:
      - .address_space:  global
        .offset:         0
        .size:           8
        .value_kind:     global_buffer
      - .offset:         8
        .size:           4
        .value_kind:     by_value
      - .offset:         12
        .size:           4
        .value_kind:     by_value
      - .offset:         16
        .size:           8
        .value_kind:     by_value
      - .address_space:  global
        .offset:         24
        .size:           8
        .value_kind:     global_buffer
      - .offset:         32
        .size:           4
        .value_kind:     by_value
      - .offset:         40
        .size:           8
        .value_kind:     by_value
      - .address_space:  global
        .offset:         48
        .size:           8
        .value_kind:     global_buffer
      - .offset:         56
        .size:           1
        .value_kind:     by_value
      - .offset:         57
        .size:           1
        .value_kind:     by_value
    .group_segment_fixed_size: 280
    .kernarg_segment_align: 8
    .kernarg_segment_size: 60
    .language:       OpenCL C
    .language_version:
      - 2
      - 0
    .max_flat_workgroup_size: 64
    .name:           _ZN9rocsolver6v33100L18getri_kernel_smallILi17E19rocblas_complex_numIfEPKPS3_EEvT1_iilPiilS8_bb
    .private_segment_fixed_size: 144
    .sgpr_count:     21
    .sgpr_spill_count: 0
    .symbol:         _ZN9rocsolver6v33100L18getri_kernel_smallILi17E19rocblas_complex_numIfEPKPS3_EEvT1_iilPiilS8_bb.kd
    .uniform_work_group_size: 1
    .uses_dynamic_stack: false
    .vgpr_count:     116
    .vgpr_spill_count: 0
    .wavefront_size: 32
  - .args:
      - .address_space:  global
        .offset:         0
        .size:           8
        .value_kind:     global_buffer
      - .offset:         8
        .size:           4
        .value_kind:     by_value
      - .offset:         12
        .size:           4
        .value_kind:     by_value
      - .offset:         16
        .size:           8
        .value_kind:     by_value
      - .address_space:  global
        .offset:         24
        .size:           8
        .value_kind:     global_buffer
      - .offset:         32
        .size:           4
        .value_kind:     by_value
      - .offset:         40
        .size:           8
        .value_kind:     by_value
      - .address_space:  global
        .offset:         48
        .size:           8
        .value_kind:     global_buffer
      - .offset:         56
        .size:           1
        .value_kind:     by_value
      - .offset:         57
        .size:           1
        .value_kind:     by_value
    .group_segment_fixed_size: 292
    .kernarg_segment_align: 8
    .kernarg_segment_size: 60
    .language:       OpenCL C
    .language_version:
      - 2
      - 0
    .max_flat_workgroup_size: 64
    .name:           _ZN9rocsolver6v33100L18getri_kernel_smallILi18E19rocblas_complex_numIfEPKPS3_EEvT1_iilPiilS8_bb
    .private_segment_fixed_size: 160
    .sgpr_count:     21
    .sgpr_spill_count: 0
    .symbol:         _ZN9rocsolver6v33100L18getri_kernel_smallILi18E19rocblas_complex_numIfEPKPS3_EEvT1_iilPiilS8_bb.kd
    .uniform_work_group_size: 1
    .uses_dynamic_stack: false
    .vgpr_count:     124
    .vgpr_spill_count: 0
    .wavefront_size: 32
  - .args:
      - .address_space:  global
        .offset:         0
        .size:           8
        .value_kind:     global_buffer
      - .offset:         8
        .size:           4
        .value_kind:     by_value
      - .offset:         12
        .size:           4
        .value_kind:     by_value
      - .offset:         16
        .size:           8
        .value_kind:     by_value
      - .address_space:  global
        .offset:         24
        .size:           8
        .value_kind:     global_buffer
      - .offset:         32
        .size:           4
        .value_kind:     by_value
      - .offset:         40
        .size:           8
        .value_kind:     by_value
      - .address_space:  global
        .offset:         48
        .size:           8
        .value_kind:     global_buffer
      - .offset:         56
        .size:           1
        .value_kind:     by_value
      - .offset:         57
        .size:           1
        .value_kind:     by_value
    .group_segment_fixed_size: 312
    .kernarg_segment_align: 8
    .kernarg_segment_size: 60
    .language:       OpenCL C
    .language_version:
      - 2
      - 0
    .max_flat_workgroup_size: 64
    .name:           _ZN9rocsolver6v33100L18getri_kernel_smallILi19E19rocblas_complex_numIfEPKPS3_EEvT1_iilPiilS8_bb
    .private_segment_fixed_size: 160
    .sgpr_count:     21
    .sgpr_spill_count: 0
    .symbol:         _ZN9rocsolver6v33100L18getri_kernel_smallILi19E19rocblas_complex_numIfEPKPS3_EEvT1_iilPiilS8_bb.kd
    .uniform_work_group_size: 1
    .uses_dynamic_stack: false
    .vgpr_count:     130
    .vgpr_spill_count: 0
    .wavefront_size: 32
  - .args:
      - .address_space:  global
        .offset:         0
        .size:           8
        .value_kind:     global_buffer
      - .offset:         8
        .size:           4
        .value_kind:     by_value
      - .offset:         12
        .size:           4
        .value_kind:     by_value
      - .offset:         16
        .size:           8
        .value_kind:     by_value
      - .address_space:  global
        .offset:         24
        .size:           8
        .value_kind:     global_buffer
      - .offset:         32
        .size:           4
        .value_kind:     by_value
      - .offset:         40
        .size:           8
        .value_kind:     by_value
      - .address_space:  global
        .offset:         48
        .size:           8
        .value_kind:     global_buffer
      - .offset:         56
        .size:           1
        .value_kind:     by_value
      - .offset:         57
        .size:           1
        .value_kind:     by_value
    .group_segment_fixed_size: 324
    .kernarg_segment_align: 8
    .kernarg_segment_size: 60
    .language:       OpenCL C
    .language_version:
      - 2
      - 0
    .max_flat_workgroup_size: 64
    .name:           _ZN9rocsolver6v33100L18getri_kernel_smallILi20E19rocblas_complex_numIfEPKPS3_EEvT1_iilPiilS8_bb
    .private_segment_fixed_size: 176
    .sgpr_count:     21
    .sgpr_spill_count: 0
    .symbol:         _ZN9rocsolver6v33100L18getri_kernel_smallILi20E19rocblas_complex_numIfEPKPS3_EEvT1_iilPiilS8_bb.kd
    .uniform_work_group_size: 1
    .uses_dynamic_stack: false
    .vgpr_count:     138
    .vgpr_spill_count: 0
    .wavefront_size: 32
  - .args:
      - .address_space:  global
        .offset:         0
        .size:           8
        .value_kind:     global_buffer
      - .offset:         8
        .size:           4
        .value_kind:     by_value
      - .offset:         12
        .size:           4
        .value_kind:     by_value
      - .offset:         16
        .size:           8
        .value_kind:     by_value
      - .address_space:  global
        .offset:         24
        .size:           8
        .value_kind:     global_buffer
      - .offset:         32
        .size:           4
        .value_kind:     by_value
      - .offset:         40
        .size:           8
        .value_kind:     by_value
      - .address_space:  global
        .offset:         48
        .size:           8
        .value_kind:     global_buffer
      - .offset:         56
        .size:           1
        .value_kind:     by_value
      - .offset:         57
        .size:           1
        .value_kind:     by_value
    .group_segment_fixed_size: 344
    .kernarg_segment_align: 8
    .kernarg_segment_size: 60
    .language:       OpenCL C
    .language_version:
      - 2
      - 0
    .max_flat_workgroup_size: 64
    .name:           _ZN9rocsolver6v33100L18getri_kernel_smallILi21E19rocblas_complex_numIfEPKPS3_EEvT1_iilPiilS8_bb
    .private_segment_fixed_size: 176
    .sgpr_count:     21
    .sgpr_spill_count: 0
    .symbol:         _ZN9rocsolver6v33100L18getri_kernel_smallILi21E19rocblas_complex_numIfEPKPS3_EEvT1_iilPiilS8_bb.kd
    .uniform_work_group_size: 1
    .uses_dynamic_stack: false
    .vgpr_count:     144
    .vgpr_spill_count: 0
    .wavefront_size: 32
  - .args:
      - .address_space:  global
        .offset:         0
        .size:           8
        .value_kind:     global_buffer
      - .offset:         8
        .size:           4
        .value_kind:     by_value
      - .offset:         12
        .size:           4
        .value_kind:     by_value
      - .offset:         16
        .size:           8
        .value_kind:     by_value
      - .address_space:  global
        .offset:         24
        .size:           8
        .value_kind:     global_buffer
      - .offset:         32
        .size:           4
        .value_kind:     by_value
      - .offset:         40
        .size:           8
        .value_kind:     by_value
      - .address_space:  global
        .offset:         48
        .size:           8
        .value_kind:     global_buffer
      - .offset:         56
        .size:           1
        .value_kind:     by_value
      - .offset:         57
        .size:           1
        .value_kind:     by_value
    .group_segment_fixed_size: 356
    .kernarg_segment_align: 8
    .kernarg_segment_size: 60
    .language:       OpenCL C
    .language_version:
      - 2
      - 0
    .max_flat_workgroup_size: 64
    .name:           _ZN9rocsolver6v33100L18getri_kernel_smallILi22E19rocblas_complex_numIfEPKPS3_EEvT1_iilPiilS8_bb
    .private_segment_fixed_size: 192
    .sgpr_count:     21
    .sgpr_spill_count: 0
    .symbol:         _ZN9rocsolver6v33100L18getri_kernel_smallILi22E19rocblas_complex_numIfEPKPS3_EEvT1_iilPiilS8_bb.kd
    .uniform_work_group_size: 1
    .uses_dynamic_stack: false
    .vgpr_count:     152
    .vgpr_spill_count: 0
    .wavefront_size: 32
  - .args:
      - .address_space:  global
        .offset:         0
        .size:           8
        .value_kind:     global_buffer
      - .offset:         8
        .size:           4
        .value_kind:     by_value
      - .offset:         12
        .size:           4
        .value_kind:     by_value
      - .offset:         16
        .size:           8
        .value_kind:     by_value
      - .address_space:  global
        .offset:         24
        .size:           8
        .value_kind:     global_buffer
      - .offset:         32
        .size:           4
        .value_kind:     by_value
      - .offset:         40
        .size:           8
        .value_kind:     by_value
      - .address_space:  global
        .offset:         48
        .size:           8
        .value_kind:     global_buffer
      - .offset:         56
        .size:           1
        .value_kind:     by_value
      - .offset:         57
        .size:           1
        .value_kind:     by_value
    .group_segment_fixed_size: 376
    .kernarg_segment_align: 8
    .kernarg_segment_size: 60
    .language:       OpenCL C
    .language_version:
      - 2
      - 0
    .max_flat_workgroup_size: 64
    .name:           _ZN9rocsolver6v33100L18getri_kernel_smallILi23E19rocblas_complex_numIfEPKPS3_EEvT1_iilPiilS8_bb
    .private_segment_fixed_size: 192
    .sgpr_count:     21
    .sgpr_spill_count: 0
    .symbol:         _ZN9rocsolver6v33100L18getri_kernel_smallILi23E19rocblas_complex_numIfEPKPS3_EEvT1_iilPiilS8_bb.kd
    .uniform_work_group_size: 1
    .uses_dynamic_stack: false
    .vgpr_count:     158
    .vgpr_spill_count: 0
    .wavefront_size: 32
  - .args:
      - .address_space:  global
        .offset:         0
        .size:           8
        .value_kind:     global_buffer
      - .offset:         8
        .size:           4
        .value_kind:     by_value
      - .offset:         12
        .size:           4
        .value_kind:     by_value
      - .offset:         16
        .size:           8
        .value_kind:     by_value
      - .address_space:  global
        .offset:         24
        .size:           8
        .value_kind:     global_buffer
      - .offset:         32
        .size:           4
        .value_kind:     by_value
      - .offset:         40
        .size:           8
        .value_kind:     by_value
      - .address_space:  global
        .offset:         48
        .size:           8
        .value_kind:     global_buffer
      - .offset:         56
        .size:           1
        .value_kind:     by_value
      - .offset:         57
        .size:           1
        .value_kind:     by_value
    .group_segment_fixed_size: 388
    .kernarg_segment_align: 8
    .kernarg_segment_size: 60
    .language:       OpenCL C
    .language_version:
      - 2
      - 0
    .max_flat_workgroup_size: 64
    .name:           _ZN9rocsolver6v33100L18getri_kernel_smallILi24E19rocblas_complex_numIfEPKPS3_EEvT1_iilPiilS8_bb
    .private_segment_fixed_size: 208
    .sgpr_count:     21
    .sgpr_spill_count: 0
    .symbol:         _ZN9rocsolver6v33100L18getri_kernel_smallILi24E19rocblas_complex_numIfEPKPS3_EEvT1_iilPiilS8_bb.kd
    .uniform_work_group_size: 1
    .uses_dynamic_stack: false
    .vgpr_count:     166
    .vgpr_spill_count: 0
    .wavefront_size: 32
  - .args:
      - .address_space:  global
        .offset:         0
        .size:           8
        .value_kind:     global_buffer
      - .offset:         8
        .size:           4
        .value_kind:     by_value
      - .offset:         12
        .size:           4
        .value_kind:     by_value
      - .offset:         16
        .size:           8
        .value_kind:     by_value
      - .address_space:  global
        .offset:         24
        .size:           8
        .value_kind:     global_buffer
      - .offset:         32
        .size:           4
        .value_kind:     by_value
      - .offset:         40
        .size:           8
        .value_kind:     by_value
      - .address_space:  global
        .offset:         48
        .size:           8
        .value_kind:     global_buffer
      - .offset:         56
        .size:           1
        .value_kind:     by_value
      - .offset:         57
        .size:           1
        .value_kind:     by_value
    .group_segment_fixed_size: 408
    .kernarg_segment_align: 8
    .kernarg_segment_size: 60
    .language:       OpenCL C
    .language_version:
      - 2
      - 0
    .max_flat_workgroup_size: 64
    .name:           _ZN9rocsolver6v33100L18getri_kernel_smallILi25E19rocblas_complex_numIfEPKPS3_EEvT1_iilPiilS8_bb
    .private_segment_fixed_size: 208
    .sgpr_count:     21
    .sgpr_spill_count: 0
    .symbol:         _ZN9rocsolver6v33100L18getri_kernel_smallILi25E19rocblas_complex_numIfEPKPS3_EEvT1_iilPiilS8_bb.kd
    .uniform_work_group_size: 1
    .uses_dynamic_stack: false
    .vgpr_count:     172
    .vgpr_spill_count: 0
    .wavefront_size: 32
  - .args:
      - .address_space:  global
        .offset:         0
        .size:           8
        .value_kind:     global_buffer
      - .offset:         8
        .size:           4
        .value_kind:     by_value
      - .offset:         12
        .size:           4
        .value_kind:     by_value
      - .offset:         16
        .size:           8
        .value_kind:     by_value
      - .address_space:  global
        .offset:         24
        .size:           8
        .value_kind:     global_buffer
      - .offset:         32
        .size:           4
        .value_kind:     by_value
      - .offset:         40
        .size:           8
        .value_kind:     by_value
      - .address_space:  global
        .offset:         48
        .size:           8
        .value_kind:     global_buffer
      - .offset:         56
        .size:           1
        .value_kind:     by_value
      - .offset:         57
        .size:           1
        .value_kind:     by_value
    .group_segment_fixed_size: 420
    .kernarg_segment_align: 8
    .kernarg_segment_size: 60
    .language:       OpenCL C
    .language_version:
      - 2
      - 0
    .max_flat_workgroup_size: 64
    .name:           _ZN9rocsolver6v33100L18getri_kernel_smallILi26E19rocblas_complex_numIfEPKPS3_EEvT1_iilPiilS8_bb
    .private_segment_fixed_size: 224
    .sgpr_count:     21
    .sgpr_spill_count: 0
    .symbol:         _ZN9rocsolver6v33100L18getri_kernel_smallILi26E19rocblas_complex_numIfEPKPS3_EEvT1_iilPiilS8_bb.kd
    .uniform_work_group_size: 1
    .uses_dynamic_stack: false
    .vgpr_count:     180
    .vgpr_spill_count: 0
    .wavefront_size: 32
  - .args:
      - .address_space:  global
        .offset:         0
        .size:           8
        .value_kind:     global_buffer
      - .offset:         8
        .size:           4
        .value_kind:     by_value
      - .offset:         12
        .size:           4
        .value_kind:     by_value
      - .offset:         16
        .size:           8
        .value_kind:     by_value
      - .address_space:  global
        .offset:         24
        .size:           8
        .value_kind:     global_buffer
      - .offset:         32
        .size:           4
        .value_kind:     by_value
      - .offset:         40
        .size:           8
        .value_kind:     by_value
      - .address_space:  global
        .offset:         48
        .size:           8
        .value_kind:     global_buffer
      - .offset:         56
        .size:           1
        .value_kind:     by_value
      - .offset:         57
        .size:           1
        .value_kind:     by_value
    .group_segment_fixed_size: 440
    .kernarg_segment_align: 8
    .kernarg_segment_size: 60
    .language:       OpenCL C
    .language_version:
      - 2
      - 0
    .max_flat_workgroup_size: 64
    .name:           _ZN9rocsolver6v33100L18getri_kernel_smallILi27E19rocblas_complex_numIfEPKPS3_EEvT1_iilPiilS8_bb
    .private_segment_fixed_size: 224
    .sgpr_count:     21
    .sgpr_spill_count: 0
    .symbol:         _ZN9rocsolver6v33100L18getri_kernel_smallILi27E19rocblas_complex_numIfEPKPS3_EEvT1_iilPiilS8_bb.kd
    .uniform_work_group_size: 1
    .uses_dynamic_stack: false
    .vgpr_count:     186
    .vgpr_spill_count: 0
    .wavefront_size: 32
  - .args:
      - .address_space:  global
        .offset:         0
        .size:           8
        .value_kind:     global_buffer
      - .offset:         8
        .size:           4
        .value_kind:     by_value
      - .offset:         12
        .size:           4
        .value_kind:     by_value
      - .offset:         16
        .size:           8
        .value_kind:     by_value
      - .address_space:  global
        .offset:         24
        .size:           8
        .value_kind:     global_buffer
      - .offset:         32
        .size:           4
        .value_kind:     by_value
      - .offset:         40
        .size:           8
        .value_kind:     by_value
      - .address_space:  global
        .offset:         48
        .size:           8
        .value_kind:     global_buffer
      - .offset:         56
        .size:           1
        .value_kind:     by_value
      - .offset:         57
        .size:           1
        .value_kind:     by_value
    .group_segment_fixed_size: 452
    .kernarg_segment_align: 8
    .kernarg_segment_size: 60
    .language:       OpenCL C
    .language_version:
      - 2
      - 0
    .max_flat_workgroup_size: 64
    .name:           _ZN9rocsolver6v33100L18getri_kernel_smallILi28E19rocblas_complex_numIfEPKPS3_EEvT1_iilPiilS8_bb
    .private_segment_fixed_size: 240
    .sgpr_count:     21
    .sgpr_spill_count: 0
    .symbol:         _ZN9rocsolver6v33100L18getri_kernel_smallILi28E19rocblas_complex_numIfEPKPS3_EEvT1_iilPiilS8_bb.kd
    .uniform_work_group_size: 1
    .uses_dynamic_stack: false
    .vgpr_count:     194
    .vgpr_spill_count: 0
    .wavefront_size: 32
  - .args:
      - .address_space:  global
        .offset:         0
        .size:           8
        .value_kind:     global_buffer
      - .offset:         8
        .size:           4
        .value_kind:     by_value
      - .offset:         12
        .size:           4
        .value_kind:     by_value
      - .offset:         16
        .size:           8
        .value_kind:     by_value
      - .address_space:  global
        .offset:         24
        .size:           8
        .value_kind:     global_buffer
      - .offset:         32
        .size:           4
        .value_kind:     by_value
      - .offset:         40
        .size:           8
        .value_kind:     by_value
      - .address_space:  global
        .offset:         48
        .size:           8
        .value_kind:     global_buffer
      - .offset:         56
        .size:           1
        .value_kind:     by_value
      - .offset:         57
        .size:           1
        .value_kind:     by_value
    .group_segment_fixed_size: 472
    .kernarg_segment_align: 8
    .kernarg_segment_size: 60
    .language:       OpenCL C
    .language_version:
      - 2
      - 0
    .max_flat_workgroup_size: 64
    .name:           _ZN9rocsolver6v33100L18getri_kernel_smallILi29E19rocblas_complex_numIfEPKPS3_EEvT1_iilPiilS8_bb
    .private_segment_fixed_size: 240
    .sgpr_count:     21
    .sgpr_spill_count: 0
    .symbol:         _ZN9rocsolver6v33100L18getri_kernel_smallILi29E19rocblas_complex_numIfEPKPS3_EEvT1_iilPiilS8_bb.kd
    .uniform_work_group_size: 1
    .uses_dynamic_stack: false
    .vgpr_count:     200
    .vgpr_spill_count: 0
    .wavefront_size: 32
  - .args:
      - .address_space:  global
        .offset:         0
        .size:           8
        .value_kind:     global_buffer
      - .offset:         8
        .size:           4
        .value_kind:     by_value
      - .offset:         12
        .size:           4
        .value_kind:     by_value
      - .offset:         16
        .size:           8
        .value_kind:     by_value
      - .address_space:  global
        .offset:         24
        .size:           8
        .value_kind:     global_buffer
      - .offset:         32
        .size:           4
        .value_kind:     by_value
      - .offset:         40
        .size:           8
        .value_kind:     by_value
      - .address_space:  global
        .offset:         48
        .size:           8
        .value_kind:     global_buffer
      - .offset:         56
        .size:           1
        .value_kind:     by_value
      - .offset:         57
        .size:           1
        .value_kind:     by_value
    .group_segment_fixed_size: 484
    .kernarg_segment_align: 8
    .kernarg_segment_size: 60
    .language:       OpenCL C
    .language_version:
      - 2
      - 0
    .max_flat_workgroup_size: 64
    .name:           _ZN9rocsolver6v33100L18getri_kernel_smallILi30E19rocblas_complex_numIfEPKPS3_EEvT1_iilPiilS8_bb
    .private_segment_fixed_size: 256
    .sgpr_count:     21
    .sgpr_spill_count: 0
    .symbol:         _ZN9rocsolver6v33100L18getri_kernel_smallILi30E19rocblas_complex_numIfEPKPS3_EEvT1_iilPiilS8_bb.kd
    .uniform_work_group_size: 1
    .uses_dynamic_stack: false
    .vgpr_count:     208
    .vgpr_spill_count: 0
    .wavefront_size: 32
  - .args:
      - .address_space:  global
        .offset:         0
        .size:           8
        .value_kind:     global_buffer
      - .offset:         8
        .size:           4
        .value_kind:     by_value
      - .offset:         12
        .size:           4
        .value_kind:     by_value
      - .offset:         16
        .size:           8
        .value_kind:     by_value
      - .address_space:  global
        .offset:         24
        .size:           8
        .value_kind:     global_buffer
      - .offset:         32
        .size:           4
        .value_kind:     by_value
      - .offset:         40
        .size:           8
        .value_kind:     by_value
      - .address_space:  global
        .offset:         48
        .size:           8
        .value_kind:     global_buffer
      - .offset:         56
        .size:           1
        .value_kind:     by_value
      - .offset:         57
        .size:           1
        .value_kind:     by_value
    .group_segment_fixed_size: 504
    .kernarg_segment_align: 8
    .kernarg_segment_size: 60
    .language:       OpenCL C
    .language_version:
      - 2
      - 0
    .max_flat_workgroup_size: 64
    .name:           _ZN9rocsolver6v33100L18getri_kernel_smallILi31E19rocblas_complex_numIfEPKPS3_EEvT1_iilPiilS8_bb
    .private_segment_fixed_size: 256
    .sgpr_count:     21
    .sgpr_spill_count: 0
    .symbol:         _ZN9rocsolver6v33100L18getri_kernel_smallILi31E19rocblas_complex_numIfEPKPS3_EEvT1_iilPiilS8_bb.kd
    .uniform_work_group_size: 1
    .uses_dynamic_stack: false
    .vgpr_count:     214
    .vgpr_spill_count: 0
    .wavefront_size: 32
  - .args:
      - .address_space:  global
        .offset:         0
        .size:           8
        .value_kind:     global_buffer
      - .offset:         8
        .size:           4
        .value_kind:     by_value
      - .offset:         12
        .size:           4
        .value_kind:     by_value
      - .offset:         16
        .size:           8
        .value_kind:     by_value
      - .address_space:  global
        .offset:         24
        .size:           8
        .value_kind:     global_buffer
      - .offset:         32
        .size:           4
        .value_kind:     by_value
      - .offset:         40
        .size:           8
        .value_kind:     by_value
      - .address_space:  global
        .offset:         48
        .size:           8
        .value_kind:     global_buffer
      - .offset:         56
        .size:           1
        .value_kind:     by_value
      - .offset:         57
        .size:           1
        .value_kind:     by_value
    .group_segment_fixed_size: 516
    .kernarg_segment_align: 8
    .kernarg_segment_size: 60
    .language:       OpenCL C
    .language_version:
      - 2
      - 0
    .max_flat_workgroup_size: 64
    .name:           _ZN9rocsolver6v33100L18getri_kernel_smallILi32E19rocblas_complex_numIfEPKPS3_EEvT1_iilPiilS8_bb
    .private_segment_fixed_size: 272
    .sgpr_count:     21
    .sgpr_spill_count: 0
    .symbol:         _ZN9rocsolver6v33100L18getri_kernel_smallILi32E19rocblas_complex_numIfEPKPS3_EEvT1_iilPiilS8_bb.kd
    .uniform_work_group_size: 1
    .uses_dynamic_stack: false
    .vgpr_count:     222
    .vgpr_spill_count: 0
    .wavefront_size: 32
  - .args:
      - .address_space:  global
        .offset:         0
        .size:           8
        .value_kind:     global_buffer
      - .offset:         8
        .size:           4
        .value_kind:     by_value
      - .offset:         12
        .size:           4
        .value_kind:     by_value
      - .offset:         16
        .size:           8
        .value_kind:     by_value
      - .address_space:  global
        .offset:         24
        .size:           8
        .value_kind:     global_buffer
      - .offset:         32
        .size:           4
        .value_kind:     by_value
      - .offset:         40
        .size:           8
        .value_kind:     by_value
      - .address_space:  global
        .offset:         48
        .size:           8
        .value_kind:     global_buffer
      - .offset:         56
        .size:           1
        .value_kind:     by_value
      - .offset:         57
        .size:           1
        .value_kind:     by_value
    .group_segment_fixed_size: 536
    .kernarg_segment_align: 8
    .kernarg_segment_size: 60
    .language:       OpenCL C
    .language_version:
      - 2
      - 0
    .max_flat_workgroup_size: 64
    .name:           _ZN9rocsolver6v33100L18getri_kernel_smallILi33E19rocblas_complex_numIfEPKPS3_EEvT1_iilPiilS8_bb
    .private_segment_fixed_size: 272
    .sgpr_count:     21
    .sgpr_spill_count: 0
    .symbol:         _ZN9rocsolver6v33100L18getri_kernel_smallILi33E19rocblas_complex_numIfEPKPS3_EEvT1_iilPiilS8_bb.kd
    .uniform_work_group_size: 1
    .uses_dynamic_stack: false
    .vgpr_count:     228
    .vgpr_spill_count: 0
    .wavefront_size: 32
  - .args:
      - .address_space:  global
        .offset:         0
        .size:           8
        .value_kind:     global_buffer
      - .offset:         8
        .size:           4
        .value_kind:     by_value
      - .offset:         12
        .size:           4
        .value_kind:     by_value
      - .offset:         16
        .size:           8
        .value_kind:     by_value
      - .address_space:  global
        .offset:         24
        .size:           8
        .value_kind:     global_buffer
      - .offset:         32
        .size:           4
        .value_kind:     by_value
      - .offset:         40
        .size:           8
        .value_kind:     by_value
      - .address_space:  global
        .offset:         48
        .size:           8
        .value_kind:     global_buffer
      - .offset:         56
        .size:           1
        .value_kind:     by_value
      - .offset:         57
        .size:           1
        .value_kind:     by_value
    .group_segment_fixed_size: 548
    .kernarg_segment_align: 8
    .kernarg_segment_size: 60
    .language:       OpenCL C
    .language_version:
      - 2
      - 0
    .max_flat_workgroup_size: 64
    .name:           _ZN9rocsolver6v33100L18getri_kernel_smallILi34E19rocblas_complex_numIfEPKPS3_EEvT1_iilPiilS8_bb
    .private_segment_fixed_size: 288
    .sgpr_count:     21
    .sgpr_spill_count: 0
    .symbol:         _ZN9rocsolver6v33100L18getri_kernel_smallILi34E19rocblas_complex_numIfEPKPS3_EEvT1_iilPiilS8_bb.kd
    .uniform_work_group_size: 1
    .uses_dynamic_stack: false
    .vgpr_count:     236
    .vgpr_spill_count: 0
    .wavefront_size: 32
  - .args:
      - .address_space:  global
        .offset:         0
        .size:           8
        .value_kind:     global_buffer
      - .offset:         8
        .size:           4
        .value_kind:     by_value
      - .offset:         12
        .size:           4
        .value_kind:     by_value
      - .offset:         16
        .size:           8
        .value_kind:     by_value
      - .address_space:  global
        .offset:         24
        .size:           8
        .value_kind:     global_buffer
      - .offset:         32
        .size:           4
        .value_kind:     by_value
      - .offset:         40
        .size:           8
        .value_kind:     by_value
      - .address_space:  global
        .offset:         48
        .size:           8
        .value_kind:     global_buffer
      - .offset:         56
        .size:           1
        .value_kind:     by_value
      - .offset:         57
        .size:           1
        .value_kind:     by_value
    .group_segment_fixed_size: 568
    .kernarg_segment_align: 8
    .kernarg_segment_size: 60
    .language:       OpenCL C
    .language_version:
      - 2
      - 0
    .max_flat_workgroup_size: 64
    .name:           _ZN9rocsolver6v33100L18getri_kernel_smallILi35E19rocblas_complex_numIfEPKPS3_EEvT1_iilPiilS8_bb
    .private_segment_fixed_size: 288
    .sgpr_count:     21
    .sgpr_spill_count: 0
    .symbol:         _ZN9rocsolver6v33100L18getri_kernel_smallILi35E19rocblas_complex_numIfEPKPS3_EEvT1_iilPiilS8_bb.kd
    .uniform_work_group_size: 1
    .uses_dynamic_stack: false
    .vgpr_count:     242
    .vgpr_spill_count: 0
    .wavefront_size: 32
  - .args:
      - .address_space:  global
        .offset:         0
        .size:           8
        .value_kind:     global_buffer
      - .offset:         8
        .size:           4
        .value_kind:     by_value
      - .offset:         12
        .size:           4
        .value_kind:     by_value
      - .offset:         16
        .size:           8
        .value_kind:     by_value
      - .address_space:  global
        .offset:         24
        .size:           8
        .value_kind:     global_buffer
      - .offset:         32
        .size:           4
        .value_kind:     by_value
      - .offset:         40
        .size:           8
        .value_kind:     by_value
      - .address_space:  global
        .offset:         48
        .size:           8
        .value_kind:     global_buffer
      - .offset:         56
        .size:           1
        .value_kind:     by_value
      - .offset:         57
        .size:           1
        .value_kind:     by_value
    .group_segment_fixed_size: 580
    .kernarg_segment_align: 8
    .kernarg_segment_size: 60
    .language:       OpenCL C
    .language_version:
      - 2
      - 0
    .max_flat_workgroup_size: 64
    .name:           _ZN9rocsolver6v33100L18getri_kernel_smallILi36E19rocblas_complex_numIfEPKPS3_EEvT1_iilPiilS8_bb
    .private_segment_fixed_size: 304
    .sgpr_count:     21
    .sgpr_spill_count: 0
    .symbol:         _ZN9rocsolver6v33100L18getri_kernel_smallILi36E19rocblas_complex_numIfEPKPS3_EEvT1_iilPiilS8_bb.kd
    .uniform_work_group_size: 1
    .uses_dynamic_stack: false
    .vgpr_count:     250
    .vgpr_spill_count: 0
    .wavefront_size: 32
  - .args:
      - .address_space:  global
        .offset:         0
        .size:           8
        .value_kind:     global_buffer
      - .offset:         8
        .size:           4
        .value_kind:     by_value
      - .offset:         12
        .size:           4
        .value_kind:     by_value
      - .offset:         16
        .size:           8
        .value_kind:     by_value
      - .address_space:  global
        .offset:         24
        .size:           8
        .value_kind:     global_buffer
      - .offset:         32
        .size:           4
        .value_kind:     by_value
      - .offset:         40
        .size:           8
        .value_kind:     by_value
      - .address_space:  global
        .offset:         48
        .size:           8
        .value_kind:     global_buffer
      - .offset:         56
        .size:           1
        .value_kind:     by_value
      - .offset:         57
        .size:           1
        .value_kind:     by_value
    .group_segment_fixed_size: 600
    .kernarg_segment_align: 8
    .kernarg_segment_size: 60
    .language:       OpenCL C
    .language_version:
      - 2
      - 0
    .max_flat_workgroup_size: 64
    .name:           _ZN9rocsolver6v33100L18getri_kernel_smallILi37E19rocblas_complex_numIfEPKPS3_EEvT1_iilPiilS8_bb
    .private_segment_fixed_size: 304
    .sgpr_count:     21
    .sgpr_spill_count: 0
    .symbol:         _ZN9rocsolver6v33100L18getri_kernel_smallILi37E19rocblas_complex_numIfEPKPS3_EEvT1_iilPiilS8_bb.kd
    .uniform_work_group_size: 1
    .uses_dynamic_stack: false
    .vgpr_count:     241
    .vgpr_spill_count: 0
    .wavefront_size: 32
  - .args:
      - .address_space:  global
        .offset:         0
        .size:           8
        .value_kind:     global_buffer
      - .offset:         8
        .size:           4
        .value_kind:     by_value
      - .offset:         12
        .size:           4
        .value_kind:     by_value
      - .offset:         16
        .size:           8
        .value_kind:     by_value
      - .address_space:  global
        .offset:         24
        .size:           8
        .value_kind:     global_buffer
      - .offset:         32
        .size:           4
        .value_kind:     by_value
      - .offset:         40
        .size:           8
        .value_kind:     by_value
      - .address_space:  global
        .offset:         48
        .size:           8
        .value_kind:     global_buffer
      - .offset:         56
        .size:           1
        .value_kind:     by_value
      - .offset:         57
        .size:           1
        .value_kind:     by_value
    .group_segment_fixed_size: 612
    .kernarg_segment_align: 8
    .kernarg_segment_size: 60
    .language:       OpenCL C
    .language_version:
      - 2
      - 0
    .max_flat_workgroup_size: 64
    .name:           _ZN9rocsolver6v33100L18getri_kernel_smallILi38E19rocblas_complex_numIfEPKPS3_EEvT1_iilPiilS8_bb
    .private_segment_fixed_size: 320
    .sgpr_count:     21
    .sgpr_spill_count: 0
    .symbol:         _ZN9rocsolver6v33100L18getri_kernel_smallILi38E19rocblas_complex_numIfEPKPS3_EEvT1_iilPiilS8_bb.kd
    .uniform_work_group_size: 1
    .uses_dynamic_stack: false
    .vgpr_count:     244
    .vgpr_spill_count: 0
    .wavefront_size: 32
  - .args:
      - .address_space:  global
        .offset:         0
        .size:           8
        .value_kind:     global_buffer
      - .offset:         8
        .size:           4
        .value_kind:     by_value
      - .offset:         12
        .size:           4
        .value_kind:     by_value
      - .offset:         16
        .size:           8
        .value_kind:     by_value
      - .address_space:  global
        .offset:         24
        .size:           8
        .value_kind:     global_buffer
      - .offset:         32
        .size:           4
        .value_kind:     by_value
      - .offset:         40
        .size:           8
        .value_kind:     by_value
      - .address_space:  global
        .offset:         48
        .size:           8
        .value_kind:     global_buffer
      - .offset:         56
        .size:           1
        .value_kind:     by_value
      - .offset:         57
        .size:           1
        .value_kind:     by_value
    .group_segment_fixed_size: 632
    .kernarg_segment_align: 8
    .kernarg_segment_size: 60
    .language:       OpenCL C
    .language_version:
      - 2
      - 0
    .max_flat_workgroup_size: 64
    .name:           _ZN9rocsolver6v33100L18getri_kernel_smallILi39E19rocblas_complex_numIfEPKPS3_EEvT1_iilPiilS8_bb
    .private_segment_fixed_size: 320
    .sgpr_count:     21
    .sgpr_spill_count: 0
    .symbol:         _ZN9rocsolver6v33100L18getri_kernel_smallILi39E19rocblas_complex_numIfEPKPS3_EEvT1_iilPiilS8_bb.kd
    .uniform_work_group_size: 1
    .uses_dynamic_stack: false
    .vgpr_count:     244
    .vgpr_spill_count: 0
    .wavefront_size: 32
  - .args:
      - .address_space:  global
        .offset:         0
        .size:           8
        .value_kind:     global_buffer
      - .offset:         8
        .size:           4
        .value_kind:     by_value
      - .offset:         12
        .size:           4
        .value_kind:     by_value
      - .offset:         16
        .size:           8
        .value_kind:     by_value
      - .address_space:  global
        .offset:         24
        .size:           8
        .value_kind:     global_buffer
      - .offset:         32
        .size:           4
        .value_kind:     by_value
      - .offset:         40
        .size:           8
        .value_kind:     by_value
      - .address_space:  global
        .offset:         48
        .size:           8
        .value_kind:     global_buffer
      - .offset:         56
        .size:           1
        .value_kind:     by_value
      - .offset:         57
        .size:           1
        .value_kind:     by_value
    .group_segment_fixed_size: 644
    .kernarg_segment_align: 8
    .kernarg_segment_size: 60
    .language:       OpenCL C
    .language_version:
      - 2
      - 0
    .max_flat_workgroup_size: 64
    .name:           _ZN9rocsolver6v33100L18getri_kernel_smallILi40E19rocblas_complex_numIfEPKPS3_EEvT1_iilPiilS8_bb
    .private_segment_fixed_size: 336
    .sgpr_count:     21
    .sgpr_spill_count: 0
    .symbol:         _ZN9rocsolver6v33100L18getri_kernel_smallILi40E19rocblas_complex_numIfEPKPS3_EEvT1_iilPiilS8_bb.kd
    .uniform_work_group_size: 1
    .uses_dynamic_stack: false
    .vgpr_count:     245
    .vgpr_spill_count: 0
    .wavefront_size: 32
  - .args:
      - .address_space:  global
        .offset:         0
        .size:           8
        .value_kind:     global_buffer
      - .offset:         8
        .size:           4
        .value_kind:     by_value
      - .offset:         12
        .size:           4
        .value_kind:     by_value
      - .offset:         16
        .size:           8
        .value_kind:     by_value
      - .address_space:  global
        .offset:         24
        .size:           8
        .value_kind:     global_buffer
      - .offset:         32
        .size:           4
        .value_kind:     by_value
      - .offset:         40
        .size:           8
        .value_kind:     by_value
      - .address_space:  global
        .offset:         48
        .size:           8
        .value_kind:     global_buffer
      - .offset:         56
        .size:           1
        .value_kind:     by_value
      - .offset:         57
        .size:           1
        .value_kind:     by_value
    .group_segment_fixed_size: 664
    .kernarg_segment_align: 8
    .kernarg_segment_size: 60
    .language:       OpenCL C
    .language_version:
      - 2
      - 0
    .max_flat_workgroup_size: 64
    .name:           _ZN9rocsolver6v33100L18getri_kernel_smallILi41E19rocblas_complex_numIfEPKPS3_EEvT1_iilPiilS8_bb
    .private_segment_fixed_size: 336
    .sgpr_count:     21
    .sgpr_spill_count: 0
    .symbol:         _ZN9rocsolver6v33100L18getri_kernel_smallILi41E19rocblas_complex_numIfEPKPS3_EEvT1_iilPiilS8_bb.kd
    .uniform_work_group_size: 1
    .uses_dynamic_stack: false
    .vgpr_count:     252
    .vgpr_spill_count: 0
    .wavefront_size: 32
  - .args:
      - .address_space:  global
        .offset:         0
        .size:           8
        .value_kind:     global_buffer
      - .offset:         8
        .size:           4
        .value_kind:     by_value
      - .offset:         12
        .size:           4
        .value_kind:     by_value
      - .offset:         16
        .size:           8
        .value_kind:     by_value
      - .address_space:  global
        .offset:         24
        .size:           8
        .value_kind:     global_buffer
      - .offset:         32
        .size:           4
        .value_kind:     by_value
      - .offset:         40
        .size:           8
        .value_kind:     by_value
      - .address_space:  global
        .offset:         48
        .size:           8
        .value_kind:     global_buffer
      - .offset:         56
        .size:           1
        .value_kind:     by_value
      - .offset:         57
        .size:           1
        .value_kind:     by_value
    .group_segment_fixed_size: 676
    .kernarg_segment_align: 8
    .kernarg_segment_size: 60
    .language:       OpenCL C
    .language_version:
      - 2
      - 0
    .max_flat_workgroup_size: 64
    .name:           _ZN9rocsolver6v33100L18getri_kernel_smallILi42E19rocblas_complex_numIfEPKPS3_EEvT1_iilPiilS8_bb
    .private_segment_fixed_size: 352
    .sgpr_count:     21
    .sgpr_spill_count: 0
    .symbol:         _ZN9rocsolver6v33100L18getri_kernel_smallILi42E19rocblas_complex_numIfEPKPS3_EEvT1_iilPiilS8_bb.kd
    .uniform_work_group_size: 1
    .uses_dynamic_stack: false
    .vgpr_count:     256
    .vgpr_spill_count: 0
    .wavefront_size: 32
  - .args:
      - .address_space:  global
        .offset:         0
        .size:           8
        .value_kind:     global_buffer
      - .offset:         8
        .size:           4
        .value_kind:     by_value
      - .offset:         12
        .size:           4
        .value_kind:     by_value
      - .offset:         16
        .size:           8
        .value_kind:     by_value
      - .address_space:  global
        .offset:         24
        .size:           8
        .value_kind:     global_buffer
      - .offset:         32
        .size:           4
        .value_kind:     by_value
      - .offset:         40
        .size:           8
        .value_kind:     by_value
      - .address_space:  global
        .offset:         48
        .size:           8
        .value_kind:     global_buffer
      - .offset:         56
        .size:           1
        .value_kind:     by_value
      - .offset:         57
        .size:           1
        .value_kind:     by_value
    .group_segment_fixed_size: 696
    .kernarg_segment_align: 8
    .kernarg_segment_size: 60
    .language:       OpenCL C
    .language_version:
      - 2
      - 0
    .max_flat_workgroup_size: 64
    .name:           _ZN9rocsolver6v33100L18getri_kernel_smallILi43E19rocblas_complex_numIfEPKPS3_EEvT1_iilPiilS8_bb
    .private_segment_fixed_size: 352
    .sgpr_count:     21
    .sgpr_spill_count: 0
    .symbol:         _ZN9rocsolver6v33100L18getri_kernel_smallILi43E19rocblas_complex_numIfEPKPS3_EEvT1_iilPiilS8_bb.kd
    .uniform_work_group_size: 1
    .uses_dynamic_stack: false
    .vgpr_count:     262
    .vgpr_spill_count: 0
    .wavefront_size: 32
  - .args:
      - .address_space:  global
        .offset:         0
        .size:           8
        .value_kind:     global_buffer
      - .offset:         8
        .size:           4
        .value_kind:     by_value
      - .offset:         12
        .size:           4
        .value_kind:     by_value
      - .offset:         16
        .size:           8
        .value_kind:     by_value
      - .address_space:  global
        .offset:         24
        .size:           8
        .value_kind:     global_buffer
      - .offset:         32
        .size:           4
        .value_kind:     by_value
      - .offset:         40
        .size:           8
        .value_kind:     by_value
      - .address_space:  global
        .offset:         48
        .size:           8
        .value_kind:     global_buffer
      - .offset:         56
        .size:           1
        .value_kind:     by_value
      - .offset:         57
        .size:           1
        .value_kind:     by_value
    .group_segment_fixed_size: 708
    .kernarg_segment_align: 8
    .kernarg_segment_size: 60
    .language:       OpenCL C
    .language_version:
      - 2
      - 0
    .max_flat_workgroup_size: 64
    .name:           _ZN9rocsolver6v33100L18getri_kernel_smallILi44E19rocblas_complex_numIfEPKPS3_EEvT1_iilPiilS8_bb
    .private_segment_fixed_size: 368
    .sgpr_count:     21
    .sgpr_spill_count: 0
    .symbol:         _ZN9rocsolver6v33100L18getri_kernel_smallILi44E19rocblas_complex_numIfEPKPS3_EEvT1_iilPiilS8_bb.kd
    .uniform_work_group_size: 1
    .uses_dynamic_stack: false
    .vgpr_count:     264
    .vgpr_spill_count: 0
    .wavefront_size: 32
  - .args:
      - .address_space:  global
        .offset:         0
        .size:           8
        .value_kind:     global_buffer
      - .offset:         8
        .size:           4
        .value_kind:     by_value
      - .offset:         12
        .size:           4
        .value_kind:     by_value
      - .offset:         16
        .size:           8
        .value_kind:     by_value
      - .address_space:  global
        .offset:         24
        .size:           8
        .value_kind:     global_buffer
      - .offset:         32
        .size:           4
        .value_kind:     by_value
      - .offset:         40
        .size:           8
        .value_kind:     by_value
      - .address_space:  global
        .offset:         48
        .size:           8
        .value_kind:     global_buffer
      - .offset:         56
        .size:           1
        .value_kind:     by_value
      - .offset:         57
        .size:           1
        .value_kind:     by_value
    .group_segment_fixed_size: 728
    .kernarg_segment_align: 8
    .kernarg_segment_size: 60
    .language:       OpenCL C
    .language_version:
      - 2
      - 0
    .max_flat_workgroup_size: 64
    .name:           _ZN9rocsolver6v33100L18getri_kernel_smallILi45E19rocblas_complex_numIfEPKPS3_EEvT1_iilPiilS8_bb
    .private_segment_fixed_size: 368
    .sgpr_count:     21
    .sgpr_spill_count: 0
    .symbol:         _ZN9rocsolver6v33100L18getri_kernel_smallILi45E19rocblas_complex_numIfEPKPS3_EEvT1_iilPiilS8_bb.kd
    .uniform_work_group_size: 1
    .uses_dynamic_stack: false
    .vgpr_count:     266
    .vgpr_spill_count: 0
    .wavefront_size: 32
  - .args:
      - .address_space:  global
        .offset:         0
        .size:           8
        .value_kind:     global_buffer
      - .offset:         8
        .size:           4
        .value_kind:     by_value
      - .offset:         12
        .size:           4
        .value_kind:     by_value
      - .offset:         16
        .size:           8
        .value_kind:     by_value
      - .address_space:  global
        .offset:         24
        .size:           8
        .value_kind:     global_buffer
      - .offset:         32
        .size:           4
        .value_kind:     by_value
      - .offset:         40
        .size:           8
        .value_kind:     by_value
      - .address_space:  global
        .offset:         48
        .size:           8
        .value_kind:     global_buffer
      - .offset:         56
        .size:           1
        .value_kind:     by_value
      - .offset:         57
        .size:           1
        .value_kind:     by_value
    .group_segment_fixed_size: 740
    .kernarg_segment_align: 8
    .kernarg_segment_size: 60
    .language:       OpenCL C
    .language_version:
      - 2
      - 0
    .max_flat_workgroup_size: 64
    .name:           _ZN9rocsolver6v33100L18getri_kernel_smallILi46E19rocblas_complex_numIfEPKPS3_EEvT1_iilPiilS8_bb
    .private_segment_fixed_size: 384
    .sgpr_count:     21
    .sgpr_spill_count: 0
    .symbol:         _ZN9rocsolver6v33100L18getri_kernel_smallILi46E19rocblas_complex_numIfEPKPS3_EEvT1_iilPiilS8_bb.kd
    .uniform_work_group_size: 1
    .uses_dynamic_stack: false
    .vgpr_count:     320
    .vgpr_spill_count: 0
    .wavefront_size: 32
  - .args:
      - .address_space:  global
        .offset:         0
        .size:           8
        .value_kind:     global_buffer
      - .offset:         8
        .size:           4
        .value_kind:     by_value
      - .offset:         12
        .size:           4
        .value_kind:     by_value
      - .offset:         16
        .size:           8
        .value_kind:     by_value
      - .address_space:  global
        .offset:         24
        .size:           8
        .value_kind:     global_buffer
      - .offset:         32
        .size:           4
        .value_kind:     by_value
      - .offset:         40
        .size:           8
        .value_kind:     by_value
      - .address_space:  global
        .offset:         48
        .size:           8
        .value_kind:     global_buffer
      - .offset:         56
        .size:           1
        .value_kind:     by_value
      - .offset:         57
        .size:           1
        .value_kind:     by_value
    .group_segment_fixed_size: 760
    .kernarg_segment_align: 8
    .kernarg_segment_size: 60
    .language:       OpenCL C
    .language_version:
      - 2
      - 0
    .max_flat_workgroup_size: 64
    .name:           _ZN9rocsolver6v33100L18getri_kernel_smallILi47E19rocblas_complex_numIfEPKPS3_EEvT1_iilPiilS8_bb
    .private_segment_fixed_size: 384
    .sgpr_count:     21
    .sgpr_spill_count: 0
    .symbol:         _ZN9rocsolver6v33100L18getri_kernel_smallILi47E19rocblas_complex_numIfEPKPS3_EEvT1_iilPiilS8_bb.kd
    .uniform_work_group_size: 1
    .uses_dynamic_stack: false
    .vgpr_count:     326
    .vgpr_spill_count: 0
    .wavefront_size: 32
  - .args:
      - .address_space:  global
        .offset:         0
        .size:           8
        .value_kind:     global_buffer
      - .offset:         8
        .size:           4
        .value_kind:     by_value
      - .offset:         12
        .size:           4
        .value_kind:     by_value
      - .offset:         16
        .size:           8
        .value_kind:     by_value
      - .address_space:  global
        .offset:         24
        .size:           8
        .value_kind:     global_buffer
      - .offset:         32
        .size:           4
        .value_kind:     by_value
      - .offset:         40
        .size:           8
        .value_kind:     by_value
      - .address_space:  global
        .offset:         48
        .size:           8
        .value_kind:     global_buffer
      - .offset:         56
        .size:           1
        .value_kind:     by_value
      - .offset:         57
        .size:           1
        .value_kind:     by_value
    .group_segment_fixed_size: 772
    .kernarg_segment_align: 8
    .kernarg_segment_size: 60
    .language:       OpenCL C
    .language_version:
      - 2
      - 0
    .max_flat_workgroup_size: 64
    .name:           _ZN9rocsolver6v33100L18getri_kernel_smallILi48E19rocblas_complex_numIfEPKPS3_EEvT1_iilPiilS8_bb
    .private_segment_fixed_size: 400
    .sgpr_count:     21
    .sgpr_spill_count: 0
    .symbol:         _ZN9rocsolver6v33100L18getri_kernel_smallILi48E19rocblas_complex_numIfEPKPS3_EEvT1_iilPiilS8_bb.kd
    .uniform_work_group_size: 1
    .uses_dynamic_stack: false
    .vgpr_count:     334
    .vgpr_spill_count: 0
    .wavefront_size: 32
  - .args:
      - .address_space:  global
        .offset:         0
        .size:           8
        .value_kind:     global_buffer
      - .offset:         8
        .size:           4
        .value_kind:     by_value
      - .offset:         12
        .size:           4
        .value_kind:     by_value
      - .offset:         16
        .size:           8
        .value_kind:     by_value
      - .address_space:  global
        .offset:         24
        .size:           8
        .value_kind:     global_buffer
      - .offset:         32
        .size:           4
        .value_kind:     by_value
      - .offset:         40
        .size:           8
        .value_kind:     by_value
      - .address_space:  global
        .offset:         48
        .size:           8
        .value_kind:     global_buffer
      - .offset:         56
        .size:           1
        .value_kind:     by_value
      - .offset:         57
        .size:           1
        .value_kind:     by_value
    .group_segment_fixed_size: 792
    .kernarg_segment_align: 8
    .kernarg_segment_size: 60
    .language:       OpenCL C
    .language_version:
      - 2
      - 0
    .max_flat_workgroup_size: 64
    .name:           _ZN9rocsolver6v33100L18getri_kernel_smallILi49E19rocblas_complex_numIfEPKPS3_EEvT1_iilPiilS8_bb
    .private_segment_fixed_size: 400
    .sgpr_count:     21
    .sgpr_spill_count: 0
    .symbol:         _ZN9rocsolver6v33100L18getri_kernel_smallILi49E19rocblas_complex_numIfEPKPS3_EEvT1_iilPiilS8_bb.kd
    .uniform_work_group_size: 1
    .uses_dynamic_stack: false
    .vgpr_count:     309
    .vgpr_spill_count: 0
    .wavefront_size: 32
  - .args:
      - .address_space:  global
        .offset:         0
        .size:           8
        .value_kind:     global_buffer
      - .offset:         8
        .size:           4
        .value_kind:     by_value
      - .offset:         12
        .size:           4
        .value_kind:     by_value
      - .offset:         16
        .size:           8
        .value_kind:     by_value
      - .address_space:  global
        .offset:         24
        .size:           8
        .value_kind:     global_buffer
      - .offset:         32
        .size:           4
        .value_kind:     by_value
      - .offset:         40
        .size:           8
        .value_kind:     by_value
      - .address_space:  global
        .offset:         48
        .size:           8
        .value_kind:     global_buffer
      - .offset:         56
        .size:           1
        .value_kind:     by_value
      - .offset:         57
        .size:           1
        .value_kind:     by_value
    .group_segment_fixed_size: 804
    .kernarg_segment_align: 8
    .kernarg_segment_size: 60
    .language:       OpenCL C
    .language_version:
      - 2
      - 0
    .max_flat_workgroup_size: 64
    .name:           _ZN9rocsolver6v33100L18getri_kernel_smallILi50E19rocblas_complex_numIfEPKPS3_EEvT1_iilPiilS8_bb
    .private_segment_fixed_size: 416
    .sgpr_count:     21
    .sgpr_spill_count: 0
    .symbol:         _ZN9rocsolver6v33100L18getri_kernel_smallILi50E19rocblas_complex_numIfEPKPS3_EEvT1_iilPiilS8_bb.kd
    .uniform_work_group_size: 1
    .uses_dynamic_stack: false
    .vgpr_count:     310
    .vgpr_spill_count: 0
    .wavefront_size: 32
  - .args:
      - .address_space:  global
        .offset:         0
        .size:           8
        .value_kind:     global_buffer
      - .offset:         8
        .size:           4
        .value_kind:     by_value
      - .offset:         12
        .size:           4
        .value_kind:     by_value
      - .offset:         16
        .size:           8
        .value_kind:     by_value
      - .address_space:  global
        .offset:         24
        .size:           8
        .value_kind:     global_buffer
      - .offset:         32
        .size:           4
        .value_kind:     by_value
      - .offset:         40
        .size:           8
        .value_kind:     by_value
      - .address_space:  global
        .offset:         48
        .size:           8
        .value_kind:     global_buffer
      - .offset:         56
        .size:           1
        .value_kind:     by_value
      - .offset:         57
        .size:           1
        .value_kind:     by_value
    .group_segment_fixed_size: 824
    .kernarg_segment_align: 8
    .kernarg_segment_size: 60
    .language:       OpenCL C
    .language_version:
      - 2
      - 0
    .max_flat_workgroup_size: 64
    .name:           _ZN9rocsolver6v33100L18getri_kernel_smallILi51E19rocblas_complex_numIfEPKPS3_EEvT1_iilPiilS8_bb
    .private_segment_fixed_size: 416
    .sgpr_count:     21
    .sgpr_spill_count: 0
    .symbol:         _ZN9rocsolver6v33100L18getri_kernel_smallILi51E19rocblas_complex_numIfEPKPS3_EEvT1_iilPiilS8_bb.kd
    .uniform_work_group_size: 1
    .uses_dynamic_stack: false
    .vgpr_count:     313
    .vgpr_spill_count: 0
    .wavefront_size: 32
  - .args:
      - .address_space:  global
        .offset:         0
        .size:           8
        .value_kind:     global_buffer
      - .offset:         8
        .size:           4
        .value_kind:     by_value
      - .offset:         12
        .size:           4
        .value_kind:     by_value
      - .offset:         16
        .size:           8
        .value_kind:     by_value
      - .address_space:  global
        .offset:         24
        .size:           8
        .value_kind:     global_buffer
      - .offset:         32
        .size:           4
        .value_kind:     by_value
      - .offset:         40
        .size:           8
        .value_kind:     by_value
      - .address_space:  global
        .offset:         48
        .size:           8
        .value_kind:     global_buffer
      - .offset:         56
        .size:           1
        .value_kind:     by_value
      - .offset:         57
        .size:           1
        .value_kind:     by_value
    .group_segment_fixed_size: 836
    .kernarg_segment_align: 8
    .kernarg_segment_size: 60
    .language:       OpenCL C
    .language_version:
      - 2
      - 0
    .max_flat_workgroup_size: 64
    .name:           _ZN9rocsolver6v33100L18getri_kernel_smallILi52E19rocblas_complex_numIfEPKPS3_EEvT1_iilPiilS8_bb
    .private_segment_fixed_size: 432
    .sgpr_count:     21
    .sgpr_spill_count: 0
    .symbol:         _ZN9rocsolver6v33100L18getri_kernel_smallILi52E19rocblas_complex_numIfEPKPS3_EEvT1_iilPiilS8_bb.kd
    .uniform_work_group_size: 1
    .uses_dynamic_stack: false
    .vgpr_count:     318
    .vgpr_spill_count: 0
    .wavefront_size: 32
  - .args:
      - .address_space:  global
        .offset:         0
        .size:           8
        .value_kind:     global_buffer
      - .offset:         8
        .size:           4
        .value_kind:     by_value
      - .offset:         12
        .size:           4
        .value_kind:     by_value
      - .offset:         16
        .size:           8
        .value_kind:     by_value
      - .address_space:  global
        .offset:         24
        .size:           8
        .value_kind:     global_buffer
      - .offset:         32
        .size:           4
        .value_kind:     by_value
      - .offset:         40
        .size:           8
        .value_kind:     by_value
      - .address_space:  global
        .offset:         48
        .size:           8
        .value_kind:     global_buffer
      - .offset:         56
        .size:           1
        .value_kind:     by_value
      - .offset:         57
        .size:           1
        .value_kind:     by_value
    .group_segment_fixed_size: 856
    .kernarg_segment_align: 8
    .kernarg_segment_size: 60
    .language:       OpenCL C
    .language_version:
      - 2
      - 0
    .max_flat_workgroup_size: 64
    .name:           _ZN9rocsolver6v33100L18getri_kernel_smallILi53E19rocblas_complex_numIfEPKPS3_EEvT1_iilPiilS8_bb
    .private_segment_fixed_size: 432
    .sgpr_count:     21
    .sgpr_spill_count: 0
    .symbol:         _ZN9rocsolver6v33100L18getri_kernel_smallILi53E19rocblas_complex_numIfEPKPS3_EEvT1_iilPiilS8_bb.kd
    .uniform_work_group_size: 1
    .uses_dynamic_stack: false
    .vgpr_count:     324
    .vgpr_spill_count: 0
    .wavefront_size: 32
  - .args:
      - .address_space:  global
        .offset:         0
        .size:           8
        .value_kind:     global_buffer
      - .offset:         8
        .size:           4
        .value_kind:     by_value
      - .offset:         12
        .size:           4
        .value_kind:     by_value
      - .offset:         16
        .size:           8
        .value_kind:     by_value
      - .address_space:  global
        .offset:         24
        .size:           8
        .value_kind:     global_buffer
      - .offset:         32
        .size:           4
        .value_kind:     by_value
      - .offset:         40
        .size:           8
        .value_kind:     by_value
      - .address_space:  global
        .offset:         48
        .size:           8
        .value_kind:     global_buffer
      - .offset:         56
        .size:           1
        .value_kind:     by_value
      - .offset:         57
        .size:           1
        .value_kind:     by_value
    .group_segment_fixed_size: 868
    .kernarg_segment_align: 8
    .kernarg_segment_size: 60
    .language:       OpenCL C
    .language_version:
      - 2
      - 0
    .max_flat_workgroup_size: 64
    .name:           _ZN9rocsolver6v33100L18getri_kernel_smallILi54E19rocblas_complex_numIfEPKPS3_EEvT1_iilPiilS8_bb
    .private_segment_fixed_size: 448
    .sgpr_count:     21
    .sgpr_spill_count: 0
    .symbol:         _ZN9rocsolver6v33100L18getri_kernel_smallILi54E19rocblas_complex_numIfEPKPS3_EEvT1_iilPiilS8_bb.kd
    .uniform_work_group_size: 1
    .uses_dynamic_stack: false
    .vgpr_count:     328
    .vgpr_spill_count: 0
    .wavefront_size: 32
  - .args:
      - .address_space:  global
        .offset:         0
        .size:           8
        .value_kind:     global_buffer
      - .offset:         8
        .size:           4
        .value_kind:     by_value
      - .offset:         12
        .size:           4
        .value_kind:     by_value
      - .offset:         16
        .size:           8
        .value_kind:     by_value
      - .address_space:  global
        .offset:         24
        .size:           8
        .value_kind:     global_buffer
      - .offset:         32
        .size:           4
        .value_kind:     by_value
      - .offset:         40
        .size:           8
        .value_kind:     by_value
      - .address_space:  global
        .offset:         48
        .size:           8
        .value_kind:     global_buffer
      - .offset:         56
        .size:           1
        .value_kind:     by_value
      - .offset:         57
        .size:           1
        .value_kind:     by_value
    .group_segment_fixed_size: 888
    .kernarg_segment_align: 8
    .kernarg_segment_size: 60
    .language:       OpenCL C
    .language_version:
      - 2
      - 0
    .max_flat_workgroup_size: 64
    .name:           _ZN9rocsolver6v33100L18getri_kernel_smallILi55E19rocblas_complex_numIfEPKPS3_EEvT1_iilPiilS8_bb
    .private_segment_fixed_size: 448
    .sgpr_count:     21
    .sgpr_spill_count: 0
    .symbol:         _ZN9rocsolver6v33100L18getri_kernel_smallILi55E19rocblas_complex_numIfEPKPS3_EEvT1_iilPiilS8_bb.kd
    .uniform_work_group_size: 1
    .uses_dynamic_stack: false
    .vgpr_count:     334
    .vgpr_spill_count: 0
    .wavefront_size: 32
  - .args:
      - .address_space:  global
        .offset:         0
        .size:           8
        .value_kind:     global_buffer
      - .offset:         8
        .size:           4
        .value_kind:     by_value
      - .offset:         12
        .size:           4
        .value_kind:     by_value
      - .offset:         16
        .size:           8
        .value_kind:     by_value
      - .address_space:  global
        .offset:         24
        .size:           8
        .value_kind:     global_buffer
      - .offset:         32
        .size:           4
        .value_kind:     by_value
      - .offset:         40
        .size:           8
        .value_kind:     by_value
      - .address_space:  global
        .offset:         48
        .size:           8
        .value_kind:     global_buffer
      - .offset:         56
        .size:           1
        .value_kind:     by_value
      - .offset:         57
        .size:           1
        .value_kind:     by_value
    .group_segment_fixed_size: 900
    .kernarg_segment_align: 8
    .kernarg_segment_size: 60
    .language:       OpenCL C
    .language_version:
      - 2
      - 0
    .max_flat_workgroup_size: 64
    .name:           _ZN9rocsolver6v33100L18getri_kernel_smallILi56E19rocblas_complex_numIfEPKPS3_EEvT1_iilPiilS8_bb
    .private_segment_fixed_size: 464
    .sgpr_count:     21
    .sgpr_spill_count: 0
    .symbol:         _ZN9rocsolver6v33100L18getri_kernel_smallILi56E19rocblas_complex_numIfEPKPS3_EEvT1_iilPiilS8_bb.kd
    .uniform_work_group_size: 1
    .uses_dynamic_stack: false
    .vgpr_count:     340
    .vgpr_spill_count: 0
    .wavefront_size: 32
  - .args:
      - .address_space:  global
        .offset:         0
        .size:           8
        .value_kind:     global_buffer
      - .offset:         8
        .size:           4
        .value_kind:     by_value
      - .offset:         12
        .size:           4
        .value_kind:     by_value
      - .offset:         16
        .size:           8
        .value_kind:     by_value
      - .address_space:  global
        .offset:         24
        .size:           8
        .value_kind:     global_buffer
      - .offset:         32
        .size:           4
        .value_kind:     by_value
      - .offset:         40
        .size:           8
        .value_kind:     by_value
      - .address_space:  global
        .offset:         48
        .size:           8
        .value_kind:     global_buffer
      - .offset:         56
        .size:           1
        .value_kind:     by_value
      - .offset:         57
        .size:           1
        .value_kind:     by_value
    .group_segment_fixed_size: 920
    .kernarg_segment_align: 8
    .kernarg_segment_size: 60
    .language:       OpenCL C
    .language_version:
      - 2
      - 0
    .max_flat_workgroup_size: 64
    .name:           _ZN9rocsolver6v33100L18getri_kernel_smallILi57E19rocblas_complex_numIfEPKPS3_EEvT1_iilPiilS8_bb
    .private_segment_fixed_size: 464
    .sgpr_count:     21
    .sgpr_spill_count: 0
    .symbol:         _ZN9rocsolver6v33100L18getri_kernel_smallILi57E19rocblas_complex_numIfEPKPS3_EEvT1_iilPiilS8_bb.kd
    .uniform_work_group_size: 1
    .uses_dynamic_stack: false
    .vgpr_count:     346
    .vgpr_spill_count: 0
    .wavefront_size: 32
  - .args:
      - .address_space:  global
        .offset:         0
        .size:           8
        .value_kind:     global_buffer
      - .offset:         8
        .size:           4
        .value_kind:     by_value
      - .offset:         12
        .size:           4
        .value_kind:     by_value
      - .offset:         16
        .size:           8
        .value_kind:     by_value
      - .address_space:  global
        .offset:         24
        .size:           8
        .value_kind:     global_buffer
      - .offset:         32
        .size:           4
        .value_kind:     by_value
      - .offset:         40
        .size:           8
        .value_kind:     by_value
      - .address_space:  global
        .offset:         48
        .size:           8
        .value_kind:     global_buffer
      - .offset:         56
        .size:           1
        .value_kind:     by_value
      - .offset:         57
        .size:           1
        .value_kind:     by_value
    .group_segment_fixed_size: 932
    .kernarg_segment_align: 8
    .kernarg_segment_size: 60
    .language:       OpenCL C
    .language_version:
      - 2
      - 0
    .max_flat_workgroup_size: 64
    .name:           _ZN9rocsolver6v33100L18getri_kernel_smallILi58E19rocblas_complex_numIfEPKPS3_EEvT1_iilPiilS8_bb
    .private_segment_fixed_size: 480
    .sgpr_count:     21
    .sgpr_spill_count: 0
    .symbol:         _ZN9rocsolver6v33100L18getri_kernel_smallILi58E19rocblas_complex_numIfEPKPS3_EEvT1_iilPiilS8_bb.kd
    .uniform_work_group_size: 1
    .uses_dynamic_stack: false
    .vgpr_count:     348
    .vgpr_spill_count: 0
    .wavefront_size: 32
  - .args:
      - .address_space:  global
        .offset:         0
        .size:           8
        .value_kind:     global_buffer
      - .offset:         8
        .size:           4
        .value_kind:     by_value
      - .offset:         12
        .size:           4
        .value_kind:     by_value
      - .offset:         16
        .size:           8
        .value_kind:     by_value
      - .address_space:  global
        .offset:         24
        .size:           8
        .value_kind:     global_buffer
      - .offset:         32
        .size:           4
        .value_kind:     by_value
      - .offset:         40
        .size:           8
        .value_kind:     by_value
      - .address_space:  global
        .offset:         48
        .size:           8
        .value_kind:     global_buffer
      - .offset:         56
        .size:           1
        .value_kind:     by_value
      - .offset:         57
        .size:           1
        .value_kind:     by_value
    .group_segment_fixed_size: 952
    .kernarg_segment_align: 8
    .kernarg_segment_size: 60
    .language:       OpenCL C
    .language_version:
      - 2
      - 0
    .max_flat_workgroup_size: 64
    .name:           _ZN9rocsolver6v33100L18getri_kernel_smallILi59E19rocblas_complex_numIfEPKPS3_EEvT1_iilPiilS8_bb
    .private_segment_fixed_size: 480
    .sgpr_count:     21
    .sgpr_spill_count: 0
    .symbol:         _ZN9rocsolver6v33100L18getri_kernel_smallILi59E19rocblas_complex_numIfEPKPS3_EEvT1_iilPiilS8_bb.kd
    .uniform_work_group_size: 1
    .uses_dynamic_stack: false
    .vgpr_count:     410
    .vgpr_spill_count: 0
    .wavefront_size: 32
  - .args:
      - .address_space:  global
        .offset:         0
        .size:           8
        .value_kind:     global_buffer
      - .offset:         8
        .size:           4
        .value_kind:     by_value
      - .offset:         12
        .size:           4
        .value_kind:     by_value
      - .offset:         16
        .size:           8
        .value_kind:     by_value
      - .address_space:  global
        .offset:         24
        .size:           8
        .value_kind:     global_buffer
      - .offset:         32
        .size:           4
        .value_kind:     by_value
      - .offset:         40
        .size:           8
        .value_kind:     by_value
      - .address_space:  global
        .offset:         48
        .size:           8
        .value_kind:     global_buffer
      - .offset:         56
        .size:           1
        .value_kind:     by_value
      - .offset:         57
        .size:           1
        .value_kind:     by_value
    .group_segment_fixed_size: 964
    .kernarg_segment_align: 8
    .kernarg_segment_size: 60
    .language:       OpenCL C
    .language_version:
      - 2
      - 0
    .max_flat_workgroup_size: 64
    .name:           _ZN9rocsolver6v33100L18getri_kernel_smallILi60E19rocblas_complex_numIfEPKPS3_EEvT1_iilPiilS8_bb
    .private_segment_fixed_size: 496
    .sgpr_count:     21
    .sgpr_spill_count: 0
    .symbol:         _ZN9rocsolver6v33100L18getri_kernel_smallILi60E19rocblas_complex_numIfEPKPS3_EEvT1_iilPiilS8_bb.kd
    .uniform_work_group_size: 1
    .uses_dynamic_stack: false
    .vgpr_count:     418
    .vgpr_spill_count: 0
    .wavefront_size: 32
  - .args:
      - .address_space:  global
        .offset:         0
        .size:           8
        .value_kind:     global_buffer
      - .offset:         8
        .size:           4
        .value_kind:     by_value
      - .offset:         12
        .size:           4
        .value_kind:     by_value
      - .offset:         16
        .size:           8
        .value_kind:     by_value
      - .address_space:  global
        .offset:         24
        .size:           8
        .value_kind:     global_buffer
      - .offset:         32
        .size:           4
        .value_kind:     by_value
      - .offset:         40
        .size:           8
        .value_kind:     by_value
      - .address_space:  global
        .offset:         48
        .size:           8
        .value_kind:     global_buffer
      - .offset:         56
        .size:           1
        .value_kind:     by_value
      - .offset:         57
        .size:           1
        .value_kind:     by_value
    .group_segment_fixed_size: 984
    .kernarg_segment_align: 8
    .kernarg_segment_size: 60
    .language:       OpenCL C
    .language_version:
      - 2
      - 0
    .max_flat_workgroup_size: 64
    .name:           _ZN9rocsolver6v33100L18getri_kernel_smallILi61E19rocblas_complex_numIfEPKPS3_EEvT1_iilPiilS8_bb
    .private_segment_fixed_size: 496
    .sgpr_count:     21
    .sgpr_spill_count: 0
    .symbol:         _ZN9rocsolver6v33100L18getri_kernel_smallILi61E19rocblas_complex_numIfEPKPS3_EEvT1_iilPiilS8_bb.kd
    .uniform_work_group_size: 1
    .uses_dynamic_stack: false
    .vgpr_count:     424
    .vgpr_spill_count: 0
    .wavefront_size: 32
  - .args:
      - .address_space:  global
        .offset:         0
        .size:           8
        .value_kind:     global_buffer
      - .offset:         8
        .size:           4
        .value_kind:     by_value
      - .offset:         12
        .size:           4
        .value_kind:     by_value
      - .offset:         16
        .size:           8
        .value_kind:     by_value
      - .address_space:  global
        .offset:         24
        .size:           8
        .value_kind:     global_buffer
      - .offset:         32
        .size:           4
        .value_kind:     by_value
      - .offset:         40
        .size:           8
        .value_kind:     by_value
      - .address_space:  global
        .offset:         48
        .size:           8
        .value_kind:     global_buffer
      - .offset:         56
        .size:           1
        .value_kind:     by_value
      - .offset:         57
        .size:           1
        .value_kind:     by_value
    .group_segment_fixed_size: 996
    .kernarg_segment_align: 8
    .kernarg_segment_size: 60
    .language:       OpenCL C
    .language_version:
      - 2
      - 0
    .max_flat_workgroup_size: 64
    .name:           _ZN9rocsolver6v33100L18getri_kernel_smallILi62E19rocblas_complex_numIfEPKPS3_EEvT1_iilPiilS8_bb
    .private_segment_fixed_size: 512
    .sgpr_count:     21
    .sgpr_spill_count: 0
    .symbol:         _ZN9rocsolver6v33100L18getri_kernel_smallILi62E19rocblas_complex_numIfEPKPS3_EEvT1_iilPiilS8_bb.kd
    .uniform_work_group_size: 1
    .uses_dynamic_stack: false
    .vgpr_count:     432
    .vgpr_spill_count: 0
    .wavefront_size: 32
  - .args:
      - .address_space:  global
        .offset:         0
        .size:           8
        .value_kind:     global_buffer
      - .offset:         8
        .size:           4
        .value_kind:     by_value
      - .offset:         12
        .size:           4
        .value_kind:     by_value
      - .offset:         16
        .size:           8
        .value_kind:     by_value
      - .address_space:  global
        .offset:         24
        .size:           8
        .value_kind:     global_buffer
      - .offset:         32
        .size:           4
        .value_kind:     by_value
      - .offset:         40
        .size:           8
        .value_kind:     by_value
      - .address_space:  global
        .offset:         48
        .size:           8
        .value_kind:     global_buffer
      - .offset:         56
        .size:           1
        .value_kind:     by_value
      - .offset:         57
        .size:           1
        .value_kind:     by_value
    .group_segment_fixed_size: 1016
    .kernarg_segment_align: 8
    .kernarg_segment_size: 60
    .language:       OpenCL C
    .language_version:
      - 2
      - 0
    .max_flat_workgroup_size: 64
    .name:           _ZN9rocsolver6v33100L18getri_kernel_smallILi63E19rocblas_complex_numIfEPKPS3_EEvT1_iilPiilS8_bb
    .private_segment_fixed_size: 512
    .sgpr_count:     21
    .sgpr_spill_count: 0
    .symbol:         _ZN9rocsolver6v33100L18getri_kernel_smallILi63E19rocblas_complex_numIfEPKPS3_EEvT1_iilPiilS8_bb.kd
    .uniform_work_group_size: 1
    .uses_dynamic_stack: false
    .vgpr_count:     438
    .vgpr_spill_count: 0
    .wavefront_size: 32
  - .args:
      - .address_space:  global
        .offset:         0
        .size:           8
        .value_kind:     global_buffer
      - .offset:         8
        .size:           4
        .value_kind:     by_value
      - .offset:         12
        .size:           4
        .value_kind:     by_value
      - .offset:         16
        .size:           8
        .value_kind:     by_value
      - .address_space:  global
        .offset:         24
        .size:           8
        .value_kind:     global_buffer
      - .offset:         32
        .size:           4
        .value_kind:     by_value
      - .offset:         40
        .size:           8
        .value_kind:     by_value
      - .address_space:  global
        .offset:         48
        .size:           8
        .value_kind:     global_buffer
      - .offset:         56
        .size:           1
        .value_kind:     by_value
      - .offset:         57
        .size:           1
        .value_kind:     by_value
    .group_segment_fixed_size: 1028
    .kernarg_segment_align: 8
    .kernarg_segment_size: 60
    .language:       OpenCL C
    .language_version:
      - 2
      - 0
    .max_flat_workgroup_size: 64
    .name:           _ZN9rocsolver6v33100L18getri_kernel_smallILi64E19rocblas_complex_numIfEPKPS3_EEvT1_iilPiilS8_bb
    .private_segment_fixed_size: 528
    .sgpr_count:     21
    .sgpr_spill_count: 0
    .symbol:         _ZN9rocsolver6v33100L18getri_kernel_smallILi64E19rocblas_complex_numIfEPKPS3_EEvT1_iilPiilS8_bb.kd
    .uniform_work_group_size: 1
    .uses_dynamic_stack: false
    .vgpr_count:     446
    .vgpr_spill_count: 0
    .wavefront_size: 32
amdhsa.target:   amdgcn-amd-amdhsa--gfx1250
amdhsa.version:
  - 1
  - 2
...

	.end_amdgpu_metadata
